;; amdgpu-corpus repo=pytorch/pytorch kind=compiled arch=gfx942 opt=O3
	.text
	.amdgcn_target "amdgcn-amd-amdhsa--gfx942"
	.amdhsa_code_object_version 6
	.section	.text._ZN7rocprim17ROCPRIM_400000_NS6detail44device_merge_sort_compile_time_verifier_archINS1_11comp_targetILNS1_3genE0ELNS1_11target_archE4294967295ELNS1_3gpuE0ELNS1_3repE0EEES8_NS0_14default_configES9_NS1_37merge_sort_block_sort_config_selectorIlNS0_10empty_typeEEENS1_38merge_sort_block_merge_config_selectorIlSB_EEEEvv,"axG",@progbits,_ZN7rocprim17ROCPRIM_400000_NS6detail44device_merge_sort_compile_time_verifier_archINS1_11comp_targetILNS1_3genE0ELNS1_11target_archE4294967295ELNS1_3gpuE0ELNS1_3repE0EEES8_NS0_14default_configES9_NS1_37merge_sort_block_sort_config_selectorIlNS0_10empty_typeEEENS1_38merge_sort_block_merge_config_selectorIlSB_EEEEvv,comdat
	.protected	_ZN7rocprim17ROCPRIM_400000_NS6detail44device_merge_sort_compile_time_verifier_archINS1_11comp_targetILNS1_3genE0ELNS1_11target_archE4294967295ELNS1_3gpuE0ELNS1_3repE0EEES8_NS0_14default_configES9_NS1_37merge_sort_block_sort_config_selectorIlNS0_10empty_typeEEENS1_38merge_sort_block_merge_config_selectorIlSB_EEEEvv ; -- Begin function _ZN7rocprim17ROCPRIM_400000_NS6detail44device_merge_sort_compile_time_verifier_archINS1_11comp_targetILNS1_3genE0ELNS1_11target_archE4294967295ELNS1_3gpuE0ELNS1_3repE0EEES8_NS0_14default_configES9_NS1_37merge_sort_block_sort_config_selectorIlNS0_10empty_typeEEENS1_38merge_sort_block_merge_config_selectorIlSB_EEEEvv
	.globl	_ZN7rocprim17ROCPRIM_400000_NS6detail44device_merge_sort_compile_time_verifier_archINS1_11comp_targetILNS1_3genE0ELNS1_11target_archE4294967295ELNS1_3gpuE0ELNS1_3repE0EEES8_NS0_14default_configES9_NS1_37merge_sort_block_sort_config_selectorIlNS0_10empty_typeEEENS1_38merge_sort_block_merge_config_selectorIlSB_EEEEvv
	.p2align	8
	.type	_ZN7rocprim17ROCPRIM_400000_NS6detail44device_merge_sort_compile_time_verifier_archINS1_11comp_targetILNS1_3genE0ELNS1_11target_archE4294967295ELNS1_3gpuE0ELNS1_3repE0EEES8_NS0_14default_configES9_NS1_37merge_sort_block_sort_config_selectorIlNS0_10empty_typeEEENS1_38merge_sort_block_merge_config_selectorIlSB_EEEEvv,@function
_ZN7rocprim17ROCPRIM_400000_NS6detail44device_merge_sort_compile_time_verifier_archINS1_11comp_targetILNS1_3genE0ELNS1_11target_archE4294967295ELNS1_3gpuE0ELNS1_3repE0EEES8_NS0_14default_configES9_NS1_37merge_sort_block_sort_config_selectorIlNS0_10empty_typeEEENS1_38merge_sort_block_merge_config_selectorIlSB_EEEEvv: ; @_ZN7rocprim17ROCPRIM_400000_NS6detail44device_merge_sort_compile_time_verifier_archINS1_11comp_targetILNS1_3genE0ELNS1_11target_archE4294967295ELNS1_3gpuE0ELNS1_3repE0EEES8_NS0_14default_configES9_NS1_37merge_sort_block_sort_config_selectorIlNS0_10empty_typeEEENS1_38merge_sort_block_merge_config_selectorIlSB_EEEEvv
; %bb.0:
	s_endpgm
	.section	.rodata,"a",@progbits
	.p2align	6, 0x0
	.amdhsa_kernel _ZN7rocprim17ROCPRIM_400000_NS6detail44device_merge_sort_compile_time_verifier_archINS1_11comp_targetILNS1_3genE0ELNS1_11target_archE4294967295ELNS1_3gpuE0ELNS1_3repE0EEES8_NS0_14default_configES9_NS1_37merge_sort_block_sort_config_selectorIlNS0_10empty_typeEEENS1_38merge_sort_block_merge_config_selectorIlSB_EEEEvv
		.amdhsa_group_segment_fixed_size 0
		.amdhsa_private_segment_fixed_size 0
		.amdhsa_kernarg_size 0
		.amdhsa_user_sgpr_count 0
		.amdhsa_user_sgpr_dispatch_ptr 0
		.amdhsa_user_sgpr_queue_ptr 0
		.amdhsa_user_sgpr_kernarg_segment_ptr 0
		.amdhsa_user_sgpr_dispatch_id 0
		.amdhsa_user_sgpr_kernarg_preload_length 0
		.amdhsa_user_sgpr_kernarg_preload_offset 0
		.amdhsa_user_sgpr_private_segment_size 0
		.amdhsa_uses_dynamic_stack 0
		.amdhsa_enable_private_segment 0
		.amdhsa_system_sgpr_workgroup_id_x 1
		.amdhsa_system_sgpr_workgroup_id_y 0
		.amdhsa_system_sgpr_workgroup_id_z 0
		.amdhsa_system_sgpr_workgroup_info 0
		.amdhsa_system_vgpr_workitem_id 0
		.amdhsa_next_free_vgpr 1
		.amdhsa_next_free_sgpr 0
		.amdhsa_accum_offset 4
		.amdhsa_reserve_vcc 0
		.amdhsa_float_round_mode_32 0
		.amdhsa_float_round_mode_16_64 0
		.amdhsa_float_denorm_mode_32 3
		.amdhsa_float_denorm_mode_16_64 3
		.amdhsa_dx10_clamp 1
		.amdhsa_ieee_mode 1
		.amdhsa_fp16_overflow 0
		.amdhsa_tg_split 0
		.amdhsa_exception_fp_ieee_invalid_op 0
		.amdhsa_exception_fp_denorm_src 0
		.amdhsa_exception_fp_ieee_div_zero 0
		.amdhsa_exception_fp_ieee_overflow 0
		.amdhsa_exception_fp_ieee_underflow 0
		.amdhsa_exception_fp_ieee_inexact 0
		.amdhsa_exception_int_div_zero 0
	.end_amdhsa_kernel
	.section	.text._ZN7rocprim17ROCPRIM_400000_NS6detail44device_merge_sort_compile_time_verifier_archINS1_11comp_targetILNS1_3genE0ELNS1_11target_archE4294967295ELNS1_3gpuE0ELNS1_3repE0EEES8_NS0_14default_configES9_NS1_37merge_sort_block_sort_config_selectorIlNS0_10empty_typeEEENS1_38merge_sort_block_merge_config_selectorIlSB_EEEEvv,"axG",@progbits,_ZN7rocprim17ROCPRIM_400000_NS6detail44device_merge_sort_compile_time_verifier_archINS1_11comp_targetILNS1_3genE0ELNS1_11target_archE4294967295ELNS1_3gpuE0ELNS1_3repE0EEES8_NS0_14default_configES9_NS1_37merge_sort_block_sort_config_selectorIlNS0_10empty_typeEEENS1_38merge_sort_block_merge_config_selectorIlSB_EEEEvv,comdat
.Lfunc_end0:
	.size	_ZN7rocprim17ROCPRIM_400000_NS6detail44device_merge_sort_compile_time_verifier_archINS1_11comp_targetILNS1_3genE0ELNS1_11target_archE4294967295ELNS1_3gpuE0ELNS1_3repE0EEES8_NS0_14default_configES9_NS1_37merge_sort_block_sort_config_selectorIlNS0_10empty_typeEEENS1_38merge_sort_block_merge_config_selectorIlSB_EEEEvv, .Lfunc_end0-_ZN7rocprim17ROCPRIM_400000_NS6detail44device_merge_sort_compile_time_verifier_archINS1_11comp_targetILNS1_3genE0ELNS1_11target_archE4294967295ELNS1_3gpuE0ELNS1_3repE0EEES8_NS0_14default_configES9_NS1_37merge_sort_block_sort_config_selectorIlNS0_10empty_typeEEENS1_38merge_sort_block_merge_config_selectorIlSB_EEEEvv
                                        ; -- End function
	.section	.AMDGPU.csdata,"",@progbits
; Kernel info:
; codeLenInByte = 4
; NumSgprs: 6
; NumVgprs: 0
; NumAgprs: 0
; TotalNumVgprs: 0
; ScratchSize: 0
; MemoryBound: 0
; FloatMode: 240
; IeeeMode: 1
; LDSByteSize: 0 bytes/workgroup (compile time only)
; SGPRBlocks: 0
; VGPRBlocks: 0
; NumSGPRsForWavesPerEU: 6
; NumVGPRsForWavesPerEU: 1
; AccumOffset: 4
; Occupancy: 8
; WaveLimiterHint : 0
; COMPUTE_PGM_RSRC2:SCRATCH_EN: 0
; COMPUTE_PGM_RSRC2:USER_SGPR: 0
; COMPUTE_PGM_RSRC2:TRAP_HANDLER: 0
; COMPUTE_PGM_RSRC2:TGID_X_EN: 1
; COMPUTE_PGM_RSRC2:TGID_Y_EN: 0
; COMPUTE_PGM_RSRC2:TGID_Z_EN: 0
; COMPUTE_PGM_RSRC2:TIDIG_COMP_CNT: 0
; COMPUTE_PGM_RSRC3_GFX90A:ACCUM_OFFSET: 0
; COMPUTE_PGM_RSRC3_GFX90A:TG_SPLIT: 0
	.section	.text._ZN7rocprim17ROCPRIM_400000_NS6detail44device_merge_sort_compile_time_verifier_archINS1_11comp_targetILNS1_3genE5ELNS1_11target_archE942ELNS1_3gpuE9ELNS1_3repE0EEES8_NS0_14default_configES9_NS1_37merge_sort_block_sort_config_selectorIlNS0_10empty_typeEEENS1_38merge_sort_block_merge_config_selectorIlSB_EEEEvv,"axG",@progbits,_ZN7rocprim17ROCPRIM_400000_NS6detail44device_merge_sort_compile_time_verifier_archINS1_11comp_targetILNS1_3genE5ELNS1_11target_archE942ELNS1_3gpuE9ELNS1_3repE0EEES8_NS0_14default_configES9_NS1_37merge_sort_block_sort_config_selectorIlNS0_10empty_typeEEENS1_38merge_sort_block_merge_config_selectorIlSB_EEEEvv,comdat
	.protected	_ZN7rocprim17ROCPRIM_400000_NS6detail44device_merge_sort_compile_time_verifier_archINS1_11comp_targetILNS1_3genE5ELNS1_11target_archE942ELNS1_3gpuE9ELNS1_3repE0EEES8_NS0_14default_configES9_NS1_37merge_sort_block_sort_config_selectorIlNS0_10empty_typeEEENS1_38merge_sort_block_merge_config_selectorIlSB_EEEEvv ; -- Begin function _ZN7rocprim17ROCPRIM_400000_NS6detail44device_merge_sort_compile_time_verifier_archINS1_11comp_targetILNS1_3genE5ELNS1_11target_archE942ELNS1_3gpuE9ELNS1_3repE0EEES8_NS0_14default_configES9_NS1_37merge_sort_block_sort_config_selectorIlNS0_10empty_typeEEENS1_38merge_sort_block_merge_config_selectorIlSB_EEEEvv
	.globl	_ZN7rocprim17ROCPRIM_400000_NS6detail44device_merge_sort_compile_time_verifier_archINS1_11comp_targetILNS1_3genE5ELNS1_11target_archE942ELNS1_3gpuE9ELNS1_3repE0EEES8_NS0_14default_configES9_NS1_37merge_sort_block_sort_config_selectorIlNS0_10empty_typeEEENS1_38merge_sort_block_merge_config_selectorIlSB_EEEEvv
	.p2align	8
	.type	_ZN7rocprim17ROCPRIM_400000_NS6detail44device_merge_sort_compile_time_verifier_archINS1_11comp_targetILNS1_3genE5ELNS1_11target_archE942ELNS1_3gpuE9ELNS1_3repE0EEES8_NS0_14default_configES9_NS1_37merge_sort_block_sort_config_selectorIlNS0_10empty_typeEEENS1_38merge_sort_block_merge_config_selectorIlSB_EEEEvv,@function
_ZN7rocprim17ROCPRIM_400000_NS6detail44device_merge_sort_compile_time_verifier_archINS1_11comp_targetILNS1_3genE5ELNS1_11target_archE942ELNS1_3gpuE9ELNS1_3repE0EEES8_NS0_14default_configES9_NS1_37merge_sort_block_sort_config_selectorIlNS0_10empty_typeEEENS1_38merge_sort_block_merge_config_selectorIlSB_EEEEvv: ; @_ZN7rocprim17ROCPRIM_400000_NS6detail44device_merge_sort_compile_time_verifier_archINS1_11comp_targetILNS1_3genE5ELNS1_11target_archE942ELNS1_3gpuE9ELNS1_3repE0EEES8_NS0_14default_configES9_NS1_37merge_sort_block_sort_config_selectorIlNS0_10empty_typeEEENS1_38merge_sort_block_merge_config_selectorIlSB_EEEEvv
; %bb.0:
	s_endpgm
	.section	.rodata,"a",@progbits
	.p2align	6, 0x0
	.amdhsa_kernel _ZN7rocprim17ROCPRIM_400000_NS6detail44device_merge_sort_compile_time_verifier_archINS1_11comp_targetILNS1_3genE5ELNS1_11target_archE942ELNS1_3gpuE9ELNS1_3repE0EEES8_NS0_14default_configES9_NS1_37merge_sort_block_sort_config_selectorIlNS0_10empty_typeEEENS1_38merge_sort_block_merge_config_selectorIlSB_EEEEvv
		.amdhsa_group_segment_fixed_size 0
		.amdhsa_private_segment_fixed_size 0
		.amdhsa_kernarg_size 0
		.amdhsa_user_sgpr_count 0
		.amdhsa_user_sgpr_dispatch_ptr 0
		.amdhsa_user_sgpr_queue_ptr 0
		.amdhsa_user_sgpr_kernarg_segment_ptr 0
		.amdhsa_user_sgpr_dispatch_id 0
		.amdhsa_user_sgpr_kernarg_preload_length 0
		.amdhsa_user_sgpr_kernarg_preload_offset 0
		.amdhsa_user_sgpr_private_segment_size 0
		.amdhsa_uses_dynamic_stack 0
		.amdhsa_enable_private_segment 0
		.amdhsa_system_sgpr_workgroup_id_x 1
		.amdhsa_system_sgpr_workgroup_id_y 0
		.amdhsa_system_sgpr_workgroup_id_z 0
		.amdhsa_system_sgpr_workgroup_info 0
		.amdhsa_system_vgpr_workitem_id 0
		.amdhsa_next_free_vgpr 1
		.amdhsa_next_free_sgpr 0
		.amdhsa_accum_offset 4
		.amdhsa_reserve_vcc 0
		.amdhsa_float_round_mode_32 0
		.amdhsa_float_round_mode_16_64 0
		.amdhsa_float_denorm_mode_32 3
		.amdhsa_float_denorm_mode_16_64 3
		.amdhsa_dx10_clamp 1
		.amdhsa_ieee_mode 1
		.amdhsa_fp16_overflow 0
		.amdhsa_tg_split 0
		.amdhsa_exception_fp_ieee_invalid_op 0
		.amdhsa_exception_fp_denorm_src 0
		.amdhsa_exception_fp_ieee_div_zero 0
		.amdhsa_exception_fp_ieee_overflow 0
		.amdhsa_exception_fp_ieee_underflow 0
		.amdhsa_exception_fp_ieee_inexact 0
		.amdhsa_exception_int_div_zero 0
	.end_amdhsa_kernel
	.section	.text._ZN7rocprim17ROCPRIM_400000_NS6detail44device_merge_sort_compile_time_verifier_archINS1_11comp_targetILNS1_3genE5ELNS1_11target_archE942ELNS1_3gpuE9ELNS1_3repE0EEES8_NS0_14default_configES9_NS1_37merge_sort_block_sort_config_selectorIlNS0_10empty_typeEEENS1_38merge_sort_block_merge_config_selectorIlSB_EEEEvv,"axG",@progbits,_ZN7rocprim17ROCPRIM_400000_NS6detail44device_merge_sort_compile_time_verifier_archINS1_11comp_targetILNS1_3genE5ELNS1_11target_archE942ELNS1_3gpuE9ELNS1_3repE0EEES8_NS0_14default_configES9_NS1_37merge_sort_block_sort_config_selectorIlNS0_10empty_typeEEENS1_38merge_sort_block_merge_config_selectorIlSB_EEEEvv,comdat
.Lfunc_end1:
	.size	_ZN7rocprim17ROCPRIM_400000_NS6detail44device_merge_sort_compile_time_verifier_archINS1_11comp_targetILNS1_3genE5ELNS1_11target_archE942ELNS1_3gpuE9ELNS1_3repE0EEES8_NS0_14default_configES9_NS1_37merge_sort_block_sort_config_selectorIlNS0_10empty_typeEEENS1_38merge_sort_block_merge_config_selectorIlSB_EEEEvv, .Lfunc_end1-_ZN7rocprim17ROCPRIM_400000_NS6detail44device_merge_sort_compile_time_verifier_archINS1_11comp_targetILNS1_3genE5ELNS1_11target_archE942ELNS1_3gpuE9ELNS1_3repE0EEES8_NS0_14default_configES9_NS1_37merge_sort_block_sort_config_selectorIlNS0_10empty_typeEEENS1_38merge_sort_block_merge_config_selectorIlSB_EEEEvv
                                        ; -- End function
	.section	.AMDGPU.csdata,"",@progbits
; Kernel info:
; codeLenInByte = 4
; NumSgprs: 6
; NumVgprs: 0
; NumAgprs: 0
; TotalNumVgprs: 0
; ScratchSize: 0
; MemoryBound: 0
; FloatMode: 240
; IeeeMode: 1
; LDSByteSize: 0 bytes/workgroup (compile time only)
; SGPRBlocks: 0
; VGPRBlocks: 0
; NumSGPRsForWavesPerEU: 6
; NumVGPRsForWavesPerEU: 1
; AccumOffset: 4
; Occupancy: 8
; WaveLimiterHint : 0
; COMPUTE_PGM_RSRC2:SCRATCH_EN: 0
; COMPUTE_PGM_RSRC2:USER_SGPR: 0
; COMPUTE_PGM_RSRC2:TRAP_HANDLER: 0
; COMPUTE_PGM_RSRC2:TGID_X_EN: 1
; COMPUTE_PGM_RSRC2:TGID_Y_EN: 0
; COMPUTE_PGM_RSRC2:TGID_Z_EN: 0
; COMPUTE_PGM_RSRC2:TIDIG_COMP_CNT: 0
; COMPUTE_PGM_RSRC3_GFX90A:ACCUM_OFFSET: 0
; COMPUTE_PGM_RSRC3_GFX90A:TG_SPLIT: 0
	.section	.text._ZN7rocprim17ROCPRIM_400000_NS6detail44device_merge_sort_compile_time_verifier_archINS1_11comp_targetILNS1_3genE4ELNS1_11target_archE910ELNS1_3gpuE8ELNS1_3repE0EEES8_NS0_14default_configES9_NS1_37merge_sort_block_sort_config_selectorIlNS0_10empty_typeEEENS1_38merge_sort_block_merge_config_selectorIlSB_EEEEvv,"axG",@progbits,_ZN7rocprim17ROCPRIM_400000_NS6detail44device_merge_sort_compile_time_verifier_archINS1_11comp_targetILNS1_3genE4ELNS1_11target_archE910ELNS1_3gpuE8ELNS1_3repE0EEES8_NS0_14default_configES9_NS1_37merge_sort_block_sort_config_selectorIlNS0_10empty_typeEEENS1_38merge_sort_block_merge_config_selectorIlSB_EEEEvv,comdat
	.protected	_ZN7rocprim17ROCPRIM_400000_NS6detail44device_merge_sort_compile_time_verifier_archINS1_11comp_targetILNS1_3genE4ELNS1_11target_archE910ELNS1_3gpuE8ELNS1_3repE0EEES8_NS0_14default_configES9_NS1_37merge_sort_block_sort_config_selectorIlNS0_10empty_typeEEENS1_38merge_sort_block_merge_config_selectorIlSB_EEEEvv ; -- Begin function _ZN7rocprim17ROCPRIM_400000_NS6detail44device_merge_sort_compile_time_verifier_archINS1_11comp_targetILNS1_3genE4ELNS1_11target_archE910ELNS1_3gpuE8ELNS1_3repE0EEES8_NS0_14default_configES9_NS1_37merge_sort_block_sort_config_selectorIlNS0_10empty_typeEEENS1_38merge_sort_block_merge_config_selectorIlSB_EEEEvv
	.globl	_ZN7rocprim17ROCPRIM_400000_NS6detail44device_merge_sort_compile_time_verifier_archINS1_11comp_targetILNS1_3genE4ELNS1_11target_archE910ELNS1_3gpuE8ELNS1_3repE0EEES8_NS0_14default_configES9_NS1_37merge_sort_block_sort_config_selectorIlNS0_10empty_typeEEENS1_38merge_sort_block_merge_config_selectorIlSB_EEEEvv
	.p2align	8
	.type	_ZN7rocprim17ROCPRIM_400000_NS6detail44device_merge_sort_compile_time_verifier_archINS1_11comp_targetILNS1_3genE4ELNS1_11target_archE910ELNS1_3gpuE8ELNS1_3repE0EEES8_NS0_14default_configES9_NS1_37merge_sort_block_sort_config_selectorIlNS0_10empty_typeEEENS1_38merge_sort_block_merge_config_selectorIlSB_EEEEvv,@function
_ZN7rocprim17ROCPRIM_400000_NS6detail44device_merge_sort_compile_time_verifier_archINS1_11comp_targetILNS1_3genE4ELNS1_11target_archE910ELNS1_3gpuE8ELNS1_3repE0EEES8_NS0_14default_configES9_NS1_37merge_sort_block_sort_config_selectorIlNS0_10empty_typeEEENS1_38merge_sort_block_merge_config_selectorIlSB_EEEEvv: ; @_ZN7rocprim17ROCPRIM_400000_NS6detail44device_merge_sort_compile_time_verifier_archINS1_11comp_targetILNS1_3genE4ELNS1_11target_archE910ELNS1_3gpuE8ELNS1_3repE0EEES8_NS0_14default_configES9_NS1_37merge_sort_block_sort_config_selectorIlNS0_10empty_typeEEENS1_38merge_sort_block_merge_config_selectorIlSB_EEEEvv
; %bb.0:
	s_endpgm
	.section	.rodata,"a",@progbits
	.p2align	6, 0x0
	.amdhsa_kernel _ZN7rocprim17ROCPRIM_400000_NS6detail44device_merge_sort_compile_time_verifier_archINS1_11comp_targetILNS1_3genE4ELNS1_11target_archE910ELNS1_3gpuE8ELNS1_3repE0EEES8_NS0_14default_configES9_NS1_37merge_sort_block_sort_config_selectorIlNS0_10empty_typeEEENS1_38merge_sort_block_merge_config_selectorIlSB_EEEEvv
		.amdhsa_group_segment_fixed_size 0
		.amdhsa_private_segment_fixed_size 0
		.amdhsa_kernarg_size 0
		.amdhsa_user_sgpr_count 0
		.amdhsa_user_sgpr_dispatch_ptr 0
		.amdhsa_user_sgpr_queue_ptr 0
		.amdhsa_user_sgpr_kernarg_segment_ptr 0
		.amdhsa_user_sgpr_dispatch_id 0
		.amdhsa_user_sgpr_kernarg_preload_length 0
		.amdhsa_user_sgpr_kernarg_preload_offset 0
		.amdhsa_user_sgpr_private_segment_size 0
		.amdhsa_uses_dynamic_stack 0
		.amdhsa_enable_private_segment 0
		.amdhsa_system_sgpr_workgroup_id_x 1
		.amdhsa_system_sgpr_workgroup_id_y 0
		.amdhsa_system_sgpr_workgroup_id_z 0
		.amdhsa_system_sgpr_workgroup_info 0
		.amdhsa_system_vgpr_workitem_id 0
		.amdhsa_next_free_vgpr 1
		.amdhsa_next_free_sgpr 0
		.amdhsa_accum_offset 4
		.amdhsa_reserve_vcc 0
		.amdhsa_float_round_mode_32 0
		.amdhsa_float_round_mode_16_64 0
		.amdhsa_float_denorm_mode_32 3
		.amdhsa_float_denorm_mode_16_64 3
		.amdhsa_dx10_clamp 1
		.amdhsa_ieee_mode 1
		.amdhsa_fp16_overflow 0
		.amdhsa_tg_split 0
		.amdhsa_exception_fp_ieee_invalid_op 0
		.amdhsa_exception_fp_denorm_src 0
		.amdhsa_exception_fp_ieee_div_zero 0
		.amdhsa_exception_fp_ieee_overflow 0
		.amdhsa_exception_fp_ieee_underflow 0
		.amdhsa_exception_fp_ieee_inexact 0
		.amdhsa_exception_int_div_zero 0
	.end_amdhsa_kernel
	.section	.text._ZN7rocprim17ROCPRIM_400000_NS6detail44device_merge_sort_compile_time_verifier_archINS1_11comp_targetILNS1_3genE4ELNS1_11target_archE910ELNS1_3gpuE8ELNS1_3repE0EEES8_NS0_14default_configES9_NS1_37merge_sort_block_sort_config_selectorIlNS0_10empty_typeEEENS1_38merge_sort_block_merge_config_selectorIlSB_EEEEvv,"axG",@progbits,_ZN7rocprim17ROCPRIM_400000_NS6detail44device_merge_sort_compile_time_verifier_archINS1_11comp_targetILNS1_3genE4ELNS1_11target_archE910ELNS1_3gpuE8ELNS1_3repE0EEES8_NS0_14default_configES9_NS1_37merge_sort_block_sort_config_selectorIlNS0_10empty_typeEEENS1_38merge_sort_block_merge_config_selectorIlSB_EEEEvv,comdat
.Lfunc_end2:
	.size	_ZN7rocprim17ROCPRIM_400000_NS6detail44device_merge_sort_compile_time_verifier_archINS1_11comp_targetILNS1_3genE4ELNS1_11target_archE910ELNS1_3gpuE8ELNS1_3repE0EEES8_NS0_14default_configES9_NS1_37merge_sort_block_sort_config_selectorIlNS0_10empty_typeEEENS1_38merge_sort_block_merge_config_selectorIlSB_EEEEvv, .Lfunc_end2-_ZN7rocprim17ROCPRIM_400000_NS6detail44device_merge_sort_compile_time_verifier_archINS1_11comp_targetILNS1_3genE4ELNS1_11target_archE910ELNS1_3gpuE8ELNS1_3repE0EEES8_NS0_14default_configES9_NS1_37merge_sort_block_sort_config_selectorIlNS0_10empty_typeEEENS1_38merge_sort_block_merge_config_selectorIlSB_EEEEvv
                                        ; -- End function
	.section	.AMDGPU.csdata,"",@progbits
; Kernel info:
; codeLenInByte = 4
; NumSgprs: 6
; NumVgprs: 0
; NumAgprs: 0
; TotalNumVgprs: 0
; ScratchSize: 0
; MemoryBound: 0
; FloatMode: 240
; IeeeMode: 1
; LDSByteSize: 0 bytes/workgroup (compile time only)
; SGPRBlocks: 0
; VGPRBlocks: 0
; NumSGPRsForWavesPerEU: 6
; NumVGPRsForWavesPerEU: 1
; AccumOffset: 4
; Occupancy: 8
; WaveLimiterHint : 0
; COMPUTE_PGM_RSRC2:SCRATCH_EN: 0
; COMPUTE_PGM_RSRC2:USER_SGPR: 0
; COMPUTE_PGM_RSRC2:TRAP_HANDLER: 0
; COMPUTE_PGM_RSRC2:TGID_X_EN: 1
; COMPUTE_PGM_RSRC2:TGID_Y_EN: 0
; COMPUTE_PGM_RSRC2:TGID_Z_EN: 0
; COMPUTE_PGM_RSRC2:TIDIG_COMP_CNT: 0
; COMPUTE_PGM_RSRC3_GFX90A:ACCUM_OFFSET: 0
; COMPUTE_PGM_RSRC3_GFX90A:TG_SPLIT: 0
	.section	.text._ZN7rocprim17ROCPRIM_400000_NS6detail44device_merge_sort_compile_time_verifier_archINS1_11comp_targetILNS1_3genE3ELNS1_11target_archE908ELNS1_3gpuE7ELNS1_3repE0EEES8_NS0_14default_configES9_NS1_37merge_sort_block_sort_config_selectorIlNS0_10empty_typeEEENS1_38merge_sort_block_merge_config_selectorIlSB_EEEEvv,"axG",@progbits,_ZN7rocprim17ROCPRIM_400000_NS6detail44device_merge_sort_compile_time_verifier_archINS1_11comp_targetILNS1_3genE3ELNS1_11target_archE908ELNS1_3gpuE7ELNS1_3repE0EEES8_NS0_14default_configES9_NS1_37merge_sort_block_sort_config_selectorIlNS0_10empty_typeEEENS1_38merge_sort_block_merge_config_selectorIlSB_EEEEvv,comdat
	.protected	_ZN7rocprim17ROCPRIM_400000_NS6detail44device_merge_sort_compile_time_verifier_archINS1_11comp_targetILNS1_3genE3ELNS1_11target_archE908ELNS1_3gpuE7ELNS1_3repE0EEES8_NS0_14default_configES9_NS1_37merge_sort_block_sort_config_selectorIlNS0_10empty_typeEEENS1_38merge_sort_block_merge_config_selectorIlSB_EEEEvv ; -- Begin function _ZN7rocprim17ROCPRIM_400000_NS6detail44device_merge_sort_compile_time_verifier_archINS1_11comp_targetILNS1_3genE3ELNS1_11target_archE908ELNS1_3gpuE7ELNS1_3repE0EEES8_NS0_14default_configES9_NS1_37merge_sort_block_sort_config_selectorIlNS0_10empty_typeEEENS1_38merge_sort_block_merge_config_selectorIlSB_EEEEvv
	.globl	_ZN7rocprim17ROCPRIM_400000_NS6detail44device_merge_sort_compile_time_verifier_archINS1_11comp_targetILNS1_3genE3ELNS1_11target_archE908ELNS1_3gpuE7ELNS1_3repE0EEES8_NS0_14default_configES9_NS1_37merge_sort_block_sort_config_selectorIlNS0_10empty_typeEEENS1_38merge_sort_block_merge_config_selectorIlSB_EEEEvv
	.p2align	8
	.type	_ZN7rocprim17ROCPRIM_400000_NS6detail44device_merge_sort_compile_time_verifier_archINS1_11comp_targetILNS1_3genE3ELNS1_11target_archE908ELNS1_3gpuE7ELNS1_3repE0EEES8_NS0_14default_configES9_NS1_37merge_sort_block_sort_config_selectorIlNS0_10empty_typeEEENS1_38merge_sort_block_merge_config_selectorIlSB_EEEEvv,@function
_ZN7rocprim17ROCPRIM_400000_NS6detail44device_merge_sort_compile_time_verifier_archINS1_11comp_targetILNS1_3genE3ELNS1_11target_archE908ELNS1_3gpuE7ELNS1_3repE0EEES8_NS0_14default_configES9_NS1_37merge_sort_block_sort_config_selectorIlNS0_10empty_typeEEENS1_38merge_sort_block_merge_config_selectorIlSB_EEEEvv: ; @_ZN7rocprim17ROCPRIM_400000_NS6detail44device_merge_sort_compile_time_verifier_archINS1_11comp_targetILNS1_3genE3ELNS1_11target_archE908ELNS1_3gpuE7ELNS1_3repE0EEES8_NS0_14default_configES9_NS1_37merge_sort_block_sort_config_selectorIlNS0_10empty_typeEEENS1_38merge_sort_block_merge_config_selectorIlSB_EEEEvv
; %bb.0:
	s_endpgm
	.section	.rodata,"a",@progbits
	.p2align	6, 0x0
	.amdhsa_kernel _ZN7rocprim17ROCPRIM_400000_NS6detail44device_merge_sort_compile_time_verifier_archINS1_11comp_targetILNS1_3genE3ELNS1_11target_archE908ELNS1_3gpuE7ELNS1_3repE0EEES8_NS0_14default_configES9_NS1_37merge_sort_block_sort_config_selectorIlNS0_10empty_typeEEENS1_38merge_sort_block_merge_config_selectorIlSB_EEEEvv
		.amdhsa_group_segment_fixed_size 0
		.amdhsa_private_segment_fixed_size 0
		.amdhsa_kernarg_size 0
		.amdhsa_user_sgpr_count 0
		.amdhsa_user_sgpr_dispatch_ptr 0
		.amdhsa_user_sgpr_queue_ptr 0
		.amdhsa_user_sgpr_kernarg_segment_ptr 0
		.amdhsa_user_sgpr_dispatch_id 0
		.amdhsa_user_sgpr_kernarg_preload_length 0
		.amdhsa_user_sgpr_kernarg_preload_offset 0
		.amdhsa_user_sgpr_private_segment_size 0
		.amdhsa_uses_dynamic_stack 0
		.amdhsa_enable_private_segment 0
		.amdhsa_system_sgpr_workgroup_id_x 1
		.amdhsa_system_sgpr_workgroup_id_y 0
		.amdhsa_system_sgpr_workgroup_id_z 0
		.amdhsa_system_sgpr_workgroup_info 0
		.amdhsa_system_vgpr_workitem_id 0
		.amdhsa_next_free_vgpr 1
		.amdhsa_next_free_sgpr 0
		.amdhsa_accum_offset 4
		.amdhsa_reserve_vcc 0
		.amdhsa_float_round_mode_32 0
		.amdhsa_float_round_mode_16_64 0
		.amdhsa_float_denorm_mode_32 3
		.amdhsa_float_denorm_mode_16_64 3
		.amdhsa_dx10_clamp 1
		.amdhsa_ieee_mode 1
		.amdhsa_fp16_overflow 0
		.amdhsa_tg_split 0
		.amdhsa_exception_fp_ieee_invalid_op 0
		.amdhsa_exception_fp_denorm_src 0
		.amdhsa_exception_fp_ieee_div_zero 0
		.amdhsa_exception_fp_ieee_overflow 0
		.amdhsa_exception_fp_ieee_underflow 0
		.amdhsa_exception_fp_ieee_inexact 0
		.amdhsa_exception_int_div_zero 0
	.end_amdhsa_kernel
	.section	.text._ZN7rocprim17ROCPRIM_400000_NS6detail44device_merge_sort_compile_time_verifier_archINS1_11comp_targetILNS1_3genE3ELNS1_11target_archE908ELNS1_3gpuE7ELNS1_3repE0EEES8_NS0_14default_configES9_NS1_37merge_sort_block_sort_config_selectorIlNS0_10empty_typeEEENS1_38merge_sort_block_merge_config_selectorIlSB_EEEEvv,"axG",@progbits,_ZN7rocprim17ROCPRIM_400000_NS6detail44device_merge_sort_compile_time_verifier_archINS1_11comp_targetILNS1_3genE3ELNS1_11target_archE908ELNS1_3gpuE7ELNS1_3repE0EEES8_NS0_14default_configES9_NS1_37merge_sort_block_sort_config_selectorIlNS0_10empty_typeEEENS1_38merge_sort_block_merge_config_selectorIlSB_EEEEvv,comdat
.Lfunc_end3:
	.size	_ZN7rocprim17ROCPRIM_400000_NS6detail44device_merge_sort_compile_time_verifier_archINS1_11comp_targetILNS1_3genE3ELNS1_11target_archE908ELNS1_3gpuE7ELNS1_3repE0EEES8_NS0_14default_configES9_NS1_37merge_sort_block_sort_config_selectorIlNS0_10empty_typeEEENS1_38merge_sort_block_merge_config_selectorIlSB_EEEEvv, .Lfunc_end3-_ZN7rocprim17ROCPRIM_400000_NS6detail44device_merge_sort_compile_time_verifier_archINS1_11comp_targetILNS1_3genE3ELNS1_11target_archE908ELNS1_3gpuE7ELNS1_3repE0EEES8_NS0_14default_configES9_NS1_37merge_sort_block_sort_config_selectorIlNS0_10empty_typeEEENS1_38merge_sort_block_merge_config_selectorIlSB_EEEEvv
                                        ; -- End function
	.section	.AMDGPU.csdata,"",@progbits
; Kernel info:
; codeLenInByte = 4
; NumSgprs: 6
; NumVgprs: 0
; NumAgprs: 0
; TotalNumVgprs: 0
; ScratchSize: 0
; MemoryBound: 0
; FloatMode: 240
; IeeeMode: 1
; LDSByteSize: 0 bytes/workgroup (compile time only)
; SGPRBlocks: 0
; VGPRBlocks: 0
; NumSGPRsForWavesPerEU: 6
; NumVGPRsForWavesPerEU: 1
; AccumOffset: 4
; Occupancy: 8
; WaveLimiterHint : 0
; COMPUTE_PGM_RSRC2:SCRATCH_EN: 0
; COMPUTE_PGM_RSRC2:USER_SGPR: 0
; COMPUTE_PGM_RSRC2:TRAP_HANDLER: 0
; COMPUTE_PGM_RSRC2:TGID_X_EN: 1
; COMPUTE_PGM_RSRC2:TGID_Y_EN: 0
; COMPUTE_PGM_RSRC2:TGID_Z_EN: 0
; COMPUTE_PGM_RSRC2:TIDIG_COMP_CNT: 0
; COMPUTE_PGM_RSRC3_GFX90A:ACCUM_OFFSET: 0
; COMPUTE_PGM_RSRC3_GFX90A:TG_SPLIT: 0
	.section	.text._ZN7rocprim17ROCPRIM_400000_NS6detail44device_merge_sort_compile_time_verifier_archINS1_11comp_targetILNS1_3genE2ELNS1_11target_archE906ELNS1_3gpuE6ELNS1_3repE0EEES8_NS0_14default_configES9_NS1_37merge_sort_block_sort_config_selectorIlNS0_10empty_typeEEENS1_38merge_sort_block_merge_config_selectorIlSB_EEEEvv,"axG",@progbits,_ZN7rocprim17ROCPRIM_400000_NS6detail44device_merge_sort_compile_time_verifier_archINS1_11comp_targetILNS1_3genE2ELNS1_11target_archE906ELNS1_3gpuE6ELNS1_3repE0EEES8_NS0_14default_configES9_NS1_37merge_sort_block_sort_config_selectorIlNS0_10empty_typeEEENS1_38merge_sort_block_merge_config_selectorIlSB_EEEEvv,comdat
	.protected	_ZN7rocprim17ROCPRIM_400000_NS6detail44device_merge_sort_compile_time_verifier_archINS1_11comp_targetILNS1_3genE2ELNS1_11target_archE906ELNS1_3gpuE6ELNS1_3repE0EEES8_NS0_14default_configES9_NS1_37merge_sort_block_sort_config_selectorIlNS0_10empty_typeEEENS1_38merge_sort_block_merge_config_selectorIlSB_EEEEvv ; -- Begin function _ZN7rocprim17ROCPRIM_400000_NS6detail44device_merge_sort_compile_time_verifier_archINS1_11comp_targetILNS1_3genE2ELNS1_11target_archE906ELNS1_3gpuE6ELNS1_3repE0EEES8_NS0_14default_configES9_NS1_37merge_sort_block_sort_config_selectorIlNS0_10empty_typeEEENS1_38merge_sort_block_merge_config_selectorIlSB_EEEEvv
	.globl	_ZN7rocprim17ROCPRIM_400000_NS6detail44device_merge_sort_compile_time_verifier_archINS1_11comp_targetILNS1_3genE2ELNS1_11target_archE906ELNS1_3gpuE6ELNS1_3repE0EEES8_NS0_14default_configES9_NS1_37merge_sort_block_sort_config_selectorIlNS0_10empty_typeEEENS1_38merge_sort_block_merge_config_selectorIlSB_EEEEvv
	.p2align	8
	.type	_ZN7rocprim17ROCPRIM_400000_NS6detail44device_merge_sort_compile_time_verifier_archINS1_11comp_targetILNS1_3genE2ELNS1_11target_archE906ELNS1_3gpuE6ELNS1_3repE0EEES8_NS0_14default_configES9_NS1_37merge_sort_block_sort_config_selectorIlNS0_10empty_typeEEENS1_38merge_sort_block_merge_config_selectorIlSB_EEEEvv,@function
_ZN7rocprim17ROCPRIM_400000_NS6detail44device_merge_sort_compile_time_verifier_archINS1_11comp_targetILNS1_3genE2ELNS1_11target_archE906ELNS1_3gpuE6ELNS1_3repE0EEES8_NS0_14default_configES9_NS1_37merge_sort_block_sort_config_selectorIlNS0_10empty_typeEEENS1_38merge_sort_block_merge_config_selectorIlSB_EEEEvv: ; @_ZN7rocprim17ROCPRIM_400000_NS6detail44device_merge_sort_compile_time_verifier_archINS1_11comp_targetILNS1_3genE2ELNS1_11target_archE906ELNS1_3gpuE6ELNS1_3repE0EEES8_NS0_14default_configES9_NS1_37merge_sort_block_sort_config_selectorIlNS0_10empty_typeEEENS1_38merge_sort_block_merge_config_selectorIlSB_EEEEvv
; %bb.0:
	s_endpgm
	.section	.rodata,"a",@progbits
	.p2align	6, 0x0
	.amdhsa_kernel _ZN7rocprim17ROCPRIM_400000_NS6detail44device_merge_sort_compile_time_verifier_archINS1_11comp_targetILNS1_3genE2ELNS1_11target_archE906ELNS1_3gpuE6ELNS1_3repE0EEES8_NS0_14default_configES9_NS1_37merge_sort_block_sort_config_selectorIlNS0_10empty_typeEEENS1_38merge_sort_block_merge_config_selectorIlSB_EEEEvv
		.amdhsa_group_segment_fixed_size 0
		.amdhsa_private_segment_fixed_size 0
		.amdhsa_kernarg_size 0
		.amdhsa_user_sgpr_count 0
		.amdhsa_user_sgpr_dispatch_ptr 0
		.amdhsa_user_sgpr_queue_ptr 0
		.amdhsa_user_sgpr_kernarg_segment_ptr 0
		.amdhsa_user_sgpr_dispatch_id 0
		.amdhsa_user_sgpr_kernarg_preload_length 0
		.amdhsa_user_sgpr_kernarg_preload_offset 0
		.amdhsa_user_sgpr_private_segment_size 0
		.amdhsa_uses_dynamic_stack 0
		.amdhsa_enable_private_segment 0
		.amdhsa_system_sgpr_workgroup_id_x 1
		.amdhsa_system_sgpr_workgroup_id_y 0
		.amdhsa_system_sgpr_workgroup_id_z 0
		.amdhsa_system_sgpr_workgroup_info 0
		.amdhsa_system_vgpr_workitem_id 0
		.amdhsa_next_free_vgpr 1
		.amdhsa_next_free_sgpr 0
		.amdhsa_accum_offset 4
		.amdhsa_reserve_vcc 0
		.amdhsa_float_round_mode_32 0
		.amdhsa_float_round_mode_16_64 0
		.amdhsa_float_denorm_mode_32 3
		.amdhsa_float_denorm_mode_16_64 3
		.amdhsa_dx10_clamp 1
		.amdhsa_ieee_mode 1
		.amdhsa_fp16_overflow 0
		.amdhsa_tg_split 0
		.amdhsa_exception_fp_ieee_invalid_op 0
		.amdhsa_exception_fp_denorm_src 0
		.amdhsa_exception_fp_ieee_div_zero 0
		.amdhsa_exception_fp_ieee_overflow 0
		.amdhsa_exception_fp_ieee_underflow 0
		.amdhsa_exception_fp_ieee_inexact 0
		.amdhsa_exception_int_div_zero 0
	.end_amdhsa_kernel
	.section	.text._ZN7rocprim17ROCPRIM_400000_NS6detail44device_merge_sort_compile_time_verifier_archINS1_11comp_targetILNS1_3genE2ELNS1_11target_archE906ELNS1_3gpuE6ELNS1_3repE0EEES8_NS0_14default_configES9_NS1_37merge_sort_block_sort_config_selectorIlNS0_10empty_typeEEENS1_38merge_sort_block_merge_config_selectorIlSB_EEEEvv,"axG",@progbits,_ZN7rocprim17ROCPRIM_400000_NS6detail44device_merge_sort_compile_time_verifier_archINS1_11comp_targetILNS1_3genE2ELNS1_11target_archE906ELNS1_3gpuE6ELNS1_3repE0EEES8_NS0_14default_configES9_NS1_37merge_sort_block_sort_config_selectorIlNS0_10empty_typeEEENS1_38merge_sort_block_merge_config_selectorIlSB_EEEEvv,comdat
.Lfunc_end4:
	.size	_ZN7rocprim17ROCPRIM_400000_NS6detail44device_merge_sort_compile_time_verifier_archINS1_11comp_targetILNS1_3genE2ELNS1_11target_archE906ELNS1_3gpuE6ELNS1_3repE0EEES8_NS0_14default_configES9_NS1_37merge_sort_block_sort_config_selectorIlNS0_10empty_typeEEENS1_38merge_sort_block_merge_config_selectorIlSB_EEEEvv, .Lfunc_end4-_ZN7rocprim17ROCPRIM_400000_NS6detail44device_merge_sort_compile_time_verifier_archINS1_11comp_targetILNS1_3genE2ELNS1_11target_archE906ELNS1_3gpuE6ELNS1_3repE0EEES8_NS0_14default_configES9_NS1_37merge_sort_block_sort_config_selectorIlNS0_10empty_typeEEENS1_38merge_sort_block_merge_config_selectorIlSB_EEEEvv
                                        ; -- End function
	.section	.AMDGPU.csdata,"",@progbits
; Kernel info:
; codeLenInByte = 4
; NumSgprs: 6
; NumVgprs: 0
; NumAgprs: 0
; TotalNumVgprs: 0
; ScratchSize: 0
; MemoryBound: 0
; FloatMode: 240
; IeeeMode: 1
; LDSByteSize: 0 bytes/workgroup (compile time only)
; SGPRBlocks: 0
; VGPRBlocks: 0
; NumSGPRsForWavesPerEU: 6
; NumVGPRsForWavesPerEU: 1
; AccumOffset: 4
; Occupancy: 8
; WaveLimiterHint : 0
; COMPUTE_PGM_RSRC2:SCRATCH_EN: 0
; COMPUTE_PGM_RSRC2:USER_SGPR: 0
; COMPUTE_PGM_RSRC2:TRAP_HANDLER: 0
; COMPUTE_PGM_RSRC2:TGID_X_EN: 1
; COMPUTE_PGM_RSRC2:TGID_Y_EN: 0
; COMPUTE_PGM_RSRC2:TGID_Z_EN: 0
; COMPUTE_PGM_RSRC2:TIDIG_COMP_CNT: 0
; COMPUTE_PGM_RSRC3_GFX90A:ACCUM_OFFSET: 0
; COMPUTE_PGM_RSRC3_GFX90A:TG_SPLIT: 0
	.section	.text._ZN7rocprim17ROCPRIM_400000_NS6detail44device_merge_sort_compile_time_verifier_archINS1_11comp_targetILNS1_3genE10ELNS1_11target_archE1201ELNS1_3gpuE5ELNS1_3repE0EEES8_NS0_14default_configES9_NS1_37merge_sort_block_sort_config_selectorIlNS0_10empty_typeEEENS1_38merge_sort_block_merge_config_selectorIlSB_EEEEvv,"axG",@progbits,_ZN7rocprim17ROCPRIM_400000_NS6detail44device_merge_sort_compile_time_verifier_archINS1_11comp_targetILNS1_3genE10ELNS1_11target_archE1201ELNS1_3gpuE5ELNS1_3repE0EEES8_NS0_14default_configES9_NS1_37merge_sort_block_sort_config_selectorIlNS0_10empty_typeEEENS1_38merge_sort_block_merge_config_selectorIlSB_EEEEvv,comdat
	.protected	_ZN7rocprim17ROCPRIM_400000_NS6detail44device_merge_sort_compile_time_verifier_archINS1_11comp_targetILNS1_3genE10ELNS1_11target_archE1201ELNS1_3gpuE5ELNS1_3repE0EEES8_NS0_14default_configES9_NS1_37merge_sort_block_sort_config_selectorIlNS0_10empty_typeEEENS1_38merge_sort_block_merge_config_selectorIlSB_EEEEvv ; -- Begin function _ZN7rocprim17ROCPRIM_400000_NS6detail44device_merge_sort_compile_time_verifier_archINS1_11comp_targetILNS1_3genE10ELNS1_11target_archE1201ELNS1_3gpuE5ELNS1_3repE0EEES8_NS0_14default_configES9_NS1_37merge_sort_block_sort_config_selectorIlNS0_10empty_typeEEENS1_38merge_sort_block_merge_config_selectorIlSB_EEEEvv
	.globl	_ZN7rocprim17ROCPRIM_400000_NS6detail44device_merge_sort_compile_time_verifier_archINS1_11comp_targetILNS1_3genE10ELNS1_11target_archE1201ELNS1_3gpuE5ELNS1_3repE0EEES8_NS0_14default_configES9_NS1_37merge_sort_block_sort_config_selectorIlNS0_10empty_typeEEENS1_38merge_sort_block_merge_config_selectorIlSB_EEEEvv
	.p2align	8
	.type	_ZN7rocprim17ROCPRIM_400000_NS6detail44device_merge_sort_compile_time_verifier_archINS1_11comp_targetILNS1_3genE10ELNS1_11target_archE1201ELNS1_3gpuE5ELNS1_3repE0EEES8_NS0_14default_configES9_NS1_37merge_sort_block_sort_config_selectorIlNS0_10empty_typeEEENS1_38merge_sort_block_merge_config_selectorIlSB_EEEEvv,@function
_ZN7rocprim17ROCPRIM_400000_NS6detail44device_merge_sort_compile_time_verifier_archINS1_11comp_targetILNS1_3genE10ELNS1_11target_archE1201ELNS1_3gpuE5ELNS1_3repE0EEES8_NS0_14default_configES9_NS1_37merge_sort_block_sort_config_selectorIlNS0_10empty_typeEEENS1_38merge_sort_block_merge_config_selectorIlSB_EEEEvv: ; @_ZN7rocprim17ROCPRIM_400000_NS6detail44device_merge_sort_compile_time_verifier_archINS1_11comp_targetILNS1_3genE10ELNS1_11target_archE1201ELNS1_3gpuE5ELNS1_3repE0EEES8_NS0_14default_configES9_NS1_37merge_sort_block_sort_config_selectorIlNS0_10empty_typeEEENS1_38merge_sort_block_merge_config_selectorIlSB_EEEEvv
; %bb.0:
	s_endpgm
	.section	.rodata,"a",@progbits
	.p2align	6, 0x0
	.amdhsa_kernel _ZN7rocprim17ROCPRIM_400000_NS6detail44device_merge_sort_compile_time_verifier_archINS1_11comp_targetILNS1_3genE10ELNS1_11target_archE1201ELNS1_3gpuE5ELNS1_3repE0EEES8_NS0_14default_configES9_NS1_37merge_sort_block_sort_config_selectorIlNS0_10empty_typeEEENS1_38merge_sort_block_merge_config_selectorIlSB_EEEEvv
		.amdhsa_group_segment_fixed_size 0
		.amdhsa_private_segment_fixed_size 0
		.amdhsa_kernarg_size 0
		.amdhsa_user_sgpr_count 0
		.amdhsa_user_sgpr_dispatch_ptr 0
		.amdhsa_user_sgpr_queue_ptr 0
		.amdhsa_user_sgpr_kernarg_segment_ptr 0
		.amdhsa_user_sgpr_dispatch_id 0
		.amdhsa_user_sgpr_kernarg_preload_length 0
		.amdhsa_user_sgpr_kernarg_preload_offset 0
		.amdhsa_user_sgpr_private_segment_size 0
		.amdhsa_uses_dynamic_stack 0
		.amdhsa_enable_private_segment 0
		.amdhsa_system_sgpr_workgroup_id_x 1
		.amdhsa_system_sgpr_workgroup_id_y 0
		.amdhsa_system_sgpr_workgroup_id_z 0
		.amdhsa_system_sgpr_workgroup_info 0
		.amdhsa_system_vgpr_workitem_id 0
		.amdhsa_next_free_vgpr 1
		.amdhsa_next_free_sgpr 0
		.amdhsa_accum_offset 4
		.amdhsa_reserve_vcc 0
		.amdhsa_float_round_mode_32 0
		.amdhsa_float_round_mode_16_64 0
		.amdhsa_float_denorm_mode_32 3
		.amdhsa_float_denorm_mode_16_64 3
		.amdhsa_dx10_clamp 1
		.amdhsa_ieee_mode 1
		.amdhsa_fp16_overflow 0
		.amdhsa_tg_split 0
		.amdhsa_exception_fp_ieee_invalid_op 0
		.amdhsa_exception_fp_denorm_src 0
		.amdhsa_exception_fp_ieee_div_zero 0
		.amdhsa_exception_fp_ieee_overflow 0
		.amdhsa_exception_fp_ieee_underflow 0
		.amdhsa_exception_fp_ieee_inexact 0
		.amdhsa_exception_int_div_zero 0
	.end_amdhsa_kernel
	.section	.text._ZN7rocprim17ROCPRIM_400000_NS6detail44device_merge_sort_compile_time_verifier_archINS1_11comp_targetILNS1_3genE10ELNS1_11target_archE1201ELNS1_3gpuE5ELNS1_3repE0EEES8_NS0_14default_configES9_NS1_37merge_sort_block_sort_config_selectorIlNS0_10empty_typeEEENS1_38merge_sort_block_merge_config_selectorIlSB_EEEEvv,"axG",@progbits,_ZN7rocprim17ROCPRIM_400000_NS6detail44device_merge_sort_compile_time_verifier_archINS1_11comp_targetILNS1_3genE10ELNS1_11target_archE1201ELNS1_3gpuE5ELNS1_3repE0EEES8_NS0_14default_configES9_NS1_37merge_sort_block_sort_config_selectorIlNS0_10empty_typeEEENS1_38merge_sort_block_merge_config_selectorIlSB_EEEEvv,comdat
.Lfunc_end5:
	.size	_ZN7rocprim17ROCPRIM_400000_NS6detail44device_merge_sort_compile_time_verifier_archINS1_11comp_targetILNS1_3genE10ELNS1_11target_archE1201ELNS1_3gpuE5ELNS1_3repE0EEES8_NS0_14default_configES9_NS1_37merge_sort_block_sort_config_selectorIlNS0_10empty_typeEEENS1_38merge_sort_block_merge_config_selectorIlSB_EEEEvv, .Lfunc_end5-_ZN7rocprim17ROCPRIM_400000_NS6detail44device_merge_sort_compile_time_verifier_archINS1_11comp_targetILNS1_3genE10ELNS1_11target_archE1201ELNS1_3gpuE5ELNS1_3repE0EEES8_NS0_14default_configES9_NS1_37merge_sort_block_sort_config_selectorIlNS0_10empty_typeEEENS1_38merge_sort_block_merge_config_selectorIlSB_EEEEvv
                                        ; -- End function
	.section	.AMDGPU.csdata,"",@progbits
; Kernel info:
; codeLenInByte = 4
; NumSgprs: 6
; NumVgprs: 0
; NumAgprs: 0
; TotalNumVgprs: 0
; ScratchSize: 0
; MemoryBound: 0
; FloatMode: 240
; IeeeMode: 1
; LDSByteSize: 0 bytes/workgroup (compile time only)
; SGPRBlocks: 0
; VGPRBlocks: 0
; NumSGPRsForWavesPerEU: 6
; NumVGPRsForWavesPerEU: 1
; AccumOffset: 4
; Occupancy: 8
; WaveLimiterHint : 0
; COMPUTE_PGM_RSRC2:SCRATCH_EN: 0
; COMPUTE_PGM_RSRC2:USER_SGPR: 0
; COMPUTE_PGM_RSRC2:TRAP_HANDLER: 0
; COMPUTE_PGM_RSRC2:TGID_X_EN: 1
; COMPUTE_PGM_RSRC2:TGID_Y_EN: 0
; COMPUTE_PGM_RSRC2:TGID_Z_EN: 0
; COMPUTE_PGM_RSRC2:TIDIG_COMP_CNT: 0
; COMPUTE_PGM_RSRC3_GFX90A:ACCUM_OFFSET: 0
; COMPUTE_PGM_RSRC3_GFX90A:TG_SPLIT: 0
	.section	.text._ZN7rocprim17ROCPRIM_400000_NS6detail44device_merge_sort_compile_time_verifier_archINS1_11comp_targetILNS1_3genE10ELNS1_11target_archE1200ELNS1_3gpuE4ELNS1_3repE0EEENS3_ILS4_10ELS5_1201ELS6_5ELS7_0EEENS0_14default_configESA_NS1_37merge_sort_block_sort_config_selectorIlNS0_10empty_typeEEENS1_38merge_sort_block_merge_config_selectorIlSC_EEEEvv,"axG",@progbits,_ZN7rocprim17ROCPRIM_400000_NS6detail44device_merge_sort_compile_time_verifier_archINS1_11comp_targetILNS1_3genE10ELNS1_11target_archE1200ELNS1_3gpuE4ELNS1_3repE0EEENS3_ILS4_10ELS5_1201ELS6_5ELS7_0EEENS0_14default_configESA_NS1_37merge_sort_block_sort_config_selectorIlNS0_10empty_typeEEENS1_38merge_sort_block_merge_config_selectorIlSC_EEEEvv,comdat
	.protected	_ZN7rocprim17ROCPRIM_400000_NS6detail44device_merge_sort_compile_time_verifier_archINS1_11comp_targetILNS1_3genE10ELNS1_11target_archE1200ELNS1_3gpuE4ELNS1_3repE0EEENS3_ILS4_10ELS5_1201ELS6_5ELS7_0EEENS0_14default_configESA_NS1_37merge_sort_block_sort_config_selectorIlNS0_10empty_typeEEENS1_38merge_sort_block_merge_config_selectorIlSC_EEEEvv ; -- Begin function _ZN7rocprim17ROCPRIM_400000_NS6detail44device_merge_sort_compile_time_verifier_archINS1_11comp_targetILNS1_3genE10ELNS1_11target_archE1200ELNS1_3gpuE4ELNS1_3repE0EEENS3_ILS4_10ELS5_1201ELS6_5ELS7_0EEENS0_14default_configESA_NS1_37merge_sort_block_sort_config_selectorIlNS0_10empty_typeEEENS1_38merge_sort_block_merge_config_selectorIlSC_EEEEvv
	.globl	_ZN7rocprim17ROCPRIM_400000_NS6detail44device_merge_sort_compile_time_verifier_archINS1_11comp_targetILNS1_3genE10ELNS1_11target_archE1200ELNS1_3gpuE4ELNS1_3repE0EEENS3_ILS4_10ELS5_1201ELS6_5ELS7_0EEENS0_14default_configESA_NS1_37merge_sort_block_sort_config_selectorIlNS0_10empty_typeEEENS1_38merge_sort_block_merge_config_selectorIlSC_EEEEvv
	.p2align	8
	.type	_ZN7rocprim17ROCPRIM_400000_NS6detail44device_merge_sort_compile_time_verifier_archINS1_11comp_targetILNS1_3genE10ELNS1_11target_archE1200ELNS1_3gpuE4ELNS1_3repE0EEENS3_ILS4_10ELS5_1201ELS6_5ELS7_0EEENS0_14default_configESA_NS1_37merge_sort_block_sort_config_selectorIlNS0_10empty_typeEEENS1_38merge_sort_block_merge_config_selectorIlSC_EEEEvv,@function
_ZN7rocprim17ROCPRIM_400000_NS6detail44device_merge_sort_compile_time_verifier_archINS1_11comp_targetILNS1_3genE10ELNS1_11target_archE1200ELNS1_3gpuE4ELNS1_3repE0EEENS3_ILS4_10ELS5_1201ELS6_5ELS7_0EEENS0_14default_configESA_NS1_37merge_sort_block_sort_config_selectorIlNS0_10empty_typeEEENS1_38merge_sort_block_merge_config_selectorIlSC_EEEEvv: ; @_ZN7rocprim17ROCPRIM_400000_NS6detail44device_merge_sort_compile_time_verifier_archINS1_11comp_targetILNS1_3genE10ELNS1_11target_archE1200ELNS1_3gpuE4ELNS1_3repE0EEENS3_ILS4_10ELS5_1201ELS6_5ELS7_0EEENS0_14default_configESA_NS1_37merge_sort_block_sort_config_selectorIlNS0_10empty_typeEEENS1_38merge_sort_block_merge_config_selectorIlSC_EEEEvv
; %bb.0:
	s_endpgm
	.section	.rodata,"a",@progbits
	.p2align	6, 0x0
	.amdhsa_kernel _ZN7rocprim17ROCPRIM_400000_NS6detail44device_merge_sort_compile_time_verifier_archINS1_11comp_targetILNS1_3genE10ELNS1_11target_archE1200ELNS1_3gpuE4ELNS1_3repE0EEENS3_ILS4_10ELS5_1201ELS6_5ELS7_0EEENS0_14default_configESA_NS1_37merge_sort_block_sort_config_selectorIlNS0_10empty_typeEEENS1_38merge_sort_block_merge_config_selectorIlSC_EEEEvv
		.amdhsa_group_segment_fixed_size 0
		.amdhsa_private_segment_fixed_size 0
		.amdhsa_kernarg_size 0
		.amdhsa_user_sgpr_count 0
		.amdhsa_user_sgpr_dispatch_ptr 0
		.amdhsa_user_sgpr_queue_ptr 0
		.amdhsa_user_sgpr_kernarg_segment_ptr 0
		.amdhsa_user_sgpr_dispatch_id 0
		.amdhsa_user_sgpr_kernarg_preload_length 0
		.amdhsa_user_sgpr_kernarg_preload_offset 0
		.amdhsa_user_sgpr_private_segment_size 0
		.amdhsa_uses_dynamic_stack 0
		.amdhsa_enable_private_segment 0
		.amdhsa_system_sgpr_workgroup_id_x 1
		.amdhsa_system_sgpr_workgroup_id_y 0
		.amdhsa_system_sgpr_workgroup_id_z 0
		.amdhsa_system_sgpr_workgroup_info 0
		.amdhsa_system_vgpr_workitem_id 0
		.amdhsa_next_free_vgpr 1
		.amdhsa_next_free_sgpr 0
		.amdhsa_accum_offset 4
		.amdhsa_reserve_vcc 0
		.amdhsa_float_round_mode_32 0
		.amdhsa_float_round_mode_16_64 0
		.amdhsa_float_denorm_mode_32 3
		.amdhsa_float_denorm_mode_16_64 3
		.amdhsa_dx10_clamp 1
		.amdhsa_ieee_mode 1
		.amdhsa_fp16_overflow 0
		.amdhsa_tg_split 0
		.amdhsa_exception_fp_ieee_invalid_op 0
		.amdhsa_exception_fp_denorm_src 0
		.amdhsa_exception_fp_ieee_div_zero 0
		.amdhsa_exception_fp_ieee_overflow 0
		.amdhsa_exception_fp_ieee_underflow 0
		.amdhsa_exception_fp_ieee_inexact 0
		.amdhsa_exception_int_div_zero 0
	.end_amdhsa_kernel
	.section	.text._ZN7rocprim17ROCPRIM_400000_NS6detail44device_merge_sort_compile_time_verifier_archINS1_11comp_targetILNS1_3genE10ELNS1_11target_archE1200ELNS1_3gpuE4ELNS1_3repE0EEENS3_ILS4_10ELS5_1201ELS6_5ELS7_0EEENS0_14default_configESA_NS1_37merge_sort_block_sort_config_selectorIlNS0_10empty_typeEEENS1_38merge_sort_block_merge_config_selectorIlSC_EEEEvv,"axG",@progbits,_ZN7rocprim17ROCPRIM_400000_NS6detail44device_merge_sort_compile_time_verifier_archINS1_11comp_targetILNS1_3genE10ELNS1_11target_archE1200ELNS1_3gpuE4ELNS1_3repE0EEENS3_ILS4_10ELS5_1201ELS6_5ELS7_0EEENS0_14default_configESA_NS1_37merge_sort_block_sort_config_selectorIlNS0_10empty_typeEEENS1_38merge_sort_block_merge_config_selectorIlSC_EEEEvv,comdat
.Lfunc_end6:
	.size	_ZN7rocprim17ROCPRIM_400000_NS6detail44device_merge_sort_compile_time_verifier_archINS1_11comp_targetILNS1_3genE10ELNS1_11target_archE1200ELNS1_3gpuE4ELNS1_3repE0EEENS3_ILS4_10ELS5_1201ELS6_5ELS7_0EEENS0_14default_configESA_NS1_37merge_sort_block_sort_config_selectorIlNS0_10empty_typeEEENS1_38merge_sort_block_merge_config_selectorIlSC_EEEEvv, .Lfunc_end6-_ZN7rocprim17ROCPRIM_400000_NS6detail44device_merge_sort_compile_time_verifier_archINS1_11comp_targetILNS1_3genE10ELNS1_11target_archE1200ELNS1_3gpuE4ELNS1_3repE0EEENS3_ILS4_10ELS5_1201ELS6_5ELS7_0EEENS0_14default_configESA_NS1_37merge_sort_block_sort_config_selectorIlNS0_10empty_typeEEENS1_38merge_sort_block_merge_config_selectorIlSC_EEEEvv
                                        ; -- End function
	.section	.AMDGPU.csdata,"",@progbits
; Kernel info:
; codeLenInByte = 4
; NumSgprs: 6
; NumVgprs: 0
; NumAgprs: 0
; TotalNumVgprs: 0
; ScratchSize: 0
; MemoryBound: 0
; FloatMode: 240
; IeeeMode: 1
; LDSByteSize: 0 bytes/workgroup (compile time only)
; SGPRBlocks: 0
; VGPRBlocks: 0
; NumSGPRsForWavesPerEU: 6
; NumVGPRsForWavesPerEU: 1
; AccumOffset: 4
; Occupancy: 8
; WaveLimiterHint : 0
; COMPUTE_PGM_RSRC2:SCRATCH_EN: 0
; COMPUTE_PGM_RSRC2:USER_SGPR: 0
; COMPUTE_PGM_RSRC2:TRAP_HANDLER: 0
; COMPUTE_PGM_RSRC2:TGID_X_EN: 1
; COMPUTE_PGM_RSRC2:TGID_Y_EN: 0
; COMPUTE_PGM_RSRC2:TGID_Z_EN: 0
; COMPUTE_PGM_RSRC2:TIDIG_COMP_CNT: 0
; COMPUTE_PGM_RSRC3_GFX90A:ACCUM_OFFSET: 0
; COMPUTE_PGM_RSRC3_GFX90A:TG_SPLIT: 0
	.section	.text._ZN7rocprim17ROCPRIM_400000_NS6detail44device_merge_sort_compile_time_verifier_archINS1_11comp_targetILNS1_3genE9ELNS1_11target_archE1100ELNS1_3gpuE3ELNS1_3repE0EEES8_NS0_14default_configES9_NS1_37merge_sort_block_sort_config_selectorIlNS0_10empty_typeEEENS1_38merge_sort_block_merge_config_selectorIlSB_EEEEvv,"axG",@progbits,_ZN7rocprim17ROCPRIM_400000_NS6detail44device_merge_sort_compile_time_verifier_archINS1_11comp_targetILNS1_3genE9ELNS1_11target_archE1100ELNS1_3gpuE3ELNS1_3repE0EEES8_NS0_14default_configES9_NS1_37merge_sort_block_sort_config_selectorIlNS0_10empty_typeEEENS1_38merge_sort_block_merge_config_selectorIlSB_EEEEvv,comdat
	.protected	_ZN7rocprim17ROCPRIM_400000_NS6detail44device_merge_sort_compile_time_verifier_archINS1_11comp_targetILNS1_3genE9ELNS1_11target_archE1100ELNS1_3gpuE3ELNS1_3repE0EEES8_NS0_14default_configES9_NS1_37merge_sort_block_sort_config_selectorIlNS0_10empty_typeEEENS1_38merge_sort_block_merge_config_selectorIlSB_EEEEvv ; -- Begin function _ZN7rocprim17ROCPRIM_400000_NS6detail44device_merge_sort_compile_time_verifier_archINS1_11comp_targetILNS1_3genE9ELNS1_11target_archE1100ELNS1_3gpuE3ELNS1_3repE0EEES8_NS0_14default_configES9_NS1_37merge_sort_block_sort_config_selectorIlNS0_10empty_typeEEENS1_38merge_sort_block_merge_config_selectorIlSB_EEEEvv
	.globl	_ZN7rocprim17ROCPRIM_400000_NS6detail44device_merge_sort_compile_time_verifier_archINS1_11comp_targetILNS1_3genE9ELNS1_11target_archE1100ELNS1_3gpuE3ELNS1_3repE0EEES8_NS0_14default_configES9_NS1_37merge_sort_block_sort_config_selectorIlNS0_10empty_typeEEENS1_38merge_sort_block_merge_config_selectorIlSB_EEEEvv
	.p2align	8
	.type	_ZN7rocprim17ROCPRIM_400000_NS6detail44device_merge_sort_compile_time_verifier_archINS1_11comp_targetILNS1_3genE9ELNS1_11target_archE1100ELNS1_3gpuE3ELNS1_3repE0EEES8_NS0_14default_configES9_NS1_37merge_sort_block_sort_config_selectorIlNS0_10empty_typeEEENS1_38merge_sort_block_merge_config_selectorIlSB_EEEEvv,@function
_ZN7rocprim17ROCPRIM_400000_NS6detail44device_merge_sort_compile_time_verifier_archINS1_11comp_targetILNS1_3genE9ELNS1_11target_archE1100ELNS1_3gpuE3ELNS1_3repE0EEES8_NS0_14default_configES9_NS1_37merge_sort_block_sort_config_selectorIlNS0_10empty_typeEEENS1_38merge_sort_block_merge_config_selectorIlSB_EEEEvv: ; @_ZN7rocprim17ROCPRIM_400000_NS6detail44device_merge_sort_compile_time_verifier_archINS1_11comp_targetILNS1_3genE9ELNS1_11target_archE1100ELNS1_3gpuE3ELNS1_3repE0EEES8_NS0_14default_configES9_NS1_37merge_sort_block_sort_config_selectorIlNS0_10empty_typeEEENS1_38merge_sort_block_merge_config_selectorIlSB_EEEEvv
; %bb.0:
	s_endpgm
	.section	.rodata,"a",@progbits
	.p2align	6, 0x0
	.amdhsa_kernel _ZN7rocprim17ROCPRIM_400000_NS6detail44device_merge_sort_compile_time_verifier_archINS1_11comp_targetILNS1_3genE9ELNS1_11target_archE1100ELNS1_3gpuE3ELNS1_3repE0EEES8_NS0_14default_configES9_NS1_37merge_sort_block_sort_config_selectorIlNS0_10empty_typeEEENS1_38merge_sort_block_merge_config_selectorIlSB_EEEEvv
		.amdhsa_group_segment_fixed_size 0
		.amdhsa_private_segment_fixed_size 0
		.amdhsa_kernarg_size 0
		.amdhsa_user_sgpr_count 0
		.amdhsa_user_sgpr_dispatch_ptr 0
		.amdhsa_user_sgpr_queue_ptr 0
		.amdhsa_user_sgpr_kernarg_segment_ptr 0
		.amdhsa_user_sgpr_dispatch_id 0
		.amdhsa_user_sgpr_kernarg_preload_length 0
		.amdhsa_user_sgpr_kernarg_preload_offset 0
		.amdhsa_user_sgpr_private_segment_size 0
		.amdhsa_uses_dynamic_stack 0
		.amdhsa_enable_private_segment 0
		.amdhsa_system_sgpr_workgroup_id_x 1
		.amdhsa_system_sgpr_workgroup_id_y 0
		.amdhsa_system_sgpr_workgroup_id_z 0
		.amdhsa_system_sgpr_workgroup_info 0
		.amdhsa_system_vgpr_workitem_id 0
		.amdhsa_next_free_vgpr 1
		.amdhsa_next_free_sgpr 0
		.amdhsa_accum_offset 4
		.amdhsa_reserve_vcc 0
		.amdhsa_float_round_mode_32 0
		.amdhsa_float_round_mode_16_64 0
		.amdhsa_float_denorm_mode_32 3
		.amdhsa_float_denorm_mode_16_64 3
		.amdhsa_dx10_clamp 1
		.amdhsa_ieee_mode 1
		.amdhsa_fp16_overflow 0
		.amdhsa_tg_split 0
		.amdhsa_exception_fp_ieee_invalid_op 0
		.amdhsa_exception_fp_denorm_src 0
		.amdhsa_exception_fp_ieee_div_zero 0
		.amdhsa_exception_fp_ieee_overflow 0
		.amdhsa_exception_fp_ieee_underflow 0
		.amdhsa_exception_fp_ieee_inexact 0
		.amdhsa_exception_int_div_zero 0
	.end_amdhsa_kernel
	.section	.text._ZN7rocprim17ROCPRIM_400000_NS6detail44device_merge_sort_compile_time_verifier_archINS1_11comp_targetILNS1_3genE9ELNS1_11target_archE1100ELNS1_3gpuE3ELNS1_3repE0EEES8_NS0_14default_configES9_NS1_37merge_sort_block_sort_config_selectorIlNS0_10empty_typeEEENS1_38merge_sort_block_merge_config_selectorIlSB_EEEEvv,"axG",@progbits,_ZN7rocprim17ROCPRIM_400000_NS6detail44device_merge_sort_compile_time_verifier_archINS1_11comp_targetILNS1_3genE9ELNS1_11target_archE1100ELNS1_3gpuE3ELNS1_3repE0EEES8_NS0_14default_configES9_NS1_37merge_sort_block_sort_config_selectorIlNS0_10empty_typeEEENS1_38merge_sort_block_merge_config_selectorIlSB_EEEEvv,comdat
.Lfunc_end7:
	.size	_ZN7rocprim17ROCPRIM_400000_NS6detail44device_merge_sort_compile_time_verifier_archINS1_11comp_targetILNS1_3genE9ELNS1_11target_archE1100ELNS1_3gpuE3ELNS1_3repE0EEES8_NS0_14default_configES9_NS1_37merge_sort_block_sort_config_selectorIlNS0_10empty_typeEEENS1_38merge_sort_block_merge_config_selectorIlSB_EEEEvv, .Lfunc_end7-_ZN7rocprim17ROCPRIM_400000_NS6detail44device_merge_sort_compile_time_verifier_archINS1_11comp_targetILNS1_3genE9ELNS1_11target_archE1100ELNS1_3gpuE3ELNS1_3repE0EEES8_NS0_14default_configES9_NS1_37merge_sort_block_sort_config_selectorIlNS0_10empty_typeEEENS1_38merge_sort_block_merge_config_selectorIlSB_EEEEvv
                                        ; -- End function
	.section	.AMDGPU.csdata,"",@progbits
; Kernel info:
; codeLenInByte = 4
; NumSgprs: 6
; NumVgprs: 0
; NumAgprs: 0
; TotalNumVgprs: 0
; ScratchSize: 0
; MemoryBound: 0
; FloatMode: 240
; IeeeMode: 1
; LDSByteSize: 0 bytes/workgroup (compile time only)
; SGPRBlocks: 0
; VGPRBlocks: 0
; NumSGPRsForWavesPerEU: 6
; NumVGPRsForWavesPerEU: 1
; AccumOffset: 4
; Occupancy: 8
; WaveLimiterHint : 0
; COMPUTE_PGM_RSRC2:SCRATCH_EN: 0
; COMPUTE_PGM_RSRC2:USER_SGPR: 0
; COMPUTE_PGM_RSRC2:TRAP_HANDLER: 0
; COMPUTE_PGM_RSRC2:TGID_X_EN: 1
; COMPUTE_PGM_RSRC2:TGID_Y_EN: 0
; COMPUTE_PGM_RSRC2:TGID_Z_EN: 0
; COMPUTE_PGM_RSRC2:TIDIG_COMP_CNT: 0
; COMPUTE_PGM_RSRC3_GFX90A:ACCUM_OFFSET: 0
; COMPUTE_PGM_RSRC3_GFX90A:TG_SPLIT: 0
	.section	.text._ZN7rocprim17ROCPRIM_400000_NS6detail44device_merge_sort_compile_time_verifier_archINS1_11comp_targetILNS1_3genE8ELNS1_11target_archE1030ELNS1_3gpuE2ELNS1_3repE0EEES8_NS0_14default_configES9_NS1_37merge_sort_block_sort_config_selectorIlNS0_10empty_typeEEENS1_38merge_sort_block_merge_config_selectorIlSB_EEEEvv,"axG",@progbits,_ZN7rocprim17ROCPRIM_400000_NS6detail44device_merge_sort_compile_time_verifier_archINS1_11comp_targetILNS1_3genE8ELNS1_11target_archE1030ELNS1_3gpuE2ELNS1_3repE0EEES8_NS0_14default_configES9_NS1_37merge_sort_block_sort_config_selectorIlNS0_10empty_typeEEENS1_38merge_sort_block_merge_config_selectorIlSB_EEEEvv,comdat
	.protected	_ZN7rocprim17ROCPRIM_400000_NS6detail44device_merge_sort_compile_time_verifier_archINS1_11comp_targetILNS1_3genE8ELNS1_11target_archE1030ELNS1_3gpuE2ELNS1_3repE0EEES8_NS0_14default_configES9_NS1_37merge_sort_block_sort_config_selectorIlNS0_10empty_typeEEENS1_38merge_sort_block_merge_config_selectorIlSB_EEEEvv ; -- Begin function _ZN7rocprim17ROCPRIM_400000_NS6detail44device_merge_sort_compile_time_verifier_archINS1_11comp_targetILNS1_3genE8ELNS1_11target_archE1030ELNS1_3gpuE2ELNS1_3repE0EEES8_NS0_14default_configES9_NS1_37merge_sort_block_sort_config_selectorIlNS0_10empty_typeEEENS1_38merge_sort_block_merge_config_selectorIlSB_EEEEvv
	.globl	_ZN7rocprim17ROCPRIM_400000_NS6detail44device_merge_sort_compile_time_verifier_archINS1_11comp_targetILNS1_3genE8ELNS1_11target_archE1030ELNS1_3gpuE2ELNS1_3repE0EEES8_NS0_14default_configES9_NS1_37merge_sort_block_sort_config_selectorIlNS0_10empty_typeEEENS1_38merge_sort_block_merge_config_selectorIlSB_EEEEvv
	.p2align	8
	.type	_ZN7rocprim17ROCPRIM_400000_NS6detail44device_merge_sort_compile_time_verifier_archINS1_11comp_targetILNS1_3genE8ELNS1_11target_archE1030ELNS1_3gpuE2ELNS1_3repE0EEES8_NS0_14default_configES9_NS1_37merge_sort_block_sort_config_selectorIlNS0_10empty_typeEEENS1_38merge_sort_block_merge_config_selectorIlSB_EEEEvv,@function
_ZN7rocprim17ROCPRIM_400000_NS6detail44device_merge_sort_compile_time_verifier_archINS1_11comp_targetILNS1_3genE8ELNS1_11target_archE1030ELNS1_3gpuE2ELNS1_3repE0EEES8_NS0_14default_configES9_NS1_37merge_sort_block_sort_config_selectorIlNS0_10empty_typeEEENS1_38merge_sort_block_merge_config_selectorIlSB_EEEEvv: ; @_ZN7rocprim17ROCPRIM_400000_NS6detail44device_merge_sort_compile_time_verifier_archINS1_11comp_targetILNS1_3genE8ELNS1_11target_archE1030ELNS1_3gpuE2ELNS1_3repE0EEES8_NS0_14default_configES9_NS1_37merge_sort_block_sort_config_selectorIlNS0_10empty_typeEEENS1_38merge_sort_block_merge_config_selectorIlSB_EEEEvv
; %bb.0:
	s_endpgm
	.section	.rodata,"a",@progbits
	.p2align	6, 0x0
	.amdhsa_kernel _ZN7rocprim17ROCPRIM_400000_NS6detail44device_merge_sort_compile_time_verifier_archINS1_11comp_targetILNS1_3genE8ELNS1_11target_archE1030ELNS1_3gpuE2ELNS1_3repE0EEES8_NS0_14default_configES9_NS1_37merge_sort_block_sort_config_selectorIlNS0_10empty_typeEEENS1_38merge_sort_block_merge_config_selectorIlSB_EEEEvv
		.amdhsa_group_segment_fixed_size 0
		.amdhsa_private_segment_fixed_size 0
		.amdhsa_kernarg_size 0
		.amdhsa_user_sgpr_count 0
		.amdhsa_user_sgpr_dispatch_ptr 0
		.amdhsa_user_sgpr_queue_ptr 0
		.amdhsa_user_sgpr_kernarg_segment_ptr 0
		.amdhsa_user_sgpr_dispatch_id 0
		.amdhsa_user_sgpr_kernarg_preload_length 0
		.amdhsa_user_sgpr_kernarg_preload_offset 0
		.amdhsa_user_sgpr_private_segment_size 0
		.amdhsa_uses_dynamic_stack 0
		.amdhsa_enable_private_segment 0
		.amdhsa_system_sgpr_workgroup_id_x 1
		.amdhsa_system_sgpr_workgroup_id_y 0
		.amdhsa_system_sgpr_workgroup_id_z 0
		.amdhsa_system_sgpr_workgroup_info 0
		.amdhsa_system_vgpr_workitem_id 0
		.amdhsa_next_free_vgpr 1
		.amdhsa_next_free_sgpr 0
		.amdhsa_accum_offset 4
		.amdhsa_reserve_vcc 0
		.amdhsa_float_round_mode_32 0
		.amdhsa_float_round_mode_16_64 0
		.amdhsa_float_denorm_mode_32 3
		.amdhsa_float_denorm_mode_16_64 3
		.amdhsa_dx10_clamp 1
		.amdhsa_ieee_mode 1
		.amdhsa_fp16_overflow 0
		.amdhsa_tg_split 0
		.amdhsa_exception_fp_ieee_invalid_op 0
		.amdhsa_exception_fp_denorm_src 0
		.amdhsa_exception_fp_ieee_div_zero 0
		.amdhsa_exception_fp_ieee_overflow 0
		.amdhsa_exception_fp_ieee_underflow 0
		.amdhsa_exception_fp_ieee_inexact 0
		.amdhsa_exception_int_div_zero 0
	.end_amdhsa_kernel
	.section	.text._ZN7rocprim17ROCPRIM_400000_NS6detail44device_merge_sort_compile_time_verifier_archINS1_11comp_targetILNS1_3genE8ELNS1_11target_archE1030ELNS1_3gpuE2ELNS1_3repE0EEES8_NS0_14default_configES9_NS1_37merge_sort_block_sort_config_selectorIlNS0_10empty_typeEEENS1_38merge_sort_block_merge_config_selectorIlSB_EEEEvv,"axG",@progbits,_ZN7rocprim17ROCPRIM_400000_NS6detail44device_merge_sort_compile_time_verifier_archINS1_11comp_targetILNS1_3genE8ELNS1_11target_archE1030ELNS1_3gpuE2ELNS1_3repE0EEES8_NS0_14default_configES9_NS1_37merge_sort_block_sort_config_selectorIlNS0_10empty_typeEEENS1_38merge_sort_block_merge_config_selectorIlSB_EEEEvv,comdat
.Lfunc_end8:
	.size	_ZN7rocprim17ROCPRIM_400000_NS6detail44device_merge_sort_compile_time_verifier_archINS1_11comp_targetILNS1_3genE8ELNS1_11target_archE1030ELNS1_3gpuE2ELNS1_3repE0EEES8_NS0_14default_configES9_NS1_37merge_sort_block_sort_config_selectorIlNS0_10empty_typeEEENS1_38merge_sort_block_merge_config_selectorIlSB_EEEEvv, .Lfunc_end8-_ZN7rocprim17ROCPRIM_400000_NS6detail44device_merge_sort_compile_time_verifier_archINS1_11comp_targetILNS1_3genE8ELNS1_11target_archE1030ELNS1_3gpuE2ELNS1_3repE0EEES8_NS0_14default_configES9_NS1_37merge_sort_block_sort_config_selectorIlNS0_10empty_typeEEENS1_38merge_sort_block_merge_config_selectorIlSB_EEEEvv
                                        ; -- End function
	.section	.AMDGPU.csdata,"",@progbits
; Kernel info:
; codeLenInByte = 4
; NumSgprs: 6
; NumVgprs: 0
; NumAgprs: 0
; TotalNumVgprs: 0
; ScratchSize: 0
; MemoryBound: 0
; FloatMode: 240
; IeeeMode: 1
; LDSByteSize: 0 bytes/workgroup (compile time only)
; SGPRBlocks: 0
; VGPRBlocks: 0
; NumSGPRsForWavesPerEU: 6
; NumVGPRsForWavesPerEU: 1
; AccumOffset: 4
; Occupancy: 8
; WaveLimiterHint : 0
; COMPUTE_PGM_RSRC2:SCRATCH_EN: 0
; COMPUTE_PGM_RSRC2:USER_SGPR: 0
; COMPUTE_PGM_RSRC2:TRAP_HANDLER: 0
; COMPUTE_PGM_RSRC2:TGID_X_EN: 1
; COMPUTE_PGM_RSRC2:TGID_Y_EN: 0
; COMPUTE_PGM_RSRC2:TGID_Z_EN: 0
; COMPUTE_PGM_RSRC2:TIDIG_COMP_CNT: 0
; COMPUTE_PGM_RSRC3_GFX90A:ACCUM_OFFSET: 0
; COMPUTE_PGM_RSRC3_GFX90A:TG_SPLIT: 0
	.section	.text._ZN7rocprim17ROCPRIM_400000_NS6detail17trampoline_kernelINS0_14default_configENS1_37merge_sort_block_sort_config_selectorIlNS0_10empty_typeEEEZNS1_21merge_sort_block_sortIS3_PlS8_PS5_S9_ZN2at6native12_GLOBAL__N_124unique_dim_cuda_templateIhEESt5tupleIJNSA_6TensorESF_SF_EERKSF_lbbbEUlllE_EE10hipError_tT0_T1_T2_T3_mRjT4_P12ihipStream_tbNS1_7vsmem_tEEUlT_E_NS1_11comp_targetILNS1_3genE0ELNS1_11target_archE4294967295ELNS1_3gpuE0ELNS1_3repE0EEENS1_30default_config_static_selectorELNS0_4arch9wavefront6targetE1EEEvSM_,"axG",@progbits,_ZN7rocprim17ROCPRIM_400000_NS6detail17trampoline_kernelINS0_14default_configENS1_37merge_sort_block_sort_config_selectorIlNS0_10empty_typeEEEZNS1_21merge_sort_block_sortIS3_PlS8_PS5_S9_ZN2at6native12_GLOBAL__N_124unique_dim_cuda_templateIhEESt5tupleIJNSA_6TensorESF_SF_EERKSF_lbbbEUlllE_EE10hipError_tT0_T1_T2_T3_mRjT4_P12ihipStream_tbNS1_7vsmem_tEEUlT_E_NS1_11comp_targetILNS1_3genE0ELNS1_11target_archE4294967295ELNS1_3gpuE0ELNS1_3repE0EEENS1_30default_config_static_selectorELNS0_4arch9wavefront6targetE1EEEvSM_,comdat
	.globl	_ZN7rocprim17ROCPRIM_400000_NS6detail17trampoline_kernelINS0_14default_configENS1_37merge_sort_block_sort_config_selectorIlNS0_10empty_typeEEEZNS1_21merge_sort_block_sortIS3_PlS8_PS5_S9_ZN2at6native12_GLOBAL__N_124unique_dim_cuda_templateIhEESt5tupleIJNSA_6TensorESF_SF_EERKSF_lbbbEUlllE_EE10hipError_tT0_T1_T2_T3_mRjT4_P12ihipStream_tbNS1_7vsmem_tEEUlT_E_NS1_11comp_targetILNS1_3genE0ELNS1_11target_archE4294967295ELNS1_3gpuE0ELNS1_3repE0EEENS1_30default_config_static_selectorELNS0_4arch9wavefront6targetE1EEEvSM_ ; -- Begin function _ZN7rocprim17ROCPRIM_400000_NS6detail17trampoline_kernelINS0_14default_configENS1_37merge_sort_block_sort_config_selectorIlNS0_10empty_typeEEEZNS1_21merge_sort_block_sortIS3_PlS8_PS5_S9_ZN2at6native12_GLOBAL__N_124unique_dim_cuda_templateIhEESt5tupleIJNSA_6TensorESF_SF_EERKSF_lbbbEUlllE_EE10hipError_tT0_T1_T2_T3_mRjT4_P12ihipStream_tbNS1_7vsmem_tEEUlT_E_NS1_11comp_targetILNS1_3genE0ELNS1_11target_archE4294967295ELNS1_3gpuE0ELNS1_3repE0EEENS1_30default_config_static_selectorELNS0_4arch9wavefront6targetE1EEEvSM_
	.p2align	8
	.type	_ZN7rocprim17ROCPRIM_400000_NS6detail17trampoline_kernelINS0_14default_configENS1_37merge_sort_block_sort_config_selectorIlNS0_10empty_typeEEEZNS1_21merge_sort_block_sortIS3_PlS8_PS5_S9_ZN2at6native12_GLOBAL__N_124unique_dim_cuda_templateIhEESt5tupleIJNSA_6TensorESF_SF_EERKSF_lbbbEUlllE_EE10hipError_tT0_T1_T2_T3_mRjT4_P12ihipStream_tbNS1_7vsmem_tEEUlT_E_NS1_11comp_targetILNS1_3genE0ELNS1_11target_archE4294967295ELNS1_3gpuE0ELNS1_3repE0EEENS1_30default_config_static_selectorELNS0_4arch9wavefront6targetE1EEEvSM_,@function
_ZN7rocprim17ROCPRIM_400000_NS6detail17trampoline_kernelINS0_14default_configENS1_37merge_sort_block_sort_config_selectorIlNS0_10empty_typeEEEZNS1_21merge_sort_block_sortIS3_PlS8_PS5_S9_ZN2at6native12_GLOBAL__N_124unique_dim_cuda_templateIhEESt5tupleIJNSA_6TensorESF_SF_EERKSF_lbbbEUlllE_EE10hipError_tT0_T1_T2_T3_mRjT4_P12ihipStream_tbNS1_7vsmem_tEEUlT_E_NS1_11comp_targetILNS1_3genE0ELNS1_11target_archE4294967295ELNS1_3gpuE0ELNS1_3repE0EEENS1_30default_config_static_selectorELNS0_4arch9wavefront6targetE1EEEvSM_: ; @_ZN7rocprim17ROCPRIM_400000_NS6detail17trampoline_kernelINS0_14default_configENS1_37merge_sort_block_sort_config_selectorIlNS0_10empty_typeEEEZNS1_21merge_sort_block_sortIS3_PlS8_PS5_S9_ZN2at6native12_GLOBAL__N_124unique_dim_cuda_templateIhEESt5tupleIJNSA_6TensorESF_SF_EERKSF_lbbbEUlllE_EE10hipError_tT0_T1_T2_T3_mRjT4_P12ihipStream_tbNS1_7vsmem_tEEUlT_E_NS1_11comp_targetILNS1_3genE0ELNS1_11target_archE4294967295ELNS1_3gpuE0ELNS1_3repE0EEENS1_30default_config_static_selectorELNS0_4arch9wavefront6targetE1EEEvSM_
; %bb.0:
	.section	.rodata,"a",@progbits
	.p2align	6, 0x0
	.amdhsa_kernel _ZN7rocprim17ROCPRIM_400000_NS6detail17trampoline_kernelINS0_14default_configENS1_37merge_sort_block_sort_config_selectorIlNS0_10empty_typeEEEZNS1_21merge_sort_block_sortIS3_PlS8_PS5_S9_ZN2at6native12_GLOBAL__N_124unique_dim_cuda_templateIhEESt5tupleIJNSA_6TensorESF_SF_EERKSF_lbbbEUlllE_EE10hipError_tT0_T1_T2_T3_mRjT4_P12ihipStream_tbNS1_7vsmem_tEEUlT_E_NS1_11comp_targetILNS1_3genE0ELNS1_11target_archE4294967295ELNS1_3gpuE0ELNS1_3repE0EEENS1_30default_config_static_selectorELNS0_4arch9wavefront6targetE1EEEvSM_
		.amdhsa_group_segment_fixed_size 0
		.amdhsa_private_segment_fixed_size 0
		.amdhsa_kernarg_size 72
		.amdhsa_user_sgpr_count 2
		.amdhsa_user_sgpr_dispatch_ptr 0
		.amdhsa_user_sgpr_queue_ptr 0
		.amdhsa_user_sgpr_kernarg_segment_ptr 1
		.amdhsa_user_sgpr_dispatch_id 0
		.amdhsa_user_sgpr_kernarg_preload_length 0
		.amdhsa_user_sgpr_kernarg_preload_offset 0
		.amdhsa_user_sgpr_private_segment_size 0
		.amdhsa_uses_dynamic_stack 0
		.amdhsa_enable_private_segment 0
		.amdhsa_system_sgpr_workgroup_id_x 1
		.amdhsa_system_sgpr_workgroup_id_y 0
		.amdhsa_system_sgpr_workgroup_id_z 0
		.amdhsa_system_sgpr_workgroup_info 0
		.amdhsa_system_vgpr_workitem_id 0
		.amdhsa_next_free_vgpr 1
		.amdhsa_next_free_sgpr 0
		.amdhsa_accum_offset 4
		.amdhsa_reserve_vcc 0
		.amdhsa_float_round_mode_32 0
		.amdhsa_float_round_mode_16_64 0
		.amdhsa_float_denorm_mode_32 3
		.amdhsa_float_denorm_mode_16_64 3
		.amdhsa_dx10_clamp 1
		.amdhsa_ieee_mode 1
		.amdhsa_fp16_overflow 0
		.amdhsa_tg_split 0
		.amdhsa_exception_fp_ieee_invalid_op 0
		.amdhsa_exception_fp_denorm_src 0
		.amdhsa_exception_fp_ieee_div_zero 0
		.amdhsa_exception_fp_ieee_overflow 0
		.amdhsa_exception_fp_ieee_underflow 0
		.amdhsa_exception_fp_ieee_inexact 0
		.amdhsa_exception_int_div_zero 0
	.end_amdhsa_kernel
	.section	.text._ZN7rocprim17ROCPRIM_400000_NS6detail17trampoline_kernelINS0_14default_configENS1_37merge_sort_block_sort_config_selectorIlNS0_10empty_typeEEEZNS1_21merge_sort_block_sortIS3_PlS8_PS5_S9_ZN2at6native12_GLOBAL__N_124unique_dim_cuda_templateIhEESt5tupleIJNSA_6TensorESF_SF_EERKSF_lbbbEUlllE_EE10hipError_tT0_T1_T2_T3_mRjT4_P12ihipStream_tbNS1_7vsmem_tEEUlT_E_NS1_11comp_targetILNS1_3genE0ELNS1_11target_archE4294967295ELNS1_3gpuE0ELNS1_3repE0EEENS1_30default_config_static_selectorELNS0_4arch9wavefront6targetE1EEEvSM_,"axG",@progbits,_ZN7rocprim17ROCPRIM_400000_NS6detail17trampoline_kernelINS0_14default_configENS1_37merge_sort_block_sort_config_selectorIlNS0_10empty_typeEEEZNS1_21merge_sort_block_sortIS3_PlS8_PS5_S9_ZN2at6native12_GLOBAL__N_124unique_dim_cuda_templateIhEESt5tupleIJNSA_6TensorESF_SF_EERKSF_lbbbEUlllE_EE10hipError_tT0_T1_T2_T3_mRjT4_P12ihipStream_tbNS1_7vsmem_tEEUlT_E_NS1_11comp_targetILNS1_3genE0ELNS1_11target_archE4294967295ELNS1_3gpuE0ELNS1_3repE0EEENS1_30default_config_static_selectorELNS0_4arch9wavefront6targetE1EEEvSM_,comdat
.Lfunc_end9:
	.size	_ZN7rocprim17ROCPRIM_400000_NS6detail17trampoline_kernelINS0_14default_configENS1_37merge_sort_block_sort_config_selectorIlNS0_10empty_typeEEEZNS1_21merge_sort_block_sortIS3_PlS8_PS5_S9_ZN2at6native12_GLOBAL__N_124unique_dim_cuda_templateIhEESt5tupleIJNSA_6TensorESF_SF_EERKSF_lbbbEUlllE_EE10hipError_tT0_T1_T2_T3_mRjT4_P12ihipStream_tbNS1_7vsmem_tEEUlT_E_NS1_11comp_targetILNS1_3genE0ELNS1_11target_archE4294967295ELNS1_3gpuE0ELNS1_3repE0EEENS1_30default_config_static_selectorELNS0_4arch9wavefront6targetE1EEEvSM_, .Lfunc_end9-_ZN7rocprim17ROCPRIM_400000_NS6detail17trampoline_kernelINS0_14default_configENS1_37merge_sort_block_sort_config_selectorIlNS0_10empty_typeEEEZNS1_21merge_sort_block_sortIS3_PlS8_PS5_S9_ZN2at6native12_GLOBAL__N_124unique_dim_cuda_templateIhEESt5tupleIJNSA_6TensorESF_SF_EERKSF_lbbbEUlllE_EE10hipError_tT0_T1_T2_T3_mRjT4_P12ihipStream_tbNS1_7vsmem_tEEUlT_E_NS1_11comp_targetILNS1_3genE0ELNS1_11target_archE4294967295ELNS1_3gpuE0ELNS1_3repE0EEENS1_30default_config_static_selectorELNS0_4arch9wavefront6targetE1EEEvSM_
                                        ; -- End function
	.section	.AMDGPU.csdata,"",@progbits
; Kernel info:
; codeLenInByte = 0
; NumSgprs: 6
; NumVgprs: 0
; NumAgprs: 0
; TotalNumVgprs: 0
; ScratchSize: 0
; MemoryBound: 0
; FloatMode: 240
; IeeeMode: 1
; LDSByteSize: 0 bytes/workgroup (compile time only)
; SGPRBlocks: 0
; VGPRBlocks: 0
; NumSGPRsForWavesPerEU: 6
; NumVGPRsForWavesPerEU: 1
; AccumOffset: 4
; Occupancy: 8
; WaveLimiterHint : 0
; COMPUTE_PGM_RSRC2:SCRATCH_EN: 0
; COMPUTE_PGM_RSRC2:USER_SGPR: 2
; COMPUTE_PGM_RSRC2:TRAP_HANDLER: 0
; COMPUTE_PGM_RSRC2:TGID_X_EN: 1
; COMPUTE_PGM_RSRC2:TGID_Y_EN: 0
; COMPUTE_PGM_RSRC2:TGID_Z_EN: 0
; COMPUTE_PGM_RSRC2:TIDIG_COMP_CNT: 0
; COMPUTE_PGM_RSRC3_GFX90A:ACCUM_OFFSET: 0
; COMPUTE_PGM_RSRC3_GFX90A:TG_SPLIT: 0
	.text
	.p2align	2                               ; -- Begin function _ZN7rocprim17ROCPRIM_400000_NS6detail15block_sort_implIlNS0_10empty_typeELj256ELj8ELNS0_4arch9wavefront6targetE1EvE4sortIPlS9_PS3_SA_ZN2at6native12_GLOBAL__N_124unique_dim_cuda_templateIhEESt5tupleIJNSB_6TensorESG_SG_EERKSG_lbbbEUlllE_EEvjbT_T0_T1_T2_T3_RNS7_12storage_typeE
	.type	_ZN7rocprim17ROCPRIM_400000_NS6detail15block_sort_implIlNS0_10empty_typeELj256ELj8ELNS0_4arch9wavefront6targetE1EvE4sortIPlS9_PS3_SA_ZN2at6native12_GLOBAL__N_124unique_dim_cuda_templateIhEESt5tupleIJNSB_6TensorESG_SG_EERKSG_lbbbEUlllE_EEvjbT_T0_T1_T2_T3_RNS7_12storage_typeE,@function
_ZN7rocprim17ROCPRIM_400000_NS6detail15block_sort_implIlNS0_10empty_typeELj256ELj8ELNS0_4arch9wavefront6targetE1EvE4sortIPlS9_PS3_SA_ZN2at6native12_GLOBAL__N_124unique_dim_cuda_templateIhEESt5tupleIJNSB_6TensorESG_SG_EERKSG_lbbbEUlllE_EEvjbT_T0_T1_T2_T3_RNS7_12storage_typeE: ; @_ZN7rocprim17ROCPRIM_400000_NS6detail15block_sort_implIlNS0_10empty_typeELj256ELj8ELNS0_4arch9wavefront6targetE1EvE4sortIPlS9_PS3_SA_ZN2at6native12_GLOBAL__N_124unique_dim_cuda_templateIhEESt5tupleIJNSB_6TensorESG_SG_EERKSG_lbbbEUlllE_EEvjbT_T0_T1_T2_T3_RNS7_12storage_typeE
; %bb.0:
	s_waitcnt vmcnt(0) expcnt(0) lgkmcnt(0)
	s_or_saveexec_b64 s[0:1], -1
	scratch_store_dword off, v40, s32       ; 4-byte Folded Spill
	s_mov_b64 exec, s[0:1]
	v_writelane_b32 v40, s34, 0
	v_writelane_b32 v40, s35, 1
	;; [unrolled: 1-line block ×34, first 2 shown]
	s_nop 1
	v_writelane_b32 v40, s31, 34
	v_and_b32_e32 v1, 1, v1
	v_cmp_eq_u32_e32 vcc, 1, v1
	v_and_b32_e32 v28, 0x3ff, v31
	s_xor_b64 s[0:1], vcc, -1
	s_mov_b64 s[34:35], 0
	v_bfe_u32 v64, v31, 10, 10
	v_bfe_u32 v65, v31, 20, 10
	v_lshlrev_b32_e32 v30, 3, v28
	v_lshrrev_b32_e32 v32, 5, v28
	v_lshrrev_b32_e32 v1, 2, v28
                                        ; implicit-def: $vgpr12_vgpr13
	s_and_saveexec_b64 s[2:3], s[0:1]
	s_xor_b64 s[4:5], exec, s[2:3]
	s_cbranch_execnz .LBB10_5
; %bb.1:
	s_andn2_saveexec_b64 s[36:37], s[4:5]
	s_cbranch_execnz .LBB10_705
.LBB10_2:
	s_or_b64 exec, exec, s[36:37]
	s_and_saveexec_b64 s[0:1], s[34:35]
	s_cbranch_execz .LBB10_4
.LBB10_3:
	s_waitcnt vmcnt(0) lgkmcnt(0)
	v_lshl_add_u64 v[0:1], v[28:29], 3, v[4:5]
	v_add_co_u32_e32 v0, vcc, 0x3000, v0
	s_nop 1
	v_addc_co_u32_e32 v1, vcc, 0, v1, vcc
	flat_store_dwordx2 v[0:1], v[12:13] offset:2048
.LBB10_4:
	s_or_b64 exec, exec, s[0:1]
	v_readlane_b32 s30, v40, 33
	v_readlane_b32 s31, v40, 34
	;; [unrolled: 1-line block ×35, first 2 shown]
	s_or_saveexec_b64 s[0:1], -1
	scratch_load_dword v40, off, s32        ; 4-byte Folded Reload
	s_mov_b64 exec, s[0:1]
	s_waitcnt vmcnt(0) lgkmcnt(0)
	s_setpc_b64 s[30:31]
.LBB10_5:
	v_mov_b32_e32 v29, 0
	v_mov_b32_e32 v31, v29
	v_lshl_add_u64 v[2:3], v[2:3], 0, v[30:31]
	v_add_co_u32_e32 v12, vcc, 0x1000, v2
	v_add_u32_e32 v26, 0x200, v28
	s_nop 0
	v_addc_co_u32_e32 v13, vcc, 0, v3, vcc
	flat_load_dwordx2 v[14:15], v[2:3]
	flat_load_dwordx2 v[16:17], v[2:3] offset:2048
	flat_load_dwordx2 v[18:19], v[12:13]
	flat_load_dwordx2 v[20:21], v[12:13] offset:2048
	v_add_co_u32_e32 v12, vcc, 0x2000, v2
	v_add_u32_e32 v27, 0x300, v28
	s_nop 0
	v_addc_co_u32_e32 v13, vcc, 0, v3, vcc
	v_add_co_u32_e32 v2, vcc, 0x3000, v2
	v_or_b32_e32 v31, 0x400, v28
	s_nop 0
	v_addc_co_u32_e32 v3, vcc, 0, v3, vcc
	flat_load_dwordx2 v[22:23], v[12:13]
	flat_load_dwordx2 v[54:55], v[12:13] offset:2048
	flat_load_dwordx2 v[66:67], v[2:3]
	flat_load_dwordx2 v[68:69], v[2:3] offset:2048
	v_add_u32_e32 v3, 0x100, v28
	v_add_u32_e32 v36, 0x500, v28
	v_add_u32_e32 v37, 0x600, v28
	v_add_u32_e32 v48, 0x700, v28
	v_add_lshl_u32 v0, v32, v28, 3
	v_add_lshl_u32 v2, v1, v30, 3
	v_mov_b32_e32 v1, v29
	v_lshrrev_b32_e32 v12, 5, v3
	v_lshrrev_b32_e32 v32, 5, v26
	;; [unrolled: 1-line block ×7, first 2 shown]
	v_mov_b32_e32 v3, v29
	v_mov_b32_e32 v13, v29
	;; [unrolled: 1-line block ×8, first 2 shown]
	v_lshl_add_u64 v[24:25], v[10:11], 0, v[0:1]
	v_add_lshl_u32 v12, v12, v28, 3
	v_add_lshl_u32 v32, v32, v26, 3
	;; [unrolled: 1-line block ×7, first 2 shown]
	v_lshl_add_u64 v[52:53], v[10:11], 0, v[2:3]
	v_lshl_add_u64 v[26:27], v[10:11], 0, v[12:13]
	;; [unrolled: 1-line block ×8, first 2 shown]
	v_cmp_lt_i64_e32 vcc, 0, v[6:7]
	s_waitcnt vmcnt(0) lgkmcnt(0)
	flat_store_dwordx2 v[24:25], v[14:15]
	flat_store_dwordx2 v[26:27], v[16:17] offset:2048
	flat_store_dwordx2 v[36:37], v[18:19]
	flat_store_dwordx2 v[32:33], v[20:21]
	;; [unrolled: 1-line block ×6, first 2 shown]
	s_waitcnt lgkmcnt(0)
	s_barrier
	flat_load_dwordx4 v[20:23], v[52:53]
	flat_load_dwordx4 v[16:19], v[52:53] offset:16
	flat_load_dwordx4 v[12:15], v[52:53] offset:32
	;; [unrolled: 1-line block ×3, first 2 shown]
	s_waitcnt lgkmcnt(0)
	s_barrier
	s_load_dwordx2 s[0:1], s[8:9], 0x0
	s_waitcnt lgkmcnt(0)
	s_cmp_lt_u32 s12, s0
	s_cselect_b32 s2, 12, 18
	s_cmp_lt_u32 s13, s1
	s_cselect_b32 s0, 14, 20
	s_add_u32 s0, s8, s0
	s_addc_u32 s1, s9, 0
	s_add_u32 s2, s8, s2
	s_addc_u32 s3, s9, 0
	global_load_ushort v31, v29, s[0:1]
	global_load_ushort v54, v29, s[2:3]
	s_movk_i32 s0, 0x800
	s_waitcnt vmcnt(0)
	v_mad_u32_u24 v31, v65, v31, v64
	v_mul_lo_u32 v31, v31, v54
	v_add_lshl_u32 v31, v31, v28, 3
	v_cmp_gt_u32_e64 s[0:1], s0, v31
	s_and_saveexec_b64 s[2:3], s[0:1]
	s_cbranch_execz .LBB10_231
; %bb.6:
	s_and_saveexec_b64 s[6:7], vcc
	s_cbranch_execnz .LBB10_34
; %bb.7:
	s_or_b64 exec, exec, s[6:7]
	s_and_saveexec_b64 s[6:7], vcc
	s_cbranch_execnz .LBB10_41
.LBB10_8:
	s_or_b64 exec, exec, s[6:7]
	s_and_saveexec_b64 s[6:7], vcc
	s_cbranch_execnz .LBB10_48
.LBB10_9:
	s_or_b64 exec, exec, s[6:7]
	s_and_saveexec_b64 s[6:7], vcc
	s_cbranch_execnz .LBB10_55
.LBB10_10:
	s_or_b64 exec, exec, s[6:7]
	s_and_saveexec_b64 s[0:1], vcc
	s_xor_b64 s[6:7], exec, s[0:1]
	s_cbranch_execnz .LBB10_62
.LBB10_11:
	s_or_b64 exec, exec, s[6:7]
	s_and_saveexec_b64 s[6:7], vcc
	s_cbranch_execnz .LBB10_69
.LBB10_12:
	s_or_b64 exec, exec, s[6:7]
	s_and_saveexec_b64 s[6:7], vcc
	s_cbranch_execnz .LBB10_76
.LBB10_13:
	s_or_b64 exec, exec, s[6:7]
	s_and_saveexec_b64 s[6:7], vcc
	s_cbranch_execnz .LBB10_83
.LBB10_14:
	s_or_b64 exec, exec, s[6:7]
	s_and_saveexec_b64 s[6:7], vcc
	s_cbranch_execnz .LBB10_90
.LBB10_15:
	s_or_b64 exec, exec, s[6:7]
	s_and_saveexec_b64 s[6:7], vcc
	s_cbranch_execnz .LBB10_97
.LBB10_16:
	s_or_b64 exec, exec, s[6:7]
	s_and_saveexec_b64 s[6:7], vcc
	s_cbranch_execnz .LBB10_104
.LBB10_17:
	s_or_b64 exec, exec, s[6:7]
	s_and_saveexec_b64 s[6:7], vcc
	s_cbranch_execnz .LBB10_111
.LBB10_18:
	s_or_b64 exec, exec, s[6:7]
	s_and_saveexec_b64 s[6:7], vcc
	s_cbranch_execnz .LBB10_118
.LBB10_19:
	s_or_b64 exec, exec, s[6:7]
	s_and_saveexec_b64 s[6:7], vcc
	s_cbranch_execnz .LBB10_125
.LBB10_20:
	s_or_b64 exec, exec, s[6:7]
	s_and_saveexec_b64 s[6:7], vcc
	s_cbranch_execnz .LBB10_132
.LBB10_21:
	s_or_b64 exec, exec, s[6:7]
	s_and_saveexec_b64 s[6:7], vcc
	s_cbranch_execnz .LBB10_139
.LBB10_22:
	s_or_b64 exec, exec, s[6:7]
	s_and_saveexec_b64 s[6:7], vcc
	s_cbranch_execnz .LBB10_146
.LBB10_23:
	s_or_b64 exec, exec, s[6:7]
	s_and_saveexec_b64 s[6:7], vcc
	s_cbranch_execnz .LBB10_153
.LBB10_24:
	s_or_b64 exec, exec, s[6:7]
	s_and_saveexec_b64 s[6:7], vcc
	s_cbranch_execnz .LBB10_160
.LBB10_25:
	s_or_b64 exec, exec, s[6:7]
	s_and_saveexec_b64 s[6:7], vcc
	s_cbranch_execnz .LBB10_167
.LBB10_26:
	s_or_b64 exec, exec, s[6:7]
	s_and_saveexec_b64 s[6:7], vcc
	s_cbranch_execnz .LBB10_174
.LBB10_27:
	s_or_b64 exec, exec, s[6:7]
	s_and_saveexec_b64 s[6:7], vcc
	s_cbranch_execnz .LBB10_181
.LBB10_28:
	s_or_b64 exec, exec, s[6:7]
	s_and_saveexec_b64 s[6:7], vcc
	s_cbranch_execnz .LBB10_188
.LBB10_29:
	s_or_b64 exec, exec, s[6:7]
	s_and_saveexec_b64 s[6:7], vcc
	s_cbranch_execnz .LBB10_195
.LBB10_30:
	s_or_b64 exec, exec, s[6:7]
	s_and_saveexec_b64 s[6:7], vcc
	s_cbranch_execnz .LBB10_202
.LBB10_31:
	s_or_b64 exec, exec, s[6:7]
	s_and_saveexec_b64 s[6:7], vcc
	s_cbranch_execnz .LBB10_209
.LBB10_32:
	s_or_b64 exec, exec, s[6:7]
	s_and_saveexec_b64 s[6:7], vcc
	s_cbranch_execnz .LBB10_216
.LBB10_33:
	s_or_b64 exec, exec, s[6:7]
	s_and_saveexec_b64 s[6:7], vcc
	s_cbranch_execnz .LBB10_223
	s_branch .LBB10_230
.LBB10_34:
	v_mad_u64_u32 v[54:55], s[0:1], v20, v6, v[8:9]
	v_mul_lo_u32 v64, v20, v7
	v_mul_lo_u32 v65, v21, v6
	v_add3_u32 v55, v65, v55, v64
	v_mad_u64_u32 v[64:65], s[0:1], v22, v6, v[8:9]
	v_mul_lo_u32 v66, v22, v7
	v_mul_lo_u32 v67, v23, v6
	v_add3_u32 v65, v67, v65, v66
	s_mov_b64 s[14:15], 0
	v_mov_b64_e32 v[66:67], v[6:7]
                                        ; implicit-def: $sgpr10_sgpr11
                                        ; implicit-def: $sgpr16_sgpr17
                                        ; implicit-def: $sgpr20_sgpr21
                                        ; implicit-def: $sgpr18_sgpr19
                                        ; implicit-def: $sgpr22_sgpr23
                                        ; implicit-def: $sgpr0_sgpr1
	s_branch .LBB10_36
.LBB10_35:                              ;   in Loop: Header=BB10_36 Depth=1
	s_or_b64 exec, exec, s[26:27]
	s_and_b64 s[26:27], exec, s[20:21]
	s_or_b64 s[14:15], s[26:27], s[14:15]
	s_andn2_b64 s[0:1], s[0:1], exec
	s_and_b64 s[26:27], s[22:23], exec
	s_or_b64 s[0:1], s[0:1], s[26:27]
	s_andn2_b64 s[16:17], s[16:17], exec
	s_and_b64 s[26:27], s[18:19], exec
	s_andn2_b64 s[10:11], s[10:11], exec
	s_and_b64 s[24:25], s[24:25], exec
	s_or_b64 s[16:17], s[16:17], s[26:27]
	s_or_b64 s[10:11], s[10:11], s[24:25]
	s_andn2_b64 exec, exec, s[14:15]
	s_cbranch_execz .LBB10_38
.LBB10_36:                              ; =>This Inner Loop Header: Depth=1
	flat_load_ubyte v68, v[64:65]
	flat_load_ubyte v69, v[54:55]
	s_andn2_b64 s[22:23], s[22:23], exec
	s_or_b64 s[18:19], s[18:19], exec
	s_or_b64 s[20:21], s[20:21], exec
	s_waitcnt vmcnt(0) lgkmcnt(0)
	v_cmp_le_u16_sdwa s[26:27], v68, v69 src0_sel:BYTE_0 src1_sel:BYTE_0
	v_cmp_lt_u16_sdwa s[24:25], v68, v69 src0_sel:BYTE_0 src1_sel:BYTE_0
	s_and_b64 s[26:27], s[26:27], s[0:1]
	v_cmp_eq_u16_sdwa s[28:29], v68, v69 src0_sel:BYTE_0 src1_sel:BYTE_0
	s_or_b64 s[24:25], s[24:25], s[26:27]
	s_and_saveexec_b64 s[26:27], s[28:29]
	s_cbranch_execz .LBB10_35
; %bb.37:                               ;   in Loop: Header=BB10_36 Depth=1
	v_lshl_add_u64 v[66:67], v[66:67], 0, -1
	v_cmp_eq_u64_e64 s[0:1], 0, v[66:67]
	s_andn2_b64 s[22:23], s[22:23], exec
	s_and_b64 s[28:29], s[24:25], exec
	s_andn2_b64 s[20:21], s[20:21], exec
	s_and_b64 s[0:1], s[0:1], exec
	v_lshl_add_u64 v[54:55], v[54:55], 0, 1
	v_lshl_add_u64 v[64:65], v[64:65], 0, 1
	s_or_b64 s[22:23], s[22:23], s[28:29]
	s_andn2_b64 s[18:19], s[18:19], exec
	s_or_b64 s[20:21], s[20:21], s[0:1]
                                        ; implicit-def: $sgpr0_sgpr1
	s_branch .LBB10_35
.LBB10_38:
	s_or_b64 exec, exec, s[14:15]
	s_and_saveexec_b64 s[0:1], s[16:17]
	s_xor_b64 s[0:1], exec, s[0:1]
; %bb.39:
	v_cndmask_b32_e64 v55, v23, v21, s[10:11]
	v_cndmask_b32_e64 v54, v22, v20, s[10:11]
	;; [unrolled: 1-line block ×4, first 2 shown]
	v_mov_b64_e32 v[22:23], v[54:55]
; %bb.40:
	s_or_b64 exec, exec, s[0:1]
	s_or_b64 exec, exec, s[6:7]
	s_and_saveexec_b64 s[6:7], vcc
	s_cbranch_execz .LBB10_8
.LBB10_41:
	v_mad_u64_u32 v[54:55], s[0:1], v16, v6, v[8:9]
	v_mul_lo_u32 v64, v16, v7
	v_mul_lo_u32 v65, v17, v6
	v_add3_u32 v55, v65, v55, v64
	v_mad_u64_u32 v[64:65], s[0:1], v18, v6, v[8:9]
	v_mul_lo_u32 v66, v18, v7
	v_mul_lo_u32 v67, v19, v6
	v_add3_u32 v65, v67, v65, v66
	s_mov_b64 s[14:15], 0
	v_mov_b64_e32 v[66:67], v[6:7]
                                        ; implicit-def: $sgpr10_sgpr11
                                        ; implicit-def: $sgpr16_sgpr17
                                        ; implicit-def: $sgpr20_sgpr21
                                        ; implicit-def: $sgpr18_sgpr19
                                        ; implicit-def: $sgpr22_sgpr23
                                        ; implicit-def: $sgpr0_sgpr1
	s_branch .LBB10_43
.LBB10_42:                              ;   in Loop: Header=BB10_43 Depth=1
	s_or_b64 exec, exec, s[26:27]
	s_and_b64 s[26:27], exec, s[20:21]
	s_or_b64 s[14:15], s[26:27], s[14:15]
	s_andn2_b64 s[0:1], s[0:1], exec
	s_and_b64 s[26:27], s[22:23], exec
	s_or_b64 s[0:1], s[0:1], s[26:27]
	s_andn2_b64 s[16:17], s[16:17], exec
	s_and_b64 s[26:27], s[18:19], exec
	s_andn2_b64 s[10:11], s[10:11], exec
	s_and_b64 s[24:25], s[24:25], exec
	s_or_b64 s[16:17], s[16:17], s[26:27]
	s_or_b64 s[10:11], s[10:11], s[24:25]
	s_andn2_b64 exec, exec, s[14:15]
	s_cbranch_execz .LBB10_45
.LBB10_43:                              ; =>This Inner Loop Header: Depth=1
	flat_load_ubyte v68, v[64:65]
	flat_load_ubyte v69, v[54:55]
	s_andn2_b64 s[22:23], s[22:23], exec
	s_or_b64 s[18:19], s[18:19], exec
	s_or_b64 s[20:21], s[20:21], exec
	s_waitcnt vmcnt(0) lgkmcnt(0)
	v_cmp_le_u16_sdwa s[26:27], v68, v69 src0_sel:BYTE_0 src1_sel:BYTE_0
	v_cmp_lt_u16_sdwa s[24:25], v68, v69 src0_sel:BYTE_0 src1_sel:BYTE_0
	s_and_b64 s[26:27], s[26:27], s[0:1]
	v_cmp_eq_u16_sdwa s[28:29], v68, v69 src0_sel:BYTE_0 src1_sel:BYTE_0
	s_or_b64 s[24:25], s[24:25], s[26:27]
	s_and_saveexec_b64 s[26:27], s[28:29]
	s_cbranch_execz .LBB10_42
; %bb.44:                               ;   in Loop: Header=BB10_43 Depth=1
	v_lshl_add_u64 v[66:67], v[66:67], 0, -1
	v_cmp_eq_u64_e64 s[0:1], 0, v[66:67]
	s_andn2_b64 s[22:23], s[22:23], exec
	s_and_b64 s[28:29], s[24:25], exec
	s_andn2_b64 s[20:21], s[20:21], exec
	s_and_b64 s[0:1], s[0:1], exec
	v_lshl_add_u64 v[54:55], v[54:55], 0, 1
	v_lshl_add_u64 v[64:65], v[64:65], 0, 1
	s_or_b64 s[22:23], s[22:23], s[28:29]
	s_andn2_b64 s[18:19], s[18:19], exec
	s_or_b64 s[20:21], s[20:21], s[0:1]
                                        ; implicit-def: $sgpr0_sgpr1
	s_branch .LBB10_42
.LBB10_45:
	s_or_b64 exec, exec, s[14:15]
	s_and_saveexec_b64 s[0:1], s[16:17]
	s_xor_b64 s[0:1], exec, s[0:1]
; %bb.46:
	v_cndmask_b32_e64 v55, v17, v19, s[10:11]
	v_cndmask_b32_e64 v54, v16, v18, s[10:11]
	;; [unrolled: 1-line block ×4, first 2 shown]
	v_mov_b64_e32 v[16:17], v[54:55]
; %bb.47:
	s_or_b64 exec, exec, s[0:1]
	s_or_b64 exec, exec, s[6:7]
	s_and_saveexec_b64 s[6:7], vcc
	s_cbranch_execz .LBB10_9
.LBB10_48:
	v_mad_u64_u32 v[54:55], s[0:1], v12, v6, v[8:9]
	v_mul_lo_u32 v64, v12, v7
	v_mul_lo_u32 v65, v13, v6
	v_add3_u32 v55, v65, v55, v64
	v_mad_u64_u32 v[64:65], s[0:1], v14, v6, v[8:9]
	v_mul_lo_u32 v66, v14, v7
	v_mul_lo_u32 v67, v15, v6
	v_add3_u32 v65, v67, v65, v66
	s_mov_b64 s[14:15], 0
	v_mov_b64_e32 v[66:67], v[6:7]
                                        ; implicit-def: $sgpr10_sgpr11
                                        ; implicit-def: $sgpr16_sgpr17
                                        ; implicit-def: $sgpr20_sgpr21
                                        ; implicit-def: $sgpr18_sgpr19
                                        ; implicit-def: $sgpr22_sgpr23
                                        ; implicit-def: $sgpr0_sgpr1
	s_branch .LBB10_50
.LBB10_49:                              ;   in Loop: Header=BB10_50 Depth=1
	s_or_b64 exec, exec, s[26:27]
	s_and_b64 s[26:27], exec, s[20:21]
	s_or_b64 s[14:15], s[26:27], s[14:15]
	s_andn2_b64 s[0:1], s[0:1], exec
	s_and_b64 s[26:27], s[22:23], exec
	s_or_b64 s[0:1], s[0:1], s[26:27]
	s_andn2_b64 s[16:17], s[16:17], exec
	s_and_b64 s[26:27], s[18:19], exec
	s_andn2_b64 s[10:11], s[10:11], exec
	s_and_b64 s[24:25], s[24:25], exec
	s_or_b64 s[16:17], s[16:17], s[26:27]
	s_or_b64 s[10:11], s[10:11], s[24:25]
	s_andn2_b64 exec, exec, s[14:15]
	s_cbranch_execz .LBB10_52
.LBB10_50:                              ; =>This Inner Loop Header: Depth=1
	flat_load_ubyte v68, v[64:65]
	flat_load_ubyte v69, v[54:55]
	s_andn2_b64 s[22:23], s[22:23], exec
	s_or_b64 s[18:19], s[18:19], exec
	s_or_b64 s[20:21], s[20:21], exec
	s_waitcnt vmcnt(0) lgkmcnt(0)
	v_cmp_le_u16_sdwa s[26:27], v68, v69 src0_sel:BYTE_0 src1_sel:BYTE_0
	v_cmp_lt_u16_sdwa s[24:25], v68, v69 src0_sel:BYTE_0 src1_sel:BYTE_0
	s_and_b64 s[26:27], s[26:27], s[0:1]
	v_cmp_eq_u16_sdwa s[28:29], v68, v69 src0_sel:BYTE_0 src1_sel:BYTE_0
	s_or_b64 s[24:25], s[24:25], s[26:27]
	s_and_saveexec_b64 s[26:27], s[28:29]
	s_cbranch_execz .LBB10_49
; %bb.51:                               ;   in Loop: Header=BB10_50 Depth=1
	v_lshl_add_u64 v[66:67], v[66:67], 0, -1
	v_cmp_eq_u64_e64 s[0:1], 0, v[66:67]
	s_andn2_b64 s[22:23], s[22:23], exec
	s_and_b64 s[28:29], s[24:25], exec
	s_andn2_b64 s[20:21], s[20:21], exec
	s_and_b64 s[0:1], s[0:1], exec
	v_lshl_add_u64 v[54:55], v[54:55], 0, 1
	v_lshl_add_u64 v[64:65], v[64:65], 0, 1
	s_or_b64 s[22:23], s[22:23], s[28:29]
	s_andn2_b64 s[18:19], s[18:19], exec
	s_or_b64 s[20:21], s[20:21], s[0:1]
                                        ; implicit-def: $sgpr0_sgpr1
	s_branch .LBB10_49
.LBB10_52:
	s_or_b64 exec, exec, s[14:15]
	s_and_saveexec_b64 s[0:1], s[16:17]
	s_xor_b64 s[0:1], exec, s[0:1]
; %bb.53:
	v_cndmask_b32_e64 v55, v13, v15, s[10:11]
	v_cndmask_b32_e64 v54, v12, v14, s[10:11]
	;; [unrolled: 1-line block ×4, first 2 shown]
	v_mov_b64_e32 v[12:13], v[54:55]
; %bb.54:
	s_or_b64 exec, exec, s[0:1]
	s_or_b64 exec, exec, s[6:7]
	s_and_saveexec_b64 s[6:7], vcc
	s_cbranch_execz .LBB10_10
.LBB10_55:
	v_mad_u64_u32 v[54:55], s[0:1], v0, v6, v[8:9]
	v_mul_lo_u32 v64, v0, v7
	v_mul_lo_u32 v65, v1, v6
	v_add3_u32 v55, v65, v55, v64
	v_mad_u64_u32 v[64:65], s[0:1], v2, v6, v[8:9]
	v_mul_lo_u32 v66, v2, v7
	v_mul_lo_u32 v67, v3, v6
	v_add3_u32 v65, v67, v65, v66
	s_mov_b64 s[14:15], 0
	v_mov_b64_e32 v[66:67], v[6:7]
                                        ; implicit-def: $sgpr10_sgpr11
                                        ; implicit-def: $sgpr16_sgpr17
                                        ; implicit-def: $sgpr20_sgpr21
                                        ; implicit-def: $sgpr18_sgpr19
                                        ; implicit-def: $sgpr22_sgpr23
                                        ; implicit-def: $sgpr0_sgpr1
	s_branch .LBB10_57
.LBB10_56:                              ;   in Loop: Header=BB10_57 Depth=1
	s_or_b64 exec, exec, s[26:27]
	s_and_b64 s[26:27], exec, s[20:21]
	s_or_b64 s[14:15], s[26:27], s[14:15]
	s_andn2_b64 s[0:1], s[0:1], exec
	s_and_b64 s[26:27], s[22:23], exec
	s_or_b64 s[0:1], s[0:1], s[26:27]
	s_andn2_b64 s[16:17], s[16:17], exec
	s_and_b64 s[26:27], s[18:19], exec
	s_andn2_b64 s[10:11], s[10:11], exec
	s_and_b64 s[24:25], s[24:25], exec
	s_or_b64 s[16:17], s[16:17], s[26:27]
	s_or_b64 s[10:11], s[10:11], s[24:25]
	s_andn2_b64 exec, exec, s[14:15]
	s_cbranch_execz .LBB10_59
.LBB10_57:                              ; =>This Inner Loop Header: Depth=1
	flat_load_ubyte v68, v[64:65]
	flat_load_ubyte v69, v[54:55]
	s_andn2_b64 s[22:23], s[22:23], exec
	s_or_b64 s[18:19], s[18:19], exec
	s_or_b64 s[20:21], s[20:21], exec
	s_waitcnt vmcnt(0) lgkmcnt(0)
	v_cmp_le_u16_sdwa s[26:27], v68, v69 src0_sel:BYTE_0 src1_sel:BYTE_0
	v_cmp_lt_u16_sdwa s[24:25], v68, v69 src0_sel:BYTE_0 src1_sel:BYTE_0
	s_and_b64 s[26:27], s[26:27], s[0:1]
	v_cmp_eq_u16_sdwa s[28:29], v68, v69 src0_sel:BYTE_0 src1_sel:BYTE_0
	s_or_b64 s[24:25], s[24:25], s[26:27]
	s_and_saveexec_b64 s[26:27], s[28:29]
	s_cbranch_execz .LBB10_56
; %bb.58:                               ;   in Loop: Header=BB10_57 Depth=1
	v_lshl_add_u64 v[66:67], v[66:67], 0, -1
	v_cmp_eq_u64_e64 s[0:1], 0, v[66:67]
	s_andn2_b64 s[22:23], s[22:23], exec
	s_and_b64 s[28:29], s[24:25], exec
	s_andn2_b64 s[20:21], s[20:21], exec
	s_and_b64 s[0:1], s[0:1], exec
	v_lshl_add_u64 v[54:55], v[54:55], 0, 1
	v_lshl_add_u64 v[64:65], v[64:65], 0, 1
	s_or_b64 s[22:23], s[22:23], s[28:29]
	s_andn2_b64 s[18:19], s[18:19], exec
	s_or_b64 s[20:21], s[20:21], s[0:1]
                                        ; implicit-def: $sgpr0_sgpr1
	s_branch .LBB10_56
.LBB10_59:
	s_or_b64 exec, exec, s[14:15]
	s_and_saveexec_b64 s[0:1], s[16:17]
	s_xor_b64 s[0:1], exec, s[0:1]
; %bb.60:
	v_cndmask_b32_e64 v55, v1, v3, s[10:11]
	v_cndmask_b32_e64 v54, v0, v2, s[10:11]
	;; [unrolled: 1-line block ×4, first 2 shown]
	v_mov_b64_e32 v[0:1], v[54:55]
; %bb.61:
	s_or_b64 exec, exec, s[0:1]
	s_or_b64 exec, exec, s[6:7]
	s_and_saveexec_b64 s[0:1], vcc
	s_xor_b64 s[6:7], exec, s[0:1]
	s_cbranch_execz .LBB10_11
.LBB10_62:
	v_mad_u64_u32 v[54:55], s[0:1], v22, v6, v[8:9]
	v_mul_lo_u32 v64, v22, v7
	v_mul_lo_u32 v65, v23, v6
	v_add3_u32 v55, v65, v55, v64
	v_mad_u64_u32 v[64:65], s[0:1], v16, v6, v[8:9]
	v_mul_lo_u32 v66, v16, v7
	v_mul_lo_u32 v67, v17, v6
	v_add3_u32 v65, v67, v65, v66
	s_mov_b64 s[14:15], 0
	v_mov_b64_e32 v[66:67], v[6:7]
                                        ; implicit-def: $sgpr10_sgpr11
                                        ; implicit-def: $sgpr16_sgpr17
                                        ; implicit-def: $sgpr20_sgpr21
                                        ; implicit-def: $sgpr18_sgpr19
                                        ; implicit-def: $sgpr22_sgpr23
                                        ; implicit-def: $sgpr0_sgpr1
	s_branch .LBB10_64
.LBB10_63:                              ;   in Loop: Header=BB10_64 Depth=1
	s_or_b64 exec, exec, s[26:27]
	s_and_b64 s[26:27], exec, s[20:21]
	s_or_b64 s[14:15], s[26:27], s[14:15]
	s_andn2_b64 s[0:1], s[0:1], exec
	s_and_b64 s[26:27], s[22:23], exec
	s_or_b64 s[0:1], s[0:1], s[26:27]
	s_andn2_b64 s[16:17], s[16:17], exec
	s_and_b64 s[26:27], s[18:19], exec
	s_andn2_b64 s[10:11], s[10:11], exec
	s_and_b64 s[24:25], s[24:25], exec
	s_or_b64 s[16:17], s[16:17], s[26:27]
	s_or_b64 s[10:11], s[10:11], s[24:25]
	s_andn2_b64 exec, exec, s[14:15]
	s_cbranch_execz .LBB10_66
.LBB10_64:                              ; =>This Inner Loop Header: Depth=1
	flat_load_ubyte v68, v[64:65]
	flat_load_ubyte v69, v[54:55]
	s_andn2_b64 s[22:23], s[22:23], exec
	s_or_b64 s[18:19], s[18:19], exec
	s_or_b64 s[20:21], s[20:21], exec
	s_waitcnt vmcnt(0) lgkmcnt(0)
	v_cmp_le_u16_sdwa s[26:27], v68, v69 src0_sel:BYTE_0 src1_sel:BYTE_0
	v_cmp_lt_u16_sdwa s[24:25], v68, v69 src0_sel:BYTE_0 src1_sel:BYTE_0
	s_and_b64 s[26:27], s[26:27], s[0:1]
	v_cmp_eq_u16_sdwa s[28:29], v68, v69 src0_sel:BYTE_0 src1_sel:BYTE_0
	s_or_b64 s[24:25], s[24:25], s[26:27]
	s_and_saveexec_b64 s[26:27], s[28:29]
	s_cbranch_execz .LBB10_63
; %bb.65:                               ;   in Loop: Header=BB10_64 Depth=1
	v_lshl_add_u64 v[66:67], v[66:67], 0, -1
	v_cmp_eq_u64_e64 s[0:1], 0, v[66:67]
	s_andn2_b64 s[22:23], s[22:23], exec
	s_and_b64 s[28:29], s[24:25], exec
	s_andn2_b64 s[20:21], s[20:21], exec
	s_and_b64 s[0:1], s[0:1], exec
	v_lshl_add_u64 v[54:55], v[54:55], 0, 1
	v_lshl_add_u64 v[64:65], v[64:65], 0, 1
	s_or_b64 s[22:23], s[22:23], s[28:29]
	s_andn2_b64 s[18:19], s[18:19], exec
	s_or_b64 s[20:21], s[20:21], s[0:1]
                                        ; implicit-def: $sgpr0_sgpr1
	s_branch .LBB10_63
.LBB10_66:
	s_or_b64 exec, exec, s[14:15]
	s_and_saveexec_b64 s[0:1], s[16:17]
	s_xor_b64 s[0:1], exec, s[0:1]
; %bb.67:
	v_cndmask_b32_e64 v55, v23, v17, s[10:11]
	v_cndmask_b32_e64 v54, v22, v16, s[10:11]
	;; [unrolled: 1-line block ×4, first 2 shown]
	v_mov_b64_e32 v[22:23], v[54:55]
; %bb.68:
	s_or_b64 exec, exec, s[0:1]
	s_or_b64 exec, exec, s[6:7]
	s_and_saveexec_b64 s[6:7], vcc
	s_cbranch_execz .LBB10_12
.LBB10_69:
	v_mad_u64_u32 v[54:55], s[0:1], v18, v6, v[8:9]
	v_mul_lo_u32 v64, v18, v7
	v_mul_lo_u32 v65, v19, v6
	v_add3_u32 v55, v65, v55, v64
	v_mad_u64_u32 v[64:65], s[0:1], v12, v6, v[8:9]
	v_mul_lo_u32 v66, v12, v7
	v_mul_lo_u32 v67, v13, v6
	v_add3_u32 v65, v67, v65, v66
	s_mov_b64 s[14:15], 0
	v_mov_b64_e32 v[66:67], v[6:7]
                                        ; implicit-def: $sgpr10_sgpr11
                                        ; implicit-def: $sgpr16_sgpr17
                                        ; implicit-def: $sgpr20_sgpr21
                                        ; implicit-def: $sgpr18_sgpr19
                                        ; implicit-def: $sgpr22_sgpr23
                                        ; implicit-def: $sgpr0_sgpr1
	s_branch .LBB10_71
.LBB10_70:                              ;   in Loop: Header=BB10_71 Depth=1
	s_or_b64 exec, exec, s[26:27]
	s_and_b64 s[26:27], exec, s[20:21]
	s_or_b64 s[14:15], s[26:27], s[14:15]
	s_andn2_b64 s[0:1], s[0:1], exec
	s_and_b64 s[26:27], s[22:23], exec
	s_or_b64 s[0:1], s[0:1], s[26:27]
	s_andn2_b64 s[16:17], s[16:17], exec
	s_and_b64 s[26:27], s[18:19], exec
	s_andn2_b64 s[10:11], s[10:11], exec
	s_and_b64 s[24:25], s[24:25], exec
	s_or_b64 s[16:17], s[16:17], s[26:27]
	s_or_b64 s[10:11], s[10:11], s[24:25]
	s_andn2_b64 exec, exec, s[14:15]
	s_cbranch_execz .LBB10_73
.LBB10_71:                              ; =>This Inner Loop Header: Depth=1
	flat_load_ubyte v68, v[64:65]
	flat_load_ubyte v69, v[54:55]
	s_andn2_b64 s[22:23], s[22:23], exec
	s_or_b64 s[18:19], s[18:19], exec
	s_or_b64 s[20:21], s[20:21], exec
	s_waitcnt vmcnt(0) lgkmcnt(0)
	v_cmp_le_u16_sdwa s[26:27], v68, v69 src0_sel:BYTE_0 src1_sel:BYTE_0
	v_cmp_lt_u16_sdwa s[24:25], v68, v69 src0_sel:BYTE_0 src1_sel:BYTE_0
	s_and_b64 s[26:27], s[26:27], s[0:1]
	v_cmp_eq_u16_sdwa s[28:29], v68, v69 src0_sel:BYTE_0 src1_sel:BYTE_0
	s_or_b64 s[24:25], s[24:25], s[26:27]
	s_and_saveexec_b64 s[26:27], s[28:29]
	s_cbranch_execz .LBB10_70
; %bb.72:                               ;   in Loop: Header=BB10_71 Depth=1
	v_lshl_add_u64 v[66:67], v[66:67], 0, -1
	v_cmp_eq_u64_e64 s[0:1], 0, v[66:67]
	s_andn2_b64 s[22:23], s[22:23], exec
	s_and_b64 s[28:29], s[24:25], exec
	s_andn2_b64 s[20:21], s[20:21], exec
	s_and_b64 s[0:1], s[0:1], exec
	v_lshl_add_u64 v[54:55], v[54:55], 0, 1
	v_lshl_add_u64 v[64:65], v[64:65], 0, 1
	s_or_b64 s[22:23], s[22:23], s[28:29]
	s_andn2_b64 s[18:19], s[18:19], exec
	s_or_b64 s[20:21], s[20:21], s[0:1]
                                        ; implicit-def: $sgpr0_sgpr1
	s_branch .LBB10_70
.LBB10_73:
	s_or_b64 exec, exec, s[14:15]
	s_and_saveexec_b64 s[0:1], s[16:17]
	s_xor_b64 s[0:1], exec, s[0:1]
; %bb.74:
	v_cndmask_b32_e64 v55, v19, v13, s[10:11]
	v_cndmask_b32_e64 v54, v18, v12, s[10:11]
	;; [unrolled: 1-line block ×4, first 2 shown]
	v_mov_b64_e32 v[18:19], v[54:55]
; %bb.75:
	s_or_b64 exec, exec, s[0:1]
	s_or_b64 exec, exec, s[6:7]
	s_and_saveexec_b64 s[6:7], vcc
	s_cbranch_execz .LBB10_13
.LBB10_76:
	v_mad_u64_u32 v[54:55], s[0:1], v14, v6, v[8:9]
	v_mul_lo_u32 v64, v14, v7
	v_mul_lo_u32 v65, v15, v6
	v_add3_u32 v55, v65, v55, v64
	v_mad_u64_u32 v[64:65], s[0:1], v0, v6, v[8:9]
	v_mul_lo_u32 v66, v0, v7
	v_mul_lo_u32 v67, v1, v6
	v_add3_u32 v65, v67, v65, v66
	s_mov_b64 s[14:15], 0
	v_mov_b64_e32 v[66:67], v[6:7]
                                        ; implicit-def: $sgpr10_sgpr11
                                        ; implicit-def: $sgpr16_sgpr17
                                        ; implicit-def: $sgpr20_sgpr21
                                        ; implicit-def: $sgpr18_sgpr19
                                        ; implicit-def: $sgpr22_sgpr23
                                        ; implicit-def: $sgpr0_sgpr1
	s_branch .LBB10_78
.LBB10_77:                              ;   in Loop: Header=BB10_78 Depth=1
	s_or_b64 exec, exec, s[26:27]
	s_and_b64 s[26:27], exec, s[20:21]
	s_or_b64 s[14:15], s[26:27], s[14:15]
	s_andn2_b64 s[0:1], s[0:1], exec
	s_and_b64 s[26:27], s[22:23], exec
	s_or_b64 s[0:1], s[0:1], s[26:27]
	s_andn2_b64 s[16:17], s[16:17], exec
	s_and_b64 s[26:27], s[18:19], exec
	s_andn2_b64 s[10:11], s[10:11], exec
	s_and_b64 s[24:25], s[24:25], exec
	s_or_b64 s[16:17], s[16:17], s[26:27]
	s_or_b64 s[10:11], s[10:11], s[24:25]
	s_andn2_b64 exec, exec, s[14:15]
	s_cbranch_execz .LBB10_80
.LBB10_78:                              ; =>This Inner Loop Header: Depth=1
	flat_load_ubyte v68, v[64:65]
	flat_load_ubyte v69, v[54:55]
	s_andn2_b64 s[22:23], s[22:23], exec
	s_or_b64 s[18:19], s[18:19], exec
	s_or_b64 s[20:21], s[20:21], exec
	s_waitcnt vmcnt(0) lgkmcnt(0)
	v_cmp_le_u16_sdwa s[26:27], v68, v69 src0_sel:BYTE_0 src1_sel:BYTE_0
	v_cmp_lt_u16_sdwa s[24:25], v68, v69 src0_sel:BYTE_0 src1_sel:BYTE_0
	s_and_b64 s[26:27], s[26:27], s[0:1]
	v_cmp_eq_u16_sdwa s[28:29], v68, v69 src0_sel:BYTE_0 src1_sel:BYTE_0
	s_or_b64 s[24:25], s[24:25], s[26:27]
	s_and_saveexec_b64 s[26:27], s[28:29]
	s_cbranch_execz .LBB10_77
; %bb.79:                               ;   in Loop: Header=BB10_78 Depth=1
	v_lshl_add_u64 v[66:67], v[66:67], 0, -1
	v_cmp_eq_u64_e64 s[0:1], 0, v[66:67]
	s_andn2_b64 s[22:23], s[22:23], exec
	s_and_b64 s[28:29], s[24:25], exec
	s_andn2_b64 s[20:21], s[20:21], exec
	s_and_b64 s[0:1], s[0:1], exec
	v_lshl_add_u64 v[54:55], v[54:55], 0, 1
	v_lshl_add_u64 v[64:65], v[64:65], 0, 1
	s_or_b64 s[22:23], s[22:23], s[28:29]
	s_andn2_b64 s[18:19], s[18:19], exec
	s_or_b64 s[20:21], s[20:21], s[0:1]
                                        ; implicit-def: $sgpr0_sgpr1
	s_branch .LBB10_77
.LBB10_80:
	s_or_b64 exec, exec, s[14:15]
	s_and_saveexec_b64 s[0:1], s[16:17]
	s_xor_b64 s[0:1], exec, s[0:1]
; %bb.81:
	v_cndmask_b32_e64 v55, v15, v1, s[10:11]
	v_cndmask_b32_e64 v54, v14, v0, s[10:11]
	;; [unrolled: 1-line block ×4, first 2 shown]
	v_mov_b64_e32 v[14:15], v[54:55]
; %bb.82:
	s_or_b64 exec, exec, s[0:1]
	s_or_b64 exec, exec, s[6:7]
	s_and_saveexec_b64 s[6:7], vcc
	s_cbranch_execz .LBB10_14
.LBB10_83:
	v_mad_u64_u32 v[54:55], s[0:1], v20, v6, v[8:9]
	v_mul_lo_u32 v64, v20, v7
	v_mul_lo_u32 v65, v21, v6
	v_add3_u32 v55, v65, v55, v64
	v_mad_u64_u32 v[64:65], s[0:1], v22, v6, v[8:9]
	v_mul_lo_u32 v66, v22, v7
	v_mul_lo_u32 v67, v23, v6
	v_add3_u32 v65, v67, v65, v66
	s_mov_b64 s[14:15], 0
	v_mov_b64_e32 v[66:67], v[6:7]
                                        ; implicit-def: $sgpr10_sgpr11
                                        ; implicit-def: $sgpr16_sgpr17
                                        ; implicit-def: $sgpr20_sgpr21
                                        ; implicit-def: $sgpr18_sgpr19
                                        ; implicit-def: $sgpr22_sgpr23
                                        ; implicit-def: $sgpr0_sgpr1
	s_branch .LBB10_85
.LBB10_84:                              ;   in Loop: Header=BB10_85 Depth=1
	s_or_b64 exec, exec, s[26:27]
	s_and_b64 s[26:27], exec, s[20:21]
	s_or_b64 s[14:15], s[26:27], s[14:15]
	s_andn2_b64 s[0:1], s[0:1], exec
	s_and_b64 s[26:27], s[22:23], exec
	s_or_b64 s[0:1], s[0:1], s[26:27]
	s_andn2_b64 s[16:17], s[16:17], exec
	s_and_b64 s[26:27], s[18:19], exec
	s_andn2_b64 s[10:11], s[10:11], exec
	s_and_b64 s[24:25], s[24:25], exec
	s_or_b64 s[16:17], s[16:17], s[26:27]
	s_or_b64 s[10:11], s[10:11], s[24:25]
	s_andn2_b64 exec, exec, s[14:15]
	s_cbranch_execz .LBB10_87
.LBB10_85:                              ; =>This Inner Loop Header: Depth=1
	flat_load_ubyte v68, v[64:65]
	flat_load_ubyte v69, v[54:55]
	s_andn2_b64 s[22:23], s[22:23], exec
	s_or_b64 s[18:19], s[18:19], exec
	s_or_b64 s[20:21], s[20:21], exec
	s_waitcnt vmcnt(0) lgkmcnt(0)
	v_cmp_le_u16_sdwa s[26:27], v68, v69 src0_sel:BYTE_0 src1_sel:BYTE_0
	v_cmp_lt_u16_sdwa s[24:25], v68, v69 src0_sel:BYTE_0 src1_sel:BYTE_0
	s_and_b64 s[26:27], s[26:27], s[0:1]
	v_cmp_eq_u16_sdwa s[28:29], v68, v69 src0_sel:BYTE_0 src1_sel:BYTE_0
	s_or_b64 s[24:25], s[24:25], s[26:27]
	s_and_saveexec_b64 s[26:27], s[28:29]
	s_cbranch_execz .LBB10_84
; %bb.86:                               ;   in Loop: Header=BB10_85 Depth=1
	v_lshl_add_u64 v[66:67], v[66:67], 0, -1
	v_cmp_eq_u64_e64 s[0:1], 0, v[66:67]
	s_andn2_b64 s[22:23], s[22:23], exec
	s_and_b64 s[28:29], s[24:25], exec
	s_andn2_b64 s[20:21], s[20:21], exec
	s_and_b64 s[0:1], s[0:1], exec
	v_lshl_add_u64 v[54:55], v[54:55], 0, 1
	v_lshl_add_u64 v[64:65], v[64:65], 0, 1
	s_or_b64 s[22:23], s[22:23], s[28:29]
	s_andn2_b64 s[18:19], s[18:19], exec
	s_or_b64 s[20:21], s[20:21], s[0:1]
                                        ; implicit-def: $sgpr0_sgpr1
	s_branch .LBB10_84
.LBB10_87:
	s_or_b64 exec, exec, s[14:15]
	s_and_saveexec_b64 s[0:1], s[16:17]
	s_xor_b64 s[0:1], exec, s[0:1]
; %bb.88:
	v_cndmask_b32_e64 v55, v23, v21, s[10:11]
	v_cndmask_b32_e64 v54, v22, v20, s[10:11]
	v_cndmask_b32_e64 v21, v21, v23, s[10:11]
	v_cndmask_b32_e64 v20, v20, v22, s[10:11]
	v_mov_b64_e32 v[22:23], v[54:55]
; %bb.89:
	s_or_b64 exec, exec, s[0:1]
	s_or_b64 exec, exec, s[6:7]
	s_and_saveexec_b64 s[6:7], vcc
	s_cbranch_execz .LBB10_15
.LBB10_90:
	v_mad_u64_u32 v[54:55], s[0:1], v16, v6, v[8:9]
	v_mul_lo_u32 v64, v16, v7
	v_mul_lo_u32 v65, v17, v6
	v_add3_u32 v55, v65, v55, v64
	v_mad_u64_u32 v[64:65], s[0:1], v18, v6, v[8:9]
	v_mul_lo_u32 v66, v18, v7
	v_mul_lo_u32 v67, v19, v6
	v_add3_u32 v65, v67, v65, v66
	s_mov_b64 s[14:15], 0
	v_mov_b64_e32 v[66:67], v[6:7]
                                        ; implicit-def: $sgpr10_sgpr11
                                        ; implicit-def: $sgpr16_sgpr17
                                        ; implicit-def: $sgpr20_sgpr21
                                        ; implicit-def: $sgpr18_sgpr19
                                        ; implicit-def: $sgpr22_sgpr23
                                        ; implicit-def: $sgpr0_sgpr1
	s_branch .LBB10_92
.LBB10_91:                              ;   in Loop: Header=BB10_92 Depth=1
	s_or_b64 exec, exec, s[26:27]
	s_and_b64 s[26:27], exec, s[20:21]
	s_or_b64 s[14:15], s[26:27], s[14:15]
	s_andn2_b64 s[0:1], s[0:1], exec
	s_and_b64 s[26:27], s[22:23], exec
	s_or_b64 s[0:1], s[0:1], s[26:27]
	s_andn2_b64 s[16:17], s[16:17], exec
	s_and_b64 s[26:27], s[18:19], exec
	s_andn2_b64 s[10:11], s[10:11], exec
	s_and_b64 s[24:25], s[24:25], exec
	s_or_b64 s[16:17], s[16:17], s[26:27]
	s_or_b64 s[10:11], s[10:11], s[24:25]
	s_andn2_b64 exec, exec, s[14:15]
	s_cbranch_execz .LBB10_94
.LBB10_92:                              ; =>This Inner Loop Header: Depth=1
	flat_load_ubyte v68, v[64:65]
	flat_load_ubyte v69, v[54:55]
	s_andn2_b64 s[22:23], s[22:23], exec
	s_or_b64 s[18:19], s[18:19], exec
	s_or_b64 s[20:21], s[20:21], exec
	s_waitcnt vmcnt(0) lgkmcnt(0)
	v_cmp_le_u16_sdwa s[26:27], v68, v69 src0_sel:BYTE_0 src1_sel:BYTE_0
	v_cmp_lt_u16_sdwa s[24:25], v68, v69 src0_sel:BYTE_0 src1_sel:BYTE_0
	s_and_b64 s[26:27], s[26:27], s[0:1]
	v_cmp_eq_u16_sdwa s[28:29], v68, v69 src0_sel:BYTE_0 src1_sel:BYTE_0
	s_or_b64 s[24:25], s[24:25], s[26:27]
	s_and_saveexec_b64 s[26:27], s[28:29]
	s_cbranch_execz .LBB10_91
; %bb.93:                               ;   in Loop: Header=BB10_92 Depth=1
	v_lshl_add_u64 v[66:67], v[66:67], 0, -1
	v_cmp_eq_u64_e64 s[0:1], 0, v[66:67]
	s_andn2_b64 s[22:23], s[22:23], exec
	s_and_b64 s[28:29], s[24:25], exec
	s_andn2_b64 s[20:21], s[20:21], exec
	s_and_b64 s[0:1], s[0:1], exec
	v_lshl_add_u64 v[54:55], v[54:55], 0, 1
	v_lshl_add_u64 v[64:65], v[64:65], 0, 1
	s_or_b64 s[22:23], s[22:23], s[28:29]
	s_andn2_b64 s[18:19], s[18:19], exec
	s_or_b64 s[20:21], s[20:21], s[0:1]
                                        ; implicit-def: $sgpr0_sgpr1
	s_branch .LBB10_91
.LBB10_94:
	s_or_b64 exec, exec, s[14:15]
	s_and_saveexec_b64 s[0:1], s[16:17]
	s_xor_b64 s[0:1], exec, s[0:1]
; %bb.95:
	v_cndmask_b32_e64 v55, v17, v19, s[10:11]
	v_cndmask_b32_e64 v54, v16, v18, s[10:11]
	v_cndmask_b32_e64 v19, v19, v17, s[10:11]
	v_cndmask_b32_e64 v18, v18, v16, s[10:11]
	v_mov_b64_e32 v[16:17], v[54:55]
; %bb.96:
	s_or_b64 exec, exec, s[0:1]
	s_or_b64 exec, exec, s[6:7]
	s_and_saveexec_b64 s[6:7], vcc
	s_cbranch_execz .LBB10_16
.LBB10_97:
	v_mad_u64_u32 v[54:55], s[0:1], v12, v6, v[8:9]
	v_mul_lo_u32 v64, v12, v7
	v_mul_lo_u32 v65, v13, v6
	v_add3_u32 v55, v65, v55, v64
	v_mad_u64_u32 v[64:65], s[0:1], v14, v6, v[8:9]
	v_mul_lo_u32 v66, v14, v7
	v_mul_lo_u32 v67, v15, v6
	v_add3_u32 v65, v67, v65, v66
	s_mov_b64 s[14:15], 0
	v_mov_b64_e32 v[66:67], v[6:7]
                                        ; implicit-def: $sgpr10_sgpr11
                                        ; implicit-def: $sgpr16_sgpr17
                                        ; implicit-def: $sgpr20_sgpr21
                                        ; implicit-def: $sgpr18_sgpr19
                                        ; implicit-def: $sgpr22_sgpr23
                                        ; implicit-def: $sgpr0_sgpr1
	s_branch .LBB10_99
.LBB10_98:                              ;   in Loop: Header=BB10_99 Depth=1
	s_or_b64 exec, exec, s[26:27]
	s_and_b64 s[26:27], exec, s[20:21]
	s_or_b64 s[14:15], s[26:27], s[14:15]
	s_andn2_b64 s[0:1], s[0:1], exec
	s_and_b64 s[26:27], s[22:23], exec
	s_or_b64 s[0:1], s[0:1], s[26:27]
	s_andn2_b64 s[16:17], s[16:17], exec
	s_and_b64 s[26:27], s[18:19], exec
	s_andn2_b64 s[10:11], s[10:11], exec
	s_and_b64 s[24:25], s[24:25], exec
	s_or_b64 s[16:17], s[16:17], s[26:27]
	s_or_b64 s[10:11], s[10:11], s[24:25]
	s_andn2_b64 exec, exec, s[14:15]
	s_cbranch_execz .LBB10_101
.LBB10_99:                              ; =>This Inner Loop Header: Depth=1
	flat_load_ubyte v68, v[64:65]
	flat_load_ubyte v69, v[54:55]
	s_andn2_b64 s[22:23], s[22:23], exec
	s_or_b64 s[18:19], s[18:19], exec
	s_or_b64 s[20:21], s[20:21], exec
	s_waitcnt vmcnt(0) lgkmcnt(0)
	v_cmp_le_u16_sdwa s[26:27], v68, v69 src0_sel:BYTE_0 src1_sel:BYTE_0
	v_cmp_lt_u16_sdwa s[24:25], v68, v69 src0_sel:BYTE_0 src1_sel:BYTE_0
	s_and_b64 s[26:27], s[26:27], s[0:1]
	v_cmp_eq_u16_sdwa s[28:29], v68, v69 src0_sel:BYTE_0 src1_sel:BYTE_0
	s_or_b64 s[24:25], s[24:25], s[26:27]
	s_and_saveexec_b64 s[26:27], s[28:29]
	s_cbranch_execz .LBB10_98
; %bb.100:                              ;   in Loop: Header=BB10_99 Depth=1
	v_lshl_add_u64 v[66:67], v[66:67], 0, -1
	v_cmp_eq_u64_e64 s[0:1], 0, v[66:67]
	s_andn2_b64 s[22:23], s[22:23], exec
	s_and_b64 s[28:29], s[24:25], exec
	s_andn2_b64 s[20:21], s[20:21], exec
	s_and_b64 s[0:1], s[0:1], exec
	v_lshl_add_u64 v[54:55], v[54:55], 0, 1
	v_lshl_add_u64 v[64:65], v[64:65], 0, 1
	s_or_b64 s[22:23], s[22:23], s[28:29]
	s_andn2_b64 s[18:19], s[18:19], exec
	s_or_b64 s[20:21], s[20:21], s[0:1]
                                        ; implicit-def: $sgpr0_sgpr1
	s_branch .LBB10_98
.LBB10_101:
	s_or_b64 exec, exec, s[14:15]
	s_and_saveexec_b64 s[0:1], s[16:17]
	s_xor_b64 s[0:1], exec, s[0:1]
; %bb.102:
	v_cndmask_b32_e64 v55, v13, v15, s[10:11]
	v_cndmask_b32_e64 v54, v12, v14, s[10:11]
	;; [unrolled: 1-line block ×4, first 2 shown]
	v_mov_b64_e32 v[12:13], v[54:55]
; %bb.103:
	s_or_b64 exec, exec, s[0:1]
	s_or_b64 exec, exec, s[6:7]
	s_and_saveexec_b64 s[6:7], vcc
	s_cbranch_execz .LBB10_17
.LBB10_104:
	v_mad_u64_u32 v[54:55], s[0:1], v0, v6, v[8:9]
	v_mul_lo_u32 v64, v0, v7
	v_mul_lo_u32 v65, v1, v6
	v_add3_u32 v55, v65, v55, v64
	v_mad_u64_u32 v[64:65], s[0:1], v2, v6, v[8:9]
	v_mul_lo_u32 v66, v2, v7
	v_mul_lo_u32 v67, v3, v6
	v_add3_u32 v65, v67, v65, v66
	s_mov_b64 s[14:15], 0
	v_mov_b64_e32 v[66:67], v[6:7]
                                        ; implicit-def: $sgpr10_sgpr11
                                        ; implicit-def: $sgpr16_sgpr17
                                        ; implicit-def: $sgpr20_sgpr21
                                        ; implicit-def: $sgpr18_sgpr19
                                        ; implicit-def: $sgpr22_sgpr23
                                        ; implicit-def: $sgpr0_sgpr1
	s_branch .LBB10_106
.LBB10_105:                             ;   in Loop: Header=BB10_106 Depth=1
	s_or_b64 exec, exec, s[26:27]
	s_and_b64 s[26:27], exec, s[20:21]
	s_or_b64 s[14:15], s[26:27], s[14:15]
	s_andn2_b64 s[0:1], s[0:1], exec
	s_and_b64 s[26:27], s[22:23], exec
	s_or_b64 s[0:1], s[0:1], s[26:27]
	s_andn2_b64 s[16:17], s[16:17], exec
	s_and_b64 s[26:27], s[18:19], exec
	s_andn2_b64 s[10:11], s[10:11], exec
	s_and_b64 s[24:25], s[24:25], exec
	s_or_b64 s[16:17], s[16:17], s[26:27]
	s_or_b64 s[10:11], s[10:11], s[24:25]
	s_andn2_b64 exec, exec, s[14:15]
	s_cbranch_execz .LBB10_108
.LBB10_106:                             ; =>This Inner Loop Header: Depth=1
	flat_load_ubyte v68, v[64:65]
	flat_load_ubyte v69, v[54:55]
	s_andn2_b64 s[22:23], s[22:23], exec
	s_or_b64 s[18:19], s[18:19], exec
	s_or_b64 s[20:21], s[20:21], exec
	s_waitcnt vmcnt(0) lgkmcnt(0)
	v_cmp_le_u16_sdwa s[26:27], v68, v69 src0_sel:BYTE_0 src1_sel:BYTE_0
	v_cmp_lt_u16_sdwa s[24:25], v68, v69 src0_sel:BYTE_0 src1_sel:BYTE_0
	s_and_b64 s[26:27], s[26:27], s[0:1]
	v_cmp_eq_u16_sdwa s[28:29], v68, v69 src0_sel:BYTE_0 src1_sel:BYTE_0
	s_or_b64 s[24:25], s[24:25], s[26:27]
	s_and_saveexec_b64 s[26:27], s[28:29]
	s_cbranch_execz .LBB10_105
; %bb.107:                              ;   in Loop: Header=BB10_106 Depth=1
	v_lshl_add_u64 v[66:67], v[66:67], 0, -1
	v_cmp_eq_u64_e64 s[0:1], 0, v[66:67]
	s_andn2_b64 s[22:23], s[22:23], exec
	s_and_b64 s[28:29], s[24:25], exec
	s_andn2_b64 s[20:21], s[20:21], exec
	s_and_b64 s[0:1], s[0:1], exec
	v_lshl_add_u64 v[54:55], v[54:55], 0, 1
	v_lshl_add_u64 v[64:65], v[64:65], 0, 1
	s_or_b64 s[22:23], s[22:23], s[28:29]
	s_andn2_b64 s[18:19], s[18:19], exec
	s_or_b64 s[20:21], s[20:21], s[0:1]
                                        ; implicit-def: $sgpr0_sgpr1
	s_branch .LBB10_105
.LBB10_108:
	s_or_b64 exec, exec, s[14:15]
	s_and_saveexec_b64 s[0:1], s[16:17]
	s_xor_b64 s[0:1], exec, s[0:1]
; %bb.109:
	v_cndmask_b32_e64 v55, v1, v3, s[10:11]
	v_cndmask_b32_e64 v54, v0, v2, s[10:11]
	;; [unrolled: 1-line block ×4, first 2 shown]
	v_mov_b64_e32 v[0:1], v[54:55]
; %bb.110:
	s_or_b64 exec, exec, s[0:1]
	s_or_b64 exec, exec, s[6:7]
	s_and_saveexec_b64 s[6:7], vcc
	s_cbranch_execz .LBB10_18
.LBB10_111:
	v_mad_u64_u32 v[54:55], s[0:1], v22, v6, v[8:9]
	v_mul_lo_u32 v64, v22, v7
	v_mul_lo_u32 v65, v23, v6
	v_add3_u32 v55, v65, v55, v64
	v_mad_u64_u32 v[64:65], s[0:1], v16, v6, v[8:9]
	v_mul_lo_u32 v66, v16, v7
	v_mul_lo_u32 v67, v17, v6
	v_add3_u32 v65, v67, v65, v66
	s_mov_b64 s[14:15], 0
	v_mov_b64_e32 v[66:67], v[6:7]
                                        ; implicit-def: $sgpr10_sgpr11
                                        ; implicit-def: $sgpr16_sgpr17
                                        ; implicit-def: $sgpr20_sgpr21
                                        ; implicit-def: $sgpr18_sgpr19
                                        ; implicit-def: $sgpr22_sgpr23
                                        ; implicit-def: $sgpr0_sgpr1
	s_branch .LBB10_113
.LBB10_112:                             ;   in Loop: Header=BB10_113 Depth=1
	s_or_b64 exec, exec, s[26:27]
	s_and_b64 s[26:27], exec, s[20:21]
	s_or_b64 s[14:15], s[26:27], s[14:15]
	s_andn2_b64 s[0:1], s[0:1], exec
	s_and_b64 s[26:27], s[22:23], exec
	s_or_b64 s[0:1], s[0:1], s[26:27]
	s_andn2_b64 s[16:17], s[16:17], exec
	s_and_b64 s[26:27], s[18:19], exec
	s_andn2_b64 s[10:11], s[10:11], exec
	s_and_b64 s[24:25], s[24:25], exec
	s_or_b64 s[16:17], s[16:17], s[26:27]
	s_or_b64 s[10:11], s[10:11], s[24:25]
	s_andn2_b64 exec, exec, s[14:15]
	s_cbranch_execz .LBB10_115
.LBB10_113:                             ; =>This Inner Loop Header: Depth=1
	flat_load_ubyte v68, v[64:65]
	flat_load_ubyte v69, v[54:55]
	s_andn2_b64 s[22:23], s[22:23], exec
	s_or_b64 s[18:19], s[18:19], exec
	s_or_b64 s[20:21], s[20:21], exec
	s_waitcnt vmcnt(0) lgkmcnt(0)
	v_cmp_le_u16_sdwa s[26:27], v68, v69 src0_sel:BYTE_0 src1_sel:BYTE_0
	v_cmp_lt_u16_sdwa s[24:25], v68, v69 src0_sel:BYTE_0 src1_sel:BYTE_0
	s_and_b64 s[26:27], s[26:27], s[0:1]
	v_cmp_eq_u16_sdwa s[28:29], v68, v69 src0_sel:BYTE_0 src1_sel:BYTE_0
	s_or_b64 s[24:25], s[24:25], s[26:27]
	s_and_saveexec_b64 s[26:27], s[28:29]
	s_cbranch_execz .LBB10_112
; %bb.114:                              ;   in Loop: Header=BB10_113 Depth=1
	v_lshl_add_u64 v[66:67], v[66:67], 0, -1
	v_cmp_eq_u64_e64 s[0:1], 0, v[66:67]
	s_andn2_b64 s[22:23], s[22:23], exec
	s_and_b64 s[28:29], s[24:25], exec
	s_andn2_b64 s[20:21], s[20:21], exec
	s_and_b64 s[0:1], s[0:1], exec
	v_lshl_add_u64 v[54:55], v[54:55], 0, 1
	v_lshl_add_u64 v[64:65], v[64:65], 0, 1
	s_or_b64 s[22:23], s[22:23], s[28:29]
	s_andn2_b64 s[18:19], s[18:19], exec
	s_or_b64 s[20:21], s[20:21], s[0:1]
                                        ; implicit-def: $sgpr0_sgpr1
	s_branch .LBB10_112
.LBB10_115:
	s_or_b64 exec, exec, s[14:15]
	s_and_saveexec_b64 s[0:1], s[16:17]
	s_xor_b64 s[0:1], exec, s[0:1]
; %bb.116:
	v_cndmask_b32_e64 v55, v23, v17, s[10:11]
	v_cndmask_b32_e64 v54, v22, v16, s[10:11]
	;; [unrolled: 1-line block ×4, first 2 shown]
	v_mov_b64_e32 v[22:23], v[54:55]
; %bb.117:
	s_or_b64 exec, exec, s[0:1]
	s_or_b64 exec, exec, s[6:7]
	s_and_saveexec_b64 s[6:7], vcc
	s_cbranch_execz .LBB10_19
.LBB10_118:
	v_mad_u64_u32 v[54:55], s[0:1], v18, v6, v[8:9]
	v_mul_lo_u32 v64, v18, v7
	v_mul_lo_u32 v65, v19, v6
	v_add3_u32 v55, v65, v55, v64
	v_mad_u64_u32 v[64:65], s[0:1], v12, v6, v[8:9]
	v_mul_lo_u32 v66, v12, v7
	v_mul_lo_u32 v67, v13, v6
	v_add3_u32 v65, v67, v65, v66
	s_mov_b64 s[14:15], 0
	v_mov_b64_e32 v[66:67], v[6:7]
                                        ; implicit-def: $sgpr10_sgpr11
                                        ; implicit-def: $sgpr16_sgpr17
                                        ; implicit-def: $sgpr20_sgpr21
                                        ; implicit-def: $sgpr18_sgpr19
                                        ; implicit-def: $sgpr22_sgpr23
                                        ; implicit-def: $sgpr0_sgpr1
	s_branch .LBB10_120
.LBB10_119:                             ;   in Loop: Header=BB10_120 Depth=1
	s_or_b64 exec, exec, s[26:27]
	s_and_b64 s[26:27], exec, s[20:21]
	s_or_b64 s[14:15], s[26:27], s[14:15]
	s_andn2_b64 s[0:1], s[0:1], exec
	s_and_b64 s[26:27], s[22:23], exec
	s_or_b64 s[0:1], s[0:1], s[26:27]
	s_andn2_b64 s[16:17], s[16:17], exec
	s_and_b64 s[26:27], s[18:19], exec
	s_andn2_b64 s[10:11], s[10:11], exec
	s_and_b64 s[24:25], s[24:25], exec
	s_or_b64 s[16:17], s[16:17], s[26:27]
	s_or_b64 s[10:11], s[10:11], s[24:25]
	s_andn2_b64 exec, exec, s[14:15]
	s_cbranch_execz .LBB10_122
.LBB10_120:                             ; =>This Inner Loop Header: Depth=1
	flat_load_ubyte v68, v[64:65]
	flat_load_ubyte v69, v[54:55]
	s_andn2_b64 s[22:23], s[22:23], exec
	s_or_b64 s[18:19], s[18:19], exec
	s_or_b64 s[20:21], s[20:21], exec
	s_waitcnt vmcnt(0) lgkmcnt(0)
	v_cmp_le_u16_sdwa s[26:27], v68, v69 src0_sel:BYTE_0 src1_sel:BYTE_0
	v_cmp_lt_u16_sdwa s[24:25], v68, v69 src0_sel:BYTE_0 src1_sel:BYTE_0
	s_and_b64 s[26:27], s[26:27], s[0:1]
	v_cmp_eq_u16_sdwa s[28:29], v68, v69 src0_sel:BYTE_0 src1_sel:BYTE_0
	s_or_b64 s[24:25], s[24:25], s[26:27]
	s_and_saveexec_b64 s[26:27], s[28:29]
	s_cbranch_execz .LBB10_119
; %bb.121:                              ;   in Loop: Header=BB10_120 Depth=1
	v_lshl_add_u64 v[66:67], v[66:67], 0, -1
	v_cmp_eq_u64_e64 s[0:1], 0, v[66:67]
	s_andn2_b64 s[22:23], s[22:23], exec
	s_and_b64 s[28:29], s[24:25], exec
	s_andn2_b64 s[20:21], s[20:21], exec
	s_and_b64 s[0:1], s[0:1], exec
	v_lshl_add_u64 v[54:55], v[54:55], 0, 1
	v_lshl_add_u64 v[64:65], v[64:65], 0, 1
	s_or_b64 s[22:23], s[22:23], s[28:29]
	s_andn2_b64 s[18:19], s[18:19], exec
	s_or_b64 s[20:21], s[20:21], s[0:1]
                                        ; implicit-def: $sgpr0_sgpr1
	s_branch .LBB10_119
.LBB10_122:
	s_or_b64 exec, exec, s[14:15]
	s_and_saveexec_b64 s[0:1], s[16:17]
	s_xor_b64 s[0:1], exec, s[0:1]
; %bb.123:
	v_cndmask_b32_e64 v55, v19, v13, s[10:11]
	v_cndmask_b32_e64 v54, v18, v12, s[10:11]
	;; [unrolled: 1-line block ×4, first 2 shown]
	v_mov_b64_e32 v[18:19], v[54:55]
; %bb.124:
	s_or_b64 exec, exec, s[0:1]
	s_or_b64 exec, exec, s[6:7]
	s_and_saveexec_b64 s[6:7], vcc
	s_cbranch_execz .LBB10_20
.LBB10_125:
	v_mad_u64_u32 v[54:55], s[0:1], v14, v6, v[8:9]
	v_mul_lo_u32 v64, v14, v7
	v_mul_lo_u32 v65, v15, v6
	v_add3_u32 v55, v65, v55, v64
	v_mad_u64_u32 v[64:65], s[0:1], v0, v6, v[8:9]
	v_mul_lo_u32 v66, v0, v7
	v_mul_lo_u32 v67, v1, v6
	v_add3_u32 v65, v67, v65, v66
	s_mov_b64 s[14:15], 0
	v_mov_b64_e32 v[66:67], v[6:7]
                                        ; implicit-def: $sgpr10_sgpr11
                                        ; implicit-def: $sgpr16_sgpr17
                                        ; implicit-def: $sgpr20_sgpr21
                                        ; implicit-def: $sgpr18_sgpr19
                                        ; implicit-def: $sgpr22_sgpr23
                                        ; implicit-def: $sgpr0_sgpr1
	s_branch .LBB10_127
.LBB10_126:                             ;   in Loop: Header=BB10_127 Depth=1
	s_or_b64 exec, exec, s[26:27]
	s_and_b64 s[26:27], exec, s[20:21]
	s_or_b64 s[14:15], s[26:27], s[14:15]
	s_andn2_b64 s[0:1], s[0:1], exec
	s_and_b64 s[26:27], s[22:23], exec
	s_or_b64 s[0:1], s[0:1], s[26:27]
	s_andn2_b64 s[16:17], s[16:17], exec
	s_and_b64 s[26:27], s[18:19], exec
	s_andn2_b64 s[10:11], s[10:11], exec
	s_and_b64 s[24:25], s[24:25], exec
	s_or_b64 s[16:17], s[16:17], s[26:27]
	s_or_b64 s[10:11], s[10:11], s[24:25]
	s_andn2_b64 exec, exec, s[14:15]
	s_cbranch_execz .LBB10_129
.LBB10_127:                             ; =>This Inner Loop Header: Depth=1
	flat_load_ubyte v68, v[64:65]
	flat_load_ubyte v69, v[54:55]
	s_andn2_b64 s[22:23], s[22:23], exec
	s_or_b64 s[18:19], s[18:19], exec
	s_or_b64 s[20:21], s[20:21], exec
	s_waitcnt vmcnt(0) lgkmcnt(0)
	v_cmp_le_u16_sdwa s[26:27], v68, v69 src0_sel:BYTE_0 src1_sel:BYTE_0
	v_cmp_lt_u16_sdwa s[24:25], v68, v69 src0_sel:BYTE_0 src1_sel:BYTE_0
	s_and_b64 s[26:27], s[26:27], s[0:1]
	v_cmp_eq_u16_sdwa s[28:29], v68, v69 src0_sel:BYTE_0 src1_sel:BYTE_0
	s_or_b64 s[24:25], s[24:25], s[26:27]
	s_and_saveexec_b64 s[26:27], s[28:29]
	s_cbranch_execz .LBB10_126
; %bb.128:                              ;   in Loop: Header=BB10_127 Depth=1
	v_lshl_add_u64 v[66:67], v[66:67], 0, -1
	v_cmp_eq_u64_e64 s[0:1], 0, v[66:67]
	s_andn2_b64 s[22:23], s[22:23], exec
	s_and_b64 s[28:29], s[24:25], exec
	s_andn2_b64 s[20:21], s[20:21], exec
	s_and_b64 s[0:1], s[0:1], exec
	v_lshl_add_u64 v[54:55], v[54:55], 0, 1
	v_lshl_add_u64 v[64:65], v[64:65], 0, 1
	s_or_b64 s[22:23], s[22:23], s[28:29]
	s_andn2_b64 s[18:19], s[18:19], exec
	s_or_b64 s[20:21], s[20:21], s[0:1]
                                        ; implicit-def: $sgpr0_sgpr1
	s_branch .LBB10_126
.LBB10_129:
	s_or_b64 exec, exec, s[14:15]
	s_and_saveexec_b64 s[0:1], s[16:17]
	s_xor_b64 s[0:1], exec, s[0:1]
; %bb.130:
	v_cndmask_b32_e64 v55, v15, v1, s[10:11]
	v_cndmask_b32_e64 v54, v14, v0, s[10:11]
	;; [unrolled: 1-line block ×4, first 2 shown]
	v_mov_b64_e32 v[14:15], v[54:55]
; %bb.131:
	s_or_b64 exec, exec, s[0:1]
	s_or_b64 exec, exec, s[6:7]
	s_and_saveexec_b64 s[6:7], vcc
	s_cbranch_execz .LBB10_21
.LBB10_132:
	v_mad_u64_u32 v[54:55], s[0:1], v20, v6, v[8:9]
	v_mul_lo_u32 v64, v20, v7
	v_mul_lo_u32 v65, v21, v6
	v_add3_u32 v55, v65, v55, v64
	v_mad_u64_u32 v[64:65], s[0:1], v22, v6, v[8:9]
	v_mul_lo_u32 v66, v22, v7
	v_mul_lo_u32 v67, v23, v6
	v_add3_u32 v65, v67, v65, v66
	s_mov_b64 s[14:15], 0
	v_mov_b64_e32 v[66:67], v[6:7]
                                        ; implicit-def: $sgpr10_sgpr11
                                        ; implicit-def: $sgpr16_sgpr17
                                        ; implicit-def: $sgpr20_sgpr21
                                        ; implicit-def: $sgpr18_sgpr19
                                        ; implicit-def: $sgpr22_sgpr23
                                        ; implicit-def: $sgpr0_sgpr1
	s_branch .LBB10_134
.LBB10_133:                             ;   in Loop: Header=BB10_134 Depth=1
	s_or_b64 exec, exec, s[26:27]
	s_and_b64 s[26:27], exec, s[20:21]
	s_or_b64 s[14:15], s[26:27], s[14:15]
	s_andn2_b64 s[0:1], s[0:1], exec
	s_and_b64 s[26:27], s[22:23], exec
	s_or_b64 s[0:1], s[0:1], s[26:27]
	s_andn2_b64 s[16:17], s[16:17], exec
	s_and_b64 s[26:27], s[18:19], exec
	s_andn2_b64 s[10:11], s[10:11], exec
	s_and_b64 s[24:25], s[24:25], exec
	s_or_b64 s[16:17], s[16:17], s[26:27]
	s_or_b64 s[10:11], s[10:11], s[24:25]
	s_andn2_b64 exec, exec, s[14:15]
	s_cbranch_execz .LBB10_136
.LBB10_134:                             ; =>This Inner Loop Header: Depth=1
	flat_load_ubyte v68, v[64:65]
	flat_load_ubyte v69, v[54:55]
	s_andn2_b64 s[22:23], s[22:23], exec
	s_or_b64 s[18:19], s[18:19], exec
	s_or_b64 s[20:21], s[20:21], exec
	s_waitcnt vmcnt(0) lgkmcnt(0)
	v_cmp_le_u16_sdwa s[26:27], v68, v69 src0_sel:BYTE_0 src1_sel:BYTE_0
	v_cmp_lt_u16_sdwa s[24:25], v68, v69 src0_sel:BYTE_0 src1_sel:BYTE_0
	s_and_b64 s[26:27], s[26:27], s[0:1]
	v_cmp_eq_u16_sdwa s[28:29], v68, v69 src0_sel:BYTE_0 src1_sel:BYTE_0
	s_or_b64 s[24:25], s[24:25], s[26:27]
	s_and_saveexec_b64 s[26:27], s[28:29]
	s_cbranch_execz .LBB10_133
; %bb.135:                              ;   in Loop: Header=BB10_134 Depth=1
	v_lshl_add_u64 v[66:67], v[66:67], 0, -1
	v_cmp_eq_u64_e64 s[0:1], 0, v[66:67]
	s_andn2_b64 s[22:23], s[22:23], exec
	s_and_b64 s[28:29], s[24:25], exec
	s_andn2_b64 s[20:21], s[20:21], exec
	s_and_b64 s[0:1], s[0:1], exec
	v_lshl_add_u64 v[54:55], v[54:55], 0, 1
	v_lshl_add_u64 v[64:65], v[64:65], 0, 1
	s_or_b64 s[22:23], s[22:23], s[28:29]
	s_andn2_b64 s[18:19], s[18:19], exec
	s_or_b64 s[20:21], s[20:21], s[0:1]
                                        ; implicit-def: $sgpr0_sgpr1
	s_branch .LBB10_133
.LBB10_136:
	s_or_b64 exec, exec, s[14:15]
	s_and_saveexec_b64 s[0:1], s[16:17]
	s_xor_b64 s[0:1], exec, s[0:1]
; %bb.137:
	v_cndmask_b32_e64 v55, v23, v21, s[10:11]
	v_cndmask_b32_e64 v54, v22, v20, s[10:11]
	;; [unrolled: 1-line block ×4, first 2 shown]
	v_mov_b64_e32 v[22:23], v[54:55]
; %bb.138:
	s_or_b64 exec, exec, s[0:1]
	s_or_b64 exec, exec, s[6:7]
	s_and_saveexec_b64 s[6:7], vcc
	s_cbranch_execz .LBB10_22
.LBB10_139:
	v_mad_u64_u32 v[54:55], s[0:1], v16, v6, v[8:9]
	v_mul_lo_u32 v64, v16, v7
	v_mul_lo_u32 v65, v17, v6
	v_add3_u32 v55, v65, v55, v64
	v_mad_u64_u32 v[64:65], s[0:1], v18, v6, v[8:9]
	v_mul_lo_u32 v66, v18, v7
	v_mul_lo_u32 v67, v19, v6
	v_add3_u32 v65, v67, v65, v66
	s_mov_b64 s[14:15], 0
	v_mov_b64_e32 v[66:67], v[6:7]
                                        ; implicit-def: $sgpr10_sgpr11
                                        ; implicit-def: $sgpr16_sgpr17
                                        ; implicit-def: $sgpr20_sgpr21
                                        ; implicit-def: $sgpr18_sgpr19
                                        ; implicit-def: $sgpr22_sgpr23
                                        ; implicit-def: $sgpr0_sgpr1
	s_branch .LBB10_141
.LBB10_140:                             ;   in Loop: Header=BB10_141 Depth=1
	s_or_b64 exec, exec, s[26:27]
	s_and_b64 s[26:27], exec, s[20:21]
	s_or_b64 s[14:15], s[26:27], s[14:15]
	s_andn2_b64 s[0:1], s[0:1], exec
	s_and_b64 s[26:27], s[22:23], exec
	s_or_b64 s[0:1], s[0:1], s[26:27]
	s_andn2_b64 s[16:17], s[16:17], exec
	s_and_b64 s[26:27], s[18:19], exec
	s_andn2_b64 s[10:11], s[10:11], exec
	s_and_b64 s[24:25], s[24:25], exec
	s_or_b64 s[16:17], s[16:17], s[26:27]
	s_or_b64 s[10:11], s[10:11], s[24:25]
	s_andn2_b64 exec, exec, s[14:15]
	s_cbranch_execz .LBB10_143
.LBB10_141:                             ; =>This Inner Loop Header: Depth=1
	flat_load_ubyte v68, v[64:65]
	flat_load_ubyte v69, v[54:55]
	s_andn2_b64 s[22:23], s[22:23], exec
	s_or_b64 s[18:19], s[18:19], exec
	s_or_b64 s[20:21], s[20:21], exec
	s_waitcnt vmcnt(0) lgkmcnt(0)
	v_cmp_le_u16_sdwa s[26:27], v68, v69 src0_sel:BYTE_0 src1_sel:BYTE_0
	v_cmp_lt_u16_sdwa s[24:25], v68, v69 src0_sel:BYTE_0 src1_sel:BYTE_0
	s_and_b64 s[26:27], s[26:27], s[0:1]
	v_cmp_eq_u16_sdwa s[28:29], v68, v69 src0_sel:BYTE_0 src1_sel:BYTE_0
	s_or_b64 s[24:25], s[24:25], s[26:27]
	s_and_saveexec_b64 s[26:27], s[28:29]
	s_cbranch_execz .LBB10_140
; %bb.142:                              ;   in Loop: Header=BB10_141 Depth=1
	v_lshl_add_u64 v[66:67], v[66:67], 0, -1
	v_cmp_eq_u64_e64 s[0:1], 0, v[66:67]
	s_andn2_b64 s[22:23], s[22:23], exec
	s_and_b64 s[28:29], s[24:25], exec
	s_andn2_b64 s[20:21], s[20:21], exec
	s_and_b64 s[0:1], s[0:1], exec
	v_lshl_add_u64 v[54:55], v[54:55], 0, 1
	v_lshl_add_u64 v[64:65], v[64:65], 0, 1
	s_or_b64 s[22:23], s[22:23], s[28:29]
	s_andn2_b64 s[18:19], s[18:19], exec
	s_or_b64 s[20:21], s[20:21], s[0:1]
                                        ; implicit-def: $sgpr0_sgpr1
	s_branch .LBB10_140
.LBB10_143:
	s_or_b64 exec, exec, s[14:15]
	s_and_saveexec_b64 s[0:1], s[16:17]
	s_xor_b64 s[0:1], exec, s[0:1]
; %bb.144:
	v_cndmask_b32_e64 v55, v17, v19, s[10:11]
	v_cndmask_b32_e64 v54, v16, v18, s[10:11]
	;; [unrolled: 1-line block ×4, first 2 shown]
	v_mov_b64_e32 v[16:17], v[54:55]
; %bb.145:
	s_or_b64 exec, exec, s[0:1]
	s_or_b64 exec, exec, s[6:7]
	s_and_saveexec_b64 s[6:7], vcc
	s_cbranch_execz .LBB10_23
.LBB10_146:
	v_mad_u64_u32 v[54:55], s[0:1], v12, v6, v[8:9]
	v_mul_lo_u32 v64, v12, v7
	v_mul_lo_u32 v65, v13, v6
	v_add3_u32 v55, v65, v55, v64
	v_mad_u64_u32 v[64:65], s[0:1], v14, v6, v[8:9]
	v_mul_lo_u32 v66, v14, v7
	v_mul_lo_u32 v67, v15, v6
	v_add3_u32 v65, v67, v65, v66
	s_mov_b64 s[14:15], 0
	v_mov_b64_e32 v[66:67], v[6:7]
                                        ; implicit-def: $sgpr10_sgpr11
                                        ; implicit-def: $sgpr16_sgpr17
                                        ; implicit-def: $sgpr20_sgpr21
                                        ; implicit-def: $sgpr18_sgpr19
                                        ; implicit-def: $sgpr22_sgpr23
                                        ; implicit-def: $sgpr0_sgpr1
	s_branch .LBB10_148
.LBB10_147:                             ;   in Loop: Header=BB10_148 Depth=1
	s_or_b64 exec, exec, s[26:27]
	s_and_b64 s[26:27], exec, s[20:21]
	s_or_b64 s[14:15], s[26:27], s[14:15]
	s_andn2_b64 s[0:1], s[0:1], exec
	s_and_b64 s[26:27], s[22:23], exec
	s_or_b64 s[0:1], s[0:1], s[26:27]
	s_andn2_b64 s[16:17], s[16:17], exec
	s_and_b64 s[26:27], s[18:19], exec
	s_andn2_b64 s[10:11], s[10:11], exec
	s_and_b64 s[24:25], s[24:25], exec
	s_or_b64 s[16:17], s[16:17], s[26:27]
	s_or_b64 s[10:11], s[10:11], s[24:25]
	s_andn2_b64 exec, exec, s[14:15]
	s_cbranch_execz .LBB10_150
.LBB10_148:                             ; =>This Inner Loop Header: Depth=1
	flat_load_ubyte v68, v[64:65]
	flat_load_ubyte v69, v[54:55]
	s_andn2_b64 s[22:23], s[22:23], exec
	s_or_b64 s[18:19], s[18:19], exec
	s_or_b64 s[20:21], s[20:21], exec
	s_waitcnt vmcnt(0) lgkmcnt(0)
	v_cmp_le_u16_sdwa s[26:27], v68, v69 src0_sel:BYTE_0 src1_sel:BYTE_0
	v_cmp_lt_u16_sdwa s[24:25], v68, v69 src0_sel:BYTE_0 src1_sel:BYTE_0
	s_and_b64 s[26:27], s[26:27], s[0:1]
	v_cmp_eq_u16_sdwa s[28:29], v68, v69 src0_sel:BYTE_0 src1_sel:BYTE_0
	s_or_b64 s[24:25], s[24:25], s[26:27]
	s_and_saveexec_b64 s[26:27], s[28:29]
	s_cbranch_execz .LBB10_147
; %bb.149:                              ;   in Loop: Header=BB10_148 Depth=1
	v_lshl_add_u64 v[66:67], v[66:67], 0, -1
	v_cmp_eq_u64_e64 s[0:1], 0, v[66:67]
	s_andn2_b64 s[22:23], s[22:23], exec
	s_and_b64 s[28:29], s[24:25], exec
	s_andn2_b64 s[20:21], s[20:21], exec
	s_and_b64 s[0:1], s[0:1], exec
	v_lshl_add_u64 v[54:55], v[54:55], 0, 1
	v_lshl_add_u64 v[64:65], v[64:65], 0, 1
	s_or_b64 s[22:23], s[22:23], s[28:29]
	s_andn2_b64 s[18:19], s[18:19], exec
	s_or_b64 s[20:21], s[20:21], s[0:1]
                                        ; implicit-def: $sgpr0_sgpr1
	s_branch .LBB10_147
.LBB10_150:
	s_or_b64 exec, exec, s[14:15]
	s_and_saveexec_b64 s[0:1], s[16:17]
	s_xor_b64 s[0:1], exec, s[0:1]
; %bb.151:
	v_cndmask_b32_e64 v55, v13, v15, s[10:11]
	v_cndmask_b32_e64 v54, v12, v14, s[10:11]
	;; [unrolled: 1-line block ×4, first 2 shown]
	v_mov_b64_e32 v[12:13], v[54:55]
; %bb.152:
	s_or_b64 exec, exec, s[0:1]
	s_or_b64 exec, exec, s[6:7]
	s_and_saveexec_b64 s[6:7], vcc
	s_cbranch_execz .LBB10_24
.LBB10_153:
	v_mad_u64_u32 v[54:55], s[0:1], v0, v6, v[8:9]
	v_mul_lo_u32 v64, v0, v7
	v_mul_lo_u32 v65, v1, v6
	v_add3_u32 v55, v65, v55, v64
	v_mad_u64_u32 v[64:65], s[0:1], v2, v6, v[8:9]
	v_mul_lo_u32 v66, v2, v7
	v_mul_lo_u32 v67, v3, v6
	v_add3_u32 v65, v67, v65, v66
	s_mov_b64 s[14:15], 0
	v_mov_b64_e32 v[66:67], v[6:7]
                                        ; implicit-def: $sgpr10_sgpr11
                                        ; implicit-def: $sgpr16_sgpr17
                                        ; implicit-def: $sgpr20_sgpr21
                                        ; implicit-def: $sgpr18_sgpr19
                                        ; implicit-def: $sgpr22_sgpr23
                                        ; implicit-def: $sgpr0_sgpr1
	s_branch .LBB10_155
.LBB10_154:                             ;   in Loop: Header=BB10_155 Depth=1
	s_or_b64 exec, exec, s[26:27]
	s_and_b64 s[26:27], exec, s[20:21]
	s_or_b64 s[14:15], s[26:27], s[14:15]
	s_andn2_b64 s[0:1], s[0:1], exec
	s_and_b64 s[26:27], s[22:23], exec
	s_or_b64 s[0:1], s[0:1], s[26:27]
	s_andn2_b64 s[16:17], s[16:17], exec
	s_and_b64 s[26:27], s[18:19], exec
	s_andn2_b64 s[10:11], s[10:11], exec
	s_and_b64 s[24:25], s[24:25], exec
	s_or_b64 s[16:17], s[16:17], s[26:27]
	s_or_b64 s[10:11], s[10:11], s[24:25]
	s_andn2_b64 exec, exec, s[14:15]
	s_cbranch_execz .LBB10_157
.LBB10_155:                             ; =>This Inner Loop Header: Depth=1
	flat_load_ubyte v68, v[64:65]
	flat_load_ubyte v69, v[54:55]
	s_andn2_b64 s[22:23], s[22:23], exec
	s_or_b64 s[18:19], s[18:19], exec
	s_or_b64 s[20:21], s[20:21], exec
	s_waitcnt vmcnt(0) lgkmcnt(0)
	v_cmp_le_u16_sdwa s[26:27], v68, v69 src0_sel:BYTE_0 src1_sel:BYTE_0
	v_cmp_lt_u16_sdwa s[24:25], v68, v69 src0_sel:BYTE_0 src1_sel:BYTE_0
	s_and_b64 s[26:27], s[26:27], s[0:1]
	v_cmp_eq_u16_sdwa s[28:29], v68, v69 src0_sel:BYTE_0 src1_sel:BYTE_0
	s_or_b64 s[24:25], s[24:25], s[26:27]
	s_and_saveexec_b64 s[26:27], s[28:29]
	s_cbranch_execz .LBB10_154
; %bb.156:                              ;   in Loop: Header=BB10_155 Depth=1
	v_lshl_add_u64 v[66:67], v[66:67], 0, -1
	v_cmp_eq_u64_e64 s[0:1], 0, v[66:67]
	s_andn2_b64 s[22:23], s[22:23], exec
	s_and_b64 s[28:29], s[24:25], exec
	s_andn2_b64 s[20:21], s[20:21], exec
	s_and_b64 s[0:1], s[0:1], exec
	v_lshl_add_u64 v[54:55], v[54:55], 0, 1
	v_lshl_add_u64 v[64:65], v[64:65], 0, 1
	s_or_b64 s[22:23], s[22:23], s[28:29]
	s_andn2_b64 s[18:19], s[18:19], exec
	s_or_b64 s[20:21], s[20:21], s[0:1]
                                        ; implicit-def: $sgpr0_sgpr1
	s_branch .LBB10_154
.LBB10_157:
	s_or_b64 exec, exec, s[14:15]
	s_and_saveexec_b64 s[0:1], s[16:17]
	s_xor_b64 s[0:1], exec, s[0:1]
; %bb.158:
	v_cndmask_b32_e64 v55, v1, v3, s[10:11]
	v_cndmask_b32_e64 v54, v0, v2, s[10:11]
	;; [unrolled: 1-line block ×4, first 2 shown]
	v_mov_b64_e32 v[0:1], v[54:55]
; %bb.159:
	s_or_b64 exec, exec, s[0:1]
	s_or_b64 exec, exec, s[6:7]
	s_and_saveexec_b64 s[6:7], vcc
	s_cbranch_execz .LBB10_25
.LBB10_160:
	v_mad_u64_u32 v[54:55], s[0:1], v22, v6, v[8:9]
	v_mul_lo_u32 v64, v22, v7
	v_mul_lo_u32 v65, v23, v6
	v_add3_u32 v55, v65, v55, v64
	v_mad_u64_u32 v[64:65], s[0:1], v16, v6, v[8:9]
	v_mul_lo_u32 v66, v16, v7
	v_mul_lo_u32 v67, v17, v6
	v_add3_u32 v65, v67, v65, v66
	s_mov_b64 s[14:15], 0
	v_mov_b64_e32 v[66:67], v[6:7]
                                        ; implicit-def: $sgpr10_sgpr11
                                        ; implicit-def: $sgpr16_sgpr17
                                        ; implicit-def: $sgpr20_sgpr21
                                        ; implicit-def: $sgpr18_sgpr19
                                        ; implicit-def: $sgpr22_sgpr23
                                        ; implicit-def: $sgpr0_sgpr1
	s_branch .LBB10_162
.LBB10_161:                             ;   in Loop: Header=BB10_162 Depth=1
	s_or_b64 exec, exec, s[26:27]
	s_and_b64 s[26:27], exec, s[20:21]
	s_or_b64 s[14:15], s[26:27], s[14:15]
	s_andn2_b64 s[0:1], s[0:1], exec
	s_and_b64 s[26:27], s[22:23], exec
	s_or_b64 s[0:1], s[0:1], s[26:27]
	s_andn2_b64 s[16:17], s[16:17], exec
	s_and_b64 s[26:27], s[18:19], exec
	s_andn2_b64 s[10:11], s[10:11], exec
	s_and_b64 s[24:25], s[24:25], exec
	s_or_b64 s[16:17], s[16:17], s[26:27]
	s_or_b64 s[10:11], s[10:11], s[24:25]
	s_andn2_b64 exec, exec, s[14:15]
	s_cbranch_execz .LBB10_164
.LBB10_162:                             ; =>This Inner Loop Header: Depth=1
	flat_load_ubyte v68, v[64:65]
	flat_load_ubyte v69, v[54:55]
	s_andn2_b64 s[22:23], s[22:23], exec
	s_or_b64 s[18:19], s[18:19], exec
	s_or_b64 s[20:21], s[20:21], exec
	s_waitcnt vmcnt(0) lgkmcnt(0)
	v_cmp_le_u16_sdwa s[26:27], v68, v69 src0_sel:BYTE_0 src1_sel:BYTE_0
	v_cmp_lt_u16_sdwa s[24:25], v68, v69 src0_sel:BYTE_0 src1_sel:BYTE_0
	s_and_b64 s[26:27], s[26:27], s[0:1]
	v_cmp_eq_u16_sdwa s[28:29], v68, v69 src0_sel:BYTE_0 src1_sel:BYTE_0
	s_or_b64 s[24:25], s[24:25], s[26:27]
	s_and_saveexec_b64 s[26:27], s[28:29]
	s_cbranch_execz .LBB10_161
; %bb.163:                              ;   in Loop: Header=BB10_162 Depth=1
	v_lshl_add_u64 v[66:67], v[66:67], 0, -1
	v_cmp_eq_u64_e64 s[0:1], 0, v[66:67]
	s_andn2_b64 s[22:23], s[22:23], exec
	s_and_b64 s[28:29], s[24:25], exec
	s_andn2_b64 s[20:21], s[20:21], exec
	s_and_b64 s[0:1], s[0:1], exec
	v_lshl_add_u64 v[54:55], v[54:55], 0, 1
	v_lshl_add_u64 v[64:65], v[64:65], 0, 1
	s_or_b64 s[22:23], s[22:23], s[28:29]
	s_andn2_b64 s[18:19], s[18:19], exec
	s_or_b64 s[20:21], s[20:21], s[0:1]
                                        ; implicit-def: $sgpr0_sgpr1
	s_branch .LBB10_161
.LBB10_164:
	s_or_b64 exec, exec, s[14:15]
	s_and_saveexec_b64 s[0:1], s[16:17]
	s_xor_b64 s[0:1], exec, s[0:1]
; %bb.165:
	v_cndmask_b32_e64 v55, v23, v17, s[10:11]
	v_cndmask_b32_e64 v54, v22, v16, s[10:11]
	;; [unrolled: 1-line block ×4, first 2 shown]
	v_mov_b64_e32 v[22:23], v[54:55]
; %bb.166:
	s_or_b64 exec, exec, s[0:1]
	s_or_b64 exec, exec, s[6:7]
	s_and_saveexec_b64 s[6:7], vcc
	s_cbranch_execz .LBB10_26
.LBB10_167:
	v_mad_u64_u32 v[54:55], s[0:1], v18, v6, v[8:9]
	v_mul_lo_u32 v64, v18, v7
	v_mul_lo_u32 v65, v19, v6
	v_add3_u32 v55, v65, v55, v64
	v_mad_u64_u32 v[64:65], s[0:1], v12, v6, v[8:9]
	v_mul_lo_u32 v66, v12, v7
	v_mul_lo_u32 v67, v13, v6
	v_add3_u32 v65, v67, v65, v66
	s_mov_b64 s[14:15], 0
	v_mov_b64_e32 v[66:67], v[6:7]
                                        ; implicit-def: $sgpr10_sgpr11
                                        ; implicit-def: $sgpr16_sgpr17
                                        ; implicit-def: $sgpr20_sgpr21
                                        ; implicit-def: $sgpr18_sgpr19
                                        ; implicit-def: $sgpr22_sgpr23
                                        ; implicit-def: $sgpr0_sgpr1
	s_branch .LBB10_169
.LBB10_168:                             ;   in Loop: Header=BB10_169 Depth=1
	s_or_b64 exec, exec, s[26:27]
	s_and_b64 s[26:27], exec, s[20:21]
	s_or_b64 s[14:15], s[26:27], s[14:15]
	s_andn2_b64 s[0:1], s[0:1], exec
	s_and_b64 s[26:27], s[22:23], exec
	s_or_b64 s[0:1], s[0:1], s[26:27]
	s_andn2_b64 s[16:17], s[16:17], exec
	s_and_b64 s[26:27], s[18:19], exec
	s_andn2_b64 s[10:11], s[10:11], exec
	s_and_b64 s[24:25], s[24:25], exec
	s_or_b64 s[16:17], s[16:17], s[26:27]
	s_or_b64 s[10:11], s[10:11], s[24:25]
	s_andn2_b64 exec, exec, s[14:15]
	s_cbranch_execz .LBB10_171
.LBB10_169:                             ; =>This Inner Loop Header: Depth=1
	flat_load_ubyte v68, v[64:65]
	flat_load_ubyte v69, v[54:55]
	s_andn2_b64 s[22:23], s[22:23], exec
	s_or_b64 s[18:19], s[18:19], exec
	s_or_b64 s[20:21], s[20:21], exec
	s_waitcnt vmcnt(0) lgkmcnt(0)
	v_cmp_le_u16_sdwa s[26:27], v68, v69 src0_sel:BYTE_0 src1_sel:BYTE_0
	v_cmp_lt_u16_sdwa s[24:25], v68, v69 src0_sel:BYTE_0 src1_sel:BYTE_0
	s_and_b64 s[26:27], s[26:27], s[0:1]
	v_cmp_eq_u16_sdwa s[28:29], v68, v69 src0_sel:BYTE_0 src1_sel:BYTE_0
	s_or_b64 s[24:25], s[24:25], s[26:27]
	s_and_saveexec_b64 s[26:27], s[28:29]
	s_cbranch_execz .LBB10_168
; %bb.170:                              ;   in Loop: Header=BB10_169 Depth=1
	v_lshl_add_u64 v[66:67], v[66:67], 0, -1
	v_cmp_eq_u64_e64 s[0:1], 0, v[66:67]
	s_andn2_b64 s[22:23], s[22:23], exec
	s_and_b64 s[28:29], s[24:25], exec
	s_andn2_b64 s[20:21], s[20:21], exec
	s_and_b64 s[0:1], s[0:1], exec
	v_lshl_add_u64 v[54:55], v[54:55], 0, 1
	v_lshl_add_u64 v[64:65], v[64:65], 0, 1
	s_or_b64 s[22:23], s[22:23], s[28:29]
	s_andn2_b64 s[18:19], s[18:19], exec
	s_or_b64 s[20:21], s[20:21], s[0:1]
                                        ; implicit-def: $sgpr0_sgpr1
	s_branch .LBB10_168
.LBB10_171:
	s_or_b64 exec, exec, s[14:15]
	s_and_saveexec_b64 s[0:1], s[16:17]
	s_xor_b64 s[0:1], exec, s[0:1]
; %bb.172:
	v_cndmask_b32_e64 v55, v19, v13, s[10:11]
	v_cndmask_b32_e64 v54, v18, v12, s[10:11]
	;; [unrolled: 1-line block ×4, first 2 shown]
	v_mov_b64_e32 v[18:19], v[54:55]
; %bb.173:
	s_or_b64 exec, exec, s[0:1]
	s_or_b64 exec, exec, s[6:7]
	s_and_saveexec_b64 s[6:7], vcc
	s_cbranch_execz .LBB10_27
.LBB10_174:
	v_mad_u64_u32 v[54:55], s[0:1], v14, v6, v[8:9]
	v_mul_lo_u32 v64, v14, v7
	v_mul_lo_u32 v65, v15, v6
	v_add3_u32 v55, v65, v55, v64
	v_mad_u64_u32 v[64:65], s[0:1], v0, v6, v[8:9]
	v_mul_lo_u32 v66, v0, v7
	v_mul_lo_u32 v67, v1, v6
	v_add3_u32 v65, v67, v65, v66
	s_mov_b64 s[14:15], 0
	v_mov_b64_e32 v[66:67], v[6:7]
                                        ; implicit-def: $sgpr10_sgpr11
                                        ; implicit-def: $sgpr16_sgpr17
                                        ; implicit-def: $sgpr20_sgpr21
                                        ; implicit-def: $sgpr18_sgpr19
                                        ; implicit-def: $sgpr22_sgpr23
                                        ; implicit-def: $sgpr0_sgpr1
	s_branch .LBB10_176
.LBB10_175:                             ;   in Loop: Header=BB10_176 Depth=1
	s_or_b64 exec, exec, s[26:27]
	s_and_b64 s[26:27], exec, s[20:21]
	s_or_b64 s[14:15], s[26:27], s[14:15]
	s_andn2_b64 s[0:1], s[0:1], exec
	s_and_b64 s[26:27], s[22:23], exec
	s_or_b64 s[0:1], s[0:1], s[26:27]
	s_andn2_b64 s[16:17], s[16:17], exec
	s_and_b64 s[26:27], s[18:19], exec
	s_andn2_b64 s[10:11], s[10:11], exec
	s_and_b64 s[24:25], s[24:25], exec
	s_or_b64 s[16:17], s[16:17], s[26:27]
	s_or_b64 s[10:11], s[10:11], s[24:25]
	s_andn2_b64 exec, exec, s[14:15]
	s_cbranch_execz .LBB10_178
.LBB10_176:                             ; =>This Inner Loop Header: Depth=1
	flat_load_ubyte v68, v[64:65]
	flat_load_ubyte v69, v[54:55]
	s_andn2_b64 s[22:23], s[22:23], exec
	s_or_b64 s[18:19], s[18:19], exec
	s_or_b64 s[20:21], s[20:21], exec
	s_waitcnt vmcnt(0) lgkmcnt(0)
	v_cmp_le_u16_sdwa s[26:27], v68, v69 src0_sel:BYTE_0 src1_sel:BYTE_0
	v_cmp_lt_u16_sdwa s[24:25], v68, v69 src0_sel:BYTE_0 src1_sel:BYTE_0
	s_and_b64 s[26:27], s[26:27], s[0:1]
	v_cmp_eq_u16_sdwa s[28:29], v68, v69 src0_sel:BYTE_0 src1_sel:BYTE_0
	s_or_b64 s[24:25], s[24:25], s[26:27]
	s_and_saveexec_b64 s[26:27], s[28:29]
	s_cbranch_execz .LBB10_175
; %bb.177:                              ;   in Loop: Header=BB10_176 Depth=1
	v_lshl_add_u64 v[66:67], v[66:67], 0, -1
	v_cmp_eq_u64_e64 s[0:1], 0, v[66:67]
	s_andn2_b64 s[22:23], s[22:23], exec
	s_and_b64 s[28:29], s[24:25], exec
	s_andn2_b64 s[20:21], s[20:21], exec
	s_and_b64 s[0:1], s[0:1], exec
	v_lshl_add_u64 v[54:55], v[54:55], 0, 1
	v_lshl_add_u64 v[64:65], v[64:65], 0, 1
	s_or_b64 s[22:23], s[22:23], s[28:29]
	s_andn2_b64 s[18:19], s[18:19], exec
	s_or_b64 s[20:21], s[20:21], s[0:1]
                                        ; implicit-def: $sgpr0_sgpr1
	s_branch .LBB10_175
.LBB10_178:
	s_or_b64 exec, exec, s[14:15]
	s_and_saveexec_b64 s[0:1], s[16:17]
	s_xor_b64 s[0:1], exec, s[0:1]
; %bb.179:
	v_cndmask_b32_e64 v55, v15, v1, s[10:11]
	v_cndmask_b32_e64 v54, v14, v0, s[10:11]
	;; [unrolled: 1-line block ×4, first 2 shown]
	v_mov_b64_e32 v[14:15], v[54:55]
; %bb.180:
	s_or_b64 exec, exec, s[0:1]
	s_or_b64 exec, exec, s[6:7]
	s_and_saveexec_b64 s[6:7], vcc
	s_cbranch_execz .LBB10_28
.LBB10_181:
	v_mad_u64_u32 v[54:55], s[0:1], v20, v6, v[8:9]
	v_mul_lo_u32 v64, v20, v7
	v_mul_lo_u32 v65, v21, v6
	v_add3_u32 v55, v65, v55, v64
	v_mad_u64_u32 v[64:65], s[0:1], v22, v6, v[8:9]
	v_mul_lo_u32 v66, v22, v7
	v_mul_lo_u32 v67, v23, v6
	v_add3_u32 v65, v67, v65, v66
	s_mov_b64 s[14:15], 0
	v_mov_b64_e32 v[66:67], v[6:7]
                                        ; implicit-def: $sgpr10_sgpr11
                                        ; implicit-def: $sgpr16_sgpr17
                                        ; implicit-def: $sgpr20_sgpr21
                                        ; implicit-def: $sgpr18_sgpr19
                                        ; implicit-def: $sgpr22_sgpr23
                                        ; implicit-def: $sgpr0_sgpr1
	s_branch .LBB10_183
.LBB10_182:                             ;   in Loop: Header=BB10_183 Depth=1
	s_or_b64 exec, exec, s[26:27]
	s_and_b64 s[26:27], exec, s[20:21]
	s_or_b64 s[14:15], s[26:27], s[14:15]
	s_andn2_b64 s[0:1], s[0:1], exec
	s_and_b64 s[26:27], s[22:23], exec
	s_or_b64 s[0:1], s[0:1], s[26:27]
	s_andn2_b64 s[16:17], s[16:17], exec
	s_and_b64 s[26:27], s[18:19], exec
	s_andn2_b64 s[10:11], s[10:11], exec
	s_and_b64 s[24:25], s[24:25], exec
	s_or_b64 s[16:17], s[16:17], s[26:27]
	s_or_b64 s[10:11], s[10:11], s[24:25]
	s_andn2_b64 exec, exec, s[14:15]
	s_cbranch_execz .LBB10_185
.LBB10_183:                             ; =>This Inner Loop Header: Depth=1
	flat_load_ubyte v68, v[64:65]
	flat_load_ubyte v69, v[54:55]
	s_andn2_b64 s[22:23], s[22:23], exec
	s_or_b64 s[18:19], s[18:19], exec
	s_or_b64 s[20:21], s[20:21], exec
	s_waitcnt vmcnt(0) lgkmcnt(0)
	v_cmp_le_u16_sdwa s[26:27], v68, v69 src0_sel:BYTE_0 src1_sel:BYTE_0
	v_cmp_lt_u16_sdwa s[24:25], v68, v69 src0_sel:BYTE_0 src1_sel:BYTE_0
	s_and_b64 s[26:27], s[26:27], s[0:1]
	v_cmp_eq_u16_sdwa s[28:29], v68, v69 src0_sel:BYTE_0 src1_sel:BYTE_0
	s_or_b64 s[24:25], s[24:25], s[26:27]
	s_and_saveexec_b64 s[26:27], s[28:29]
	s_cbranch_execz .LBB10_182
; %bb.184:                              ;   in Loop: Header=BB10_183 Depth=1
	v_lshl_add_u64 v[66:67], v[66:67], 0, -1
	v_cmp_eq_u64_e64 s[0:1], 0, v[66:67]
	s_andn2_b64 s[22:23], s[22:23], exec
	s_and_b64 s[28:29], s[24:25], exec
	s_andn2_b64 s[20:21], s[20:21], exec
	s_and_b64 s[0:1], s[0:1], exec
	v_lshl_add_u64 v[54:55], v[54:55], 0, 1
	v_lshl_add_u64 v[64:65], v[64:65], 0, 1
	s_or_b64 s[22:23], s[22:23], s[28:29]
	s_andn2_b64 s[18:19], s[18:19], exec
	s_or_b64 s[20:21], s[20:21], s[0:1]
                                        ; implicit-def: $sgpr0_sgpr1
	s_branch .LBB10_182
.LBB10_185:
	s_or_b64 exec, exec, s[14:15]
	s_and_saveexec_b64 s[0:1], s[16:17]
	s_xor_b64 s[0:1], exec, s[0:1]
; %bb.186:
	v_cndmask_b32_e64 v55, v23, v21, s[10:11]
	v_cndmask_b32_e64 v54, v22, v20, s[10:11]
	;; [unrolled: 1-line block ×4, first 2 shown]
	v_mov_b64_e32 v[22:23], v[54:55]
; %bb.187:
	s_or_b64 exec, exec, s[0:1]
	s_or_b64 exec, exec, s[6:7]
	s_and_saveexec_b64 s[6:7], vcc
	s_cbranch_execz .LBB10_29
.LBB10_188:
	v_mad_u64_u32 v[54:55], s[0:1], v16, v6, v[8:9]
	v_mul_lo_u32 v64, v16, v7
	v_mul_lo_u32 v65, v17, v6
	v_add3_u32 v55, v65, v55, v64
	v_mad_u64_u32 v[64:65], s[0:1], v18, v6, v[8:9]
	v_mul_lo_u32 v66, v18, v7
	v_mul_lo_u32 v67, v19, v6
	v_add3_u32 v65, v67, v65, v66
	s_mov_b64 s[14:15], 0
	v_mov_b64_e32 v[66:67], v[6:7]
                                        ; implicit-def: $sgpr10_sgpr11
                                        ; implicit-def: $sgpr16_sgpr17
                                        ; implicit-def: $sgpr20_sgpr21
                                        ; implicit-def: $sgpr18_sgpr19
                                        ; implicit-def: $sgpr22_sgpr23
                                        ; implicit-def: $sgpr0_sgpr1
	s_branch .LBB10_190
.LBB10_189:                             ;   in Loop: Header=BB10_190 Depth=1
	s_or_b64 exec, exec, s[26:27]
	s_and_b64 s[26:27], exec, s[20:21]
	s_or_b64 s[14:15], s[26:27], s[14:15]
	s_andn2_b64 s[0:1], s[0:1], exec
	s_and_b64 s[26:27], s[22:23], exec
	s_or_b64 s[0:1], s[0:1], s[26:27]
	s_andn2_b64 s[16:17], s[16:17], exec
	s_and_b64 s[26:27], s[18:19], exec
	s_andn2_b64 s[10:11], s[10:11], exec
	s_and_b64 s[24:25], s[24:25], exec
	s_or_b64 s[16:17], s[16:17], s[26:27]
	s_or_b64 s[10:11], s[10:11], s[24:25]
	s_andn2_b64 exec, exec, s[14:15]
	s_cbranch_execz .LBB10_192
.LBB10_190:                             ; =>This Inner Loop Header: Depth=1
	flat_load_ubyte v68, v[64:65]
	flat_load_ubyte v69, v[54:55]
	s_andn2_b64 s[22:23], s[22:23], exec
	s_or_b64 s[18:19], s[18:19], exec
	s_or_b64 s[20:21], s[20:21], exec
	s_waitcnt vmcnt(0) lgkmcnt(0)
	v_cmp_le_u16_sdwa s[26:27], v68, v69 src0_sel:BYTE_0 src1_sel:BYTE_0
	v_cmp_lt_u16_sdwa s[24:25], v68, v69 src0_sel:BYTE_0 src1_sel:BYTE_0
	s_and_b64 s[26:27], s[26:27], s[0:1]
	v_cmp_eq_u16_sdwa s[28:29], v68, v69 src0_sel:BYTE_0 src1_sel:BYTE_0
	s_or_b64 s[24:25], s[24:25], s[26:27]
	s_and_saveexec_b64 s[26:27], s[28:29]
	s_cbranch_execz .LBB10_189
; %bb.191:                              ;   in Loop: Header=BB10_190 Depth=1
	v_lshl_add_u64 v[66:67], v[66:67], 0, -1
	v_cmp_eq_u64_e64 s[0:1], 0, v[66:67]
	s_andn2_b64 s[22:23], s[22:23], exec
	s_and_b64 s[28:29], s[24:25], exec
	s_andn2_b64 s[20:21], s[20:21], exec
	s_and_b64 s[0:1], s[0:1], exec
	v_lshl_add_u64 v[54:55], v[54:55], 0, 1
	v_lshl_add_u64 v[64:65], v[64:65], 0, 1
	s_or_b64 s[22:23], s[22:23], s[28:29]
	s_andn2_b64 s[18:19], s[18:19], exec
	s_or_b64 s[20:21], s[20:21], s[0:1]
                                        ; implicit-def: $sgpr0_sgpr1
	s_branch .LBB10_189
.LBB10_192:
	s_or_b64 exec, exec, s[14:15]
	s_and_saveexec_b64 s[0:1], s[16:17]
	s_xor_b64 s[0:1], exec, s[0:1]
; %bb.193:
	v_cndmask_b32_e64 v55, v17, v19, s[10:11]
	v_cndmask_b32_e64 v54, v16, v18, s[10:11]
	;; [unrolled: 1-line block ×4, first 2 shown]
	v_mov_b64_e32 v[16:17], v[54:55]
; %bb.194:
	s_or_b64 exec, exec, s[0:1]
	s_or_b64 exec, exec, s[6:7]
	s_and_saveexec_b64 s[6:7], vcc
	s_cbranch_execz .LBB10_30
.LBB10_195:
	v_mad_u64_u32 v[54:55], s[0:1], v12, v6, v[8:9]
	v_mul_lo_u32 v64, v12, v7
	v_mul_lo_u32 v65, v13, v6
	v_add3_u32 v55, v65, v55, v64
	v_mad_u64_u32 v[64:65], s[0:1], v14, v6, v[8:9]
	v_mul_lo_u32 v66, v14, v7
	v_mul_lo_u32 v67, v15, v6
	v_add3_u32 v65, v67, v65, v66
	s_mov_b64 s[14:15], 0
	v_mov_b64_e32 v[66:67], v[6:7]
                                        ; implicit-def: $sgpr10_sgpr11
                                        ; implicit-def: $sgpr16_sgpr17
                                        ; implicit-def: $sgpr20_sgpr21
                                        ; implicit-def: $sgpr18_sgpr19
                                        ; implicit-def: $sgpr22_sgpr23
                                        ; implicit-def: $sgpr0_sgpr1
	s_branch .LBB10_197
.LBB10_196:                             ;   in Loop: Header=BB10_197 Depth=1
	s_or_b64 exec, exec, s[26:27]
	s_and_b64 s[26:27], exec, s[20:21]
	s_or_b64 s[14:15], s[26:27], s[14:15]
	s_andn2_b64 s[0:1], s[0:1], exec
	s_and_b64 s[26:27], s[22:23], exec
	s_or_b64 s[0:1], s[0:1], s[26:27]
	s_andn2_b64 s[16:17], s[16:17], exec
	s_and_b64 s[26:27], s[18:19], exec
	s_andn2_b64 s[10:11], s[10:11], exec
	s_and_b64 s[24:25], s[24:25], exec
	s_or_b64 s[16:17], s[16:17], s[26:27]
	s_or_b64 s[10:11], s[10:11], s[24:25]
	s_andn2_b64 exec, exec, s[14:15]
	s_cbranch_execz .LBB10_199
.LBB10_197:                             ; =>This Inner Loop Header: Depth=1
	flat_load_ubyte v68, v[64:65]
	flat_load_ubyte v69, v[54:55]
	s_andn2_b64 s[22:23], s[22:23], exec
	s_or_b64 s[18:19], s[18:19], exec
	s_or_b64 s[20:21], s[20:21], exec
	s_waitcnt vmcnt(0) lgkmcnt(0)
	v_cmp_le_u16_sdwa s[26:27], v68, v69 src0_sel:BYTE_0 src1_sel:BYTE_0
	v_cmp_lt_u16_sdwa s[24:25], v68, v69 src0_sel:BYTE_0 src1_sel:BYTE_0
	s_and_b64 s[26:27], s[26:27], s[0:1]
	v_cmp_eq_u16_sdwa s[28:29], v68, v69 src0_sel:BYTE_0 src1_sel:BYTE_0
	s_or_b64 s[24:25], s[24:25], s[26:27]
	s_and_saveexec_b64 s[26:27], s[28:29]
	s_cbranch_execz .LBB10_196
; %bb.198:                              ;   in Loop: Header=BB10_197 Depth=1
	v_lshl_add_u64 v[66:67], v[66:67], 0, -1
	v_cmp_eq_u64_e64 s[0:1], 0, v[66:67]
	s_andn2_b64 s[22:23], s[22:23], exec
	s_and_b64 s[28:29], s[24:25], exec
	s_andn2_b64 s[20:21], s[20:21], exec
	s_and_b64 s[0:1], s[0:1], exec
	v_lshl_add_u64 v[54:55], v[54:55], 0, 1
	v_lshl_add_u64 v[64:65], v[64:65], 0, 1
	s_or_b64 s[22:23], s[22:23], s[28:29]
	s_andn2_b64 s[18:19], s[18:19], exec
	s_or_b64 s[20:21], s[20:21], s[0:1]
                                        ; implicit-def: $sgpr0_sgpr1
	s_branch .LBB10_196
.LBB10_199:
	s_or_b64 exec, exec, s[14:15]
	s_and_saveexec_b64 s[0:1], s[16:17]
	s_xor_b64 s[0:1], exec, s[0:1]
; %bb.200:
	v_cndmask_b32_e64 v55, v13, v15, s[10:11]
	v_cndmask_b32_e64 v54, v12, v14, s[10:11]
	v_cndmask_b32_e64 v15, v15, v13, s[10:11]
	v_cndmask_b32_e64 v14, v14, v12, s[10:11]
	v_mov_b64_e32 v[12:13], v[54:55]
; %bb.201:
	s_or_b64 exec, exec, s[0:1]
	s_or_b64 exec, exec, s[6:7]
	s_and_saveexec_b64 s[6:7], vcc
	s_cbranch_execz .LBB10_31
.LBB10_202:
	v_mad_u64_u32 v[54:55], s[0:1], v0, v6, v[8:9]
	v_mul_lo_u32 v64, v0, v7
	v_mul_lo_u32 v65, v1, v6
	v_add3_u32 v55, v65, v55, v64
	v_mad_u64_u32 v[64:65], s[0:1], v2, v6, v[8:9]
	v_mul_lo_u32 v66, v2, v7
	v_mul_lo_u32 v67, v3, v6
	v_add3_u32 v65, v67, v65, v66
	s_mov_b64 s[14:15], 0
	v_mov_b64_e32 v[66:67], v[6:7]
                                        ; implicit-def: $sgpr10_sgpr11
                                        ; implicit-def: $sgpr16_sgpr17
                                        ; implicit-def: $sgpr20_sgpr21
                                        ; implicit-def: $sgpr18_sgpr19
                                        ; implicit-def: $sgpr22_sgpr23
                                        ; implicit-def: $sgpr0_sgpr1
	s_branch .LBB10_204
.LBB10_203:                             ;   in Loop: Header=BB10_204 Depth=1
	s_or_b64 exec, exec, s[26:27]
	s_and_b64 s[26:27], exec, s[20:21]
	s_or_b64 s[14:15], s[26:27], s[14:15]
	s_andn2_b64 s[0:1], s[0:1], exec
	s_and_b64 s[26:27], s[22:23], exec
	s_or_b64 s[0:1], s[0:1], s[26:27]
	s_andn2_b64 s[16:17], s[16:17], exec
	s_and_b64 s[26:27], s[18:19], exec
	s_andn2_b64 s[10:11], s[10:11], exec
	s_and_b64 s[24:25], s[24:25], exec
	s_or_b64 s[16:17], s[16:17], s[26:27]
	s_or_b64 s[10:11], s[10:11], s[24:25]
	s_andn2_b64 exec, exec, s[14:15]
	s_cbranch_execz .LBB10_206
.LBB10_204:                             ; =>This Inner Loop Header: Depth=1
	flat_load_ubyte v68, v[64:65]
	flat_load_ubyte v69, v[54:55]
	s_andn2_b64 s[22:23], s[22:23], exec
	s_or_b64 s[18:19], s[18:19], exec
	s_or_b64 s[20:21], s[20:21], exec
	s_waitcnt vmcnt(0) lgkmcnt(0)
	v_cmp_le_u16_sdwa s[26:27], v68, v69 src0_sel:BYTE_0 src1_sel:BYTE_0
	v_cmp_lt_u16_sdwa s[24:25], v68, v69 src0_sel:BYTE_0 src1_sel:BYTE_0
	s_and_b64 s[26:27], s[26:27], s[0:1]
	v_cmp_eq_u16_sdwa s[28:29], v68, v69 src0_sel:BYTE_0 src1_sel:BYTE_0
	s_or_b64 s[24:25], s[24:25], s[26:27]
	s_and_saveexec_b64 s[26:27], s[28:29]
	s_cbranch_execz .LBB10_203
; %bb.205:                              ;   in Loop: Header=BB10_204 Depth=1
	v_lshl_add_u64 v[66:67], v[66:67], 0, -1
	v_cmp_eq_u64_e64 s[0:1], 0, v[66:67]
	s_andn2_b64 s[22:23], s[22:23], exec
	s_and_b64 s[28:29], s[24:25], exec
	s_andn2_b64 s[20:21], s[20:21], exec
	s_and_b64 s[0:1], s[0:1], exec
	v_lshl_add_u64 v[54:55], v[54:55], 0, 1
	v_lshl_add_u64 v[64:65], v[64:65], 0, 1
	s_or_b64 s[22:23], s[22:23], s[28:29]
	s_andn2_b64 s[18:19], s[18:19], exec
	s_or_b64 s[20:21], s[20:21], s[0:1]
                                        ; implicit-def: $sgpr0_sgpr1
	s_branch .LBB10_203
.LBB10_206:
	s_or_b64 exec, exec, s[14:15]
	s_and_saveexec_b64 s[0:1], s[16:17]
	s_xor_b64 s[0:1], exec, s[0:1]
; %bb.207:
	v_cndmask_b32_e64 v55, v1, v3, s[10:11]
	v_cndmask_b32_e64 v54, v0, v2, s[10:11]
	;; [unrolled: 1-line block ×4, first 2 shown]
	v_mov_b64_e32 v[0:1], v[54:55]
; %bb.208:
	s_or_b64 exec, exec, s[0:1]
	s_or_b64 exec, exec, s[6:7]
	s_and_saveexec_b64 s[6:7], vcc
	s_cbranch_execz .LBB10_32
.LBB10_209:
	v_mad_u64_u32 v[54:55], s[0:1], v22, v6, v[8:9]
	v_mul_lo_u32 v64, v22, v7
	v_mul_lo_u32 v65, v23, v6
	v_add3_u32 v55, v65, v55, v64
	v_mad_u64_u32 v[64:65], s[0:1], v16, v6, v[8:9]
	v_mul_lo_u32 v66, v16, v7
	v_mul_lo_u32 v67, v17, v6
	v_add3_u32 v65, v67, v65, v66
	s_mov_b64 s[14:15], 0
	v_mov_b64_e32 v[66:67], v[6:7]
                                        ; implicit-def: $sgpr10_sgpr11
                                        ; implicit-def: $sgpr16_sgpr17
                                        ; implicit-def: $sgpr20_sgpr21
                                        ; implicit-def: $sgpr18_sgpr19
                                        ; implicit-def: $sgpr22_sgpr23
                                        ; implicit-def: $sgpr0_sgpr1
	s_branch .LBB10_211
.LBB10_210:                             ;   in Loop: Header=BB10_211 Depth=1
	s_or_b64 exec, exec, s[26:27]
	s_and_b64 s[26:27], exec, s[20:21]
	s_or_b64 s[14:15], s[26:27], s[14:15]
	s_andn2_b64 s[0:1], s[0:1], exec
	s_and_b64 s[26:27], s[22:23], exec
	s_or_b64 s[0:1], s[0:1], s[26:27]
	s_andn2_b64 s[16:17], s[16:17], exec
	s_and_b64 s[26:27], s[18:19], exec
	s_andn2_b64 s[10:11], s[10:11], exec
	s_and_b64 s[24:25], s[24:25], exec
	s_or_b64 s[16:17], s[16:17], s[26:27]
	s_or_b64 s[10:11], s[10:11], s[24:25]
	s_andn2_b64 exec, exec, s[14:15]
	s_cbranch_execz .LBB10_213
.LBB10_211:                             ; =>This Inner Loop Header: Depth=1
	flat_load_ubyte v68, v[64:65]
	flat_load_ubyte v69, v[54:55]
	s_andn2_b64 s[22:23], s[22:23], exec
	s_or_b64 s[18:19], s[18:19], exec
	s_or_b64 s[20:21], s[20:21], exec
	s_waitcnt vmcnt(0) lgkmcnt(0)
	v_cmp_le_u16_sdwa s[26:27], v68, v69 src0_sel:BYTE_0 src1_sel:BYTE_0
	v_cmp_lt_u16_sdwa s[24:25], v68, v69 src0_sel:BYTE_0 src1_sel:BYTE_0
	s_and_b64 s[26:27], s[26:27], s[0:1]
	v_cmp_eq_u16_sdwa s[28:29], v68, v69 src0_sel:BYTE_0 src1_sel:BYTE_0
	s_or_b64 s[24:25], s[24:25], s[26:27]
	s_and_saveexec_b64 s[26:27], s[28:29]
	s_cbranch_execz .LBB10_210
; %bb.212:                              ;   in Loop: Header=BB10_211 Depth=1
	v_lshl_add_u64 v[66:67], v[66:67], 0, -1
	v_cmp_eq_u64_e64 s[0:1], 0, v[66:67]
	s_andn2_b64 s[22:23], s[22:23], exec
	s_and_b64 s[28:29], s[24:25], exec
	s_andn2_b64 s[20:21], s[20:21], exec
	s_and_b64 s[0:1], s[0:1], exec
	v_lshl_add_u64 v[54:55], v[54:55], 0, 1
	v_lshl_add_u64 v[64:65], v[64:65], 0, 1
	s_or_b64 s[22:23], s[22:23], s[28:29]
	s_andn2_b64 s[18:19], s[18:19], exec
	s_or_b64 s[20:21], s[20:21], s[0:1]
                                        ; implicit-def: $sgpr0_sgpr1
	s_branch .LBB10_210
.LBB10_213:
	s_or_b64 exec, exec, s[14:15]
	s_and_saveexec_b64 s[0:1], s[16:17]
	s_xor_b64 s[0:1], exec, s[0:1]
; %bb.214:
	v_cndmask_b32_e64 v55, v23, v17, s[10:11]
	v_cndmask_b32_e64 v54, v22, v16, s[10:11]
	;; [unrolled: 1-line block ×4, first 2 shown]
	v_mov_b64_e32 v[22:23], v[54:55]
; %bb.215:
	s_or_b64 exec, exec, s[0:1]
	s_or_b64 exec, exec, s[6:7]
	s_and_saveexec_b64 s[6:7], vcc
	s_cbranch_execz .LBB10_33
.LBB10_216:
	v_mad_u64_u32 v[54:55], s[0:1], v18, v6, v[8:9]
	v_mul_lo_u32 v64, v18, v7
	v_mul_lo_u32 v65, v19, v6
	v_add3_u32 v55, v65, v55, v64
	v_mad_u64_u32 v[64:65], s[0:1], v12, v6, v[8:9]
	v_mul_lo_u32 v66, v12, v7
	v_mul_lo_u32 v67, v13, v6
	v_add3_u32 v65, v67, v65, v66
	s_mov_b64 s[14:15], 0
	v_mov_b64_e32 v[66:67], v[6:7]
                                        ; implicit-def: $sgpr10_sgpr11
                                        ; implicit-def: $sgpr16_sgpr17
                                        ; implicit-def: $sgpr20_sgpr21
                                        ; implicit-def: $sgpr18_sgpr19
                                        ; implicit-def: $sgpr22_sgpr23
                                        ; implicit-def: $sgpr0_sgpr1
	s_branch .LBB10_218
.LBB10_217:                             ;   in Loop: Header=BB10_218 Depth=1
	s_or_b64 exec, exec, s[26:27]
	s_and_b64 s[26:27], exec, s[20:21]
	s_or_b64 s[14:15], s[26:27], s[14:15]
	s_andn2_b64 s[0:1], s[0:1], exec
	s_and_b64 s[26:27], s[22:23], exec
	s_or_b64 s[0:1], s[0:1], s[26:27]
	s_andn2_b64 s[16:17], s[16:17], exec
	s_and_b64 s[26:27], s[18:19], exec
	s_andn2_b64 s[10:11], s[10:11], exec
	s_and_b64 s[24:25], s[24:25], exec
	s_or_b64 s[16:17], s[16:17], s[26:27]
	s_or_b64 s[10:11], s[10:11], s[24:25]
	s_andn2_b64 exec, exec, s[14:15]
	s_cbranch_execz .LBB10_220
.LBB10_218:                             ; =>This Inner Loop Header: Depth=1
	flat_load_ubyte v68, v[64:65]
	flat_load_ubyte v69, v[54:55]
	s_andn2_b64 s[22:23], s[22:23], exec
	s_or_b64 s[18:19], s[18:19], exec
	s_or_b64 s[20:21], s[20:21], exec
	s_waitcnt vmcnt(0) lgkmcnt(0)
	v_cmp_le_u16_sdwa s[26:27], v68, v69 src0_sel:BYTE_0 src1_sel:BYTE_0
	v_cmp_lt_u16_sdwa s[24:25], v68, v69 src0_sel:BYTE_0 src1_sel:BYTE_0
	s_and_b64 s[26:27], s[26:27], s[0:1]
	v_cmp_eq_u16_sdwa s[28:29], v68, v69 src0_sel:BYTE_0 src1_sel:BYTE_0
	s_or_b64 s[24:25], s[24:25], s[26:27]
	s_and_saveexec_b64 s[26:27], s[28:29]
	s_cbranch_execz .LBB10_217
; %bb.219:                              ;   in Loop: Header=BB10_218 Depth=1
	v_lshl_add_u64 v[66:67], v[66:67], 0, -1
	v_cmp_eq_u64_e64 s[0:1], 0, v[66:67]
	s_andn2_b64 s[22:23], s[22:23], exec
	s_and_b64 s[28:29], s[24:25], exec
	s_andn2_b64 s[20:21], s[20:21], exec
	s_and_b64 s[0:1], s[0:1], exec
	v_lshl_add_u64 v[54:55], v[54:55], 0, 1
	v_lshl_add_u64 v[64:65], v[64:65], 0, 1
	s_or_b64 s[22:23], s[22:23], s[28:29]
	s_andn2_b64 s[18:19], s[18:19], exec
	s_or_b64 s[20:21], s[20:21], s[0:1]
                                        ; implicit-def: $sgpr0_sgpr1
	s_branch .LBB10_217
.LBB10_220:
	s_or_b64 exec, exec, s[14:15]
	s_and_saveexec_b64 s[0:1], s[16:17]
	s_xor_b64 s[0:1], exec, s[0:1]
; %bb.221:
	v_cndmask_b32_e64 v55, v19, v13, s[10:11]
	v_cndmask_b32_e64 v54, v18, v12, s[10:11]
	;; [unrolled: 1-line block ×4, first 2 shown]
	v_mov_b64_e32 v[18:19], v[54:55]
; %bb.222:
	s_or_b64 exec, exec, s[0:1]
	s_or_b64 exec, exec, s[6:7]
	s_and_saveexec_b64 s[6:7], vcc
	s_cbranch_execz .LBB10_230
.LBB10_223:
	v_mad_u64_u32 v[54:55], s[0:1], v14, v6, v[8:9]
	v_mul_lo_u32 v64, v14, v7
	v_mul_lo_u32 v65, v15, v6
	v_add3_u32 v55, v65, v55, v64
	v_mad_u64_u32 v[64:65], s[0:1], v0, v6, v[8:9]
	v_mul_lo_u32 v66, v0, v7
	v_mul_lo_u32 v67, v1, v6
	v_add3_u32 v65, v67, v65, v66
	s_mov_b64 s[16:17], 0
	v_mov_b64_e32 v[66:67], v[6:7]
                                        ; implicit-def: $sgpr10_sgpr11
                                        ; implicit-def: $sgpr14_sgpr15
                                        ; implicit-def: $sgpr20_sgpr21
                                        ; implicit-def: $sgpr18_sgpr19
                                        ; implicit-def: $sgpr22_sgpr23
                                        ; implicit-def: $sgpr0_sgpr1
	s_branch .LBB10_225
.LBB10_224:                             ;   in Loop: Header=BB10_225 Depth=1
	s_or_b64 exec, exec, s[26:27]
	s_and_b64 s[26:27], exec, s[20:21]
	s_or_b64 s[16:17], s[26:27], s[16:17]
	s_andn2_b64 s[0:1], s[0:1], exec
	s_and_b64 s[26:27], s[22:23], exec
	s_or_b64 s[0:1], s[0:1], s[26:27]
	s_andn2_b64 s[14:15], s[14:15], exec
	s_and_b64 s[26:27], s[18:19], exec
	s_andn2_b64 s[10:11], s[10:11], exec
	s_and_b64 s[24:25], s[24:25], exec
	s_or_b64 s[14:15], s[14:15], s[26:27]
	s_or_b64 s[10:11], s[10:11], s[24:25]
	s_andn2_b64 exec, exec, s[16:17]
	s_cbranch_execz .LBB10_227
.LBB10_225:                             ; =>This Inner Loop Header: Depth=1
	flat_load_ubyte v68, v[64:65]
	flat_load_ubyte v69, v[54:55]
	s_andn2_b64 s[22:23], s[22:23], exec
	s_or_b64 s[18:19], s[18:19], exec
	s_or_b64 s[20:21], s[20:21], exec
	s_waitcnt vmcnt(0) lgkmcnt(0)
	v_cmp_le_u16_sdwa s[26:27], v68, v69 src0_sel:BYTE_0 src1_sel:BYTE_0
	v_cmp_lt_u16_sdwa s[24:25], v68, v69 src0_sel:BYTE_0 src1_sel:BYTE_0
	s_and_b64 s[26:27], s[26:27], s[0:1]
	v_cmp_eq_u16_sdwa s[28:29], v68, v69 src0_sel:BYTE_0 src1_sel:BYTE_0
	s_or_b64 s[24:25], s[24:25], s[26:27]
	s_and_saveexec_b64 s[26:27], s[28:29]
	s_cbranch_execz .LBB10_224
; %bb.226:                              ;   in Loop: Header=BB10_225 Depth=1
	v_lshl_add_u64 v[66:67], v[66:67], 0, -1
	v_cmp_eq_u64_e64 s[0:1], 0, v[66:67]
	s_andn2_b64 s[22:23], s[22:23], exec
	s_and_b64 s[28:29], s[24:25], exec
	s_andn2_b64 s[20:21], s[20:21], exec
	s_and_b64 s[0:1], s[0:1], exec
	v_lshl_add_u64 v[54:55], v[54:55], 0, 1
	v_lshl_add_u64 v[64:65], v[64:65], 0, 1
	s_or_b64 s[22:23], s[22:23], s[28:29]
	s_andn2_b64 s[18:19], s[18:19], exec
	s_or_b64 s[20:21], s[20:21], s[0:1]
                                        ; implicit-def: $sgpr0_sgpr1
	s_branch .LBB10_224
.LBB10_227:
	s_or_b64 exec, exec, s[16:17]
	s_and_saveexec_b64 s[0:1], s[14:15]
	s_xor_b64 s[0:1], exec, s[0:1]
; %bb.228:
	v_cndmask_b32_e64 v55, v15, v1, s[10:11]
	v_cndmask_b32_e64 v54, v14, v0, s[10:11]
	;; [unrolled: 1-line block ×4, first 2 shown]
	v_mov_b64_e32 v[14:15], v[54:55]
; %bb.229:
	s_or_b64 exec, exec, s[0:1]
.LBB10_230:
	s_or_b64 exec, exec, s[6:7]
.LBB10_231:
	s_or_b64 exec, exec, s[2:3]
	v_mbcnt_lo_u32_b32 v54, -1, 0
	v_mbcnt_hi_u32_b32 v64, -1, v54
	v_and_b32_e32 v66, 0xfffffe00, v31
	s_movk_i32 s0, 0x800
	v_mov_b32_e32 v67, 0
	v_sub_u32_e64 v31, s0, v66 clamp
	v_lshl_add_u64 v[54:55], v[66:67], 3, v[10:11]
	v_lshlrev_b32_e32 v96, 3, v64
	v_lshlrev_b32_e32 v66, 6, v64
	v_lshl_add_u64 v[64:65], v[54:55], 0, v[66:67]
	v_or_b32_e32 v66, 8, v96
	v_min_u32_e32 v97, v31, v66
	v_add_u32_e32 v66, 8, v97
	v_and_b32_e32 v99, 0x3f0, v96
	v_min_u32_e32 v98, v31, v66
	v_and_b32_e32 v66, 8, v96
	v_min_u32_e32 v100, v31, v66
	v_sub_u32_e32 v66, v97, v99
	v_sub_u32_e32 v68, v98, v97
	v_sub_u32_e64 v101, v100, v68 clamp
	v_min_u32_e32 v102, v100, v66
	v_cmp_lt_u32_e64 s[0:1], v101, v102
	flat_store_dwordx4 v[64:65], v[20:23]
	flat_store_dwordx4 v[64:65], v[16:19] offset:16
	flat_store_dwordx4 v[64:65], v[12:15] offset:32
	;; [unrolled: 1-line block ×3, first 2 shown]
	; wave barrier
	s_and_saveexec_b64 s[2:3], s[0:1]
	s_cbranch_execz .LBB10_241
; %bb.232:
	v_lshlrev_b32_e32 v66, 3, v99
	v_lshl_add_u64 v[68:69], v[54:55], 0, v[66:67]
	v_lshlrev_b32_e32 v66, 3, v97
	v_lshl_add_u64 v[70:71], v[54:55], 0, v[66:67]
	s_mov_b64 s[6:7], 0
	s_branch .LBB10_235
.LBB10_233:                             ;   in Loop: Header=BB10_235 Depth=1
	s_or_b64 exec, exec, s[14:15]
	s_and_b64 s[0:1], s[16:17], exec
.LBB10_234:                             ;   in Loop: Header=BB10_235 Depth=1
	s_or_b64 exec, exec, s[10:11]
	v_add_u32_e32 v66, 1, v80
	v_cndmask_b32_e64 v102, v102, v80, s[0:1]
	v_cndmask_b32_e64 v101, v66, v101, s[0:1]
	v_cmp_ge_u32_e64 s[0:1], v101, v102
	s_or_b64 s[6:7], s[0:1], s[6:7]
	s_andn2_b64 exec, exec, s[6:7]
	s_cbranch_execz .LBB10_240
.LBB10_235:                             ; =>This Loop Header: Depth=1
                                        ;     Child Loop BB10_238 Depth 2
	v_add_u32_e32 v66, v102, v101
	v_lshrrev_b32_e32 v80, 1, v66
	s_mov_b64 s[0:1], 0
	s_and_saveexec_b64 s[10:11], vcc
	s_cbranch_execz .LBB10_234
; %bb.236:                              ;   in Loop: Header=BB10_235 Depth=1
	v_mov_b32_e32 v81, v67
	v_xad_u32 v66, v80, -1, v100
	v_lshl_add_u64 v[82:83], v[80:81], 3, v[68:69]
	v_lshl_add_u64 v[84:85], v[66:67], 3, v[70:71]
	flat_load_dwordx2 v[82:83], v[82:83]
	s_mov_b64 s[14:15], 0
	flat_load_dwordx2 v[84:85], v[84:85]
                                        ; implicit-def: $sgpr16_sgpr17
                                        ; implicit-def: $sgpr18_sgpr19
                                        ; implicit-def: $sgpr20_sgpr21
                                        ; implicit-def: $sgpr22_sgpr23
                                        ; implicit-def: $sgpr0_sgpr1
	s_waitcnt vmcnt(0) lgkmcnt(0)
	v_mul_lo_u32 v66, v82, v7
	v_mul_lo_u32 v81, v83, v6
	v_mad_u64_u32 v[82:83], s[24:25], v82, v6, v[8:9]
	v_mul_lo_u32 v86, v84, v7
	v_mul_lo_u32 v87, v85, v6
	v_mad_u64_u32 v[84:85], s[24:25], v84, v6, v[8:9]
	v_add3_u32 v83, v81, v83, v66
	v_add3_u32 v85, v87, v85, v86
	v_mov_b64_e32 v[86:87], v[6:7]
	s_branch .LBB10_238
.LBB10_237:                             ;   in Loop: Header=BB10_238 Depth=2
	s_or_b64 exec, exec, s[24:25]
	s_and_b64 s[24:25], exec, s[18:19]
	s_or_b64 s[14:15], s[24:25], s[14:15]
	s_andn2_b64 s[0:1], s[0:1], exec
	s_and_b64 s[24:25], s[20:21], exec
	s_or_b64 s[0:1], s[0:1], s[24:25]
	s_andn2_b64 s[16:17], s[16:17], exec
	s_and_b64 s[24:25], s[22:23], exec
	s_or_b64 s[16:17], s[16:17], s[24:25]
	s_andn2_b64 exec, exec, s[14:15]
	s_cbranch_execz .LBB10_233
.LBB10_238:                             ;   Parent Loop BB10_235 Depth=1
                                        ; =>  This Inner Loop Header: Depth=2
	flat_load_ubyte v66, v[84:85]
	flat_load_ubyte v81, v[82:83]
	s_andn2_b64 s[22:23], s[22:23], exec
	s_andn2_b64 s[20:21], s[20:21], exec
	s_or_b64 s[18:19], s[18:19], exec
	s_waitcnt vmcnt(0) lgkmcnt(0)
	v_cmp_le_u16_sdwa s[26:27], v66, v81 src0_sel:BYTE_0 src1_sel:BYTE_0
	v_cmp_lt_u16_sdwa s[24:25], v66, v81 src0_sel:BYTE_0 src1_sel:BYTE_0
	s_and_b64 s[26:27], s[26:27], s[0:1]
	s_or_b64 s[26:27], s[24:25], s[26:27]
	s_and_b64 s[24:25], s[26:27], exec
	v_cmp_eq_u16_sdwa s[28:29], v66, v81 src0_sel:BYTE_0 src1_sel:BYTE_0
	s_or_b64 s[22:23], s[22:23], s[24:25]
	s_and_saveexec_b64 s[24:25], s[28:29]
	s_cbranch_execz .LBB10_237
; %bb.239:                              ;   in Loop: Header=BB10_238 Depth=2
	v_lshl_add_u64 v[86:87], v[86:87], 0, -1
	v_cmp_eq_u64_e64 s[0:1], 0, v[86:87]
	s_andn2_b64 s[20:21], s[20:21], exec
	s_and_b64 s[26:27], s[26:27], exec
	s_andn2_b64 s[18:19], s[18:19], exec
	s_and_b64 s[0:1], s[0:1], exec
	v_lshl_add_u64 v[82:83], v[82:83], 0, 1
	v_lshl_add_u64 v[84:85], v[84:85], 0, 1
	s_andn2_b64 s[22:23], s[22:23], exec
	s_or_b64 s[20:21], s[20:21], s[26:27]
	s_or_b64 s[18:19], s[18:19], s[0:1]
                                        ; implicit-def: $sgpr0_sgpr1
	s_branch .LBB10_237
.LBB10_240:
	s_or_b64 exec, exec, s[6:7]
.LBB10_241:
	s_or_b64 exec, exec, s[2:3]
	v_add_u32_e32 v67, v97, v100
	v_add_u32_e32 v66, v101, v99
	v_sub_u32_e32 v68, v67, v101
	v_cmp_le_u32_e64 s[0:1], v66, v97
	v_cmp_le_u32_e64 s[2:3], v68, v98
	s_or_b64 s[0:1], s[0:1], s[2:3]
	s_and_saveexec_b64 s[6:7], s[0:1]
	s_cbranch_execz .LBB10_325
; %bb.242:
	v_cmp_ge_u32_e64 s[0:1], v66, v97
	v_cmp_lt_u32_e64 s[2:3], v66, v97
                                        ; implicit-def: $vgpr0_vgpr1
	s_and_saveexec_b64 s[10:11], s[2:3]
	s_cbranch_execz .LBB10_244
; %bb.243:
	v_mov_b32_e32 v67, 0
	v_lshl_add_u64 v[0:1], v[66:67], 3, v[54:55]
	flat_load_dwordx2 v[0:1], v[0:1]
.LBB10_244:
	s_or_b64 exec, exec, s[10:11]
	v_cmp_ge_u32_e64 s[10:11], v68, v98
	v_cmp_lt_u32_e64 s[2:3], v68, v98
                                        ; implicit-def: $vgpr2_vgpr3
	s_and_saveexec_b64 s[14:15], s[2:3]
	s_cbranch_execz .LBB10_246
; %bb.245:
	v_mov_b32_e32 v69, 0
	v_lshl_add_u64 v[2:3], v[68:69], 3, v[54:55]
	flat_load_dwordx2 v[2:3], v[2:3]
.LBB10_246:
	s_or_b64 exec, exec, s[14:15]
	s_or_b64 s[0:1], s[0:1], s[10:11]
	s_xor_b64 s[0:1], s[0:1], -1
	s_and_saveexec_b64 s[2:3], s[0:1]
	s_cbranch_execz .LBB10_254
; %bb.247:
	s_mov_b64 s[0:1], 0
	s_and_saveexec_b64 s[14:15], vcc
	s_cbranch_execz .LBB10_253
; %bb.248:
	s_waitcnt vmcnt(0) lgkmcnt(0)
	v_mad_u64_u32 v[12:13], s[0:1], v0, v6, v[8:9]
	v_mul_lo_u32 v14, v0, v7
	v_mul_lo_u32 v15, v1, v6
	v_add3_u32 v13, v15, v13, v14
	v_mad_u64_u32 v[14:15], s[0:1], v2, v6, v[8:9]
	v_mul_lo_u32 v16, v2, v7
	v_mul_lo_u32 v17, v3, v6
	v_add3_u32 v15, v17, v15, v16
	s_mov_b64 s[16:17], 0
	v_mov_b64_e32 v[16:17], v[6:7]
                                        ; implicit-def: $sgpr18_sgpr19
                                        ; implicit-def: $sgpr20_sgpr21
                                        ; implicit-def: $sgpr22_sgpr23
                                        ; implicit-def: $sgpr24_sgpr25
                                        ; implicit-def: $sgpr0_sgpr1
	s_branch .LBB10_250
.LBB10_249:                             ;   in Loop: Header=BB10_250 Depth=1
	s_or_b64 exec, exec, s[26:27]
	s_and_b64 s[26:27], exec, s[20:21]
	s_or_b64 s[16:17], s[26:27], s[16:17]
	s_andn2_b64 s[0:1], s[0:1], exec
	s_and_b64 s[26:27], s[22:23], exec
	s_or_b64 s[0:1], s[0:1], s[26:27]
	s_andn2_b64 s[18:19], s[18:19], exec
	s_and_b64 s[26:27], s[24:25], exec
	s_or_b64 s[18:19], s[18:19], s[26:27]
	s_andn2_b64 exec, exec, s[16:17]
	s_cbranch_execz .LBB10_252
.LBB10_250:                             ; =>This Inner Loop Header: Depth=1
	flat_load_ubyte v18, v[14:15]
	flat_load_ubyte v19, v[12:13]
	s_andn2_b64 s[24:25], s[24:25], exec
	s_andn2_b64 s[22:23], s[22:23], exec
	s_or_b64 s[20:21], s[20:21], exec
	s_waitcnt vmcnt(0) lgkmcnt(0)
	v_cmp_le_u16_sdwa s[28:29], v18, v19 src0_sel:BYTE_0 src1_sel:BYTE_0
	v_cmp_lt_u16_sdwa s[26:27], v18, v19 src0_sel:BYTE_0 src1_sel:BYTE_0
	s_and_b64 s[28:29], s[28:29], s[0:1]
	s_or_b64 s[28:29], s[26:27], s[28:29]
	s_and_b64 s[26:27], s[28:29], exec
	v_cmp_eq_u16_sdwa s[30:31], v18, v19 src0_sel:BYTE_0 src1_sel:BYTE_0
	s_or_b64 s[24:25], s[24:25], s[26:27]
	s_and_saveexec_b64 s[26:27], s[30:31]
	s_cbranch_execz .LBB10_249
; %bb.251:                              ;   in Loop: Header=BB10_250 Depth=1
	v_lshl_add_u64 v[16:17], v[16:17], 0, -1
	v_cmp_eq_u64_e64 s[0:1], 0, v[16:17]
	s_andn2_b64 s[22:23], s[22:23], exec
	s_and_b64 s[28:29], s[28:29], exec
	s_andn2_b64 s[20:21], s[20:21], exec
	s_and_b64 s[0:1], s[0:1], exec
	v_lshl_add_u64 v[12:13], v[12:13], 0, 1
	v_lshl_add_u64 v[14:15], v[14:15], 0, 1
	s_andn2_b64 s[24:25], s[24:25], exec
	s_or_b64 s[22:23], s[22:23], s[28:29]
	s_or_b64 s[20:21], s[20:21], s[0:1]
                                        ; implicit-def: $sgpr0_sgpr1
	s_branch .LBB10_249
.LBB10_252:
	s_or_b64 exec, exec, s[16:17]
	s_and_b64 s[0:1], s[18:19], exec
.LBB10_253:
	s_or_b64 exec, exec, s[14:15]
	s_xor_b64 s[0:1], s[0:1], -1
	s_andn2_b64 s[10:11], s[10:11], exec
	s_and_b64 s[0:1], s[0:1], exec
	s_or_b64 s[10:11], s[10:11], s[0:1]
.LBB10_254:
	s_or_b64 exec, exec, s[2:3]
	v_cndmask_b32_e64 v12, v68, v66, s[10:11]
	v_cndmask_b32_e64 v13, v98, v97, s[10:11]
	v_add_u32_e32 v16, 1, v12
	v_add_u32_e32 v12, -1, v13
	v_min_u32_e32 v12, v16, v12
	v_mov_b32_e32 v13, 0
	v_lshl_add_u64 v[14:15], v[12:13], 3, v[54:55]
	flat_load_dwordx2 v[14:15], v[14:15]
	v_cndmask_b32_e64 v23, v16, v68, s[10:11]
	s_mov_b64 s[2:3], -1
	v_cndmask_b32_e64 v66, v66, v16, s[10:11]
	v_cmp_lt_u32_e64 s[0:1], v23, v98
	s_mov_b64 s[14:15], -1
	s_waitcnt vmcnt(0) lgkmcnt(0)
	v_cndmask_b32_e64 v20, v15, v3, s[10:11]
	v_cndmask_b32_e64 v21, v14, v2, s[10:11]
	;; [unrolled: 1-line block ×4, first 2 shown]
	s_and_saveexec_b64 s[16:17], s[0:1]
	s_cbranch_execz .LBB10_264
; %bb.255:
	v_cmp_lt_u32_e64 s[0:1], v66, v97
	s_mov_b64 s[18:19], 0
	s_and_saveexec_b64 s[14:15], s[0:1]
	s_cbranch_execz .LBB10_263
; %bb.256:
	s_mov_b64 s[0:1], 0
	s_and_saveexec_b64 s[18:19], vcc
	s_cbranch_execz .LBB10_262
; %bb.257:
	v_mad_u64_u32 v[14:15], s[0:1], v68, v6, v[8:9]
	v_mul_lo_u32 v12, v68, v7
	v_mul_lo_u32 v16, v22, v6
	v_add3_u32 v15, v16, v15, v12
	v_mad_u64_u32 v[16:17], s[0:1], v21, v6, v[8:9]
	v_mul_lo_u32 v12, v21, v7
	v_mul_lo_u32 v18, v20, v6
	v_add3_u32 v17, v18, v17, v12
	s_mov_b64 s[20:21], 0
	v_mov_b64_e32 v[18:19], v[6:7]
                                        ; implicit-def: $sgpr22_sgpr23
                                        ; implicit-def: $sgpr24_sgpr25
                                        ; implicit-def: $sgpr26_sgpr27
                                        ; implicit-def: $sgpr28_sgpr29
                                        ; implicit-def: $sgpr0_sgpr1
	s_branch .LBB10_259
.LBB10_258:                             ;   in Loop: Header=BB10_259 Depth=1
	s_or_b64 exec, exec, s[30:31]
	s_and_b64 s[30:31], exec, s[24:25]
	s_or_b64 s[20:21], s[30:31], s[20:21]
	s_andn2_b64 s[0:1], s[0:1], exec
	s_and_b64 s[30:31], s[26:27], exec
	s_or_b64 s[0:1], s[0:1], s[30:31]
	s_andn2_b64 s[22:23], s[22:23], exec
	s_and_b64 s[30:31], s[28:29], exec
	s_or_b64 s[22:23], s[22:23], s[30:31]
	s_andn2_b64 exec, exec, s[20:21]
	s_cbranch_execz .LBB10_261
.LBB10_259:                             ; =>This Inner Loop Header: Depth=1
	flat_load_ubyte v12, v[16:17]
	flat_load_ubyte v67, v[14:15]
	s_andn2_b64 s[28:29], s[28:29], exec
	s_andn2_b64 s[26:27], s[26:27], exec
	s_or_b64 s[24:25], s[24:25], exec
	s_waitcnt vmcnt(0) lgkmcnt(0)
	v_cmp_le_u16_sdwa s[34:35], v12, v67 src0_sel:BYTE_0 src1_sel:BYTE_0
	v_cmp_lt_u16_sdwa s[30:31], v12, v67 src0_sel:BYTE_0 src1_sel:BYTE_0
	s_and_b64 s[34:35], s[34:35], s[0:1]
	s_or_b64 s[34:35], s[30:31], s[34:35]
	s_and_b64 s[30:31], s[34:35], exec
	v_cmp_eq_u16_sdwa s[36:37], v12, v67 src0_sel:BYTE_0 src1_sel:BYTE_0
	s_or_b64 s[28:29], s[28:29], s[30:31]
	s_and_saveexec_b64 s[30:31], s[36:37]
	s_cbranch_execz .LBB10_258
; %bb.260:                              ;   in Loop: Header=BB10_259 Depth=1
	v_lshl_add_u64 v[18:19], v[18:19], 0, -1
	v_cmp_eq_u64_e64 s[0:1], 0, v[18:19]
	s_andn2_b64 s[26:27], s[26:27], exec
	s_and_b64 s[34:35], s[34:35], exec
	s_andn2_b64 s[24:25], s[24:25], exec
	s_and_b64 s[0:1], s[0:1], exec
	v_lshl_add_u64 v[14:15], v[14:15], 0, 1
	v_lshl_add_u64 v[16:17], v[16:17], 0, 1
	s_andn2_b64 s[28:29], s[28:29], exec
	s_or_b64 s[26:27], s[26:27], s[34:35]
	s_or_b64 s[24:25], s[24:25], s[0:1]
                                        ; implicit-def: $sgpr0_sgpr1
	s_branch .LBB10_258
.LBB10_261:
	s_or_b64 exec, exec, s[20:21]
	s_and_b64 s[0:1], s[22:23], exec
.LBB10_262:
	s_or_b64 exec, exec, s[18:19]
	s_xor_b64 s[0:1], s[0:1], -1
	s_and_b64 s[18:19], s[0:1], exec
.LBB10_263:
	s_or_b64 exec, exec, s[14:15]
	s_orn2_b64 s[14:15], s[18:19], exec
.LBB10_264:
	s_or_b64 exec, exec, s[16:17]
	v_cndmask_b32_e64 v12, v23, v66, s[14:15]
	v_cndmask_b32_e64 v14, v98, v97, s[14:15]
	v_add_u32_e32 v15, 1, v12
	v_add_u32_e32 v12, -1, v14
	v_min_u32_e32 v12, v15, v12
	v_lshl_add_u64 v[12:13], v[12:13], 3, v[54:55]
	flat_load_dwordx2 v[12:13], v[12:13]
	v_cndmask_b32_e64 v18, v15, v23, s[14:15]
	v_cndmask_b32_e64 v19, v66, v15, s[14:15]
	v_cmp_lt_u32_e64 s[0:1], v18, v98
	s_waitcnt vmcnt(0) lgkmcnt(0)
	v_cndmask_b32_e64 v23, v13, v20, s[14:15]
	v_cndmask_b32_e64 v69, v12, v21, s[14:15]
	;; [unrolled: 1-line block ×4, first 2 shown]
	s_and_saveexec_b64 s[16:17], s[0:1]
	s_cbranch_execz .LBB10_274
; %bb.265:
	v_cmp_lt_u32_e64 s[0:1], v19, v97
	s_mov_b64 s[18:19], 0
	s_and_saveexec_b64 s[2:3], s[0:1]
	s_cbranch_execz .LBB10_273
; %bb.266:
	s_mov_b64 s[0:1], 0
	s_and_saveexec_b64 s[18:19], vcc
	s_cbranch_execz .LBB10_272
; %bb.267:
	v_mad_u64_u32 v[12:13], s[0:1], v71, v6, v[8:9]
	v_mul_lo_u32 v14, v71, v7
	v_mul_lo_u32 v15, v70, v6
	v_add3_u32 v13, v15, v13, v14
	v_mad_u64_u32 v[14:15], s[0:1], v69, v6, v[8:9]
	v_mul_lo_u32 v16, v69, v7
	v_mul_lo_u32 v17, v23, v6
	v_add3_u32 v15, v17, v15, v16
	s_mov_b64 s[20:21], 0
	v_mov_b64_e32 v[16:17], v[6:7]
                                        ; implicit-def: $sgpr22_sgpr23
                                        ; implicit-def: $sgpr24_sgpr25
                                        ; implicit-def: $sgpr26_sgpr27
                                        ; implicit-def: $sgpr28_sgpr29
                                        ; implicit-def: $sgpr0_sgpr1
	s_branch .LBB10_269
.LBB10_268:                             ;   in Loop: Header=BB10_269 Depth=1
	s_or_b64 exec, exec, s[30:31]
	s_and_b64 s[30:31], exec, s[24:25]
	s_or_b64 s[20:21], s[30:31], s[20:21]
	s_andn2_b64 s[0:1], s[0:1], exec
	s_and_b64 s[30:31], s[26:27], exec
	s_or_b64 s[0:1], s[0:1], s[30:31]
	s_andn2_b64 s[22:23], s[22:23], exec
	s_and_b64 s[30:31], s[28:29], exec
	s_or_b64 s[22:23], s[22:23], s[30:31]
	s_andn2_b64 exec, exec, s[20:21]
	s_cbranch_execz .LBB10_271
.LBB10_269:                             ; =>This Inner Loop Header: Depth=1
	flat_load_ubyte v66, v[14:15]
	flat_load_ubyte v67, v[12:13]
	s_andn2_b64 s[28:29], s[28:29], exec
	s_andn2_b64 s[26:27], s[26:27], exec
	s_or_b64 s[24:25], s[24:25], exec
	s_waitcnt vmcnt(0) lgkmcnt(0)
	v_cmp_le_u16_sdwa s[34:35], v66, v67 src0_sel:BYTE_0 src1_sel:BYTE_0
	v_cmp_lt_u16_sdwa s[30:31], v66, v67 src0_sel:BYTE_0 src1_sel:BYTE_0
	s_and_b64 s[34:35], s[34:35], s[0:1]
	s_or_b64 s[34:35], s[30:31], s[34:35]
	s_and_b64 s[30:31], s[34:35], exec
	v_cmp_eq_u16_sdwa s[36:37], v66, v67 src0_sel:BYTE_0 src1_sel:BYTE_0
	s_or_b64 s[28:29], s[28:29], s[30:31]
	s_and_saveexec_b64 s[30:31], s[36:37]
	s_cbranch_execz .LBB10_268
; %bb.270:                              ;   in Loop: Header=BB10_269 Depth=1
	v_lshl_add_u64 v[16:17], v[16:17], 0, -1
	v_cmp_eq_u64_e64 s[0:1], 0, v[16:17]
	s_andn2_b64 s[26:27], s[26:27], exec
	s_and_b64 s[34:35], s[34:35], exec
	s_andn2_b64 s[24:25], s[24:25], exec
	s_and_b64 s[0:1], s[0:1], exec
	v_lshl_add_u64 v[12:13], v[12:13], 0, 1
	v_lshl_add_u64 v[14:15], v[14:15], 0, 1
	s_andn2_b64 s[28:29], s[28:29], exec
	s_or_b64 s[26:27], s[26:27], s[34:35]
	s_or_b64 s[24:25], s[24:25], s[0:1]
                                        ; implicit-def: $sgpr0_sgpr1
	s_branch .LBB10_268
.LBB10_271:
	s_or_b64 exec, exec, s[20:21]
	s_and_b64 s[0:1], s[22:23], exec
.LBB10_272:
	s_or_b64 exec, exec, s[18:19]
	s_xor_b64 s[0:1], s[0:1], -1
	s_and_b64 s[18:19], s[0:1], exec
.LBB10_273:
	s_or_b64 exec, exec, s[2:3]
	s_orn2_b64 s[2:3], s[18:19], exec
.LBB10_274:
	s_or_b64 exec, exec, s[16:17]
	v_cndmask_b32_e64 v12, v18, v19, s[2:3]
	v_cndmask_b32_e64 v13, v98, v97, s[2:3]
	v_add_u32_e32 v16, 1, v12
	v_add_u32_e32 v12, -1, v13
	v_min_u32_e32 v12, v16, v12
	v_mov_b32_e32 v13, 0
	v_lshl_add_u64 v[14:15], v[12:13], 3, v[54:55]
	flat_load_dwordx2 v[14:15], v[14:15]
	v_cndmask_b32_e64 v66, v16, v18, s[2:3]
	s_mov_b64 s[16:17], -1
	v_cndmask_b32_e64 v67, v19, v16, s[2:3]
	v_cmp_lt_u32_e64 s[0:1], v66, v98
	s_mov_b64 s[18:19], -1
	s_waitcnt vmcnt(0) lgkmcnt(0)
	v_cndmask_b32_e64 v80, v15, v23, s[2:3]
	v_cndmask_b32_e64 v81, v14, v69, s[2:3]
	;; [unrolled: 1-line block ×4, first 2 shown]
	s_and_saveexec_b64 s[20:21], s[0:1]
	s_cbranch_execz .LBB10_284
; %bb.275:
	v_cmp_lt_u32_e64 s[0:1], v67, v97
	s_mov_b64 s[22:23], 0
	s_and_saveexec_b64 s[18:19], s[0:1]
	s_cbranch_execz .LBB10_283
; %bb.276:
	s_mov_b64 s[0:1], -1
	s_and_saveexec_b64 s[22:23], vcc
	s_cbranch_execz .LBB10_282
; %bb.277:
	v_mad_u64_u32 v[14:15], s[0:1], v83, v6, v[8:9]
	v_mul_lo_u32 v12, v83, v7
	v_mul_lo_u32 v16, v82, v6
	v_add3_u32 v15, v16, v15, v12
	v_mad_u64_u32 v[16:17], s[0:1], v81, v6, v[8:9]
	v_mul_lo_u32 v12, v81, v7
	v_mul_lo_u32 v18, v80, v6
	v_add3_u32 v17, v18, v17, v12
	s_mov_b64 s[24:25], 0
	v_mov_b64_e32 v[18:19], v[6:7]
                                        ; implicit-def: $sgpr26_sgpr27
                                        ; implicit-def: $sgpr28_sgpr29
                                        ; implicit-def: $sgpr34_sgpr35
                                        ; implicit-def: $sgpr30_sgpr31
                                        ; implicit-def: $sgpr0_sgpr1
	s_branch .LBB10_279
.LBB10_278:                             ;   in Loop: Header=BB10_279 Depth=1
	s_or_b64 exec, exec, s[36:37]
	s_and_b64 s[36:37], exec, s[28:29]
	s_or_b64 s[24:25], s[36:37], s[24:25]
	s_andn2_b64 s[0:1], s[0:1], exec
	s_and_b64 s[36:37], s[30:31], exec
	s_or_b64 s[0:1], s[0:1], s[36:37]
	s_andn2_b64 s[26:27], s[26:27], exec
	s_and_b64 s[36:37], s[34:35], exec
	s_or_b64 s[26:27], s[26:27], s[36:37]
	s_andn2_b64 exec, exec, s[24:25]
	s_cbranch_execz .LBB10_281
.LBB10_279:                             ; =>This Inner Loop Header: Depth=1
	flat_load_ubyte v12, v[16:17]
	flat_load_ubyte v84, v[14:15]
	s_andn2_b64 s[34:35], s[34:35], exec
	s_andn2_b64 s[30:31], s[30:31], exec
	s_or_b64 s[28:29], s[28:29], exec
	s_waitcnt vmcnt(0) lgkmcnt(0)
	v_cmp_le_u16_sdwa s[38:39], v12, v84 src0_sel:BYTE_0 src1_sel:BYTE_0
	v_cmp_lt_u16_sdwa s[36:37], v12, v84 src0_sel:BYTE_0 src1_sel:BYTE_0
	s_and_b64 s[38:39], s[38:39], s[0:1]
	s_or_b64 s[38:39], s[36:37], s[38:39]
	s_and_b64 s[36:37], s[38:39], exec
	v_cmp_eq_u16_sdwa s[40:41], v12, v84 src0_sel:BYTE_0 src1_sel:BYTE_0
	s_or_b64 s[34:35], s[34:35], s[36:37]
	s_and_saveexec_b64 s[36:37], s[40:41]
	s_cbranch_execz .LBB10_278
; %bb.280:                              ;   in Loop: Header=BB10_279 Depth=1
	v_lshl_add_u64 v[18:19], v[18:19], 0, -1
	v_cmp_eq_u64_e64 s[0:1], 0, v[18:19]
	s_andn2_b64 s[30:31], s[30:31], exec
	s_and_b64 s[38:39], s[38:39], exec
	s_andn2_b64 s[28:29], s[28:29], exec
	s_and_b64 s[0:1], s[0:1], exec
	v_lshl_add_u64 v[14:15], v[14:15], 0, 1
	v_lshl_add_u64 v[16:17], v[16:17], 0, 1
	s_or_b64 s[30:31], s[30:31], s[38:39]
	s_andn2_b64 s[34:35], s[34:35], exec
	s_or_b64 s[28:29], s[28:29], s[0:1]
                                        ; implicit-def: $sgpr0_sgpr1
	s_branch .LBB10_278
.LBB10_281:
	s_or_b64 exec, exec, s[24:25]
	s_xor_b64 s[0:1], s[26:27], -1
	s_orn2_b64 s[0:1], s[0:1], exec
.LBB10_282:
	s_or_b64 exec, exec, s[22:23]
	s_and_b64 s[22:23], s[0:1], exec
.LBB10_283:
	s_or_b64 exec, exec, s[18:19]
	s_orn2_b64 s[18:19], s[22:23], exec
.LBB10_284:
	s_or_b64 exec, exec, s[20:21]
	v_cndmask_b32_e64 v12, v66, v67, s[18:19]
	v_cndmask_b32_e64 v14, v98, v97, s[18:19]
	v_add_u32_e32 v15, 1, v12
	v_add_u32_e32 v12, -1, v14
	v_min_u32_e32 v12, v15, v12
	v_lshl_add_u64 v[12:13], v[12:13], 3, v[54:55]
	flat_load_dwordx2 v[12:13], v[12:13]
	v_cndmask_b32_e64 v18, v15, v66, s[18:19]
	v_cndmask_b32_e64 v19, v67, v15, s[18:19]
	v_cmp_lt_u32_e64 s[0:1], v18, v98
	s_waitcnt vmcnt(0) lgkmcnt(0)
	v_cndmask_b32_e64 v84, v13, v80, s[18:19]
	v_cndmask_b32_e64 v85, v12, v81, s[18:19]
	;; [unrolled: 1-line block ×4, first 2 shown]
	s_and_saveexec_b64 s[20:21], s[0:1]
	s_cbranch_execz .LBB10_294
; %bb.285:
	v_cmp_lt_u32_e64 s[0:1], v19, v97
	s_mov_b64 s[22:23], 0
	s_and_saveexec_b64 s[16:17], s[0:1]
	s_cbranch_execz .LBB10_293
; %bb.286:
	s_mov_b64 s[0:1], -1
	s_and_saveexec_b64 s[22:23], vcc
	s_cbranch_execz .LBB10_292
; %bb.287:
	v_mad_u64_u32 v[12:13], s[0:1], v87, v6, v[8:9]
	v_mul_lo_u32 v14, v87, v7
	v_mul_lo_u32 v15, v86, v6
	v_add3_u32 v13, v15, v13, v14
	v_mad_u64_u32 v[14:15], s[0:1], v85, v6, v[8:9]
	v_mul_lo_u32 v16, v85, v7
	v_mul_lo_u32 v17, v84, v6
	v_add3_u32 v15, v17, v15, v16
	s_mov_b64 s[24:25], 0
	v_mov_b64_e32 v[16:17], v[6:7]
                                        ; implicit-def: $sgpr26_sgpr27
                                        ; implicit-def: $sgpr28_sgpr29
                                        ; implicit-def: $sgpr34_sgpr35
                                        ; implicit-def: $sgpr30_sgpr31
                                        ; implicit-def: $sgpr0_sgpr1
	s_branch .LBB10_289
.LBB10_288:                             ;   in Loop: Header=BB10_289 Depth=1
	s_or_b64 exec, exec, s[36:37]
	s_and_b64 s[36:37], exec, s[28:29]
	s_or_b64 s[24:25], s[36:37], s[24:25]
	s_andn2_b64 s[0:1], s[0:1], exec
	s_and_b64 s[36:37], s[30:31], exec
	s_or_b64 s[0:1], s[0:1], s[36:37]
	s_andn2_b64 s[26:27], s[26:27], exec
	s_and_b64 s[36:37], s[34:35], exec
	s_or_b64 s[26:27], s[26:27], s[36:37]
	s_andn2_b64 exec, exec, s[24:25]
	s_cbranch_execz .LBB10_291
.LBB10_289:                             ; =>This Inner Loop Header: Depth=1
	flat_load_ubyte v66, v[14:15]
	flat_load_ubyte v67, v[12:13]
	s_andn2_b64 s[34:35], s[34:35], exec
	s_andn2_b64 s[30:31], s[30:31], exec
	s_or_b64 s[28:29], s[28:29], exec
	s_waitcnt vmcnt(0) lgkmcnt(0)
	v_cmp_le_u16_sdwa s[38:39], v66, v67 src0_sel:BYTE_0 src1_sel:BYTE_0
	v_cmp_lt_u16_sdwa s[36:37], v66, v67 src0_sel:BYTE_0 src1_sel:BYTE_0
	s_and_b64 s[38:39], s[38:39], s[0:1]
	s_or_b64 s[38:39], s[36:37], s[38:39]
	s_and_b64 s[36:37], s[38:39], exec
	v_cmp_eq_u16_sdwa s[40:41], v66, v67 src0_sel:BYTE_0 src1_sel:BYTE_0
	s_or_b64 s[34:35], s[34:35], s[36:37]
	s_and_saveexec_b64 s[36:37], s[40:41]
	s_cbranch_execz .LBB10_288
; %bb.290:                              ;   in Loop: Header=BB10_289 Depth=1
	v_lshl_add_u64 v[16:17], v[16:17], 0, -1
	v_cmp_eq_u64_e64 s[0:1], 0, v[16:17]
	s_andn2_b64 s[30:31], s[30:31], exec
	s_and_b64 s[38:39], s[38:39], exec
	s_andn2_b64 s[28:29], s[28:29], exec
	s_and_b64 s[0:1], s[0:1], exec
	v_lshl_add_u64 v[12:13], v[12:13], 0, 1
	v_lshl_add_u64 v[14:15], v[14:15], 0, 1
	s_or_b64 s[30:31], s[30:31], s[38:39]
	s_andn2_b64 s[34:35], s[34:35], exec
	s_or_b64 s[28:29], s[28:29], s[0:1]
                                        ; implicit-def: $sgpr0_sgpr1
	s_branch .LBB10_288
.LBB10_291:
	s_or_b64 exec, exec, s[24:25]
	s_xor_b64 s[0:1], s[26:27], -1
	s_orn2_b64 s[0:1], s[0:1], exec
.LBB10_292:
	s_or_b64 exec, exec, s[22:23]
	s_and_b64 s[22:23], s[0:1], exec
.LBB10_293:
	s_or_b64 exec, exec, s[16:17]
	s_orn2_b64 s[16:17], s[22:23], exec
.LBB10_294:
	s_or_b64 exec, exec, s[20:21]
	v_cndmask_b32_e64 v12, v18, v19, s[16:17]
	v_cndmask_b32_e64 v13, v98, v97, s[16:17]
	v_add_u32_e32 v16, 1, v12
	v_add_u32_e32 v12, -1, v13
	v_min_u32_e32 v12, v16, v12
	v_mov_b32_e32 v13, 0
	v_lshl_add_u64 v[14:15], v[12:13], 3, v[54:55]
	flat_load_dwordx2 v[14:15], v[14:15]
	v_cndmask_b32_e64 v66, v16, v18, s[16:17]
	s_mov_b64 s[20:21], -1
	v_cndmask_b32_e64 v67, v19, v16, s[16:17]
	v_cmp_lt_u32_e64 s[0:1], v66, v98
	s_mov_b64 s[22:23], -1
	s_waitcnt vmcnt(0) lgkmcnt(0)
	v_cndmask_b32_e64 v99, v15, v84, s[16:17]
	v_cndmask_b32_e64 v100, v14, v85, s[16:17]
	;; [unrolled: 1-line block ×4, first 2 shown]
	s_and_saveexec_b64 s[24:25], s[0:1]
	s_cbranch_execz .LBB10_304
; %bb.295:
	v_cmp_lt_u32_e64 s[0:1], v67, v97
	s_mov_b64 s[26:27], 0
	s_and_saveexec_b64 s[22:23], s[0:1]
	s_cbranch_execz .LBB10_303
; %bb.296:
	s_mov_b64 s[0:1], -1
	s_and_saveexec_b64 s[26:27], vcc
	s_cbranch_execz .LBB10_302
; %bb.297:
	v_mad_u64_u32 v[14:15], s[0:1], v102, v6, v[8:9]
	v_mul_lo_u32 v12, v102, v7
	v_mul_lo_u32 v16, v101, v6
	v_add3_u32 v15, v16, v15, v12
	v_mad_u64_u32 v[16:17], s[0:1], v100, v6, v[8:9]
	v_mul_lo_u32 v12, v100, v7
	v_mul_lo_u32 v18, v99, v6
	v_add3_u32 v17, v18, v17, v12
	s_mov_b64 s[28:29], 0
	v_mov_b64_e32 v[18:19], v[6:7]
                                        ; implicit-def: $sgpr30_sgpr31
                                        ; implicit-def: $sgpr34_sgpr35
                                        ; implicit-def: $sgpr38_sgpr39
                                        ; implicit-def: $sgpr36_sgpr37
                                        ; implicit-def: $sgpr0_sgpr1
	s_branch .LBB10_299
.LBB10_298:                             ;   in Loop: Header=BB10_299 Depth=1
	s_or_b64 exec, exec, s[40:41]
	s_and_b64 s[40:41], exec, s[34:35]
	s_or_b64 s[28:29], s[40:41], s[28:29]
	s_andn2_b64 s[0:1], s[0:1], exec
	s_and_b64 s[40:41], s[36:37], exec
	s_or_b64 s[0:1], s[0:1], s[40:41]
	s_andn2_b64 s[30:31], s[30:31], exec
	s_and_b64 s[40:41], s[38:39], exec
	s_or_b64 s[30:31], s[30:31], s[40:41]
	s_andn2_b64 exec, exec, s[28:29]
	s_cbranch_execz .LBB10_301
.LBB10_299:                             ; =>This Inner Loop Header: Depth=1
	flat_load_ubyte v12, v[16:17]
	flat_load_ubyte v103, v[14:15]
	s_andn2_b64 s[38:39], s[38:39], exec
	s_andn2_b64 s[36:37], s[36:37], exec
	s_or_b64 s[34:35], s[34:35], exec
	s_waitcnt vmcnt(0) lgkmcnt(0)
	v_cmp_le_u16_sdwa s[42:43], v12, v103 src0_sel:BYTE_0 src1_sel:BYTE_0
	v_cmp_lt_u16_sdwa s[40:41], v12, v103 src0_sel:BYTE_0 src1_sel:BYTE_0
	s_and_b64 s[42:43], s[42:43], s[0:1]
	s_or_b64 s[42:43], s[40:41], s[42:43]
	s_and_b64 s[40:41], s[42:43], exec
	v_cmp_eq_u16_sdwa s[44:45], v12, v103 src0_sel:BYTE_0 src1_sel:BYTE_0
	s_or_b64 s[38:39], s[38:39], s[40:41]
	s_and_saveexec_b64 s[40:41], s[44:45]
	s_cbranch_execz .LBB10_298
; %bb.300:                              ;   in Loop: Header=BB10_299 Depth=1
	v_lshl_add_u64 v[18:19], v[18:19], 0, -1
	v_cmp_eq_u64_e64 s[0:1], 0, v[18:19]
	s_andn2_b64 s[36:37], s[36:37], exec
	s_and_b64 s[42:43], s[42:43], exec
	s_andn2_b64 s[34:35], s[34:35], exec
	s_and_b64 s[0:1], s[0:1], exec
	v_lshl_add_u64 v[14:15], v[14:15], 0, 1
	v_lshl_add_u64 v[16:17], v[16:17], 0, 1
	s_or_b64 s[36:37], s[36:37], s[42:43]
	s_andn2_b64 s[38:39], s[38:39], exec
	s_or_b64 s[34:35], s[34:35], s[0:1]
                                        ; implicit-def: $sgpr0_sgpr1
	s_branch .LBB10_298
.LBB10_301:
	s_or_b64 exec, exec, s[28:29]
	s_xor_b64 s[0:1], s[30:31], -1
	s_orn2_b64 s[0:1], s[0:1], exec
.LBB10_302:
	s_or_b64 exec, exec, s[26:27]
	s_and_b64 s[26:27], s[0:1], exec
.LBB10_303:
	s_or_b64 exec, exec, s[22:23]
	s_orn2_b64 s[22:23], s[26:27], exec
.LBB10_304:
	s_or_b64 exec, exec, s[24:25]
	v_cndmask_b32_e64 v12, v66, v67, s[22:23]
	v_cndmask_b32_e64 v14, v98, v97, s[22:23]
	v_add_u32_e32 v15, 1, v12
	v_add_u32_e32 v12, -1, v14
	v_min_u32_e32 v12, v15, v12
	v_lshl_add_u64 v[12:13], v[12:13], 3, v[54:55]
	flat_load_dwordx2 v[12:13], v[12:13]
	v_cndmask_b32_e64 v114, v15, v66, s[22:23]
	v_cndmask_b32_e64 v103, v67, v15, s[22:23]
	v_cmp_lt_u32_e64 s[0:1], v114, v98
	s_waitcnt vmcnt(0) lgkmcnt(0)
	v_cndmask_b32_e64 v112, v13, v99, s[22:23]
	v_cndmask_b32_e64 v113, v12, v100, s[22:23]
	;; [unrolled: 1-line block ×4, first 2 shown]
	s_and_saveexec_b64 s[24:25], s[0:1]
	s_cbranch_execz .LBB10_314
; %bb.305:
	v_cmp_lt_u32_e64 s[0:1], v103, v97
	s_mov_b64 s[26:27], 0
	s_and_saveexec_b64 s[20:21], s[0:1]
	s_cbranch_execz .LBB10_313
; %bb.306:
	s_mov_b64 s[0:1], -1
	s_and_saveexec_b64 s[26:27], vcc
	s_cbranch_execz .LBB10_312
; %bb.307:
	v_mad_u64_u32 v[12:13], s[0:1], v116, v6, v[8:9]
	v_mul_lo_u32 v14, v116, v7
	v_mul_lo_u32 v15, v115, v6
	v_add3_u32 v13, v15, v13, v14
	v_mad_u64_u32 v[14:15], s[0:1], v113, v6, v[8:9]
	v_mul_lo_u32 v16, v113, v7
	v_mul_lo_u32 v17, v112, v6
	v_add3_u32 v15, v17, v15, v16
	s_mov_b64 s[28:29], 0
	v_mov_b64_e32 v[16:17], v[6:7]
                                        ; implicit-def: $sgpr30_sgpr31
                                        ; implicit-def: $sgpr34_sgpr35
                                        ; implicit-def: $sgpr38_sgpr39
                                        ; implicit-def: $sgpr36_sgpr37
                                        ; implicit-def: $sgpr0_sgpr1
	s_branch .LBB10_309
.LBB10_308:                             ;   in Loop: Header=BB10_309 Depth=1
	s_or_b64 exec, exec, s[40:41]
	s_and_b64 s[40:41], exec, s[34:35]
	s_or_b64 s[28:29], s[40:41], s[28:29]
	s_andn2_b64 s[0:1], s[0:1], exec
	s_and_b64 s[40:41], s[36:37], exec
	s_or_b64 s[0:1], s[0:1], s[40:41]
	s_andn2_b64 s[30:31], s[30:31], exec
	s_and_b64 s[40:41], s[38:39], exec
	s_or_b64 s[30:31], s[30:31], s[40:41]
	s_andn2_b64 exec, exec, s[28:29]
	s_cbranch_execz .LBB10_311
.LBB10_309:                             ; =>This Inner Loop Header: Depth=1
	flat_load_ubyte v18, v[14:15]
	flat_load_ubyte v19, v[12:13]
	s_andn2_b64 s[38:39], s[38:39], exec
	s_andn2_b64 s[36:37], s[36:37], exec
	s_or_b64 s[34:35], s[34:35], exec
	s_waitcnt vmcnt(0) lgkmcnt(0)
	v_cmp_le_u16_sdwa s[42:43], v18, v19 src0_sel:BYTE_0 src1_sel:BYTE_0
	v_cmp_lt_u16_sdwa s[40:41], v18, v19 src0_sel:BYTE_0 src1_sel:BYTE_0
	s_and_b64 s[42:43], s[42:43], s[0:1]
	s_or_b64 s[42:43], s[40:41], s[42:43]
	s_and_b64 s[40:41], s[42:43], exec
	v_cmp_eq_u16_sdwa s[44:45], v18, v19 src0_sel:BYTE_0 src1_sel:BYTE_0
	s_or_b64 s[38:39], s[38:39], s[40:41]
	s_and_saveexec_b64 s[40:41], s[44:45]
	s_cbranch_execz .LBB10_308
; %bb.310:                              ;   in Loop: Header=BB10_309 Depth=1
	v_lshl_add_u64 v[16:17], v[16:17], 0, -1
	v_cmp_eq_u64_e64 s[0:1], 0, v[16:17]
	s_andn2_b64 s[36:37], s[36:37], exec
	s_and_b64 s[42:43], s[42:43], exec
	s_andn2_b64 s[34:35], s[34:35], exec
	s_and_b64 s[0:1], s[0:1], exec
	v_lshl_add_u64 v[12:13], v[12:13], 0, 1
	v_lshl_add_u64 v[14:15], v[14:15], 0, 1
	s_or_b64 s[36:37], s[36:37], s[42:43]
	s_andn2_b64 s[38:39], s[38:39], exec
	s_or_b64 s[34:35], s[34:35], s[0:1]
                                        ; implicit-def: $sgpr0_sgpr1
	s_branch .LBB10_308
.LBB10_311:
	s_or_b64 exec, exec, s[28:29]
	s_xor_b64 s[0:1], s[30:31], -1
	s_orn2_b64 s[0:1], s[0:1], exec
.LBB10_312:
	s_or_b64 exec, exec, s[26:27]
	s_and_b64 s[26:27], s[0:1], exec
.LBB10_313:
	s_or_b64 exec, exec, s[20:21]
	s_orn2_b64 s[20:21], s[26:27], exec
.LBB10_314:
	s_or_b64 exec, exec, s[24:25]
	v_cndmask_b32_e64 v12, v114, v103, s[20:21]
	v_cndmask_b32_e64 v13, v98, v97, s[20:21]
	v_add_u32_e32 v117, 1, v12
	v_add_u32_e32 v12, -1, v13
	v_min_u32_e32 v12, v117, v12
	v_mov_b32_e32 v13, 0
	v_lshl_add_u64 v[12:13], v[12:13], 3, v[54:55]
	flat_load_dwordx2 v[66:67], v[12:13]
	v_cndmask_b32_e64 v17, v23, v70, s[2:3]
	v_cndmask_b32_e64 v23, v20, v22, s[14:15]
	;; [unrolled: 1-line block ×15, first 2 shown]
	v_cmp_lt_u32_e64 s[0:1], v68, v98
	s_waitcnt vmcnt(0) lgkmcnt(0)
	v_cndmask_b32_e64 v3, v115, v67, s[20:21]
	v_cndmask_b32_e64 v2, v116, v66, s[20:21]
	s_and_saveexec_b64 s[2:3], s[0:1]
	s_cbranch_execz .LBB10_324
; %bb.315:
	v_cndmask_b32_e64 v68, v103, v117, s[20:21]
	v_cndmask_b32_e64 v67, v67, v112, s[20:21]
	;; [unrolled: 1-line block ×3, first 2 shown]
	v_cmp_lt_u32_e64 s[0:1], v68, v97
	s_and_saveexec_b64 s[10:11], s[0:1]
	s_cbranch_execz .LBB10_323
; %bb.316:
	s_and_saveexec_b64 s[14:15], vcc
	s_cbranch_execz .LBB10_322
; %bb.317:
	v_mad_u64_u32 v[68:69], s[0:1], v2, v6, v[8:9]
	v_mul_lo_u32 v70, v2, v7
	v_mul_lo_u32 v71, v3, v6
	v_add3_u32 v69, v71, v69, v70
	v_mad_u64_u32 v[70:71], s[0:1], v66, v6, v[8:9]
	v_mul_lo_u32 v80, v66, v7
	v_mul_lo_u32 v81, v67, v6
	v_add3_u32 v71, v81, v71, v80
	s_mov_b64 s[16:17], 0
	v_mov_b64_e32 v[80:81], v[6:7]
                                        ; implicit-def: $sgpr18_sgpr19
                                        ; implicit-def: $sgpr20_sgpr21
                                        ; implicit-def: $sgpr24_sgpr25
                                        ; implicit-def: $sgpr22_sgpr23
                                        ; implicit-def: $sgpr0_sgpr1
	s_branch .LBB10_319
.LBB10_318:                             ;   in Loop: Header=BB10_319 Depth=1
	s_or_b64 exec, exec, s[26:27]
	s_and_b64 s[26:27], exec, s[20:21]
	s_or_b64 s[16:17], s[26:27], s[16:17]
	s_andn2_b64 s[0:1], s[0:1], exec
	s_and_b64 s[26:27], s[22:23], exec
	s_or_b64 s[0:1], s[0:1], s[26:27]
	s_andn2_b64 s[18:19], s[18:19], exec
	s_and_b64 s[26:27], s[24:25], exec
	s_or_b64 s[18:19], s[18:19], s[26:27]
	s_andn2_b64 exec, exec, s[16:17]
	s_cbranch_execz .LBB10_321
.LBB10_319:                             ; =>This Inner Loop Header: Depth=1
	flat_load_ubyte v82, v[70:71]
	flat_load_ubyte v83, v[68:69]
	s_andn2_b64 s[24:25], s[24:25], exec
	s_andn2_b64 s[22:23], s[22:23], exec
	s_or_b64 s[20:21], s[20:21], exec
	s_waitcnt vmcnt(0) lgkmcnt(0)
	v_cmp_le_u16_sdwa s[28:29], v82, v83 src0_sel:BYTE_0 src1_sel:BYTE_0
	v_cmp_lt_u16_sdwa s[26:27], v82, v83 src0_sel:BYTE_0 src1_sel:BYTE_0
	s_and_b64 s[28:29], s[28:29], s[0:1]
	s_or_b64 s[28:29], s[26:27], s[28:29]
	s_and_b64 s[26:27], s[28:29], exec
	v_cmp_eq_u16_sdwa s[30:31], v82, v83 src0_sel:BYTE_0 src1_sel:BYTE_0
	s_or_b64 s[24:25], s[24:25], s[26:27]
	s_and_saveexec_b64 s[26:27], s[30:31]
	s_cbranch_execz .LBB10_318
; %bb.320:                              ;   in Loop: Header=BB10_319 Depth=1
	v_lshl_add_u64 v[80:81], v[80:81], 0, -1
	v_cmp_eq_u64_e64 s[0:1], 0, v[80:81]
	s_andn2_b64 s[22:23], s[22:23], exec
	s_and_b64 s[28:29], s[28:29], exec
	s_andn2_b64 s[20:21], s[20:21], exec
	s_and_b64 s[0:1], s[0:1], exec
	v_lshl_add_u64 v[68:69], v[68:69], 0, 1
	v_lshl_add_u64 v[70:71], v[70:71], 0, 1
	s_or_b64 s[22:23], s[22:23], s[28:29]
	s_andn2_b64 s[24:25], s[24:25], exec
	s_or_b64 s[20:21], s[20:21], s[0:1]
                                        ; implicit-def: $sgpr0_sgpr1
	s_branch .LBB10_318
.LBB10_321:
	s_or_b64 exec, exec, s[16:17]
	v_cndmask_b32_e64 v3, v3, v67, s[18:19]
	v_cndmask_b32_e64 v2, v2, v66, s[18:19]
.LBB10_322:
	s_or_b64 exec, exec, s[14:15]
	v_mov_b64_e32 v[66:67], v[2:3]
.LBB10_323:
	s_or_b64 exec, exec, s[10:11]
	v_mov_b64_e32 v[2:3], v[66:67]
.LBB10_324:
	s_or_b64 exec, exec, s[2:3]
.LBB10_325:
	s_or_b64 exec, exec, s[6:7]
	v_and_b32_e32 v99, 0x3e0, v96
	v_or_b32_e32 v66, 16, v99
	v_min_u32_e32 v97, v31, v66
	v_add_u32_e32 v66, 16, v97
	v_min_u32_e32 v98, v31, v66
	v_and_b32_e32 v66, 24, v96
	v_min_u32_e32 v100, v31, v66
	v_sub_u32_e32 v66, v97, v99
	v_sub_u32_e32 v67, v98, v97
	v_sub_u32_e64 v101, v100, v67 clamp
	v_min_u32_e32 v102, v100, v66
	v_cmp_lt_u32_e64 s[0:1], v101, v102
	; wave barrier
	flat_store_dwordx4 v[64:65], v[20:23]
	flat_store_dwordx4 v[64:65], v[16:19] offset:16
	flat_store_dwordx4 v[64:65], v[12:15] offset:32
	;; [unrolled: 1-line block ×3, first 2 shown]
	; wave barrier
	s_and_saveexec_b64 s[2:3], s[0:1]
	s_cbranch_execz .LBB10_335
; %bb.326:
	v_lshlrev_b32_e32 v66, 3, v99
	v_mov_b32_e32 v67, 0
	v_lshl_add_u64 v[68:69], v[54:55], 0, v[66:67]
	v_lshlrev_b32_e32 v66, 3, v97
	v_lshl_add_u64 v[70:71], v[54:55], 0, v[66:67]
	s_mov_b64 s[6:7], 0
	s_branch .LBB10_329
.LBB10_327:                             ;   in Loop: Header=BB10_329 Depth=1
	s_or_b64 exec, exec, s[14:15]
	s_and_b64 s[0:1], s[16:17], exec
.LBB10_328:                             ;   in Loop: Header=BB10_329 Depth=1
	s_or_b64 exec, exec, s[10:11]
	v_add_u32_e32 v66, 1, v80
	v_cndmask_b32_e64 v102, v102, v80, s[0:1]
	v_cndmask_b32_e64 v101, v66, v101, s[0:1]
	v_cmp_ge_u32_e64 s[0:1], v101, v102
	s_or_b64 s[6:7], s[0:1], s[6:7]
	s_andn2_b64 exec, exec, s[6:7]
	s_cbranch_execz .LBB10_334
.LBB10_329:                             ; =>This Loop Header: Depth=1
                                        ;     Child Loop BB10_332 Depth 2
	v_add_u32_e32 v66, v102, v101
	v_lshrrev_b32_e32 v80, 1, v66
	s_mov_b64 s[0:1], 0
	s_and_saveexec_b64 s[10:11], vcc
	s_cbranch_execz .LBB10_328
; %bb.330:                              ;   in Loop: Header=BB10_329 Depth=1
	v_mov_b32_e32 v81, v67
	v_xad_u32 v66, v80, -1, v100
	v_lshl_add_u64 v[82:83], v[80:81], 3, v[68:69]
	v_lshl_add_u64 v[84:85], v[66:67], 3, v[70:71]
	flat_load_dwordx2 v[82:83], v[82:83]
	s_mov_b64 s[14:15], 0
	flat_load_dwordx2 v[84:85], v[84:85]
                                        ; implicit-def: $sgpr16_sgpr17
                                        ; implicit-def: $sgpr18_sgpr19
                                        ; implicit-def: $sgpr20_sgpr21
                                        ; implicit-def: $sgpr22_sgpr23
                                        ; implicit-def: $sgpr0_sgpr1
	s_waitcnt vmcnt(0) lgkmcnt(0)
	v_mul_lo_u32 v66, v82, v7
	v_mul_lo_u32 v81, v83, v6
	v_mad_u64_u32 v[82:83], s[24:25], v82, v6, v[8:9]
	v_mul_lo_u32 v86, v84, v7
	v_mul_lo_u32 v87, v85, v6
	v_mad_u64_u32 v[84:85], s[24:25], v84, v6, v[8:9]
	v_add3_u32 v83, v81, v83, v66
	v_add3_u32 v85, v87, v85, v86
	v_mov_b64_e32 v[86:87], v[6:7]
	s_branch .LBB10_332
.LBB10_331:                             ;   in Loop: Header=BB10_332 Depth=2
	s_or_b64 exec, exec, s[24:25]
	s_and_b64 s[24:25], exec, s[18:19]
	s_or_b64 s[14:15], s[24:25], s[14:15]
	s_andn2_b64 s[0:1], s[0:1], exec
	s_and_b64 s[24:25], s[20:21], exec
	s_or_b64 s[0:1], s[0:1], s[24:25]
	s_andn2_b64 s[16:17], s[16:17], exec
	s_and_b64 s[24:25], s[22:23], exec
	s_or_b64 s[16:17], s[16:17], s[24:25]
	s_andn2_b64 exec, exec, s[14:15]
	s_cbranch_execz .LBB10_327
.LBB10_332:                             ;   Parent Loop BB10_329 Depth=1
                                        ; =>  This Inner Loop Header: Depth=2
	flat_load_ubyte v66, v[84:85]
	flat_load_ubyte v81, v[82:83]
	s_andn2_b64 s[22:23], s[22:23], exec
	s_andn2_b64 s[20:21], s[20:21], exec
	s_or_b64 s[18:19], s[18:19], exec
	s_waitcnt vmcnt(0) lgkmcnt(0)
	v_cmp_le_u16_sdwa s[26:27], v66, v81 src0_sel:BYTE_0 src1_sel:BYTE_0
	v_cmp_lt_u16_sdwa s[24:25], v66, v81 src0_sel:BYTE_0 src1_sel:BYTE_0
	s_and_b64 s[26:27], s[26:27], s[0:1]
	s_or_b64 s[26:27], s[24:25], s[26:27]
	s_and_b64 s[24:25], s[26:27], exec
	v_cmp_eq_u16_sdwa s[28:29], v66, v81 src0_sel:BYTE_0 src1_sel:BYTE_0
	s_or_b64 s[22:23], s[22:23], s[24:25]
	s_and_saveexec_b64 s[24:25], s[28:29]
	s_cbranch_execz .LBB10_331
; %bb.333:                              ;   in Loop: Header=BB10_332 Depth=2
	v_lshl_add_u64 v[86:87], v[86:87], 0, -1
	v_cmp_eq_u64_e64 s[0:1], 0, v[86:87]
	s_andn2_b64 s[20:21], s[20:21], exec
	s_and_b64 s[26:27], s[26:27], exec
	s_andn2_b64 s[18:19], s[18:19], exec
	s_and_b64 s[0:1], s[0:1], exec
	v_lshl_add_u64 v[82:83], v[82:83], 0, 1
	v_lshl_add_u64 v[84:85], v[84:85], 0, 1
	s_andn2_b64 s[22:23], s[22:23], exec
	s_or_b64 s[20:21], s[20:21], s[26:27]
	s_or_b64 s[18:19], s[18:19], s[0:1]
                                        ; implicit-def: $sgpr0_sgpr1
	s_branch .LBB10_331
.LBB10_334:
	s_or_b64 exec, exec, s[6:7]
.LBB10_335:
	s_or_b64 exec, exec, s[2:3]
	v_add_u32_e32 v67, v97, v100
	v_add_u32_e32 v66, v101, v99
	v_sub_u32_e32 v68, v67, v101
	v_cmp_le_u32_e64 s[0:1], v66, v97
	v_cmp_le_u32_e64 s[2:3], v68, v98
	s_or_b64 s[0:1], s[0:1], s[2:3]
	s_and_saveexec_b64 s[6:7], s[0:1]
	s_cbranch_execz .LBB10_419
; %bb.336:
	v_cmp_ge_u32_e64 s[0:1], v66, v97
	v_cmp_lt_u32_e64 s[2:3], v66, v97
                                        ; implicit-def: $vgpr0_vgpr1
	s_and_saveexec_b64 s[10:11], s[2:3]
	s_cbranch_execz .LBB10_338
; %bb.337:
	v_mov_b32_e32 v67, 0
	v_lshl_add_u64 v[0:1], v[66:67], 3, v[54:55]
	flat_load_dwordx2 v[0:1], v[0:1]
.LBB10_338:
	s_or_b64 exec, exec, s[10:11]
	v_cmp_ge_u32_e64 s[10:11], v68, v98
	v_cmp_lt_u32_e64 s[2:3], v68, v98
                                        ; implicit-def: $vgpr2_vgpr3
	s_and_saveexec_b64 s[14:15], s[2:3]
	s_cbranch_execz .LBB10_340
; %bb.339:
	v_mov_b32_e32 v69, 0
	v_lshl_add_u64 v[2:3], v[68:69], 3, v[54:55]
	flat_load_dwordx2 v[2:3], v[2:3]
.LBB10_340:
	s_or_b64 exec, exec, s[14:15]
	s_or_b64 s[0:1], s[0:1], s[10:11]
	s_xor_b64 s[0:1], s[0:1], -1
	s_and_saveexec_b64 s[2:3], s[0:1]
	s_cbranch_execz .LBB10_348
; %bb.341:
	s_mov_b64 s[0:1], 0
	s_and_saveexec_b64 s[14:15], vcc
	s_cbranch_execz .LBB10_347
; %bb.342:
	s_waitcnt vmcnt(0) lgkmcnt(0)
	v_mad_u64_u32 v[12:13], s[0:1], v0, v6, v[8:9]
	v_mul_lo_u32 v14, v0, v7
	v_mul_lo_u32 v15, v1, v6
	v_add3_u32 v13, v15, v13, v14
	v_mad_u64_u32 v[14:15], s[0:1], v2, v6, v[8:9]
	v_mul_lo_u32 v16, v2, v7
	v_mul_lo_u32 v17, v3, v6
	v_add3_u32 v15, v17, v15, v16
	s_mov_b64 s[16:17], 0
	v_mov_b64_e32 v[16:17], v[6:7]
                                        ; implicit-def: $sgpr18_sgpr19
                                        ; implicit-def: $sgpr20_sgpr21
                                        ; implicit-def: $sgpr22_sgpr23
                                        ; implicit-def: $sgpr24_sgpr25
                                        ; implicit-def: $sgpr0_sgpr1
	s_branch .LBB10_344
.LBB10_343:                             ;   in Loop: Header=BB10_344 Depth=1
	s_or_b64 exec, exec, s[26:27]
	s_and_b64 s[26:27], exec, s[20:21]
	s_or_b64 s[16:17], s[26:27], s[16:17]
	s_andn2_b64 s[0:1], s[0:1], exec
	s_and_b64 s[26:27], s[22:23], exec
	s_or_b64 s[0:1], s[0:1], s[26:27]
	s_andn2_b64 s[18:19], s[18:19], exec
	s_and_b64 s[26:27], s[24:25], exec
	s_or_b64 s[18:19], s[18:19], s[26:27]
	s_andn2_b64 exec, exec, s[16:17]
	s_cbranch_execz .LBB10_346
.LBB10_344:                             ; =>This Inner Loop Header: Depth=1
	flat_load_ubyte v18, v[14:15]
	flat_load_ubyte v19, v[12:13]
	s_andn2_b64 s[24:25], s[24:25], exec
	s_andn2_b64 s[22:23], s[22:23], exec
	s_or_b64 s[20:21], s[20:21], exec
	s_waitcnt vmcnt(0) lgkmcnt(0)
	v_cmp_le_u16_sdwa s[28:29], v18, v19 src0_sel:BYTE_0 src1_sel:BYTE_0
	v_cmp_lt_u16_sdwa s[26:27], v18, v19 src0_sel:BYTE_0 src1_sel:BYTE_0
	s_and_b64 s[28:29], s[28:29], s[0:1]
	s_or_b64 s[28:29], s[26:27], s[28:29]
	s_and_b64 s[26:27], s[28:29], exec
	v_cmp_eq_u16_sdwa s[30:31], v18, v19 src0_sel:BYTE_0 src1_sel:BYTE_0
	s_or_b64 s[24:25], s[24:25], s[26:27]
	s_and_saveexec_b64 s[26:27], s[30:31]
	s_cbranch_execz .LBB10_343
; %bb.345:                              ;   in Loop: Header=BB10_344 Depth=1
	v_lshl_add_u64 v[16:17], v[16:17], 0, -1
	v_cmp_eq_u64_e64 s[0:1], 0, v[16:17]
	s_andn2_b64 s[22:23], s[22:23], exec
	s_and_b64 s[28:29], s[28:29], exec
	s_andn2_b64 s[20:21], s[20:21], exec
	s_and_b64 s[0:1], s[0:1], exec
	v_lshl_add_u64 v[12:13], v[12:13], 0, 1
	v_lshl_add_u64 v[14:15], v[14:15], 0, 1
	s_andn2_b64 s[24:25], s[24:25], exec
	s_or_b64 s[22:23], s[22:23], s[28:29]
	s_or_b64 s[20:21], s[20:21], s[0:1]
                                        ; implicit-def: $sgpr0_sgpr1
	s_branch .LBB10_343
.LBB10_346:
	s_or_b64 exec, exec, s[16:17]
	s_and_b64 s[0:1], s[18:19], exec
.LBB10_347:
	s_or_b64 exec, exec, s[14:15]
	s_xor_b64 s[0:1], s[0:1], -1
	s_andn2_b64 s[10:11], s[10:11], exec
	s_and_b64 s[0:1], s[0:1], exec
	s_or_b64 s[10:11], s[10:11], s[0:1]
.LBB10_348:
	s_or_b64 exec, exec, s[2:3]
	v_cndmask_b32_e64 v12, v68, v66, s[10:11]
	v_cndmask_b32_e64 v13, v98, v97, s[10:11]
	v_add_u32_e32 v16, 1, v12
	v_add_u32_e32 v12, -1, v13
	v_min_u32_e32 v12, v16, v12
	v_mov_b32_e32 v13, 0
	v_lshl_add_u64 v[14:15], v[12:13], 3, v[54:55]
	flat_load_dwordx2 v[14:15], v[14:15]
	v_cndmask_b32_e64 v23, v16, v68, s[10:11]
	s_mov_b64 s[2:3], -1
	v_cndmask_b32_e64 v66, v66, v16, s[10:11]
	v_cmp_lt_u32_e64 s[0:1], v23, v98
	s_mov_b64 s[14:15], -1
	s_waitcnt vmcnt(0) lgkmcnt(0)
	v_cndmask_b32_e64 v20, v15, v3, s[10:11]
	v_cndmask_b32_e64 v21, v14, v2, s[10:11]
	;; [unrolled: 1-line block ×4, first 2 shown]
	s_and_saveexec_b64 s[16:17], s[0:1]
	s_cbranch_execz .LBB10_358
; %bb.349:
	v_cmp_lt_u32_e64 s[0:1], v66, v97
	s_mov_b64 s[18:19], 0
	s_and_saveexec_b64 s[14:15], s[0:1]
	s_cbranch_execz .LBB10_357
; %bb.350:
	s_mov_b64 s[0:1], 0
	s_and_saveexec_b64 s[18:19], vcc
	s_cbranch_execz .LBB10_356
; %bb.351:
	v_mad_u64_u32 v[14:15], s[0:1], v68, v6, v[8:9]
	v_mul_lo_u32 v12, v68, v7
	v_mul_lo_u32 v16, v22, v6
	v_add3_u32 v15, v16, v15, v12
	v_mad_u64_u32 v[16:17], s[0:1], v21, v6, v[8:9]
	v_mul_lo_u32 v12, v21, v7
	v_mul_lo_u32 v18, v20, v6
	v_add3_u32 v17, v18, v17, v12
	s_mov_b64 s[20:21], 0
	v_mov_b64_e32 v[18:19], v[6:7]
                                        ; implicit-def: $sgpr22_sgpr23
                                        ; implicit-def: $sgpr24_sgpr25
                                        ; implicit-def: $sgpr26_sgpr27
                                        ; implicit-def: $sgpr28_sgpr29
                                        ; implicit-def: $sgpr0_sgpr1
	s_branch .LBB10_353
.LBB10_352:                             ;   in Loop: Header=BB10_353 Depth=1
	s_or_b64 exec, exec, s[30:31]
	s_and_b64 s[30:31], exec, s[24:25]
	s_or_b64 s[20:21], s[30:31], s[20:21]
	s_andn2_b64 s[0:1], s[0:1], exec
	s_and_b64 s[30:31], s[26:27], exec
	s_or_b64 s[0:1], s[0:1], s[30:31]
	s_andn2_b64 s[22:23], s[22:23], exec
	s_and_b64 s[30:31], s[28:29], exec
	s_or_b64 s[22:23], s[22:23], s[30:31]
	s_andn2_b64 exec, exec, s[20:21]
	s_cbranch_execz .LBB10_355
.LBB10_353:                             ; =>This Inner Loop Header: Depth=1
	flat_load_ubyte v12, v[16:17]
	flat_load_ubyte v67, v[14:15]
	s_andn2_b64 s[28:29], s[28:29], exec
	s_andn2_b64 s[26:27], s[26:27], exec
	s_or_b64 s[24:25], s[24:25], exec
	s_waitcnt vmcnt(0) lgkmcnt(0)
	v_cmp_le_u16_sdwa s[34:35], v12, v67 src0_sel:BYTE_0 src1_sel:BYTE_0
	v_cmp_lt_u16_sdwa s[30:31], v12, v67 src0_sel:BYTE_0 src1_sel:BYTE_0
	s_and_b64 s[34:35], s[34:35], s[0:1]
	s_or_b64 s[34:35], s[30:31], s[34:35]
	s_and_b64 s[30:31], s[34:35], exec
	v_cmp_eq_u16_sdwa s[36:37], v12, v67 src0_sel:BYTE_0 src1_sel:BYTE_0
	s_or_b64 s[28:29], s[28:29], s[30:31]
	s_and_saveexec_b64 s[30:31], s[36:37]
	s_cbranch_execz .LBB10_352
; %bb.354:                              ;   in Loop: Header=BB10_353 Depth=1
	v_lshl_add_u64 v[18:19], v[18:19], 0, -1
	v_cmp_eq_u64_e64 s[0:1], 0, v[18:19]
	s_andn2_b64 s[26:27], s[26:27], exec
	s_and_b64 s[34:35], s[34:35], exec
	s_andn2_b64 s[24:25], s[24:25], exec
	s_and_b64 s[0:1], s[0:1], exec
	v_lshl_add_u64 v[14:15], v[14:15], 0, 1
	v_lshl_add_u64 v[16:17], v[16:17], 0, 1
	s_andn2_b64 s[28:29], s[28:29], exec
	s_or_b64 s[26:27], s[26:27], s[34:35]
	s_or_b64 s[24:25], s[24:25], s[0:1]
                                        ; implicit-def: $sgpr0_sgpr1
	s_branch .LBB10_352
.LBB10_355:
	s_or_b64 exec, exec, s[20:21]
	s_and_b64 s[0:1], s[22:23], exec
.LBB10_356:
	s_or_b64 exec, exec, s[18:19]
	s_xor_b64 s[0:1], s[0:1], -1
	s_and_b64 s[18:19], s[0:1], exec
.LBB10_357:
	s_or_b64 exec, exec, s[14:15]
	s_orn2_b64 s[14:15], s[18:19], exec
.LBB10_358:
	s_or_b64 exec, exec, s[16:17]
	v_cndmask_b32_e64 v12, v23, v66, s[14:15]
	v_cndmask_b32_e64 v14, v98, v97, s[14:15]
	v_add_u32_e32 v15, 1, v12
	v_add_u32_e32 v12, -1, v14
	v_min_u32_e32 v12, v15, v12
	v_lshl_add_u64 v[12:13], v[12:13], 3, v[54:55]
	flat_load_dwordx2 v[12:13], v[12:13]
	v_cndmask_b32_e64 v18, v15, v23, s[14:15]
	v_cndmask_b32_e64 v19, v66, v15, s[14:15]
	v_cmp_lt_u32_e64 s[0:1], v18, v98
	s_waitcnt vmcnt(0) lgkmcnt(0)
	v_cndmask_b32_e64 v23, v13, v20, s[14:15]
	v_cndmask_b32_e64 v69, v12, v21, s[14:15]
	;; [unrolled: 1-line block ×4, first 2 shown]
	s_and_saveexec_b64 s[16:17], s[0:1]
	s_cbranch_execz .LBB10_368
; %bb.359:
	v_cmp_lt_u32_e64 s[0:1], v19, v97
	s_mov_b64 s[18:19], 0
	s_and_saveexec_b64 s[2:3], s[0:1]
	s_cbranch_execz .LBB10_367
; %bb.360:
	s_mov_b64 s[0:1], 0
	s_and_saveexec_b64 s[18:19], vcc
	s_cbranch_execz .LBB10_366
; %bb.361:
	v_mad_u64_u32 v[12:13], s[0:1], v71, v6, v[8:9]
	v_mul_lo_u32 v14, v71, v7
	v_mul_lo_u32 v15, v70, v6
	v_add3_u32 v13, v15, v13, v14
	v_mad_u64_u32 v[14:15], s[0:1], v69, v6, v[8:9]
	v_mul_lo_u32 v16, v69, v7
	v_mul_lo_u32 v17, v23, v6
	v_add3_u32 v15, v17, v15, v16
	s_mov_b64 s[20:21], 0
	v_mov_b64_e32 v[16:17], v[6:7]
                                        ; implicit-def: $sgpr22_sgpr23
                                        ; implicit-def: $sgpr24_sgpr25
                                        ; implicit-def: $sgpr26_sgpr27
                                        ; implicit-def: $sgpr28_sgpr29
                                        ; implicit-def: $sgpr0_sgpr1
	s_branch .LBB10_363
.LBB10_362:                             ;   in Loop: Header=BB10_363 Depth=1
	s_or_b64 exec, exec, s[30:31]
	s_and_b64 s[30:31], exec, s[24:25]
	s_or_b64 s[20:21], s[30:31], s[20:21]
	s_andn2_b64 s[0:1], s[0:1], exec
	s_and_b64 s[30:31], s[26:27], exec
	s_or_b64 s[0:1], s[0:1], s[30:31]
	s_andn2_b64 s[22:23], s[22:23], exec
	s_and_b64 s[30:31], s[28:29], exec
	s_or_b64 s[22:23], s[22:23], s[30:31]
	s_andn2_b64 exec, exec, s[20:21]
	s_cbranch_execz .LBB10_365
.LBB10_363:                             ; =>This Inner Loop Header: Depth=1
	flat_load_ubyte v66, v[14:15]
	flat_load_ubyte v67, v[12:13]
	s_andn2_b64 s[28:29], s[28:29], exec
	s_andn2_b64 s[26:27], s[26:27], exec
	s_or_b64 s[24:25], s[24:25], exec
	s_waitcnt vmcnt(0) lgkmcnt(0)
	v_cmp_le_u16_sdwa s[34:35], v66, v67 src0_sel:BYTE_0 src1_sel:BYTE_0
	v_cmp_lt_u16_sdwa s[30:31], v66, v67 src0_sel:BYTE_0 src1_sel:BYTE_0
	s_and_b64 s[34:35], s[34:35], s[0:1]
	s_or_b64 s[34:35], s[30:31], s[34:35]
	s_and_b64 s[30:31], s[34:35], exec
	v_cmp_eq_u16_sdwa s[36:37], v66, v67 src0_sel:BYTE_0 src1_sel:BYTE_0
	s_or_b64 s[28:29], s[28:29], s[30:31]
	s_and_saveexec_b64 s[30:31], s[36:37]
	s_cbranch_execz .LBB10_362
; %bb.364:                              ;   in Loop: Header=BB10_363 Depth=1
	v_lshl_add_u64 v[16:17], v[16:17], 0, -1
	v_cmp_eq_u64_e64 s[0:1], 0, v[16:17]
	s_andn2_b64 s[26:27], s[26:27], exec
	s_and_b64 s[34:35], s[34:35], exec
	s_andn2_b64 s[24:25], s[24:25], exec
	s_and_b64 s[0:1], s[0:1], exec
	v_lshl_add_u64 v[12:13], v[12:13], 0, 1
	v_lshl_add_u64 v[14:15], v[14:15], 0, 1
	s_andn2_b64 s[28:29], s[28:29], exec
	s_or_b64 s[26:27], s[26:27], s[34:35]
	s_or_b64 s[24:25], s[24:25], s[0:1]
                                        ; implicit-def: $sgpr0_sgpr1
	s_branch .LBB10_362
.LBB10_365:
	s_or_b64 exec, exec, s[20:21]
	s_and_b64 s[0:1], s[22:23], exec
.LBB10_366:
	s_or_b64 exec, exec, s[18:19]
	s_xor_b64 s[0:1], s[0:1], -1
	s_and_b64 s[18:19], s[0:1], exec
.LBB10_367:
	s_or_b64 exec, exec, s[2:3]
	s_orn2_b64 s[2:3], s[18:19], exec
.LBB10_368:
	s_or_b64 exec, exec, s[16:17]
	v_cndmask_b32_e64 v12, v18, v19, s[2:3]
	v_cndmask_b32_e64 v13, v98, v97, s[2:3]
	v_add_u32_e32 v16, 1, v12
	v_add_u32_e32 v12, -1, v13
	v_min_u32_e32 v12, v16, v12
	v_mov_b32_e32 v13, 0
	v_lshl_add_u64 v[14:15], v[12:13], 3, v[54:55]
	flat_load_dwordx2 v[14:15], v[14:15]
	v_cndmask_b32_e64 v66, v16, v18, s[2:3]
	s_mov_b64 s[16:17], -1
	v_cndmask_b32_e64 v67, v19, v16, s[2:3]
	v_cmp_lt_u32_e64 s[0:1], v66, v98
	s_mov_b64 s[18:19], -1
	s_waitcnt vmcnt(0) lgkmcnt(0)
	v_cndmask_b32_e64 v80, v15, v23, s[2:3]
	v_cndmask_b32_e64 v81, v14, v69, s[2:3]
	;; [unrolled: 1-line block ×4, first 2 shown]
	s_and_saveexec_b64 s[20:21], s[0:1]
	s_cbranch_execz .LBB10_378
; %bb.369:
	v_cmp_lt_u32_e64 s[0:1], v67, v97
	s_mov_b64 s[22:23], 0
	s_and_saveexec_b64 s[18:19], s[0:1]
	s_cbranch_execz .LBB10_377
; %bb.370:
	s_mov_b64 s[0:1], -1
	s_and_saveexec_b64 s[22:23], vcc
	s_cbranch_execz .LBB10_376
; %bb.371:
	v_mad_u64_u32 v[14:15], s[0:1], v83, v6, v[8:9]
	v_mul_lo_u32 v12, v83, v7
	v_mul_lo_u32 v16, v82, v6
	v_add3_u32 v15, v16, v15, v12
	v_mad_u64_u32 v[16:17], s[0:1], v81, v6, v[8:9]
	v_mul_lo_u32 v12, v81, v7
	v_mul_lo_u32 v18, v80, v6
	v_add3_u32 v17, v18, v17, v12
	s_mov_b64 s[24:25], 0
	v_mov_b64_e32 v[18:19], v[6:7]
                                        ; implicit-def: $sgpr26_sgpr27
                                        ; implicit-def: $sgpr28_sgpr29
                                        ; implicit-def: $sgpr34_sgpr35
                                        ; implicit-def: $sgpr30_sgpr31
                                        ; implicit-def: $sgpr0_sgpr1
	s_branch .LBB10_373
.LBB10_372:                             ;   in Loop: Header=BB10_373 Depth=1
	s_or_b64 exec, exec, s[36:37]
	s_and_b64 s[36:37], exec, s[28:29]
	s_or_b64 s[24:25], s[36:37], s[24:25]
	s_andn2_b64 s[0:1], s[0:1], exec
	s_and_b64 s[36:37], s[30:31], exec
	s_or_b64 s[0:1], s[0:1], s[36:37]
	s_andn2_b64 s[26:27], s[26:27], exec
	s_and_b64 s[36:37], s[34:35], exec
	s_or_b64 s[26:27], s[26:27], s[36:37]
	s_andn2_b64 exec, exec, s[24:25]
	s_cbranch_execz .LBB10_375
.LBB10_373:                             ; =>This Inner Loop Header: Depth=1
	flat_load_ubyte v12, v[16:17]
	flat_load_ubyte v84, v[14:15]
	s_andn2_b64 s[34:35], s[34:35], exec
	s_andn2_b64 s[30:31], s[30:31], exec
	s_or_b64 s[28:29], s[28:29], exec
	s_waitcnt vmcnt(0) lgkmcnt(0)
	v_cmp_le_u16_sdwa s[38:39], v12, v84 src0_sel:BYTE_0 src1_sel:BYTE_0
	v_cmp_lt_u16_sdwa s[36:37], v12, v84 src0_sel:BYTE_0 src1_sel:BYTE_0
	s_and_b64 s[38:39], s[38:39], s[0:1]
	s_or_b64 s[38:39], s[36:37], s[38:39]
	s_and_b64 s[36:37], s[38:39], exec
	v_cmp_eq_u16_sdwa s[40:41], v12, v84 src0_sel:BYTE_0 src1_sel:BYTE_0
	s_or_b64 s[34:35], s[34:35], s[36:37]
	s_and_saveexec_b64 s[36:37], s[40:41]
	s_cbranch_execz .LBB10_372
; %bb.374:                              ;   in Loop: Header=BB10_373 Depth=1
	v_lshl_add_u64 v[18:19], v[18:19], 0, -1
	v_cmp_eq_u64_e64 s[0:1], 0, v[18:19]
	s_andn2_b64 s[30:31], s[30:31], exec
	s_and_b64 s[38:39], s[38:39], exec
	s_andn2_b64 s[28:29], s[28:29], exec
	s_and_b64 s[0:1], s[0:1], exec
	v_lshl_add_u64 v[14:15], v[14:15], 0, 1
	v_lshl_add_u64 v[16:17], v[16:17], 0, 1
	s_or_b64 s[30:31], s[30:31], s[38:39]
	s_andn2_b64 s[34:35], s[34:35], exec
	s_or_b64 s[28:29], s[28:29], s[0:1]
                                        ; implicit-def: $sgpr0_sgpr1
	s_branch .LBB10_372
.LBB10_375:
	s_or_b64 exec, exec, s[24:25]
	s_xor_b64 s[0:1], s[26:27], -1
	s_orn2_b64 s[0:1], s[0:1], exec
.LBB10_376:
	s_or_b64 exec, exec, s[22:23]
	s_and_b64 s[22:23], s[0:1], exec
.LBB10_377:
	s_or_b64 exec, exec, s[18:19]
	s_orn2_b64 s[18:19], s[22:23], exec
.LBB10_378:
	s_or_b64 exec, exec, s[20:21]
	v_cndmask_b32_e64 v12, v66, v67, s[18:19]
	v_cndmask_b32_e64 v14, v98, v97, s[18:19]
	v_add_u32_e32 v15, 1, v12
	v_add_u32_e32 v12, -1, v14
	v_min_u32_e32 v12, v15, v12
	v_lshl_add_u64 v[12:13], v[12:13], 3, v[54:55]
	flat_load_dwordx2 v[12:13], v[12:13]
	v_cndmask_b32_e64 v18, v15, v66, s[18:19]
	v_cndmask_b32_e64 v19, v67, v15, s[18:19]
	v_cmp_lt_u32_e64 s[0:1], v18, v98
	s_waitcnt vmcnt(0) lgkmcnt(0)
	v_cndmask_b32_e64 v84, v13, v80, s[18:19]
	v_cndmask_b32_e64 v85, v12, v81, s[18:19]
	;; [unrolled: 1-line block ×4, first 2 shown]
	s_and_saveexec_b64 s[20:21], s[0:1]
	s_cbranch_execz .LBB10_388
; %bb.379:
	v_cmp_lt_u32_e64 s[0:1], v19, v97
	s_mov_b64 s[22:23], 0
	s_and_saveexec_b64 s[16:17], s[0:1]
	s_cbranch_execz .LBB10_387
; %bb.380:
	s_mov_b64 s[0:1], -1
	s_and_saveexec_b64 s[22:23], vcc
	s_cbranch_execz .LBB10_386
; %bb.381:
	v_mad_u64_u32 v[12:13], s[0:1], v87, v6, v[8:9]
	v_mul_lo_u32 v14, v87, v7
	v_mul_lo_u32 v15, v86, v6
	v_add3_u32 v13, v15, v13, v14
	v_mad_u64_u32 v[14:15], s[0:1], v85, v6, v[8:9]
	v_mul_lo_u32 v16, v85, v7
	v_mul_lo_u32 v17, v84, v6
	v_add3_u32 v15, v17, v15, v16
	s_mov_b64 s[24:25], 0
	v_mov_b64_e32 v[16:17], v[6:7]
                                        ; implicit-def: $sgpr26_sgpr27
                                        ; implicit-def: $sgpr28_sgpr29
                                        ; implicit-def: $sgpr34_sgpr35
                                        ; implicit-def: $sgpr30_sgpr31
                                        ; implicit-def: $sgpr0_sgpr1
	s_branch .LBB10_383
.LBB10_382:                             ;   in Loop: Header=BB10_383 Depth=1
	s_or_b64 exec, exec, s[36:37]
	s_and_b64 s[36:37], exec, s[28:29]
	s_or_b64 s[24:25], s[36:37], s[24:25]
	s_andn2_b64 s[0:1], s[0:1], exec
	s_and_b64 s[36:37], s[30:31], exec
	s_or_b64 s[0:1], s[0:1], s[36:37]
	s_andn2_b64 s[26:27], s[26:27], exec
	s_and_b64 s[36:37], s[34:35], exec
	s_or_b64 s[26:27], s[26:27], s[36:37]
	s_andn2_b64 exec, exec, s[24:25]
	s_cbranch_execz .LBB10_385
.LBB10_383:                             ; =>This Inner Loop Header: Depth=1
	flat_load_ubyte v66, v[14:15]
	flat_load_ubyte v67, v[12:13]
	s_andn2_b64 s[34:35], s[34:35], exec
	s_andn2_b64 s[30:31], s[30:31], exec
	s_or_b64 s[28:29], s[28:29], exec
	s_waitcnt vmcnt(0) lgkmcnt(0)
	v_cmp_le_u16_sdwa s[38:39], v66, v67 src0_sel:BYTE_0 src1_sel:BYTE_0
	v_cmp_lt_u16_sdwa s[36:37], v66, v67 src0_sel:BYTE_0 src1_sel:BYTE_0
	s_and_b64 s[38:39], s[38:39], s[0:1]
	s_or_b64 s[38:39], s[36:37], s[38:39]
	s_and_b64 s[36:37], s[38:39], exec
	v_cmp_eq_u16_sdwa s[40:41], v66, v67 src0_sel:BYTE_0 src1_sel:BYTE_0
	s_or_b64 s[34:35], s[34:35], s[36:37]
	s_and_saveexec_b64 s[36:37], s[40:41]
	s_cbranch_execz .LBB10_382
; %bb.384:                              ;   in Loop: Header=BB10_383 Depth=1
	v_lshl_add_u64 v[16:17], v[16:17], 0, -1
	v_cmp_eq_u64_e64 s[0:1], 0, v[16:17]
	s_andn2_b64 s[30:31], s[30:31], exec
	s_and_b64 s[38:39], s[38:39], exec
	s_andn2_b64 s[28:29], s[28:29], exec
	s_and_b64 s[0:1], s[0:1], exec
	v_lshl_add_u64 v[12:13], v[12:13], 0, 1
	v_lshl_add_u64 v[14:15], v[14:15], 0, 1
	s_or_b64 s[30:31], s[30:31], s[38:39]
	s_andn2_b64 s[34:35], s[34:35], exec
	s_or_b64 s[28:29], s[28:29], s[0:1]
                                        ; implicit-def: $sgpr0_sgpr1
	s_branch .LBB10_382
.LBB10_385:
	s_or_b64 exec, exec, s[24:25]
	s_xor_b64 s[0:1], s[26:27], -1
	s_orn2_b64 s[0:1], s[0:1], exec
.LBB10_386:
	s_or_b64 exec, exec, s[22:23]
	s_and_b64 s[22:23], s[0:1], exec
.LBB10_387:
	s_or_b64 exec, exec, s[16:17]
	s_orn2_b64 s[16:17], s[22:23], exec
.LBB10_388:
	s_or_b64 exec, exec, s[20:21]
	v_cndmask_b32_e64 v12, v18, v19, s[16:17]
	v_cndmask_b32_e64 v13, v98, v97, s[16:17]
	v_add_u32_e32 v16, 1, v12
	v_add_u32_e32 v12, -1, v13
	v_min_u32_e32 v12, v16, v12
	v_mov_b32_e32 v13, 0
	v_lshl_add_u64 v[14:15], v[12:13], 3, v[54:55]
	flat_load_dwordx2 v[14:15], v[14:15]
	v_cndmask_b32_e64 v66, v16, v18, s[16:17]
	s_mov_b64 s[20:21], -1
	v_cndmask_b32_e64 v67, v19, v16, s[16:17]
	v_cmp_lt_u32_e64 s[0:1], v66, v98
	s_mov_b64 s[22:23], -1
	s_waitcnt vmcnt(0) lgkmcnt(0)
	v_cndmask_b32_e64 v99, v15, v84, s[16:17]
	v_cndmask_b32_e64 v100, v14, v85, s[16:17]
	;; [unrolled: 1-line block ×4, first 2 shown]
	s_and_saveexec_b64 s[24:25], s[0:1]
	s_cbranch_execz .LBB10_398
; %bb.389:
	v_cmp_lt_u32_e64 s[0:1], v67, v97
	s_mov_b64 s[26:27], 0
	s_and_saveexec_b64 s[22:23], s[0:1]
	s_cbranch_execz .LBB10_397
; %bb.390:
	s_mov_b64 s[0:1], -1
	s_and_saveexec_b64 s[26:27], vcc
	s_cbranch_execz .LBB10_396
; %bb.391:
	v_mad_u64_u32 v[14:15], s[0:1], v102, v6, v[8:9]
	v_mul_lo_u32 v12, v102, v7
	v_mul_lo_u32 v16, v101, v6
	v_add3_u32 v15, v16, v15, v12
	v_mad_u64_u32 v[16:17], s[0:1], v100, v6, v[8:9]
	v_mul_lo_u32 v12, v100, v7
	v_mul_lo_u32 v18, v99, v6
	v_add3_u32 v17, v18, v17, v12
	s_mov_b64 s[28:29], 0
	v_mov_b64_e32 v[18:19], v[6:7]
                                        ; implicit-def: $sgpr30_sgpr31
                                        ; implicit-def: $sgpr34_sgpr35
                                        ; implicit-def: $sgpr38_sgpr39
                                        ; implicit-def: $sgpr36_sgpr37
                                        ; implicit-def: $sgpr0_sgpr1
	s_branch .LBB10_393
.LBB10_392:                             ;   in Loop: Header=BB10_393 Depth=1
	s_or_b64 exec, exec, s[40:41]
	s_and_b64 s[40:41], exec, s[34:35]
	s_or_b64 s[28:29], s[40:41], s[28:29]
	s_andn2_b64 s[0:1], s[0:1], exec
	s_and_b64 s[40:41], s[36:37], exec
	s_or_b64 s[0:1], s[0:1], s[40:41]
	s_andn2_b64 s[30:31], s[30:31], exec
	s_and_b64 s[40:41], s[38:39], exec
	s_or_b64 s[30:31], s[30:31], s[40:41]
	s_andn2_b64 exec, exec, s[28:29]
	s_cbranch_execz .LBB10_395
.LBB10_393:                             ; =>This Inner Loop Header: Depth=1
	flat_load_ubyte v12, v[16:17]
	flat_load_ubyte v103, v[14:15]
	s_andn2_b64 s[38:39], s[38:39], exec
	s_andn2_b64 s[36:37], s[36:37], exec
	s_or_b64 s[34:35], s[34:35], exec
	s_waitcnt vmcnt(0) lgkmcnt(0)
	v_cmp_le_u16_sdwa s[42:43], v12, v103 src0_sel:BYTE_0 src1_sel:BYTE_0
	v_cmp_lt_u16_sdwa s[40:41], v12, v103 src0_sel:BYTE_0 src1_sel:BYTE_0
	s_and_b64 s[42:43], s[42:43], s[0:1]
	s_or_b64 s[42:43], s[40:41], s[42:43]
	s_and_b64 s[40:41], s[42:43], exec
	v_cmp_eq_u16_sdwa s[44:45], v12, v103 src0_sel:BYTE_0 src1_sel:BYTE_0
	s_or_b64 s[38:39], s[38:39], s[40:41]
	s_and_saveexec_b64 s[40:41], s[44:45]
	s_cbranch_execz .LBB10_392
; %bb.394:                              ;   in Loop: Header=BB10_393 Depth=1
	v_lshl_add_u64 v[18:19], v[18:19], 0, -1
	v_cmp_eq_u64_e64 s[0:1], 0, v[18:19]
	s_andn2_b64 s[36:37], s[36:37], exec
	s_and_b64 s[42:43], s[42:43], exec
	s_andn2_b64 s[34:35], s[34:35], exec
	s_and_b64 s[0:1], s[0:1], exec
	v_lshl_add_u64 v[14:15], v[14:15], 0, 1
	v_lshl_add_u64 v[16:17], v[16:17], 0, 1
	s_or_b64 s[36:37], s[36:37], s[42:43]
	s_andn2_b64 s[38:39], s[38:39], exec
	s_or_b64 s[34:35], s[34:35], s[0:1]
                                        ; implicit-def: $sgpr0_sgpr1
	s_branch .LBB10_392
.LBB10_395:
	s_or_b64 exec, exec, s[28:29]
	s_xor_b64 s[0:1], s[30:31], -1
	s_orn2_b64 s[0:1], s[0:1], exec
.LBB10_396:
	s_or_b64 exec, exec, s[26:27]
	s_and_b64 s[26:27], s[0:1], exec
.LBB10_397:
	s_or_b64 exec, exec, s[22:23]
	s_orn2_b64 s[22:23], s[26:27], exec
.LBB10_398:
	s_or_b64 exec, exec, s[24:25]
	v_cndmask_b32_e64 v12, v66, v67, s[22:23]
	v_cndmask_b32_e64 v14, v98, v97, s[22:23]
	v_add_u32_e32 v15, 1, v12
	v_add_u32_e32 v12, -1, v14
	v_min_u32_e32 v12, v15, v12
	v_lshl_add_u64 v[12:13], v[12:13], 3, v[54:55]
	flat_load_dwordx2 v[12:13], v[12:13]
	v_cndmask_b32_e64 v114, v15, v66, s[22:23]
	v_cndmask_b32_e64 v103, v67, v15, s[22:23]
	v_cmp_lt_u32_e64 s[0:1], v114, v98
	s_waitcnt vmcnt(0) lgkmcnt(0)
	v_cndmask_b32_e64 v112, v13, v99, s[22:23]
	v_cndmask_b32_e64 v113, v12, v100, s[22:23]
	;; [unrolled: 1-line block ×4, first 2 shown]
	s_and_saveexec_b64 s[24:25], s[0:1]
	s_cbranch_execz .LBB10_408
; %bb.399:
	v_cmp_lt_u32_e64 s[0:1], v103, v97
	s_mov_b64 s[26:27], 0
	s_and_saveexec_b64 s[20:21], s[0:1]
	s_cbranch_execz .LBB10_407
; %bb.400:
	s_mov_b64 s[0:1], -1
	s_and_saveexec_b64 s[26:27], vcc
	s_cbranch_execz .LBB10_406
; %bb.401:
	v_mad_u64_u32 v[12:13], s[0:1], v116, v6, v[8:9]
	v_mul_lo_u32 v14, v116, v7
	v_mul_lo_u32 v15, v115, v6
	v_add3_u32 v13, v15, v13, v14
	v_mad_u64_u32 v[14:15], s[0:1], v113, v6, v[8:9]
	v_mul_lo_u32 v16, v113, v7
	v_mul_lo_u32 v17, v112, v6
	v_add3_u32 v15, v17, v15, v16
	s_mov_b64 s[28:29], 0
	v_mov_b64_e32 v[16:17], v[6:7]
                                        ; implicit-def: $sgpr30_sgpr31
                                        ; implicit-def: $sgpr34_sgpr35
                                        ; implicit-def: $sgpr38_sgpr39
                                        ; implicit-def: $sgpr36_sgpr37
                                        ; implicit-def: $sgpr0_sgpr1
	s_branch .LBB10_403
.LBB10_402:                             ;   in Loop: Header=BB10_403 Depth=1
	s_or_b64 exec, exec, s[40:41]
	s_and_b64 s[40:41], exec, s[34:35]
	s_or_b64 s[28:29], s[40:41], s[28:29]
	s_andn2_b64 s[0:1], s[0:1], exec
	s_and_b64 s[40:41], s[36:37], exec
	s_or_b64 s[0:1], s[0:1], s[40:41]
	s_andn2_b64 s[30:31], s[30:31], exec
	s_and_b64 s[40:41], s[38:39], exec
	s_or_b64 s[30:31], s[30:31], s[40:41]
	s_andn2_b64 exec, exec, s[28:29]
	s_cbranch_execz .LBB10_405
.LBB10_403:                             ; =>This Inner Loop Header: Depth=1
	flat_load_ubyte v18, v[14:15]
	flat_load_ubyte v19, v[12:13]
	s_andn2_b64 s[38:39], s[38:39], exec
	s_andn2_b64 s[36:37], s[36:37], exec
	s_or_b64 s[34:35], s[34:35], exec
	s_waitcnt vmcnt(0) lgkmcnt(0)
	v_cmp_le_u16_sdwa s[42:43], v18, v19 src0_sel:BYTE_0 src1_sel:BYTE_0
	v_cmp_lt_u16_sdwa s[40:41], v18, v19 src0_sel:BYTE_0 src1_sel:BYTE_0
	s_and_b64 s[42:43], s[42:43], s[0:1]
	s_or_b64 s[42:43], s[40:41], s[42:43]
	s_and_b64 s[40:41], s[42:43], exec
	v_cmp_eq_u16_sdwa s[44:45], v18, v19 src0_sel:BYTE_0 src1_sel:BYTE_0
	s_or_b64 s[38:39], s[38:39], s[40:41]
	s_and_saveexec_b64 s[40:41], s[44:45]
	s_cbranch_execz .LBB10_402
; %bb.404:                              ;   in Loop: Header=BB10_403 Depth=1
	v_lshl_add_u64 v[16:17], v[16:17], 0, -1
	v_cmp_eq_u64_e64 s[0:1], 0, v[16:17]
	s_andn2_b64 s[36:37], s[36:37], exec
	s_and_b64 s[42:43], s[42:43], exec
	s_andn2_b64 s[34:35], s[34:35], exec
	s_and_b64 s[0:1], s[0:1], exec
	v_lshl_add_u64 v[12:13], v[12:13], 0, 1
	v_lshl_add_u64 v[14:15], v[14:15], 0, 1
	s_or_b64 s[36:37], s[36:37], s[42:43]
	s_andn2_b64 s[38:39], s[38:39], exec
	s_or_b64 s[34:35], s[34:35], s[0:1]
                                        ; implicit-def: $sgpr0_sgpr1
	s_branch .LBB10_402
.LBB10_405:
	s_or_b64 exec, exec, s[28:29]
	s_xor_b64 s[0:1], s[30:31], -1
	s_orn2_b64 s[0:1], s[0:1], exec
.LBB10_406:
	s_or_b64 exec, exec, s[26:27]
	s_and_b64 s[26:27], s[0:1], exec
.LBB10_407:
	s_or_b64 exec, exec, s[20:21]
	s_orn2_b64 s[20:21], s[26:27], exec
.LBB10_408:
	s_or_b64 exec, exec, s[24:25]
	v_cndmask_b32_e64 v12, v114, v103, s[20:21]
	v_cndmask_b32_e64 v13, v98, v97, s[20:21]
	v_add_u32_e32 v117, 1, v12
	v_add_u32_e32 v12, -1, v13
	v_min_u32_e32 v12, v117, v12
	v_mov_b32_e32 v13, 0
	v_lshl_add_u64 v[12:13], v[12:13], 3, v[54:55]
	flat_load_dwordx2 v[66:67], v[12:13]
	v_cndmask_b32_e64 v17, v23, v70, s[2:3]
	v_cndmask_b32_e64 v23, v20, v22, s[14:15]
	;; [unrolled: 1-line block ×15, first 2 shown]
	v_cmp_lt_u32_e64 s[0:1], v68, v98
	s_waitcnt vmcnt(0) lgkmcnt(0)
	v_cndmask_b32_e64 v3, v115, v67, s[20:21]
	v_cndmask_b32_e64 v2, v116, v66, s[20:21]
	s_and_saveexec_b64 s[2:3], s[0:1]
	s_cbranch_execz .LBB10_418
; %bb.409:
	v_cndmask_b32_e64 v68, v103, v117, s[20:21]
	v_cndmask_b32_e64 v67, v67, v112, s[20:21]
	;; [unrolled: 1-line block ×3, first 2 shown]
	v_cmp_lt_u32_e64 s[0:1], v68, v97
	s_and_saveexec_b64 s[10:11], s[0:1]
	s_cbranch_execz .LBB10_417
; %bb.410:
	s_and_saveexec_b64 s[14:15], vcc
	s_cbranch_execz .LBB10_416
; %bb.411:
	v_mad_u64_u32 v[68:69], s[0:1], v2, v6, v[8:9]
	v_mul_lo_u32 v70, v2, v7
	v_mul_lo_u32 v71, v3, v6
	v_add3_u32 v69, v71, v69, v70
	v_mad_u64_u32 v[70:71], s[0:1], v66, v6, v[8:9]
	v_mul_lo_u32 v80, v66, v7
	v_mul_lo_u32 v81, v67, v6
	v_add3_u32 v71, v81, v71, v80
	s_mov_b64 s[16:17], 0
	v_mov_b64_e32 v[80:81], v[6:7]
                                        ; implicit-def: $sgpr18_sgpr19
                                        ; implicit-def: $sgpr20_sgpr21
                                        ; implicit-def: $sgpr24_sgpr25
                                        ; implicit-def: $sgpr22_sgpr23
                                        ; implicit-def: $sgpr0_sgpr1
	s_branch .LBB10_413
.LBB10_412:                             ;   in Loop: Header=BB10_413 Depth=1
	s_or_b64 exec, exec, s[26:27]
	s_and_b64 s[26:27], exec, s[20:21]
	s_or_b64 s[16:17], s[26:27], s[16:17]
	s_andn2_b64 s[0:1], s[0:1], exec
	s_and_b64 s[26:27], s[22:23], exec
	s_or_b64 s[0:1], s[0:1], s[26:27]
	s_andn2_b64 s[18:19], s[18:19], exec
	s_and_b64 s[26:27], s[24:25], exec
	s_or_b64 s[18:19], s[18:19], s[26:27]
	s_andn2_b64 exec, exec, s[16:17]
	s_cbranch_execz .LBB10_415
.LBB10_413:                             ; =>This Inner Loop Header: Depth=1
	flat_load_ubyte v82, v[70:71]
	flat_load_ubyte v83, v[68:69]
	s_andn2_b64 s[24:25], s[24:25], exec
	s_andn2_b64 s[22:23], s[22:23], exec
	s_or_b64 s[20:21], s[20:21], exec
	s_waitcnt vmcnt(0) lgkmcnt(0)
	v_cmp_le_u16_sdwa s[28:29], v82, v83 src0_sel:BYTE_0 src1_sel:BYTE_0
	v_cmp_lt_u16_sdwa s[26:27], v82, v83 src0_sel:BYTE_0 src1_sel:BYTE_0
	s_and_b64 s[28:29], s[28:29], s[0:1]
	s_or_b64 s[28:29], s[26:27], s[28:29]
	s_and_b64 s[26:27], s[28:29], exec
	v_cmp_eq_u16_sdwa s[30:31], v82, v83 src0_sel:BYTE_0 src1_sel:BYTE_0
	s_or_b64 s[24:25], s[24:25], s[26:27]
	s_and_saveexec_b64 s[26:27], s[30:31]
	s_cbranch_execz .LBB10_412
; %bb.414:                              ;   in Loop: Header=BB10_413 Depth=1
	v_lshl_add_u64 v[80:81], v[80:81], 0, -1
	v_cmp_eq_u64_e64 s[0:1], 0, v[80:81]
	s_andn2_b64 s[22:23], s[22:23], exec
	s_and_b64 s[28:29], s[28:29], exec
	s_andn2_b64 s[20:21], s[20:21], exec
	s_and_b64 s[0:1], s[0:1], exec
	v_lshl_add_u64 v[68:69], v[68:69], 0, 1
	v_lshl_add_u64 v[70:71], v[70:71], 0, 1
	s_or_b64 s[22:23], s[22:23], s[28:29]
	s_andn2_b64 s[24:25], s[24:25], exec
	s_or_b64 s[20:21], s[20:21], s[0:1]
                                        ; implicit-def: $sgpr0_sgpr1
	s_branch .LBB10_412
.LBB10_415:
	s_or_b64 exec, exec, s[16:17]
	v_cndmask_b32_e64 v3, v3, v67, s[18:19]
	v_cndmask_b32_e64 v2, v2, v66, s[18:19]
.LBB10_416:
	s_or_b64 exec, exec, s[14:15]
	v_mov_b64_e32 v[66:67], v[2:3]
.LBB10_417:
	s_or_b64 exec, exec, s[10:11]
	v_mov_b64_e32 v[2:3], v[66:67]
.LBB10_418:
	s_or_b64 exec, exec, s[2:3]
.LBB10_419:
	s_or_b64 exec, exec, s[6:7]
	v_and_b32_e32 v99, 0x3c0, v96
	v_or_b32_e32 v66, 32, v99
	v_min_u32_e32 v97, v31, v66
	v_add_u32_e32 v66, 32, v97
	v_min_u32_e32 v98, v31, v66
	v_and_b32_e32 v66, 56, v96
	v_min_u32_e32 v100, v31, v66
	v_sub_u32_e32 v66, v97, v99
	v_sub_u32_e32 v67, v98, v97
	v_sub_u32_e64 v101, v100, v67 clamp
	v_min_u32_e32 v102, v100, v66
	v_cmp_lt_u32_e64 s[0:1], v101, v102
	; wave barrier
	flat_store_dwordx4 v[64:65], v[20:23]
	flat_store_dwordx4 v[64:65], v[16:19] offset:16
	flat_store_dwordx4 v[64:65], v[12:15] offset:32
	;; [unrolled: 1-line block ×3, first 2 shown]
	; wave barrier
	s_and_saveexec_b64 s[2:3], s[0:1]
	s_cbranch_execz .LBB10_429
; %bb.420:
	v_lshlrev_b32_e32 v66, 3, v99
	v_mov_b32_e32 v67, 0
	v_lshl_add_u64 v[68:69], v[54:55], 0, v[66:67]
	v_lshlrev_b32_e32 v66, 3, v97
	v_lshl_add_u64 v[70:71], v[54:55], 0, v[66:67]
	s_mov_b64 s[6:7], 0
	s_branch .LBB10_423
.LBB10_421:                             ;   in Loop: Header=BB10_423 Depth=1
	s_or_b64 exec, exec, s[14:15]
	s_and_b64 s[0:1], s[16:17], exec
.LBB10_422:                             ;   in Loop: Header=BB10_423 Depth=1
	s_or_b64 exec, exec, s[10:11]
	v_add_u32_e32 v66, 1, v80
	v_cndmask_b32_e64 v102, v102, v80, s[0:1]
	v_cndmask_b32_e64 v101, v66, v101, s[0:1]
	v_cmp_ge_u32_e64 s[0:1], v101, v102
	s_or_b64 s[6:7], s[0:1], s[6:7]
	s_andn2_b64 exec, exec, s[6:7]
	s_cbranch_execz .LBB10_428
.LBB10_423:                             ; =>This Loop Header: Depth=1
                                        ;     Child Loop BB10_426 Depth 2
	v_add_u32_e32 v66, v102, v101
	v_lshrrev_b32_e32 v80, 1, v66
	s_mov_b64 s[0:1], 0
	s_and_saveexec_b64 s[10:11], vcc
	s_cbranch_execz .LBB10_422
; %bb.424:                              ;   in Loop: Header=BB10_423 Depth=1
	v_mov_b32_e32 v81, v67
	v_xad_u32 v66, v80, -1, v100
	v_lshl_add_u64 v[82:83], v[80:81], 3, v[68:69]
	v_lshl_add_u64 v[84:85], v[66:67], 3, v[70:71]
	flat_load_dwordx2 v[82:83], v[82:83]
	s_mov_b64 s[14:15], 0
	flat_load_dwordx2 v[84:85], v[84:85]
                                        ; implicit-def: $sgpr16_sgpr17
                                        ; implicit-def: $sgpr18_sgpr19
                                        ; implicit-def: $sgpr20_sgpr21
                                        ; implicit-def: $sgpr22_sgpr23
                                        ; implicit-def: $sgpr0_sgpr1
	s_waitcnt vmcnt(0) lgkmcnt(0)
	v_mul_lo_u32 v66, v82, v7
	v_mul_lo_u32 v81, v83, v6
	v_mad_u64_u32 v[82:83], s[24:25], v82, v6, v[8:9]
	v_mul_lo_u32 v86, v84, v7
	v_mul_lo_u32 v87, v85, v6
	v_mad_u64_u32 v[84:85], s[24:25], v84, v6, v[8:9]
	v_add3_u32 v83, v81, v83, v66
	v_add3_u32 v85, v87, v85, v86
	v_mov_b64_e32 v[86:87], v[6:7]
	s_branch .LBB10_426
.LBB10_425:                             ;   in Loop: Header=BB10_426 Depth=2
	s_or_b64 exec, exec, s[24:25]
	s_and_b64 s[24:25], exec, s[18:19]
	s_or_b64 s[14:15], s[24:25], s[14:15]
	s_andn2_b64 s[0:1], s[0:1], exec
	s_and_b64 s[24:25], s[20:21], exec
	s_or_b64 s[0:1], s[0:1], s[24:25]
	s_andn2_b64 s[16:17], s[16:17], exec
	s_and_b64 s[24:25], s[22:23], exec
	s_or_b64 s[16:17], s[16:17], s[24:25]
	s_andn2_b64 exec, exec, s[14:15]
	s_cbranch_execz .LBB10_421
.LBB10_426:                             ;   Parent Loop BB10_423 Depth=1
                                        ; =>  This Inner Loop Header: Depth=2
	flat_load_ubyte v66, v[84:85]
	flat_load_ubyte v81, v[82:83]
	s_andn2_b64 s[22:23], s[22:23], exec
	s_andn2_b64 s[20:21], s[20:21], exec
	s_or_b64 s[18:19], s[18:19], exec
	s_waitcnt vmcnt(0) lgkmcnt(0)
	v_cmp_le_u16_sdwa s[26:27], v66, v81 src0_sel:BYTE_0 src1_sel:BYTE_0
	v_cmp_lt_u16_sdwa s[24:25], v66, v81 src0_sel:BYTE_0 src1_sel:BYTE_0
	s_and_b64 s[26:27], s[26:27], s[0:1]
	s_or_b64 s[26:27], s[24:25], s[26:27]
	s_and_b64 s[24:25], s[26:27], exec
	v_cmp_eq_u16_sdwa s[28:29], v66, v81 src0_sel:BYTE_0 src1_sel:BYTE_0
	s_or_b64 s[22:23], s[22:23], s[24:25]
	s_and_saveexec_b64 s[24:25], s[28:29]
	s_cbranch_execz .LBB10_425
; %bb.427:                              ;   in Loop: Header=BB10_426 Depth=2
	v_lshl_add_u64 v[86:87], v[86:87], 0, -1
	v_cmp_eq_u64_e64 s[0:1], 0, v[86:87]
	s_andn2_b64 s[20:21], s[20:21], exec
	s_and_b64 s[26:27], s[26:27], exec
	s_andn2_b64 s[18:19], s[18:19], exec
	s_and_b64 s[0:1], s[0:1], exec
	v_lshl_add_u64 v[82:83], v[82:83], 0, 1
	v_lshl_add_u64 v[84:85], v[84:85], 0, 1
	s_andn2_b64 s[22:23], s[22:23], exec
	s_or_b64 s[20:21], s[20:21], s[26:27]
	s_or_b64 s[18:19], s[18:19], s[0:1]
                                        ; implicit-def: $sgpr0_sgpr1
	s_branch .LBB10_425
.LBB10_428:
	s_or_b64 exec, exec, s[6:7]
.LBB10_429:
	s_or_b64 exec, exec, s[2:3]
	v_add_u32_e32 v67, v97, v100
	v_add_u32_e32 v66, v101, v99
	v_sub_u32_e32 v68, v67, v101
	v_cmp_le_u32_e64 s[0:1], v66, v97
	v_cmp_le_u32_e64 s[2:3], v68, v98
	s_or_b64 s[0:1], s[0:1], s[2:3]
	s_and_saveexec_b64 s[6:7], s[0:1]
	s_cbranch_execz .LBB10_513
; %bb.430:
	v_cmp_ge_u32_e64 s[0:1], v66, v97
	v_cmp_lt_u32_e64 s[2:3], v66, v97
                                        ; implicit-def: $vgpr0_vgpr1
	s_and_saveexec_b64 s[10:11], s[2:3]
	s_cbranch_execz .LBB10_432
; %bb.431:
	v_mov_b32_e32 v67, 0
	v_lshl_add_u64 v[0:1], v[66:67], 3, v[54:55]
	flat_load_dwordx2 v[0:1], v[0:1]
.LBB10_432:
	s_or_b64 exec, exec, s[10:11]
	v_cmp_ge_u32_e64 s[10:11], v68, v98
	v_cmp_lt_u32_e64 s[2:3], v68, v98
                                        ; implicit-def: $vgpr2_vgpr3
	s_and_saveexec_b64 s[14:15], s[2:3]
	s_cbranch_execz .LBB10_434
; %bb.433:
	v_mov_b32_e32 v69, 0
	v_lshl_add_u64 v[2:3], v[68:69], 3, v[54:55]
	flat_load_dwordx2 v[2:3], v[2:3]
.LBB10_434:
	s_or_b64 exec, exec, s[14:15]
	s_or_b64 s[0:1], s[0:1], s[10:11]
	s_xor_b64 s[0:1], s[0:1], -1
	s_and_saveexec_b64 s[2:3], s[0:1]
	s_cbranch_execz .LBB10_442
; %bb.435:
	s_mov_b64 s[0:1], 0
	s_and_saveexec_b64 s[14:15], vcc
	s_cbranch_execz .LBB10_441
; %bb.436:
	s_waitcnt vmcnt(0) lgkmcnt(0)
	v_mad_u64_u32 v[12:13], s[0:1], v0, v6, v[8:9]
	v_mul_lo_u32 v14, v0, v7
	v_mul_lo_u32 v15, v1, v6
	v_add3_u32 v13, v15, v13, v14
	v_mad_u64_u32 v[14:15], s[0:1], v2, v6, v[8:9]
	v_mul_lo_u32 v16, v2, v7
	v_mul_lo_u32 v17, v3, v6
	v_add3_u32 v15, v17, v15, v16
	s_mov_b64 s[16:17], 0
	v_mov_b64_e32 v[16:17], v[6:7]
                                        ; implicit-def: $sgpr18_sgpr19
                                        ; implicit-def: $sgpr20_sgpr21
                                        ; implicit-def: $sgpr22_sgpr23
                                        ; implicit-def: $sgpr24_sgpr25
                                        ; implicit-def: $sgpr0_sgpr1
	s_branch .LBB10_438
.LBB10_437:                             ;   in Loop: Header=BB10_438 Depth=1
	s_or_b64 exec, exec, s[26:27]
	s_and_b64 s[26:27], exec, s[20:21]
	s_or_b64 s[16:17], s[26:27], s[16:17]
	s_andn2_b64 s[0:1], s[0:1], exec
	s_and_b64 s[26:27], s[22:23], exec
	s_or_b64 s[0:1], s[0:1], s[26:27]
	s_andn2_b64 s[18:19], s[18:19], exec
	s_and_b64 s[26:27], s[24:25], exec
	s_or_b64 s[18:19], s[18:19], s[26:27]
	s_andn2_b64 exec, exec, s[16:17]
	s_cbranch_execz .LBB10_440
.LBB10_438:                             ; =>This Inner Loop Header: Depth=1
	flat_load_ubyte v18, v[14:15]
	flat_load_ubyte v19, v[12:13]
	s_andn2_b64 s[24:25], s[24:25], exec
	s_andn2_b64 s[22:23], s[22:23], exec
	s_or_b64 s[20:21], s[20:21], exec
	s_waitcnt vmcnt(0) lgkmcnt(0)
	v_cmp_le_u16_sdwa s[28:29], v18, v19 src0_sel:BYTE_0 src1_sel:BYTE_0
	v_cmp_lt_u16_sdwa s[26:27], v18, v19 src0_sel:BYTE_0 src1_sel:BYTE_0
	s_and_b64 s[28:29], s[28:29], s[0:1]
	s_or_b64 s[28:29], s[26:27], s[28:29]
	s_and_b64 s[26:27], s[28:29], exec
	v_cmp_eq_u16_sdwa s[30:31], v18, v19 src0_sel:BYTE_0 src1_sel:BYTE_0
	s_or_b64 s[24:25], s[24:25], s[26:27]
	s_and_saveexec_b64 s[26:27], s[30:31]
	s_cbranch_execz .LBB10_437
; %bb.439:                              ;   in Loop: Header=BB10_438 Depth=1
	v_lshl_add_u64 v[16:17], v[16:17], 0, -1
	v_cmp_eq_u64_e64 s[0:1], 0, v[16:17]
	s_andn2_b64 s[22:23], s[22:23], exec
	s_and_b64 s[28:29], s[28:29], exec
	s_andn2_b64 s[20:21], s[20:21], exec
	s_and_b64 s[0:1], s[0:1], exec
	v_lshl_add_u64 v[12:13], v[12:13], 0, 1
	v_lshl_add_u64 v[14:15], v[14:15], 0, 1
	s_andn2_b64 s[24:25], s[24:25], exec
	s_or_b64 s[22:23], s[22:23], s[28:29]
	s_or_b64 s[20:21], s[20:21], s[0:1]
                                        ; implicit-def: $sgpr0_sgpr1
	s_branch .LBB10_437
.LBB10_440:
	s_or_b64 exec, exec, s[16:17]
	s_and_b64 s[0:1], s[18:19], exec
.LBB10_441:
	s_or_b64 exec, exec, s[14:15]
	s_xor_b64 s[0:1], s[0:1], -1
	s_andn2_b64 s[10:11], s[10:11], exec
	s_and_b64 s[0:1], s[0:1], exec
	s_or_b64 s[10:11], s[10:11], s[0:1]
.LBB10_442:
	s_or_b64 exec, exec, s[2:3]
	v_cndmask_b32_e64 v12, v68, v66, s[10:11]
	v_cndmask_b32_e64 v13, v98, v97, s[10:11]
	v_add_u32_e32 v16, 1, v12
	v_add_u32_e32 v12, -1, v13
	v_min_u32_e32 v12, v16, v12
	v_mov_b32_e32 v13, 0
	v_lshl_add_u64 v[14:15], v[12:13], 3, v[54:55]
	flat_load_dwordx2 v[14:15], v[14:15]
	v_cndmask_b32_e64 v23, v16, v68, s[10:11]
	s_mov_b64 s[2:3], -1
	v_cndmask_b32_e64 v66, v66, v16, s[10:11]
	v_cmp_lt_u32_e64 s[0:1], v23, v98
	s_mov_b64 s[14:15], -1
	s_waitcnt vmcnt(0) lgkmcnt(0)
	v_cndmask_b32_e64 v20, v15, v3, s[10:11]
	v_cndmask_b32_e64 v21, v14, v2, s[10:11]
	;; [unrolled: 1-line block ×4, first 2 shown]
	s_and_saveexec_b64 s[16:17], s[0:1]
	s_cbranch_execz .LBB10_452
; %bb.443:
	v_cmp_lt_u32_e64 s[0:1], v66, v97
	s_mov_b64 s[18:19], 0
	s_and_saveexec_b64 s[14:15], s[0:1]
	s_cbranch_execz .LBB10_451
; %bb.444:
	s_mov_b64 s[0:1], 0
	s_and_saveexec_b64 s[18:19], vcc
	s_cbranch_execz .LBB10_450
; %bb.445:
	v_mad_u64_u32 v[14:15], s[0:1], v68, v6, v[8:9]
	v_mul_lo_u32 v12, v68, v7
	v_mul_lo_u32 v16, v22, v6
	v_add3_u32 v15, v16, v15, v12
	v_mad_u64_u32 v[16:17], s[0:1], v21, v6, v[8:9]
	v_mul_lo_u32 v12, v21, v7
	v_mul_lo_u32 v18, v20, v6
	v_add3_u32 v17, v18, v17, v12
	s_mov_b64 s[20:21], 0
	v_mov_b64_e32 v[18:19], v[6:7]
                                        ; implicit-def: $sgpr22_sgpr23
                                        ; implicit-def: $sgpr24_sgpr25
                                        ; implicit-def: $sgpr26_sgpr27
                                        ; implicit-def: $sgpr28_sgpr29
                                        ; implicit-def: $sgpr0_sgpr1
	s_branch .LBB10_447
.LBB10_446:                             ;   in Loop: Header=BB10_447 Depth=1
	s_or_b64 exec, exec, s[30:31]
	s_and_b64 s[30:31], exec, s[24:25]
	s_or_b64 s[20:21], s[30:31], s[20:21]
	s_andn2_b64 s[0:1], s[0:1], exec
	s_and_b64 s[30:31], s[26:27], exec
	s_or_b64 s[0:1], s[0:1], s[30:31]
	s_andn2_b64 s[22:23], s[22:23], exec
	s_and_b64 s[30:31], s[28:29], exec
	s_or_b64 s[22:23], s[22:23], s[30:31]
	s_andn2_b64 exec, exec, s[20:21]
	s_cbranch_execz .LBB10_449
.LBB10_447:                             ; =>This Inner Loop Header: Depth=1
	flat_load_ubyte v12, v[16:17]
	flat_load_ubyte v67, v[14:15]
	s_andn2_b64 s[28:29], s[28:29], exec
	s_andn2_b64 s[26:27], s[26:27], exec
	s_or_b64 s[24:25], s[24:25], exec
	s_waitcnt vmcnt(0) lgkmcnt(0)
	v_cmp_le_u16_sdwa s[34:35], v12, v67 src0_sel:BYTE_0 src1_sel:BYTE_0
	v_cmp_lt_u16_sdwa s[30:31], v12, v67 src0_sel:BYTE_0 src1_sel:BYTE_0
	s_and_b64 s[34:35], s[34:35], s[0:1]
	s_or_b64 s[34:35], s[30:31], s[34:35]
	s_and_b64 s[30:31], s[34:35], exec
	v_cmp_eq_u16_sdwa s[36:37], v12, v67 src0_sel:BYTE_0 src1_sel:BYTE_0
	s_or_b64 s[28:29], s[28:29], s[30:31]
	s_and_saveexec_b64 s[30:31], s[36:37]
	s_cbranch_execz .LBB10_446
; %bb.448:                              ;   in Loop: Header=BB10_447 Depth=1
	v_lshl_add_u64 v[18:19], v[18:19], 0, -1
	v_cmp_eq_u64_e64 s[0:1], 0, v[18:19]
	s_andn2_b64 s[26:27], s[26:27], exec
	s_and_b64 s[34:35], s[34:35], exec
	s_andn2_b64 s[24:25], s[24:25], exec
	s_and_b64 s[0:1], s[0:1], exec
	v_lshl_add_u64 v[14:15], v[14:15], 0, 1
	v_lshl_add_u64 v[16:17], v[16:17], 0, 1
	s_andn2_b64 s[28:29], s[28:29], exec
	s_or_b64 s[26:27], s[26:27], s[34:35]
	s_or_b64 s[24:25], s[24:25], s[0:1]
                                        ; implicit-def: $sgpr0_sgpr1
	s_branch .LBB10_446
.LBB10_449:
	s_or_b64 exec, exec, s[20:21]
	s_and_b64 s[0:1], s[22:23], exec
.LBB10_450:
	s_or_b64 exec, exec, s[18:19]
	s_xor_b64 s[0:1], s[0:1], -1
	s_and_b64 s[18:19], s[0:1], exec
.LBB10_451:
	s_or_b64 exec, exec, s[14:15]
	s_orn2_b64 s[14:15], s[18:19], exec
.LBB10_452:
	s_or_b64 exec, exec, s[16:17]
	v_cndmask_b32_e64 v12, v23, v66, s[14:15]
	v_cndmask_b32_e64 v14, v98, v97, s[14:15]
	v_add_u32_e32 v15, 1, v12
	v_add_u32_e32 v12, -1, v14
	v_min_u32_e32 v12, v15, v12
	v_lshl_add_u64 v[12:13], v[12:13], 3, v[54:55]
	flat_load_dwordx2 v[12:13], v[12:13]
	v_cndmask_b32_e64 v18, v15, v23, s[14:15]
	v_cndmask_b32_e64 v19, v66, v15, s[14:15]
	v_cmp_lt_u32_e64 s[0:1], v18, v98
	s_waitcnt vmcnt(0) lgkmcnt(0)
	v_cndmask_b32_e64 v23, v13, v20, s[14:15]
	v_cndmask_b32_e64 v69, v12, v21, s[14:15]
	;; [unrolled: 1-line block ×4, first 2 shown]
	s_and_saveexec_b64 s[16:17], s[0:1]
	s_cbranch_execz .LBB10_462
; %bb.453:
	v_cmp_lt_u32_e64 s[0:1], v19, v97
	s_mov_b64 s[18:19], 0
	s_and_saveexec_b64 s[2:3], s[0:1]
	s_cbranch_execz .LBB10_461
; %bb.454:
	s_mov_b64 s[0:1], 0
	s_and_saveexec_b64 s[18:19], vcc
	s_cbranch_execz .LBB10_460
; %bb.455:
	v_mad_u64_u32 v[12:13], s[0:1], v71, v6, v[8:9]
	v_mul_lo_u32 v14, v71, v7
	v_mul_lo_u32 v15, v70, v6
	v_add3_u32 v13, v15, v13, v14
	v_mad_u64_u32 v[14:15], s[0:1], v69, v6, v[8:9]
	v_mul_lo_u32 v16, v69, v7
	v_mul_lo_u32 v17, v23, v6
	v_add3_u32 v15, v17, v15, v16
	s_mov_b64 s[20:21], 0
	v_mov_b64_e32 v[16:17], v[6:7]
                                        ; implicit-def: $sgpr22_sgpr23
                                        ; implicit-def: $sgpr24_sgpr25
                                        ; implicit-def: $sgpr26_sgpr27
                                        ; implicit-def: $sgpr28_sgpr29
                                        ; implicit-def: $sgpr0_sgpr1
	s_branch .LBB10_457
.LBB10_456:                             ;   in Loop: Header=BB10_457 Depth=1
	s_or_b64 exec, exec, s[30:31]
	s_and_b64 s[30:31], exec, s[24:25]
	s_or_b64 s[20:21], s[30:31], s[20:21]
	s_andn2_b64 s[0:1], s[0:1], exec
	s_and_b64 s[30:31], s[26:27], exec
	s_or_b64 s[0:1], s[0:1], s[30:31]
	s_andn2_b64 s[22:23], s[22:23], exec
	s_and_b64 s[30:31], s[28:29], exec
	s_or_b64 s[22:23], s[22:23], s[30:31]
	s_andn2_b64 exec, exec, s[20:21]
	s_cbranch_execz .LBB10_459
.LBB10_457:                             ; =>This Inner Loop Header: Depth=1
	flat_load_ubyte v66, v[14:15]
	flat_load_ubyte v67, v[12:13]
	s_andn2_b64 s[28:29], s[28:29], exec
	s_andn2_b64 s[26:27], s[26:27], exec
	s_or_b64 s[24:25], s[24:25], exec
	s_waitcnt vmcnt(0) lgkmcnt(0)
	v_cmp_le_u16_sdwa s[34:35], v66, v67 src0_sel:BYTE_0 src1_sel:BYTE_0
	v_cmp_lt_u16_sdwa s[30:31], v66, v67 src0_sel:BYTE_0 src1_sel:BYTE_0
	s_and_b64 s[34:35], s[34:35], s[0:1]
	s_or_b64 s[34:35], s[30:31], s[34:35]
	s_and_b64 s[30:31], s[34:35], exec
	v_cmp_eq_u16_sdwa s[36:37], v66, v67 src0_sel:BYTE_0 src1_sel:BYTE_0
	s_or_b64 s[28:29], s[28:29], s[30:31]
	s_and_saveexec_b64 s[30:31], s[36:37]
	s_cbranch_execz .LBB10_456
; %bb.458:                              ;   in Loop: Header=BB10_457 Depth=1
	v_lshl_add_u64 v[16:17], v[16:17], 0, -1
	v_cmp_eq_u64_e64 s[0:1], 0, v[16:17]
	s_andn2_b64 s[26:27], s[26:27], exec
	s_and_b64 s[34:35], s[34:35], exec
	s_andn2_b64 s[24:25], s[24:25], exec
	s_and_b64 s[0:1], s[0:1], exec
	v_lshl_add_u64 v[12:13], v[12:13], 0, 1
	v_lshl_add_u64 v[14:15], v[14:15], 0, 1
	s_andn2_b64 s[28:29], s[28:29], exec
	s_or_b64 s[26:27], s[26:27], s[34:35]
	s_or_b64 s[24:25], s[24:25], s[0:1]
                                        ; implicit-def: $sgpr0_sgpr1
	s_branch .LBB10_456
.LBB10_459:
	s_or_b64 exec, exec, s[20:21]
	s_and_b64 s[0:1], s[22:23], exec
.LBB10_460:
	s_or_b64 exec, exec, s[18:19]
	s_xor_b64 s[0:1], s[0:1], -1
	s_and_b64 s[18:19], s[0:1], exec
.LBB10_461:
	s_or_b64 exec, exec, s[2:3]
	s_orn2_b64 s[2:3], s[18:19], exec
.LBB10_462:
	s_or_b64 exec, exec, s[16:17]
	v_cndmask_b32_e64 v12, v18, v19, s[2:3]
	v_cndmask_b32_e64 v13, v98, v97, s[2:3]
	v_add_u32_e32 v16, 1, v12
	v_add_u32_e32 v12, -1, v13
	v_min_u32_e32 v12, v16, v12
	v_mov_b32_e32 v13, 0
	v_lshl_add_u64 v[14:15], v[12:13], 3, v[54:55]
	flat_load_dwordx2 v[14:15], v[14:15]
	v_cndmask_b32_e64 v66, v16, v18, s[2:3]
	s_mov_b64 s[16:17], -1
	v_cndmask_b32_e64 v67, v19, v16, s[2:3]
	v_cmp_lt_u32_e64 s[0:1], v66, v98
	s_mov_b64 s[18:19], -1
	s_waitcnt vmcnt(0) lgkmcnt(0)
	v_cndmask_b32_e64 v80, v15, v23, s[2:3]
	v_cndmask_b32_e64 v81, v14, v69, s[2:3]
	;; [unrolled: 1-line block ×4, first 2 shown]
	s_and_saveexec_b64 s[20:21], s[0:1]
	s_cbranch_execz .LBB10_472
; %bb.463:
	v_cmp_lt_u32_e64 s[0:1], v67, v97
	s_mov_b64 s[22:23], 0
	s_and_saveexec_b64 s[18:19], s[0:1]
	s_cbranch_execz .LBB10_471
; %bb.464:
	s_mov_b64 s[0:1], -1
	s_and_saveexec_b64 s[22:23], vcc
	s_cbranch_execz .LBB10_470
; %bb.465:
	v_mad_u64_u32 v[14:15], s[0:1], v83, v6, v[8:9]
	v_mul_lo_u32 v12, v83, v7
	v_mul_lo_u32 v16, v82, v6
	v_add3_u32 v15, v16, v15, v12
	v_mad_u64_u32 v[16:17], s[0:1], v81, v6, v[8:9]
	v_mul_lo_u32 v12, v81, v7
	v_mul_lo_u32 v18, v80, v6
	v_add3_u32 v17, v18, v17, v12
	s_mov_b64 s[24:25], 0
	v_mov_b64_e32 v[18:19], v[6:7]
                                        ; implicit-def: $sgpr26_sgpr27
                                        ; implicit-def: $sgpr28_sgpr29
                                        ; implicit-def: $sgpr34_sgpr35
                                        ; implicit-def: $sgpr30_sgpr31
                                        ; implicit-def: $sgpr0_sgpr1
	s_branch .LBB10_467
.LBB10_466:                             ;   in Loop: Header=BB10_467 Depth=1
	s_or_b64 exec, exec, s[36:37]
	s_and_b64 s[36:37], exec, s[28:29]
	s_or_b64 s[24:25], s[36:37], s[24:25]
	s_andn2_b64 s[0:1], s[0:1], exec
	s_and_b64 s[36:37], s[30:31], exec
	s_or_b64 s[0:1], s[0:1], s[36:37]
	s_andn2_b64 s[26:27], s[26:27], exec
	s_and_b64 s[36:37], s[34:35], exec
	s_or_b64 s[26:27], s[26:27], s[36:37]
	s_andn2_b64 exec, exec, s[24:25]
	s_cbranch_execz .LBB10_469
.LBB10_467:                             ; =>This Inner Loop Header: Depth=1
	flat_load_ubyte v12, v[16:17]
	flat_load_ubyte v84, v[14:15]
	s_andn2_b64 s[34:35], s[34:35], exec
	s_andn2_b64 s[30:31], s[30:31], exec
	s_or_b64 s[28:29], s[28:29], exec
	s_waitcnt vmcnt(0) lgkmcnt(0)
	v_cmp_le_u16_sdwa s[38:39], v12, v84 src0_sel:BYTE_0 src1_sel:BYTE_0
	v_cmp_lt_u16_sdwa s[36:37], v12, v84 src0_sel:BYTE_0 src1_sel:BYTE_0
	s_and_b64 s[38:39], s[38:39], s[0:1]
	s_or_b64 s[38:39], s[36:37], s[38:39]
	s_and_b64 s[36:37], s[38:39], exec
	v_cmp_eq_u16_sdwa s[40:41], v12, v84 src0_sel:BYTE_0 src1_sel:BYTE_0
	s_or_b64 s[34:35], s[34:35], s[36:37]
	s_and_saveexec_b64 s[36:37], s[40:41]
	s_cbranch_execz .LBB10_466
; %bb.468:                              ;   in Loop: Header=BB10_467 Depth=1
	v_lshl_add_u64 v[18:19], v[18:19], 0, -1
	v_cmp_eq_u64_e64 s[0:1], 0, v[18:19]
	s_andn2_b64 s[30:31], s[30:31], exec
	s_and_b64 s[38:39], s[38:39], exec
	s_andn2_b64 s[28:29], s[28:29], exec
	s_and_b64 s[0:1], s[0:1], exec
	v_lshl_add_u64 v[14:15], v[14:15], 0, 1
	v_lshl_add_u64 v[16:17], v[16:17], 0, 1
	s_or_b64 s[30:31], s[30:31], s[38:39]
	s_andn2_b64 s[34:35], s[34:35], exec
	s_or_b64 s[28:29], s[28:29], s[0:1]
                                        ; implicit-def: $sgpr0_sgpr1
	s_branch .LBB10_466
.LBB10_469:
	s_or_b64 exec, exec, s[24:25]
	s_xor_b64 s[0:1], s[26:27], -1
	s_orn2_b64 s[0:1], s[0:1], exec
.LBB10_470:
	s_or_b64 exec, exec, s[22:23]
	s_and_b64 s[22:23], s[0:1], exec
.LBB10_471:
	s_or_b64 exec, exec, s[18:19]
	s_orn2_b64 s[18:19], s[22:23], exec
.LBB10_472:
	s_or_b64 exec, exec, s[20:21]
	v_cndmask_b32_e64 v12, v66, v67, s[18:19]
	v_cndmask_b32_e64 v14, v98, v97, s[18:19]
	v_add_u32_e32 v15, 1, v12
	v_add_u32_e32 v12, -1, v14
	v_min_u32_e32 v12, v15, v12
	v_lshl_add_u64 v[12:13], v[12:13], 3, v[54:55]
	flat_load_dwordx2 v[12:13], v[12:13]
	v_cndmask_b32_e64 v18, v15, v66, s[18:19]
	v_cndmask_b32_e64 v19, v67, v15, s[18:19]
	v_cmp_lt_u32_e64 s[0:1], v18, v98
	s_waitcnt vmcnt(0) lgkmcnt(0)
	v_cndmask_b32_e64 v84, v13, v80, s[18:19]
	v_cndmask_b32_e64 v85, v12, v81, s[18:19]
	;; [unrolled: 1-line block ×4, first 2 shown]
	s_and_saveexec_b64 s[20:21], s[0:1]
	s_cbranch_execz .LBB10_482
; %bb.473:
	v_cmp_lt_u32_e64 s[0:1], v19, v97
	s_mov_b64 s[22:23], 0
	s_and_saveexec_b64 s[16:17], s[0:1]
	s_cbranch_execz .LBB10_481
; %bb.474:
	s_mov_b64 s[0:1], -1
	s_and_saveexec_b64 s[22:23], vcc
	s_cbranch_execz .LBB10_480
; %bb.475:
	v_mad_u64_u32 v[12:13], s[0:1], v87, v6, v[8:9]
	v_mul_lo_u32 v14, v87, v7
	v_mul_lo_u32 v15, v86, v6
	v_add3_u32 v13, v15, v13, v14
	v_mad_u64_u32 v[14:15], s[0:1], v85, v6, v[8:9]
	v_mul_lo_u32 v16, v85, v7
	v_mul_lo_u32 v17, v84, v6
	v_add3_u32 v15, v17, v15, v16
	s_mov_b64 s[24:25], 0
	v_mov_b64_e32 v[16:17], v[6:7]
                                        ; implicit-def: $sgpr26_sgpr27
                                        ; implicit-def: $sgpr28_sgpr29
                                        ; implicit-def: $sgpr34_sgpr35
                                        ; implicit-def: $sgpr30_sgpr31
                                        ; implicit-def: $sgpr0_sgpr1
	s_branch .LBB10_477
.LBB10_476:                             ;   in Loop: Header=BB10_477 Depth=1
	s_or_b64 exec, exec, s[36:37]
	s_and_b64 s[36:37], exec, s[28:29]
	s_or_b64 s[24:25], s[36:37], s[24:25]
	s_andn2_b64 s[0:1], s[0:1], exec
	s_and_b64 s[36:37], s[30:31], exec
	s_or_b64 s[0:1], s[0:1], s[36:37]
	s_andn2_b64 s[26:27], s[26:27], exec
	s_and_b64 s[36:37], s[34:35], exec
	s_or_b64 s[26:27], s[26:27], s[36:37]
	s_andn2_b64 exec, exec, s[24:25]
	s_cbranch_execz .LBB10_479
.LBB10_477:                             ; =>This Inner Loop Header: Depth=1
	flat_load_ubyte v66, v[14:15]
	flat_load_ubyte v67, v[12:13]
	s_andn2_b64 s[34:35], s[34:35], exec
	s_andn2_b64 s[30:31], s[30:31], exec
	s_or_b64 s[28:29], s[28:29], exec
	s_waitcnt vmcnt(0) lgkmcnt(0)
	v_cmp_le_u16_sdwa s[38:39], v66, v67 src0_sel:BYTE_0 src1_sel:BYTE_0
	v_cmp_lt_u16_sdwa s[36:37], v66, v67 src0_sel:BYTE_0 src1_sel:BYTE_0
	s_and_b64 s[38:39], s[38:39], s[0:1]
	s_or_b64 s[38:39], s[36:37], s[38:39]
	s_and_b64 s[36:37], s[38:39], exec
	v_cmp_eq_u16_sdwa s[40:41], v66, v67 src0_sel:BYTE_0 src1_sel:BYTE_0
	s_or_b64 s[34:35], s[34:35], s[36:37]
	s_and_saveexec_b64 s[36:37], s[40:41]
	s_cbranch_execz .LBB10_476
; %bb.478:                              ;   in Loop: Header=BB10_477 Depth=1
	v_lshl_add_u64 v[16:17], v[16:17], 0, -1
	v_cmp_eq_u64_e64 s[0:1], 0, v[16:17]
	s_andn2_b64 s[30:31], s[30:31], exec
	s_and_b64 s[38:39], s[38:39], exec
	s_andn2_b64 s[28:29], s[28:29], exec
	s_and_b64 s[0:1], s[0:1], exec
	v_lshl_add_u64 v[12:13], v[12:13], 0, 1
	v_lshl_add_u64 v[14:15], v[14:15], 0, 1
	s_or_b64 s[30:31], s[30:31], s[38:39]
	s_andn2_b64 s[34:35], s[34:35], exec
	s_or_b64 s[28:29], s[28:29], s[0:1]
                                        ; implicit-def: $sgpr0_sgpr1
	s_branch .LBB10_476
.LBB10_479:
	s_or_b64 exec, exec, s[24:25]
	s_xor_b64 s[0:1], s[26:27], -1
	s_orn2_b64 s[0:1], s[0:1], exec
.LBB10_480:
	s_or_b64 exec, exec, s[22:23]
	s_and_b64 s[22:23], s[0:1], exec
.LBB10_481:
	s_or_b64 exec, exec, s[16:17]
	s_orn2_b64 s[16:17], s[22:23], exec
.LBB10_482:
	s_or_b64 exec, exec, s[20:21]
	v_cndmask_b32_e64 v12, v18, v19, s[16:17]
	v_cndmask_b32_e64 v13, v98, v97, s[16:17]
	v_add_u32_e32 v16, 1, v12
	v_add_u32_e32 v12, -1, v13
	v_min_u32_e32 v12, v16, v12
	v_mov_b32_e32 v13, 0
	v_lshl_add_u64 v[14:15], v[12:13], 3, v[54:55]
	flat_load_dwordx2 v[14:15], v[14:15]
	v_cndmask_b32_e64 v66, v16, v18, s[16:17]
	s_mov_b64 s[20:21], -1
	v_cndmask_b32_e64 v67, v19, v16, s[16:17]
	v_cmp_lt_u32_e64 s[0:1], v66, v98
	s_mov_b64 s[22:23], -1
	s_waitcnt vmcnt(0) lgkmcnt(0)
	v_cndmask_b32_e64 v99, v15, v84, s[16:17]
	v_cndmask_b32_e64 v100, v14, v85, s[16:17]
	;; [unrolled: 1-line block ×4, first 2 shown]
	s_and_saveexec_b64 s[24:25], s[0:1]
	s_cbranch_execz .LBB10_492
; %bb.483:
	v_cmp_lt_u32_e64 s[0:1], v67, v97
	s_mov_b64 s[26:27], 0
	s_and_saveexec_b64 s[22:23], s[0:1]
	s_cbranch_execz .LBB10_491
; %bb.484:
	s_mov_b64 s[0:1], -1
	s_and_saveexec_b64 s[26:27], vcc
	s_cbranch_execz .LBB10_490
; %bb.485:
	v_mad_u64_u32 v[14:15], s[0:1], v102, v6, v[8:9]
	v_mul_lo_u32 v12, v102, v7
	v_mul_lo_u32 v16, v101, v6
	v_add3_u32 v15, v16, v15, v12
	v_mad_u64_u32 v[16:17], s[0:1], v100, v6, v[8:9]
	v_mul_lo_u32 v12, v100, v7
	v_mul_lo_u32 v18, v99, v6
	v_add3_u32 v17, v18, v17, v12
	s_mov_b64 s[28:29], 0
	v_mov_b64_e32 v[18:19], v[6:7]
                                        ; implicit-def: $sgpr30_sgpr31
                                        ; implicit-def: $sgpr34_sgpr35
                                        ; implicit-def: $sgpr38_sgpr39
                                        ; implicit-def: $sgpr36_sgpr37
                                        ; implicit-def: $sgpr0_sgpr1
	s_branch .LBB10_487
.LBB10_486:                             ;   in Loop: Header=BB10_487 Depth=1
	s_or_b64 exec, exec, s[40:41]
	s_and_b64 s[40:41], exec, s[34:35]
	s_or_b64 s[28:29], s[40:41], s[28:29]
	s_andn2_b64 s[0:1], s[0:1], exec
	s_and_b64 s[40:41], s[36:37], exec
	s_or_b64 s[0:1], s[0:1], s[40:41]
	s_andn2_b64 s[30:31], s[30:31], exec
	s_and_b64 s[40:41], s[38:39], exec
	s_or_b64 s[30:31], s[30:31], s[40:41]
	s_andn2_b64 exec, exec, s[28:29]
	s_cbranch_execz .LBB10_489
.LBB10_487:                             ; =>This Inner Loop Header: Depth=1
	flat_load_ubyte v12, v[16:17]
	flat_load_ubyte v103, v[14:15]
	s_andn2_b64 s[38:39], s[38:39], exec
	s_andn2_b64 s[36:37], s[36:37], exec
	s_or_b64 s[34:35], s[34:35], exec
	s_waitcnt vmcnt(0) lgkmcnt(0)
	v_cmp_le_u16_sdwa s[42:43], v12, v103 src0_sel:BYTE_0 src1_sel:BYTE_0
	v_cmp_lt_u16_sdwa s[40:41], v12, v103 src0_sel:BYTE_0 src1_sel:BYTE_0
	s_and_b64 s[42:43], s[42:43], s[0:1]
	s_or_b64 s[42:43], s[40:41], s[42:43]
	s_and_b64 s[40:41], s[42:43], exec
	v_cmp_eq_u16_sdwa s[44:45], v12, v103 src0_sel:BYTE_0 src1_sel:BYTE_0
	s_or_b64 s[38:39], s[38:39], s[40:41]
	s_and_saveexec_b64 s[40:41], s[44:45]
	s_cbranch_execz .LBB10_486
; %bb.488:                              ;   in Loop: Header=BB10_487 Depth=1
	v_lshl_add_u64 v[18:19], v[18:19], 0, -1
	v_cmp_eq_u64_e64 s[0:1], 0, v[18:19]
	s_andn2_b64 s[36:37], s[36:37], exec
	s_and_b64 s[42:43], s[42:43], exec
	s_andn2_b64 s[34:35], s[34:35], exec
	s_and_b64 s[0:1], s[0:1], exec
	v_lshl_add_u64 v[14:15], v[14:15], 0, 1
	v_lshl_add_u64 v[16:17], v[16:17], 0, 1
	s_or_b64 s[36:37], s[36:37], s[42:43]
	s_andn2_b64 s[38:39], s[38:39], exec
	s_or_b64 s[34:35], s[34:35], s[0:1]
                                        ; implicit-def: $sgpr0_sgpr1
	s_branch .LBB10_486
.LBB10_489:
	s_or_b64 exec, exec, s[28:29]
	s_xor_b64 s[0:1], s[30:31], -1
	s_orn2_b64 s[0:1], s[0:1], exec
.LBB10_490:
	s_or_b64 exec, exec, s[26:27]
	s_and_b64 s[26:27], s[0:1], exec
.LBB10_491:
	s_or_b64 exec, exec, s[22:23]
	s_orn2_b64 s[22:23], s[26:27], exec
.LBB10_492:
	s_or_b64 exec, exec, s[24:25]
	v_cndmask_b32_e64 v12, v66, v67, s[22:23]
	v_cndmask_b32_e64 v14, v98, v97, s[22:23]
	v_add_u32_e32 v15, 1, v12
	v_add_u32_e32 v12, -1, v14
	v_min_u32_e32 v12, v15, v12
	v_lshl_add_u64 v[12:13], v[12:13], 3, v[54:55]
	flat_load_dwordx2 v[12:13], v[12:13]
	v_cndmask_b32_e64 v114, v15, v66, s[22:23]
	v_cndmask_b32_e64 v103, v67, v15, s[22:23]
	v_cmp_lt_u32_e64 s[0:1], v114, v98
	s_waitcnt vmcnt(0) lgkmcnt(0)
	v_cndmask_b32_e64 v112, v13, v99, s[22:23]
	v_cndmask_b32_e64 v113, v12, v100, s[22:23]
	;; [unrolled: 1-line block ×4, first 2 shown]
	s_and_saveexec_b64 s[24:25], s[0:1]
	s_cbranch_execz .LBB10_502
; %bb.493:
	v_cmp_lt_u32_e64 s[0:1], v103, v97
	s_mov_b64 s[26:27], 0
	s_and_saveexec_b64 s[20:21], s[0:1]
	s_cbranch_execz .LBB10_501
; %bb.494:
	s_mov_b64 s[0:1], -1
	s_and_saveexec_b64 s[26:27], vcc
	s_cbranch_execz .LBB10_500
; %bb.495:
	v_mad_u64_u32 v[12:13], s[0:1], v116, v6, v[8:9]
	v_mul_lo_u32 v14, v116, v7
	v_mul_lo_u32 v15, v115, v6
	v_add3_u32 v13, v15, v13, v14
	v_mad_u64_u32 v[14:15], s[0:1], v113, v6, v[8:9]
	v_mul_lo_u32 v16, v113, v7
	v_mul_lo_u32 v17, v112, v6
	v_add3_u32 v15, v17, v15, v16
	s_mov_b64 s[28:29], 0
	v_mov_b64_e32 v[16:17], v[6:7]
                                        ; implicit-def: $sgpr30_sgpr31
                                        ; implicit-def: $sgpr34_sgpr35
                                        ; implicit-def: $sgpr38_sgpr39
                                        ; implicit-def: $sgpr36_sgpr37
                                        ; implicit-def: $sgpr0_sgpr1
	s_branch .LBB10_497
.LBB10_496:                             ;   in Loop: Header=BB10_497 Depth=1
	s_or_b64 exec, exec, s[40:41]
	s_and_b64 s[40:41], exec, s[34:35]
	s_or_b64 s[28:29], s[40:41], s[28:29]
	s_andn2_b64 s[0:1], s[0:1], exec
	s_and_b64 s[40:41], s[36:37], exec
	s_or_b64 s[0:1], s[0:1], s[40:41]
	s_andn2_b64 s[30:31], s[30:31], exec
	s_and_b64 s[40:41], s[38:39], exec
	s_or_b64 s[30:31], s[30:31], s[40:41]
	s_andn2_b64 exec, exec, s[28:29]
	s_cbranch_execz .LBB10_499
.LBB10_497:                             ; =>This Inner Loop Header: Depth=1
	flat_load_ubyte v18, v[14:15]
	flat_load_ubyte v19, v[12:13]
	s_andn2_b64 s[38:39], s[38:39], exec
	s_andn2_b64 s[36:37], s[36:37], exec
	s_or_b64 s[34:35], s[34:35], exec
	s_waitcnt vmcnt(0) lgkmcnt(0)
	v_cmp_le_u16_sdwa s[42:43], v18, v19 src0_sel:BYTE_0 src1_sel:BYTE_0
	v_cmp_lt_u16_sdwa s[40:41], v18, v19 src0_sel:BYTE_0 src1_sel:BYTE_0
	s_and_b64 s[42:43], s[42:43], s[0:1]
	s_or_b64 s[42:43], s[40:41], s[42:43]
	s_and_b64 s[40:41], s[42:43], exec
	v_cmp_eq_u16_sdwa s[44:45], v18, v19 src0_sel:BYTE_0 src1_sel:BYTE_0
	s_or_b64 s[38:39], s[38:39], s[40:41]
	s_and_saveexec_b64 s[40:41], s[44:45]
	s_cbranch_execz .LBB10_496
; %bb.498:                              ;   in Loop: Header=BB10_497 Depth=1
	v_lshl_add_u64 v[16:17], v[16:17], 0, -1
	v_cmp_eq_u64_e64 s[0:1], 0, v[16:17]
	s_andn2_b64 s[36:37], s[36:37], exec
	s_and_b64 s[42:43], s[42:43], exec
	s_andn2_b64 s[34:35], s[34:35], exec
	s_and_b64 s[0:1], s[0:1], exec
	v_lshl_add_u64 v[12:13], v[12:13], 0, 1
	v_lshl_add_u64 v[14:15], v[14:15], 0, 1
	s_or_b64 s[36:37], s[36:37], s[42:43]
	s_andn2_b64 s[38:39], s[38:39], exec
	s_or_b64 s[34:35], s[34:35], s[0:1]
                                        ; implicit-def: $sgpr0_sgpr1
	s_branch .LBB10_496
.LBB10_499:
	s_or_b64 exec, exec, s[28:29]
	s_xor_b64 s[0:1], s[30:31], -1
	s_orn2_b64 s[0:1], s[0:1], exec
.LBB10_500:
	s_or_b64 exec, exec, s[26:27]
	s_and_b64 s[26:27], s[0:1], exec
.LBB10_501:
	s_or_b64 exec, exec, s[20:21]
	s_orn2_b64 s[20:21], s[26:27], exec
.LBB10_502:
	s_or_b64 exec, exec, s[24:25]
	v_cndmask_b32_e64 v12, v114, v103, s[20:21]
	v_cndmask_b32_e64 v13, v98, v97, s[20:21]
	v_add_u32_e32 v117, 1, v12
	v_add_u32_e32 v12, -1, v13
	v_min_u32_e32 v12, v117, v12
	v_mov_b32_e32 v13, 0
	v_lshl_add_u64 v[12:13], v[12:13], 3, v[54:55]
	flat_load_dwordx2 v[66:67], v[12:13]
	v_cndmask_b32_e64 v17, v23, v70, s[2:3]
	v_cndmask_b32_e64 v23, v20, v22, s[14:15]
	;; [unrolled: 1-line block ×15, first 2 shown]
	v_cmp_lt_u32_e64 s[0:1], v68, v98
	s_waitcnt vmcnt(0) lgkmcnt(0)
	v_cndmask_b32_e64 v3, v115, v67, s[20:21]
	v_cndmask_b32_e64 v2, v116, v66, s[20:21]
	s_and_saveexec_b64 s[2:3], s[0:1]
	s_cbranch_execz .LBB10_512
; %bb.503:
	v_cndmask_b32_e64 v68, v103, v117, s[20:21]
	v_cndmask_b32_e64 v67, v67, v112, s[20:21]
	;; [unrolled: 1-line block ×3, first 2 shown]
	v_cmp_lt_u32_e64 s[0:1], v68, v97
	s_and_saveexec_b64 s[10:11], s[0:1]
	s_cbranch_execz .LBB10_511
; %bb.504:
	s_and_saveexec_b64 s[14:15], vcc
	s_cbranch_execz .LBB10_510
; %bb.505:
	v_mad_u64_u32 v[68:69], s[0:1], v2, v6, v[8:9]
	v_mul_lo_u32 v70, v2, v7
	v_mul_lo_u32 v71, v3, v6
	v_add3_u32 v69, v71, v69, v70
	v_mad_u64_u32 v[70:71], s[0:1], v66, v6, v[8:9]
	v_mul_lo_u32 v80, v66, v7
	v_mul_lo_u32 v81, v67, v6
	v_add3_u32 v71, v81, v71, v80
	s_mov_b64 s[16:17], 0
	v_mov_b64_e32 v[80:81], v[6:7]
                                        ; implicit-def: $sgpr18_sgpr19
                                        ; implicit-def: $sgpr20_sgpr21
                                        ; implicit-def: $sgpr24_sgpr25
                                        ; implicit-def: $sgpr22_sgpr23
                                        ; implicit-def: $sgpr0_sgpr1
	s_branch .LBB10_507
.LBB10_506:                             ;   in Loop: Header=BB10_507 Depth=1
	s_or_b64 exec, exec, s[26:27]
	s_and_b64 s[26:27], exec, s[20:21]
	s_or_b64 s[16:17], s[26:27], s[16:17]
	s_andn2_b64 s[0:1], s[0:1], exec
	s_and_b64 s[26:27], s[22:23], exec
	s_or_b64 s[0:1], s[0:1], s[26:27]
	s_andn2_b64 s[18:19], s[18:19], exec
	s_and_b64 s[26:27], s[24:25], exec
	s_or_b64 s[18:19], s[18:19], s[26:27]
	s_andn2_b64 exec, exec, s[16:17]
	s_cbranch_execz .LBB10_509
.LBB10_507:                             ; =>This Inner Loop Header: Depth=1
	flat_load_ubyte v82, v[70:71]
	flat_load_ubyte v83, v[68:69]
	s_andn2_b64 s[24:25], s[24:25], exec
	s_andn2_b64 s[22:23], s[22:23], exec
	s_or_b64 s[20:21], s[20:21], exec
	s_waitcnt vmcnt(0) lgkmcnt(0)
	v_cmp_le_u16_sdwa s[28:29], v82, v83 src0_sel:BYTE_0 src1_sel:BYTE_0
	v_cmp_lt_u16_sdwa s[26:27], v82, v83 src0_sel:BYTE_0 src1_sel:BYTE_0
	s_and_b64 s[28:29], s[28:29], s[0:1]
	s_or_b64 s[28:29], s[26:27], s[28:29]
	s_and_b64 s[26:27], s[28:29], exec
	v_cmp_eq_u16_sdwa s[30:31], v82, v83 src0_sel:BYTE_0 src1_sel:BYTE_0
	s_or_b64 s[24:25], s[24:25], s[26:27]
	s_and_saveexec_b64 s[26:27], s[30:31]
	s_cbranch_execz .LBB10_506
; %bb.508:                              ;   in Loop: Header=BB10_507 Depth=1
	v_lshl_add_u64 v[80:81], v[80:81], 0, -1
	v_cmp_eq_u64_e64 s[0:1], 0, v[80:81]
	s_andn2_b64 s[22:23], s[22:23], exec
	s_and_b64 s[28:29], s[28:29], exec
	s_andn2_b64 s[20:21], s[20:21], exec
	s_and_b64 s[0:1], s[0:1], exec
	v_lshl_add_u64 v[68:69], v[68:69], 0, 1
	v_lshl_add_u64 v[70:71], v[70:71], 0, 1
	s_or_b64 s[22:23], s[22:23], s[28:29]
	s_andn2_b64 s[24:25], s[24:25], exec
	s_or_b64 s[20:21], s[20:21], s[0:1]
                                        ; implicit-def: $sgpr0_sgpr1
	s_branch .LBB10_506
.LBB10_509:
	s_or_b64 exec, exec, s[16:17]
	v_cndmask_b32_e64 v3, v3, v67, s[18:19]
	v_cndmask_b32_e64 v2, v2, v66, s[18:19]
.LBB10_510:
	s_or_b64 exec, exec, s[14:15]
	v_mov_b64_e32 v[66:67], v[2:3]
.LBB10_511:
	s_or_b64 exec, exec, s[10:11]
	v_mov_b64_e32 v[2:3], v[66:67]
.LBB10_512:
	s_or_b64 exec, exec, s[2:3]
.LBB10_513:
	s_or_b64 exec, exec, s[6:7]
	v_and_b32_e32 v97, 0x380, v96
	; wave barrier
	flat_store_dwordx4 v[64:65], v[20:23]
	flat_store_dwordx4 v[64:65], v[16:19] offset:16
	flat_store_dwordx4 v[64:65], v[12:15] offset:32
	;; [unrolled: 1-line block ×3, first 2 shown]
	v_or_b32_e32 v64, 64, v97
	v_min_u32_e32 v86, v31, v64
	v_add_u32_e32 v64, 64, v86
	v_min_u32_e32 v87, v31, v64
	v_and_b32_e32 v64, 0x78, v96
	v_min_u32_e32 v31, v31, v64
	v_sub_u32_e32 v64, v86, v97
	v_sub_u32_e32 v65, v87, v86
	v_sub_u32_e64 v96, v31, v65 clamp
	v_min_u32_e32 v98, v31, v64
	v_cmp_lt_u32_e64 s[0:1], v96, v98
	; wave barrier
	s_and_saveexec_b64 s[2:3], s[0:1]
	s_cbranch_execz .LBB10_523
; %bb.514:
	v_lshlrev_b32_e32 v64, 3, v97
	v_mov_b32_e32 v65, 0
	v_lshl_add_u64 v[66:67], v[54:55], 0, v[64:65]
	v_lshlrev_b32_e32 v64, 3, v86
	v_lshl_add_u64 v[68:69], v[54:55], 0, v[64:65]
	s_mov_b64 s[6:7], 0
	s_branch .LBB10_517
.LBB10_515:                             ;   in Loop: Header=BB10_517 Depth=1
	s_or_b64 exec, exec, s[14:15]
	s_and_b64 s[0:1], s[16:17], exec
.LBB10_516:                             ;   in Loop: Header=BB10_517 Depth=1
	s_or_b64 exec, exec, s[10:11]
	v_add_u32_e32 v64, 1, v70
	v_cndmask_b32_e64 v98, v98, v70, s[0:1]
	v_cndmask_b32_e64 v96, v64, v96, s[0:1]
	v_cmp_ge_u32_e64 s[0:1], v96, v98
	s_or_b64 s[6:7], s[0:1], s[6:7]
	s_andn2_b64 exec, exec, s[6:7]
	s_cbranch_execz .LBB10_522
.LBB10_517:                             ; =>This Loop Header: Depth=1
                                        ;     Child Loop BB10_520 Depth 2
	v_add_u32_e32 v64, v98, v96
	v_lshrrev_b32_e32 v70, 1, v64
	s_mov_b64 s[0:1], 0
	s_and_saveexec_b64 s[10:11], vcc
	s_cbranch_execz .LBB10_516
; %bb.518:                              ;   in Loop: Header=BB10_517 Depth=1
	v_mov_b32_e32 v71, v65
	v_xad_u32 v64, v70, -1, v31
	v_lshl_add_u64 v[80:81], v[70:71], 3, v[66:67]
	v_lshl_add_u64 v[82:83], v[64:65], 3, v[68:69]
	flat_load_dwordx2 v[80:81], v[80:81]
	s_mov_b64 s[14:15], 0
	flat_load_dwordx2 v[82:83], v[82:83]
                                        ; implicit-def: $sgpr16_sgpr17
                                        ; implicit-def: $sgpr18_sgpr19
                                        ; implicit-def: $sgpr20_sgpr21
                                        ; implicit-def: $sgpr22_sgpr23
                                        ; implicit-def: $sgpr0_sgpr1
	s_waitcnt vmcnt(0) lgkmcnt(0)
	v_mul_lo_u32 v64, v80, v7
	v_mul_lo_u32 v71, v81, v6
	v_mad_u64_u32 v[80:81], s[24:25], v80, v6, v[8:9]
	v_mul_lo_u32 v84, v82, v7
	v_mul_lo_u32 v85, v83, v6
	v_mad_u64_u32 v[82:83], s[24:25], v82, v6, v[8:9]
	v_add3_u32 v81, v71, v81, v64
	v_add3_u32 v83, v85, v83, v84
	v_mov_b64_e32 v[84:85], v[6:7]
	s_branch .LBB10_520
.LBB10_519:                             ;   in Loop: Header=BB10_520 Depth=2
	s_or_b64 exec, exec, s[24:25]
	s_and_b64 s[24:25], exec, s[18:19]
	s_or_b64 s[14:15], s[24:25], s[14:15]
	s_andn2_b64 s[0:1], s[0:1], exec
	s_and_b64 s[24:25], s[20:21], exec
	s_or_b64 s[0:1], s[0:1], s[24:25]
	s_andn2_b64 s[16:17], s[16:17], exec
	s_and_b64 s[24:25], s[22:23], exec
	s_or_b64 s[16:17], s[16:17], s[24:25]
	s_andn2_b64 exec, exec, s[14:15]
	s_cbranch_execz .LBB10_515
.LBB10_520:                             ;   Parent Loop BB10_517 Depth=1
                                        ; =>  This Inner Loop Header: Depth=2
	flat_load_ubyte v64, v[82:83]
	flat_load_ubyte v71, v[80:81]
	s_andn2_b64 s[22:23], s[22:23], exec
	s_andn2_b64 s[20:21], s[20:21], exec
	s_or_b64 s[18:19], s[18:19], exec
	s_waitcnt vmcnt(0) lgkmcnt(0)
	v_cmp_le_u16_sdwa s[26:27], v64, v71 src0_sel:BYTE_0 src1_sel:BYTE_0
	v_cmp_lt_u16_sdwa s[24:25], v64, v71 src0_sel:BYTE_0 src1_sel:BYTE_0
	s_and_b64 s[26:27], s[26:27], s[0:1]
	s_or_b64 s[26:27], s[24:25], s[26:27]
	s_and_b64 s[24:25], s[26:27], exec
	v_cmp_eq_u16_sdwa s[28:29], v64, v71 src0_sel:BYTE_0 src1_sel:BYTE_0
	s_or_b64 s[22:23], s[22:23], s[24:25]
	s_and_saveexec_b64 s[24:25], s[28:29]
	s_cbranch_execz .LBB10_519
; %bb.521:                              ;   in Loop: Header=BB10_520 Depth=2
	v_lshl_add_u64 v[84:85], v[84:85], 0, -1
	v_cmp_eq_u64_e64 s[0:1], 0, v[84:85]
	s_andn2_b64 s[20:21], s[20:21], exec
	s_and_b64 s[26:27], s[26:27], exec
	s_andn2_b64 s[18:19], s[18:19], exec
	s_and_b64 s[0:1], s[0:1], exec
	v_lshl_add_u64 v[80:81], v[80:81], 0, 1
	v_lshl_add_u64 v[82:83], v[82:83], 0, 1
	s_andn2_b64 s[22:23], s[22:23], exec
	s_or_b64 s[20:21], s[20:21], s[26:27]
	s_or_b64 s[18:19], s[18:19], s[0:1]
                                        ; implicit-def: $sgpr0_sgpr1
	s_branch .LBB10_519
.LBB10_522:
	s_or_b64 exec, exec, s[6:7]
.LBB10_523:
	s_or_b64 exec, exec, s[2:3]
	v_add_u32_e32 v31, v86, v31
	v_add_u32_e32 v64, v96, v97
	v_sub_u32_e32 v66, v31, v96
	v_cmp_le_u32_e64 s[0:1], v64, v86
	v_cmp_le_u32_e64 s[2:3], v66, v87
	s_or_b64 s[0:1], s[0:1], s[2:3]
	s_and_saveexec_b64 s[6:7], s[0:1]
	s_cbranch_execz .LBB10_607
; %bb.524:
	v_cmp_ge_u32_e64 s[0:1], v64, v86
	v_cmp_lt_u32_e64 s[2:3], v64, v86
                                        ; implicit-def: $vgpr0_vgpr1
	s_and_saveexec_b64 s[10:11], s[2:3]
	s_cbranch_execz .LBB10_526
; %bb.525:
	v_mov_b32_e32 v65, 0
	v_lshl_add_u64 v[0:1], v[64:65], 3, v[54:55]
	flat_load_dwordx2 v[0:1], v[0:1]
.LBB10_526:
	s_or_b64 exec, exec, s[10:11]
	v_cmp_ge_u32_e64 s[10:11], v66, v87
	v_cmp_lt_u32_e64 s[2:3], v66, v87
                                        ; implicit-def: $vgpr2_vgpr3
	s_and_saveexec_b64 s[14:15], s[2:3]
	s_cbranch_execz .LBB10_528
; %bb.527:
	v_mov_b32_e32 v67, 0
	v_lshl_add_u64 v[2:3], v[66:67], 3, v[54:55]
	flat_load_dwordx2 v[2:3], v[2:3]
.LBB10_528:
	s_or_b64 exec, exec, s[14:15]
	s_or_b64 s[0:1], s[0:1], s[10:11]
	s_xor_b64 s[0:1], s[0:1], -1
	s_and_saveexec_b64 s[2:3], s[0:1]
	s_cbranch_execz .LBB10_536
; %bb.529:
	s_mov_b64 s[0:1], 0
	s_and_saveexec_b64 s[14:15], vcc
	s_cbranch_execz .LBB10_535
; %bb.530:
	s_waitcnt vmcnt(0) lgkmcnt(0)
	v_mad_u64_u32 v[12:13], s[0:1], v0, v6, v[8:9]
	v_mul_lo_u32 v14, v0, v7
	v_mul_lo_u32 v15, v1, v6
	v_add3_u32 v13, v15, v13, v14
	v_mad_u64_u32 v[14:15], s[0:1], v2, v6, v[8:9]
	v_mul_lo_u32 v16, v2, v7
	v_mul_lo_u32 v17, v3, v6
	v_add3_u32 v15, v17, v15, v16
	s_mov_b64 s[16:17], 0
	v_mov_b64_e32 v[16:17], v[6:7]
                                        ; implicit-def: $sgpr18_sgpr19
                                        ; implicit-def: $sgpr20_sgpr21
                                        ; implicit-def: $sgpr22_sgpr23
                                        ; implicit-def: $sgpr24_sgpr25
                                        ; implicit-def: $sgpr0_sgpr1
	s_branch .LBB10_532
.LBB10_531:                             ;   in Loop: Header=BB10_532 Depth=1
	s_or_b64 exec, exec, s[26:27]
	s_and_b64 s[26:27], exec, s[20:21]
	s_or_b64 s[16:17], s[26:27], s[16:17]
	s_andn2_b64 s[0:1], s[0:1], exec
	s_and_b64 s[26:27], s[22:23], exec
	s_or_b64 s[0:1], s[0:1], s[26:27]
	s_andn2_b64 s[18:19], s[18:19], exec
	s_and_b64 s[26:27], s[24:25], exec
	s_or_b64 s[18:19], s[18:19], s[26:27]
	s_andn2_b64 exec, exec, s[16:17]
	s_cbranch_execz .LBB10_534
.LBB10_532:                             ; =>This Inner Loop Header: Depth=1
	flat_load_ubyte v18, v[14:15]
	flat_load_ubyte v19, v[12:13]
	s_andn2_b64 s[24:25], s[24:25], exec
	s_andn2_b64 s[22:23], s[22:23], exec
	s_or_b64 s[20:21], s[20:21], exec
	s_waitcnt vmcnt(0) lgkmcnt(0)
	v_cmp_le_u16_sdwa s[28:29], v18, v19 src0_sel:BYTE_0 src1_sel:BYTE_0
	v_cmp_lt_u16_sdwa s[26:27], v18, v19 src0_sel:BYTE_0 src1_sel:BYTE_0
	s_and_b64 s[28:29], s[28:29], s[0:1]
	s_or_b64 s[28:29], s[26:27], s[28:29]
	s_and_b64 s[26:27], s[28:29], exec
	v_cmp_eq_u16_sdwa s[30:31], v18, v19 src0_sel:BYTE_0 src1_sel:BYTE_0
	s_or_b64 s[24:25], s[24:25], s[26:27]
	s_and_saveexec_b64 s[26:27], s[30:31]
	s_cbranch_execz .LBB10_531
; %bb.533:                              ;   in Loop: Header=BB10_532 Depth=1
	v_lshl_add_u64 v[16:17], v[16:17], 0, -1
	v_cmp_eq_u64_e64 s[0:1], 0, v[16:17]
	s_andn2_b64 s[22:23], s[22:23], exec
	s_and_b64 s[28:29], s[28:29], exec
	s_andn2_b64 s[20:21], s[20:21], exec
	s_and_b64 s[0:1], s[0:1], exec
	v_lshl_add_u64 v[12:13], v[12:13], 0, 1
	v_lshl_add_u64 v[14:15], v[14:15], 0, 1
	s_andn2_b64 s[24:25], s[24:25], exec
	s_or_b64 s[22:23], s[22:23], s[28:29]
	s_or_b64 s[20:21], s[20:21], s[0:1]
                                        ; implicit-def: $sgpr0_sgpr1
	s_branch .LBB10_531
.LBB10_534:
	s_or_b64 exec, exec, s[16:17]
	s_and_b64 s[0:1], s[18:19], exec
.LBB10_535:
	s_or_b64 exec, exec, s[14:15]
	s_xor_b64 s[0:1], s[0:1], -1
	s_andn2_b64 s[10:11], s[10:11], exec
	s_and_b64 s[0:1], s[0:1], exec
	s_or_b64 s[10:11], s[10:11], s[0:1]
.LBB10_536:
	s_or_b64 exec, exec, s[2:3]
	v_cndmask_b32_e64 v12, v66, v64, s[10:11]
	v_cndmask_b32_e64 v13, v87, v86, s[10:11]
	v_add_u32_e32 v16, 1, v12
	v_add_u32_e32 v12, -1, v13
	v_min_u32_e32 v12, v16, v12
	v_mov_b32_e32 v13, 0
	v_lshl_add_u64 v[14:15], v[12:13], 3, v[54:55]
	flat_load_dwordx2 v[14:15], v[14:15]
	v_cndmask_b32_e64 v23, v16, v66, s[10:11]
	s_mov_b64 s[2:3], -1
	v_cndmask_b32_e64 v64, v64, v16, s[10:11]
	v_cmp_lt_u32_e64 s[0:1], v23, v87
	s_mov_b64 s[14:15], -1
	s_waitcnt vmcnt(0) lgkmcnt(0)
	v_cndmask_b32_e64 v20, v15, v3, s[10:11]
	v_cndmask_b32_e64 v21, v14, v2, s[10:11]
	;; [unrolled: 1-line block ×4, first 2 shown]
	s_and_saveexec_b64 s[16:17], s[0:1]
	s_cbranch_execz .LBB10_546
; %bb.537:
	v_cmp_lt_u32_e64 s[0:1], v64, v86
	s_mov_b64 s[18:19], 0
	s_and_saveexec_b64 s[14:15], s[0:1]
	s_cbranch_execz .LBB10_545
; %bb.538:
	s_mov_b64 s[0:1], 0
	s_and_saveexec_b64 s[18:19], vcc
	s_cbranch_execz .LBB10_544
; %bb.539:
	v_mad_u64_u32 v[14:15], s[0:1], v31, v6, v[8:9]
	v_mul_lo_u32 v12, v31, v7
	v_mul_lo_u32 v16, v22, v6
	v_add3_u32 v15, v16, v15, v12
	v_mad_u64_u32 v[16:17], s[0:1], v21, v6, v[8:9]
	v_mul_lo_u32 v12, v21, v7
	v_mul_lo_u32 v18, v20, v6
	v_add3_u32 v17, v18, v17, v12
	s_mov_b64 s[20:21], 0
	v_mov_b64_e32 v[18:19], v[6:7]
                                        ; implicit-def: $sgpr22_sgpr23
                                        ; implicit-def: $sgpr24_sgpr25
                                        ; implicit-def: $sgpr26_sgpr27
                                        ; implicit-def: $sgpr28_sgpr29
                                        ; implicit-def: $sgpr0_sgpr1
	s_branch .LBB10_541
.LBB10_540:                             ;   in Loop: Header=BB10_541 Depth=1
	s_or_b64 exec, exec, s[30:31]
	s_and_b64 s[30:31], exec, s[24:25]
	s_or_b64 s[20:21], s[30:31], s[20:21]
	s_andn2_b64 s[0:1], s[0:1], exec
	s_and_b64 s[30:31], s[26:27], exec
	s_or_b64 s[0:1], s[0:1], s[30:31]
	s_andn2_b64 s[22:23], s[22:23], exec
	s_and_b64 s[30:31], s[28:29], exec
	s_or_b64 s[22:23], s[22:23], s[30:31]
	s_andn2_b64 exec, exec, s[20:21]
	s_cbranch_execz .LBB10_543
.LBB10_541:                             ; =>This Inner Loop Header: Depth=1
	flat_load_ubyte v12, v[16:17]
	flat_load_ubyte v65, v[14:15]
	s_andn2_b64 s[28:29], s[28:29], exec
	s_andn2_b64 s[26:27], s[26:27], exec
	s_or_b64 s[24:25], s[24:25], exec
	s_waitcnt vmcnt(0) lgkmcnt(0)
	v_cmp_le_u16_sdwa s[34:35], v12, v65 src0_sel:BYTE_0 src1_sel:BYTE_0
	v_cmp_lt_u16_sdwa s[30:31], v12, v65 src0_sel:BYTE_0 src1_sel:BYTE_0
	s_and_b64 s[34:35], s[34:35], s[0:1]
	s_or_b64 s[34:35], s[30:31], s[34:35]
	s_and_b64 s[30:31], s[34:35], exec
	v_cmp_eq_u16_sdwa s[36:37], v12, v65 src0_sel:BYTE_0 src1_sel:BYTE_0
	s_or_b64 s[28:29], s[28:29], s[30:31]
	s_and_saveexec_b64 s[30:31], s[36:37]
	s_cbranch_execz .LBB10_540
; %bb.542:                              ;   in Loop: Header=BB10_541 Depth=1
	v_lshl_add_u64 v[18:19], v[18:19], 0, -1
	v_cmp_eq_u64_e64 s[0:1], 0, v[18:19]
	s_andn2_b64 s[26:27], s[26:27], exec
	s_and_b64 s[34:35], s[34:35], exec
	s_andn2_b64 s[24:25], s[24:25], exec
	s_and_b64 s[0:1], s[0:1], exec
	v_lshl_add_u64 v[14:15], v[14:15], 0, 1
	v_lshl_add_u64 v[16:17], v[16:17], 0, 1
	s_andn2_b64 s[28:29], s[28:29], exec
	s_or_b64 s[26:27], s[26:27], s[34:35]
	s_or_b64 s[24:25], s[24:25], s[0:1]
                                        ; implicit-def: $sgpr0_sgpr1
	s_branch .LBB10_540
.LBB10_543:
	s_or_b64 exec, exec, s[20:21]
	s_and_b64 s[0:1], s[22:23], exec
.LBB10_544:
	s_or_b64 exec, exec, s[18:19]
	s_xor_b64 s[0:1], s[0:1], -1
	s_and_b64 s[18:19], s[0:1], exec
.LBB10_545:
	s_or_b64 exec, exec, s[14:15]
	s_orn2_b64 s[14:15], s[18:19], exec
.LBB10_546:
	s_or_b64 exec, exec, s[16:17]
	v_cndmask_b32_e64 v12, v23, v64, s[14:15]
	v_cndmask_b32_e64 v14, v87, v86, s[14:15]
	v_add_u32_e32 v15, 1, v12
	v_add_u32_e32 v12, -1, v14
	v_min_u32_e32 v12, v15, v12
	v_lshl_add_u64 v[12:13], v[12:13], 3, v[54:55]
	flat_load_dwordx2 v[12:13], v[12:13]
	v_cndmask_b32_e64 v18, v15, v23, s[14:15]
	v_cndmask_b32_e64 v19, v64, v15, s[14:15]
	v_cmp_lt_u32_e64 s[0:1], v18, v87
	s_waitcnt vmcnt(0) lgkmcnt(0)
	v_cndmask_b32_e64 v23, v13, v20, s[14:15]
	v_cndmask_b32_e64 v64, v12, v21, s[14:15]
	;; [unrolled: 1-line block ×4, first 2 shown]
	s_and_saveexec_b64 s[16:17], s[0:1]
	s_cbranch_execz .LBB10_556
; %bb.547:
	v_cmp_lt_u32_e64 s[0:1], v19, v86
	s_mov_b64 s[18:19], 0
	s_and_saveexec_b64 s[2:3], s[0:1]
	s_cbranch_execz .LBB10_555
; %bb.548:
	s_mov_b64 s[0:1], 0
	s_and_saveexec_b64 s[18:19], vcc
	s_cbranch_execz .LBB10_554
; %bb.549:
	v_mad_u64_u32 v[12:13], s[0:1], v66, v6, v[8:9]
	v_mul_lo_u32 v14, v66, v7
	v_mul_lo_u32 v15, v65, v6
	v_add3_u32 v13, v15, v13, v14
	v_mad_u64_u32 v[14:15], s[0:1], v64, v6, v[8:9]
	v_mul_lo_u32 v16, v64, v7
	v_mul_lo_u32 v17, v23, v6
	v_add3_u32 v15, v17, v15, v16
	s_mov_b64 s[20:21], 0
	v_mov_b64_e32 v[16:17], v[6:7]
                                        ; implicit-def: $sgpr22_sgpr23
                                        ; implicit-def: $sgpr24_sgpr25
                                        ; implicit-def: $sgpr26_sgpr27
                                        ; implicit-def: $sgpr28_sgpr29
                                        ; implicit-def: $sgpr0_sgpr1
	s_branch .LBB10_551
.LBB10_550:                             ;   in Loop: Header=BB10_551 Depth=1
	s_or_b64 exec, exec, s[30:31]
	s_and_b64 s[30:31], exec, s[24:25]
	s_or_b64 s[20:21], s[30:31], s[20:21]
	s_andn2_b64 s[0:1], s[0:1], exec
	s_and_b64 s[30:31], s[26:27], exec
	s_or_b64 s[0:1], s[0:1], s[30:31]
	s_andn2_b64 s[22:23], s[22:23], exec
	s_and_b64 s[30:31], s[28:29], exec
	s_or_b64 s[22:23], s[22:23], s[30:31]
	s_andn2_b64 exec, exec, s[20:21]
	s_cbranch_execz .LBB10_553
.LBB10_551:                             ; =>This Inner Loop Header: Depth=1
	flat_load_ubyte v67, v[14:15]
	flat_load_ubyte v68, v[12:13]
	s_andn2_b64 s[28:29], s[28:29], exec
	s_andn2_b64 s[26:27], s[26:27], exec
	s_or_b64 s[24:25], s[24:25], exec
	s_waitcnt vmcnt(0) lgkmcnt(0)
	v_cmp_le_u16_sdwa s[34:35], v67, v68 src0_sel:BYTE_0 src1_sel:BYTE_0
	v_cmp_lt_u16_sdwa s[30:31], v67, v68 src0_sel:BYTE_0 src1_sel:BYTE_0
	s_and_b64 s[34:35], s[34:35], s[0:1]
	s_or_b64 s[34:35], s[30:31], s[34:35]
	s_and_b64 s[30:31], s[34:35], exec
	v_cmp_eq_u16_sdwa s[36:37], v67, v68 src0_sel:BYTE_0 src1_sel:BYTE_0
	s_or_b64 s[28:29], s[28:29], s[30:31]
	s_and_saveexec_b64 s[30:31], s[36:37]
	s_cbranch_execz .LBB10_550
; %bb.552:                              ;   in Loop: Header=BB10_551 Depth=1
	v_lshl_add_u64 v[16:17], v[16:17], 0, -1
	v_cmp_eq_u64_e64 s[0:1], 0, v[16:17]
	s_andn2_b64 s[26:27], s[26:27], exec
	s_and_b64 s[34:35], s[34:35], exec
	s_andn2_b64 s[24:25], s[24:25], exec
	s_and_b64 s[0:1], s[0:1], exec
	v_lshl_add_u64 v[12:13], v[12:13], 0, 1
	v_lshl_add_u64 v[14:15], v[14:15], 0, 1
	s_andn2_b64 s[28:29], s[28:29], exec
	s_or_b64 s[26:27], s[26:27], s[34:35]
	s_or_b64 s[24:25], s[24:25], s[0:1]
                                        ; implicit-def: $sgpr0_sgpr1
	s_branch .LBB10_550
.LBB10_553:
	s_or_b64 exec, exec, s[20:21]
	s_and_b64 s[0:1], s[22:23], exec
.LBB10_554:
	s_or_b64 exec, exec, s[18:19]
	s_xor_b64 s[0:1], s[0:1], -1
	s_and_b64 s[18:19], s[0:1], exec
.LBB10_555:
	s_or_b64 exec, exec, s[2:3]
	s_orn2_b64 s[2:3], s[18:19], exec
.LBB10_556:
	s_or_b64 exec, exec, s[16:17]
	v_cndmask_b32_e64 v12, v18, v19, s[2:3]
	v_cndmask_b32_e64 v13, v87, v86, s[2:3]
	v_add_u32_e32 v16, 1, v12
	v_add_u32_e32 v12, -1, v13
	v_min_u32_e32 v12, v16, v12
	v_mov_b32_e32 v13, 0
	v_lshl_add_u64 v[14:15], v[12:13], 3, v[54:55]
	flat_load_dwordx2 v[14:15], v[14:15]
	v_cndmask_b32_e64 v71, v16, v18, s[2:3]
	s_mov_b64 s[16:17], -1
	v_cndmask_b32_e64 v80, v19, v16, s[2:3]
	v_cmp_lt_u32_e64 s[0:1], v71, v87
	s_mov_b64 s[18:19], -1
	s_waitcnt vmcnt(0) lgkmcnt(0)
	v_cndmask_b32_e64 v67, v15, v23, s[2:3]
	v_cndmask_b32_e64 v68, v14, v64, s[2:3]
	;; [unrolled: 1-line block ×4, first 2 shown]
	s_and_saveexec_b64 s[20:21], s[0:1]
	s_cbranch_execz .LBB10_566
; %bb.557:
	v_cmp_lt_u32_e64 s[0:1], v80, v86
	s_mov_b64 s[22:23], 0
	s_and_saveexec_b64 s[18:19], s[0:1]
	s_cbranch_execz .LBB10_565
; %bb.558:
	s_mov_b64 s[0:1], -1
	s_and_saveexec_b64 s[22:23], vcc
	s_cbranch_execz .LBB10_564
; %bb.559:
	v_mad_u64_u32 v[14:15], s[0:1], v70, v6, v[8:9]
	v_mul_lo_u32 v12, v70, v7
	v_mul_lo_u32 v16, v69, v6
	v_add3_u32 v15, v16, v15, v12
	v_mad_u64_u32 v[16:17], s[0:1], v68, v6, v[8:9]
	v_mul_lo_u32 v12, v68, v7
	v_mul_lo_u32 v18, v67, v6
	v_add3_u32 v17, v18, v17, v12
	s_mov_b64 s[24:25], 0
	v_mov_b64_e32 v[18:19], v[6:7]
                                        ; implicit-def: $sgpr26_sgpr27
                                        ; implicit-def: $sgpr28_sgpr29
                                        ; implicit-def: $sgpr34_sgpr35
                                        ; implicit-def: $sgpr30_sgpr31
                                        ; implicit-def: $sgpr0_sgpr1
	s_branch .LBB10_561
.LBB10_560:                             ;   in Loop: Header=BB10_561 Depth=1
	s_or_b64 exec, exec, s[36:37]
	s_and_b64 s[36:37], exec, s[28:29]
	s_or_b64 s[24:25], s[36:37], s[24:25]
	s_andn2_b64 s[0:1], s[0:1], exec
	s_and_b64 s[36:37], s[30:31], exec
	s_or_b64 s[0:1], s[0:1], s[36:37]
	s_andn2_b64 s[26:27], s[26:27], exec
	s_and_b64 s[36:37], s[34:35], exec
	s_or_b64 s[26:27], s[26:27], s[36:37]
	s_andn2_b64 exec, exec, s[24:25]
	s_cbranch_execz .LBB10_563
.LBB10_561:                             ; =>This Inner Loop Header: Depth=1
	flat_load_ubyte v12, v[16:17]
	flat_load_ubyte v81, v[14:15]
	s_andn2_b64 s[34:35], s[34:35], exec
	s_andn2_b64 s[30:31], s[30:31], exec
	s_or_b64 s[28:29], s[28:29], exec
	s_waitcnt vmcnt(0) lgkmcnt(0)
	v_cmp_le_u16_sdwa s[38:39], v12, v81 src0_sel:BYTE_0 src1_sel:BYTE_0
	v_cmp_lt_u16_sdwa s[36:37], v12, v81 src0_sel:BYTE_0 src1_sel:BYTE_0
	s_and_b64 s[38:39], s[38:39], s[0:1]
	s_or_b64 s[38:39], s[36:37], s[38:39]
	s_and_b64 s[36:37], s[38:39], exec
	v_cmp_eq_u16_sdwa s[40:41], v12, v81 src0_sel:BYTE_0 src1_sel:BYTE_0
	s_or_b64 s[34:35], s[34:35], s[36:37]
	s_and_saveexec_b64 s[36:37], s[40:41]
	s_cbranch_execz .LBB10_560
; %bb.562:                              ;   in Loop: Header=BB10_561 Depth=1
	v_lshl_add_u64 v[18:19], v[18:19], 0, -1
	v_cmp_eq_u64_e64 s[0:1], 0, v[18:19]
	s_andn2_b64 s[30:31], s[30:31], exec
	s_and_b64 s[38:39], s[38:39], exec
	s_andn2_b64 s[28:29], s[28:29], exec
	s_and_b64 s[0:1], s[0:1], exec
	v_lshl_add_u64 v[14:15], v[14:15], 0, 1
	v_lshl_add_u64 v[16:17], v[16:17], 0, 1
	s_or_b64 s[30:31], s[30:31], s[38:39]
	s_andn2_b64 s[34:35], s[34:35], exec
	s_or_b64 s[28:29], s[28:29], s[0:1]
                                        ; implicit-def: $sgpr0_sgpr1
	s_branch .LBB10_560
.LBB10_563:
	s_or_b64 exec, exec, s[24:25]
	s_xor_b64 s[0:1], s[26:27], -1
	s_orn2_b64 s[0:1], s[0:1], exec
.LBB10_564:
	s_or_b64 exec, exec, s[22:23]
	s_and_b64 s[22:23], s[0:1], exec
.LBB10_565:
	s_or_b64 exec, exec, s[18:19]
	s_orn2_b64 s[18:19], s[22:23], exec
.LBB10_566:
	s_or_b64 exec, exec, s[20:21]
	v_cndmask_b32_e64 v12, v71, v80, s[18:19]
	v_cndmask_b32_e64 v14, v87, v86, s[18:19]
	v_add_u32_e32 v15, 1, v12
	v_add_u32_e32 v12, -1, v14
	v_min_u32_e32 v12, v15, v12
	v_lshl_add_u64 v[12:13], v[12:13], 3, v[54:55]
	flat_load_dwordx2 v[12:13], v[12:13]
	v_cndmask_b32_e64 v18, v15, v71, s[18:19]
	v_cndmask_b32_e64 v19, v80, v15, s[18:19]
	v_cmp_lt_u32_e64 s[0:1], v18, v87
	s_waitcnt vmcnt(0) lgkmcnt(0)
	v_cndmask_b32_e64 v71, v13, v67, s[18:19]
	v_cndmask_b32_e64 v80, v12, v68, s[18:19]
	;; [unrolled: 1-line block ×4, first 2 shown]
	s_and_saveexec_b64 s[20:21], s[0:1]
	s_cbranch_execz .LBB10_576
; %bb.567:
	v_cmp_lt_u32_e64 s[0:1], v19, v86
	s_mov_b64 s[22:23], 0
	s_and_saveexec_b64 s[16:17], s[0:1]
	s_cbranch_execz .LBB10_575
; %bb.568:
	s_mov_b64 s[0:1], -1
	s_and_saveexec_b64 s[22:23], vcc
	s_cbranch_execz .LBB10_574
; %bb.569:
	v_mad_u64_u32 v[12:13], s[0:1], v82, v6, v[8:9]
	v_mul_lo_u32 v14, v82, v7
	v_mul_lo_u32 v15, v81, v6
	v_add3_u32 v13, v15, v13, v14
	v_mad_u64_u32 v[14:15], s[0:1], v80, v6, v[8:9]
	v_mul_lo_u32 v16, v80, v7
	v_mul_lo_u32 v17, v71, v6
	v_add3_u32 v15, v17, v15, v16
	s_mov_b64 s[24:25], 0
	v_mov_b64_e32 v[16:17], v[6:7]
                                        ; implicit-def: $sgpr26_sgpr27
                                        ; implicit-def: $sgpr28_sgpr29
                                        ; implicit-def: $sgpr34_sgpr35
                                        ; implicit-def: $sgpr30_sgpr31
                                        ; implicit-def: $sgpr0_sgpr1
	s_branch .LBB10_571
.LBB10_570:                             ;   in Loop: Header=BB10_571 Depth=1
	s_or_b64 exec, exec, s[36:37]
	s_and_b64 s[36:37], exec, s[28:29]
	s_or_b64 s[24:25], s[36:37], s[24:25]
	s_andn2_b64 s[0:1], s[0:1], exec
	s_and_b64 s[36:37], s[30:31], exec
	s_or_b64 s[0:1], s[0:1], s[36:37]
	s_andn2_b64 s[26:27], s[26:27], exec
	s_and_b64 s[36:37], s[34:35], exec
	s_or_b64 s[26:27], s[26:27], s[36:37]
	s_andn2_b64 exec, exec, s[24:25]
	s_cbranch_execz .LBB10_573
.LBB10_571:                             ; =>This Inner Loop Header: Depth=1
	flat_load_ubyte v83, v[14:15]
	flat_load_ubyte v84, v[12:13]
	s_andn2_b64 s[34:35], s[34:35], exec
	s_andn2_b64 s[30:31], s[30:31], exec
	s_or_b64 s[28:29], s[28:29], exec
	s_waitcnt vmcnt(0) lgkmcnt(0)
	v_cmp_le_u16_sdwa s[38:39], v83, v84 src0_sel:BYTE_0 src1_sel:BYTE_0
	v_cmp_lt_u16_sdwa s[36:37], v83, v84 src0_sel:BYTE_0 src1_sel:BYTE_0
	s_and_b64 s[38:39], s[38:39], s[0:1]
	s_or_b64 s[38:39], s[36:37], s[38:39]
	s_and_b64 s[36:37], s[38:39], exec
	v_cmp_eq_u16_sdwa s[40:41], v83, v84 src0_sel:BYTE_0 src1_sel:BYTE_0
	s_or_b64 s[34:35], s[34:35], s[36:37]
	s_and_saveexec_b64 s[36:37], s[40:41]
	s_cbranch_execz .LBB10_570
; %bb.572:                              ;   in Loop: Header=BB10_571 Depth=1
	v_lshl_add_u64 v[16:17], v[16:17], 0, -1
	v_cmp_eq_u64_e64 s[0:1], 0, v[16:17]
	s_andn2_b64 s[30:31], s[30:31], exec
	s_and_b64 s[38:39], s[38:39], exec
	s_andn2_b64 s[28:29], s[28:29], exec
	s_and_b64 s[0:1], s[0:1], exec
	v_lshl_add_u64 v[12:13], v[12:13], 0, 1
	v_lshl_add_u64 v[14:15], v[14:15], 0, 1
	s_or_b64 s[30:31], s[30:31], s[38:39]
	s_andn2_b64 s[34:35], s[34:35], exec
	s_or_b64 s[28:29], s[28:29], s[0:1]
                                        ; implicit-def: $sgpr0_sgpr1
	s_branch .LBB10_570
.LBB10_573:
	s_or_b64 exec, exec, s[24:25]
	s_xor_b64 s[0:1], s[26:27], -1
	s_orn2_b64 s[0:1], s[0:1], exec
.LBB10_574:
	s_or_b64 exec, exec, s[22:23]
	s_and_b64 s[22:23], s[0:1], exec
.LBB10_575:
	s_or_b64 exec, exec, s[16:17]
	s_orn2_b64 s[16:17], s[22:23], exec
.LBB10_576:
	s_or_b64 exec, exec, s[20:21]
	v_cndmask_b32_e64 v12, v18, v19, s[16:17]
	v_cndmask_b32_e64 v13, v87, v86, s[16:17]
	v_add_u32_e32 v16, 1, v12
	v_add_u32_e32 v12, -1, v13
	v_min_u32_e32 v12, v16, v12
	v_mov_b32_e32 v13, 0
	v_lshl_add_u64 v[14:15], v[12:13], 3, v[54:55]
	flat_load_dwordx2 v[14:15], v[14:15]
	v_cndmask_b32_e64 v97, v16, v18, s[16:17]
	s_mov_b64 s[20:21], -1
	v_cndmask_b32_e64 v98, v19, v16, s[16:17]
	v_cmp_lt_u32_e64 s[0:1], v97, v87
	s_mov_b64 s[22:23], -1
	s_waitcnt vmcnt(0) lgkmcnt(0)
	v_cndmask_b32_e64 v83, v15, v71, s[16:17]
	v_cndmask_b32_e64 v84, v14, v80, s[16:17]
	;; [unrolled: 1-line block ×4, first 2 shown]
	s_and_saveexec_b64 s[24:25], s[0:1]
	s_cbranch_execz .LBB10_586
; %bb.577:
	v_cmp_lt_u32_e64 s[0:1], v98, v86
	s_mov_b64 s[26:27], 0
	s_and_saveexec_b64 s[22:23], s[0:1]
	s_cbranch_execz .LBB10_585
; %bb.578:
	s_mov_b64 s[0:1], -1
	s_and_saveexec_b64 s[26:27], vcc
	s_cbranch_execz .LBB10_584
; %bb.579:
	v_mad_u64_u32 v[14:15], s[0:1], v96, v6, v[8:9]
	v_mul_lo_u32 v12, v96, v7
	v_mul_lo_u32 v16, v85, v6
	v_add3_u32 v15, v16, v15, v12
	v_mad_u64_u32 v[16:17], s[0:1], v84, v6, v[8:9]
	v_mul_lo_u32 v12, v84, v7
	v_mul_lo_u32 v18, v83, v6
	v_add3_u32 v17, v18, v17, v12
	s_mov_b64 s[28:29], 0
	v_mov_b64_e32 v[18:19], v[6:7]
                                        ; implicit-def: $sgpr30_sgpr31
                                        ; implicit-def: $sgpr34_sgpr35
                                        ; implicit-def: $sgpr38_sgpr39
                                        ; implicit-def: $sgpr36_sgpr37
                                        ; implicit-def: $sgpr0_sgpr1
	s_branch .LBB10_581
.LBB10_580:                             ;   in Loop: Header=BB10_581 Depth=1
	s_or_b64 exec, exec, s[40:41]
	s_and_b64 s[40:41], exec, s[34:35]
	s_or_b64 s[28:29], s[40:41], s[28:29]
	s_andn2_b64 s[0:1], s[0:1], exec
	s_and_b64 s[40:41], s[36:37], exec
	s_or_b64 s[0:1], s[0:1], s[40:41]
	s_andn2_b64 s[30:31], s[30:31], exec
	s_and_b64 s[40:41], s[38:39], exec
	s_or_b64 s[30:31], s[30:31], s[40:41]
	s_andn2_b64 exec, exec, s[28:29]
	s_cbranch_execz .LBB10_583
.LBB10_581:                             ; =>This Inner Loop Header: Depth=1
	flat_load_ubyte v12, v[16:17]
	flat_load_ubyte v99, v[14:15]
	s_andn2_b64 s[38:39], s[38:39], exec
	s_andn2_b64 s[36:37], s[36:37], exec
	s_or_b64 s[34:35], s[34:35], exec
	s_waitcnt vmcnt(0) lgkmcnt(0)
	v_cmp_le_u16_sdwa s[42:43], v12, v99 src0_sel:BYTE_0 src1_sel:BYTE_0
	v_cmp_lt_u16_sdwa s[40:41], v12, v99 src0_sel:BYTE_0 src1_sel:BYTE_0
	s_and_b64 s[42:43], s[42:43], s[0:1]
	s_or_b64 s[42:43], s[40:41], s[42:43]
	s_and_b64 s[40:41], s[42:43], exec
	v_cmp_eq_u16_sdwa s[44:45], v12, v99 src0_sel:BYTE_0 src1_sel:BYTE_0
	s_or_b64 s[38:39], s[38:39], s[40:41]
	s_and_saveexec_b64 s[40:41], s[44:45]
	s_cbranch_execz .LBB10_580
; %bb.582:                              ;   in Loop: Header=BB10_581 Depth=1
	v_lshl_add_u64 v[18:19], v[18:19], 0, -1
	v_cmp_eq_u64_e64 s[0:1], 0, v[18:19]
	s_andn2_b64 s[36:37], s[36:37], exec
	s_and_b64 s[42:43], s[42:43], exec
	s_andn2_b64 s[34:35], s[34:35], exec
	s_and_b64 s[0:1], s[0:1], exec
	v_lshl_add_u64 v[14:15], v[14:15], 0, 1
	v_lshl_add_u64 v[16:17], v[16:17], 0, 1
	s_or_b64 s[36:37], s[36:37], s[42:43]
	s_andn2_b64 s[38:39], s[38:39], exec
	s_or_b64 s[34:35], s[34:35], s[0:1]
                                        ; implicit-def: $sgpr0_sgpr1
	s_branch .LBB10_580
.LBB10_583:
	s_or_b64 exec, exec, s[28:29]
	s_xor_b64 s[0:1], s[30:31], -1
	s_orn2_b64 s[0:1], s[0:1], exec
.LBB10_584:
	s_or_b64 exec, exec, s[26:27]
	s_and_b64 s[26:27], s[0:1], exec
.LBB10_585:
	s_or_b64 exec, exec, s[22:23]
	s_orn2_b64 s[22:23], s[26:27], exec
.LBB10_586:
	s_or_b64 exec, exec, s[24:25]
	v_cndmask_b32_e64 v12, v97, v98, s[22:23]
	v_cndmask_b32_e64 v14, v87, v86, s[22:23]
	v_add_u32_e32 v15, 1, v12
	v_add_u32_e32 v12, -1, v14
	v_min_u32_e32 v12, v15, v12
	v_lshl_add_u64 v[12:13], v[12:13], 3, v[54:55]
	flat_load_dwordx2 v[12:13], v[12:13]
	v_cndmask_b32_e64 v100, v15, v97, s[22:23]
	v_cndmask_b32_e64 v97, v98, v15, s[22:23]
	v_cmp_lt_u32_e64 s[0:1], v100, v87
	s_waitcnt vmcnt(0) lgkmcnt(0)
	v_cndmask_b32_e64 v98, v13, v83, s[22:23]
	v_cndmask_b32_e64 v99, v12, v84, s[22:23]
	;; [unrolled: 1-line block ×4, first 2 shown]
	s_and_saveexec_b64 s[24:25], s[0:1]
	s_cbranch_execz .LBB10_596
; %bb.587:
	v_cmp_lt_u32_e64 s[0:1], v97, v86
	s_mov_b64 s[26:27], 0
	s_and_saveexec_b64 s[20:21], s[0:1]
	s_cbranch_execz .LBB10_595
; %bb.588:
	s_mov_b64 s[0:1], -1
	s_and_saveexec_b64 s[26:27], vcc
	s_cbranch_execz .LBB10_594
; %bb.589:
	v_mad_u64_u32 v[12:13], s[0:1], v102, v6, v[8:9]
	v_mul_lo_u32 v14, v102, v7
	v_mul_lo_u32 v15, v101, v6
	v_add3_u32 v13, v15, v13, v14
	v_mad_u64_u32 v[14:15], s[0:1], v99, v6, v[8:9]
	v_mul_lo_u32 v16, v99, v7
	v_mul_lo_u32 v17, v98, v6
	v_add3_u32 v15, v17, v15, v16
	s_mov_b64 s[28:29], 0
	v_mov_b64_e32 v[16:17], v[6:7]
                                        ; implicit-def: $sgpr30_sgpr31
                                        ; implicit-def: $sgpr34_sgpr35
                                        ; implicit-def: $sgpr38_sgpr39
                                        ; implicit-def: $sgpr36_sgpr37
                                        ; implicit-def: $sgpr0_sgpr1
	s_branch .LBB10_591
.LBB10_590:                             ;   in Loop: Header=BB10_591 Depth=1
	s_or_b64 exec, exec, s[40:41]
	s_and_b64 s[40:41], exec, s[34:35]
	s_or_b64 s[28:29], s[40:41], s[28:29]
	s_andn2_b64 s[0:1], s[0:1], exec
	s_and_b64 s[40:41], s[36:37], exec
	s_or_b64 s[0:1], s[0:1], s[40:41]
	s_andn2_b64 s[30:31], s[30:31], exec
	s_and_b64 s[40:41], s[38:39], exec
	s_or_b64 s[30:31], s[30:31], s[40:41]
	s_andn2_b64 exec, exec, s[28:29]
	s_cbranch_execz .LBB10_593
.LBB10_591:                             ; =>This Inner Loop Header: Depth=1
	flat_load_ubyte v18, v[14:15]
	flat_load_ubyte v19, v[12:13]
	s_andn2_b64 s[38:39], s[38:39], exec
	s_andn2_b64 s[36:37], s[36:37], exec
	s_or_b64 s[34:35], s[34:35], exec
	s_waitcnt vmcnt(0) lgkmcnt(0)
	v_cmp_le_u16_sdwa s[42:43], v18, v19 src0_sel:BYTE_0 src1_sel:BYTE_0
	v_cmp_lt_u16_sdwa s[40:41], v18, v19 src0_sel:BYTE_0 src1_sel:BYTE_0
	s_and_b64 s[42:43], s[42:43], s[0:1]
	s_or_b64 s[42:43], s[40:41], s[42:43]
	s_and_b64 s[40:41], s[42:43], exec
	v_cmp_eq_u16_sdwa s[44:45], v18, v19 src0_sel:BYTE_0 src1_sel:BYTE_0
	s_or_b64 s[38:39], s[38:39], s[40:41]
	s_and_saveexec_b64 s[40:41], s[44:45]
	s_cbranch_execz .LBB10_590
; %bb.592:                              ;   in Loop: Header=BB10_591 Depth=1
	v_lshl_add_u64 v[16:17], v[16:17], 0, -1
	v_cmp_eq_u64_e64 s[0:1], 0, v[16:17]
	s_andn2_b64 s[36:37], s[36:37], exec
	s_and_b64 s[42:43], s[42:43], exec
	s_andn2_b64 s[34:35], s[34:35], exec
	s_and_b64 s[0:1], s[0:1], exec
	v_lshl_add_u64 v[12:13], v[12:13], 0, 1
	v_lshl_add_u64 v[14:15], v[14:15], 0, 1
	s_or_b64 s[36:37], s[36:37], s[42:43]
	s_andn2_b64 s[38:39], s[38:39], exec
	s_or_b64 s[34:35], s[34:35], s[0:1]
                                        ; implicit-def: $sgpr0_sgpr1
	s_branch .LBB10_590
.LBB10_593:
	s_or_b64 exec, exec, s[28:29]
	s_xor_b64 s[0:1], s[30:31], -1
	s_orn2_b64 s[0:1], s[0:1], exec
.LBB10_594:
	s_or_b64 exec, exec, s[26:27]
	s_and_b64 s[26:27], s[0:1], exec
.LBB10_595:
	s_or_b64 exec, exec, s[20:21]
	s_orn2_b64 s[20:21], s[26:27], exec
.LBB10_596:
	s_or_b64 exec, exec, s[24:25]
	v_cndmask_b32_e64 v12, v100, v97, s[20:21]
	v_cndmask_b32_e64 v13, v87, v86, s[20:21]
	v_add_u32_e32 v103, 1, v12
	v_add_u32_e32 v12, -1, v13
	v_min_u32_e32 v12, v103, v12
	v_mov_b32_e32 v13, 0
	v_lshl_add_u64 v[12:13], v[12:13], 3, v[54:55]
	flat_load_dwordx2 v[54:55], v[12:13]
	v_cndmask_b32_e64 v17, v23, v65, s[2:3]
	v_cndmask_b32_e64 v23, v20, v22, s[14:15]
	;; [unrolled: 1-line block ×15, first 2 shown]
	v_cmp_lt_u32_e64 s[0:1], v31, v87
	s_waitcnt vmcnt(0) lgkmcnt(0)
	v_cndmask_b32_e64 v3, v101, v55, s[20:21]
	v_cndmask_b32_e64 v2, v102, v54, s[20:21]
	s_and_saveexec_b64 s[2:3], s[0:1]
	s_cbranch_execz .LBB10_606
; %bb.597:
	v_cndmask_b32_e64 v31, v97, v103, s[20:21]
	v_cndmask_b32_e64 v55, v55, v98, s[20:21]
	v_cndmask_b32_e64 v54, v54, v99, s[20:21]
	v_cmp_lt_u32_e64 s[0:1], v31, v86
	s_and_saveexec_b64 s[10:11], s[0:1]
	s_cbranch_execz .LBB10_605
; %bb.598:
	s_and_saveexec_b64 s[14:15], vcc
	s_cbranch_execz .LBB10_604
; %bb.599:
	v_mad_u64_u32 v[64:65], s[0:1], v2, v6, v[8:9]
	v_mul_lo_u32 v31, v2, v7
	v_mul_lo_u32 v66, v3, v6
	v_add3_u32 v65, v66, v65, v31
	v_mad_u64_u32 v[66:67], s[0:1], v54, v6, v[8:9]
	v_mul_lo_u32 v31, v54, v7
	v_mul_lo_u32 v68, v55, v6
	v_add3_u32 v67, v68, v67, v31
	s_mov_b64 s[16:17], 0
	v_mov_b64_e32 v[68:69], v[6:7]
                                        ; implicit-def: $sgpr18_sgpr19
                                        ; implicit-def: $sgpr20_sgpr21
                                        ; implicit-def: $sgpr24_sgpr25
                                        ; implicit-def: $sgpr22_sgpr23
                                        ; implicit-def: $sgpr0_sgpr1
	s_branch .LBB10_601
.LBB10_600:                             ;   in Loop: Header=BB10_601 Depth=1
	s_or_b64 exec, exec, s[26:27]
	s_and_b64 s[26:27], exec, s[20:21]
	s_or_b64 s[16:17], s[26:27], s[16:17]
	s_andn2_b64 s[0:1], s[0:1], exec
	s_and_b64 s[26:27], s[22:23], exec
	s_or_b64 s[0:1], s[0:1], s[26:27]
	s_andn2_b64 s[18:19], s[18:19], exec
	s_and_b64 s[26:27], s[24:25], exec
	s_or_b64 s[18:19], s[18:19], s[26:27]
	s_andn2_b64 exec, exec, s[16:17]
	s_cbranch_execz .LBB10_603
.LBB10_601:                             ; =>This Inner Loop Header: Depth=1
	flat_load_ubyte v31, v[66:67]
	flat_load_ubyte v70, v[64:65]
	s_andn2_b64 s[24:25], s[24:25], exec
	s_andn2_b64 s[22:23], s[22:23], exec
	s_or_b64 s[20:21], s[20:21], exec
	s_waitcnt vmcnt(0) lgkmcnt(0)
	v_cmp_le_u16_sdwa s[28:29], v31, v70 src0_sel:BYTE_0 src1_sel:BYTE_0
	v_cmp_lt_u16_sdwa s[26:27], v31, v70 src0_sel:BYTE_0 src1_sel:BYTE_0
	s_and_b64 s[28:29], s[28:29], s[0:1]
	s_or_b64 s[28:29], s[26:27], s[28:29]
	s_and_b64 s[26:27], s[28:29], exec
	v_cmp_eq_u16_sdwa s[30:31], v31, v70 src0_sel:BYTE_0 src1_sel:BYTE_0
	s_or_b64 s[24:25], s[24:25], s[26:27]
	s_and_saveexec_b64 s[26:27], s[30:31]
	s_cbranch_execz .LBB10_600
; %bb.602:                              ;   in Loop: Header=BB10_601 Depth=1
	v_lshl_add_u64 v[68:69], v[68:69], 0, -1
	v_cmp_eq_u64_e64 s[0:1], 0, v[68:69]
	s_andn2_b64 s[22:23], s[22:23], exec
	s_and_b64 s[28:29], s[28:29], exec
	s_andn2_b64 s[20:21], s[20:21], exec
	s_and_b64 s[0:1], s[0:1], exec
	v_lshl_add_u64 v[64:65], v[64:65], 0, 1
	v_lshl_add_u64 v[66:67], v[66:67], 0, 1
	s_or_b64 s[22:23], s[22:23], s[28:29]
	s_andn2_b64 s[24:25], s[24:25], exec
	s_or_b64 s[20:21], s[20:21], s[0:1]
                                        ; implicit-def: $sgpr0_sgpr1
	s_branch .LBB10_600
.LBB10_603:
	s_or_b64 exec, exec, s[16:17]
	v_cndmask_b32_e64 v3, v3, v55, s[18:19]
	v_cndmask_b32_e64 v2, v2, v54, s[18:19]
.LBB10_604:
	s_or_b64 exec, exec, s[14:15]
	v_mov_b64_e32 v[54:55], v[2:3]
.LBB10_605:
	s_or_b64 exec, exec, s[10:11]
	v_mov_b64_e32 v[2:3], v[54:55]
.LBB10_606:
	s_or_b64 exec, exec, s[2:3]
.LBB10_607:
	s_or_b64 exec, exec, s[6:7]
	v_lshlrev_b32_e32 v54, 3, v30
	v_mov_b32_e32 v55, 0
	v_lshl_add_u64 v[64:65], v[10:11], 0, v[54:55]
	s_movk_i32 s46, 0x80
	; wave barrier
	s_waitcnt lgkmcnt(0)
	s_barrier
.LBB10_608:                             ; =>This Loop Header: Depth=1
                                        ;     Child Loop BB10_612 Depth 2
                                        ;       Child Loop BB10_615 Depth 3
                                        ;     Child Loop BB10_627 Depth 2
                                        ;     Child Loop BB10_636 Depth 2
	;; [unrolled: 1-line block ×8, first 2 shown]
	s_lshl_b32 s47, s46, 1
	s_sub_i32 s1, 0, s47
	v_and_b32_e32 v87, s1, v30
	v_add_u32_e32 v31, s46, v87
	v_min_u32_e32 v31, 0x800, v31
	s_add_i32 s0, s47, -1
	v_add_u32_e32 v54, s46, v31
	v_min_u32_e32 v86, 0x800, v54
	v_and_b32_e32 v54, s0, v30
	v_min_u32_e32 v96, 0x800, v54
	v_sub_u32_e32 v54, v31, v87
	v_sub_u32_e32 v66, v86, v31
	v_sub_u32_e64 v97, v96, v66 clamp
	v_min_u32_e32 v98, v96, v54
	v_cmp_lt_u32_e64 s[0:1], v97, v98
	flat_store_dwordx4 v[64:65], v[20:23]
	flat_store_dwordx4 v[64:65], v[16:19] offset:16
	flat_store_dwordx4 v[64:65], v[12:15] offset:32
	;; [unrolled: 1-line block ×3, first 2 shown]
	s_waitcnt lgkmcnt(0)
	s_barrier
	s_and_saveexec_b64 s[2:3], s[0:1]
	s_cbranch_execz .LBB10_618
; %bb.609:                              ;   in Loop: Header=BB10_608 Depth=1
	v_lshlrev_b32_e32 v54, 3, v87
	v_lshl_add_u64 v[66:67], v[10:11], 0, v[54:55]
	v_lshlrev_b32_e32 v54, 3, v31
	v_lshl_add_u64 v[68:69], v[10:11], 0, v[54:55]
	s_mov_b64 s[6:7], 0
	s_branch .LBB10_612
.LBB10_610:                             ;   in Loop: Header=BB10_612 Depth=2
	s_or_b64 exec, exec, s[14:15]
	s_and_b64 s[0:1], s[16:17], exec
.LBB10_611:                             ;   in Loop: Header=BB10_612 Depth=2
	s_or_b64 exec, exec, s[10:11]
	v_add_u32_e32 v54, 1, v70
	v_cndmask_b32_e64 v98, v98, v70, s[0:1]
	v_cndmask_b32_e64 v97, v54, v97, s[0:1]
	v_cmp_ge_u32_e64 s[0:1], v97, v98
	s_or_b64 s[6:7], s[0:1], s[6:7]
	s_andn2_b64 exec, exec, s[6:7]
	s_cbranch_execz .LBB10_617
.LBB10_612:                             ;   Parent Loop BB10_608 Depth=1
                                        ; =>  This Loop Header: Depth=2
                                        ;       Child Loop BB10_615 Depth 3
	v_add_u32_e32 v54, v98, v97
	v_lshrrev_b32_e32 v70, 1, v54
	s_mov_b64 s[0:1], 0
	s_and_saveexec_b64 s[10:11], vcc
	s_cbranch_execz .LBB10_611
; %bb.613:                              ;   in Loop: Header=BB10_612 Depth=2
	v_mov_b32_e32 v71, v55
	v_xad_u32 v54, v70, -1, v96
	v_lshl_add_u64 v[80:81], v[70:71], 3, v[66:67]
	v_lshl_add_u64 v[82:83], v[54:55], 3, v[68:69]
	flat_load_dwordx2 v[80:81], v[80:81]
	s_mov_b64 s[14:15], 0
	flat_load_dwordx2 v[82:83], v[82:83]
                                        ; implicit-def: $sgpr16_sgpr17
                                        ; implicit-def: $sgpr18_sgpr19
                                        ; implicit-def: $sgpr20_sgpr21
                                        ; implicit-def: $sgpr22_sgpr23
                                        ; implicit-def: $sgpr0_sgpr1
	s_waitcnt vmcnt(0) lgkmcnt(0)
	v_mul_lo_u32 v54, v80, v7
	v_mul_lo_u32 v71, v81, v6
	v_mad_u64_u32 v[80:81], s[24:25], v80, v6, v[8:9]
	v_mul_lo_u32 v84, v82, v7
	v_mul_lo_u32 v85, v83, v6
	v_mad_u64_u32 v[82:83], s[24:25], v82, v6, v[8:9]
	v_add3_u32 v81, v71, v81, v54
	v_add3_u32 v83, v85, v83, v84
	v_mov_b64_e32 v[84:85], v[6:7]
	s_branch .LBB10_615
.LBB10_614:                             ;   in Loop: Header=BB10_615 Depth=3
	s_or_b64 exec, exec, s[24:25]
	s_and_b64 s[24:25], exec, s[18:19]
	s_or_b64 s[14:15], s[24:25], s[14:15]
	s_andn2_b64 s[0:1], s[0:1], exec
	s_and_b64 s[24:25], s[20:21], exec
	s_or_b64 s[0:1], s[0:1], s[24:25]
	s_andn2_b64 s[16:17], s[16:17], exec
	s_and_b64 s[24:25], s[22:23], exec
	s_or_b64 s[16:17], s[16:17], s[24:25]
	s_andn2_b64 exec, exec, s[14:15]
	s_cbranch_execz .LBB10_610
.LBB10_615:                             ;   Parent Loop BB10_608 Depth=1
                                        ;     Parent Loop BB10_612 Depth=2
                                        ; =>    This Inner Loop Header: Depth=3
	flat_load_ubyte v54, v[82:83]
	flat_load_ubyte v71, v[80:81]
	s_andn2_b64 s[22:23], s[22:23], exec
	s_andn2_b64 s[20:21], s[20:21], exec
	s_or_b64 s[18:19], s[18:19], exec
	s_waitcnt vmcnt(0) lgkmcnt(0)
	v_cmp_le_u16_sdwa s[26:27], v54, v71 src0_sel:BYTE_0 src1_sel:BYTE_0
	v_cmp_lt_u16_sdwa s[24:25], v54, v71 src0_sel:BYTE_0 src1_sel:BYTE_0
	s_and_b64 s[26:27], s[26:27], s[0:1]
	s_or_b64 s[26:27], s[24:25], s[26:27]
	s_and_b64 s[24:25], s[26:27], exec
	v_cmp_eq_u16_sdwa s[28:29], v54, v71 src0_sel:BYTE_0 src1_sel:BYTE_0
	s_or_b64 s[22:23], s[22:23], s[24:25]
	s_and_saveexec_b64 s[24:25], s[28:29]
	s_cbranch_execz .LBB10_614
; %bb.616:                              ;   in Loop: Header=BB10_615 Depth=3
	v_lshl_add_u64 v[84:85], v[84:85], 0, -1
	v_cmp_eq_u64_e64 s[0:1], 0, v[84:85]
	s_andn2_b64 s[20:21], s[20:21], exec
	s_and_b64 s[26:27], s[26:27], exec
	s_andn2_b64 s[18:19], s[18:19], exec
	s_and_b64 s[0:1], s[0:1], exec
	v_lshl_add_u64 v[80:81], v[80:81], 0, 1
	v_lshl_add_u64 v[82:83], v[82:83], 0, 1
	s_andn2_b64 s[22:23], s[22:23], exec
	s_or_b64 s[20:21], s[20:21], s[26:27]
	s_or_b64 s[18:19], s[18:19], s[0:1]
                                        ; implicit-def: $sgpr0_sgpr1
	s_branch .LBB10_614
.LBB10_617:                             ;   in Loop: Header=BB10_608 Depth=1
	s_or_b64 exec, exec, s[6:7]
.LBB10_618:                             ;   in Loop: Header=BB10_608 Depth=1
	s_or_b64 exec, exec, s[2:3]
	v_sub_u32_e32 v54, v96, v97
	v_add_u32_e32 v66, v97, v87
	v_add_u32_e32 v68, v54, v31
	v_cmp_le_u32_e64 s[0:1], v66, v31
	v_cmp_le_u32_e64 s[2:3], v68, v86
	s_or_b64 s[0:1], s[0:1], s[2:3]
	s_and_saveexec_b64 s[6:7], s[0:1]
	s_cbranch_execz .LBB10_702
; %bb.619:                              ;   in Loop: Header=BB10_608 Depth=1
	v_cmp_ge_u32_e64 s[0:1], v66, v31
	v_cmp_lt_u32_e64 s[2:3], v66, v31
                                        ; implicit-def: $vgpr0_vgpr1
	s_and_saveexec_b64 s[10:11], s[2:3]
	s_cbranch_execz .LBB10_621
; %bb.620:                              ;   in Loop: Header=BB10_608 Depth=1
	v_mov_b32_e32 v67, v55
	v_lshl_add_u64 v[0:1], v[66:67], 3, v[10:11]
	flat_load_dwordx2 v[0:1], v[0:1]
.LBB10_621:                             ;   in Loop: Header=BB10_608 Depth=1
	s_or_b64 exec, exec, s[10:11]
	v_cmp_ge_u32_e64 s[10:11], v68, v86
	v_cmp_lt_u32_e64 s[2:3], v68, v86
                                        ; implicit-def: $vgpr20_vgpr21
	s_and_saveexec_b64 s[14:15], s[2:3]
	s_cbranch_execz .LBB10_623
; %bb.622:                              ;   in Loop: Header=BB10_608 Depth=1
	v_mov_b32_e32 v69, v55
	v_lshl_add_u64 v[2:3], v[68:69], 3, v[10:11]
	flat_load_dwordx2 v[20:21], v[2:3]
.LBB10_623:                             ;   in Loop: Header=BB10_608 Depth=1
	s_or_b64 exec, exec, s[14:15]
	s_or_b64 s[0:1], s[0:1], s[10:11]
	s_xor_b64 s[0:1], s[0:1], -1
	s_and_saveexec_b64 s[2:3], s[0:1]
	s_cbranch_execz .LBB10_631
; %bb.624:                              ;   in Loop: Header=BB10_608 Depth=1
	s_mov_b64 s[0:1], 0
	s_and_saveexec_b64 s[14:15], vcc
	s_cbranch_execz .LBB10_630
; %bb.625:                              ;   in Loop: Header=BB10_608 Depth=1
	s_waitcnt vmcnt(0) lgkmcnt(0)
	v_mad_u64_u32 v[2:3], s[0:1], v0, v6, v[8:9]
	v_mul_lo_u32 v12, v0, v7
	v_mul_lo_u32 v13, v1, v6
	v_add3_u32 v3, v13, v3, v12
	v_mad_u64_u32 v[12:13], s[0:1], v20, v6, v[8:9]
	v_mul_lo_u32 v14, v20, v7
	v_mul_lo_u32 v15, v21, v6
	v_add3_u32 v13, v15, v13, v14
	s_mov_b64 s[16:17], 0
	v_mov_b64_e32 v[14:15], v[6:7]
                                        ; implicit-def: $sgpr18_sgpr19
                                        ; implicit-def: $sgpr20_sgpr21
                                        ; implicit-def: $sgpr22_sgpr23
                                        ; implicit-def: $sgpr24_sgpr25
                                        ; implicit-def: $sgpr0_sgpr1
	s_branch .LBB10_627
.LBB10_626:                             ;   in Loop: Header=BB10_627 Depth=2
	s_or_b64 exec, exec, s[26:27]
	s_and_b64 s[26:27], exec, s[20:21]
	s_or_b64 s[16:17], s[26:27], s[16:17]
	s_andn2_b64 s[0:1], s[0:1], exec
	s_and_b64 s[26:27], s[22:23], exec
	s_or_b64 s[0:1], s[0:1], s[26:27]
	s_andn2_b64 s[18:19], s[18:19], exec
	s_and_b64 s[26:27], s[24:25], exec
	s_or_b64 s[18:19], s[18:19], s[26:27]
	s_andn2_b64 exec, exec, s[16:17]
	s_cbranch_execz .LBB10_629
.LBB10_627:                             ;   Parent Loop BB10_608 Depth=1
                                        ; =>  This Inner Loop Header: Depth=2
	flat_load_ubyte v16, v[12:13]
	flat_load_ubyte v17, v[2:3]
	s_andn2_b64 s[24:25], s[24:25], exec
	s_andn2_b64 s[22:23], s[22:23], exec
	s_or_b64 s[20:21], s[20:21], exec
	s_waitcnt vmcnt(0) lgkmcnt(0)
	v_cmp_le_u16_sdwa s[28:29], v16, v17 src0_sel:BYTE_0 src1_sel:BYTE_0
	v_cmp_lt_u16_sdwa s[26:27], v16, v17 src0_sel:BYTE_0 src1_sel:BYTE_0
	s_and_b64 s[28:29], s[28:29], s[0:1]
	s_or_b64 s[28:29], s[26:27], s[28:29]
	s_and_b64 s[26:27], s[28:29], exec
	v_cmp_eq_u16_sdwa s[30:31], v16, v17 src0_sel:BYTE_0 src1_sel:BYTE_0
	s_or_b64 s[24:25], s[24:25], s[26:27]
	s_and_saveexec_b64 s[26:27], s[30:31]
	s_cbranch_execz .LBB10_626
; %bb.628:                              ;   in Loop: Header=BB10_627 Depth=2
	v_lshl_add_u64 v[14:15], v[14:15], 0, -1
	v_cmp_eq_u64_e64 s[0:1], 0, v[14:15]
	s_andn2_b64 s[22:23], s[22:23], exec
	s_and_b64 s[28:29], s[28:29], exec
	s_andn2_b64 s[20:21], s[20:21], exec
	s_and_b64 s[0:1], s[0:1], exec
	v_lshl_add_u64 v[2:3], v[2:3], 0, 1
	v_lshl_add_u64 v[12:13], v[12:13], 0, 1
	s_andn2_b64 s[24:25], s[24:25], exec
	s_or_b64 s[22:23], s[22:23], s[28:29]
	s_or_b64 s[20:21], s[20:21], s[0:1]
                                        ; implicit-def: $sgpr0_sgpr1
	s_branch .LBB10_626
.LBB10_629:                             ;   in Loop: Header=BB10_608 Depth=1
	s_or_b64 exec, exec, s[16:17]
	s_and_b64 s[0:1], s[18:19], exec
.LBB10_630:                             ;   in Loop: Header=BB10_608 Depth=1
	s_or_b64 exec, exec, s[14:15]
	s_xor_b64 s[0:1], s[0:1], -1
	s_andn2_b64 s[10:11], s[10:11], exec
	s_and_b64 s[0:1], s[0:1], exec
	s_or_b64 s[10:11], s[10:11], s[0:1]
.LBB10_631:                             ;   in Loop: Header=BB10_608 Depth=1
	s_or_b64 exec, exec, s[2:3]
	v_cndmask_b32_e64 v2, v68, v66, s[10:11]
	v_cndmask_b32_e64 v3, v86, v31, s[10:11]
	v_add_u32_e32 v12, 1, v2
	v_add_u32_e32 v2, -1, v3
	v_min_u32_e32 v54, v12, v2
	v_lshl_add_u64 v[2:3], v[54:55], 3, v[10:11]
	flat_load_dwordx2 v[2:3], v[2:3]
	v_cndmask_b32_e64 v16, v12, v68, s[10:11]
	s_mov_b64 s[2:3], -1
	v_cndmask_b32_e64 v17, v66, v12, s[10:11]
	v_cmp_lt_u32_e64 s[0:1], v16, v86
	s_mov_b64 s[14:15], -1
	s_waitcnt vmcnt(0) lgkmcnt(0)
	v_cndmask_b32_e64 v22, v3, v21, s[10:11]
	v_cndmask_b32_e64 v66, v2, v20, s[10:11]
	;; [unrolled: 1-line block ×4, first 2 shown]
	s_and_saveexec_b64 s[16:17], s[0:1]
	s_cbranch_execz .LBB10_641
; %bb.632:                              ;   in Loop: Header=BB10_608 Depth=1
	v_cmp_lt_u32_e64 s[0:1], v17, v31
	s_mov_b64 s[18:19], 0
	s_and_saveexec_b64 s[14:15], s[0:1]
	s_cbranch_execz .LBB10_640
; %bb.633:                              ;   in Loop: Header=BB10_608 Depth=1
	s_mov_b64 s[0:1], 0
	s_and_saveexec_b64 s[18:19], vcc
	s_cbranch_execz .LBB10_639
; %bb.634:                              ;   in Loop: Header=BB10_608 Depth=1
	v_mad_u64_u32 v[2:3], s[0:1], v67, v6, v[8:9]
	v_mul_lo_u32 v12, v67, v7
	v_mul_lo_u32 v13, v23, v6
	v_add3_u32 v3, v13, v3, v12
	v_mad_u64_u32 v[12:13], s[0:1], v66, v6, v[8:9]
	v_mul_lo_u32 v14, v66, v7
	v_mul_lo_u32 v15, v22, v6
	v_add3_u32 v13, v15, v13, v14
	s_mov_b64 s[20:21], 0
	v_mov_b64_e32 v[14:15], v[6:7]
                                        ; implicit-def: $sgpr22_sgpr23
                                        ; implicit-def: $sgpr24_sgpr25
                                        ; implicit-def: $sgpr26_sgpr27
                                        ; implicit-def: $sgpr28_sgpr29
                                        ; implicit-def: $sgpr0_sgpr1
	s_branch .LBB10_636
.LBB10_635:                             ;   in Loop: Header=BB10_636 Depth=2
	s_or_b64 exec, exec, s[30:31]
	s_and_b64 s[30:31], exec, s[24:25]
	s_or_b64 s[20:21], s[30:31], s[20:21]
	s_andn2_b64 s[0:1], s[0:1], exec
	s_and_b64 s[30:31], s[26:27], exec
	s_or_b64 s[0:1], s[0:1], s[30:31]
	s_andn2_b64 s[22:23], s[22:23], exec
	s_and_b64 s[30:31], s[28:29], exec
	s_or_b64 s[22:23], s[22:23], s[30:31]
	s_andn2_b64 exec, exec, s[20:21]
	s_cbranch_execz .LBB10_638
.LBB10_636:                             ;   Parent Loop BB10_608 Depth=1
                                        ; =>  This Inner Loop Header: Depth=2
	flat_load_ubyte v18, v[12:13]
	flat_load_ubyte v19, v[2:3]
	s_andn2_b64 s[28:29], s[28:29], exec
	s_andn2_b64 s[26:27], s[26:27], exec
	s_or_b64 s[24:25], s[24:25], exec
	s_waitcnt vmcnt(0) lgkmcnt(0)
	v_cmp_le_u16_sdwa s[34:35], v18, v19 src0_sel:BYTE_0 src1_sel:BYTE_0
	v_cmp_lt_u16_sdwa s[30:31], v18, v19 src0_sel:BYTE_0 src1_sel:BYTE_0
	s_and_b64 s[34:35], s[34:35], s[0:1]
	s_or_b64 s[34:35], s[30:31], s[34:35]
	s_and_b64 s[30:31], s[34:35], exec
	v_cmp_eq_u16_sdwa s[36:37], v18, v19 src0_sel:BYTE_0 src1_sel:BYTE_0
	s_or_b64 s[28:29], s[28:29], s[30:31]
	s_and_saveexec_b64 s[30:31], s[36:37]
	s_cbranch_execz .LBB10_635
; %bb.637:                              ;   in Loop: Header=BB10_636 Depth=2
	v_lshl_add_u64 v[14:15], v[14:15], 0, -1
	v_cmp_eq_u64_e64 s[0:1], 0, v[14:15]
	s_andn2_b64 s[26:27], s[26:27], exec
	s_and_b64 s[34:35], s[34:35], exec
	s_andn2_b64 s[24:25], s[24:25], exec
	s_and_b64 s[0:1], s[0:1], exec
	v_lshl_add_u64 v[2:3], v[2:3], 0, 1
	v_lshl_add_u64 v[12:13], v[12:13], 0, 1
	s_andn2_b64 s[28:29], s[28:29], exec
	s_or_b64 s[26:27], s[26:27], s[34:35]
	s_or_b64 s[24:25], s[24:25], s[0:1]
                                        ; implicit-def: $sgpr0_sgpr1
	s_branch .LBB10_635
.LBB10_638:                             ;   in Loop: Header=BB10_608 Depth=1
	s_or_b64 exec, exec, s[20:21]
	s_and_b64 s[0:1], s[22:23], exec
.LBB10_639:                             ;   in Loop: Header=BB10_608 Depth=1
	s_or_b64 exec, exec, s[18:19]
	s_xor_b64 s[0:1], s[0:1], -1
	s_and_b64 s[18:19], s[0:1], exec
.LBB10_640:                             ;   in Loop: Header=BB10_608 Depth=1
	s_or_b64 exec, exec, s[14:15]
	s_orn2_b64 s[14:15], s[18:19], exec
.LBB10_641:                             ;   in Loop: Header=BB10_608 Depth=1
	s_or_b64 exec, exec, s[16:17]
	v_cndmask_b32_e64 v2, v16, v17, s[14:15]
	v_cndmask_b32_e64 v3, v86, v31, s[14:15]
	v_add_u32_e32 v12, 1, v2
	v_add_u32_e32 v2, -1, v3
	v_min_u32_e32 v54, v12, v2
	v_lshl_add_u64 v[2:3], v[54:55], 3, v[10:11]
	flat_load_dwordx2 v[2:3], v[2:3]
	v_cndmask_b32_e64 v16, v12, v16, s[14:15]
	v_cndmask_b32_e64 v17, v17, v12, s[14:15]
	v_cmp_lt_u32_e64 s[0:1], v16, v86
	s_waitcnt vmcnt(0) lgkmcnt(0)
	v_cndmask_b32_e64 v68, v3, v22, s[14:15]
	v_cndmask_b32_e64 v69, v2, v66, s[14:15]
	;; [unrolled: 1-line block ×4, first 2 shown]
	s_and_saveexec_b64 s[16:17], s[0:1]
	s_cbranch_execz .LBB10_651
; %bb.642:                              ;   in Loop: Header=BB10_608 Depth=1
	v_cmp_lt_u32_e64 s[0:1], v17, v31
	s_mov_b64 s[18:19], 0
	s_and_saveexec_b64 s[2:3], s[0:1]
	s_cbranch_execz .LBB10_650
; %bb.643:                              ;   in Loop: Header=BB10_608 Depth=1
	s_mov_b64 s[0:1], 0
	s_and_saveexec_b64 s[18:19], vcc
	s_cbranch_execz .LBB10_649
; %bb.644:                              ;   in Loop: Header=BB10_608 Depth=1
	v_mad_u64_u32 v[2:3], s[0:1], v71, v6, v[8:9]
	v_mul_lo_u32 v12, v71, v7
	v_mul_lo_u32 v13, v70, v6
	v_add3_u32 v3, v13, v3, v12
	v_mad_u64_u32 v[12:13], s[0:1], v69, v6, v[8:9]
	v_mul_lo_u32 v14, v69, v7
	v_mul_lo_u32 v15, v68, v6
	v_add3_u32 v13, v15, v13, v14
	s_mov_b64 s[20:21], 0
	v_mov_b64_e32 v[14:15], v[6:7]
                                        ; implicit-def: $sgpr22_sgpr23
                                        ; implicit-def: $sgpr24_sgpr25
                                        ; implicit-def: $sgpr26_sgpr27
                                        ; implicit-def: $sgpr28_sgpr29
                                        ; implicit-def: $sgpr0_sgpr1
	s_branch .LBB10_646
.LBB10_645:                             ;   in Loop: Header=BB10_646 Depth=2
	s_or_b64 exec, exec, s[30:31]
	s_and_b64 s[30:31], exec, s[24:25]
	s_or_b64 s[20:21], s[30:31], s[20:21]
	s_andn2_b64 s[0:1], s[0:1], exec
	s_and_b64 s[30:31], s[26:27], exec
	s_or_b64 s[0:1], s[0:1], s[30:31]
	s_andn2_b64 s[22:23], s[22:23], exec
	s_and_b64 s[30:31], s[28:29], exec
	s_or_b64 s[22:23], s[22:23], s[30:31]
	s_andn2_b64 exec, exec, s[20:21]
	s_cbranch_execz .LBB10_648
.LBB10_646:                             ;   Parent Loop BB10_608 Depth=1
                                        ; =>  This Inner Loop Header: Depth=2
	flat_load_ubyte v18, v[12:13]
	flat_load_ubyte v19, v[2:3]
	s_andn2_b64 s[28:29], s[28:29], exec
	s_andn2_b64 s[26:27], s[26:27], exec
	s_or_b64 s[24:25], s[24:25], exec
	s_waitcnt vmcnt(0) lgkmcnt(0)
	v_cmp_le_u16_sdwa s[34:35], v18, v19 src0_sel:BYTE_0 src1_sel:BYTE_0
	v_cmp_lt_u16_sdwa s[30:31], v18, v19 src0_sel:BYTE_0 src1_sel:BYTE_0
	s_and_b64 s[34:35], s[34:35], s[0:1]
	s_or_b64 s[34:35], s[30:31], s[34:35]
	s_and_b64 s[30:31], s[34:35], exec
	v_cmp_eq_u16_sdwa s[36:37], v18, v19 src0_sel:BYTE_0 src1_sel:BYTE_0
	s_or_b64 s[28:29], s[28:29], s[30:31]
	s_and_saveexec_b64 s[30:31], s[36:37]
	s_cbranch_execz .LBB10_645
; %bb.647:                              ;   in Loop: Header=BB10_646 Depth=2
	v_lshl_add_u64 v[14:15], v[14:15], 0, -1
	v_cmp_eq_u64_e64 s[0:1], 0, v[14:15]
	s_andn2_b64 s[26:27], s[26:27], exec
	s_and_b64 s[34:35], s[34:35], exec
	s_andn2_b64 s[24:25], s[24:25], exec
	s_and_b64 s[0:1], s[0:1], exec
	v_lshl_add_u64 v[2:3], v[2:3], 0, 1
	v_lshl_add_u64 v[12:13], v[12:13], 0, 1
	s_andn2_b64 s[28:29], s[28:29], exec
	s_or_b64 s[26:27], s[26:27], s[34:35]
	s_or_b64 s[24:25], s[24:25], s[0:1]
                                        ; implicit-def: $sgpr0_sgpr1
	s_branch .LBB10_645
.LBB10_648:                             ;   in Loop: Header=BB10_608 Depth=1
	s_or_b64 exec, exec, s[20:21]
	s_and_b64 s[0:1], s[22:23], exec
.LBB10_649:                             ;   in Loop: Header=BB10_608 Depth=1
	s_or_b64 exec, exec, s[18:19]
	s_xor_b64 s[0:1], s[0:1], -1
	s_and_b64 s[18:19], s[0:1], exec
.LBB10_650:                             ;   in Loop: Header=BB10_608 Depth=1
	s_or_b64 exec, exec, s[2:3]
	s_orn2_b64 s[2:3], s[18:19], exec
.LBB10_651:                             ;   in Loop: Header=BB10_608 Depth=1
	s_or_b64 exec, exec, s[16:17]
	v_cndmask_b32_e64 v2, v16, v17, s[2:3]
	v_cndmask_b32_e64 v3, v86, v31, s[2:3]
	v_add_u32_e32 v12, 1, v2
	v_add_u32_e32 v2, -1, v3
	v_min_u32_e32 v54, v12, v2
	v_lshl_add_u64 v[2:3], v[54:55], 3, v[10:11]
	flat_load_dwordx2 v[2:3], v[2:3]
	v_cndmask_b32_e64 v16, v12, v16, s[2:3]
	s_mov_b64 s[16:17], -1
	v_cndmask_b32_e64 v17, v17, v12, s[2:3]
	v_cmp_lt_u32_e64 s[0:1], v16, v86
	s_mov_b64 s[18:19], -1
	s_waitcnt vmcnt(0) lgkmcnt(0)
	v_cndmask_b32_e64 v80, v3, v68, s[2:3]
	v_cndmask_b32_e64 v81, v2, v69, s[2:3]
	;; [unrolled: 1-line block ×4, first 2 shown]
	s_and_saveexec_b64 s[20:21], s[0:1]
	s_cbranch_execz .LBB10_661
; %bb.652:                              ;   in Loop: Header=BB10_608 Depth=1
	v_cmp_lt_u32_e64 s[0:1], v17, v31
	s_mov_b64 s[22:23], 0
	s_and_saveexec_b64 s[18:19], s[0:1]
	s_cbranch_execz .LBB10_660
; %bb.653:                              ;   in Loop: Header=BB10_608 Depth=1
	s_mov_b64 s[0:1], -1
	s_and_saveexec_b64 s[22:23], vcc
	s_cbranch_execz .LBB10_659
; %bb.654:                              ;   in Loop: Header=BB10_608 Depth=1
	v_mad_u64_u32 v[2:3], s[0:1], v83, v6, v[8:9]
	v_mul_lo_u32 v12, v83, v7
	v_mul_lo_u32 v13, v82, v6
	v_add3_u32 v3, v13, v3, v12
	v_mad_u64_u32 v[12:13], s[0:1], v81, v6, v[8:9]
	v_mul_lo_u32 v14, v81, v7
	v_mul_lo_u32 v15, v80, v6
	v_add3_u32 v13, v15, v13, v14
	s_mov_b64 s[24:25], 0
	v_mov_b64_e32 v[14:15], v[6:7]
                                        ; implicit-def: $sgpr26_sgpr27
                                        ; implicit-def: $sgpr28_sgpr29
                                        ; implicit-def: $sgpr34_sgpr35
                                        ; implicit-def: $sgpr30_sgpr31
                                        ; implicit-def: $sgpr0_sgpr1
	s_branch .LBB10_656
.LBB10_655:                             ;   in Loop: Header=BB10_656 Depth=2
	s_or_b64 exec, exec, s[36:37]
	s_and_b64 s[36:37], exec, s[28:29]
	s_or_b64 s[24:25], s[36:37], s[24:25]
	s_andn2_b64 s[0:1], s[0:1], exec
	s_and_b64 s[36:37], s[30:31], exec
	s_or_b64 s[0:1], s[0:1], s[36:37]
	s_andn2_b64 s[26:27], s[26:27], exec
	s_and_b64 s[36:37], s[34:35], exec
	s_or_b64 s[26:27], s[26:27], s[36:37]
	s_andn2_b64 exec, exec, s[24:25]
	s_cbranch_execz .LBB10_658
.LBB10_656:                             ;   Parent Loop BB10_608 Depth=1
                                        ; =>  This Inner Loop Header: Depth=2
	flat_load_ubyte v18, v[12:13]
	flat_load_ubyte v19, v[2:3]
	s_andn2_b64 s[34:35], s[34:35], exec
	s_andn2_b64 s[30:31], s[30:31], exec
	s_or_b64 s[28:29], s[28:29], exec
	s_waitcnt vmcnt(0) lgkmcnt(0)
	v_cmp_le_u16_sdwa s[38:39], v18, v19 src0_sel:BYTE_0 src1_sel:BYTE_0
	v_cmp_lt_u16_sdwa s[36:37], v18, v19 src0_sel:BYTE_0 src1_sel:BYTE_0
	s_and_b64 s[38:39], s[38:39], s[0:1]
	s_or_b64 s[38:39], s[36:37], s[38:39]
	s_and_b64 s[36:37], s[38:39], exec
	v_cmp_eq_u16_sdwa s[40:41], v18, v19 src0_sel:BYTE_0 src1_sel:BYTE_0
	s_or_b64 s[34:35], s[34:35], s[36:37]
	s_and_saveexec_b64 s[36:37], s[40:41]
	s_cbranch_execz .LBB10_655
; %bb.657:                              ;   in Loop: Header=BB10_656 Depth=2
	v_lshl_add_u64 v[14:15], v[14:15], 0, -1
	v_cmp_eq_u64_e64 s[0:1], 0, v[14:15]
	s_andn2_b64 s[30:31], s[30:31], exec
	s_and_b64 s[38:39], s[38:39], exec
	s_andn2_b64 s[28:29], s[28:29], exec
	s_and_b64 s[0:1], s[0:1], exec
	v_lshl_add_u64 v[2:3], v[2:3], 0, 1
	v_lshl_add_u64 v[12:13], v[12:13], 0, 1
	s_or_b64 s[30:31], s[30:31], s[38:39]
	s_andn2_b64 s[34:35], s[34:35], exec
	s_or_b64 s[28:29], s[28:29], s[0:1]
                                        ; implicit-def: $sgpr0_sgpr1
	s_branch .LBB10_655
.LBB10_658:                             ;   in Loop: Header=BB10_608 Depth=1
	s_or_b64 exec, exec, s[24:25]
	s_xor_b64 s[0:1], s[26:27], -1
	s_orn2_b64 s[0:1], s[0:1], exec
.LBB10_659:                             ;   in Loop: Header=BB10_608 Depth=1
	s_or_b64 exec, exec, s[22:23]
	s_and_b64 s[22:23], s[0:1], exec
.LBB10_660:                             ;   in Loop: Header=BB10_608 Depth=1
	s_or_b64 exec, exec, s[18:19]
	s_orn2_b64 s[18:19], s[22:23], exec
.LBB10_661:                             ;   in Loop: Header=BB10_608 Depth=1
	s_or_b64 exec, exec, s[20:21]
	v_cndmask_b32_e64 v2, v16, v17, s[18:19]
	v_cndmask_b32_e64 v3, v86, v31, s[18:19]
	v_add_u32_e32 v12, 1, v2
	v_add_u32_e32 v2, -1, v3
	v_min_u32_e32 v54, v12, v2
	v_lshl_add_u64 v[2:3], v[54:55], 3, v[10:11]
	flat_load_dwordx2 v[2:3], v[2:3]
	v_cndmask_b32_e64 v16, v12, v16, s[18:19]
	v_cndmask_b32_e64 v17, v17, v12, s[18:19]
	v_cmp_lt_u32_e64 s[0:1], v16, v86
	s_waitcnt vmcnt(0) lgkmcnt(0)
	v_cndmask_b32_e64 v84, v3, v80, s[18:19]
	v_cndmask_b32_e64 v85, v2, v81, s[18:19]
	;; [unrolled: 1-line block ×4, first 2 shown]
	s_and_saveexec_b64 s[20:21], s[0:1]
	s_cbranch_execz .LBB10_671
; %bb.662:                              ;   in Loop: Header=BB10_608 Depth=1
	v_cmp_lt_u32_e64 s[0:1], v17, v31
	s_mov_b64 s[22:23], 0
	s_and_saveexec_b64 s[16:17], s[0:1]
	s_cbranch_execz .LBB10_670
; %bb.663:                              ;   in Loop: Header=BB10_608 Depth=1
	s_mov_b64 s[0:1], -1
	s_and_saveexec_b64 s[22:23], vcc
	s_cbranch_execz .LBB10_669
; %bb.664:                              ;   in Loop: Header=BB10_608 Depth=1
	v_mad_u64_u32 v[2:3], s[0:1], v96, v6, v[8:9]
	v_mul_lo_u32 v12, v96, v7
	v_mul_lo_u32 v13, v87, v6
	v_add3_u32 v3, v13, v3, v12
	v_mad_u64_u32 v[12:13], s[0:1], v85, v6, v[8:9]
	v_mul_lo_u32 v14, v85, v7
	v_mul_lo_u32 v15, v84, v6
	v_add3_u32 v13, v15, v13, v14
	s_mov_b64 s[24:25], 0
	v_mov_b64_e32 v[14:15], v[6:7]
                                        ; implicit-def: $sgpr26_sgpr27
                                        ; implicit-def: $sgpr28_sgpr29
                                        ; implicit-def: $sgpr34_sgpr35
                                        ; implicit-def: $sgpr30_sgpr31
                                        ; implicit-def: $sgpr0_sgpr1
	s_branch .LBB10_666
.LBB10_665:                             ;   in Loop: Header=BB10_666 Depth=2
	s_or_b64 exec, exec, s[36:37]
	s_and_b64 s[36:37], exec, s[28:29]
	s_or_b64 s[24:25], s[36:37], s[24:25]
	s_andn2_b64 s[0:1], s[0:1], exec
	s_and_b64 s[36:37], s[30:31], exec
	s_or_b64 s[0:1], s[0:1], s[36:37]
	s_andn2_b64 s[26:27], s[26:27], exec
	s_and_b64 s[36:37], s[34:35], exec
	s_or_b64 s[26:27], s[26:27], s[36:37]
	s_andn2_b64 exec, exec, s[24:25]
	s_cbranch_execz .LBB10_668
.LBB10_666:                             ;   Parent Loop BB10_608 Depth=1
                                        ; =>  This Inner Loop Header: Depth=2
	flat_load_ubyte v18, v[12:13]
	flat_load_ubyte v19, v[2:3]
	s_andn2_b64 s[34:35], s[34:35], exec
	s_andn2_b64 s[30:31], s[30:31], exec
	s_or_b64 s[28:29], s[28:29], exec
	s_waitcnt vmcnt(0) lgkmcnt(0)
	v_cmp_le_u16_sdwa s[38:39], v18, v19 src0_sel:BYTE_0 src1_sel:BYTE_0
	v_cmp_lt_u16_sdwa s[36:37], v18, v19 src0_sel:BYTE_0 src1_sel:BYTE_0
	s_and_b64 s[38:39], s[38:39], s[0:1]
	s_or_b64 s[38:39], s[36:37], s[38:39]
	s_and_b64 s[36:37], s[38:39], exec
	v_cmp_eq_u16_sdwa s[40:41], v18, v19 src0_sel:BYTE_0 src1_sel:BYTE_0
	s_or_b64 s[34:35], s[34:35], s[36:37]
	s_and_saveexec_b64 s[36:37], s[40:41]
	s_cbranch_execz .LBB10_665
; %bb.667:                              ;   in Loop: Header=BB10_666 Depth=2
	v_lshl_add_u64 v[14:15], v[14:15], 0, -1
	v_cmp_eq_u64_e64 s[0:1], 0, v[14:15]
	s_andn2_b64 s[30:31], s[30:31], exec
	s_and_b64 s[38:39], s[38:39], exec
	s_andn2_b64 s[28:29], s[28:29], exec
	s_and_b64 s[0:1], s[0:1], exec
	v_lshl_add_u64 v[2:3], v[2:3], 0, 1
	v_lshl_add_u64 v[12:13], v[12:13], 0, 1
	s_or_b64 s[30:31], s[30:31], s[38:39]
	s_andn2_b64 s[34:35], s[34:35], exec
	s_or_b64 s[28:29], s[28:29], s[0:1]
                                        ; implicit-def: $sgpr0_sgpr1
	s_branch .LBB10_665
.LBB10_668:                             ;   in Loop: Header=BB10_608 Depth=1
	s_or_b64 exec, exec, s[24:25]
	s_xor_b64 s[0:1], s[26:27], -1
	s_orn2_b64 s[0:1], s[0:1], exec
.LBB10_669:                             ;   in Loop: Header=BB10_608 Depth=1
	s_or_b64 exec, exec, s[22:23]
	s_and_b64 s[22:23], s[0:1], exec
.LBB10_670:                             ;   in Loop: Header=BB10_608 Depth=1
	s_or_b64 exec, exec, s[16:17]
	s_orn2_b64 s[16:17], s[22:23], exec
.LBB10_671:                             ;   in Loop: Header=BB10_608 Depth=1
	s_or_b64 exec, exec, s[20:21]
	v_cndmask_b32_e64 v2, v16, v17, s[16:17]
	v_cndmask_b32_e64 v3, v86, v31, s[16:17]
	v_add_u32_e32 v12, 1, v2
	v_add_u32_e32 v2, -1, v3
	v_min_u32_e32 v54, v12, v2
	v_lshl_add_u64 v[2:3], v[54:55], 3, v[10:11]
	flat_load_dwordx2 v[2:3], v[2:3]
	v_cndmask_b32_e64 v16, v12, v16, s[16:17]
	s_mov_b64 s[20:21], -1
	v_cndmask_b32_e64 v17, v17, v12, s[16:17]
	v_cmp_lt_u32_e64 s[0:1], v16, v86
	s_mov_b64 s[22:23], -1
	s_waitcnt vmcnt(0) lgkmcnt(0)
	v_cndmask_b32_e64 v97, v3, v84, s[16:17]
	v_cndmask_b32_e64 v98, v2, v85, s[16:17]
	;; [unrolled: 1-line block ×4, first 2 shown]
	s_and_saveexec_b64 s[24:25], s[0:1]
	s_cbranch_execz .LBB10_681
; %bb.672:                              ;   in Loop: Header=BB10_608 Depth=1
	v_cmp_lt_u32_e64 s[0:1], v17, v31
	s_mov_b64 s[26:27], 0
	s_and_saveexec_b64 s[22:23], s[0:1]
	s_cbranch_execz .LBB10_680
; %bb.673:                              ;   in Loop: Header=BB10_608 Depth=1
	s_mov_b64 s[0:1], -1
	s_and_saveexec_b64 s[26:27], vcc
	s_cbranch_execz .LBB10_679
; %bb.674:                              ;   in Loop: Header=BB10_608 Depth=1
	v_mad_u64_u32 v[2:3], s[0:1], v100, v6, v[8:9]
	v_mul_lo_u32 v12, v100, v7
	v_mul_lo_u32 v13, v99, v6
	v_add3_u32 v3, v13, v3, v12
	v_mad_u64_u32 v[12:13], s[0:1], v98, v6, v[8:9]
	v_mul_lo_u32 v14, v98, v7
	v_mul_lo_u32 v15, v97, v6
	v_add3_u32 v13, v15, v13, v14
	s_mov_b64 s[28:29], 0
	v_mov_b64_e32 v[14:15], v[6:7]
                                        ; implicit-def: $sgpr30_sgpr31
                                        ; implicit-def: $sgpr34_sgpr35
                                        ; implicit-def: $sgpr38_sgpr39
                                        ; implicit-def: $sgpr36_sgpr37
                                        ; implicit-def: $sgpr0_sgpr1
	s_branch .LBB10_676
.LBB10_675:                             ;   in Loop: Header=BB10_676 Depth=2
	s_or_b64 exec, exec, s[40:41]
	s_and_b64 s[40:41], exec, s[34:35]
	s_or_b64 s[28:29], s[40:41], s[28:29]
	s_andn2_b64 s[0:1], s[0:1], exec
	s_and_b64 s[40:41], s[36:37], exec
	s_or_b64 s[0:1], s[0:1], s[40:41]
	s_andn2_b64 s[30:31], s[30:31], exec
	s_and_b64 s[40:41], s[38:39], exec
	s_or_b64 s[30:31], s[30:31], s[40:41]
	s_andn2_b64 exec, exec, s[28:29]
	s_cbranch_execz .LBB10_678
.LBB10_676:                             ;   Parent Loop BB10_608 Depth=1
                                        ; =>  This Inner Loop Header: Depth=2
	flat_load_ubyte v18, v[12:13]
	flat_load_ubyte v19, v[2:3]
	s_andn2_b64 s[38:39], s[38:39], exec
	s_andn2_b64 s[36:37], s[36:37], exec
	s_or_b64 s[34:35], s[34:35], exec
	s_waitcnt vmcnt(0) lgkmcnt(0)
	v_cmp_le_u16_sdwa s[42:43], v18, v19 src0_sel:BYTE_0 src1_sel:BYTE_0
	v_cmp_lt_u16_sdwa s[40:41], v18, v19 src0_sel:BYTE_0 src1_sel:BYTE_0
	s_and_b64 s[42:43], s[42:43], s[0:1]
	s_or_b64 s[42:43], s[40:41], s[42:43]
	s_and_b64 s[40:41], s[42:43], exec
	v_cmp_eq_u16_sdwa s[44:45], v18, v19 src0_sel:BYTE_0 src1_sel:BYTE_0
	s_or_b64 s[38:39], s[38:39], s[40:41]
	s_and_saveexec_b64 s[40:41], s[44:45]
	s_cbranch_execz .LBB10_675
; %bb.677:                              ;   in Loop: Header=BB10_676 Depth=2
	v_lshl_add_u64 v[14:15], v[14:15], 0, -1
	v_cmp_eq_u64_e64 s[0:1], 0, v[14:15]
	s_andn2_b64 s[36:37], s[36:37], exec
	s_and_b64 s[42:43], s[42:43], exec
	s_andn2_b64 s[34:35], s[34:35], exec
	s_and_b64 s[0:1], s[0:1], exec
	v_lshl_add_u64 v[2:3], v[2:3], 0, 1
	v_lshl_add_u64 v[12:13], v[12:13], 0, 1
	s_or_b64 s[36:37], s[36:37], s[42:43]
	s_andn2_b64 s[38:39], s[38:39], exec
	s_or_b64 s[34:35], s[34:35], s[0:1]
                                        ; implicit-def: $sgpr0_sgpr1
	s_branch .LBB10_675
.LBB10_678:                             ;   in Loop: Header=BB10_608 Depth=1
	s_or_b64 exec, exec, s[28:29]
	s_xor_b64 s[0:1], s[30:31], -1
	s_orn2_b64 s[0:1], s[0:1], exec
.LBB10_679:                             ;   in Loop: Header=BB10_608 Depth=1
	s_or_b64 exec, exec, s[26:27]
	s_and_b64 s[26:27], s[0:1], exec
.LBB10_680:                             ;   in Loop: Header=BB10_608 Depth=1
	s_or_b64 exec, exec, s[22:23]
	s_orn2_b64 s[22:23], s[26:27], exec
.LBB10_681:                             ;   in Loop: Header=BB10_608 Depth=1
	s_or_b64 exec, exec, s[24:25]
	v_cndmask_b32_e64 v2, v16, v17, s[22:23]
	v_cndmask_b32_e64 v3, v86, v31, s[22:23]
	v_add_u32_e32 v12, 1, v2
	v_add_u32_e32 v2, -1, v3
	v_min_u32_e32 v54, v12, v2
	v_lshl_add_u64 v[2:3], v[54:55], 3, v[10:11]
	flat_load_dwordx2 v[2:3], v[2:3]
	v_cndmask_b32_e64 v18, v12, v16, s[22:23]
	v_cndmask_b32_e64 v16, v17, v12, s[22:23]
	v_cmp_lt_u32_e64 s[0:1], v18, v86
	s_waitcnt vmcnt(0) lgkmcnt(0)
	v_cndmask_b32_e64 v101, v3, v97, s[22:23]
	v_cndmask_b32_e64 v102, v2, v98, s[22:23]
	;; [unrolled: 1-line block ×4, first 2 shown]
	s_and_saveexec_b64 s[24:25], s[0:1]
	s_cbranch_execz .LBB10_691
; %bb.682:                              ;   in Loop: Header=BB10_608 Depth=1
	v_cmp_lt_u32_e64 s[0:1], v16, v31
	s_mov_b64 s[26:27], 0
	s_and_saveexec_b64 s[20:21], s[0:1]
	s_cbranch_execz .LBB10_690
; %bb.683:                              ;   in Loop: Header=BB10_608 Depth=1
	s_mov_b64 s[0:1], -1
	s_and_saveexec_b64 s[26:27], vcc
	s_cbranch_execz .LBB10_689
; %bb.684:                              ;   in Loop: Header=BB10_608 Depth=1
	v_mad_u64_u32 v[2:3], s[0:1], v112, v6, v[8:9]
	v_mul_lo_u32 v12, v112, v7
	v_mul_lo_u32 v13, v103, v6
	v_add3_u32 v3, v13, v3, v12
	v_mad_u64_u32 v[12:13], s[0:1], v102, v6, v[8:9]
	v_mul_lo_u32 v14, v102, v7
	v_mul_lo_u32 v15, v101, v6
	v_add3_u32 v13, v15, v13, v14
	s_mov_b64 s[28:29], 0
	v_mov_b64_e32 v[14:15], v[6:7]
                                        ; implicit-def: $sgpr30_sgpr31
                                        ; implicit-def: $sgpr34_sgpr35
                                        ; implicit-def: $sgpr38_sgpr39
                                        ; implicit-def: $sgpr36_sgpr37
                                        ; implicit-def: $sgpr0_sgpr1
	s_branch .LBB10_686
.LBB10_685:                             ;   in Loop: Header=BB10_686 Depth=2
	s_or_b64 exec, exec, s[40:41]
	s_and_b64 s[40:41], exec, s[34:35]
	s_or_b64 s[28:29], s[40:41], s[28:29]
	s_andn2_b64 s[0:1], s[0:1], exec
	s_and_b64 s[40:41], s[36:37], exec
	s_or_b64 s[0:1], s[0:1], s[40:41]
	s_andn2_b64 s[30:31], s[30:31], exec
	s_and_b64 s[40:41], s[38:39], exec
	s_or_b64 s[30:31], s[30:31], s[40:41]
	s_andn2_b64 exec, exec, s[28:29]
	s_cbranch_execz .LBB10_688
.LBB10_686:                             ;   Parent Loop BB10_608 Depth=1
                                        ; =>  This Inner Loop Header: Depth=2
	flat_load_ubyte v17, v[12:13]
	flat_load_ubyte v19, v[2:3]
	s_andn2_b64 s[38:39], s[38:39], exec
	s_andn2_b64 s[36:37], s[36:37], exec
	s_or_b64 s[34:35], s[34:35], exec
	s_waitcnt vmcnt(0) lgkmcnt(0)
	v_cmp_le_u16_sdwa s[42:43], v17, v19 src0_sel:BYTE_0 src1_sel:BYTE_0
	v_cmp_lt_u16_sdwa s[40:41], v17, v19 src0_sel:BYTE_0 src1_sel:BYTE_0
	s_and_b64 s[42:43], s[42:43], s[0:1]
	s_or_b64 s[42:43], s[40:41], s[42:43]
	s_and_b64 s[40:41], s[42:43], exec
	v_cmp_eq_u16_sdwa s[44:45], v17, v19 src0_sel:BYTE_0 src1_sel:BYTE_0
	s_or_b64 s[38:39], s[38:39], s[40:41]
	s_and_saveexec_b64 s[40:41], s[44:45]
	s_cbranch_execz .LBB10_685
; %bb.687:                              ;   in Loop: Header=BB10_686 Depth=2
	v_lshl_add_u64 v[14:15], v[14:15], 0, -1
	v_cmp_eq_u64_e64 s[0:1], 0, v[14:15]
	s_andn2_b64 s[36:37], s[36:37], exec
	s_and_b64 s[42:43], s[42:43], exec
	s_andn2_b64 s[34:35], s[34:35], exec
	s_and_b64 s[0:1], s[0:1], exec
	v_lshl_add_u64 v[2:3], v[2:3], 0, 1
	v_lshl_add_u64 v[12:13], v[12:13], 0, 1
	s_or_b64 s[36:37], s[36:37], s[42:43]
	s_andn2_b64 s[38:39], s[38:39], exec
	s_or_b64 s[34:35], s[34:35], s[0:1]
                                        ; implicit-def: $sgpr0_sgpr1
	s_branch .LBB10_685
.LBB10_688:                             ;   in Loop: Header=BB10_608 Depth=1
	s_or_b64 exec, exec, s[28:29]
	s_xor_b64 s[0:1], s[30:31], -1
	s_orn2_b64 s[0:1], s[0:1], exec
.LBB10_689:                             ;   in Loop: Header=BB10_608 Depth=1
	s_or_b64 exec, exec, s[26:27]
	s_and_b64 s[26:27], s[0:1], exec
.LBB10_690:                             ;   in Loop: Header=BB10_608 Depth=1
	s_or_b64 exec, exec, s[20:21]
	s_orn2_b64 s[20:21], s[26:27], exec
.LBB10_691:                             ;   in Loop: Header=BB10_608 Depth=1
	s_or_b64 exec, exec, s[24:25]
	v_cndmask_b32_e64 v2, v18, v16, s[20:21]
	v_cndmask_b32_e64 v3, v86, v31, s[20:21]
	v_add_u32_e32 v14, 1, v2
	v_add_u32_e32 v2, -1, v3
	v_min_u32_e32 v54, v14, v2
	v_lshl_add_u64 v[2:3], v[54:55], 3, v[10:11]
	flat_load_dwordx2 v[12:13], v[2:3]
	v_cndmask_b32_e64 v15, v14, v18, s[20:21]
	v_cmp_lt_u32_e64 s[0:1], v15, v86
	s_waitcnt vmcnt(0) lgkmcnt(0)
	v_cndmask_b32_e64 v3, v103, v13, s[20:21]
	v_cndmask_b32_e64 v2, v112, v12, s[20:21]
	s_and_saveexec_b64 s[24:25], s[0:1]
	s_cbranch_execz .LBB10_701
; %bb.692:                              ;   in Loop: Header=BB10_608 Depth=1
	v_cndmask_b32_e64 v14, v16, v14, s[20:21]
	v_cndmask_b32_e64 v13, v13, v101, s[20:21]
	;; [unrolled: 1-line block ×3, first 2 shown]
	v_cmp_lt_u32_e64 s[0:1], v14, v31
	s_and_saveexec_b64 s[26:27], s[0:1]
	s_cbranch_execz .LBB10_700
; %bb.693:                              ;   in Loop: Header=BB10_608 Depth=1
	s_and_saveexec_b64 s[28:29], vcc
	s_cbranch_execz .LBB10_699
; %bb.694:                              ;   in Loop: Header=BB10_608 Depth=1
	v_mad_u64_u32 v[14:15], s[0:1], v2, v6, v[8:9]
	v_mul_lo_u32 v16, v2, v7
	v_mul_lo_u32 v17, v3, v6
	v_add3_u32 v15, v17, v15, v16
	v_mad_u64_u32 v[16:17], s[0:1], v12, v6, v[8:9]
	v_mul_lo_u32 v18, v12, v7
	v_mul_lo_u32 v19, v13, v6
	v_add3_u32 v17, v19, v17, v18
	s_mov_b64 s[30:31], 0
	v_mov_b64_e32 v[18:19], v[6:7]
                                        ; implicit-def: $sgpr34_sgpr35
                                        ; implicit-def: $sgpr36_sgpr37
                                        ; implicit-def: $sgpr40_sgpr41
                                        ; implicit-def: $sgpr38_sgpr39
                                        ; implicit-def: $sgpr0_sgpr1
	s_branch .LBB10_696
.LBB10_695:                             ;   in Loop: Header=BB10_696 Depth=2
	s_or_b64 exec, exec, s[42:43]
	s_and_b64 s[42:43], exec, s[36:37]
	s_or_b64 s[30:31], s[42:43], s[30:31]
	s_andn2_b64 s[0:1], s[0:1], exec
	s_and_b64 s[42:43], s[38:39], exec
	s_or_b64 s[0:1], s[0:1], s[42:43]
	s_andn2_b64 s[34:35], s[34:35], exec
	s_and_b64 s[42:43], s[40:41], exec
	s_or_b64 s[34:35], s[34:35], s[42:43]
	s_andn2_b64 exec, exec, s[30:31]
	s_cbranch_execz .LBB10_698
.LBB10_696:                             ;   Parent Loop BB10_608 Depth=1
                                        ; =>  This Inner Loop Header: Depth=2
	flat_load_ubyte v31, v[16:17]
	flat_load_ubyte v54, v[14:15]
	s_andn2_b64 s[40:41], s[40:41], exec
	s_andn2_b64 s[38:39], s[38:39], exec
	s_or_b64 s[36:37], s[36:37], exec
	s_waitcnt vmcnt(0) lgkmcnt(0)
	v_cmp_le_u16_sdwa s[44:45], v31, v54 src0_sel:BYTE_0 src1_sel:BYTE_0
	v_cmp_lt_u16_sdwa s[42:43], v31, v54 src0_sel:BYTE_0 src1_sel:BYTE_0
	s_and_b64 s[44:45], s[44:45], s[0:1]
	s_or_b64 s[44:45], s[42:43], s[44:45]
	s_and_b64 s[42:43], s[44:45], exec
	v_cmp_eq_u16_sdwa s[48:49], v31, v54 src0_sel:BYTE_0 src1_sel:BYTE_0
	s_or_b64 s[40:41], s[40:41], s[42:43]
	s_and_saveexec_b64 s[42:43], s[48:49]
	s_cbranch_execz .LBB10_695
; %bb.697:                              ;   in Loop: Header=BB10_696 Depth=2
	v_lshl_add_u64 v[18:19], v[18:19], 0, -1
	v_cmp_eq_u64_e64 s[0:1], 0, v[18:19]
	s_andn2_b64 s[38:39], s[38:39], exec
	s_and_b64 s[44:45], s[44:45], exec
	s_andn2_b64 s[36:37], s[36:37], exec
	s_and_b64 s[0:1], s[0:1], exec
	v_lshl_add_u64 v[14:15], v[14:15], 0, 1
	v_lshl_add_u64 v[16:17], v[16:17], 0, 1
	s_or_b64 s[38:39], s[38:39], s[44:45]
	s_andn2_b64 s[40:41], s[40:41], exec
	s_or_b64 s[36:37], s[36:37], s[0:1]
                                        ; implicit-def: $sgpr0_sgpr1
	s_branch .LBB10_695
.LBB10_698:                             ;   in Loop: Header=BB10_608 Depth=1
	s_or_b64 exec, exec, s[30:31]
	v_cndmask_b32_e64 v3, v3, v13, s[34:35]
	v_cndmask_b32_e64 v2, v2, v12, s[34:35]
.LBB10_699:                             ;   in Loop: Header=BB10_608 Depth=1
	s_or_b64 exec, exec, s[28:29]
	v_mov_b64_e32 v[12:13], v[2:3]
.LBB10_700:                             ;   in Loop: Header=BB10_608 Depth=1
	s_or_b64 exec, exec, s[26:27]
	v_mov_b64_e32 v[2:3], v[12:13]
.LBB10_701:                             ;   in Loop: Header=BB10_608 Depth=1
	s_or_b64 exec, exec, s[24:25]
	v_cndmask_b32_e64 v15, v97, v99, s[22:23]
	v_cndmask_b32_e64 v14, v98, v100, s[22:23]
	;; [unrolled: 1-line block ×14, first 2 shown]
.LBB10_702:                             ;   in Loop: Header=BB10_608 Depth=1
	s_or_b64 exec, exec, s[6:7]
	s_cmpk_lt_u32 s46, 0x400
	s_barrier
	s_cbranch_scc0 .LBB10_704
; %bb.703:                              ;   in Loop: Header=BB10_608 Depth=1
	s_mov_b32 s46, s47
	s_branch .LBB10_608
.LBB10_704:
	s_barrier
	flat_store_dwordx4 v[52:53], v[20:23]
	flat_store_dwordx4 v[52:53], v[16:19] offset:16
	flat_store_dwordx4 v[52:53], v[12:15] offset:32
	flat_store_dwordx4 v[52:53], v[0:3] offset:48
	s_waitcnt lgkmcnt(0)
	s_barrier
	flat_load_dwordx2 v[0:1], v[24:25]
	flat_load_dwordx2 v[2:3], v[26:27] offset:2048
	flat_load_dwordx2 v[6:7], v[36:37]
	flat_load_dwordx2 v[8:9], v[32:33]
	;; [unrolled: 1-line block ×6, first 2 shown]
	v_mov_b32_e32 v31, 0
	s_movk_i32 s0, 0x1000
	v_lshl_add_u64 v[18:19], v[4:5], 0, v[30:31]
	v_add_co_u32_e32 v20, vcc, s0, v18
	s_mov_b64 s[34:35], exec
	s_nop 0
	v_addc_co_u32_e32 v21, vcc, 0, v19, vcc
	v_add_co_u32_e32 v22, vcc, 0x2000, v18
                                        ; implicit-def: $vgpr64
                                        ; implicit-def: $vgpr65
                                        ; implicit-def: $vgpr30
                                        ; implicit-def: $vgpr32
	s_nop 1
	v_addc_co_u32_e32 v23, vcc, 0, v19, vcc
	v_add_co_u32_e32 v24, vcc, 0x3000, v18
	s_nop 1
	v_addc_co_u32_e32 v25, vcc, 0, v19, vcc
	s_waitcnt vmcnt(0) lgkmcnt(0)
	flat_store_dwordx2 v[18:19], v[0:1]
	flat_store_dwordx2 v[18:19], v[2:3] offset:2048
	flat_store_dwordx2 v[20:21], v[6:7]
	flat_store_dwordx2 v[20:21], v[8:9] offset:2048
	;; [unrolled: 2-line block ×3, first 2 shown]
	flat_store_dwordx2 v[24:25], v[16:17]
                                        ; implicit-def: $vgpr0
                                        ; implicit-def: $vgpr6_vgpr7
                                        ; implicit-def: $vgpr2_vgpr3
                                        ; implicit-def: $vgpr8_vgpr9
                                        ; implicit-def: $vgpr10_vgpr11
                                        ; implicit-def: $vgpr1
	s_andn2_saveexec_b64 s[36:37], s[4:5]
	s_cbranch_execz .LBB10_2
.LBB10_705:
	v_cmp_lt_u32_e32 vcc, v28, v0
                                        ; implicit-def: $vgpr12_vgpr13
	s_and_saveexec_b64 s[0:1], vcc
	s_cbranch_execz .LBB10_707
; %bb.706:
	v_mov_b32_e32 v31, 0
	v_lshl_add_u64 v[12:13], v[2:3], 0, v[30:31]
	flat_load_dwordx2 v[12:13], v[12:13]
.LBB10_707:
	s_or_b64 exec, exec, s[0:1]
	v_add_u32_e32 v33, 0x100, v28
	v_cmp_lt_u32_e64 s[0:1], v33, v0
                                        ; implicit-def: $vgpr14_vgpr15
	s_and_saveexec_b64 s[2:3], s[0:1]
	s_cbranch_execz .LBB10_709
; %bb.708:
	v_mov_b32_e32 v31, 0
	v_lshl_add_u64 v[14:15], v[2:3], 0, v[30:31]
	flat_load_dwordx2 v[14:15], v[14:15] offset:2048
.LBB10_709:
	s_or_b64 exec, exec, s[2:3]
	v_add_u32_e32 v31, 0x200, v28
	v_cmp_lt_u32_e64 s[2:3], v31, v0
                                        ; implicit-def: $vgpr16_vgpr17
	s_and_saveexec_b64 s[4:5], s[2:3]
	s_cbranch_execz .LBB10_711
; %bb.710:
	v_lshlrev_b32_e32 v16, 3, v31
	v_mov_b32_e32 v17, 0
	v_lshl_add_u64 v[16:17], v[2:3], 0, v[16:17]
	flat_load_dwordx2 v[16:17], v[16:17]
.LBB10_711:
	s_or_b64 exec, exec, s[4:5]
	v_add_u32_e32 v36, 0x300, v28
	v_cmp_lt_u32_e64 s[4:5], v36, v0
                                        ; implicit-def: $vgpr18_vgpr19
	s_and_saveexec_b64 s[6:7], s[4:5]
	s_cbranch_execz .LBB10_713
; %bb.712:
	v_lshlrev_b32_e32 v18, 3, v36
	v_mov_b32_e32 v19, 0
	v_lshl_add_u64 v[18:19], v[2:3], 0, v[18:19]
	flat_load_dwordx2 v[18:19], v[18:19]
.LBB10_713:
	s_or_b64 exec, exec, s[6:7]
	v_or_b32_e32 v38, 0x400, v28
	v_cmp_lt_u32_e64 s[6:7], v38, v0
                                        ; implicit-def: $vgpr20_vgpr21
	s_and_saveexec_b64 s[10:11], s[6:7]
	s_cbranch_execz .LBB10_715
; %bb.714:
	v_lshlrev_b32_e32 v20, 3, v38
	v_mov_b32_e32 v21, 0
	v_lshl_add_u64 v[20:21], v[2:3], 0, v[20:21]
	flat_load_dwordx2 v[20:21], v[20:21]
.LBB10_715:
	s_or_b64 exec, exec, s[10:11]
	v_add_u32_e32 v48, 0x500, v28
	v_cmp_lt_u32_e64 s[14:15], v48, v0
                                        ; implicit-def: $vgpr22_vgpr23
	s_and_saveexec_b64 s[10:11], s[14:15]
	s_cbranch_execz .LBB10_717
; %bb.716:
	v_lshlrev_b32_e32 v22, 3, v48
	v_mov_b32_e32 v23, 0
	v_lshl_add_u64 v[22:23], v[2:3], 0, v[22:23]
	flat_load_dwordx2 v[22:23], v[22:23]
.LBB10_717:
	s_or_b64 exec, exec, s[10:11]
	v_add_u32_e32 v50, 0x600, v28
	v_cmp_lt_u32_e64 s[10:11], v50, v0
                                        ; implicit-def: $vgpr24_vgpr25
	s_and_saveexec_b64 s[16:17], s[10:11]
	s_cbranch_execz .LBB10_719
; %bb.718:
	v_lshlrev_b32_e32 v24, 3, v50
	v_mov_b32_e32 v25, 0
	v_lshl_add_u64 v[24:25], v[2:3], 0, v[24:25]
	flat_load_dwordx2 v[24:25], v[24:25]
.LBB10_719:
	s_or_b64 exec, exec, s[16:17]
	v_add_u32_e32 v52, 0x700, v28
	v_cmp_lt_u32_e64 s[30:31], v52, v0
                                        ; implicit-def: $vgpr26_vgpr27
	s_and_saveexec_b64 s[16:17], s[30:31]
	s_cbranch_execz .LBB10_721
; %bb.720:
	v_lshlrev_b32_e32 v26, 3, v52
	v_mov_b32_e32 v27, 0
	v_lshl_add_u64 v[2:3], v[2:3], 0, v[26:27]
	flat_load_dwordx2 v[26:27], v[2:3]
.LBB10_721:
	s_or_b64 exec, exec, s[16:17]
	v_mov_b32_e32 v29, 0
	v_add_lshl_u32 v2, v32, v28, 3
	v_mov_b32_e32 v3, v29
	v_lshl_add_u64 v[2:3], v[10:11], 0, v[2:3]
	s_waitcnt vmcnt(0) lgkmcnt(0)
	flat_store_dwordx2 v[2:3], v[12:13]
	v_lshrrev_b32_e32 v12, 5, v33
	v_add_lshl_u32 v12, v12, v28, 3
	v_mov_b32_e32 v13, v29
	v_lshl_add_u64 v[32:33], v[10:11], 0, v[12:13]
	v_lshrrev_b32_e32 v12, 5, v31
	v_add_lshl_u32 v12, v12, v31, 3
	v_lshl_add_u64 v[34:35], v[10:11], 0, v[12:13]
	v_lshrrev_b32_e32 v12, 5, v36
	v_add_lshl_u32 v12, v12, v36, 3
	;; [unrolled: 3-line block ×6, first 2 shown]
	v_lshl_add_u64 v[52:53], v[10:11], 0, v[12:13]
	v_add_lshl_u32 v12, v1, v30, 3
	v_lshl_add_u64 v[54:55], v[10:11], 0, v[12:13]
	flat_store_dwordx2 v[32:33], v[14:15] offset:2048
	flat_store_dwordx2 v[34:35], v[16:17]
	flat_store_dwordx2 v[36:37], v[18:19]
	;; [unrolled: 1-line block ×6, first 2 shown]
	s_waitcnt lgkmcnt(0)
	s_barrier
	flat_load_dwordx4 v[24:27], v[54:55]
	flat_load_dwordx4 v[20:23], v[54:55] offset:16
	flat_load_dwordx4 v[16:19], v[54:55] offset:32
	;; [unrolled: 1-line block ×3, first 2 shown]
	s_waitcnt lgkmcnt(0)
	s_barrier
	s_load_dwordx2 s[16:17], s[8:9], 0x0
	s_waitcnt lgkmcnt(0)
	s_cmp_lt_u32 s12, s16
	s_cselect_b32 s16, 12, 18
	s_cmp_lt_u32 s13, s17
	s_cselect_b32 s12, 14, 20
	s_add_u32 s12, s8, s12
	s_addc_u32 s13, s9, 0
	s_add_u32 s8, s8, s16
	s_addc_u32 s9, s9, 0
	global_load_ushort v1, v29, s[12:13]
	global_load_ushort v31, v29, s[8:9]
	v_cmp_lt_i64_e64 s[8:9], 0, v[6:7]
	s_waitcnt vmcnt(0)
	v_mad_u32_u24 v1, v65, v1, v64
	v_mul_lo_u32 v1, v1, v31
	v_add_lshl_u32 v1, v1, v28, 3
	v_sub_u32_e64 v31, v0, v1 clamp
	v_cmp_lt_u32_e64 s[16:17], 1, v31
	s_and_saveexec_b64 s[18:19], s[16:17]
	s_cbranch_execnz .LBB10_725
; %bb.722:
	s_or_b64 exec, exec, s[18:19]
	v_cmp_lt_u32_e64 s[18:19], 3, v31
	s_and_saveexec_b64 s[20:21], s[18:19]
	s_cbranch_execnz .LBB10_734
.LBB10_723:
	s_or_b64 exec, exec, s[20:21]
	v_cmp_lt_u32_e64 s[20:21], 5, v31
	s_and_saveexec_b64 s[22:23], s[20:21]
	s_cbranch_execnz .LBB10_743
.LBB10_724:
	s_or_b64 exec, exec, s[22:23]
	v_cmp_lt_u32_e64 s[22:23], 7, v31
	s_and_saveexec_b64 s[24:25], s[22:23]
	s_cbranch_execnz .LBB10_752
	s_branch .LBB10_761
.LBB10_725:
	s_and_saveexec_b64 s[20:21], s[8:9]
	s_cbranch_execz .LBB10_733
; %bb.726:
	v_mad_u64_u32 v[64:65], s[12:13], v24, v6, v[8:9]
	v_mul_lo_u32 v66, v24, v7
	v_mul_lo_u32 v67, v25, v6
	v_add3_u32 v65, v67, v65, v66
	v_mad_u64_u32 v[66:67], s[12:13], v26, v6, v[8:9]
	v_mul_lo_u32 v68, v26, v7
	v_mul_lo_u32 v69, v27, v6
	v_add3_u32 v67, v69, v67, v68
	s_mov_b64 s[24:25], 0
	v_mov_b64_e32 v[68:69], v[6:7]
                                        ; implicit-def: $sgpr22_sgpr23
                                        ; implicit-def: $sgpr26_sgpr27
                                        ; implicit-def: $sgpr38_sgpr39
                                        ; implicit-def: $sgpr28_sgpr29
                                        ; implicit-def: $sgpr40_sgpr41
                                        ; implicit-def: $sgpr12_sgpr13
	s_branch .LBB10_728
.LBB10_727:                             ;   in Loop: Header=BB10_728 Depth=1
	s_or_b64 exec, exec, s[44:45]
	s_and_b64 s[44:45], exec, s[38:39]
	s_or_b64 s[24:25], s[44:45], s[24:25]
	s_andn2_b64 s[12:13], s[12:13], exec
	s_and_b64 s[44:45], s[40:41], exec
	s_or_b64 s[12:13], s[12:13], s[44:45]
	s_andn2_b64 s[26:27], s[26:27], exec
	s_and_b64 s[44:45], s[28:29], exec
	s_andn2_b64 s[22:23], s[22:23], exec
	s_and_b64 s[42:43], s[42:43], exec
	s_or_b64 s[26:27], s[26:27], s[44:45]
	s_or_b64 s[22:23], s[22:23], s[42:43]
	s_andn2_b64 exec, exec, s[24:25]
	s_cbranch_execz .LBB10_730
.LBB10_728:                             ; =>This Inner Loop Header: Depth=1
	flat_load_ubyte v70, v[66:67]
	flat_load_ubyte v71, v[64:65]
	s_andn2_b64 s[40:41], s[40:41], exec
	s_or_b64 s[28:29], s[28:29], exec
	s_or_b64 s[38:39], s[38:39], exec
	s_waitcnt vmcnt(0) lgkmcnt(0)
	v_cmp_le_u16_sdwa s[44:45], v70, v71 src0_sel:BYTE_0 src1_sel:BYTE_0
	v_cmp_lt_u16_sdwa s[42:43], v70, v71 src0_sel:BYTE_0 src1_sel:BYTE_0
	s_and_b64 s[44:45], s[44:45], s[12:13]
	v_cmp_eq_u16_sdwa s[46:47], v70, v71 src0_sel:BYTE_0 src1_sel:BYTE_0
	s_or_b64 s[42:43], s[42:43], s[44:45]
	s_and_saveexec_b64 s[44:45], s[46:47]
	s_cbranch_execz .LBB10_727
; %bb.729:                              ;   in Loop: Header=BB10_728 Depth=1
	v_lshl_add_u64 v[68:69], v[68:69], 0, -1
	v_cmp_eq_u64_e64 s[12:13], 0, v[68:69]
	s_andn2_b64 s[40:41], s[40:41], exec
	s_and_b64 s[46:47], s[42:43], exec
	s_andn2_b64 s[38:39], s[38:39], exec
	s_and_b64 s[12:13], s[12:13], exec
	v_lshl_add_u64 v[64:65], v[64:65], 0, 1
	v_lshl_add_u64 v[66:67], v[66:67], 0, 1
	s_or_b64 s[40:41], s[40:41], s[46:47]
	s_andn2_b64 s[28:29], s[28:29], exec
	s_or_b64 s[38:39], s[38:39], s[12:13]
                                        ; implicit-def: $sgpr12_sgpr13
	s_branch .LBB10_727
.LBB10_730:
	s_or_b64 exec, exec, s[24:25]
	s_and_saveexec_b64 s[12:13], s[26:27]
	s_xor_b64 s[12:13], exec, s[12:13]
; %bb.731:
	v_cndmask_b32_e64 v65, v27, v25, s[22:23]
	v_cndmask_b32_e64 v64, v26, v24, s[22:23]
	v_cndmask_b32_e64 v25, v25, v27, s[22:23]
	v_cndmask_b32_e64 v24, v24, v26, s[22:23]
	v_mov_b64_e32 v[26:27], v[64:65]
; %bb.732:
	s_or_b64 exec, exec, s[12:13]
.LBB10_733:
	s_or_b64 exec, exec, s[20:21]
	s_or_b64 exec, exec, s[18:19]
	v_cmp_lt_u32_e64 s[18:19], 3, v31
	s_and_saveexec_b64 s[20:21], s[18:19]
	s_cbranch_execz .LBB10_723
.LBB10_734:
	s_and_saveexec_b64 s[22:23], s[8:9]
	s_cbranch_execz .LBB10_742
; %bb.735:
	v_mad_u64_u32 v[64:65], s[12:13], v20, v6, v[8:9]
	v_mul_lo_u32 v66, v20, v7
	v_mul_lo_u32 v67, v21, v6
	v_add3_u32 v65, v67, v65, v66
	v_mad_u64_u32 v[66:67], s[12:13], v22, v6, v[8:9]
	v_mul_lo_u32 v68, v22, v7
	v_mul_lo_u32 v69, v23, v6
	v_add3_u32 v67, v69, v67, v68
	s_mov_b64 s[26:27], 0
	v_mov_b64_e32 v[68:69], v[6:7]
                                        ; implicit-def: $sgpr24_sgpr25
                                        ; implicit-def: $sgpr28_sgpr29
                                        ; implicit-def: $sgpr40_sgpr41
                                        ; implicit-def: $sgpr38_sgpr39
                                        ; implicit-def: $sgpr42_sgpr43
                                        ; implicit-def: $sgpr12_sgpr13
	s_branch .LBB10_737
.LBB10_736:                             ;   in Loop: Header=BB10_737 Depth=1
	s_or_b64 exec, exec, s[46:47]
	s_and_b64 s[46:47], exec, s[40:41]
	s_or_b64 s[26:27], s[46:47], s[26:27]
	s_andn2_b64 s[12:13], s[12:13], exec
	s_and_b64 s[46:47], s[42:43], exec
	s_or_b64 s[12:13], s[12:13], s[46:47]
	s_andn2_b64 s[28:29], s[28:29], exec
	s_and_b64 s[46:47], s[38:39], exec
	s_andn2_b64 s[24:25], s[24:25], exec
	s_and_b64 s[44:45], s[44:45], exec
	s_or_b64 s[28:29], s[28:29], s[46:47]
	s_or_b64 s[24:25], s[24:25], s[44:45]
	s_andn2_b64 exec, exec, s[26:27]
	s_cbranch_execz .LBB10_739
.LBB10_737:                             ; =>This Inner Loop Header: Depth=1
	flat_load_ubyte v70, v[66:67]
	flat_load_ubyte v71, v[64:65]
	s_andn2_b64 s[42:43], s[42:43], exec
	s_or_b64 s[38:39], s[38:39], exec
	s_or_b64 s[40:41], s[40:41], exec
	s_waitcnt vmcnt(0) lgkmcnt(0)
	v_cmp_le_u16_sdwa s[46:47], v70, v71 src0_sel:BYTE_0 src1_sel:BYTE_0
	v_cmp_lt_u16_sdwa s[44:45], v70, v71 src0_sel:BYTE_0 src1_sel:BYTE_0
	s_and_b64 s[46:47], s[46:47], s[12:13]
	v_cmp_eq_u16_sdwa s[48:49], v70, v71 src0_sel:BYTE_0 src1_sel:BYTE_0
	s_or_b64 s[44:45], s[44:45], s[46:47]
	s_and_saveexec_b64 s[46:47], s[48:49]
	s_cbranch_execz .LBB10_736
; %bb.738:                              ;   in Loop: Header=BB10_737 Depth=1
	v_lshl_add_u64 v[68:69], v[68:69], 0, -1
	v_cmp_eq_u64_e64 s[12:13], 0, v[68:69]
	s_andn2_b64 s[42:43], s[42:43], exec
	s_and_b64 s[48:49], s[44:45], exec
	s_andn2_b64 s[40:41], s[40:41], exec
	s_and_b64 s[12:13], s[12:13], exec
	v_lshl_add_u64 v[64:65], v[64:65], 0, 1
	v_lshl_add_u64 v[66:67], v[66:67], 0, 1
	s_or_b64 s[42:43], s[42:43], s[48:49]
	s_andn2_b64 s[38:39], s[38:39], exec
	s_or_b64 s[40:41], s[40:41], s[12:13]
                                        ; implicit-def: $sgpr12_sgpr13
	s_branch .LBB10_736
.LBB10_739:
	s_or_b64 exec, exec, s[26:27]
	s_and_saveexec_b64 s[12:13], s[28:29]
	s_xor_b64 s[12:13], exec, s[12:13]
; %bb.740:
	v_cndmask_b32_e64 v65, v21, v23, s[24:25]
	v_cndmask_b32_e64 v64, v20, v22, s[24:25]
	v_cndmask_b32_e64 v23, v23, v21, s[24:25]
	v_cndmask_b32_e64 v22, v22, v20, s[24:25]
	v_mov_b64_e32 v[20:21], v[64:65]
; %bb.741:
	s_or_b64 exec, exec, s[12:13]
.LBB10_742:
	s_or_b64 exec, exec, s[22:23]
	s_or_b64 exec, exec, s[20:21]
	v_cmp_lt_u32_e64 s[20:21], 5, v31
	s_and_saveexec_b64 s[22:23], s[20:21]
	s_cbranch_execz .LBB10_724
.LBB10_743:
	s_and_saveexec_b64 s[24:25], s[8:9]
	s_cbranch_execz .LBB10_751
; %bb.744:
	v_mad_u64_u32 v[64:65], s[12:13], v16, v6, v[8:9]
	v_mul_lo_u32 v66, v16, v7
	v_mul_lo_u32 v67, v17, v6
	v_add3_u32 v65, v67, v65, v66
	v_mad_u64_u32 v[66:67], s[12:13], v18, v6, v[8:9]
	v_mul_lo_u32 v68, v18, v7
	v_mul_lo_u32 v69, v19, v6
	v_add3_u32 v67, v69, v67, v68
	s_mov_b64 s[28:29], 0
	v_mov_b64_e32 v[68:69], v[6:7]
                                        ; implicit-def: $sgpr26_sgpr27
                                        ; implicit-def: $sgpr38_sgpr39
                                        ; implicit-def: $sgpr42_sgpr43
                                        ; implicit-def: $sgpr40_sgpr41
                                        ; implicit-def: $sgpr44_sgpr45
                                        ; implicit-def: $sgpr12_sgpr13
	s_branch .LBB10_746
.LBB10_745:                             ;   in Loop: Header=BB10_746 Depth=1
	s_or_b64 exec, exec, s[48:49]
	s_and_b64 s[48:49], exec, s[42:43]
	s_or_b64 s[28:29], s[48:49], s[28:29]
	s_andn2_b64 s[12:13], s[12:13], exec
	s_and_b64 s[48:49], s[44:45], exec
	s_or_b64 s[12:13], s[12:13], s[48:49]
	s_andn2_b64 s[38:39], s[38:39], exec
	s_and_b64 s[48:49], s[40:41], exec
	s_andn2_b64 s[26:27], s[26:27], exec
	s_and_b64 s[46:47], s[46:47], exec
	s_or_b64 s[38:39], s[38:39], s[48:49]
	s_or_b64 s[26:27], s[26:27], s[46:47]
	s_andn2_b64 exec, exec, s[28:29]
	s_cbranch_execz .LBB10_748
.LBB10_746:                             ; =>This Inner Loop Header: Depth=1
	flat_load_ubyte v70, v[66:67]
	flat_load_ubyte v71, v[64:65]
	s_andn2_b64 s[44:45], s[44:45], exec
	s_or_b64 s[40:41], s[40:41], exec
	s_or_b64 s[42:43], s[42:43], exec
	s_waitcnt vmcnt(0) lgkmcnt(0)
	v_cmp_le_u16_sdwa s[48:49], v70, v71 src0_sel:BYTE_0 src1_sel:BYTE_0
	v_cmp_lt_u16_sdwa s[46:47], v70, v71 src0_sel:BYTE_0 src1_sel:BYTE_0
	s_and_b64 s[48:49], s[48:49], s[12:13]
	v_cmp_eq_u16_sdwa s[50:51], v70, v71 src0_sel:BYTE_0 src1_sel:BYTE_0
	s_or_b64 s[46:47], s[46:47], s[48:49]
	s_and_saveexec_b64 s[48:49], s[50:51]
	s_cbranch_execz .LBB10_745
; %bb.747:                              ;   in Loop: Header=BB10_746 Depth=1
	v_lshl_add_u64 v[68:69], v[68:69], 0, -1
	v_cmp_eq_u64_e64 s[12:13], 0, v[68:69]
	s_andn2_b64 s[44:45], s[44:45], exec
	s_and_b64 s[50:51], s[46:47], exec
	s_andn2_b64 s[42:43], s[42:43], exec
	s_and_b64 s[12:13], s[12:13], exec
	v_lshl_add_u64 v[64:65], v[64:65], 0, 1
	v_lshl_add_u64 v[66:67], v[66:67], 0, 1
	s_or_b64 s[44:45], s[44:45], s[50:51]
	s_andn2_b64 s[40:41], s[40:41], exec
	s_or_b64 s[42:43], s[42:43], s[12:13]
                                        ; implicit-def: $sgpr12_sgpr13
	s_branch .LBB10_745
.LBB10_748:
	s_or_b64 exec, exec, s[28:29]
	s_and_saveexec_b64 s[12:13], s[38:39]
	s_xor_b64 s[12:13], exec, s[12:13]
; %bb.749:
	v_cndmask_b32_e64 v65, v17, v19, s[26:27]
	v_cndmask_b32_e64 v64, v16, v18, s[26:27]
	;; [unrolled: 1-line block ×4, first 2 shown]
	v_mov_b64_e32 v[16:17], v[64:65]
; %bb.750:
	s_or_b64 exec, exec, s[12:13]
.LBB10_751:
	s_or_b64 exec, exec, s[24:25]
	s_or_b64 exec, exec, s[22:23]
	v_cmp_lt_u32_e64 s[22:23], 7, v31
	s_and_saveexec_b64 s[24:25], s[22:23]
	s_cbranch_execz .LBB10_761
.LBB10_752:
	s_and_saveexec_b64 s[26:27], s[8:9]
	s_cbranch_execz .LBB10_760
; %bb.753:
	v_mad_u64_u32 v[64:65], s[12:13], v12, v6, v[8:9]
	v_mul_lo_u32 v66, v12, v7
	v_mul_lo_u32 v67, v13, v6
	v_add3_u32 v65, v67, v65, v66
	v_mad_u64_u32 v[66:67], s[12:13], v14, v6, v[8:9]
	v_mul_lo_u32 v68, v14, v7
	v_mul_lo_u32 v69, v15, v6
	v_add3_u32 v67, v69, v67, v68
	s_mov_b64 s[38:39], 0
	v_mov_b64_e32 v[68:69], v[6:7]
                                        ; implicit-def: $sgpr28_sgpr29
                                        ; implicit-def: $sgpr40_sgpr41
                                        ; implicit-def: $sgpr44_sgpr45
                                        ; implicit-def: $sgpr42_sgpr43
                                        ; implicit-def: $sgpr46_sgpr47
                                        ; implicit-def: $sgpr12_sgpr13
	s_branch .LBB10_755
.LBB10_754:                             ;   in Loop: Header=BB10_755 Depth=1
	s_or_b64 exec, exec, s[50:51]
	s_and_b64 s[50:51], exec, s[44:45]
	s_or_b64 s[38:39], s[50:51], s[38:39]
	s_andn2_b64 s[12:13], s[12:13], exec
	s_and_b64 s[50:51], s[46:47], exec
	s_or_b64 s[12:13], s[12:13], s[50:51]
	s_andn2_b64 s[40:41], s[40:41], exec
	s_and_b64 s[50:51], s[42:43], exec
	s_andn2_b64 s[28:29], s[28:29], exec
	s_and_b64 s[48:49], s[48:49], exec
	s_or_b64 s[40:41], s[40:41], s[50:51]
	s_or_b64 s[28:29], s[28:29], s[48:49]
	s_andn2_b64 exec, exec, s[38:39]
	s_cbranch_execz .LBB10_757
.LBB10_755:                             ; =>This Inner Loop Header: Depth=1
	flat_load_ubyte v70, v[66:67]
	flat_load_ubyte v71, v[64:65]
	s_andn2_b64 s[46:47], s[46:47], exec
	s_or_b64 s[42:43], s[42:43], exec
	s_or_b64 s[44:45], s[44:45], exec
	s_waitcnt vmcnt(0) lgkmcnt(0)
	v_cmp_le_u16_sdwa s[50:51], v70, v71 src0_sel:BYTE_0 src1_sel:BYTE_0
	v_cmp_lt_u16_sdwa s[48:49], v70, v71 src0_sel:BYTE_0 src1_sel:BYTE_0
	s_and_b64 s[50:51], s[50:51], s[12:13]
	v_cmp_eq_u16_sdwa s[52:53], v70, v71 src0_sel:BYTE_0 src1_sel:BYTE_0
	s_or_b64 s[48:49], s[48:49], s[50:51]
	s_and_saveexec_b64 s[50:51], s[52:53]
	s_cbranch_execz .LBB10_754
; %bb.756:                              ;   in Loop: Header=BB10_755 Depth=1
	v_lshl_add_u64 v[68:69], v[68:69], 0, -1
	v_cmp_eq_u64_e64 s[12:13], 0, v[68:69]
	s_andn2_b64 s[46:47], s[46:47], exec
	s_and_b64 s[52:53], s[48:49], exec
	s_andn2_b64 s[44:45], s[44:45], exec
	s_and_b64 s[12:13], s[12:13], exec
	v_lshl_add_u64 v[64:65], v[64:65], 0, 1
	v_lshl_add_u64 v[66:67], v[66:67], 0, 1
	s_or_b64 s[46:47], s[46:47], s[52:53]
	s_andn2_b64 s[42:43], s[42:43], exec
	s_or_b64 s[44:45], s[44:45], s[12:13]
                                        ; implicit-def: $sgpr12_sgpr13
	s_branch .LBB10_754
.LBB10_757:
	s_or_b64 exec, exec, s[38:39]
	s_and_saveexec_b64 s[12:13], s[40:41]
	s_xor_b64 s[12:13], exec, s[12:13]
; %bb.758:
	v_cndmask_b32_e64 v65, v13, v15, s[28:29]
	v_cndmask_b32_e64 v64, v12, v14, s[28:29]
	;; [unrolled: 1-line block ×4, first 2 shown]
	v_mov_b64_e32 v[12:13], v[64:65]
; %bb.759:
	s_or_b64 exec, exec, s[12:13]
.LBB10_760:
	s_or_b64 exec, exec, s[26:27]
.LBB10_761:
	s_or_b64 exec, exec, s[24:25]
	v_cmp_lt_u32_e64 s[24:25], 2, v31
	s_and_saveexec_b64 s[12:13], s[24:25]
	s_xor_b64 s[26:27], exec, s[12:13]
	s_cbranch_execnz .LBB10_785
; %bb.762:
	s_or_b64 exec, exec, s[26:27]
	v_cmp_lt_u32_e64 s[26:27], 4, v31
	s_and_saveexec_b64 s[28:29], s[26:27]
	s_cbranch_execnz .LBB10_794
.LBB10_763:
	s_or_b64 exec, exec, s[28:29]
	v_cmp_lt_u32_e64 s[28:29], 6, v31
	s_and_saveexec_b64 s[38:39], s[28:29]
	s_cbranch_execnz .LBB10_803
.LBB10_764:
	s_or_b64 exec, exec, s[38:39]
	s_and_saveexec_b64 s[38:39], s[16:17]
	s_cbranch_execnz .LBB10_812
.LBB10_765:
	s_or_b64 exec, exec, s[38:39]
	s_and_saveexec_b64 s[38:39], s[18:19]
	s_cbranch_execnz .LBB10_821
.LBB10_766:
	s_or_b64 exec, exec, s[38:39]
	s_and_saveexec_b64 s[38:39], s[20:21]
	s_cbranch_execnz .LBB10_830
.LBB10_767:
	s_or_b64 exec, exec, s[38:39]
	s_and_saveexec_b64 s[38:39], s[22:23]
	s_cbranch_execnz .LBB10_839
.LBB10_768:
	s_or_b64 exec, exec, s[38:39]
	s_and_saveexec_b64 s[38:39], s[24:25]
	s_cbranch_execnz .LBB10_848
.LBB10_769:
	s_or_b64 exec, exec, s[38:39]
	s_and_saveexec_b64 s[38:39], s[26:27]
	s_cbranch_execnz .LBB10_857
.LBB10_770:
	s_or_b64 exec, exec, s[38:39]
	s_and_saveexec_b64 s[38:39], s[28:29]
	s_cbranch_execnz .LBB10_866
.LBB10_771:
	s_or_b64 exec, exec, s[38:39]
	s_and_saveexec_b64 s[38:39], s[16:17]
	s_cbranch_execnz .LBB10_875
.LBB10_772:
	s_or_b64 exec, exec, s[38:39]
	s_and_saveexec_b64 s[38:39], s[18:19]
	s_cbranch_execnz .LBB10_884
.LBB10_773:
	s_or_b64 exec, exec, s[38:39]
	s_and_saveexec_b64 s[38:39], s[20:21]
	s_cbranch_execnz .LBB10_893
.LBB10_774:
	s_or_b64 exec, exec, s[38:39]
	s_and_saveexec_b64 s[38:39], s[22:23]
	s_cbranch_execnz .LBB10_902
.LBB10_775:
	s_or_b64 exec, exec, s[38:39]
	s_and_saveexec_b64 s[38:39], s[24:25]
	s_cbranch_execnz .LBB10_911
.LBB10_776:
	s_or_b64 exec, exec, s[38:39]
	s_and_saveexec_b64 s[38:39], s[26:27]
	s_cbranch_execnz .LBB10_920
.LBB10_777:
	s_or_b64 exec, exec, s[38:39]
	s_and_saveexec_b64 s[38:39], s[28:29]
	s_cbranch_execnz .LBB10_929
.LBB10_778:
	s_or_b64 exec, exec, s[38:39]
	s_and_saveexec_b64 s[38:39], s[16:17]
	s_cbranch_execnz .LBB10_938
.LBB10_779:
	s_or_b64 exec, exec, s[38:39]
	s_and_saveexec_b64 s[16:17], s[18:19]
	s_cbranch_execnz .LBB10_947
.LBB10_780:
	s_or_b64 exec, exec, s[16:17]
	s_and_saveexec_b64 s[16:17], s[20:21]
	s_cbranch_execnz .LBB10_956
.LBB10_781:
	s_or_b64 exec, exec, s[16:17]
	s_and_saveexec_b64 s[16:17], s[22:23]
	s_cbranch_execnz .LBB10_965
.LBB10_782:
	s_or_b64 exec, exec, s[16:17]
	s_and_saveexec_b64 s[16:17], s[24:25]
	s_cbranch_execnz .LBB10_974
.LBB10_783:
	s_or_b64 exec, exec, s[16:17]
	s_and_saveexec_b64 s[16:17], s[26:27]
	s_cbranch_execnz .LBB10_983
.LBB10_784:
	s_or_b64 exec, exec, s[16:17]
	s_and_saveexec_b64 s[16:17], s[28:29]
	s_cbranch_execnz .LBB10_992
	s_branch .LBB10_1001
.LBB10_785:
	s_and_saveexec_b64 s[28:29], s[8:9]
	s_cbranch_execz .LBB10_793
; %bb.786:
	v_mad_u64_u32 v[64:65], s[12:13], v26, v6, v[8:9]
	v_mul_lo_u32 v66, v26, v7
	v_mul_lo_u32 v67, v27, v6
	v_add3_u32 v65, v67, v65, v66
	v_mad_u64_u32 v[66:67], s[12:13], v20, v6, v[8:9]
	v_mul_lo_u32 v68, v20, v7
	v_mul_lo_u32 v69, v21, v6
	v_add3_u32 v67, v69, v67, v68
	s_mov_b64 s[40:41], 0
	v_mov_b64_e32 v[68:69], v[6:7]
                                        ; implicit-def: $sgpr38_sgpr39
                                        ; implicit-def: $sgpr42_sgpr43
                                        ; implicit-def: $sgpr46_sgpr47
                                        ; implicit-def: $sgpr44_sgpr45
                                        ; implicit-def: $sgpr48_sgpr49
                                        ; implicit-def: $sgpr12_sgpr13
	s_branch .LBB10_788
.LBB10_787:                             ;   in Loop: Header=BB10_788 Depth=1
	s_or_b64 exec, exec, s[52:53]
	s_and_b64 s[52:53], exec, s[46:47]
	s_or_b64 s[40:41], s[52:53], s[40:41]
	s_andn2_b64 s[12:13], s[12:13], exec
	s_and_b64 s[52:53], s[48:49], exec
	s_or_b64 s[12:13], s[12:13], s[52:53]
	s_andn2_b64 s[42:43], s[42:43], exec
	s_and_b64 s[52:53], s[44:45], exec
	s_andn2_b64 s[38:39], s[38:39], exec
	s_and_b64 s[50:51], s[50:51], exec
	s_or_b64 s[42:43], s[42:43], s[52:53]
	s_or_b64 s[38:39], s[38:39], s[50:51]
	s_andn2_b64 exec, exec, s[40:41]
	s_cbranch_execz .LBB10_790
.LBB10_788:                             ; =>This Inner Loop Header: Depth=1
	flat_load_ubyte v70, v[66:67]
	flat_load_ubyte v71, v[64:65]
	s_andn2_b64 s[48:49], s[48:49], exec
	s_or_b64 s[44:45], s[44:45], exec
	s_or_b64 s[46:47], s[46:47], exec
	s_waitcnt vmcnt(0) lgkmcnt(0)
	v_cmp_le_u16_sdwa s[52:53], v70, v71 src0_sel:BYTE_0 src1_sel:BYTE_0
	v_cmp_lt_u16_sdwa s[50:51], v70, v71 src0_sel:BYTE_0 src1_sel:BYTE_0
	s_and_b64 s[52:53], s[52:53], s[12:13]
	v_cmp_eq_u16_sdwa s[54:55], v70, v71 src0_sel:BYTE_0 src1_sel:BYTE_0
	s_or_b64 s[50:51], s[50:51], s[52:53]
	s_and_saveexec_b64 s[52:53], s[54:55]
	s_cbranch_execz .LBB10_787
; %bb.789:                              ;   in Loop: Header=BB10_788 Depth=1
	v_lshl_add_u64 v[68:69], v[68:69], 0, -1
	v_cmp_eq_u64_e64 s[12:13], 0, v[68:69]
	s_andn2_b64 s[48:49], s[48:49], exec
	s_and_b64 s[54:55], s[50:51], exec
	s_andn2_b64 s[46:47], s[46:47], exec
	s_and_b64 s[12:13], s[12:13], exec
	v_lshl_add_u64 v[64:65], v[64:65], 0, 1
	v_lshl_add_u64 v[66:67], v[66:67], 0, 1
	s_or_b64 s[48:49], s[48:49], s[54:55]
	s_andn2_b64 s[44:45], s[44:45], exec
	s_or_b64 s[46:47], s[46:47], s[12:13]
                                        ; implicit-def: $sgpr12_sgpr13
	s_branch .LBB10_787
.LBB10_790:
	s_or_b64 exec, exec, s[40:41]
	s_and_saveexec_b64 s[12:13], s[42:43]
	s_xor_b64 s[12:13], exec, s[12:13]
; %bb.791:
	v_cndmask_b32_e64 v65, v27, v21, s[38:39]
	v_cndmask_b32_e64 v64, v26, v20, s[38:39]
	;; [unrolled: 1-line block ×4, first 2 shown]
	v_mov_b64_e32 v[26:27], v[64:65]
; %bb.792:
	s_or_b64 exec, exec, s[12:13]
.LBB10_793:
	s_or_b64 exec, exec, s[28:29]
	s_or_b64 exec, exec, s[26:27]
	v_cmp_lt_u32_e64 s[26:27], 4, v31
	s_and_saveexec_b64 s[28:29], s[26:27]
	s_cbranch_execz .LBB10_763
.LBB10_794:
	s_and_saveexec_b64 s[38:39], s[8:9]
	s_cbranch_execz .LBB10_802
; %bb.795:
	v_mad_u64_u32 v[64:65], s[12:13], v22, v6, v[8:9]
	v_mul_lo_u32 v66, v22, v7
	v_mul_lo_u32 v67, v23, v6
	v_add3_u32 v65, v67, v65, v66
	v_mad_u64_u32 v[66:67], s[12:13], v16, v6, v[8:9]
	v_mul_lo_u32 v68, v16, v7
	v_mul_lo_u32 v69, v17, v6
	v_add3_u32 v67, v69, v67, v68
	s_mov_b64 s[42:43], 0
	v_mov_b64_e32 v[68:69], v[6:7]
                                        ; implicit-def: $sgpr40_sgpr41
                                        ; implicit-def: $sgpr44_sgpr45
                                        ; implicit-def: $sgpr48_sgpr49
                                        ; implicit-def: $sgpr46_sgpr47
                                        ; implicit-def: $sgpr50_sgpr51
                                        ; implicit-def: $sgpr12_sgpr13
	s_branch .LBB10_797
.LBB10_796:                             ;   in Loop: Header=BB10_797 Depth=1
	s_or_b64 exec, exec, s[54:55]
	s_and_b64 s[54:55], exec, s[48:49]
	s_or_b64 s[42:43], s[54:55], s[42:43]
	s_andn2_b64 s[12:13], s[12:13], exec
	s_and_b64 s[54:55], s[50:51], exec
	s_or_b64 s[12:13], s[12:13], s[54:55]
	s_andn2_b64 s[44:45], s[44:45], exec
	s_and_b64 s[54:55], s[46:47], exec
	s_andn2_b64 s[40:41], s[40:41], exec
	s_and_b64 s[52:53], s[52:53], exec
	s_or_b64 s[44:45], s[44:45], s[54:55]
	s_or_b64 s[40:41], s[40:41], s[52:53]
	s_andn2_b64 exec, exec, s[42:43]
	s_cbranch_execz .LBB10_799
.LBB10_797:                             ; =>This Inner Loop Header: Depth=1
	flat_load_ubyte v70, v[66:67]
	flat_load_ubyte v71, v[64:65]
	s_andn2_b64 s[50:51], s[50:51], exec
	s_or_b64 s[46:47], s[46:47], exec
	s_or_b64 s[48:49], s[48:49], exec
	s_waitcnt vmcnt(0) lgkmcnt(0)
	v_cmp_le_u16_sdwa s[54:55], v70, v71 src0_sel:BYTE_0 src1_sel:BYTE_0
	v_cmp_lt_u16_sdwa s[52:53], v70, v71 src0_sel:BYTE_0 src1_sel:BYTE_0
	s_and_b64 s[54:55], s[54:55], s[12:13]
	v_cmp_eq_u16_sdwa s[56:57], v70, v71 src0_sel:BYTE_0 src1_sel:BYTE_0
	s_or_b64 s[52:53], s[52:53], s[54:55]
	s_and_saveexec_b64 s[54:55], s[56:57]
	s_cbranch_execz .LBB10_796
; %bb.798:                              ;   in Loop: Header=BB10_797 Depth=1
	v_lshl_add_u64 v[68:69], v[68:69], 0, -1
	v_cmp_eq_u64_e64 s[12:13], 0, v[68:69]
	s_andn2_b64 s[50:51], s[50:51], exec
	s_and_b64 s[56:57], s[52:53], exec
	s_andn2_b64 s[48:49], s[48:49], exec
	s_and_b64 s[12:13], s[12:13], exec
	v_lshl_add_u64 v[64:65], v[64:65], 0, 1
	v_lshl_add_u64 v[66:67], v[66:67], 0, 1
	s_or_b64 s[50:51], s[50:51], s[56:57]
	s_andn2_b64 s[46:47], s[46:47], exec
	s_or_b64 s[48:49], s[48:49], s[12:13]
                                        ; implicit-def: $sgpr12_sgpr13
	s_branch .LBB10_796
.LBB10_799:
	s_or_b64 exec, exec, s[42:43]
	s_and_saveexec_b64 s[12:13], s[44:45]
	s_xor_b64 s[12:13], exec, s[12:13]
; %bb.800:
	v_cndmask_b32_e64 v65, v23, v17, s[40:41]
	v_cndmask_b32_e64 v64, v22, v16, s[40:41]
	;; [unrolled: 1-line block ×4, first 2 shown]
	v_mov_b64_e32 v[22:23], v[64:65]
; %bb.801:
	s_or_b64 exec, exec, s[12:13]
.LBB10_802:
	s_or_b64 exec, exec, s[38:39]
	s_or_b64 exec, exec, s[28:29]
	v_cmp_lt_u32_e64 s[28:29], 6, v31
	s_and_saveexec_b64 s[38:39], s[28:29]
	s_cbranch_execz .LBB10_764
.LBB10_803:
	s_and_saveexec_b64 s[40:41], s[8:9]
	s_cbranch_execz .LBB10_811
; %bb.804:
	v_mad_u64_u32 v[64:65], s[12:13], v18, v6, v[8:9]
	v_mul_lo_u32 v31, v18, v7
	v_mul_lo_u32 v66, v19, v6
	v_add3_u32 v65, v66, v65, v31
	v_mad_u64_u32 v[66:67], s[12:13], v12, v6, v[8:9]
	v_mul_lo_u32 v31, v12, v7
	v_mul_lo_u32 v68, v13, v6
	v_add3_u32 v67, v68, v67, v31
	s_mov_b64 s[44:45], 0
	v_mov_b64_e32 v[68:69], v[6:7]
                                        ; implicit-def: $sgpr42_sgpr43
                                        ; implicit-def: $sgpr46_sgpr47
                                        ; implicit-def: $sgpr50_sgpr51
                                        ; implicit-def: $sgpr48_sgpr49
                                        ; implicit-def: $sgpr52_sgpr53
                                        ; implicit-def: $sgpr12_sgpr13
	s_branch .LBB10_806
.LBB10_805:                             ;   in Loop: Header=BB10_806 Depth=1
	s_or_b64 exec, exec, s[56:57]
	s_and_b64 s[56:57], exec, s[50:51]
	s_or_b64 s[44:45], s[56:57], s[44:45]
	s_andn2_b64 s[12:13], s[12:13], exec
	s_and_b64 s[56:57], s[52:53], exec
	s_or_b64 s[12:13], s[12:13], s[56:57]
	s_andn2_b64 s[46:47], s[46:47], exec
	s_and_b64 s[56:57], s[48:49], exec
	s_andn2_b64 s[42:43], s[42:43], exec
	s_and_b64 s[54:55], s[54:55], exec
	s_or_b64 s[46:47], s[46:47], s[56:57]
	s_or_b64 s[42:43], s[42:43], s[54:55]
	s_andn2_b64 exec, exec, s[44:45]
	s_cbranch_execz .LBB10_808
.LBB10_806:                             ; =>This Inner Loop Header: Depth=1
	flat_load_ubyte v31, v[66:67]
	flat_load_ubyte v70, v[64:65]
	s_andn2_b64 s[52:53], s[52:53], exec
	s_or_b64 s[48:49], s[48:49], exec
	s_or_b64 s[50:51], s[50:51], exec
	s_waitcnt vmcnt(0) lgkmcnt(0)
	v_cmp_le_u16_sdwa s[56:57], v31, v70 src0_sel:BYTE_0 src1_sel:BYTE_0
	v_cmp_lt_u16_sdwa s[54:55], v31, v70 src0_sel:BYTE_0 src1_sel:BYTE_0
	s_and_b64 s[56:57], s[56:57], s[12:13]
	v_cmp_eq_u16_sdwa s[58:59], v31, v70 src0_sel:BYTE_0 src1_sel:BYTE_0
	s_or_b64 s[54:55], s[54:55], s[56:57]
	s_and_saveexec_b64 s[56:57], s[58:59]
	s_cbranch_execz .LBB10_805
; %bb.807:                              ;   in Loop: Header=BB10_806 Depth=1
	v_lshl_add_u64 v[68:69], v[68:69], 0, -1
	v_cmp_eq_u64_e64 s[12:13], 0, v[68:69]
	s_andn2_b64 s[52:53], s[52:53], exec
	s_and_b64 s[58:59], s[54:55], exec
	s_andn2_b64 s[50:51], s[50:51], exec
	s_and_b64 s[12:13], s[12:13], exec
	v_lshl_add_u64 v[64:65], v[64:65], 0, 1
	v_lshl_add_u64 v[66:67], v[66:67], 0, 1
	s_or_b64 s[52:53], s[52:53], s[58:59]
	s_andn2_b64 s[48:49], s[48:49], exec
	s_or_b64 s[50:51], s[50:51], s[12:13]
                                        ; implicit-def: $sgpr12_sgpr13
	s_branch .LBB10_805
.LBB10_808:
	s_or_b64 exec, exec, s[44:45]
	s_and_saveexec_b64 s[12:13], s[46:47]
	s_xor_b64 s[12:13], exec, s[12:13]
; %bb.809:
	v_cndmask_b32_e64 v65, v19, v13, s[42:43]
	v_cndmask_b32_e64 v64, v18, v12, s[42:43]
	;; [unrolled: 1-line block ×4, first 2 shown]
	v_mov_b64_e32 v[18:19], v[64:65]
; %bb.810:
	s_or_b64 exec, exec, s[12:13]
.LBB10_811:
	s_or_b64 exec, exec, s[40:41]
	s_or_b64 exec, exec, s[38:39]
	s_and_saveexec_b64 s[38:39], s[16:17]
	s_cbranch_execz .LBB10_765
.LBB10_812:
	s_and_saveexec_b64 s[40:41], s[8:9]
	s_cbranch_execz .LBB10_820
; %bb.813:
	v_mad_u64_u32 v[64:65], s[12:13], v24, v6, v[8:9]
	v_mul_lo_u32 v31, v24, v7
	v_mul_lo_u32 v66, v25, v6
	v_add3_u32 v65, v66, v65, v31
	v_mad_u64_u32 v[66:67], s[12:13], v26, v6, v[8:9]
	v_mul_lo_u32 v31, v26, v7
	v_mul_lo_u32 v68, v27, v6
	v_add3_u32 v67, v68, v67, v31
	s_mov_b64 s[44:45], 0
	v_mov_b64_e32 v[68:69], v[6:7]
                                        ; implicit-def: $sgpr42_sgpr43
                                        ; implicit-def: $sgpr46_sgpr47
                                        ; implicit-def: $sgpr50_sgpr51
                                        ; implicit-def: $sgpr48_sgpr49
                                        ; implicit-def: $sgpr52_sgpr53
                                        ; implicit-def: $sgpr12_sgpr13
	s_branch .LBB10_815
.LBB10_814:                             ;   in Loop: Header=BB10_815 Depth=1
	s_or_b64 exec, exec, s[56:57]
	s_and_b64 s[56:57], exec, s[50:51]
	s_or_b64 s[44:45], s[56:57], s[44:45]
	s_andn2_b64 s[12:13], s[12:13], exec
	s_and_b64 s[56:57], s[52:53], exec
	s_or_b64 s[12:13], s[12:13], s[56:57]
	s_andn2_b64 s[46:47], s[46:47], exec
	s_and_b64 s[56:57], s[48:49], exec
	s_andn2_b64 s[42:43], s[42:43], exec
	s_and_b64 s[54:55], s[54:55], exec
	s_or_b64 s[46:47], s[46:47], s[56:57]
	s_or_b64 s[42:43], s[42:43], s[54:55]
	s_andn2_b64 exec, exec, s[44:45]
	s_cbranch_execz .LBB10_817
.LBB10_815:                             ; =>This Inner Loop Header: Depth=1
	flat_load_ubyte v31, v[66:67]
	flat_load_ubyte v70, v[64:65]
	s_andn2_b64 s[52:53], s[52:53], exec
	s_or_b64 s[48:49], s[48:49], exec
	s_or_b64 s[50:51], s[50:51], exec
	s_waitcnt vmcnt(0) lgkmcnt(0)
	v_cmp_le_u16_sdwa s[56:57], v31, v70 src0_sel:BYTE_0 src1_sel:BYTE_0
	v_cmp_lt_u16_sdwa s[54:55], v31, v70 src0_sel:BYTE_0 src1_sel:BYTE_0
	s_and_b64 s[56:57], s[56:57], s[12:13]
	v_cmp_eq_u16_sdwa s[58:59], v31, v70 src0_sel:BYTE_0 src1_sel:BYTE_0
	s_or_b64 s[54:55], s[54:55], s[56:57]
	s_and_saveexec_b64 s[56:57], s[58:59]
	s_cbranch_execz .LBB10_814
; %bb.816:                              ;   in Loop: Header=BB10_815 Depth=1
	v_lshl_add_u64 v[68:69], v[68:69], 0, -1
	v_cmp_eq_u64_e64 s[12:13], 0, v[68:69]
	s_andn2_b64 s[52:53], s[52:53], exec
	s_and_b64 s[58:59], s[54:55], exec
	s_andn2_b64 s[50:51], s[50:51], exec
	s_and_b64 s[12:13], s[12:13], exec
	v_lshl_add_u64 v[64:65], v[64:65], 0, 1
	v_lshl_add_u64 v[66:67], v[66:67], 0, 1
	s_or_b64 s[52:53], s[52:53], s[58:59]
	s_andn2_b64 s[48:49], s[48:49], exec
	s_or_b64 s[50:51], s[50:51], s[12:13]
                                        ; implicit-def: $sgpr12_sgpr13
	s_branch .LBB10_814
.LBB10_817:
	s_or_b64 exec, exec, s[44:45]
	s_and_saveexec_b64 s[12:13], s[46:47]
	s_xor_b64 s[12:13], exec, s[12:13]
; %bb.818:
	v_cndmask_b32_e64 v65, v27, v25, s[42:43]
	v_cndmask_b32_e64 v64, v26, v24, s[42:43]
	;; [unrolled: 1-line block ×4, first 2 shown]
	v_mov_b64_e32 v[26:27], v[64:65]
; %bb.819:
	s_or_b64 exec, exec, s[12:13]
.LBB10_820:
	s_or_b64 exec, exec, s[40:41]
	s_or_b64 exec, exec, s[38:39]
	s_and_saveexec_b64 s[38:39], s[18:19]
	s_cbranch_execz .LBB10_766
.LBB10_821:
	s_and_saveexec_b64 s[40:41], s[8:9]
	s_cbranch_execz .LBB10_829
; %bb.822:
	v_mad_u64_u32 v[64:65], s[12:13], v20, v6, v[8:9]
	v_mul_lo_u32 v31, v20, v7
	v_mul_lo_u32 v66, v21, v6
	v_add3_u32 v65, v66, v65, v31
	v_mad_u64_u32 v[66:67], s[12:13], v22, v6, v[8:9]
	v_mul_lo_u32 v31, v22, v7
	v_mul_lo_u32 v68, v23, v6
	v_add3_u32 v67, v68, v67, v31
	s_mov_b64 s[44:45], 0
	v_mov_b64_e32 v[68:69], v[6:7]
                                        ; implicit-def: $sgpr42_sgpr43
                                        ; implicit-def: $sgpr46_sgpr47
                                        ; implicit-def: $sgpr50_sgpr51
                                        ; implicit-def: $sgpr48_sgpr49
                                        ; implicit-def: $sgpr52_sgpr53
                                        ; implicit-def: $sgpr12_sgpr13
	s_branch .LBB10_824
.LBB10_823:                             ;   in Loop: Header=BB10_824 Depth=1
	s_or_b64 exec, exec, s[56:57]
	s_and_b64 s[56:57], exec, s[50:51]
	s_or_b64 s[44:45], s[56:57], s[44:45]
	s_andn2_b64 s[12:13], s[12:13], exec
	s_and_b64 s[56:57], s[52:53], exec
	s_or_b64 s[12:13], s[12:13], s[56:57]
	s_andn2_b64 s[46:47], s[46:47], exec
	s_and_b64 s[56:57], s[48:49], exec
	s_andn2_b64 s[42:43], s[42:43], exec
	s_and_b64 s[54:55], s[54:55], exec
	s_or_b64 s[46:47], s[46:47], s[56:57]
	s_or_b64 s[42:43], s[42:43], s[54:55]
	s_andn2_b64 exec, exec, s[44:45]
	s_cbranch_execz .LBB10_826
.LBB10_824:                             ; =>This Inner Loop Header: Depth=1
	flat_load_ubyte v31, v[66:67]
	flat_load_ubyte v70, v[64:65]
	s_andn2_b64 s[52:53], s[52:53], exec
	s_or_b64 s[48:49], s[48:49], exec
	s_or_b64 s[50:51], s[50:51], exec
	s_waitcnt vmcnt(0) lgkmcnt(0)
	v_cmp_le_u16_sdwa s[56:57], v31, v70 src0_sel:BYTE_0 src1_sel:BYTE_0
	v_cmp_lt_u16_sdwa s[54:55], v31, v70 src0_sel:BYTE_0 src1_sel:BYTE_0
	s_and_b64 s[56:57], s[56:57], s[12:13]
	v_cmp_eq_u16_sdwa s[58:59], v31, v70 src0_sel:BYTE_0 src1_sel:BYTE_0
	s_or_b64 s[54:55], s[54:55], s[56:57]
	s_and_saveexec_b64 s[56:57], s[58:59]
	s_cbranch_execz .LBB10_823
; %bb.825:                              ;   in Loop: Header=BB10_824 Depth=1
	v_lshl_add_u64 v[68:69], v[68:69], 0, -1
	v_cmp_eq_u64_e64 s[12:13], 0, v[68:69]
	s_andn2_b64 s[52:53], s[52:53], exec
	s_and_b64 s[58:59], s[54:55], exec
	s_andn2_b64 s[50:51], s[50:51], exec
	s_and_b64 s[12:13], s[12:13], exec
	v_lshl_add_u64 v[64:65], v[64:65], 0, 1
	v_lshl_add_u64 v[66:67], v[66:67], 0, 1
	s_or_b64 s[52:53], s[52:53], s[58:59]
	s_andn2_b64 s[48:49], s[48:49], exec
	s_or_b64 s[50:51], s[50:51], s[12:13]
                                        ; implicit-def: $sgpr12_sgpr13
	s_branch .LBB10_823
.LBB10_826:
	s_or_b64 exec, exec, s[44:45]
	s_and_saveexec_b64 s[12:13], s[46:47]
	s_xor_b64 s[12:13], exec, s[12:13]
; %bb.827:
	v_cndmask_b32_e64 v65, v21, v23, s[42:43]
	v_cndmask_b32_e64 v64, v20, v22, s[42:43]
	;; [unrolled: 1-line block ×4, first 2 shown]
	v_mov_b64_e32 v[20:21], v[64:65]
; %bb.828:
	s_or_b64 exec, exec, s[12:13]
.LBB10_829:
	s_or_b64 exec, exec, s[40:41]
	s_or_b64 exec, exec, s[38:39]
	s_and_saveexec_b64 s[38:39], s[20:21]
	s_cbranch_execz .LBB10_767
.LBB10_830:
	s_and_saveexec_b64 s[40:41], s[8:9]
	s_cbranch_execz .LBB10_838
; %bb.831:
	v_mad_u64_u32 v[64:65], s[12:13], v16, v6, v[8:9]
	v_mul_lo_u32 v31, v16, v7
	v_mul_lo_u32 v66, v17, v6
	v_add3_u32 v65, v66, v65, v31
	v_mad_u64_u32 v[66:67], s[12:13], v18, v6, v[8:9]
	v_mul_lo_u32 v31, v18, v7
	v_mul_lo_u32 v68, v19, v6
	v_add3_u32 v67, v68, v67, v31
	s_mov_b64 s[44:45], 0
	v_mov_b64_e32 v[68:69], v[6:7]
                                        ; implicit-def: $sgpr42_sgpr43
                                        ; implicit-def: $sgpr46_sgpr47
                                        ; implicit-def: $sgpr50_sgpr51
                                        ; implicit-def: $sgpr48_sgpr49
                                        ; implicit-def: $sgpr52_sgpr53
                                        ; implicit-def: $sgpr12_sgpr13
	s_branch .LBB10_833
.LBB10_832:                             ;   in Loop: Header=BB10_833 Depth=1
	s_or_b64 exec, exec, s[56:57]
	s_and_b64 s[56:57], exec, s[50:51]
	s_or_b64 s[44:45], s[56:57], s[44:45]
	s_andn2_b64 s[12:13], s[12:13], exec
	s_and_b64 s[56:57], s[52:53], exec
	s_or_b64 s[12:13], s[12:13], s[56:57]
	s_andn2_b64 s[46:47], s[46:47], exec
	s_and_b64 s[56:57], s[48:49], exec
	s_andn2_b64 s[42:43], s[42:43], exec
	s_and_b64 s[54:55], s[54:55], exec
	s_or_b64 s[46:47], s[46:47], s[56:57]
	s_or_b64 s[42:43], s[42:43], s[54:55]
	s_andn2_b64 exec, exec, s[44:45]
	s_cbranch_execz .LBB10_835
.LBB10_833:                             ; =>This Inner Loop Header: Depth=1
	flat_load_ubyte v31, v[66:67]
	flat_load_ubyte v70, v[64:65]
	s_andn2_b64 s[52:53], s[52:53], exec
	s_or_b64 s[48:49], s[48:49], exec
	s_or_b64 s[50:51], s[50:51], exec
	s_waitcnt vmcnt(0) lgkmcnt(0)
	v_cmp_le_u16_sdwa s[56:57], v31, v70 src0_sel:BYTE_0 src1_sel:BYTE_0
	v_cmp_lt_u16_sdwa s[54:55], v31, v70 src0_sel:BYTE_0 src1_sel:BYTE_0
	s_and_b64 s[56:57], s[56:57], s[12:13]
	v_cmp_eq_u16_sdwa s[58:59], v31, v70 src0_sel:BYTE_0 src1_sel:BYTE_0
	s_or_b64 s[54:55], s[54:55], s[56:57]
	s_and_saveexec_b64 s[56:57], s[58:59]
	s_cbranch_execz .LBB10_832
; %bb.834:                              ;   in Loop: Header=BB10_833 Depth=1
	v_lshl_add_u64 v[68:69], v[68:69], 0, -1
	v_cmp_eq_u64_e64 s[12:13], 0, v[68:69]
	s_andn2_b64 s[52:53], s[52:53], exec
	s_and_b64 s[58:59], s[54:55], exec
	s_andn2_b64 s[50:51], s[50:51], exec
	s_and_b64 s[12:13], s[12:13], exec
	v_lshl_add_u64 v[64:65], v[64:65], 0, 1
	v_lshl_add_u64 v[66:67], v[66:67], 0, 1
	s_or_b64 s[52:53], s[52:53], s[58:59]
	s_andn2_b64 s[48:49], s[48:49], exec
	s_or_b64 s[50:51], s[50:51], s[12:13]
                                        ; implicit-def: $sgpr12_sgpr13
	s_branch .LBB10_832
.LBB10_835:
	s_or_b64 exec, exec, s[44:45]
	s_and_saveexec_b64 s[12:13], s[46:47]
	s_xor_b64 s[12:13], exec, s[12:13]
; %bb.836:
	v_cndmask_b32_e64 v65, v17, v19, s[42:43]
	v_cndmask_b32_e64 v64, v16, v18, s[42:43]
	;; [unrolled: 1-line block ×4, first 2 shown]
	v_mov_b64_e32 v[16:17], v[64:65]
; %bb.837:
	s_or_b64 exec, exec, s[12:13]
.LBB10_838:
	s_or_b64 exec, exec, s[40:41]
	s_or_b64 exec, exec, s[38:39]
	s_and_saveexec_b64 s[38:39], s[22:23]
	s_cbranch_execz .LBB10_768
.LBB10_839:
	s_and_saveexec_b64 s[40:41], s[8:9]
	s_cbranch_execz .LBB10_847
; %bb.840:
	v_mad_u64_u32 v[64:65], s[12:13], v12, v6, v[8:9]
	v_mul_lo_u32 v31, v12, v7
	v_mul_lo_u32 v66, v13, v6
	v_add3_u32 v65, v66, v65, v31
	v_mad_u64_u32 v[66:67], s[12:13], v14, v6, v[8:9]
	v_mul_lo_u32 v31, v14, v7
	v_mul_lo_u32 v68, v15, v6
	v_add3_u32 v67, v68, v67, v31
	s_mov_b64 s[44:45], 0
	v_mov_b64_e32 v[68:69], v[6:7]
                                        ; implicit-def: $sgpr42_sgpr43
                                        ; implicit-def: $sgpr46_sgpr47
                                        ; implicit-def: $sgpr50_sgpr51
                                        ; implicit-def: $sgpr48_sgpr49
                                        ; implicit-def: $sgpr52_sgpr53
                                        ; implicit-def: $sgpr12_sgpr13
	s_branch .LBB10_842
.LBB10_841:                             ;   in Loop: Header=BB10_842 Depth=1
	s_or_b64 exec, exec, s[56:57]
	s_and_b64 s[56:57], exec, s[50:51]
	s_or_b64 s[44:45], s[56:57], s[44:45]
	s_andn2_b64 s[12:13], s[12:13], exec
	s_and_b64 s[56:57], s[52:53], exec
	s_or_b64 s[12:13], s[12:13], s[56:57]
	s_andn2_b64 s[46:47], s[46:47], exec
	s_and_b64 s[56:57], s[48:49], exec
	s_andn2_b64 s[42:43], s[42:43], exec
	s_and_b64 s[54:55], s[54:55], exec
	s_or_b64 s[46:47], s[46:47], s[56:57]
	s_or_b64 s[42:43], s[42:43], s[54:55]
	s_andn2_b64 exec, exec, s[44:45]
	s_cbranch_execz .LBB10_844
.LBB10_842:                             ; =>This Inner Loop Header: Depth=1
	flat_load_ubyte v31, v[66:67]
	flat_load_ubyte v70, v[64:65]
	s_andn2_b64 s[52:53], s[52:53], exec
	s_or_b64 s[48:49], s[48:49], exec
	s_or_b64 s[50:51], s[50:51], exec
	s_waitcnt vmcnt(0) lgkmcnt(0)
	v_cmp_le_u16_sdwa s[56:57], v31, v70 src0_sel:BYTE_0 src1_sel:BYTE_0
	v_cmp_lt_u16_sdwa s[54:55], v31, v70 src0_sel:BYTE_0 src1_sel:BYTE_0
	s_and_b64 s[56:57], s[56:57], s[12:13]
	v_cmp_eq_u16_sdwa s[58:59], v31, v70 src0_sel:BYTE_0 src1_sel:BYTE_0
	s_or_b64 s[54:55], s[54:55], s[56:57]
	s_and_saveexec_b64 s[56:57], s[58:59]
	s_cbranch_execz .LBB10_841
; %bb.843:                              ;   in Loop: Header=BB10_842 Depth=1
	v_lshl_add_u64 v[68:69], v[68:69], 0, -1
	v_cmp_eq_u64_e64 s[12:13], 0, v[68:69]
	s_andn2_b64 s[52:53], s[52:53], exec
	s_and_b64 s[58:59], s[54:55], exec
	s_andn2_b64 s[50:51], s[50:51], exec
	s_and_b64 s[12:13], s[12:13], exec
	v_lshl_add_u64 v[64:65], v[64:65], 0, 1
	v_lshl_add_u64 v[66:67], v[66:67], 0, 1
	s_or_b64 s[52:53], s[52:53], s[58:59]
	s_andn2_b64 s[48:49], s[48:49], exec
	s_or_b64 s[50:51], s[50:51], s[12:13]
                                        ; implicit-def: $sgpr12_sgpr13
	s_branch .LBB10_841
.LBB10_844:
	s_or_b64 exec, exec, s[44:45]
	s_and_saveexec_b64 s[12:13], s[46:47]
	s_xor_b64 s[12:13], exec, s[12:13]
; %bb.845:
	v_cndmask_b32_e64 v65, v13, v15, s[42:43]
	v_cndmask_b32_e64 v64, v12, v14, s[42:43]
	;; [unrolled: 1-line block ×4, first 2 shown]
	v_mov_b64_e32 v[12:13], v[64:65]
; %bb.846:
	s_or_b64 exec, exec, s[12:13]
.LBB10_847:
	s_or_b64 exec, exec, s[40:41]
	s_or_b64 exec, exec, s[38:39]
	s_and_saveexec_b64 s[38:39], s[24:25]
	s_cbranch_execz .LBB10_769
.LBB10_848:
	s_and_saveexec_b64 s[40:41], s[8:9]
	s_cbranch_execz .LBB10_856
; %bb.849:
	v_mad_u64_u32 v[64:65], s[12:13], v26, v6, v[8:9]
	v_mul_lo_u32 v31, v26, v7
	v_mul_lo_u32 v66, v27, v6
	v_add3_u32 v65, v66, v65, v31
	v_mad_u64_u32 v[66:67], s[12:13], v20, v6, v[8:9]
	v_mul_lo_u32 v31, v20, v7
	v_mul_lo_u32 v68, v21, v6
	v_add3_u32 v67, v68, v67, v31
	s_mov_b64 s[44:45], 0
	v_mov_b64_e32 v[68:69], v[6:7]
                                        ; implicit-def: $sgpr42_sgpr43
                                        ; implicit-def: $sgpr46_sgpr47
                                        ; implicit-def: $sgpr50_sgpr51
                                        ; implicit-def: $sgpr48_sgpr49
                                        ; implicit-def: $sgpr52_sgpr53
                                        ; implicit-def: $sgpr12_sgpr13
	s_branch .LBB10_851
.LBB10_850:                             ;   in Loop: Header=BB10_851 Depth=1
	s_or_b64 exec, exec, s[56:57]
	s_and_b64 s[56:57], exec, s[50:51]
	s_or_b64 s[44:45], s[56:57], s[44:45]
	s_andn2_b64 s[12:13], s[12:13], exec
	s_and_b64 s[56:57], s[52:53], exec
	s_or_b64 s[12:13], s[12:13], s[56:57]
	s_andn2_b64 s[46:47], s[46:47], exec
	s_and_b64 s[56:57], s[48:49], exec
	s_andn2_b64 s[42:43], s[42:43], exec
	s_and_b64 s[54:55], s[54:55], exec
	s_or_b64 s[46:47], s[46:47], s[56:57]
	s_or_b64 s[42:43], s[42:43], s[54:55]
	s_andn2_b64 exec, exec, s[44:45]
	s_cbranch_execz .LBB10_853
.LBB10_851:                             ; =>This Inner Loop Header: Depth=1
	flat_load_ubyte v31, v[66:67]
	flat_load_ubyte v70, v[64:65]
	s_andn2_b64 s[52:53], s[52:53], exec
	s_or_b64 s[48:49], s[48:49], exec
	s_or_b64 s[50:51], s[50:51], exec
	s_waitcnt vmcnt(0) lgkmcnt(0)
	v_cmp_le_u16_sdwa s[56:57], v31, v70 src0_sel:BYTE_0 src1_sel:BYTE_0
	v_cmp_lt_u16_sdwa s[54:55], v31, v70 src0_sel:BYTE_0 src1_sel:BYTE_0
	s_and_b64 s[56:57], s[56:57], s[12:13]
	v_cmp_eq_u16_sdwa s[58:59], v31, v70 src0_sel:BYTE_0 src1_sel:BYTE_0
	s_or_b64 s[54:55], s[54:55], s[56:57]
	s_and_saveexec_b64 s[56:57], s[58:59]
	s_cbranch_execz .LBB10_850
; %bb.852:                              ;   in Loop: Header=BB10_851 Depth=1
	v_lshl_add_u64 v[68:69], v[68:69], 0, -1
	v_cmp_eq_u64_e64 s[12:13], 0, v[68:69]
	s_andn2_b64 s[52:53], s[52:53], exec
	s_and_b64 s[58:59], s[54:55], exec
	s_andn2_b64 s[50:51], s[50:51], exec
	s_and_b64 s[12:13], s[12:13], exec
	v_lshl_add_u64 v[64:65], v[64:65], 0, 1
	v_lshl_add_u64 v[66:67], v[66:67], 0, 1
	s_or_b64 s[52:53], s[52:53], s[58:59]
	s_andn2_b64 s[48:49], s[48:49], exec
	s_or_b64 s[50:51], s[50:51], s[12:13]
                                        ; implicit-def: $sgpr12_sgpr13
	s_branch .LBB10_850
.LBB10_853:
	s_or_b64 exec, exec, s[44:45]
	s_and_saveexec_b64 s[12:13], s[46:47]
	s_xor_b64 s[12:13], exec, s[12:13]
; %bb.854:
	v_cndmask_b32_e64 v65, v27, v21, s[42:43]
	v_cndmask_b32_e64 v64, v26, v20, s[42:43]
	;; [unrolled: 1-line block ×4, first 2 shown]
	v_mov_b64_e32 v[26:27], v[64:65]
; %bb.855:
	s_or_b64 exec, exec, s[12:13]
.LBB10_856:
	s_or_b64 exec, exec, s[40:41]
	s_or_b64 exec, exec, s[38:39]
	s_and_saveexec_b64 s[38:39], s[26:27]
	s_cbranch_execz .LBB10_770
.LBB10_857:
	s_and_saveexec_b64 s[40:41], s[8:9]
	s_cbranch_execz .LBB10_865
; %bb.858:
	v_mad_u64_u32 v[64:65], s[12:13], v22, v6, v[8:9]
	v_mul_lo_u32 v31, v22, v7
	v_mul_lo_u32 v66, v23, v6
	v_add3_u32 v65, v66, v65, v31
	v_mad_u64_u32 v[66:67], s[12:13], v16, v6, v[8:9]
	v_mul_lo_u32 v31, v16, v7
	v_mul_lo_u32 v68, v17, v6
	v_add3_u32 v67, v68, v67, v31
	s_mov_b64 s[44:45], 0
	v_mov_b64_e32 v[68:69], v[6:7]
                                        ; implicit-def: $sgpr42_sgpr43
                                        ; implicit-def: $sgpr46_sgpr47
                                        ; implicit-def: $sgpr50_sgpr51
                                        ; implicit-def: $sgpr48_sgpr49
                                        ; implicit-def: $sgpr52_sgpr53
                                        ; implicit-def: $sgpr12_sgpr13
	s_branch .LBB10_860
.LBB10_859:                             ;   in Loop: Header=BB10_860 Depth=1
	s_or_b64 exec, exec, s[56:57]
	s_and_b64 s[56:57], exec, s[50:51]
	s_or_b64 s[44:45], s[56:57], s[44:45]
	s_andn2_b64 s[12:13], s[12:13], exec
	s_and_b64 s[56:57], s[52:53], exec
	s_or_b64 s[12:13], s[12:13], s[56:57]
	s_andn2_b64 s[46:47], s[46:47], exec
	s_and_b64 s[56:57], s[48:49], exec
	s_andn2_b64 s[42:43], s[42:43], exec
	s_and_b64 s[54:55], s[54:55], exec
	s_or_b64 s[46:47], s[46:47], s[56:57]
	s_or_b64 s[42:43], s[42:43], s[54:55]
	s_andn2_b64 exec, exec, s[44:45]
	s_cbranch_execz .LBB10_862
.LBB10_860:                             ; =>This Inner Loop Header: Depth=1
	flat_load_ubyte v31, v[66:67]
	flat_load_ubyte v70, v[64:65]
	s_andn2_b64 s[52:53], s[52:53], exec
	s_or_b64 s[48:49], s[48:49], exec
	s_or_b64 s[50:51], s[50:51], exec
	s_waitcnt vmcnt(0) lgkmcnt(0)
	v_cmp_le_u16_sdwa s[56:57], v31, v70 src0_sel:BYTE_0 src1_sel:BYTE_0
	v_cmp_lt_u16_sdwa s[54:55], v31, v70 src0_sel:BYTE_0 src1_sel:BYTE_0
	s_and_b64 s[56:57], s[56:57], s[12:13]
	v_cmp_eq_u16_sdwa s[58:59], v31, v70 src0_sel:BYTE_0 src1_sel:BYTE_0
	s_or_b64 s[54:55], s[54:55], s[56:57]
	s_and_saveexec_b64 s[56:57], s[58:59]
	s_cbranch_execz .LBB10_859
; %bb.861:                              ;   in Loop: Header=BB10_860 Depth=1
	v_lshl_add_u64 v[68:69], v[68:69], 0, -1
	v_cmp_eq_u64_e64 s[12:13], 0, v[68:69]
	s_andn2_b64 s[52:53], s[52:53], exec
	s_and_b64 s[58:59], s[54:55], exec
	s_andn2_b64 s[50:51], s[50:51], exec
	s_and_b64 s[12:13], s[12:13], exec
	v_lshl_add_u64 v[64:65], v[64:65], 0, 1
	v_lshl_add_u64 v[66:67], v[66:67], 0, 1
	s_or_b64 s[52:53], s[52:53], s[58:59]
	s_andn2_b64 s[48:49], s[48:49], exec
	s_or_b64 s[50:51], s[50:51], s[12:13]
                                        ; implicit-def: $sgpr12_sgpr13
	s_branch .LBB10_859
.LBB10_862:
	s_or_b64 exec, exec, s[44:45]
	s_and_saveexec_b64 s[12:13], s[46:47]
	s_xor_b64 s[12:13], exec, s[12:13]
; %bb.863:
	v_cndmask_b32_e64 v65, v23, v17, s[42:43]
	v_cndmask_b32_e64 v64, v22, v16, s[42:43]
	;; [unrolled: 1-line block ×4, first 2 shown]
	v_mov_b64_e32 v[22:23], v[64:65]
; %bb.864:
	s_or_b64 exec, exec, s[12:13]
.LBB10_865:
	s_or_b64 exec, exec, s[40:41]
	s_or_b64 exec, exec, s[38:39]
	s_and_saveexec_b64 s[38:39], s[28:29]
	s_cbranch_execz .LBB10_771
.LBB10_866:
	s_and_saveexec_b64 s[40:41], s[8:9]
	s_cbranch_execz .LBB10_874
; %bb.867:
	v_mad_u64_u32 v[64:65], s[12:13], v18, v6, v[8:9]
	v_mul_lo_u32 v31, v18, v7
	v_mul_lo_u32 v66, v19, v6
	v_add3_u32 v65, v66, v65, v31
	v_mad_u64_u32 v[66:67], s[12:13], v12, v6, v[8:9]
	v_mul_lo_u32 v31, v12, v7
	v_mul_lo_u32 v68, v13, v6
	v_add3_u32 v67, v68, v67, v31
	s_mov_b64 s[44:45], 0
	v_mov_b64_e32 v[68:69], v[6:7]
                                        ; implicit-def: $sgpr42_sgpr43
                                        ; implicit-def: $sgpr46_sgpr47
                                        ; implicit-def: $sgpr50_sgpr51
                                        ; implicit-def: $sgpr48_sgpr49
                                        ; implicit-def: $sgpr52_sgpr53
                                        ; implicit-def: $sgpr12_sgpr13
	s_branch .LBB10_869
.LBB10_868:                             ;   in Loop: Header=BB10_869 Depth=1
	s_or_b64 exec, exec, s[56:57]
	s_and_b64 s[56:57], exec, s[50:51]
	s_or_b64 s[44:45], s[56:57], s[44:45]
	s_andn2_b64 s[12:13], s[12:13], exec
	s_and_b64 s[56:57], s[52:53], exec
	s_or_b64 s[12:13], s[12:13], s[56:57]
	s_andn2_b64 s[46:47], s[46:47], exec
	s_and_b64 s[56:57], s[48:49], exec
	s_andn2_b64 s[42:43], s[42:43], exec
	s_and_b64 s[54:55], s[54:55], exec
	s_or_b64 s[46:47], s[46:47], s[56:57]
	s_or_b64 s[42:43], s[42:43], s[54:55]
	s_andn2_b64 exec, exec, s[44:45]
	s_cbranch_execz .LBB10_871
.LBB10_869:                             ; =>This Inner Loop Header: Depth=1
	flat_load_ubyte v31, v[66:67]
	flat_load_ubyte v70, v[64:65]
	s_andn2_b64 s[52:53], s[52:53], exec
	s_or_b64 s[48:49], s[48:49], exec
	s_or_b64 s[50:51], s[50:51], exec
	s_waitcnt vmcnt(0) lgkmcnt(0)
	v_cmp_le_u16_sdwa s[56:57], v31, v70 src0_sel:BYTE_0 src1_sel:BYTE_0
	v_cmp_lt_u16_sdwa s[54:55], v31, v70 src0_sel:BYTE_0 src1_sel:BYTE_0
	s_and_b64 s[56:57], s[56:57], s[12:13]
	v_cmp_eq_u16_sdwa s[58:59], v31, v70 src0_sel:BYTE_0 src1_sel:BYTE_0
	s_or_b64 s[54:55], s[54:55], s[56:57]
	s_and_saveexec_b64 s[56:57], s[58:59]
	s_cbranch_execz .LBB10_868
; %bb.870:                              ;   in Loop: Header=BB10_869 Depth=1
	v_lshl_add_u64 v[68:69], v[68:69], 0, -1
	v_cmp_eq_u64_e64 s[12:13], 0, v[68:69]
	s_andn2_b64 s[52:53], s[52:53], exec
	s_and_b64 s[58:59], s[54:55], exec
	s_andn2_b64 s[50:51], s[50:51], exec
	s_and_b64 s[12:13], s[12:13], exec
	v_lshl_add_u64 v[64:65], v[64:65], 0, 1
	v_lshl_add_u64 v[66:67], v[66:67], 0, 1
	s_or_b64 s[52:53], s[52:53], s[58:59]
	s_andn2_b64 s[48:49], s[48:49], exec
	s_or_b64 s[50:51], s[50:51], s[12:13]
                                        ; implicit-def: $sgpr12_sgpr13
	s_branch .LBB10_868
.LBB10_871:
	s_or_b64 exec, exec, s[44:45]
	s_and_saveexec_b64 s[12:13], s[46:47]
	s_xor_b64 s[12:13], exec, s[12:13]
; %bb.872:
	v_cndmask_b32_e64 v65, v19, v13, s[42:43]
	v_cndmask_b32_e64 v64, v18, v12, s[42:43]
	;; [unrolled: 1-line block ×4, first 2 shown]
	v_mov_b64_e32 v[18:19], v[64:65]
; %bb.873:
	s_or_b64 exec, exec, s[12:13]
.LBB10_874:
	s_or_b64 exec, exec, s[40:41]
	s_or_b64 exec, exec, s[38:39]
	s_and_saveexec_b64 s[38:39], s[16:17]
	s_cbranch_execz .LBB10_772
.LBB10_875:
	s_and_saveexec_b64 s[40:41], s[8:9]
	s_cbranch_execz .LBB10_883
; %bb.876:
	v_mad_u64_u32 v[64:65], s[12:13], v24, v6, v[8:9]
	v_mul_lo_u32 v31, v24, v7
	v_mul_lo_u32 v66, v25, v6
	v_add3_u32 v65, v66, v65, v31
	v_mad_u64_u32 v[66:67], s[12:13], v26, v6, v[8:9]
	v_mul_lo_u32 v31, v26, v7
	v_mul_lo_u32 v68, v27, v6
	v_add3_u32 v67, v68, v67, v31
	s_mov_b64 s[44:45], 0
	v_mov_b64_e32 v[68:69], v[6:7]
                                        ; implicit-def: $sgpr42_sgpr43
                                        ; implicit-def: $sgpr46_sgpr47
                                        ; implicit-def: $sgpr50_sgpr51
                                        ; implicit-def: $sgpr48_sgpr49
                                        ; implicit-def: $sgpr52_sgpr53
                                        ; implicit-def: $sgpr12_sgpr13
	s_branch .LBB10_878
.LBB10_877:                             ;   in Loop: Header=BB10_878 Depth=1
	s_or_b64 exec, exec, s[56:57]
	s_and_b64 s[56:57], exec, s[50:51]
	s_or_b64 s[44:45], s[56:57], s[44:45]
	s_andn2_b64 s[12:13], s[12:13], exec
	s_and_b64 s[56:57], s[52:53], exec
	s_or_b64 s[12:13], s[12:13], s[56:57]
	s_andn2_b64 s[46:47], s[46:47], exec
	s_and_b64 s[56:57], s[48:49], exec
	s_andn2_b64 s[42:43], s[42:43], exec
	s_and_b64 s[54:55], s[54:55], exec
	s_or_b64 s[46:47], s[46:47], s[56:57]
	s_or_b64 s[42:43], s[42:43], s[54:55]
	s_andn2_b64 exec, exec, s[44:45]
	s_cbranch_execz .LBB10_880
.LBB10_878:                             ; =>This Inner Loop Header: Depth=1
	flat_load_ubyte v31, v[66:67]
	flat_load_ubyte v70, v[64:65]
	s_andn2_b64 s[52:53], s[52:53], exec
	s_or_b64 s[48:49], s[48:49], exec
	s_or_b64 s[50:51], s[50:51], exec
	s_waitcnt vmcnt(0) lgkmcnt(0)
	v_cmp_le_u16_sdwa s[56:57], v31, v70 src0_sel:BYTE_0 src1_sel:BYTE_0
	v_cmp_lt_u16_sdwa s[54:55], v31, v70 src0_sel:BYTE_0 src1_sel:BYTE_0
	s_and_b64 s[56:57], s[56:57], s[12:13]
	v_cmp_eq_u16_sdwa s[58:59], v31, v70 src0_sel:BYTE_0 src1_sel:BYTE_0
	s_or_b64 s[54:55], s[54:55], s[56:57]
	s_and_saveexec_b64 s[56:57], s[58:59]
	s_cbranch_execz .LBB10_877
; %bb.879:                              ;   in Loop: Header=BB10_878 Depth=1
	v_lshl_add_u64 v[68:69], v[68:69], 0, -1
	v_cmp_eq_u64_e64 s[12:13], 0, v[68:69]
	s_andn2_b64 s[52:53], s[52:53], exec
	s_and_b64 s[58:59], s[54:55], exec
	s_andn2_b64 s[50:51], s[50:51], exec
	s_and_b64 s[12:13], s[12:13], exec
	v_lshl_add_u64 v[64:65], v[64:65], 0, 1
	v_lshl_add_u64 v[66:67], v[66:67], 0, 1
	s_or_b64 s[52:53], s[52:53], s[58:59]
	s_andn2_b64 s[48:49], s[48:49], exec
	s_or_b64 s[50:51], s[50:51], s[12:13]
                                        ; implicit-def: $sgpr12_sgpr13
	s_branch .LBB10_877
.LBB10_880:
	s_or_b64 exec, exec, s[44:45]
	s_and_saveexec_b64 s[12:13], s[46:47]
	s_xor_b64 s[12:13], exec, s[12:13]
; %bb.881:
	v_cndmask_b32_e64 v65, v27, v25, s[42:43]
	v_cndmask_b32_e64 v64, v26, v24, s[42:43]
	;; [unrolled: 1-line block ×4, first 2 shown]
	v_mov_b64_e32 v[26:27], v[64:65]
; %bb.882:
	s_or_b64 exec, exec, s[12:13]
.LBB10_883:
	s_or_b64 exec, exec, s[40:41]
	s_or_b64 exec, exec, s[38:39]
	s_and_saveexec_b64 s[38:39], s[18:19]
	s_cbranch_execz .LBB10_773
.LBB10_884:
	s_and_saveexec_b64 s[40:41], s[8:9]
	s_cbranch_execz .LBB10_892
; %bb.885:
	v_mad_u64_u32 v[64:65], s[12:13], v20, v6, v[8:9]
	v_mul_lo_u32 v31, v20, v7
	v_mul_lo_u32 v66, v21, v6
	v_add3_u32 v65, v66, v65, v31
	v_mad_u64_u32 v[66:67], s[12:13], v22, v6, v[8:9]
	v_mul_lo_u32 v31, v22, v7
	v_mul_lo_u32 v68, v23, v6
	v_add3_u32 v67, v68, v67, v31
	s_mov_b64 s[44:45], 0
	v_mov_b64_e32 v[68:69], v[6:7]
                                        ; implicit-def: $sgpr42_sgpr43
                                        ; implicit-def: $sgpr46_sgpr47
                                        ; implicit-def: $sgpr50_sgpr51
                                        ; implicit-def: $sgpr48_sgpr49
                                        ; implicit-def: $sgpr52_sgpr53
                                        ; implicit-def: $sgpr12_sgpr13
	s_branch .LBB10_887
.LBB10_886:                             ;   in Loop: Header=BB10_887 Depth=1
	s_or_b64 exec, exec, s[56:57]
	s_and_b64 s[56:57], exec, s[50:51]
	s_or_b64 s[44:45], s[56:57], s[44:45]
	s_andn2_b64 s[12:13], s[12:13], exec
	s_and_b64 s[56:57], s[52:53], exec
	s_or_b64 s[12:13], s[12:13], s[56:57]
	s_andn2_b64 s[46:47], s[46:47], exec
	s_and_b64 s[56:57], s[48:49], exec
	s_andn2_b64 s[42:43], s[42:43], exec
	s_and_b64 s[54:55], s[54:55], exec
	s_or_b64 s[46:47], s[46:47], s[56:57]
	s_or_b64 s[42:43], s[42:43], s[54:55]
	s_andn2_b64 exec, exec, s[44:45]
	s_cbranch_execz .LBB10_889
.LBB10_887:                             ; =>This Inner Loop Header: Depth=1
	flat_load_ubyte v31, v[66:67]
	flat_load_ubyte v70, v[64:65]
	s_andn2_b64 s[52:53], s[52:53], exec
	s_or_b64 s[48:49], s[48:49], exec
	s_or_b64 s[50:51], s[50:51], exec
	s_waitcnt vmcnt(0) lgkmcnt(0)
	v_cmp_le_u16_sdwa s[56:57], v31, v70 src0_sel:BYTE_0 src1_sel:BYTE_0
	v_cmp_lt_u16_sdwa s[54:55], v31, v70 src0_sel:BYTE_0 src1_sel:BYTE_0
	s_and_b64 s[56:57], s[56:57], s[12:13]
	v_cmp_eq_u16_sdwa s[58:59], v31, v70 src0_sel:BYTE_0 src1_sel:BYTE_0
	s_or_b64 s[54:55], s[54:55], s[56:57]
	s_and_saveexec_b64 s[56:57], s[58:59]
	s_cbranch_execz .LBB10_886
; %bb.888:                              ;   in Loop: Header=BB10_887 Depth=1
	v_lshl_add_u64 v[68:69], v[68:69], 0, -1
	v_cmp_eq_u64_e64 s[12:13], 0, v[68:69]
	s_andn2_b64 s[52:53], s[52:53], exec
	s_and_b64 s[58:59], s[54:55], exec
	s_andn2_b64 s[50:51], s[50:51], exec
	s_and_b64 s[12:13], s[12:13], exec
	v_lshl_add_u64 v[64:65], v[64:65], 0, 1
	v_lshl_add_u64 v[66:67], v[66:67], 0, 1
	s_or_b64 s[52:53], s[52:53], s[58:59]
	s_andn2_b64 s[48:49], s[48:49], exec
	s_or_b64 s[50:51], s[50:51], s[12:13]
                                        ; implicit-def: $sgpr12_sgpr13
	s_branch .LBB10_886
.LBB10_889:
	s_or_b64 exec, exec, s[44:45]
	s_and_saveexec_b64 s[12:13], s[46:47]
	s_xor_b64 s[12:13], exec, s[12:13]
; %bb.890:
	v_cndmask_b32_e64 v65, v21, v23, s[42:43]
	v_cndmask_b32_e64 v64, v20, v22, s[42:43]
	;; [unrolled: 1-line block ×4, first 2 shown]
	v_mov_b64_e32 v[20:21], v[64:65]
; %bb.891:
	s_or_b64 exec, exec, s[12:13]
.LBB10_892:
	s_or_b64 exec, exec, s[40:41]
	s_or_b64 exec, exec, s[38:39]
	s_and_saveexec_b64 s[38:39], s[20:21]
	s_cbranch_execz .LBB10_774
.LBB10_893:
	s_and_saveexec_b64 s[40:41], s[8:9]
	s_cbranch_execz .LBB10_901
; %bb.894:
	v_mad_u64_u32 v[64:65], s[12:13], v16, v6, v[8:9]
	v_mul_lo_u32 v31, v16, v7
	v_mul_lo_u32 v66, v17, v6
	v_add3_u32 v65, v66, v65, v31
	v_mad_u64_u32 v[66:67], s[12:13], v18, v6, v[8:9]
	v_mul_lo_u32 v31, v18, v7
	v_mul_lo_u32 v68, v19, v6
	v_add3_u32 v67, v68, v67, v31
	s_mov_b64 s[44:45], 0
	v_mov_b64_e32 v[68:69], v[6:7]
                                        ; implicit-def: $sgpr42_sgpr43
                                        ; implicit-def: $sgpr46_sgpr47
                                        ; implicit-def: $sgpr50_sgpr51
                                        ; implicit-def: $sgpr48_sgpr49
                                        ; implicit-def: $sgpr52_sgpr53
                                        ; implicit-def: $sgpr12_sgpr13
	s_branch .LBB10_896
.LBB10_895:                             ;   in Loop: Header=BB10_896 Depth=1
	s_or_b64 exec, exec, s[56:57]
	s_and_b64 s[56:57], exec, s[50:51]
	s_or_b64 s[44:45], s[56:57], s[44:45]
	s_andn2_b64 s[12:13], s[12:13], exec
	s_and_b64 s[56:57], s[52:53], exec
	s_or_b64 s[12:13], s[12:13], s[56:57]
	s_andn2_b64 s[46:47], s[46:47], exec
	s_and_b64 s[56:57], s[48:49], exec
	s_andn2_b64 s[42:43], s[42:43], exec
	s_and_b64 s[54:55], s[54:55], exec
	s_or_b64 s[46:47], s[46:47], s[56:57]
	s_or_b64 s[42:43], s[42:43], s[54:55]
	s_andn2_b64 exec, exec, s[44:45]
	s_cbranch_execz .LBB10_898
.LBB10_896:                             ; =>This Inner Loop Header: Depth=1
	flat_load_ubyte v31, v[66:67]
	flat_load_ubyte v70, v[64:65]
	s_andn2_b64 s[52:53], s[52:53], exec
	s_or_b64 s[48:49], s[48:49], exec
	s_or_b64 s[50:51], s[50:51], exec
	s_waitcnt vmcnt(0) lgkmcnt(0)
	v_cmp_le_u16_sdwa s[56:57], v31, v70 src0_sel:BYTE_0 src1_sel:BYTE_0
	v_cmp_lt_u16_sdwa s[54:55], v31, v70 src0_sel:BYTE_0 src1_sel:BYTE_0
	s_and_b64 s[56:57], s[56:57], s[12:13]
	v_cmp_eq_u16_sdwa s[58:59], v31, v70 src0_sel:BYTE_0 src1_sel:BYTE_0
	s_or_b64 s[54:55], s[54:55], s[56:57]
	s_and_saveexec_b64 s[56:57], s[58:59]
	s_cbranch_execz .LBB10_895
; %bb.897:                              ;   in Loop: Header=BB10_896 Depth=1
	v_lshl_add_u64 v[68:69], v[68:69], 0, -1
	v_cmp_eq_u64_e64 s[12:13], 0, v[68:69]
	s_andn2_b64 s[52:53], s[52:53], exec
	s_and_b64 s[58:59], s[54:55], exec
	s_andn2_b64 s[50:51], s[50:51], exec
	s_and_b64 s[12:13], s[12:13], exec
	v_lshl_add_u64 v[64:65], v[64:65], 0, 1
	v_lshl_add_u64 v[66:67], v[66:67], 0, 1
	s_or_b64 s[52:53], s[52:53], s[58:59]
	s_andn2_b64 s[48:49], s[48:49], exec
	s_or_b64 s[50:51], s[50:51], s[12:13]
                                        ; implicit-def: $sgpr12_sgpr13
	s_branch .LBB10_895
.LBB10_898:
	s_or_b64 exec, exec, s[44:45]
	s_and_saveexec_b64 s[12:13], s[46:47]
	s_xor_b64 s[12:13], exec, s[12:13]
; %bb.899:
	v_cndmask_b32_e64 v65, v17, v19, s[42:43]
	v_cndmask_b32_e64 v64, v16, v18, s[42:43]
	;; [unrolled: 1-line block ×4, first 2 shown]
	v_mov_b64_e32 v[16:17], v[64:65]
; %bb.900:
	s_or_b64 exec, exec, s[12:13]
.LBB10_901:
	s_or_b64 exec, exec, s[40:41]
	s_or_b64 exec, exec, s[38:39]
	s_and_saveexec_b64 s[38:39], s[22:23]
	s_cbranch_execz .LBB10_775
.LBB10_902:
	s_and_saveexec_b64 s[40:41], s[8:9]
	s_cbranch_execz .LBB10_910
; %bb.903:
	v_mad_u64_u32 v[64:65], s[12:13], v12, v6, v[8:9]
	v_mul_lo_u32 v31, v12, v7
	v_mul_lo_u32 v66, v13, v6
	v_add3_u32 v65, v66, v65, v31
	v_mad_u64_u32 v[66:67], s[12:13], v14, v6, v[8:9]
	v_mul_lo_u32 v31, v14, v7
	v_mul_lo_u32 v68, v15, v6
	v_add3_u32 v67, v68, v67, v31
	s_mov_b64 s[44:45], 0
	v_mov_b64_e32 v[68:69], v[6:7]
                                        ; implicit-def: $sgpr42_sgpr43
                                        ; implicit-def: $sgpr46_sgpr47
                                        ; implicit-def: $sgpr50_sgpr51
                                        ; implicit-def: $sgpr48_sgpr49
                                        ; implicit-def: $sgpr52_sgpr53
                                        ; implicit-def: $sgpr12_sgpr13
	s_branch .LBB10_905
.LBB10_904:                             ;   in Loop: Header=BB10_905 Depth=1
	s_or_b64 exec, exec, s[56:57]
	s_and_b64 s[56:57], exec, s[50:51]
	s_or_b64 s[44:45], s[56:57], s[44:45]
	s_andn2_b64 s[12:13], s[12:13], exec
	s_and_b64 s[56:57], s[52:53], exec
	s_or_b64 s[12:13], s[12:13], s[56:57]
	s_andn2_b64 s[46:47], s[46:47], exec
	s_and_b64 s[56:57], s[48:49], exec
	s_andn2_b64 s[42:43], s[42:43], exec
	s_and_b64 s[54:55], s[54:55], exec
	s_or_b64 s[46:47], s[46:47], s[56:57]
	s_or_b64 s[42:43], s[42:43], s[54:55]
	s_andn2_b64 exec, exec, s[44:45]
	s_cbranch_execz .LBB10_907
.LBB10_905:                             ; =>This Inner Loop Header: Depth=1
	flat_load_ubyte v31, v[66:67]
	flat_load_ubyte v70, v[64:65]
	s_andn2_b64 s[52:53], s[52:53], exec
	s_or_b64 s[48:49], s[48:49], exec
	s_or_b64 s[50:51], s[50:51], exec
	s_waitcnt vmcnt(0) lgkmcnt(0)
	v_cmp_le_u16_sdwa s[56:57], v31, v70 src0_sel:BYTE_0 src1_sel:BYTE_0
	v_cmp_lt_u16_sdwa s[54:55], v31, v70 src0_sel:BYTE_0 src1_sel:BYTE_0
	s_and_b64 s[56:57], s[56:57], s[12:13]
	v_cmp_eq_u16_sdwa s[58:59], v31, v70 src0_sel:BYTE_0 src1_sel:BYTE_0
	s_or_b64 s[54:55], s[54:55], s[56:57]
	s_and_saveexec_b64 s[56:57], s[58:59]
	s_cbranch_execz .LBB10_904
; %bb.906:                              ;   in Loop: Header=BB10_905 Depth=1
	v_lshl_add_u64 v[68:69], v[68:69], 0, -1
	v_cmp_eq_u64_e64 s[12:13], 0, v[68:69]
	s_andn2_b64 s[52:53], s[52:53], exec
	s_and_b64 s[58:59], s[54:55], exec
	s_andn2_b64 s[50:51], s[50:51], exec
	s_and_b64 s[12:13], s[12:13], exec
	v_lshl_add_u64 v[64:65], v[64:65], 0, 1
	v_lshl_add_u64 v[66:67], v[66:67], 0, 1
	s_or_b64 s[52:53], s[52:53], s[58:59]
	s_andn2_b64 s[48:49], s[48:49], exec
	s_or_b64 s[50:51], s[50:51], s[12:13]
                                        ; implicit-def: $sgpr12_sgpr13
	s_branch .LBB10_904
.LBB10_907:
	s_or_b64 exec, exec, s[44:45]
	s_and_saveexec_b64 s[12:13], s[46:47]
	s_xor_b64 s[12:13], exec, s[12:13]
; %bb.908:
	v_cndmask_b32_e64 v65, v13, v15, s[42:43]
	v_cndmask_b32_e64 v64, v12, v14, s[42:43]
	;; [unrolled: 1-line block ×4, first 2 shown]
	v_mov_b64_e32 v[12:13], v[64:65]
; %bb.909:
	s_or_b64 exec, exec, s[12:13]
.LBB10_910:
	s_or_b64 exec, exec, s[40:41]
	s_or_b64 exec, exec, s[38:39]
	s_and_saveexec_b64 s[38:39], s[24:25]
	s_cbranch_execz .LBB10_776
.LBB10_911:
	s_and_saveexec_b64 s[40:41], s[8:9]
	s_cbranch_execz .LBB10_919
; %bb.912:
	v_mad_u64_u32 v[64:65], s[12:13], v26, v6, v[8:9]
	v_mul_lo_u32 v31, v26, v7
	v_mul_lo_u32 v66, v27, v6
	v_add3_u32 v65, v66, v65, v31
	v_mad_u64_u32 v[66:67], s[12:13], v20, v6, v[8:9]
	v_mul_lo_u32 v31, v20, v7
	v_mul_lo_u32 v68, v21, v6
	v_add3_u32 v67, v68, v67, v31
	s_mov_b64 s[44:45], 0
	v_mov_b64_e32 v[68:69], v[6:7]
                                        ; implicit-def: $sgpr42_sgpr43
                                        ; implicit-def: $sgpr46_sgpr47
                                        ; implicit-def: $sgpr50_sgpr51
                                        ; implicit-def: $sgpr48_sgpr49
                                        ; implicit-def: $sgpr52_sgpr53
                                        ; implicit-def: $sgpr12_sgpr13
	s_branch .LBB10_914
.LBB10_913:                             ;   in Loop: Header=BB10_914 Depth=1
	s_or_b64 exec, exec, s[56:57]
	s_and_b64 s[56:57], exec, s[50:51]
	s_or_b64 s[44:45], s[56:57], s[44:45]
	s_andn2_b64 s[12:13], s[12:13], exec
	s_and_b64 s[56:57], s[52:53], exec
	s_or_b64 s[12:13], s[12:13], s[56:57]
	s_andn2_b64 s[46:47], s[46:47], exec
	s_and_b64 s[56:57], s[48:49], exec
	s_andn2_b64 s[42:43], s[42:43], exec
	s_and_b64 s[54:55], s[54:55], exec
	s_or_b64 s[46:47], s[46:47], s[56:57]
	s_or_b64 s[42:43], s[42:43], s[54:55]
	s_andn2_b64 exec, exec, s[44:45]
	s_cbranch_execz .LBB10_916
.LBB10_914:                             ; =>This Inner Loop Header: Depth=1
	flat_load_ubyte v31, v[66:67]
	flat_load_ubyte v70, v[64:65]
	s_andn2_b64 s[52:53], s[52:53], exec
	s_or_b64 s[48:49], s[48:49], exec
	s_or_b64 s[50:51], s[50:51], exec
	s_waitcnt vmcnt(0) lgkmcnt(0)
	v_cmp_le_u16_sdwa s[56:57], v31, v70 src0_sel:BYTE_0 src1_sel:BYTE_0
	v_cmp_lt_u16_sdwa s[54:55], v31, v70 src0_sel:BYTE_0 src1_sel:BYTE_0
	s_and_b64 s[56:57], s[56:57], s[12:13]
	v_cmp_eq_u16_sdwa s[58:59], v31, v70 src0_sel:BYTE_0 src1_sel:BYTE_0
	s_or_b64 s[54:55], s[54:55], s[56:57]
	s_and_saveexec_b64 s[56:57], s[58:59]
	s_cbranch_execz .LBB10_913
; %bb.915:                              ;   in Loop: Header=BB10_914 Depth=1
	v_lshl_add_u64 v[68:69], v[68:69], 0, -1
	v_cmp_eq_u64_e64 s[12:13], 0, v[68:69]
	s_andn2_b64 s[52:53], s[52:53], exec
	s_and_b64 s[58:59], s[54:55], exec
	s_andn2_b64 s[50:51], s[50:51], exec
	s_and_b64 s[12:13], s[12:13], exec
	v_lshl_add_u64 v[64:65], v[64:65], 0, 1
	v_lshl_add_u64 v[66:67], v[66:67], 0, 1
	s_or_b64 s[52:53], s[52:53], s[58:59]
	s_andn2_b64 s[48:49], s[48:49], exec
	s_or_b64 s[50:51], s[50:51], s[12:13]
                                        ; implicit-def: $sgpr12_sgpr13
	s_branch .LBB10_913
.LBB10_916:
	s_or_b64 exec, exec, s[44:45]
	s_and_saveexec_b64 s[12:13], s[46:47]
	s_xor_b64 s[12:13], exec, s[12:13]
; %bb.917:
	v_cndmask_b32_e64 v65, v27, v21, s[42:43]
	v_cndmask_b32_e64 v64, v26, v20, s[42:43]
	;; [unrolled: 1-line block ×4, first 2 shown]
	v_mov_b64_e32 v[26:27], v[64:65]
; %bb.918:
	s_or_b64 exec, exec, s[12:13]
.LBB10_919:
	s_or_b64 exec, exec, s[40:41]
	s_or_b64 exec, exec, s[38:39]
	s_and_saveexec_b64 s[38:39], s[26:27]
	s_cbranch_execz .LBB10_777
.LBB10_920:
	s_and_saveexec_b64 s[40:41], s[8:9]
	s_cbranch_execz .LBB10_928
; %bb.921:
	v_mad_u64_u32 v[64:65], s[12:13], v22, v6, v[8:9]
	v_mul_lo_u32 v31, v22, v7
	v_mul_lo_u32 v66, v23, v6
	v_add3_u32 v65, v66, v65, v31
	v_mad_u64_u32 v[66:67], s[12:13], v16, v6, v[8:9]
	v_mul_lo_u32 v31, v16, v7
	v_mul_lo_u32 v68, v17, v6
	v_add3_u32 v67, v68, v67, v31
	s_mov_b64 s[44:45], 0
	v_mov_b64_e32 v[68:69], v[6:7]
                                        ; implicit-def: $sgpr42_sgpr43
                                        ; implicit-def: $sgpr46_sgpr47
                                        ; implicit-def: $sgpr50_sgpr51
                                        ; implicit-def: $sgpr48_sgpr49
                                        ; implicit-def: $sgpr52_sgpr53
                                        ; implicit-def: $sgpr12_sgpr13
	s_branch .LBB10_923
.LBB10_922:                             ;   in Loop: Header=BB10_923 Depth=1
	s_or_b64 exec, exec, s[56:57]
	s_and_b64 s[56:57], exec, s[50:51]
	s_or_b64 s[44:45], s[56:57], s[44:45]
	s_andn2_b64 s[12:13], s[12:13], exec
	s_and_b64 s[56:57], s[52:53], exec
	s_or_b64 s[12:13], s[12:13], s[56:57]
	s_andn2_b64 s[46:47], s[46:47], exec
	s_and_b64 s[56:57], s[48:49], exec
	s_andn2_b64 s[42:43], s[42:43], exec
	s_and_b64 s[54:55], s[54:55], exec
	s_or_b64 s[46:47], s[46:47], s[56:57]
	s_or_b64 s[42:43], s[42:43], s[54:55]
	s_andn2_b64 exec, exec, s[44:45]
	s_cbranch_execz .LBB10_925
.LBB10_923:                             ; =>This Inner Loop Header: Depth=1
	flat_load_ubyte v31, v[66:67]
	flat_load_ubyte v70, v[64:65]
	s_andn2_b64 s[52:53], s[52:53], exec
	s_or_b64 s[48:49], s[48:49], exec
	s_or_b64 s[50:51], s[50:51], exec
	s_waitcnt vmcnt(0) lgkmcnt(0)
	v_cmp_le_u16_sdwa s[56:57], v31, v70 src0_sel:BYTE_0 src1_sel:BYTE_0
	v_cmp_lt_u16_sdwa s[54:55], v31, v70 src0_sel:BYTE_0 src1_sel:BYTE_0
	s_and_b64 s[56:57], s[56:57], s[12:13]
	v_cmp_eq_u16_sdwa s[58:59], v31, v70 src0_sel:BYTE_0 src1_sel:BYTE_0
	s_or_b64 s[54:55], s[54:55], s[56:57]
	s_and_saveexec_b64 s[56:57], s[58:59]
	s_cbranch_execz .LBB10_922
; %bb.924:                              ;   in Loop: Header=BB10_923 Depth=1
	v_lshl_add_u64 v[68:69], v[68:69], 0, -1
	v_cmp_eq_u64_e64 s[12:13], 0, v[68:69]
	s_andn2_b64 s[52:53], s[52:53], exec
	s_and_b64 s[58:59], s[54:55], exec
	s_andn2_b64 s[50:51], s[50:51], exec
	s_and_b64 s[12:13], s[12:13], exec
	v_lshl_add_u64 v[64:65], v[64:65], 0, 1
	v_lshl_add_u64 v[66:67], v[66:67], 0, 1
	s_or_b64 s[52:53], s[52:53], s[58:59]
	s_andn2_b64 s[48:49], s[48:49], exec
	s_or_b64 s[50:51], s[50:51], s[12:13]
                                        ; implicit-def: $sgpr12_sgpr13
	s_branch .LBB10_922
.LBB10_925:
	s_or_b64 exec, exec, s[44:45]
	s_and_saveexec_b64 s[12:13], s[46:47]
	s_xor_b64 s[12:13], exec, s[12:13]
; %bb.926:
	v_cndmask_b32_e64 v65, v23, v17, s[42:43]
	v_cndmask_b32_e64 v64, v22, v16, s[42:43]
	;; [unrolled: 1-line block ×4, first 2 shown]
	v_mov_b64_e32 v[22:23], v[64:65]
; %bb.927:
	s_or_b64 exec, exec, s[12:13]
.LBB10_928:
	s_or_b64 exec, exec, s[40:41]
	s_or_b64 exec, exec, s[38:39]
	s_and_saveexec_b64 s[38:39], s[28:29]
	s_cbranch_execz .LBB10_778
.LBB10_929:
	s_and_saveexec_b64 s[40:41], s[8:9]
	s_cbranch_execz .LBB10_937
; %bb.930:
	v_mad_u64_u32 v[64:65], s[12:13], v18, v6, v[8:9]
	v_mul_lo_u32 v31, v18, v7
	v_mul_lo_u32 v66, v19, v6
	v_add3_u32 v65, v66, v65, v31
	v_mad_u64_u32 v[66:67], s[12:13], v12, v6, v[8:9]
	v_mul_lo_u32 v31, v12, v7
	v_mul_lo_u32 v68, v13, v6
	v_add3_u32 v67, v68, v67, v31
	s_mov_b64 s[44:45], 0
	v_mov_b64_e32 v[68:69], v[6:7]
                                        ; implicit-def: $sgpr42_sgpr43
                                        ; implicit-def: $sgpr46_sgpr47
                                        ; implicit-def: $sgpr50_sgpr51
                                        ; implicit-def: $sgpr48_sgpr49
                                        ; implicit-def: $sgpr52_sgpr53
                                        ; implicit-def: $sgpr12_sgpr13
	s_branch .LBB10_932
.LBB10_931:                             ;   in Loop: Header=BB10_932 Depth=1
	s_or_b64 exec, exec, s[56:57]
	s_and_b64 s[56:57], exec, s[50:51]
	s_or_b64 s[44:45], s[56:57], s[44:45]
	s_andn2_b64 s[12:13], s[12:13], exec
	s_and_b64 s[56:57], s[52:53], exec
	s_or_b64 s[12:13], s[12:13], s[56:57]
	s_andn2_b64 s[46:47], s[46:47], exec
	s_and_b64 s[56:57], s[48:49], exec
	s_andn2_b64 s[42:43], s[42:43], exec
	s_and_b64 s[54:55], s[54:55], exec
	s_or_b64 s[46:47], s[46:47], s[56:57]
	s_or_b64 s[42:43], s[42:43], s[54:55]
	s_andn2_b64 exec, exec, s[44:45]
	s_cbranch_execz .LBB10_934
.LBB10_932:                             ; =>This Inner Loop Header: Depth=1
	flat_load_ubyte v31, v[66:67]
	flat_load_ubyte v70, v[64:65]
	s_andn2_b64 s[52:53], s[52:53], exec
	s_or_b64 s[48:49], s[48:49], exec
	s_or_b64 s[50:51], s[50:51], exec
	s_waitcnt vmcnt(0) lgkmcnt(0)
	v_cmp_le_u16_sdwa s[56:57], v31, v70 src0_sel:BYTE_0 src1_sel:BYTE_0
	v_cmp_lt_u16_sdwa s[54:55], v31, v70 src0_sel:BYTE_0 src1_sel:BYTE_0
	s_and_b64 s[56:57], s[56:57], s[12:13]
	v_cmp_eq_u16_sdwa s[58:59], v31, v70 src0_sel:BYTE_0 src1_sel:BYTE_0
	s_or_b64 s[54:55], s[54:55], s[56:57]
	s_and_saveexec_b64 s[56:57], s[58:59]
	s_cbranch_execz .LBB10_931
; %bb.933:                              ;   in Loop: Header=BB10_932 Depth=1
	v_lshl_add_u64 v[68:69], v[68:69], 0, -1
	v_cmp_eq_u64_e64 s[12:13], 0, v[68:69]
	s_andn2_b64 s[52:53], s[52:53], exec
	s_and_b64 s[58:59], s[54:55], exec
	s_andn2_b64 s[50:51], s[50:51], exec
	s_and_b64 s[12:13], s[12:13], exec
	v_lshl_add_u64 v[64:65], v[64:65], 0, 1
	v_lshl_add_u64 v[66:67], v[66:67], 0, 1
	s_or_b64 s[52:53], s[52:53], s[58:59]
	s_andn2_b64 s[48:49], s[48:49], exec
	s_or_b64 s[50:51], s[50:51], s[12:13]
                                        ; implicit-def: $sgpr12_sgpr13
	s_branch .LBB10_931
.LBB10_934:
	s_or_b64 exec, exec, s[44:45]
	s_and_saveexec_b64 s[12:13], s[46:47]
	s_xor_b64 s[12:13], exec, s[12:13]
; %bb.935:
	v_cndmask_b32_e64 v65, v19, v13, s[42:43]
	v_cndmask_b32_e64 v64, v18, v12, s[42:43]
	;; [unrolled: 1-line block ×4, first 2 shown]
	v_mov_b64_e32 v[18:19], v[64:65]
; %bb.936:
	s_or_b64 exec, exec, s[12:13]
.LBB10_937:
	s_or_b64 exec, exec, s[40:41]
	s_or_b64 exec, exec, s[38:39]
	s_and_saveexec_b64 s[38:39], s[16:17]
	s_cbranch_execz .LBB10_779
.LBB10_938:
	s_and_saveexec_b64 s[16:17], s[8:9]
	s_cbranch_execz .LBB10_946
; %bb.939:
	v_mad_u64_u32 v[64:65], s[12:13], v24, v6, v[8:9]
	v_mul_lo_u32 v31, v24, v7
	v_mul_lo_u32 v66, v25, v6
	v_add3_u32 v65, v66, v65, v31
	v_mad_u64_u32 v[66:67], s[12:13], v26, v6, v[8:9]
	v_mul_lo_u32 v31, v26, v7
	v_mul_lo_u32 v68, v27, v6
	v_add3_u32 v67, v68, v67, v31
	s_mov_b64 s[42:43], 0
	v_mov_b64_e32 v[68:69], v[6:7]
                                        ; implicit-def: $sgpr40_sgpr41
                                        ; implicit-def: $sgpr44_sgpr45
                                        ; implicit-def: $sgpr48_sgpr49
                                        ; implicit-def: $sgpr46_sgpr47
                                        ; implicit-def: $sgpr50_sgpr51
                                        ; implicit-def: $sgpr12_sgpr13
	s_branch .LBB10_941
.LBB10_940:                             ;   in Loop: Header=BB10_941 Depth=1
	s_or_b64 exec, exec, s[54:55]
	s_and_b64 s[54:55], exec, s[48:49]
	s_or_b64 s[42:43], s[54:55], s[42:43]
	s_andn2_b64 s[12:13], s[12:13], exec
	s_and_b64 s[54:55], s[50:51], exec
	s_or_b64 s[12:13], s[12:13], s[54:55]
	s_andn2_b64 s[44:45], s[44:45], exec
	s_and_b64 s[54:55], s[46:47], exec
	s_andn2_b64 s[40:41], s[40:41], exec
	s_and_b64 s[52:53], s[52:53], exec
	s_or_b64 s[44:45], s[44:45], s[54:55]
	s_or_b64 s[40:41], s[40:41], s[52:53]
	s_andn2_b64 exec, exec, s[42:43]
	s_cbranch_execz .LBB10_943
.LBB10_941:                             ; =>This Inner Loop Header: Depth=1
	flat_load_ubyte v31, v[66:67]
	flat_load_ubyte v70, v[64:65]
	s_andn2_b64 s[50:51], s[50:51], exec
	s_or_b64 s[46:47], s[46:47], exec
	s_or_b64 s[48:49], s[48:49], exec
	s_waitcnt vmcnt(0) lgkmcnt(0)
	v_cmp_le_u16_sdwa s[54:55], v31, v70 src0_sel:BYTE_0 src1_sel:BYTE_0
	v_cmp_lt_u16_sdwa s[52:53], v31, v70 src0_sel:BYTE_0 src1_sel:BYTE_0
	s_and_b64 s[54:55], s[54:55], s[12:13]
	v_cmp_eq_u16_sdwa s[56:57], v31, v70 src0_sel:BYTE_0 src1_sel:BYTE_0
	s_or_b64 s[52:53], s[52:53], s[54:55]
	s_and_saveexec_b64 s[54:55], s[56:57]
	s_cbranch_execz .LBB10_940
; %bb.942:                              ;   in Loop: Header=BB10_941 Depth=1
	v_lshl_add_u64 v[68:69], v[68:69], 0, -1
	v_cmp_eq_u64_e64 s[12:13], 0, v[68:69]
	s_andn2_b64 s[50:51], s[50:51], exec
	s_and_b64 s[56:57], s[52:53], exec
	s_andn2_b64 s[48:49], s[48:49], exec
	s_and_b64 s[12:13], s[12:13], exec
	v_lshl_add_u64 v[64:65], v[64:65], 0, 1
	v_lshl_add_u64 v[66:67], v[66:67], 0, 1
	s_or_b64 s[50:51], s[50:51], s[56:57]
	s_andn2_b64 s[46:47], s[46:47], exec
	s_or_b64 s[48:49], s[48:49], s[12:13]
                                        ; implicit-def: $sgpr12_sgpr13
	s_branch .LBB10_940
.LBB10_943:
	s_or_b64 exec, exec, s[42:43]
	s_and_saveexec_b64 s[12:13], s[44:45]
	s_xor_b64 s[12:13], exec, s[12:13]
; %bb.944:
	v_cndmask_b32_e64 v65, v27, v25, s[40:41]
	v_cndmask_b32_e64 v64, v26, v24, s[40:41]
	v_cndmask_b32_e64 v25, v25, v27, s[40:41]
	v_cndmask_b32_e64 v24, v24, v26, s[40:41]
	v_mov_b64_e32 v[26:27], v[64:65]
; %bb.945:
	s_or_b64 exec, exec, s[12:13]
.LBB10_946:
	s_or_b64 exec, exec, s[16:17]
	s_or_b64 exec, exec, s[38:39]
	s_and_saveexec_b64 s[16:17], s[18:19]
	s_cbranch_execz .LBB10_780
.LBB10_947:
	s_and_saveexec_b64 s[18:19], s[8:9]
	s_cbranch_execz .LBB10_955
; %bb.948:
	v_mad_u64_u32 v[64:65], s[12:13], v20, v6, v[8:9]
	v_mul_lo_u32 v31, v20, v7
	v_mul_lo_u32 v66, v21, v6
	v_add3_u32 v65, v66, v65, v31
	v_mad_u64_u32 v[66:67], s[12:13], v22, v6, v[8:9]
	v_mul_lo_u32 v31, v22, v7
	v_mul_lo_u32 v68, v23, v6
	v_add3_u32 v67, v68, v67, v31
	s_mov_b64 s[40:41], 0
	v_mov_b64_e32 v[68:69], v[6:7]
                                        ; implicit-def: $sgpr38_sgpr39
                                        ; implicit-def: $sgpr42_sgpr43
                                        ; implicit-def: $sgpr46_sgpr47
                                        ; implicit-def: $sgpr44_sgpr45
                                        ; implicit-def: $sgpr48_sgpr49
                                        ; implicit-def: $sgpr12_sgpr13
	s_branch .LBB10_950
.LBB10_949:                             ;   in Loop: Header=BB10_950 Depth=1
	s_or_b64 exec, exec, s[52:53]
	s_and_b64 s[52:53], exec, s[46:47]
	s_or_b64 s[40:41], s[52:53], s[40:41]
	s_andn2_b64 s[12:13], s[12:13], exec
	s_and_b64 s[52:53], s[48:49], exec
	s_or_b64 s[12:13], s[12:13], s[52:53]
	s_andn2_b64 s[42:43], s[42:43], exec
	s_and_b64 s[52:53], s[44:45], exec
	s_andn2_b64 s[38:39], s[38:39], exec
	s_and_b64 s[50:51], s[50:51], exec
	s_or_b64 s[42:43], s[42:43], s[52:53]
	s_or_b64 s[38:39], s[38:39], s[50:51]
	s_andn2_b64 exec, exec, s[40:41]
	s_cbranch_execz .LBB10_952
.LBB10_950:                             ; =>This Inner Loop Header: Depth=1
	flat_load_ubyte v31, v[66:67]
	flat_load_ubyte v70, v[64:65]
	s_andn2_b64 s[48:49], s[48:49], exec
	s_or_b64 s[44:45], s[44:45], exec
	s_or_b64 s[46:47], s[46:47], exec
	s_waitcnt vmcnt(0) lgkmcnt(0)
	v_cmp_le_u16_sdwa s[52:53], v31, v70 src0_sel:BYTE_0 src1_sel:BYTE_0
	v_cmp_lt_u16_sdwa s[50:51], v31, v70 src0_sel:BYTE_0 src1_sel:BYTE_0
	s_and_b64 s[52:53], s[52:53], s[12:13]
	v_cmp_eq_u16_sdwa s[54:55], v31, v70 src0_sel:BYTE_0 src1_sel:BYTE_0
	s_or_b64 s[50:51], s[50:51], s[52:53]
	s_and_saveexec_b64 s[52:53], s[54:55]
	s_cbranch_execz .LBB10_949
; %bb.951:                              ;   in Loop: Header=BB10_950 Depth=1
	v_lshl_add_u64 v[68:69], v[68:69], 0, -1
	v_cmp_eq_u64_e64 s[12:13], 0, v[68:69]
	s_andn2_b64 s[48:49], s[48:49], exec
	s_and_b64 s[54:55], s[50:51], exec
	s_andn2_b64 s[46:47], s[46:47], exec
	s_and_b64 s[12:13], s[12:13], exec
	v_lshl_add_u64 v[64:65], v[64:65], 0, 1
	v_lshl_add_u64 v[66:67], v[66:67], 0, 1
	s_or_b64 s[48:49], s[48:49], s[54:55]
	s_andn2_b64 s[44:45], s[44:45], exec
	s_or_b64 s[46:47], s[46:47], s[12:13]
                                        ; implicit-def: $sgpr12_sgpr13
	s_branch .LBB10_949
.LBB10_952:
	s_or_b64 exec, exec, s[40:41]
	s_and_saveexec_b64 s[12:13], s[42:43]
	s_xor_b64 s[12:13], exec, s[12:13]
; %bb.953:
	v_cndmask_b32_e64 v65, v21, v23, s[38:39]
	v_cndmask_b32_e64 v64, v20, v22, s[38:39]
	;; [unrolled: 1-line block ×4, first 2 shown]
	v_mov_b64_e32 v[20:21], v[64:65]
; %bb.954:
	s_or_b64 exec, exec, s[12:13]
.LBB10_955:
	s_or_b64 exec, exec, s[18:19]
	s_or_b64 exec, exec, s[16:17]
	s_and_saveexec_b64 s[16:17], s[20:21]
	s_cbranch_execz .LBB10_781
.LBB10_956:
	s_and_saveexec_b64 s[18:19], s[8:9]
	s_cbranch_execz .LBB10_964
; %bb.957:
	v_mad_u64_u32 v[64:65], s[12:13], v16, v6, v[8:9]
	v_mul_lo_u32 v31, v16, v7
	v_mul_lo_u32 v66, v17, v6
	v_add3_u32 v65, v66, v65, v31
	v_mad_u64_u32 v[66:67], s[12:13], v18, v6, v[8:9]
	v_mul_lo_u32 v31, v18, v7
	v_mul_lo_u32 v68, v19, v6
	v_add3_u32 v67, v68, v67, v31
	s_mov_b64 s[38:39], 0
	v_mov_b64_e32 v[68:69], v[6:7]
                                        ; implicit-def: $sgpr20_sgpr21
                                        ; implicit-def: $sgpr40_sgpr41
                                        ; implicit-def: $sgpr44_sgpr45
                                        ; implicit-def: $sgpr42_sgpr43
                                        ; implicit-def: $sgpr46_sgpr47
                                        ; implicit-def: $sgpr12_sgpr13
	s_branch .LBB10_959
.LBB10_958:                             ;   in Loop: Header=BB10_959 Depth=1
	s_or_b64 exec, exec, s[50:51]
	s_and_b64 s[50:51], exec, s[44:45]
	s_or_b64 s[38:39], s[50:51], s[38:39]
	s_andn2_b64 s[12:13], s[12:13], exec
	s_and_b64 s[50:51], s[46:47], exec
	s_or_b64 s[12:13], s[12:13], s[50:51]
	s_andn2_b64 s[40:41], s[40:41], exec
	s_and_b64 s[50:51], s[42:43], exec
	s_andn2_b64 s[20:21], s[20:21], exec
	s_and_b64 s[48:49], s[48:49], exec
	s_or_b64 s[40:41], s[40:41], s[50:51]
	s_or_b64 s[20:21], s[20:21], s[48:49]
	s_andn2_b64 exec, exec, s[38:39]
	s_cbranch_execz .LBB10_961
.LBB10_959:                             ; =>This Inner Loop Header: Depth=1
	flat_load_ubyte v31, v[66:67]
	flat_load_ubyte v70, v[64:65]
	s_andn2_b64 s[46:47], s[46:47], exec
	s_or_b64 s[42:43], s[42:43], exec
	s_or_b64 s[44:45], s[44:45], exec
	s_waitcnt vmcnt(0) lgkmcnt(0)
	v_cmp_le_u16_sdwa s[50:51], v31, v70 src0_sel:BYTE_0 src1_sel:BYTE_0
	v_cmp_lt_u16_sdwa s[48:49], v31, v70 src0_sel:BYTE_0 src1_sel:BYTE_0
	s_and_b64 s[50:51], s[50:51], s[12:13]
	v_cmp_eq_u16_sdwa s[52:53], v31, v70 src0_sel:BYTE_0 src1_sel:BYTE_0
	s_or_b64 s[48:49], s[48:49], s[50:51]
	s_and_saveexec_b64 s[50:51], s[52:53]
	s_cbranch_execz .LBB10_958
; %bb.960:                              ;   in Loop: Header=BB10_959 Depth=1
	v_lshl_add_u64 v[68:69], v[68:69], 0, -1
	v_cmp_eq_u64_e64 s[12:13], 0, v[68:69]
	s_andn2_b64 s[46:47], s[46:47], exec
	s_and_b64 s[52:53], s[48:49], exec
	s_andn2_b64 s[44:45], s[44:45], exec
	s_and_b64 s[12:13], s[12:13], exec
	v_lshl_add_u64 v[64:65], v[64:65], 0, 1
	v_lshl_add_u64 v[66:67], v[66:67], 0, 1
	s_or_b64 s[46:47], s[46:47], s[52:53]
	s_andn2_b64 s[42:43], s[42:43], exec
	s_or_b64 s[44:45], s[44:45], s[12:13]
                                        ; implicit-def: $sgpr12_sgpr13
	s_branch .LBB10_958
.LBB10_961:
	s_or_b64 exec, exec, s[38:39]
	s_and_saveexec_b64 s[12:13], s[40:41]
	s_xor_b64 s[12:13], exec, s[12:13]
; %bb.962:
	v_cndmask_b32_e64 v65, v17, v19, s[20:21]
	v_cndmask_b32_e64 v64, v16, v18, s[20:21]
	;; [unrolled: 1-line block ×4, first 2 shown]
	v_mov_b64_e32 v[16:17], v[64:65]
; %bb.963:
	s_or_b64 exec, exec, s[12:13]
.LBB10_964:
	s_or_b64 exec, exec, s[18:19]
	s_or_b64 exec, exec, s[16:17]
	s_and_saveexec_b64 s[16:17], s[22:23]
	s_cbranch_execz .LBB10_782
.LBB10_965:
	s_and_saveexec_b64 s[18:19], s[8:9]
	s_cbranch_execz .LBB10_973
; %bb.966:
	v_mad_u64_u32 v[64:65], s[12:13], v12, v6, v[8:9]
	v_mul_lo_u32 v31, v12, v7
	v_mul_lo_u32 v66, v13, v6
	v_add3_u32 v65, v66, v65, v31
	v_mad_u64_u32 v[66:67], s[12:13], v14, v6, v[8:9]
	v_mul_lo_u32 v31, v14, v7
	v_mul_lo_u32 v68, v15, v6
	v_add3_u32 v67, v68, v67, v31
	s_mov_b64 s[22:23], 0
	v_mov_b64_e32 v[68:69], v[6:7]
                                        ; implicit-def: $sgpr20_sgpr21
                                        ; implicit-def: $sgpr38_sgpr39
                                        ; implicit-def: $sgpr42_sgpr43
                                        ; implicit-def: $sgpr40_sgpr41
                                        ; implicit-def: $sgpr44_sgpr45
                                        ; implicit-def: $sgpr12_sgpr13
	s_branch .LBB10_968
.LBB10_967:                             ;   in Loop: Header=BB10_968 Depth=1
	s_or_b64 exec, exec, s[48:49]
	s_and_b64 s[48:49], exec, s[42:43]
	s_or_b64 s[22:23], s[48:49], s[22:23]
	s_andn2_b64 s[12:13], s[12:13], exec
	s_and_b64 s[48:49], s[44:45], exec
	s_or_b64 s[12:13], s[12:13], s[48:49]
	s_andn2_b64 s[38:39], s[38:39], exec
	s_and_b64 s[48:49], s[40:41], exec
	s_andn2_b64 s[20:21], s[20:21], exec
	s_and_b64 s[46:47], s[46:47], exec
	s_or_b64 s[38:39], s[38:39], s[48:49]
	s_or_b64 s[20:21], s[20:21], s[46:47]
	s_andn2_b64 exec, exec, s[22:23]
	s_cbranch_execz .LBB10_970
.LBB10_968:                             ; =>This Inner Loop Header: Depth=1
	flat_load_ubyte v31, v[66:67]
	flat_load_ubyte v70, v[64:65]
	s_andn2_b64 s[44:45], s[44:45], exec
	s_or_b64 s[40:41], s[40:41], exec
	s_or_b64 s[42:43], s[42:43], exec
	s_waitcnt vmcnt(0) lgkmcnt(0)
	v_cmp_le_u16_sdwa s[48:49], v31, v70 src0_sel:BYTE_0 src1_sel:BYTE_0
	v_cmp_lt_u16_sdwa s[46:47], v31, v70 src0_sel:BYTE_0 src1_sel:BYTE_0
	s_and_b64 s[48:49], s[48:49], s[12:13]
	v_cmp_eq_u16_sdwa s[50:51], v31, v70 src0_sel:BYTE_0 src1_sel:BYTE_0
	s_or_b64 s[46:47], s[46:47], s[48:49]
	s_and_saveexec_b64 s[48:49], s[50:51]
	s_cbranch_execz .LBB10_967
; %bb.969:                              ;   in Loop: Header=BB10_968 Depth=1
	v_lshl_add_u64 v[68:69], v[68:69], 0, -1
	v_cmp_eq_u64_e64 s[12:13], 0, v[68:69]
	s_andn2_b64 s[44:45], s[44:45], exec
	s_and_b64 s[50:51], s[46:47], exec
	s_andn2_b64 s[42:43], s[42:43], exec
	s_and_b64 s[12:13], s[12:13], exec
	v_lshl_add_u64 v[64:65], v[64:65], 0, 1
	v_lshl_add_u64 v[66:67], v[66:67], 0, 1
	s_or_b64 s[44:45], s[44:45], s[50:51]
	s_andn2_b64 s[40:41], s[40:41], exec
	s_or_b64 s[42:43], s[42:43], s[12:13]
                                        ; implicit-def: $sgpr12_sgpr13
	s_branch .LBB10_967
.LBB10_970:
	s_or_b64 exec, exec, s[22:23]
	s_and_saveexec_b64 s[12:13], s[38:39]
	s_xor_b64 s[12:13], exec, s[12:13]
; %bb.971:
	v_cndmask_b32_e64 v65, v13, v15, s[20:21]
	v_cndmask_b32_e64 v64, v12, v14, s[20:21]
	;; [unrolled: 1-line block ×4, first 2 shown]
	v_mov_b64_e32 v[12:13], v[64:65]
; %bb.972:
	s_or_b64 exec, exec, s[12:13]
.LBB10_973:
	s_or_b64 exec, exec, s[18:19]
	s_or_b64 exec, exec, s[16:17]
	s_and_saveexec_b64 s[16:17], s[24:25]
	s_cbranch_execz .LBB10_783
.LBB10_974:
	s_and_saveexec_b64 s[18:19], s[8:9]
	s_cbranch_execz .LBB10_982
; %bb.975:
	v_mad_u64_u32 v[64:65], s[12:13], v26, v6, v[8:9]
	v_mul_lo_u32 v31, v26, v7
	v_mul_lo_u32 v66, v27, v6
	v_add3_u32 v65, v66, v65, v31
	v_mad_u64_u32 v[66:67], s[12:13], v20, v6, v[8:9]
	v_mul_lo_u32 v31, v20, v7
	v_mul_lo_u32 v68, v21, v6
	v_add3_u32 v67, v68, v67, v31
	s_mov_b64 s[22:23], 0
	v_mov_b64_e32 v[68:69], v[6:7]
                                        ; implicit-def: $sgpr20_sgpr21
                                        ; implicit-def: $sgpr24_sgpr25
                                        ; implicit-def: $sgpr40_sgpr41
                                        ; implicit-def: $sgpr38_sgpr39
                                        ; implicit-def: $sgpr42_sgpr43
                                        ; implicit-def: $sgpr12_sgpr13
	s_branch .LBB10_977
.LBB10_976:                             ;   in Loop: Header=BB10_977 Depth=1
	s_or_b64 exec, exec, s[46:47]
	s_and_b64 s[46:47], exec, s[40:41]
	s_or_b64 s[22:23], s[46:47], s[22:23]
	s_andn2_b64 s[12:13], s[12:13], exec
	s_and_b64 s[46:47], s[42:43], exec
	s_or_b64 s[12:13], s[12:13], s[46:47]
	s_andn2_b64 s[24:25], s[24:25], exec
	s_and_b64 s[46:47], s[38:39], exec
	s_andn2_b64 s[20:21], s[20:21], exec
	s_and_b64 s[44:45], s[44:45], exec
	s_or_b64 s[24:25], s[24:25], s[46:47]
	s_or_b64 s[20:21], s[20:21], s[44:45]
	s_andn2_b64 exec, exec, s[22:23]
	s_cbranch_execz .LBB10_979
.LBB10_977:                             ; =>This Inner Loop Header: Depth=1
	flat_load_ubyte v31, v[66:67]
	flat_load_ubyte v70, v[64:65]
	s_andn2_b64 s[42:43], s[42:43], exec
	s_or_b64 s[38:39], s[38:39], exec
	s_or_b64 s[40:41], s[40:41], exec
	s_waitcnt vmcnt(0) lgkmcnt(0)
	v_cmp_le_u16_sdwa s[46:47], v31, v70 src0_sel:BYTE_0 src1_sel:BYTE_0
	v_cmp_lt_u16_sdwa s[44:45], v31, v70 src0_sel:BYTE_0 src1_sel:BYTE_0
	s_and_b64 s[46:47], s[46:47], s[12:13]
	v_cmp_eq_u16_sdwa s[48:49], v31, v70 src0_sel:BYTE_0 src1_sel:BYTE_0
	s_or_b64 s[44:45], s[44:45], s[46:47]
	s_and_saveexec_b64 s[46:47], s[48:49]
	s_cbranch_execz .LBB10_976
; %bb.978:                              ;   in Loop: Header=BB10_977 Depth=1
	v_lshl_add_u64 v[68:69], v[68:69], 0, -1
	v_cmp_eq_u64_e64 s[12:13], 0, v[68:69]
	s_andn2_b64 s[42:43], s[42:43], exec
	s_and_b64 s[48:49], s[44:45], exec
	s_andn2_b64 s[40:41], s[40:41], exec
	s_and_b64 s[12:13], s[12:13], exec
	v_lshl_add_u64 v[64:65], v[64:65], 0, 1
	v_lshl_add_u64 v[66:67], v[66:67], 0, 1
	s_or_b64 s[42:43], s[42:43], s[48:49]
	s_andn2_b64 s[38:39], s[38:39], exec
	s_or_b64 s[40:41], s[40:41], s[12:13]
                                        ; implicit-def: $sgpr12_sgpr13
	s_branch .LBB10_976
.LBB10_979:
	s_or_b64 exec, exec, s[22:23]
	s_and_saveexec_b64 s[12:13], s[24:25]
	s_xor_b64 s[12:13], exec, s[12:13]
; %bb.980:
	v_cndmask_b32_e64 v65, v27, v21, s[20:21]
	v_cndmask_b32_e64 v64, v26, v20, s[20:21]
	;; [unrolled: 1-line block ×4, first 2 shown]
	v_mov_b64_e32 v[26:27], v[64:65]
; %bb.981:
	s_or_b64 exec, exec, s[12:13]
.LBB10_982:
	s_or_b64 exec, exec, s[18:19]
	s_or_b64 exec, exec, s[16:17]
	s_and_saveexec_b64 s[16:17], s[26:27]
	s_cbranch_execz .LBB10_784
.LBB10_983:
	s_and_saveexec_b64 s[18:19], s[8:9]
	s_cbranch_execz .LBB10_991
; %bb.984:
	v_mad_u64_u32 v[64:65], s[12:13], v22, v6, v[8:9]
	v_mul_lo_u32 v31, v22, v7
	v_mul_lo_u32 v66, v23, v6
	v_add3_u32 v65, v66, v65, v31
	v_mad_u64_u32 v[66:67], s[12:13], v16, v6, v[8:9]
	v_mul_lo_u32 v31, v16, v7
	v_mul_lo_u32 v68, v17, v6
	v_add3_u32 v67, v68, v67, v31
	s_mov_b64 s[22:23], 0
	v_mov_b64_e32 v[68:69], v[6:7]
                                        ; implicit-def: $sgpr20_sgpr21
                                        ; implicit-def: $sgpr24_sgpr25
                                        ; implicit-def: $sgpr38_sgpr39
                                        ; implicit-def: $sgpr26_sgpr27
                                        ; implicit-def: $sgpr40_sgpr41
                                        ; implicit-def: $sgpr12_sgpr13
	s_branch .LBB10_986
.LBB10_985:                             ;   in Loop: Header=BB10_986 Depth=1
	s_or_b64 exec, exec, s[44:45]
	s_and_b64 s[44:45], exec, s[38:39]
	s_or_b64 s[22:23], s[44:45], s[22:23]
	s_andn2_b64 s[12:13], s[12:13], exec
	s_and_b64 s[44:45], s[40:41], exec
	s_or_b64 s[12:13], s[12:13], s[44:45]
	s_andn2_b64 s[24:25], s[24:25], exec
	s_and_b64 s[44:45], s[26:27], exec
	s_andn2_b64 s[20:21], s[20:21], exec
	s_and_b64 s[42:43], s[42:43], exec
	s_or_b64 s[24:25], s[24:25], s[44:45]
	s_or_b64 s[20:21], s[20:21], s[42:43]
	s_andn2_b64 exec, exec, s[22:23]
	s_cbranch_execz .LBB10_988
.LBB10_986:                             ; =>This Inner Loop Header: Depth=1
	flat_load_ubyte v31, v[66:67]
	flat_load_ubyte v70, v[64:65]
	s_andn2_b64 s[40:41], s[40:41], exec
	s_or_b64 s[26:27], s[26:27], exec
	s_or_b64 s[38:39], s[38:39], exec
	s_waitcnt vmcnt(0) lgkmcnt(0)
	v_cmp_le_u16_sdwa s[44:45], v31, v70 src0_sel:BYTE_0 src1_sel:BYTE_0
	v_cmp_lt_u16_sdwa s[42:43], v31, v70 src0_sel:BYTE_0 src1_sel:BYTE_0
	s_and_b64 s[44:45], s[44:45], s[12:13]
	v_cmp_eq_u16_sdwa s[46:47], v31, v70 src0_sel:BYTE_0 src1_sel:BYTE_0
	s_or_b64 s[42:43], s[42:43], s[44:45]
	s_and_saveexec_b64 s[44:45], s[46:47]
	s_cbranch_execz .LBB10_985
; %bb.987:                              ;   in Loop: Header=BB10_986 Depth=1
	v_lshl_add_u64 v[68:69], v[68:69], 0, -1
	v_cmp_eq_u64_e64 s[12:13], 0, v[68:69]
	s_andn2_b64 s[40:41], s[40:41], exec
	s_and_b64 s[46:47], s[42:43], exec
	s_andn2_b64 s[38:39], s[38:39], exec
	s_and_b64 s[12:13], s[12:13], exec
	v_lshl_add_u64 v[64:65], v[64:65], 0, 1
	v_lshl_add_u64 v[66:67], v[66:67], 0, 1
	s_or_b64 s[40:41], s[40:41], s[46:47]
	s_andn2_b64 s[26:27], s[26:27], exec
	s_or_b64 s[38:39], s[38:39], s[12:13]
                                        ; implicit-def: $sgpr12_sgpr13
	s_branch .LBB10_985
.LBB10_988:
	s_or_b64 exec, exec, s[22:23]
	s_and_saveexec_b64 s[12:13], s[24:25]
	s_xor_b64 s[12:13], exec, s[12:13]
; %bb.989:
	v_cndmask_b32_e64 v65, v23, v17, s[20:21]
	v_cndmask_b32_e64 v64, v22, v16, s[20:21]
	;; [unrolled: 1-line block ×4, first 2 shown]
	v_mov_b64_e32 v[22:23], v[64:65]
; %bb.990:
	s_or_b64 exec, exec, s[12:13]
.LBB10_991:
	s_or_b64 exec, exec, s[18:19]
	s_or_b64 exec, exec, s[16:17]
	s_and_saveexec_b64 s[16:17], s[28:29]
	s_cbranch_execz .LBB10_1001
.LBB10_992:
	s_and_saveexec_b64 s[18:19], s[8:9]
	s_cbranch_execz .LBB10_1000
; %bb.993:
	v_mad_u64_u32 v[64:65], s[12:13], v18, v6, v[8:9]
	v_mul_lo_u32 v31, v18, v7
	v_mul_lo_u32 v66, v19, v6
	v_add3_u32 v65, v66, v65, v31
	v_mad_u64_u32 v[66:67], s[12:13], v12, v6, v[8:9]
	v_mul_lo_u32 v31, v12, v7
	v_mul_lo_u32 v68, v13, v6
	v_add3_u32 v67, v68, v67, v31
	s_mov_b64 s[22:23], 0
	v_mov_b64_e32 v[68:69], v[6:7]
                                        ; implicit-def: $sgpr20_sgpr21
                                        ; implicit-def: $sgpr24_sgpr25
                                        ; implicit-def: $sgpr28_sgpr29
                                        ; implicit-def: $sgpr26_sgpr27
                                        ; implicit-def: $sgpr38_sgpr39
                                        ; implicit-def: $sgpr12_sgpr13
	s_branch .LBB10_995
.LBB10_994:                             ;   in Loop: Header=BB10_995 Depth=1
	s_or_b64 exec, exec, s[42:43]
	s_and_b64 s[42:43], exec, s[28:29]
	s_or_b64 s[22:23], s[42:43], s[22:23]
	s_andn2_b64 s[12:13], s[12:13], exec
	s_and_b64 s[42:43], s[38:39], exec
	s_or_b64 s[12:13], s[12:13], s[42:43]
	s_andn2_b64 s[24:25], s[24:25], exec
	s_and_b64 s[42:43], s[26:27], exec
	s_andn2_b64 s[20:21], s[20:21], exec
	s_and_b64 s[40:41], s[40:41], exec
	s_or_b64 s[24:25], s[24:25], s[42:43]
	s_or_b64 s[20:21], s[20:21], s[40:41]
	s_andn2_b64 exec, exec, s[22:23]
	s_cbranch_execz .LBB10_997
.LBB10_995:                             ; =>This Inner Loop Header: Depth=1
	flat_load_ubyte v31, v[66:67]
	flat_load_ubyte v70, v[64:65]
	s_andn2_b64 s[38:39], s[38:39], exec
	s_or_b64 s[26:27], s[26:27], exec
	s_or_b64 s[28:29], s[28:29], exec
	s_waitcnt vmcnt(0) lgkmcnt(0)
	v_cmp_le_u16_sdwa s[42:43], v31, v70 src0_sel:BYTE_0 src1_sel:BYTE_0
	v_cmp_lt_u16_sdwa s[40:41], v31, v70 src0_sel:BYTE_0 src1_sel:BYTE_0
	s_and_b64 s[42:43], s[42:43], s[12:13]
	v_cmp_eq_u16_sdwa s[44:45], v31, v70 src0_sel:BYTE_0 src1_sel:BYTE_0
	s_or_b64 s[40:41], s[40:41], s[42:43]
	s_and_saveexec_b64 s[42:43], s[44:45]
	s_cbranch_execz .LBB10_994
; %bb.996:                              ;   in Loop: Header=BB10_995 Depth=1
	v_lshl_add_u64 v[68:69], v[68:69], 0, -1
	v_cmp_eq_u64_e64 s[12:13], 0, v[68:69]
	s_andn2_b64 s[38:39], s[38:39], exec
	s_and_b64 s[44:45], s[40:41], exec
	s_andn2_b64 s[28:29], s[28:29], exec
	s_and_b64 s[12:13], s[12:13], exec
	v_lshl_add_u64 v[64:65], v[64:65], 0, 1
	v_lshl_add_u64 v[66:67], v[66:67], 0, 1
	s_or_b64 s[38:39], s[38:39], s[44:45]
	s_andn2_b64 s[26:27], s[26:27], exec
	s_or_b64 s[28:29], s[28:29], s[12:13]
                                        ; implicit-def: $sgpr12_sgpr13
	s_branch .LBB10_994
.LBB10_997:
	s_or_b64 exec, exec, s[22:23]
	s_and_saveexec_b64 s[12:13], s[24:25]
	s_xor_b64 s[12:13], exec, s[12:13]
; %bb.998:
	v_cndmask_b32_e64 v65, v19, v13, s[20:21]
	v_cndmask_b32_e64 v64, v18, v12, s[20:21]
	;; [unrolled: 1-line block ×4, first 2 shown]
	v_mov_b64_e32 v[18:19], v[64:65]
; %bb.999:
	s_or_b64 exec, exec, s[12:13]
.LBB10_1000:
	s_or_b64 exec, exec, s[18:19]
.LBB10_1001:
	s_or_b64 exec, exec, s[16:17]
	v_mbcnt_lo_u32_b32 v31, -1, 0
	v_mbcnt_hi_u32_b32 v66, -1, v31
	v_and_b32_e32 v68, 0xfffffe00, v1
	v_mov_b32_e32 v69, 0
	v_sub_u32_e64 v1, v0, v68 clamp
	v_lshl_add_u64 v[64:65], v[68:69], 3, v[10:11]
	v_lshlrev_b32_e32 v31, 3, v66
	v_lshlrev_b32_e32 v68, 6, v66
	v_lshl_add_u64 v[66:67], v[64:65], 0, v[68:69]
	v_or_b32_e32 v68, 8, v31
	v_min_u32_e32 v98, v1, v68
	v_add_u32_e32 v68, 8, v98
	v_and_b32_e32 v100, 0x3f0, v31
	v_min_u32_e32 v99, v1, v68
	v_and_b32_e32 v68, 8, v31
	v_min_u32_e32 v101, v1, v68
	v_sub_u32_e32 v68, v98, v100
	v_sub_u32_e32 v70, v99, v98
	v_sub_u32_e64 v102, v101, v70 clamp
	v_min_u32_e32 v103, v101, v68
	v_cmp_lt_u32_e64 s[12:13], v102, v103
	flat_store_dwordx4 v[66:67], v[24:27]
	flat_store_dwordx4 v[66:67], v[20:23] offset:16
	flat_store_dwordx4 v[66:67], v[16:19] offset:32
	;; [unrolled: 1-line block ×3, first 2 shown]
	; wave barrier
	s_and_saveexec_b64 s[16:17], s[12:13]
	s_cbranch_execz .LBB10_1011
; %bb.1002:
	v_lshlrev_b32_e32 v68, 3, v100
	v_lshl_add_u64 v[70:71], v[64:65], 0, v[68:69]
	v_lshlrev_b32_e32 v68, 3, v98
	v_lshl_add_u64 v[80:81], v[64:65], 0, v[68:69]
	s_mov_b64 s[18:19], 0
	s_branch .LBB10_1005
.LBB10_1003:                            ;   in Loop: Header=BB10_1005 Depth=1
	s_or_b64 exec, exec, s[22:23]
	s_and_b64 s[12:13], s[24:25], exec
.LBB10_1004:                            ;   in Loop: Header=BB10_1005 Depth=1
	s_or_b64 exec, exec, s[20:21]
	v_add_u32_e32 v68, 1, v82
	v_cndmask_b32_e64 v103, v103, v82, s[12:13]
	v_cndmask_b32_e64 v102, v68, v102, s[12:13]
	v_cmp_ge_u32_e64 s[12:13], v102, v103
	s_or_b64 s[18:19], s[12:13], s[18:19]
	s_andn2_b64 exec, exec, s[18:19]
	s_cbranch_execz .LBB10_1010
.LBB10_1005:                            ; =>This Loop Header: Depth=1
                                        ;     Child Loop BB10_1008 Depth 2
	v_add_u32_e32 v68, v103, v102
	v_lshrrev_b32_e32 v82, 1, v68
	s_mov_b64 s[12:13], 0
	s_and_saveexec_b64 s[20:21], s[8:9]
	s_cbranch_execz .LBB10_1004
; %bb.1006:                             ;   in Loop: Header=BB10_1005 Depth=1
	v_mov_b32_e32 v83, v69
	v_xad_u32 v68, v82, -1, v101
	v_lshl_add_u64 v[84:85], v[82:83], 3, v[70:71]
	v_lshl_add_u64 v[86:87], v[68:69], 3, v[80:81]
	flat_load_dwordx2 v[84:85], v[84:85]
	s_mov_b64 s[22:23], 0
	flat_load_dwordx2 v[86:87], v[86:87]
                                        ; implicit-def: $sgpr24_sgpr25
                                        ; implicit-def: $sgpr26_sgpr27
                                        ; implicit-def: $sgpr28_sgpr29
                                        ; implicit-def: $sgpr38_sgpr39
                                        ; implicit-def: $sgpr12_sgpr13
	s_waitcnt vmcnt(0) lgkmcnt(0)
	v_mul_lo_u32 v68, v84, v7
	v_mul_lo_u32 v83, v85, v6
	v_mad_u64_u32 v[84:85], s[40:41], v84, v6, v[8:9]
	v_mul_lo_u32 v96, v86, v7
	v_mul_lo_u32 v97, v87, v6
	v_mad_u64_u32 v[86:87], s[40:41], v86, v6, v[8:9]
	v_add3_u32 v85, v83, v85, v68
	v_add3_u32 v87, v97, v87, v96
	v_mov_b64_e32 v[96:97], v[6:7]
	s_branch .LBB10_1008
.LBB10_1007:                            ;   in Loop: Header=BB10_1008 Depth=2
	s_or_b64 exec, exec, s[40:41]
	s_and_b64 s[40:41], exec, s[26:27]
	s_or_b64 s[22:23], s[40:41], s[22:23]
	s_andn2_b64 s[12:13], s[12:13], exec
	s_and_b64 s[40:41], s[28:29], exec
	s_or_b64 s[12:13], s[12:13], s[40:41]
	s_andn2_b64 s[24:25], s[24:25], exec
	s_and_b64 s[40:41], s[38:39], exec
	s_or_b64 s[24:25], s[24:25], s[40:41]
	s_andn2_b64 exec, exec, s[22:23]
	s_cbranch_execz .LBB10_1003
.LBB10_1008:                            ;   Parent Loop BB10_1005 Depth=1
                                        ; =>  This Inner Loop Header: Depth=2
	flat_load_ubyte v68, v[86:87]
	flat_load_ubyte v83, v[84:85]
	s_andn2_b64 s[38:39], s[38:39], exec
	s_andn2_b64 s[28:29], s[28:29], exec
	s_or_b64 s[26:27], s[26:27], exec
	s_waitcnt vmcnt(0) lgkmcnt(0)
	v_cmp_le_u16_sdwa s[42:43], v68, v83 src0_sel:BYTE_0 src1_sel:BYTE_0
	v_cmp_lt_u16_sdwa s[40:41], v68, v83 src0_sel:BYTE_0 src1_sel:BYTE_0
	s_and_b64 s[42:43], s[42:43], s[12:13]
	s_or_b64 s[42:43], s[40:41], s[42:43]
	s_and_b64 s[40:41], s[42:43], exec
	v_cmp_eq_u16_sdwa s[44:45], v68, v83 src0_sel:BYTE_0 src1_sel:BYTE_0
	s_or_b64 s[38:39], s[38:39], s[40:41]
	s_and_saveexec_b64 s[40:41], s[44:45]
	s_cbranch_execz .LBB10_1007
; %bb.1009:                             ;   in Loop: Header=BB10_1008 Depth=2
	v_lshl_add_u64 v[96:97], v[96:97], 0, -1
	v_cmp_eq_u64_e64 s[12:13], 0, v[96:97]
	s_andn2_b64 s[28:29], s[28:29], exec
	s_and_b64 s[42:43], s[42:43], exec
	s_andn2_b64 s[26:27], s[26:27], exec
	s_and_b64 s[12:13], s[12:13], exec
	v_lshl_add_u64 v[84:85], v[84:85], 0, 1
	v_lshl_add_u64 v[86:87], v[86:87], 0, 1
	s_andn2_b64 s[38:39], s[38:39], exec
	s_or_b64 s[28:29], s[28:29], s[42:43]
	s_or_b64 s[26:27], s[26:27], s[12:13]
                                        ; implicit-def: $sgpr12_sgpr13
	s_branch .LBB10_1007
.LBB10_1010:
	s_or_b64 exec, exec, s[18:19]
.LBB10_1011:
	s_or_b64 exec, exec, s[16:17]
	v_add_u32_e32 v69, v98, v101
	v_add_u32_e32 v68, v102, v100
	v_sub_u32_e32 v70, v69, v102
	v_cmp_le_u32_e64 s[12:13], v68, v98
	v_cmp_le_u32_e64 s[16:17], v70, v99
	s_or_b64 s[12:13], s[12:13], s[16:17]
	s_and_saveexec_b64 s[18:19], s[12:13]
	s_cbranch_execz .LBB10_1095
; %bb.1012:
	v_cmp_ge_u32_e64 s[16:17], v68, v98
	v_cmp_lt_u32_e64 s[12:13], v68, v98
                                        ; implicit-def: $vgpr12_vgpr13
	s_and_saveexec_b64 s[20:21], s[12:13]
	s_cbranch_execz .LBB10_1014
; %bb.1013:
	v_mov_b32_e32 v69, 0
	v_lshl_add_u64 v[12:13], v[68:69], 3, v[64:65]
	flat_load_dwordx2 v[12:13], v[12:13]
.LBB10_1014:
	s_or_b64 exec, exec, s[20:21]
	v_cmp_ge_u32_e64 s[20:21], v70, v99
	v_cmp_lt_u32_e64 s[12:13], v70, v99
                                        ; implicit-def: $vgpr14_vgpr15
	s_and_saveexec_b64 s[22:23], s[12:13]
	s_cbranch_execz .LBB10_1016
; %bb.1015:
	v_mov_b32_e32 v71, 0
	v_lshl_add_u64 v[14:15], v[70:71], 3, v[64:65]
	flat_load_dwordx2 v[14:15], v[14:15]
.LBB10_1016:
	s_or_b64 exec, exec, s[22:23]
	s_or_b64 s[12:13], s[16:17], s[20:21]
	s_xor_b64 s[12:13], s[12:13], -1
	s_and_saveexec_b64 s[16:17], s[12:13]
	s_cbranch_execz .LBB10_1024
; %bb.1017:
	s_mov_b64 s[12:13], 0
	s_and_saveexec_b64 s[22:23], s[8:9]
	s_cbranch_execz .LBB10_1023
; %bb.1018:
	s_waitcnt vmcnt(0) lgkmcnt(0)
	v_mad_u64_u32 v[16:17], s[12:13], v12, v6, v[8:9]
	v_mul_lo_u32 v18, v12, v7
	v_mul_lo_u32 v19, v13, v6
	v_add3_u32 v17, v19, v17, v18
	v_mad_u64_u32 v[18:19], s[12:13], v14, v6, v[8:9]
	v_mul_lo_u32 v20, v14, v7
	v_mul_lo_u32 v21, v15, v6
	v_add3_u32 v19, v21, v19, v20
	s_mov_b64 s[24:25], 0
	v_mov_b64_e32 v[20:21], v[6:7]
                                        ; implicit-def: $sgpr26_sgpr27
                                        ; implicit-def: $sgpr28_sgpr29
                                        ; implicit-def: $sgpr38_sgpr39
                                        ; implicit-def: $sgpr40_sgpr41
                                        ; implicit-def: $sgpr12_sgpr13
	s_branch .LBB10_1020
.LBB10_1019:                            ;   in Loop: Header=BB10_1020 Depth=1
	s_or_b64 exec, exec, s[42:43]
	s_and_b64 s[42:43], exec, s[28:29]
	s_or_b64 s[24:25], s[42:43], s[24:25]
	s_andn2_b64 s[12:13], s[12:13], exec
	s_and_b64 s[42:43], s[38:39], exec
	s_or_b64 s[12:13], s[12:13], s[42:43]
	s_andn2_b64 s[26:27], s[26:27], exec
	s_and_b64 s[42:43], s[40:41], exec
	s_or_b64 s[26:27], s[26:27], s[42:43]
	s_andn2_b64 exec, exec, s[24:25]
	s_cbranch_execz .LBB10_1022
.LBB10_1020:                            ; =>This Inner Loop Header: Depth=1
	flat_load_ubyte v22, v[18:19]
	flat_load_ubyte v23, v[16:17]
	s_andn2_b64 s[40:41], s[40:41], exec
	s_andn2_b64 s[38:39], s[38:39], exec
	s_or_b64 s[28:29], s[28:29], exec
	s_waitcnt vmcnt(0) lgkmcnt(0)
	v_cmp_le_u16_sdwa s[44:45], v22, v23 src0_sel:BYTE_0 src1_sel:BYTE_0
	v_cmp_lt_u16_sdwa s[42:43], v22, v23 src0_sel:BYTE_0 src1_sel:BYTE_0
	s_and_b64 s[44:45], s[44:45], s[12:13]
	s_or_b64 s[44:45], s[42:43], s[44:45]
	s_and_b64 s[42:43], s[44:45], exec
	v_cmp_eq_u16_sdwa s[46:47], v22, v23 src0_sel:BYTE_0 src1_sel:BYTE_0
	s_or_b64 s[40:41], s[40:41], s[42:43]
	s_and_saveexec_b64 s[42:43], s[46:47]
	s_cbranch_execz .LBB10_1019
; %bb.1021:                             ;   in Loop: Header=BB10_1020 Depth=1
	v_lshl_add_u64 v[20:21], v[20:21], 0, -1
	v_cmp_eq_u64_e64 s[12:13], 0, v[20:21]
	s_andn2_b64 s[38:39], s[38:39], exec
	s_and_b64 s[44:45], s[44:45], exec
	s_andn2_b64 s[28:29], s[28:29], exec
	s_and_b64 s[12:13], s[12:13], exec
	v_lshl_add_u64 v[16:17], v[16:17], 0, 1
	v_lshl_add_u64 v[18:19], v[18:19], 0, 1
	s_andn2_b64 s[40:41], s[40:41], exec
	s_or_b64 s[38:39], s[38:39], s[44:45]
	s_or_b64 s[28:29], s[28:29], s[12:13]
                                        ; implicit-def: $sgpr12_sgpr13
	s_branch .LBB10_1019
.LBB10_1022:
	s_or_b64 exec, exec, s[24:25]
	s_and_b64 s[12:13], s[26:27], exec
.LBB10_1023:
	s_or_b64 exec, exec, s[22:23]
	s_xor_b64 s[12:13], s[12:13], -1
	s_andn2_b64 s[20:21], s[20:21], exec
	s_and_b64 s[12:13], s[12:13], exec
	s_or_b64 s[20:21], s[20:21], s[12:13]
.LBB10_1024:
	s_or_b64 exec, exec, s[16:17]
	v_cndmask_b32_e64 v16, v70, v68, s[20:21]
	v_cndmask_b32_e64 v17, v99, v98, s[20:21]
	v_add_u32_e32 v20, 1, v16
	v_add_u32_e32 v16, -1, v17
	v_min_u32_e32 v16, v20, v16
	v_mov_b32_e32 v17, 0
	v_lshl_add_u64 v[18:19], v[16:17], 3, v[64:65]
	flat_load_dwordx2 v[18:19], v[18:19]
	v_cndmask_b32_e64 v27, v20, v70, s[20:21]
	s_mov_b64 s[16:17], -1
	v_cndmask_b32_e64 v68, v68, v20, s[20:21]
	v_cmp_lt_u32_e64 s[12:13], v27, v99
	s_mov_b64 s[22:23], -1
	s_waitcnt vmcnt(0) lgkmcnt(0)
	v_cndmask_b32_e64 v24, v19, v15, s[20:21]
	v_cndmask_b32_e64 v25, v18, v14, s[20:21]
	v_cndmask_b32_e64 v26, v13, v19, s[20:21]
	v_cndmask_b32_e64 v70, v12, v18, s[20:21]
	s_and_saveexec_b64 s[24:25], s[12:13]
	s_cbranch_execz .LBB10_1034
; %bb.1025:
	v_cmp_lt_u32_e64 s[12:13], v68, v98
	s_mov_b64 s[26:27], 0
	s_and_saveexec_b64 s[22:23], s[12:13]
	s_cbranch_execz .LBB10_1033
; %bb.1026:
	s_mov_b64 s[12:13], 0
	s_and_saveexec_b64 s[26:27], s[8:9]
	s_cbranch_execz .LBB10_1032
; %bb.1027:
	v_mad_u64_u32 v[18:19], s[12:13], v70, v6, v[8:9]
	v_mul_lo_u32 v16, v70, v7
	v_mul_lo_u32 v20, v26, v6
	v_add3_u32 v19, v20, v19, v16
	v_mad_u64_u32 v[20:21], s[12:13], v25, v6, v[8:9]
	v_mul_lo_u32 v16, v25, v7
	v_mul_lo_u32 v22, v24, v6
	v_add3_u32 v21, v22, v21, v16
	s_mov_b64 s[28:29], 0
	v_mov_b64_e32 v[22:23], v[6:7]
                                        ; implicit-def: $sgpr38_sgpr39
                                        ; implicit-def: $sgpr40_sgpr41
                                        ; implicit-def: $sgpr42_sgpr43
                                        ; implicit-def: $sgpr44_sgpr45
                                        ; implicit-def: $sgpr12_sgpr13
	s_branch .LBB10_1029
.LBB10_1028:                            ;   in Loop: Header=BB10_1029 Depth=1
	s_or_b64 exec, exec, s[46:47]
	s_and_b64 s[46:47], exec, s[40:41]
	s_or_b64 s[28:29], s[46:47], s[28:29]
	s_andn2_b64 s[12:13], s[12:13], exec
	s_and_b64 s[46:47], s[42:43], exec
	s_or_b64 s[12:13], s[12:13], s[46:47]
	s_andn2_b64 s[38:39], s[38:39], exec
	s_and_b64 s[46:47], s[44:45], exec
	s_or_b64 s[38:39], s[38:39], s[46:47]
	s_andn2_b64 exec, exec, s[28:29]
	s_cbranch_execz .LBB10_1031
.LBB10_1029:                            ; =>This Inner Loop Header: Depth=1
	flat_load_ubyte v16, v[20:21]
	flat_load_ubyte v69, v[18:19]
	s_andn2_b64 s[44:45], s[44:45], exec
	s_andn2_b64 s[42:43], s[42:43], exec
	s_or_b64 s[40:41], s[40:41], exec
	s_waitcnt vmcnt(0) lgkmcnt(0)
	v_cmp_le_u16_sdwa s[48:49], v16, v69 src0_sel:BYTE_0 src1_sel:BYTE_0
	v_cmp_lt_u16_sdwa s[46:47], v16, v69 src0_sel:BYTE_0 src1_sel:BYTE_0
	s_and_b64 s[48:49], s[48:49], s[12:13]
	s_or_b64 s[48:49], s[46:47], s[48:49]
	s_and_b64 s[46:47], s[48:49], exec
	v_cmp_eq_u16_sdwa s[50:51], v16, v69 src0_sel:BYTE_0 src1_sel:BYTE_0
	s_or_b64 s[44:45], s[44:45], s[46:47]
	s_and_saveexec_b64 s[46:47], s[50:51]
	s_cbranch_execz .LBB10_1028
; %bb.1030:                             ;   in Loop: Header=BB10_1029 Depth=1
	v_lshl_add_u64 v[22:23], v[22:23], 0, -1
	v_cmp_eq_u64_e64 s[12:13], 0, v[22:23]
	s_andn2_b64 s[42:43], s[42:43], exec
	s_and_b64 s[48:49], s[48:49], exec
	s_andn2_b64 s[40:41], s[40:41], exec
	s_and_b64 s[12:13], s[12:13], exec
	v_lshl_add_u64 v[18:19], v[18:19], 0, 1
	v_lshl_add_u64 v[20:21], v[20:21], 0, 1
	s_andn2_b64 s[44:45], s[44:45], exec
	s_or_b64 s[42:43], s[42:43], s[48:49]
	s_or_b64 s[40:41], s[40:41], s[12:13]
                                        ; implicit-def: $sgpr12_sgpr13
	s_branch .LBB10_1028
.LBB10_1031:
	s_or_b64 exec, exec, s[28:29]
	s_and_b64 s[12:13], s[38:39], exec
.LBB10_1032:
	s_or_b64 exec, exec, s[26:27]
	s_xor_b64 s[12:13], s[12:13], -1
	s_and_b64 s[26:27], s[12:13], exec
.LBB10_1033:
	s_or_b64 exec, exec, s[22:23]
	s_orn2_b64 s[22:23], s[26:27], exec
.LBB10_1034:
	s_or_b64 exec, exec, s[24:25]
	v_cndmask_b32_e64 v16, v27, v68, s[22:23]
	v_cndmask_b32_e64 v18, v99, v98, s[22:23]
	v_add_u32_e32 v19, 1, v16
	v_add_u32_e32 v16, -1, v18
	v_min_u32_e32 v16, v19, v16
	v_lshl_add_u64 v[16:17], v[16:17], 3, v[64:65]
	flat_load_dwordx2 v[16:17], v[16:17]
	v_cndmask_b32_e64 v22, v19, v27, s[22:23]
	v_cndmask_b32_e64 v23, v68, v19, s[22:23]
	v_cmp_lt_u32_e64 s[12:13], v22, v99
	s_waitcnt vmcnt(0) lgkmcnt(0)
	v_cndmask_b32_e64 v27, v17, v24, s[22:23]
	v_cndmask_b32_e64 v71, v16, v25, s[22:23]
	;; [unrolled: 1-line block ×4, first 2 shown]
	s_and_saveexec_b64 s[24:25], s[12:13]
	s_cbranch_execz .LBB10_1044
; %bb.1035:
	v_cmp_lt_u32_e64 s[12:13], v23, v98
	s_mov_b64 s[26:27], 0
	s_and_saveexec_b64 s[16:17], s[12:13]
	s_cbranch_execz .LBB10_1043
; %bb.1036:
	s_mov_b64 s[12:13], 0
	s_and_saveexec_b64 s[26:27], s[8:9]
	s_cbranch_execz .LBB10_1042
; %bb.1037:
	v_mad_u64_u32 v[16:17], s[12:13], v81, v6, v[8:9]
	v_mul_lo_u32 v18, v81, v7
	v_mul_lo_u32 v19, v80, v6
	v_add3_u32 v17, v19, v17, v18
	v_mad_u64_u32 v[18:19], s[12:13], v71, v6, v[8:9]
	v_mul_lo_u32 v20, v71, v7
	v_mul_lo_u32 v21, v27, v6
	v_add3_u32 v19, v21, v19, v20
	s_mov_b64 s[28:29], 0
	v_mov_b64_e32 v[20:21], v[6:7]
                                        ; implicit-def: $sgpr38_sgpr39
                                        ; implicit-def: $sgpr40_sgpr41
                                        ; implicit-def: $sgpr42_sgpr43
                                        ; implicit-def: $sgpr44_sgpr45
                                        ; implicit-def: $sgpr12_sgpr13
	s_branch .LBB10_1039
.LBB10_1038:                            ;   in Loop: Header=BB10_1039 Depth=1
	s_or_b64 exec, exec, s[46:47]
	s_and_b64 s[46:47], exec, s[40:41]
	s_or_b64 s[28:29], s[46:47], s[28:29]
	s_andn2_b64 s[12:13], s[12:13], exec
	s_and_b64 s[46:47], s[42:43], exec
	s_or_b64 s[12:13], s[12:13], s[46:47]
	s_andn2_b64 s[38:39], s[38:39], exec
	s_and_b64 s[46:47], s[44:45], exec
	s_or_b64 s[38:39], s[38:39], s[46:47]
	s_andn2_b64 exec, exec, s[28:29]
	s_cbranch_execz .LBB10_1041
.LBB10_1039:                            ; =>This Inner Loop Header: Depth=1
	flat_load_ubyte v68, v[18:19]
	flat_load_ubyte v69, v[16:17]
	s_andn2_b64 s[44:45], s[44:45], exec
	s_andn2_b64 s[42:43], s[42:43], exec
	s_or_b64 s[40:41], s[40:41], exec
	s_waitcnt vmcnt(0) lgkmcnt(0)
	v_cmp_le_u16_sdwa s[48:49], v68, v69 src0_sel:BYTE_0 src1_sel:BYTE_0
	v_cmp_lt_u16_sdwa s[46:47], v68, v69 src0_sel:BYTE_0 src1_sel:BYTE_0
	s_and_b64 s[48:49], s[48:49], s[12:13]
	s_or_b64 s[48:49], s[46:47], s[48:49]
	s_and_b64 s[46:47], s[48:49], exec
	v_cmp_eq_u16_sdwa s[50:51], v68, v69 src0_sel:BYTE_0 src1_sel:BYTE_0
	s_or_b64 s[44:45], s[44:45], s[46:47]
	s_and_saveexec_b64 s[46:47], s[50:51]
	s_cbranch_execz .LBB10_1038
; %bb.1040:                             ;   in Loop: Header=BB10_1039 Depth=1
	v_lshl_add_u64 v[20:21], v[20:21], 0, -1
	v_cmp_eq_u64_e64 s[12:13], 0, v[20:21]
	s_andn2_b64 s[42:43], s[42:43], exec
	s_and_b64 s[48:49], s[48:49], exec
	s_andn2_b64 s[40:41], s[40:41], exec
	s_and_b64 s[12:13], s[12:13], exec
	v_lshl_add_u64 v[16:17], v[16:17], 0, 1
	v_lshl_add_u64 v[18:19], v[18:19], 0, 1
	s_andn2_b64 s[44:45], s[44:45], exec
	s_or_b64 s[42:43], s[42:43], s[48:49]
	s_or_b64 s[40:41], s[40:41], s[12:13]
                                        ; implicit-def: $sgpr12_sgpr13
	s_branch .LBB10_1038
.LBB10_1041:
	s_or_b64 exec, exec, s[28:29]
	s_and_b64 s[12:13], s[38:39], exec
.LBB10_1042:
	s_or_b64 exec, exec, s[26:27]
	s_xor_b64 s[12:13], s[12:13], -1
	s_and_b64 s[26:27], s[12:13], exec
.LBB10_1043:
	s_or_b64 exec, exec, s[16:17]
	s_orn2_b64 s[16:17], s[26:27], exec
.LBB10_1044:
	s_or_b64 exec, exec, s[24:25]
	v_cndmask_b32_e64 v16, v22, v23, s[16:17]
	v_cndmask_b32_e64 v17, v99, v98, s[16:17]
	v_add_u32_e32 v20, 1, v16
	v_add_u32_e32 v16, -1, v17
	v_min_u32_e32 v16, v20, v16
	v_mov_b32_e32 v17, 0
	v_lshl_add_u64 v[18:19], v[16:17], 3, v[64:65]
	flat_load_dwordx2 v[18:19], v[18:19]
	v_cndmask_b32_e64 v68, v20, v22, s[16:17]
	s_mov_b64 s[24:25], -1
	v_cndmask_b32_e64 v69, v23, v20, s[16:17]
	v_cmp_lt_u32_e64 s[12:13], v68, v99
	s_mov_b64 s[26:27], -1
	s_waitcnt vmcnt(0) lgkmcnt(0)
	v_cndmask_b32_e64 v82, v19, v27, s[16:17]
	v_cndmask_b32_e64 v83, v18, v71, s[16:17]
	v_cndmask_b32_e64 v84, v80, v19, s[16:17]
	v_cndmask_b32_e64 v85, v81, v18, s[16:17]
	s_and_saveexec_b64 s[28:29], s[12:13]
	s_cbranch_execz .LBB10_1054
; %bb.1045:
	v_cmp_lt_u32_e64 s[12:13], v69, v98
	s_mov_b64 s[38:39], 0
	s_and_saveexec_b64 s[26:27], s[12:13]
	s_cbranch_execz .LBB10_1053
; %bb.1046:
	s_mov_b64 s[12:13], -1
	s_and_saveexec_b64 s[38:39], s[8:9]
	s_cbranch_execz .LBB10_1052
; %bb.1047:
	v_mad_u64_u32 v[18:19], s[12:13], v85, v6, v[8:9]
	v_mul_lo_u32 v16, v85, v7
	v_mul_lo_u32 v20, v84, v6
	v_add3_u32 v19, v20, v19, v16
	v_mad_u64_u32 v[20:21], s[12:13], v83, v6, v[8:9]
	v_mul_lo_u32 v16, v83, v7
	v_mul_lo_u32 v22, v82, v6
	v_add3_u32 v21, v22, v21, v16
	s_mov_b64 s[40:41], 0
	v_mov_b64_e32 v[22:23], v[6:7]
                                        ; implicit-def: $sgpr42_sgpr43
                                        ; implicit-def: $sgpr44_sgpr45
                                        ; implicit-def: $sgpr48_sgpr49
                                        ; implicit-def: $sgpr46_sgpr47
                                        ; implicit-def: $sgpr12_sgpr13
	s_branch .LBB10_1049
.LBB10_1048:                            ;   in Loop: Header=BB10_1049 Depth=1
	s_or_b64 exec, exec, s[50:51]
	s_and_b64 s[50:51], exec, s[44:45]
	s_or_b64 s[40:41], s[50:51], s[40:41]
	s_andn2_b64 s[12:13], s[12:13], exec
	s_and_b64 s[50:51], s[46:47], exec
	s_or_b64 s[12:13], s[12:13], s[50:51]
	s_andn2_b64 s[42:43], s[42:43], exec
	s_and_b64 s[50:51], s[48:49], exec
	s_or_b64 s[42:43], s[42:43], s[50:51]
	s_andn2_b64 exec, exec, s[40:41]
	s_cbranch_execz .LBB10_1051
.LBB10_1049:                            ; =>This Inner Loop Header: Depth=1
	flat_load_ubyte v16, v[20:21]
	flat_load_ubyte v86, v[18:19]
	s_andn2_b64 s[48:49], s[48:49], exec
	s_andn2_b64 s[46:47], s[46:47], exec
	s_or_b64 s[44:45], s[44:45], exec
	s_waitcnt vmcnt(0) lgkmcnt(0)
	v_cmp_le_u16_sdwa s[52:53], v16, v86 src0_sel:BYTE_0 src1_sel:BYTE_0
	v_cmp_lt_u16_sdwa s[50:51], v16, v86 src0_sel:BYTE_0 src1_sel:BYTE_0
	s_and_b64 s[52:53], s[52:53], s[12:13]
	s_or_b64 s[52:53], s[50:51], s[52:53]
	s_and_b64 s[50:51], s[52:53], exec
	v_cmp_eq_u16_sdwa s[54:55], v16, v86 src0_sel:BYTE_0 src1_sel:BYTE_0
	s_or_b64 s[48:49], s[48:49], s[50:51]
	s_and_saveexec_b64 s[50:51], s[54:55]
	s_cbranch_execz .LBB10_1048
; %bb.1050:                             ;   in Loop: Header=BB10_1049 Depth=1
	v_lshl_add_u64 v[22:23], v[22:23], 0, -1
	v_cmp_eq_u64_e64 s[12:13], 0, v[22:23]
	s_andn2_b64 s[46:47], s[46:47], exec
	s_and_b64 s[52:53], s[52:53], exec
	s_andn2_b64 s[44:45], s[44:45], exec
	s_and_b64 s[12:13], s[12:13], exec
	v_lshl_add_u64 v[18:19], v[18:19], 0, 1
	v_lshl_add_u64 v[20:21], v[20:21], 0, 1
	s_or_b64 s[46:47], s[46:47], s[52:53]
	s_andn2_b64 s[48:49], s[48:49], exec
	s_or_b64 s[44:45], s[44:45], s[12:13]
                                        ; implicit-def: $sgpr12_sgpr13
	s_branch .LBB10_1048
.LBB10_1051:
	s_or_b64 exec, exec, s[40:41]
	s_xor_b64 s[12:13], s[42:43], -1
	s_orn2_b64 s[12:13], s[12:13], exec
.LBB10_1052:
	s_or_b64 exec, exec, s[38:39]
	s_and_b64 s[38:39], s[12:13], exec
.LBB10_1053:
	s_or_b64 exec, exec, s[26:27]
	s_orn2_b64 s[26:27], s[38:39], exec
.LBB10_1054:
	s_or_b64 exec, exec, s[28:29]
	v_cndmask_b32_e64 v16, v68, v69, s[26:27]
	v_cndmask_b32_e64 v18, v99, v98, s[26:27]
	v_add_u32_e32 v19, 1, v16
	v_add_u32_e32 v16, -1, v18
	v_min_u32_e32 v16, v19, v16
	v_lshl_add_u64 v[16:17], v[16:17], 3, v[64:65]
	flat_load_dwordx2 v[16:17], v[16:17]
	v_cndmask_b32_e64 v22, v19, v68, s[26:27]
	v_cndmask_b32_e64 v23, v69, v19, s[26:27]
	v_cmp_lt_u32_e64 s[12:13], v22, v99
	s_waitcnt vmcnt(0) lgkmcnt(0)
	v_cndmask_b32_e64 v86, v17, v82, s[26:27]
	v_cndmask_b32_e64 v87, v16, v83, s[26:27]
	;; [unrolled: 1-line block ×4, first 2 shown]
	s_and_saveexec_b64 s[28:29], s[12:13]
	s_cbranch_execz .LBB10_1064
; %bb.1055:
	v_cmp_lt_u32_e64 s[12:13], v23, v98
	s_mov_b64 s[38:39], 0
	s_and_saveexec_b64 s[24:25], s[12:13]
	s_cbranch_execz .LBB10_1063
; %bb.1056:
	s_mov_b64 s[12:13], -1
	s_and_saveexec_b64 s[38:39], s[8:9]
	s_cbranch_execz .LBB10_1062
; %bb.1057:
	v_mad_u64_u32 v[16:17], s[12:13], v97, v6, v[8:9]
	v_mul_lo_u32 v18, v97, v7
	v_mul_lo_u32 v19, v96, v6
	v_add3_u32 v17, v19, v17, v18
	v_mad_u64_u32 v[18:19], s[12:13], v87, v6, v[8:9]
	v_mul_lo_u32 v20, v87, v7
	v_mul_lo_u32 v21, v86, v6
	v_add3_u32 v19, v21, v19, v20
	s_mov_b64 s[40:41], 0
	v_mov_b64_e32 v[20:21], v[6:7]
                                        ; implicit-def: $sgpr42_sgpr43
                                        ; implicit-def: $sgpr44_sgpr45
                                        ; implicit-def: $sgpr48_sgpr49
                                        ; implicit-def: $sgpr46_sgpr47
                                        ; implicit-def: $sgpr12_sgpr13
	s_branch .LBB10_1059
.LBB10_1058:                            ;   in Loop: Header=BB10_1059 Depth=1
	s_or_b64 exec, exec, s[50:51]
	s_and_b64 s[50:51], exec, s[44:45]
	s_or_b64 s[40:41], s[50:51], s[40:41]
	s_andn2_b64 s[12:13], s[12:13], exec
	s_and_b64 s[50:51], s[46:47], exec
	s_or_b64 s[12:13], s[12:13], s[50:51]
	s_andn2_b64 s[42:43], s[42:43], exec
	s_and_b64 s[50:51], s[48:49], exec
	s_or_b64 s[42:43], s[42:43], s[50:51]
	s_andn2_b64 exec, exec, s[40:41]
	s_cbranch_execz .LBB10_1061
.LBB10_1059:                            ; =>This Inner Loop Header: Depth=1
	flat_load_ubyte v68, v[18:19]
	flat_load_ubyte v69, v[16:17]
	s_andn2_b64 s[48:49], s[48:49], exec
	s_andn2_b64 s[46:47], s[46:47], exec
	s_or_b64 s[44:45], s[44:45], exec
	s_waitcnt vmcnt(0) lgkmcnt(0)
	v_cmp_le_u16_sdwa s[52:53], v68, v69 src0_sel:BYTE_0 src1_sel:BYTE_0
	v_cmp_lt_u16_sdwa s[50:51], v68, v69 src0_sel:BYTE_0 src1_sel:BYTE_0
	s_and_b64 s[52:53], s[52:53], s[12:13]
	s_or_b64 s[52:53], s[50:51], s[52:53]
	s_and_b64 s[50:51], s[52:53], exec
	v_cmp_eq_u16_sdwa s[54:55], v68, v69 src0_sel:BYTE_0 src1_sel:BYTE_0
	s_or_b64 s[48:49], s[48:49], s[50:51]
	s_and_saveexec_b64 s[50:51], s[54:55]
	s_cbranch_execz .LBB10_1058
; %bb.1060:                             ;   in Loop: Header=BB10_1059 Depth=1
	v_lshl_add_u64 v[20:21], v[20:21], 0, -1
	v_cmp_eq_u64_e64 s[12:13], 0, v[20:21]
	s_andn2_b64 s[46:47], s[46:47], exec
	s_and_b64 s[52:53], s[52:53], exec
	s_andn2_b64 s[44:45], s[44:45], exec
	s_and_b64 s[12:13], s[12:13], exec
	v_lshl_add_u64 v[16:17], v[16:17], 0, 1
	v_lshl_add_u64 v[18:19], v[18:19], 0, 1
	s_or_b64 s[46:47], s[46:47], s[52:53]
	s_andn2_b64 s[48:49], s[48:49], exec
	s_or_b64 s[44:45], s[44:45], s[12:13]
                                        ; implicit-def: $sgpr12_sgpr13
	s_branch .LBB10_1058
.LBB10_1061:
	s_or_b64 exec, exec, s[40:41]
	s_xor_b64 s[12:13], s[42:43], -1
	s_orn2_b64 s[12:13], s[12:13], exec
.LBB10_1062:
	s_or_b64 exec, exec, s[38:39]
	s_and_b64 s[38:39], s[12:13], exec
.LBB10_1063:
	s_or_b64 exec, exec, s[24:25]
	s_orn2_b64 s[24:25], s[38:39], exec
.LBB10_1064:
	s_or_b64 exec, exec, s[28:29]
	v_cndmask_b32_e64 v16, v22, v23, s[24:25]
	v_cndmask_b32_e64 v17, v99, v98, s[24:25]
	v_add_u32_e32 v20, 1, v16
	v_add_u32_e32 v16, -1, v17
	v_min_u32_e32 v16, v20, v16
	v_mov_b32_e32 v17, 0
	v_lshl_add_u64 v[18:19], v[16:17], 3, v[64:65]
	flat_load_dwordx2 v[18:19], v[18:19]
	v_cndmask_b32_e64 v68, v20, v22, s[24:25]
	s_mov_b64 s[28:29], -1
	v_cndmask_b32_e64 v69, v23, v20, s[24:25]
	v_cmp_lt_u32_e64 s[12:13], v68, v99
	s_mov_b64 s[38:39], -1
	s_waitcnt vmcnt(0) lgkmcnt(0)
	v_cndmask_b32_e64 v100, v19, v86, s[24:25]
	v_cndmask_b32_e64 v101, v18, v87, s[24:25]
	;; [unrolled: 1-line block ×4, first 2 shown]
	s_and_saveexec_b64 s[40:41], s[12:13]
	s_cbranch_execz .LBB10_1074
; %bb.1065:
	v_cmp_lt_u32_e64 s[12:13], v69, v98
	s_mov_b64 s[42:43], 0
	s_and_saveexec_b64 s[38:39], s[12:13]
	s_cbranch_execz .LBB10_1073
; %bb.1066:
	s_mov_b64 s[12:13], -1
	s_and_saveexec_b64 s[42:43], s[8:9]
	s_cbranch_execz .LBB10_1072
; %bb.1067:
	v_mad_u64_u32 v[18:19], s[12:13], v103, v6, v[8:9]
	v_mul_lo_u32 v16, v103, v7
	v_mul_lo_u32 v20, v102, v6
	v_add3_u32 v19, v20, v19, v16
	v_mad_u64_u32 v[20:21], s[12:13], v101, v6, v[8:9]
	v_mul_lo_u32 v16, v101, v7
	v_mul_lo_u32 v22, v100, v6
	v_add3_u32 v21, v22, v21, v16
	s_mov_b64 s[44:45], 0
	v_mov_b64_e32 v[22:23], v[6:7]
                                        ; implicit-def: $sgpr46_sgpr47
                                        ; implicit-def: $sgpr48_sgpr49
                                        ; implicit-def: $sgpr52_sgpr53
                                        ; implicit-def: $sgpr50_sgpr51
                                        ; implicit-def: $sgpr12_sgpr13
	s_branch .LBB10_1069
.LBB10_1068:                            ;   in Loop: Header=BB10_1069 Depth=1
	s_or_b64 exec, exec, s[54:55]
	s_and_b64 s[54:55], exec, s[48:49]
	s_or_b64 s[44:45], s[54:55], s[44:45]
	s_andn2_b64 s[12:13], s[12:13], exec
	s_and_b64 s[54:55], s[50:51], exec
	s_or_b64 s[12:13], s[12:13], s[54:55]
	s_andn2_b64 s[46:47], s[46:47], exec
	s_and_b64 s[54:55], s[52:53], exec
	s_or_b64 s[46:47], s[46:47], s[54:55]
	s_andn2_b64 exec, exec, s[44:45]
	s_cbranch_execz .LBB10_1071
.LBB10_1069:                            ; =>This Inner Loop Header: Depth=1
	flat_load_ubyte v16, v[20:21]
	flat_load_ubyte v112, v[18:19]
	s_andn2_b64 s[52:53], s[52:53], exec
	s_andn2_b64 s[50:51], s[50:51], exec
	s_or_b64 s[48:49], s[48:49], exec
	s_waitcnt vmcnt(0) lgkmcnt(0)
	v_cmp_le_u16_sdwa s[56:57], v16, v112 src0_sel:BYTE_0 src1_sel:BYTE_0
	v_cmp_lt_u16_sdwa s[54:55], v16, v112 src0_sel:BYTE_0 src1_sel:BYTE_0
	s_and_b64 s[56:57], s[56:57], s[12:13]
	s_or_b64 s[56:57], s[54:55], s[56:57]
	s_and_b64 s[54:55], s[56:57], exec
	v_cmp_eq_u16_sdwa s[58:59], v16, v112 src0_sel:BYTE_0 src1_sel:BYTE_0
	s_or_b64 s[52:53], s[52:53], s[54:55]
	s_and_saveexec_b64 s[54:55], s[58:59]
	s_cbranch_execz .LBB10_1068
; %bb.1070:                             ;   in Loop: Header=BB10_1069 Depth=1
	v_lshl_add_u64 v[22:23], v[22:23], 0, -1
	v_cmp_eq_u64_e64 s[12:13], 0, v[22:23]
	s_andn2_b64 s[50:51], s[50:51], exec
	s_and_b64 s[56:57], s[56:57], exec
	s_andn2_b64 s[48:49], s[48:49], exec
	s_and_b64 s[12:13], s[12:13], exec
	v_lshl_add_u64 v[18:19], v[18:19], 0, 1
	v_lshl_add_u64 v[20:21], v[20:21], 0, 1
	s_or_b64 s[50:51], s[50:51], s[56:57]
	s_andn2_b64 s[52:53], s[52:53], exec
	s_or_b64 s[48:49], s[48:49], s[12:13]
                                        ; implicit-def: $sgpr12_sgpr13
	s_branch .LBB10_1068
.LBB10_1071:
	s_or_b64 exec, exec, s[44:45]
	s_xor_b64 s[12:13], s[46:47], -1
	s_orn2_b64 s[12:13], s[12:13], exec
.LBB10_1072:
	s_or_b64 exec, exec, s[42:43]
	s_and_b64 s[42:43], s[12:13], exec
.LBB10_1073:
	s_or_b64 exec, exec, s[38:39]
	s_orn2_b64 s[38:39], s[42:43], exec
.LBB10_1074:
	s_or_b64 exec, exec, s[40:41]
	v_cndmask_b32_e64 v16, v68, v69, s[38:39]
	v_cndmask_b32_e64 v18, v99, v98, s[38:39]
	v_add_u32_e32 v19, 1, v16
	v_add_u32_e32 v16, -1, v18
	v_min_u32_e32 v16, v19, v16
	v_lshl_add_u64 v[16:17], v[16:17], 3, v[64:65]
	flat_load_dwordx2 v[16:17], v[16:17]
	v_cndmask_b32_e64 v115, v19, v68, s[38:39]
	v_cndmask_b32_e64 v112, v69, v19, s[38:39]
	v_cmp_lt_u32_e64 s[12:13], v115, v99
	s_waitcnt vmcnt(0) lgkmcnt(0)
	v_cndmask_b32_e64 v113, v17, v100, s[38:39]
	v_cndmask_b32_e64 v114, v16, v101, s[38:39]
	;; [unrolled: 1-line block ×4, first 2 shown]
	s_and_saveexec_b64 s[40:41], s[12:13]
	s_cbranch_execz .LBB10_1084
; %bb.1075:
	v_cmp_lt_u32_e64 s[12:13], v112, v98
	s_mov_b64 s[42:43], 0
	s_and_saveexec_b64 s[28:29], s[12:13]
	s_cbranch_execz .LBB10_1083
; %bb.1076:
	s_mov_b64 s[12:13], -1
	s_and_saveexec_b64 s[42:43], s[8:9]
	s_cbranch_execz .LBB10_1082
; %bb.1077:
	v_mad_u64_u32 v[16:17], s[12:13], v117, v6, v[8:9]
	v_mul_lo_u32 v18, v117, v7
	v_mul_lo_u32 v19, v116, v6
	v_add3_u32 v17, v19, v17, v18
	v_mad_u64_u32 v[18:19], s[12:13], v114, v6, v[8:9]
	v_mul_lo_u32 v20, v114, v7
	v_mul_lo_u32 v21, v113, v6
	v_add3_u32 v19, v21, v19, v20
	s_mov_b64 s[44:45], 0
	v_mov_b64_e32 v[20:21], v[6:7]
                                        ; implicit-def: $sgpr46_sgpr47
                                        ; implicit-def: $sgpr48_sgpr49
                                        ; implicit-def: $sgpr52_sgpr53
                                        ; implicit-def: $sgpr50_sgpr51
                                        ; implicit-def: $sgpr12_sgpr13
	s_branch .LBB10_1079
.LBB10_1078:                            ;   in Loop: Header=BB10_1079 Depth=1
	s_or_b64 exec, exec, s[54:55]
	s_and_b64 s[54:55], exec, s[48:49]
	s_or_b64 s[44:45], s[54:55], s[44:45]
	s_andn2_b64 s[12:13], s[12:13], exec
	s_and_b64 s[54:55], s[50:51], exec
	s_or_b64 s[12:13], s[12:13], s[54:55]
	s_andn2_b64 s[46:47], s[46:47], exec
	s_and_b64 s[54:55], s[52:53], exec
	s_or_b64 s[46:47], s[46:47], s[54:55]
	s_andn2_b64 exec, exec, s[44:45]
	s_cbranch_execz .LBB10_1081
.LBB10_1079:                            ; =>This Inner Loop Header: Depth=1
	flat_load_ubyte v22, v[18:19]
	flat_load_ubyte v23, v[16:17]
	s_andn2_b64 s[52:53], s[52:53], exec
	s_andn2_b64 s[50:51], s[50:51], exec
	s_or_b64 s[48:49], s[48:49], exec
	s_waitcnt vmcnt(0) lgkmcnt(0)
	v_cmp_le_u16_sdwa s[56:57], v22, v23 src0_sel:BYTE_0 src1_sel:BYTE_0
	v_cmp_lt_u16_sdwa s[54:55], v22, v23 src0_sel:BYTE_0 src1_sel:BYTE_0
	s_and_b64 s[56:57], s[56:57], s[12:13]
	s_or_b64 s[56:57], s[54:55], s[56:57]
	s_and_b64 s[54:55], s[56:57], exec
	v_cmp_eq_u16_sdwa s[58:59], v22, v23 src0_sel:BYTE_0 src1_sel:BYTE_0
	s_or_b64 s[52:53], s[52:53], s[54:55]
	s_and_saveexec_b64 s[54:55], s[58:59]
	s_cbranch_execz .LBB10_1078
; %bb.1080:                             ;   in Loop: Header=BB10_1079 Depth=1
	v_lshl_add_u64 v[20:21], v[20:21], 0, -1
	v_cmp_eq_u64_e64 s[12:13], 0, v[20:21]
	s_andn2_b64 s[50:51], s[50:51], exec
	s_and_b64 s[56:57], s[56:57], exec
	s_andn2_b64 s[48:49], s[48:49], exec
	s_and_b64 s[12:13], s[12:13], exec
	v_lshl_add_u64 v[16:17], v[16:17], 0, 1
	v_lshl_add_u64 v[18:19], v[18:19], 0, 1
	s_or_b64 s[50:51], s[50:51], s[56:57]
	s_andn2_b64 s[52:53], s[52:53], exec
	s_or_b64 s[48:49], s[48:49], s[12:13]
                                        ; implicit-def: $sgpr12_sgpr13
	s_branch .LBB10_1078
.LBB10_1081:
	s_or_b64 exec, exec, s[44:45]
	s_xor_b64 s[12:13], s[46:47], -1
	s_orn2_b64 s[12:13], s[12:13], exec
.LBB10_1082:
	s_or_b64 exec, exec, s[42:43]
	s_and_b64 s[42:43], s[12:13], exec
.LBB10_1083:
	s_or_b64 exec, exec, s[28:29]
	s_orn2_b64 s[28:29], s[42:43], exec
.LBB10_1084:
	s_or_b64 exec, exec, s[40:41]
	v_cndmask_b32_e64 v16, v115, v112, s[28:29]
	v_cndmask_b32_e64 v17, v99, v98, s[28:29]
	v_add_u32_e32 v118, 1, v16
	v_add_u32_e32 v16, -1, v17
	v_min_u32_e32 v16, v118, v16
	v_mov_b32_e32 v17, 0
	v_lshl_add_u64 v[16:17], v[16:17], 3, v[64:65]
	flat_load_dwordx2 v[68:69], v[16:17]
	v_cndmask_b32_e64 v21, v27, v80, s[16:17]
	v_cndmask_b32_e64 v27, v24, v26, s[22:23]
	;; [unrolled: 1-line block ×15, first 2 shown]
	v_cmp_lt_u32_e64 s[12:13], v70, v99
	s_waitcnt vmcnt(0) lgkmcnt(0)
	v_cndmask_b32_e64 v15, v116, v69, s[28:29]
	v_cndmask_b32_e64 v14, v117, v68, s[28:29]
	s_and_saveexec_b64 s[16:17], s[12:13]
	s_cbranch_execz .LBB10_1094
; %bb.1085:
	v_cndmask_b32_e64 v70, v112, v118, s[28:29]
	v_cndmask_b32_e64 v69, v69, v113, s[28:29]
	;; [unrolled: 1-line block ×3, first 2 shown]
	v_cmp_lt_u32_e64 s[12:13], v70, v98
	s_and_saveexec_b64 s[20:21], s[12:13]
	s_cbranch_execz .LBB10_1093
; %bb.1086:
	s_and_saveexec_b64 s[22:23], s[8:9]
	s_cbranch_execz .LBB10_1092
; %bb.1087:
	v_mad_u64_u32 v[70:71], s[12:13], v14, v6, v[8:9]
	v_mul_lo_u32 v80, v14, v7
	v_mul_lo_u32 v81, v15, v6
	v_add3_u32 v71, v81, v71, v80
	v_mad_u64_u32 v[80:81], s[12:13], v68, v6, v[8:9]
	v_mul_lo_u32 v82, v68, v7
	v_mul_lo_u32 v83, v69, v6
	v_add3_u32 v81, v83, v81, v82
	s_mov_b64 s[24:25], 0
	v_mov_b64_e32 v[82:83], v[6:7]
                                        ; implicit-def: $sgpr26_sgpr27
                                        ; implicit-def: $sgpr28_sgpr29
                                        ; implicit-def: $sgpr40_sgpr41
                                        ; implicit-def: $sgpr38_sgpr39
                                        ; implicit-def: $sgpr12_sgpr13
	s_branch .LBB10_1089
.LBB10_1088:                            ;   in Loop: Header=BB10_1089 Depth=1
	s_or_b64 exec, exec, s[42:43]
	s_and_b64 s[42:43], exec, s[28:29]
	s_or_b64 s[24:25], s[42:43], s[24:25]
	s_andn2_b64 s[12:13], s[12:13], exec
	s_and_b64 s[42:43], s[38:39], exec
	s_or_b64 s[12:13], s[12:13], s[42:43]
	s_andn2_b64 s[26:27], s[26:27], exec
	s_and_b64 s[42:43], s[40:41], exec
	s_or_b64 s[26:27], s[26:27], s[42:43]
	s_andn2_b64 exec, exec, s[24:25]
	s_cbranch_execz .LBB10_1091
.LBB10_1089:                            ; =>This Inner Loop Header: Depth=1
	flat_load_ubyte v84, v[80:81]
	flat_load_ubyte v85, v[70:71]
	s_andn2_b64 s[40:41], s[40:41], exec
	s_andn2_b64 s[38:39], s[38:39], exec
	s_or_b64 s[28:29], s[28:29], exec
	s_waitcnt vmcnt(0) lgkmcnt(0)
	v_cmp_le_u16_sdwa s[44:45], v84, v85 src0_sel:BYTE_0 src1_sel:BYTE_0
	v_cmp_lt_u16_sdwa s[42:43], v84, v85 src0_sel:BYTE_0 src1_sel:BYTE_0
	s_and_b64 s[44:45], s[44:45], s[12:13]
	s_or_b64 s[44:45], s[42:43], s[44:45]
	s_and_b64 s[42:43], s[44:45], exec
	v_cmp_eq_u16_sdwa s[46:47], v84, v85 src0_sel:BYTE_0 src1_sel:BYTE_0
	s_or_b64 s[40:41], s[40:41], s[42:43]
	s_and_saveexec_b64 s[42:43], s[46:47]
	s_cbranch_execz .LBB10_1088
; %bb.1090:                             ;   in Loop: Header=BB10_1089 Depth=1
	v_lshl_add_u64 v[82:83], v[82:83], 0, -1
	v_cmp_eq_u64_e64 s[12:13], 0, v[82:83]
	s_andn2_b64 s[38:39], s[38:39], exec
	s_and_b64 s[44:45], s[44:45], exec
	s_andn2_b64 s[28:29], s[28:29], exec
	s_and_b64 s[12:13], s[12:13], exec
	v_lshl_add_u64 v[70:71], v[70:71], 0, 1
	v_lshl_add_u64 v[80:81], v[80:81], 0, 1
	s_or_b64 s[38:39], s[38:39], s[44:45]
	s_andn2_b64 s[40:41], s[40:41], exec
	s_or_b64 s[28:29], s[28:29], s[12:13]
                                        ; implicit-def: $sgpr12_sgpr13
	s_branch .LBB10_1088
.LBB10_1091:
	s_or_b64 exec, exec, s[24:25]
	v_cndmask_b32_e64 v15, v15, v69, s[26:27]
	v_cndmask_b32_e64 v14, v14, v68, s[26:27]
.LBB10_1092:
	s_or_b64 exec, exec, s[22:23]
	v_mov_b64_e32 v[68:69], v[14:15]
.LBB10_1093:
	s_or_b64 exec, exec, s[20:21]
	v_mov_b64_e32 v[14:15], v[68:69]
.LBB10_1094:
	s_or_b64 exec, exec, s[16:17]
.LBB10_1095:
	s_or_b64 exec, exec, s[18:19]
	v_and_b32_e32 v100, 0x3e0, v31
	v_or_b32_e32 v68, 16, v100
	v_min_u32_e32 v98, v1, v68
	v_add_u32_e32 v68, 16, v98
	v_min_u32_e32 v99, v1, v68
	v_and_b32_e32 v68, 24, v31
	v_min_u32_e32 v101, v1, v68
	v_sub_u32_e32 v68, v98, v100
	v_sub_u32_e32 v69, v99, v98
	v_sub_u32_e64 v102, v101, v69 clamp
	v_min_u32_e32 v103, v101, v68
	v_cmp_lt_u32_e64 s[12:13], v102, v103
	; wave barrier
	flat_store_dwordx4 v[66:67], v[24:27]
	flat_store_dwordx4 v[66:67], v[20:23] offset:16
	flat_store_dwordx4 v[66:67], v[16:19] offset:32
	;; [unrolled: 1-line block ×3, first 2 shown]
	; wave barrier
	s_and_saveexec_b64 s[16:17], s[12:13]
	s_cbranch_execz .LBB10_1105
; %bb.1096:
	v_lshlrev_b32_e32 v68, 3, v100
	v_mov_b32_e32 v69, 0
	v_lshl_add_u64 v[70:71], v[64:65], 0, v[68:69]
	v_lshlrev_b32_e32 v68, 3, v98
	v_lshl_add_u64 v[80:81], v[64:65], 0, v[68:69]
	s_mov_b64 s[18:19], 0
	s_branch .LBB10_1099
.LBB10_1097:                            ;   in Loop: Header=BB10_1099 Depth=1
	s_or_b64 exec, exec, s[22:23]
	s_and_b64 s[12:13], s[24:25], exec
.LBB10_1098:                            ;   in Loop: Header=BB10_1099 Depth=1
	s_or_b64 exec, exec, s[20:21]
	v_add_u32_e32 v68, 1, v82
	v_cndmask_b32_e64 v103, v103, v82, s[12:13]
	v_cndmask_b32_e64 v102, v68, v102, s[12:13]
	v_cmp_ge_u32_e64 s[12:13], v102, v103
	s_or_b64 s[18:19], s[12:13], s[18:19]
	s_andn2_b64 exec, exec, s[18:19]
	s_cbranch_execz .LBB10_1104
.LBB10_1099:                            ; =>This Loop Header: Depth=1
                                        ;     Child Loop BB10_1102 Depth 2
	v_add_u32_e32 v68, v103, v102
	v_lshrrev_b32_e32 v82, 1, v68
	s_mov_b64 s[12:13], 0
	s_and_saveexec_b64 s[20:21], s[8:9]
	s_cbranch_execz .LBB10_1098
; %bb.1100:                             ;   in Loop: Header=BB10_1099 Depth=1
	v_mov_b32_e32 v83, v69
	v_xad_u32 v68, v82, -1, v101
	v_lshl_add_u64 v[84:85], v[82:83], 3, v[70:71]
	v_lshl_add_u64 v[86:87], v[68:69], 3, v[80:81]
	flat_load_dwordx2 v[84:85], v[84:85]
	s_mov_b64 s[22:23], 0
	flat_load_dwordx2 v[86:87], v[86:87]
                                        ; implicit-def: $sgpr24_sgpr25
                                        ; implicit-def: $sgpr26_sgpr27
                                        ; implicit-def: $sgpr28_sgpr29
                                        ; implicit-def: $sgpr38_sgpr39
                                        ; implicit-def: $sgpr12_sgpr13
	s_waitcnt vmcnt(0) lgkmcnt(0)
	v_mul_lo_u32 v68, v84, v7
	v_mul_lo_u32 v83, v85, v6
	v_mad_u64_u32 v[84:85], s[40:41], v84, v6, v[8:9]
	v_mul_lo_u32 v96, v86, v7
	v_mul_lo_u32 v97, v87, v6
	v_mad_u64_u32 v[86:87], s[40:41], v86, v6, v[8:9]
	v_add3_u32 v85, v83, v85, v68
	v_add3_u32 v87, v97, v87, v96
	v_mov_b64_e32 v[96:97], v[6:7]
	s_branch .LBB10_1102
.LBB10_1101:                            ;   in Loop: Header=BB10_1102 Depth=2
	s_or_b64 exec, exec, s[40:41]
	s_and_b64 s[40:41], exec, s[26:27]
	s_or_b64 s[22:23], s[40:41], s[22:23]
	s_andn2_b64 s[12:13], s[12:13], exec
	s_and_b64 s[40:41], s[28:29], exec
	s_or_b64 s[12:13], s[12:13], s[40:41]
	s_andn2_b64 s[24:25], s[24:25], exec
	s_and_b64 s[40:41], s[38:39], exec
	s_or_b64 s[24:25], s[24:25], s[40:41]
	s_andn2_b64 exec, exec, s[22:23]
	s_cbranch_execz .LBB10_1097
.LBB10_1102:                            ;   Parent Loop BB10_1099 Depth=1
                                        ; =>  This Inner Loop Header: Depth=2
	flat_load_ubyte v68, v[86:87]
	flat_load_ubyte v83, v[84:85]
	s_andn2_b64 s[38:39], s[38:39], exec
	s_andn2_b64 s[28:29], s[28:29], exec
	s_or_b64 s[26:27], s[26:27], exec
	s_waitcnt vmcnt(0) lgkmcnt(0)
	v_cmp_le_u16_sdwa s[42:43], v68, v83 src0_sel:BYTE_0 src1_sel:BYTE_0
	v_cmp_lt_u16_sdwa s[40:41], v68, v83 src0_sel:BYTE_0 src1_sel:BYTE_0
	s_and_b64 s[42:43], s[42:43], s[12:13]
	s_or_b64 s[42:43], s[40:41], s[42:43]
	s_and_b64 s[40:41], s[42:43], exec
	v_cmp_eq_u16_sdwa s[44:45], v68, v83 src0_sel:BYTE_0 src1_sel:BYTE_0
	s_or_b64 s[38:39], s[38:39], s[40:41]
	s_and_saveexec_b64 s[40:41], s[44:45]
	s_cbranch_execz .LBB10_1101
; %bb.1103:                             ;   in Loop: Header=BB10_1102 Depth=2
	v_lshl_add_u64 v[96:97], v[96:97], 0, -1
	v_cmp_eq_u64_e64 s[12:13], 0, v[96:97]
	s_andn2_b64 s[28:29], s[28:29], exec
	s_and_b64 s[42:43], s[42:43], exec
	s_andn2_b64 s[26:27], s[26:27], exec
	s_and_b64 s[12:13], s[12:13], exec
	v_lshl_add_u64 v[84:85], v[84:85], 0, 1
	v_lshl_add_u64 v[86:87], v[86:87], 0, 1
	s_andn2_b64 s[38:39], s[38:39], exec
	s_or_b64 s[28:29], s[28:29], s[42:43]
	s_or_b64 s[26:27], s[26:27], s[12:13]
                                        ; implicit-def: $sgpr12_sgpr13
	s_branch .LBB10_1101
.LBB10_1104:
	s_or_b64 exec, exec, s[18:19]
.LBB10_1105:
	s_or_b64 exec, exec, s[16:17]
	v_add_u32_e32 v69, v98, v101
	v_add_u32_e32 v68, v102, v100
	v_sub_u32_e32 v70, v69, v102
	v_cmp_le_u32_e64 s[12:13], v68, v98
	v_cmp_le_u32_e64 s[16:17], v70, v99
	s_or_b64 s[12:13], s[12:13], s[16:17]
	s_and_saveexec_b64 s[18:19], s[12:13]
	s_cbranch_execz .LBB10_1189
; %bb.1106:
	v_cmp_ge_u32_e64 s[16:17], v68, v98
	v_cmp_lt_u32_e64 s[12:13], v68, v98
                                        ; implicit-def: $vgpr12_vgpr13
	s_and_saveexec_b64 s[20:21], s[12:13]
	s_cbranch_execz .LBB10_1108
; %bb.1107:
	v_mov_b32_e32 v69, 0
	v_lshl_add_u64 v[12:13], v[68:69], 3, v[64:65]
	flat_load_dwordx2 v[12:13], v[12:13]
.LBB10_1108:
	s_or_b64 exec, exec, s[20:21]
	v_cmp_ge_u32_e64 s[20:21], v70, v99
	v_cmp_lt_u32_e64 s[12:13], v70, v99
                                        ; implicit-def: $vgpr14_vgpr15
	s_and_saveexec_b64 s[22:23], s[12:13]
	s_cbranch_execz .LBB10_1110
; %bb.1109:
	v_mov_b32_e32 v71, 0
	v_lshl_add_u64 v[14:15], v[70:71], 3, v[64:65]
	flat_load_dwordx2 v[14:15], v[14:15]
.LBB10_1110:
	s_or_b64 exec, exec, s[22:23]
	s_or_b64 s[12:13], s[16:17], s[20:21]
	s_xor_b64 s[12:13], s[12:13], -1
	s_and_saveexec_b64 s[16:17], s[12:13]
	s_cbranch_execz .LBB10_1118
; %bb.1111:
	s_mov_b64 s[12:13], 0
	s_and_saveexec_b64 s[22:23], s[8:9]
	s_cbranch_execz .LBB10_1117
; %bb.1112:
	s_waitcnt vmcnt(0) lgkmcnt(0)
	v_mad_u64_u32 v[16:17], s[12:13], v12, v6, v[8:9]
	v_mul_lo_u32 v18, v12, v7
	v_mul_lo_u32 v19, v13, v6
	v_add3_u32 v17, v19, v17, v18
	v_mad_u64_u32 v[18:19], s[12:13], v14, v6, v[8:9]
	v_mul_lo_u32 v20, v14, v7
	v_mul_lo_u32 v21, v15, v6
	v_add3_u32 v19, v21, v19, v20
	s_mov_b64 s[24:25], 0
	v_mov_b64_e32 v[20:21], v[6:7]
                                        ; implicit-def: $sgpr26_sgpr27
                                        ; implicit-def: $sgpr28_sgpr29
                                        ; implicit-def: $sgpr38_sgpr39
                                        ; implicit-def: $sgpr40_sgpr41
                                        ; implicit-def: $sgpr12_sgpr13
	s_branch .LBB10_1114
.LBB10_1113:                            ;   in Loop: Header=BB10_1114 Depth=1
	s_or_b64 exec, exec, s[42:43]
	s_and_b64 s[42:43], exec, s[28:29]
	s_or_b64 s[24:25], s[42:43], s[24:25]
	s_andn2_b64 s[12:13], s[12:13], exec
	s_and_b64 s[42:43], s[38:39], exec
	s_or_b64 s[12:13], s[12:13], s[42:43]
	s_andn2_b64 s[26:27], s[26:27], exec
	s_and_b64 s[42:43], s[40:41], exec
	s_or_b64 s[26:27], s[26:27], s[42:43]
	s_andn2_b64 exec, exec, s[24:25]
	s_cbranch_execz .LBB10_1116
.LBB10_1114:                            ; =>This Inner Loop Header: Depth=1
	flat_load_ubyte v22, v[18:19]
	flat_load_ubyte v23, v[16:17]
	s_andn2_b64 s[40:41], s[40:41], exec
	s_andn2_b64 s[38:39], s[38:39], exec
	s_or_b64 s[28:29], s[28:29], exec
	s_waitcnt vmcnt(0) lgkmcnt(0)
	v_cmp_le_u16_sdwa s[44:45], v22, v23 src0_sel:BYTE_0 src1_sel:BYTE_0
	v_cmp_lt_u16_sdwa s[42:43], v22, v23 src0_sel:BYTE_0 src1_sel:BYTE_0
	s_and_b64 s[44:45], s[44:45], s[12:13]
	s_or_b64 s[44:45], s[42:43], s[44:45]
	s_and_b64 s[42:43], s[44:45], exec
	v_cmp_eq_u16_sdwa s[46:47], v22, v23 src0_sel:BYTE_0 src1_sel:BYTE_0
	s_or_b64 s[40:41], s[40:41], s[42:43]
	s_and_saveexec_b64 s[42:43], s[46:47]
	s_cbranch_execz .LBB10_1113
; %bb.1115:                             ;   in Loop: Header=BB10_1114 Depth=1
	v_lshl_add_u64 v[20:21], v[20:21], 0, -1
	v_cmp_eq_u64_e64 s[12:13], 0, v[20:21]
	s_andn2_b64 s[38:39], s[38:39], exec
	s_and_b64 s[44:45], s[44:45], exec
	s_andn2_b64 s[28:29], s[28:29], exec
	s_and_b64 s[12:13], s[12:13], exec
	v_lshl_add_u64 v[16:17], v[16:17], 0, 1
	v_lshl_add_u64 v[18:19], v[18:19], 0, 1
	s_andn2_b64 s[40:41], s[40:41], exec
	s_or_b64 s[38:39], s[38:39], s[44:45]
	s_or_b64 s[28:29], s[28:29], s[12:13]
                                        ; implicit-def: $sgpr12_sgpr13
	s_branch .LBB10_1113
.LBB10_1116:
	s_or_b64 exec, exec, s[24:25]
	s_and_b64 s[12:13], s[26:27], exec
.LBB10_1117:
	s_or_b64 exec, exec, s[22:23]
	s_xor_b64 s[12:13], s[12:13], -1
	s_andn2_b64 s[20:21], s[20:21], exec
	s_and_b64 s[12:13], s[12:13], exec
	s_or_b64 s[20:21], s[20:21], s[12:13]
.LBB10_1118:
	s_or_b64 exec, exec, s[16:17]
	v_cndmask_b32_e64 v16, v70, v68, s[20:21]
	v_cndmask_b32_e64 v17, v99, v98, s[20:21]
	v_add_u32_e32 v20, 1, v16
	v_add_u32_e32 v16, -1, v17
	v_min_u32_e32 v16, v20, v16
	v_mov_b32_e32 v17, 0
	v_lshl_add_u64 v[18:19], v[16:17], 3, v[64:65]
	flat_load_dwordx2 v[18:19], v[18:19]
	v_cndmask_b32_e64 v27, v20, v70, s[20:21]
	s_mov_b64 s[16:17], -1
	v_cndmask_b32_e64 v68, v68, v20, s[20:21]
	v_cmp_lt_u32_e64 s[12:13], v27, v99
	s_mov_b64 s[22:23], -1
	s_waitcnt vmcnt(0) lgkmcnt(0)
	v_cndmask_b32_e64 v24, v19, v15, s[20:21]
	v_cndmask_b32_e64 v25, v18, v14, s[20:21]
	;; [unrolled: 1-line block ×4, first 2 shown]
	s_and_saveexec_b64 s[24:25], s[12:13]
	s_cbranch_execz .LBB10_1128
; %bb.1119:
	v_cmp_lt_u32_e64 s[12:13], v68, v98
	s_mov_b64 s[26:27], 0
	s_and_saveexec_b64 s[22:23], s[12:13]
	s_cbranch_execz .LBB10_1127
; %bb.1120:
	s_mov_b64 s[12:13], 0
	s_and_saveexec_b64 s[26:27], s[8:9]
	s_cbranch_execz .LBB10_1126
; %bb.1121:
	v_mad_u64_u32 v[18:19], s[12:13], v70, v6, v[8:9]
	v_mul_lo_u32 v16, v70, v7
	v_mul_lo_u32 v20, v26, v6
	v_add3_u32 v19, v20, v19, v16
	v_mad_u64_u32 v[20:21], s[12:13], v25, v6, v[8:9]
	v_mul_lo_u32 v16, v25, v7
	v_mul_lo_u32 v22, v24, v6
	v_add3_u32 v21, v22, v21, v16
	s_mov_b64 s[28:29], 0
	v_mov_b64_e32 v[22:23], v[6:7]
                                        ; implicit-def: $sgpr38_sgpr39
                                        ; implicit-def: $sgpr40_sgpr41
                                        ; implicit-def: $sgpr42_sgpr43
                                        ; implicit-def: $sgpr44_sgpr45
                                        ; implicit-def: $sgpr12_sgpr13
	s_branch .LBB10_1123
.LBB10_1122:                            ;   in Loop: Header=BB10_1123 Depth=1
	s_or_b64 exec, exec, s[46:47]
	s_and_b64 s[46:47], exec, s[40:41]
	s_or_b64 s[28:29], s[46:47], s[28:29]
	s_andn2_b64 s[12:13], s[12:13], exec
	s_and_b64 s[46:47], s[42:43], exec
	s_or_b64 s[12:13], s[12:13], s[46:47]
	s_andn2_b64 s[38:39], s[38:39], exec
	s_and_b64 s[46:47], s[44:45], exec
	s_or_b64 s[38:39], s[38:39], s[46:47]
	s_andn2_b64 exec, exec, s[28:29]
	s_cbranch_execz .LBB10_1125
.LBB10_1123:                            ; =>This Inner Loop Header: Depth=1
	flat_load_ubyte v16, v[20:21]
	flat_load_ubyte v69, v[18:19]
	s_andn2_b64 s[44:45], s[44:45], exec
	s_andn2_b64 s[42:43], s[42:43], exec
	s_or_b64 s[40:41], s[40:41], exec
	s_waitcnt vmcnt(0) lgkmcnt(0)
	v_cmp_le_u16_sdwa s[48:49], v16, v69 src0_sel:BYTE_0 src1_sel:BYTE_0
	v_cmp_lt_u16_sdwa s[46:47], v16, v69 src0_sel:BYTE_0 src1_sel:BYTE_0
	s_and_b64 s[48:49], s[48:49], s[12:13]
	s_or_b64 s[48:49], s[46:47], s[48:49]
	s_and_b64 s[46:47], s[48:49], exec
	v_cmp_eq_u16_sdwa s[50:51], v16, v69 src0_sel:BYTE_0 src1_sel:BYTE_0
	s_or_b64 s[44:45], s[44:45], s[46:47]
	s_and_saveexec_b64 s[46:47], s[50:51]
	s_cbranch_execz .LBB10_1122
; %bb.1124:                             ;   in Loop: Header=BB10_1123 Depth=1
	v_lshl_add_u64 v[22:23], v[22:23], 0, -1
	v_cmp_eq_u64_e64 s[12:13], 0, v[22:23]
	s_andn2_b64 s[42:43], s[42:43], exec
	s_and_b64 s[48:49], s[48:49], exec
	s_andn2_b64 s[40:41], s[40:41], exec
	s_and_b64 s[12:13], s[12:13], exec
	v_lshl_add_u64 v[18:19], v[18:19], 0, 1
	v_lshl_add_u64 v[20:21], v[20:21], 0, 1
	s_andn2_b64 s[44:45], s[44:45], exec
	s_or_b64 s[42:43], s[42:43], s[48:49]
	s_or_b64 s[40:41], s[40:41], s[12:13]
                                        ; implicit-def: $sgpr12_sgpr13
	s_branch .LBB10_1122
.LBB10_1125:
	s_or_b64 exec, exec, s[28:29]
	s_and_b64 s[12:13], s[38:39], exec
.LBB10_1126:
	s_or_b64 exec, exec, s[26:27]
	s_xor_b64 s[12:13], s[12:13], -1
	s_and_b64 s[26:27], s[12:13], exec
.LBB10_1127:
	s_or_b64 exec, exec, s[22:23]
	s_orn2_b64 s[22:23], s[26:27], exec
.LBB10_1128:
	s_or_b64 exec, exec, s[24:25]
	v_cndmask_b32_e64 v16, v27, v68, s[22:23]
	v_cndmask_b32_e64 v18, v99, v98, s[22:23]
	v_add_u32_e32 v19, 1, v16
	v_add_u32_e32 v16, -1, v18
	v_min_u32_e32 v16, v19, v16
	v_lshl_add_u64 v[16:17], v[16:17], 3, v[64:65]
	flat_load_dwordx2 v[16:17], v[16:17]
	v_cndmask_b32_e64 v22, v19, v27, s[22:23]
	v_cndmask_b32_e64 v23, v68, v19, s[22:23]
	v_cmp_lt_u32_e64 s[12:13], v22, v99
	s_waitcnt vmcnt(0) lgkmcnt(0)
	v_cndmask_b32_e64 v27, v17, v24, s[22:23]
	v_cndmask_b32_e64 v71, v16, v25, s[22:23]
	;; [unrolled: 1-line block ×4, first 2 shown]
	s_and_saveexec_b64 s[24:25], s[12:13]
	s_cbranch_execz .LBB10_1138
; %bb.1129:
	v_cmp_lt_u32_e64 s[12:13], v23, v98
	s_mov_b64 s[26:27], 0
	s_and_saveexec_b64 s[16:17], s[12:13]
	s_cbranch_execz .LBB10_1137
; %bb.1130:
	s_mov_b64 s[12:13], 0
	s_and_saveexec_b64 s[26:27], s[8:9]
	s_cbranch_execz .LBB10_1136
; %bb.1131:
	v_mad_u64_u32 v[16:17], s[12:13], v81, v6, v[8:9]
	v_mul_lo_u32 v18, v81, v7
	v_mul_lo_u32 v19, v80, v6
	v_add3_u32 v17, v19, v17, v18
	v_mad_u64_u32 v[18:19], s[12:13], v71, v6, v[8:9]
	v_mul_lo_u32 v20, v71, v7
	v_mul_lo_u32 v21, v27, v6
	v_add3_u32 v19, v21, v19, v20
	s_mov_b64 s[28:29], 0
	v_mov_b64_e32 v[20:21], v[6:7]
                                        ; implicit-def: $sgpr38_sgpr39
                                        ; implicit-def: $sgpr40_sgpr41
                                        ; implicit-def: $sgpr42_sgpr43
                                        ; implicit-def: $sgpr44_sgpr45
                                        ; implicit-def: $sgpr12_sgpr13
	s_branch .LBB10_1133
.LBB10_1132:                            ;   in Loop: Header=BB10_1133 Depth=1
	s_or_b64 exec, exec, s[46:47]
	s_and_b64 s[46:47], exec, s[40:41]
	s_or_b64 s[28:29], s[46:47], s[28:29]
	s_andn2_b64 s[12:13], s[12:13], exec
	s_and_b64 s[46:47], s[42:43], exec
	s_or_b64 s[12:13], s[12:13], s[46:47]
	s_andn2_b64 s[38:39], s[38:39], exec
	s_and_b64 s[46:47], s[44:45], exec
	s_or_b64 s[38:39], s[38:39], s[46:47]
	s_andn2_b64 exec, exec, s[28:29]
	s_cbranch_execz .LBB10_1135
.LBB10_1133:                            ; =>This Inner Loop Header: Depth=1
	flat_load_ubyte v68, v[18:19]
	flat_load_ubyte v69, v[16:17]
	s_andn2_b64 s[44:45], s[44:45], exec
	s_andn2_b64 s[42:43], s[42:43], exec
	s_or_b64 s[40:41], s[40:41], exec
	s_waitcnt vmcnt(0) lgkmcnt(0)
	v_cmp_le_u16_sdwa s[48:49], v68, v69 src0_sel:BYTE_0 src1_sel:BYTE_0
	v_cmp_lt_u16_sdwa s[46:47], v68, v69 src0_sel:BYTE_0 src1_sel:BYTE_0
	s_and_b64 s[48:49], s[48:49], s[12:13]
	s_or_b64 s[48:49], s[46:47], s[48:49]
	s_and_b64 s[46:47], s[48:49], exec
	v_cmp_eq_u16_sdwa s[50:51], v68, v69 src0_sel:BYTE_0 src1_sel:BYTE_0
	s_or_b64 s[44:45], s[44:45], s[46:47]
	s_and_saveexec_b64 s[46:47], s[50:51]
	s_cbranch_execz .LBB10_1132
; %bb.1134:                             ;   in Loop: Header=BB10_1133 Depth=1
	v_lshl_add_u64 v[20:21], v[20:21], 0, -1
	v_cmp_eq_u64_e64 s[12:13], 0, v[20:21]
	s_andn2_b64 s[42:43], s[42:43], exec
	s_and_b64 s[48:49], s[48:49], exec
	s_andn2_b64 s[40:41], s[40:41], exec
	s_and_b64 s[12:13], s[12:13], exec
	v_lshl_add_u64 v[16:17], v[16:17], 0, 1
	v_lshl_add_u64 v[18:19], v[18:19], 0, 1
	s_andn2_b64 s[44:45], s[44:45], exec
	s_or_b64 s[42:43], s[42:43], s[48:49]
	s_or_b64 s[40:41], s[40:41], s[12:13]
                                        ; implicit-def: $sgpr12_sgpr13
	s_branch .LBB10_1132
.LBB10_1135:
	s_or_b64 exec, exec, s[28:29]
	s_and_b64 s[12:13], s[38:39], exec
.LBB10_1136:
	s_or_b64 exec, exec, s[26:27]
	s_xor_b64 s[12:13], s[12:13], -1
	s_and_b64 s[26:27], s[12:13], exec
.LBB10_1137:
	s_or_b64 exec, exec, s[16:17]
	s_orn2_b64 s[16:17], s[26:27], exec
.LBB10_1138:
	s_or_b64 exec, exec, s[24:25]
	v_cndmask_b32_e64 v16, v22, v23, s[16:17]
	v_cndmask_b32_e64 v17, v99, v98, s[16:17]
	v_add_u32_e32 v20, 1, v16
	v_add_u32_e32 v16, -1, v17
	v_min_u32_e32 v16, v20, v16
	v_mov_b32_e32 v17, 0
	v_lshl_add_u64 v[18:19], v[16:17], 3, v[64:65]
	flat_load_dwordx2 v[18:19], v[18:19]
	v_cndmask_b32_e64 v68, v20, v22, s[16:17]
	s_mov_b64 s[24:25], -1
	v_cndmask_b32_e64 v69, v23, v20, s[16:17]
	v_cmp_lt_u32_e64 s[12:13], v68, v99
	s_mov_b64 s[26:27], -1
	s_waitcnt vmcnt(0) lgkmcnt(0)
	v_cndmask_b32_e64 v82, v19, v27, s[16:17]
	v_cndmask_b32_e64 v83, v18, v71, s[16:17]
	;; [unrolled: 1-line block ×4, first 2 shown]
	s_and_saveexec_b64 s[28:29], s[12:13]
	s_cbranch_execz .LBB10_1148
; %bb.1139:
	v_cmp_lt_u32_e64 s[12:13], v69, v98
	s_mov_b64 s[38:39], 0
	s_and_saveexec_b64 s[26:27], s[12:13]
	s_cbranch_execz .LBB10_1147
; %bb.1140:
	s_mov_b64 s[12:13], -1
	s_and_saveexec_b64 s[38:39], s[8:9]
	s_cbranch_execz .LBB10_1146
; %bb.1141:
	v_mad_u64_u32 v[18:19], s[12:13], v85, v6, v[8:9]
	v_mul_lo_u32 v16, v85, v7
	v_mul_lo_u32 v20, v84, v6
	v_add3_u32 v19, v20, v19, v16
	v_mad_u64_u32 v[20:21], s[12:13], v83, v6, v[8:9]
	v_mul_lo_u32 v16, v83, v7
	v_mul_lo_u32 v22, v82, v6
	v_add3_u32 v21, v22, v21, v16
	s_mov_b64 s[40:41], 0
	v_mov_b64_e32 v[22:23], v[6:7]
                                        ; implicit-def: $sgpr42_sgpr43
                                        ; implicit-def: $sgpr44_sgpr45
                                        ; implicit-def: $sgpr48_sgpr49
                                        ; implicit-def: $sgpr46_sgpr47
                                        ; implicit-def: $sgpr12_sgpr13
	s_branch .LBB10_1143
.LBB10_1142:                            ;   in Loop: Header=BB10_1143 Depth=1
	s_or_b64 exec, exec, s[50:51]
	s_and_b64 s[50:51], exec, s[44:45]
	s_or_b64 s[40:41], s[50:51], s[40:41]
	s_andn2_b64 s[12:13], s[12:13], exec
	s_and_b64 s[50:51], s[46:47], exec
	s_or_b64 s[12:13], s[12:13], s[50:51]
	s_andn2_b64 s[42:43], s[42:43], exec
	s_and_b64 s[50:51], s[48:49], exec
	s_or_b64 s[42:43], s[42:43], s[50:51]
	s_andn2_b64 exec, exec, s[40:41]
	s_cbranch_execz .LBB10_1145
.LBB10_1143:                            ; =>This Inner Loop Header: Depth=1
	flat_load_ubyte v16, v[20:21]
	flat_load_ubyte v86, v[18:19]
	s_andn2_b64 s[48:49], s[48:49], exec
	s_andn2_b64 s[46:47], s[46:47], exec
	s_or_b64 s[44:45], s[44:45], exec
	s_waitcnt vmcnt(0) lgkmcnt(0)
	v_cmp_le_u16_sdwa s[52:53], v16, v86 src0_sel:BYTE_0 src1_sel:BYTE_0
	v_cmp_lt_u16_sdwa s[50:51], v16, v86 src0_sel:BYTE_0 src1_sel:BYTE_0
	s_and_b64 s[52:53], s[52:53], s[12:13]
	s_or_b64 s[52:53], s[50:51], s[52:53]
	s_and_b64 s[50:51], s[52:53], exec
	v_cmp_eq_u16_sdwa s[54:55], v16, v86 src0_sel:BYTE_0 src1_sel:BYTE_0
	s_or_b64 s[48:49], s[48:49], s[50:51]
	s_and_saveexec_b64 s[50:51], s[54:55]
	s_cbranch_execz .LBB10_1142
; %bb.1144:                             ;   in Loop: Header=BB10_1143 Depth=1
	v_lshl_add_u64 v[22:23], v[22:23], 0, -1
	v_cmp_eq_u64_e64 s[12:13], 0, v[22:23]
	s_andn2_b64 s[46:47], s[46:47], exec
	s_and_b64 s[52:53], s[52:53], exec
	s_andn2_b64 s[44:45], s[44:45], exec
	s_and_b64 s[12:13], s[12:13], exec
	v_lshl_add_u64 v[18:19], v[18:19], 0, 1
	v_lshl_add_u64 v[20:21], v[20:21], 0, 1
	s_or_b64 s[46:47], s[46:47], s[52:53]
	s_andn2_b64 s[48:49], s[48:49], exec
	s_or_b64 s[44:45], s[44:45], s[12:13]
                                        ; implicit-def: $sgpr12_sgpr13
	s_branch .LBB10_1142
.LBB10_1145:
	s_or_b64 exec, exec, s[40:41]
	s_xor_b64 s[12:13], s[42:43], -1
	s_orn2_b64 s[12:13], s[12:13], exec
.LBB10_1146:
	s_or_b64 exec, exec, s[38:39]
	s_and_b64 s[38:39], s[12:13], exec
.LBB10_1147:
	s_or_b64 exec, exec, s[26:27]
	s_orn2_b64 s[26:27], s[38:39], exec
.LBB10_1148:
	s_or_b64 exec, exec, s[28:29]
	v_cndmask_b32_e64 v16, v68, v69, s[26:27]
	v_cndmask_b32_e64 v18, v99, v98, s[26:27]
	v_add_u32_e32 v19, 1, v16
	v_add_u32_e32 v16, -1, v18
	v_min_u32_e32 v16, v19, v16
	v_lshl_add_u64 v[16:17], v[16:17], 3, v[64:65]
	flat_load_dwordx2 v[16:17], v[16:17]
	v_cndmask_b32_e64 v22, v19, v68, s[26:27]
	v_cndmask_b32_e64 v23, v69, v19, s[26:27]
	v_cmp_lt_u32_e64 s[12:13], v22, v99
	s_waitcnt vmcnt(0) lgkmcnt(0)
	v_cndmask_b32_e64 v86, v17, v82, s[26:27]
	v_cndmask_b32_e64 v87, v16, v83, s[26:27]
	;; [unrolled: 1-line block ×4, first 2 shown]
	s_and_saveexec_b64 s[28:29], s[12:13]
	s_cbranch_execz .LBB10_1158
; %bb.1149:
	v_cmp_lt_u32_e64 s[12:13], v23, v98
	s_mov_b64 s[38:39], 0
	s_and_saveexec_b64 s[24:25], s[12:13]
	s_cbranch_execz .LBB10_1157
; %bb.1150:
	s_mov_b64 s[12:13], -1
	s_and_saveexec_b64 s[38:39], s[8:9]
	s_cbranch_execz .LBB10_1156
; %bb.1151:
	v_mad_u64_u32 v[16:17], s[12:13], v97, v6, v[8:9]
	v_mul_lo_u32 v18, v97, v7
	v_mul_lo_u32 v19, v96, v6
	v_add3_u32 v17, v19, v17, v18
	v_mad_u64_u32 v[18:19], s[12:13], v87, v6, v[8:9]
	v_mul_lo_u32 v20, v87, v7
	v_mul_lo_u32 v21, v86, v6
	v_add3_u32 v19, v21, v19, v20
	s_mov_b64 s[40:41], 0
	v_mov_b64_e32 v[20:21], v[6:7]
                                        ; implicit-def: $sgpr42_sgpr43
                                        ; implicit-def: $sgpr44_sgpr45
                                        ; implicit-def: $sgpr48_sgpr49
                                        ; implicit-def: $sgpr46_sgpr47
                                        ; implicit-def: $sgpr12_sgpr13
	s_branch .LBB10_1153
.LBB10_1152:                            ;   in Loop: Header=BB10_1153 Depth=1
	s_or_b64 exec, exec, s[50:51]
	s_and_b64 s[50:51], exec, s[44:45]
	s_or_b64 s[40:41], s[50:51], s[40:41]
	s_andn2_b64 s[12:13], s[12:13], exec
	s_and_b64 s[50:51], s[46:47], exec
	s_or_b64 s[12:13], s[12:13], s[50:51]
	s_andn2_b64 s[42:43], s[42:43], exec
	s_and_b64 s[50:51], s[48:49], exec
	s_or_b64 s[42:43], s[42:43], s[50:51]
	s_andn2_b64 exec, exec, s[40:41]
	s_cbranch_execz .LBB10_1155
.LBB10_1153:                            ; =>This Inner Loop Header: Depth=1
	flat_load_ubyte v68, v[18:19]
	flat_load_ubyte v69, v[16:17]
	s_andn2_b64 s[48:49], s[48:49], exec
	s_andn2_b64 s[46:47], s[46:47], exec
	s_or_b64 s[44:45], s[44:45], exec
	s_waitcnt vmcnt(0) lgkmcnt(0)
	v_cmp_le_u16_sdwa s[52:53], v68, v69 src0_sel:BYTE_0 src1_sel:BYTE_0
	v_cmp_lt_u16_sdwa s[50:51], v68, v69 src0_sel:BYTE_0 src1_sel:BYTE_0
	s_and_b64 s[52:53], s[52:53], s[12:13]
	s_or_b64 s[52:53], s[50:51], s[52:53]
	s_and_b64 s[50:51], s[52:53], exec
	v_cmp_eq_u16_sdwa s[54:55], v68, v69 src0_sel:BYTE_0 src1_sel:BYTE_0
	s_or_b64 s[48:49], s[48:49], s[50:51]
	s_and_saveexec_b64 s[50:51], s[54:55]
	s_cbranch_execz .LBB10_1152
; %bb.1154:                             ;   in Loop: Header=BB10_1153 Depth=1
	v_lshl_add_u64 v[20:21], v[20:21], 0, -1
	v_cmp_eq_u64_e64 s[12:13], 0, v[20:21]
	s_andn2_b64 s[46:47], s[46:47], exec
	s_and_b64 s[52:53], s[52:53], exec
	s_andn2_b64 s[44:45], s[44:45], exec
	s_and_b64 s[12:13], s[12:13], exec
	v_lshl_add_u64 v[16:17], v[16:17], 0, 1
	v_lshl_add_u64 v[18:19], v[18:19], 0, 1
	s_or_b64 s[46:47], s[46:47], s[52:53]
	s_andn2_b64 s[48:49], s[48:49], exec
	s_or_b64 s[44:45], s[44:45], s[12:13]
                                        ; implicit-def: $sgpr12_sgpr13
	s_branch .LBB10_1152
.LBB10_1155:
	s_or_b64 exec, exec, s[40:41]
	s_xor_b64 s[12:13], s[42:43], -1
	s_orn2_b64 s[12:13], s[12:13], exec
.LBB10_1156:
	s_or_b64 exec, exec, s[38:39]
	s_and_b64 s[38:39], s[12:13], exec
.LBB10_1157:
	s_or_b64 exec, exec, s[24:25]
	s_orn2_b64 s[24:25], s[38:39], exec
.LBB10_1158:
	s_or_b64 exec, exec, s[28:29]
	v_cndmask_b32_e64 v16, v22, v23, s[24:25]
	v_cndmask_b32_e64 v17, v99, v98, s[24:25]
	v_add_u32_e32 v20, 1, v16
	v_add_u32_e32 v16, -1, v17
	v_min_u32_e32 v16, v20, v16
	v_mov_b32_e32 v17, 0
	v_lshl_add_u64 v[18:19], v[16:17], 3, v[64:65]
	flat_load_dwordx2 v[18:19], v[18:19]
	v_cndmask_b32_e64 v68, v20, v22, s[24:25]
	s_mov_b64 s[28:29], -1
	v_cndmask_b32_e64 v69, v23, v20, s[24:25]
	v_cmp_lt_u32_e64 s[12:13], v68, v99
	s_mov_b64 s[38:39], -1
	s_waitcnt vmcnt(0) lgkmcnt(0)
	v_cndmask_b32_e64 v100, v19, v86, s[24:25]
	v_cndmask_b32_e64 v101, v18, v87, s[24:25]
	;; [unrolled: 1-line block ×4, first 2 shown]
	s_and_saveexec_b64 s[40:41], s[12:13]
	s_cbranch_execz .LBB10_1168
; %bb.1159:
	v_cmp_lt_u32_e64 s[12:13], v69, v98
	s_mov_b64 s[42:43], 0
	s_and_saveexec_b64 s[38:39], s[12:13]
	s_cbranch_execz .LBB10_1167
; %bb.1160:
	s_mov_b64 s[12:13], -1
	s_and_saveexec_b64 s[42:43], s[8:9]
	s_cbranch_execz .LBB10_1166
; %bb.1161:
	v_mad_u64_u32 v[18:19], s[12:13], v103, v6, v[8:9]
	v_mul_lo_u32 v16, v103, v7
	v_mul_lo_u32 v20, v102, v6
	v_add3_u32 v19, v20, v19, v16
	v_mad_u64_u32 v[20:21], s[12:13], v101, v6, v[8:9]
	v_mul_lo_u32 v16, v101, v7
	v_mul_lo_u32 v22, v100, v6
	v_add3_u32 v21, v22, v21, v16
	s_mov_b64 s[44:45], 0
	v_mov_b64_e32 v[22:23], v[6:7]
                                        ; implicit-def: $sgpr46_sgpr47
                                        ; implicit-def: $sgpr48_sgpr49
                                        ; implicit-def: $sgpr52_sgpr53
                                        ; implicit-def: $sgpr50_sgpr51
                                        ; implicit-def: $sgpr12_sgpr13
	s_branch .LBB10_1163
.LBB10_1162:                            ;   in Loop: Header=BB10_1163 Depth=1
	s_or_b64 exec, exec, s[54:55]
	s_and_b64 s[54:55], exec, s[48:49]
	s_or_b64 s[44:45], s[54:55], s[44:45]
	s_andn2_b64 s[12:13], s[12:13], exec
	s_and_b64 s[54:55], s[50:51], exec
	s_or_b64 s[12:13], s[12:13], s[54:55]
	s_andn2_b64 s[46:47], s[46:47], exec
	s_and_b64 s[54:55], s[52:53], exec
	s_or_b64 s[46:47], s[46:47], s[54:55]
	s_andn2_b64 exec, exec, s[44:45]
	s_cbranch_execz .LBB10_1165
.LBB10_1163:                            ; =>This Inner Loop Header: Depth=1
	flat_load_ubyte v16, v[20:21]
	flat_load_ubyte v112, v[18:19]
	s_andn2_b64 s[52:53], s[52:53], exec
	s_andn2_b64 s[50:51], s[50:51], exec
	s_or_b64 s[48:49], s[48:49], exec
	s_waitcnt vmcnt(0) lgkmcnt(0)
	v_cmp_le_u16_sdwa s[56:57], v16, v112 src0_sel:BYTE_0 src1_sel:BYTE_0
	v_cmp_lt_u16_sdwa s[54:55], v16, v112 src0_sel:BYTE_0 src1_sel:BYTE_0
	s_and_b64 s[56:57], s[56:57], s[12:13]
	s_or_b64 s[56:57], s[54:55], s[56:57]
	s_and_b64 s[54:55], s[56:57], exec
	v_cmp_eq_u16_sdwa s[58:59], v16, v112 src0_sel:BYTE_0 src1_sel:BYTE_0
	s_or_b64 s[52:53], s[52:53], s[54:55]
	s_and_saveexec_b64 s[54:55], s[58:59]
	s_cbranch_execz .LBB10_1162
; %bb.1164:                             ;   in Loop: Header=BB10_1163 Depth=1
	v_lshl_add_u64 v[22:23], v[22:23], 0, -1
	v_cmp_eq_u64_e64 s[12:13], 0, v[22:23]
	s_andn2_b64 s[50:51], s[50:51], exec
	s_and_b64 s[56:57], s[56:57], exec
	s_andn2_b64 s[48:49], s[48:49], exec
	s_and_b64 s[12:13], s[12:13], exec
	v_lshl_add_u64 v[18:19], v[18:19], 0, 1
	v_lshl_add_u64 v[20:21], v[20:21], 0, 1
	s_or_b64 s[50:51], s[50:51], s[56:57]
	s_andn2_b64 s[52:53], s[52:53], exec
	s_or_b64 s[48:49], s[48:49], s[12:13]
                                        ; implicit-def: $sgpr12_sgpr13
	s_branch .LBB10_1162
.LBB10_1165:
	s_or_b64 exec, exec, s[44:45]
	s_xor_b64 s[12:13], s[46:47], -1
	s_orn2_b64 s[12:13], s[12:13], exec
.LBB10_1166:
	s_or_b64 exec, exec, s[42:43]
	s_and_b64 s[42:43], s[12:13], exec
.LBB10_1167:
	s_or_b64 exec, exec, s[38:39]
	s_orn2_b64 s[38:39], s[42:43], exec
.LBB10_1168:
	s_or_b64 exec, exec, s[40:41]
	v_cndmask_b32_e64 v16, v68, v69, s[38:39]
	v_cndmask_b32_e64 v18, v99, v98, s[38:39]
	v_add_u32_e32 v19, 1, v16
	v_add_u32_e32 v16, -1, v18
	v_min_u32_e32 v16, v19, v16
	v_lshl_add_u64 v[16:17], v[16:17], 3, v[64:65]
	flat_load_dwordx2 v[16:17], v[16:17]
	v_cndmask_b32_e64 v115, v19, v68, s[38:39]
	v_cndmask_b32_e64 v112, v69, v19, s[38:39]
	v_cmp_lt_u32_e64 s[12:13], v115, v99
	s_waitcnt vmcnt(0) lgkmcnt(0)
	v_cndmask_b32_e64 v113, v17, v100, s[38:39]
	v_cndmask_b32_e64 v114, v16, v101, s[38:39]
	;; [unrolled: 1-line block ×4, first 2 shown]
	s_and_saveexec_b64 s[40:41], s[12:13]
	s_cbranch_execz .LBB10_1178
; %bb.1169:
	v_cmp_lt_u32_e64 s[12:13], v112, v98
	s_mov_b64 s[42:43], 0
	s_and_saveexec_b64 s[28:29], s[12:13]
	s_cbranch_execz .LBB10_1177
; %bb.1170:
	s_mov_b64 s[12:13], -1
	s_and_saveexec_b64 s[42:43], s[8:9]
	s_cbranch_execz .LBB10_1176
; %bb.1171:
	v_mad_u64_u32 v[16:17], s[12:13], v117, v6, v[8:9]
	v_mul_lo_u32 v18, v117, v7
	v_mul_lo_u32 v19, v116, v6
	v_add3_u32 v17, v19, v17, v18
	v_mad_u64_u32 v[18:19], s[12:13], v114, v6, v[8:9]
	v_mul_lo_u32 v20, v114, v7
	v_mul_lo_u32 v21, v113, v6
	v_add3_u32 v19, v21, v19, v20
	s_mov_b64 s[44:45], 0
	v_mov_b64_e32 v[20:21], v[6:7]
                                        ; implicit-def: $sgpr46_sgpr47
                                        ; implicit-def: $sgpr48_sgpr49
                                        ; implicit-def: $sgpr52_sgpr53
                                        ; implicit-def: $sgpr50_sgpr51
                                        ; implicit-def: $sgpr12_sgpr13
	s_branch .LBB10_1173
.LBB10_1172:                            ;   in Loop: Header=BB10_1173 Depth=1
	s_or_b64 exec, exec, s[54:55]
	s_and_b64 s[54:55], exec, s[48:49]
	s_or_b64 s[44:45], s[54:55], s[44:45]
	s_andn2_b64 s[12:13], s[12:13], exec
	s_and_b64 s[54:55], s[50:51], exec
	s_or_b64 s[12:13], s[12:13], s[54:55]
	s_andn2_b64 s[46:47], s[46:47], exec
	s_and_b64 s[54:55], s[52:53], exec
	s_or_b64 s[46:47], s[46:47], s[54:55]
	s_andn2_b64 exec, exec, s[44:45]
	s_cbranch_execz .LBB10_1175
.LBB10_1173:                            ; =>This Inner Loop Header: Depth=1
	flat_load_ubyte v22, v[18:19]
	flat_load_ubyte v23, v[16:17]
	s_andn2_b64 s[52:53], s[52:53], exec
	s_andn2_b64 s[50:51], s[50:51], exec
	s_or_b64 s[48:49], s[48:49], exec
	s_waitcnt vmcnt(0) lgkmcnt(0)
	v_cmp_le_u16_sdwa s[56:57], v22, v23 src0_sel:BYTE_0 src1_sel:BYTE_0
	v_cmp_lt_u16_sdwa s[54:55], v22, v23 src0_sel:BYTE_0 src1_sel:BYTE_0
	s_and_b64 s[56:57], s[56:57], s[12:13]
	s_or_b64 s[56:57], s[54:55], s[56:57]
	s_and_b64 s[54:55], s[56:57], exec
	v_cmp_eq_u16_sdwa s[58:59], v22, v23 src0_sel:BYTE_0 src1_sel:BYTE_0
	s_or_b64 s[52:53], s[52:53], s[54:55]
	s_and_saveexec_b64 s[54:55], s[58:59]
	s_cbranch_execz .LBB10_1172
; %bb.1174:                             ;   in Loop: Header=BB10_1173 Depth=1
	v_lshl_add_u64 v[20:21], v[20:21], 0, -1
	v_cmp_eq_u64_e64 s[12:13], 0, v[20:21]
	s_andn2_b64 s[50:51], s[50:51], exec
	s_and_b64 s[56:57], s[56:57], exec
	s_andn2_b64 s[48:49], s[48:49], exec
	s_and_b64 s[12:13], s[12:13], exec
	v_lshl_add_u64 v[16:17], v[16:17], 0, 1
	v_lshl_add_u64 v[18:19], v[18:19], 0, 1
	s_or_b64 s[50:51], s[50:51], s[56:57]
	s_andn2_b64 s[52:53], s[52:53], exec
	s_or_b64 s[48:49], s[48:49], s[12:13]
                                        ; implicit-def: $sgpr12_sgpr13
	s_branch .LBB10_1172
.LBB10_1175:
	s_or_b64 exec, exec, s[44:45]
	s_xor_b64 s[12:13], s[46:47], -1
	s_orn2_b64 s[12:13], s[12:13], exec
.LBB10_1176:
	s_or_b64 exec, exec, s[42:43]
	s_and_b64 s[42:43], s[12:13], exec
.LBB10_1177:
	s_or_b64 exec, exec, s[28:29]
	s_orn2_b64 s[28:29], s[42:43], exec
.LBB10_1178:
	s_or_b64 exec, exec, s[40:41]
	v_cndmask_b32_e64 v16, v115, v112, s[28:29]
	v_cndmask_b32_e64 v17, v99, v98, s[28:29]
	v_add_u32_e32 v118, 1, v16
	v_add_u32_e32 v16, -1, v17
	v_min_u32_e32 v16, v118, v16
	v_mov_b32_e32 v17, 0
	v_lshl_add_u64 v[16:17], v[16:17], 3, v[64:65]
	flat_load_dwordx2 v[68:69], v[16:17]
	v_cndmask_b32_e64 v21, v27, v80, s[16:17]
	v_cndmask_b32_e64 v27, v24, v26, s[22:23]
	;; [unrolled: 1-line block ×15, first 2 shown]
	v_cmp_lt_u32_e64 s[12:13], v70, v99
	s_waitcnt vmcnt(0) lgkmcnt(0)
	v_cndmask_b32_e64 v15, v116, v69, s[28:29]
	v_cndmask_b32_e64 v14, v117, v68, s[28:29]
	s_and_saveexec_b64 s[16:17], s[12:13]
	s_cbranch_execz .LBB10_1188
; %bb.1179:
	v_cndmask_b32_e64 v70, v112, v118, s[28:29]
	v_cndmask_b32_e64 v69, v69, v113, s[28:29]
	;; [unrolled: 1-line block ×3, first 2 shown]
	v_cmp_lt_u32_e64 s[12:13], v70, v98
	s_and_saveexec_b64 s[20:21], s[12:13]
	s_cbranch_execz .LBB10_1187
; %bb.1180:
	s_and_saveexec_b64 s[22:23], s[8:9]
	s_cbranch_execz .LBB10_1186
; %bb.1181:
	v_mad_u64_u32 v[70:71], s[12:13], v14, v6, v[8:9]
	v_mul_lo_u32 v80, v14, v7
	v_mul_lo_u32 v81, v15, v6
	v_add3_u32 v71, v81, v71, v80
	v_mad_u64_u32 v[80:81], s[12:13], v68, v6, v[8:9]
	v_mul_lo_u32 v82, v68, v7
	v_mul_lo_u32 v83, v69, v6
	v_add3_u32 v81, v83, v81, v82
	s_mov_b64 s[24:25], 0
	v_mov_b64_e32 v[82:83], v[6:7]
                                        ; implicit-def: $sgpr26_sgpr27
                                        ; implicit-def: $sgpr28_sgpr29
                                        ; implicit-def: $sgpr40_sgpr41
                                        ; implicit-def: $sgpr38_sgpr39
                                        ; implicit-def: $sgpr12_sgpr13
	s_branch .LBB10_1183
.LBB10_1182:                            ;   in Loop: Header=BB10_1183 Depth=1
	s_or_b64 exec, exec, s[42:43]
	s_and_b64 s[42:43], exec, s[28:29]
	s_or_b64 s[24:25], s[42:43], s[24:25]
	s_andn2_b64 s[12:13], s[12:13], exec
	s_and_b64 s[42:43], s[38:39], exec
	s_or_b64 s[12:13], s[12:13], s[42:43]
	s_andn2_b64 s[26:27], s[26:27], exec
	s_and_b64 s[42:43], s[40:41], exec
	s_or_b64 s[26:27], s[26:27], s[42:43]
	s_andn2_b64 exec, exec, s[24:25]
	s_cbranch_execz .LBB10_1185
.LBB10_1183:                            ; =>This Inner Loop Header: Depth=1
	flat_load_ubyte v84, v[80:81]
	flat_load_ubyte v85, v[70:71]
	s_andn2_b64 s[40:41], s[40:41], exec
	s_andn2_b64 s[38:39], s[38:39], exec
	s_or_b64 s[28:29], s[28:29], exec
	s_waitcnt vmcnt(0) lgkmcnt(0)
	v_cmp_le_u16_sdwa s[44:45], v84, v85 src0_sel:BYTE_0 src1_sel:BYTE_0
	v_cmp_lt_u16_sdwa s[42:43], v84, v85 src0_sel:BYTE_0 src1_sel:BYTE_0
	s_and_b64 s[44:45], s[44:45], s[12:13]
	s_or_b64 s[44:45], s[42:43], s[44:45]
	s_and_b64 s[42:43], s[44:45], exec
	v_cmp_eq_u16_sdwa s[46:47], v84, v85 src0_sel:BYTE_0 src1_sel:BYTE_0
	s_or_b64 s[40:41], s[40:41], s[42:43]
	s_and_saveexec_b64 s[42:43], s[46:47]
	s_cbranch_execz .LBB10_1182
; %bb.1184:                             ;   in Loop: Header=BB10_1183 Depth=1
	v_lshl_add_u64 v[82:83], v[82:83], 0, -1
	v_cmp_eq_u64_e64 s[12:13], 0, v[82:83]
	s_andn2_b64 s[38:39], s[38:39], exec
	s_and_b64 s[44:45], s[44:45], exec
	s_andn2_b64 s[28:29], s[28:29], exec
	s_and_b64 s[12:13], s[12:13], exec
	v_lshl_add_u64 v[70:71], v[70:71], 0, 1
	v_lshl_add_u64 v[80:81], v[80:81], 0, 1
	s_or_b64 s[38:39], s[38:39], s[44:45]
	s_andn2_b64 s[40:41], s[40:41], exec
	s_or_b64 s[28:29], s[28:29], s[12:13]
                                        ; implicit-def: $sgpr12_sgpr13
	s_branch .LBB10_1182
.LBB10_1185:
	s_or_b64 exec, exec, s[24:25]
	v_cndmask_b32_e64 v15, v15, v69, s[26:27]
	v_cndmask_b32_e64 v14, v14, v68, s[26:27]
.LBB10_1186:
	s_or_b64 exec, exec, s[22:23]
	v_mov_b64_e32 v[68:69], v[14:15]
.LBB10_1187:
	s_or_b64 exec, exec, s[20:21]
	v_mov_b64_e32 v[14:15], v[68:69]
.LBB10_1188:
	s_or_b64 exec, exec, s[16:17]
.LBB10_1189:
	s_or_b64 exec, exec, s[18:19]
	v_and_b32_e32 v100, 0x3c0, v31
	v_or_b32_e32 v68, 32, v100
	v_min_u32_e32 v98, v1, v68
	v_add_u32_e32 v68, 32, v98
	v_min_u32_e32 v99, v1, v68
	v_and_b32_e32 v68, 56, v31
	v_min_u32_e32 v101, v1, v68
	v_sub_u32_e32 v68, v98, v100
	v_sub_u32_e32 v69, v99, v98
	v_sub_u32_e64 v102, v101, v69 clamp
	v_min_u32_e32 v103, v101, v68
	v_cmp_lt_u32_e64 s[12:13], v102, v103
	; wave barrier
	flat_store_dwordx4 v[66:67], v[24:27]
	flat_store_dwordx4 v[66:67], v[20:23] offset:16
	flat_store_dwordx4 v[66:67], v[16:19] offset:32
	;; [unrolled: 1-line block ×3, first 2 shown]
	; wave barrier
	s_and_saveexec_b64 s[16:17], s[12:13]
	s_cbranch_execz .LBB10_1199
; %bb.1190:
	v_lshlrev_b32_e32 v68, 3, v100
	v_mov_b32_e32 v69, 0
	v_lshl_add_u64 v[70:71], v[64:65], 0, v[68:69]
	v_lshlrev_b32_e32 v68, 3, v98
	v_lshl_add_u64 v[80:81], v[64:65], 0, v[68:69]
	s_mov_b64 s[18:19], 0
	s_branch .LBB10_1193
.LBB10_1191:                            ;   in Loop: Header=BB10_1193 Depth=1
	s_or_b64 exec, exec, s[22:23]
	s_and_b64 s[12:13], s[24:25], exec
.LBB10_1192:                            ;   in Loop: Header=BB10_1193 Depth=1
	s_or_b64 exec, exec, s[20:21]
	v_add_u32_e32 v68, 1, v82
	v_cndmask_b32_e64 v103, v103, v82, s[12:13]
	v_cndmask_b32_e64 v102, v68, v102, s[12:13]
	v_cmp_ge_u32_e64 s[12:13], v102, v103
	s_or_b64 s[18:19], s[12:13], s[18:19]
	s_andn2_b64 exec, exec, s[18:19]
	s_cbranch_execz .LBB10_1198
.LBB10_1193:                            ; =>This Loop Header: Depth=1
                                        ;     Child Loop BB10_1196 Depth 2
	v_add_u32_e32 v68, v103, v102
	v_lshrrev_b32_e32 v82, 1, v68
	s_mov_b64 s[12:13], 0
	s_and_saveexec_b64 s[20:21], s[8:9]
	s_cbranch_execz .LBB10_1192
; %bb.1194:                             ;   in Loop: Header=BB10_1193 Depth=1
	v_mov_b32_e32 v83, v69
	v_xad_u32 v68, v82, -1, v101
	v_lshl_add_u64 v[84:85], v[82:83], 3, v[70:71]
	v_lshl_add_u64 v[86:87], v[68:69], 3, v[80:81]
	flat_load_dwordx2 v[84:85], v[84:85]
	s_mov_b64 s[22:23], 0
	flat_load_dwordx2 v[86:87], v[86:87]
                                        ; implicit-def: $sgpr24_sgpr25
                                        ; implicit-def: $sgpr26_sgpr27
                                        ; implicit-def: $sgpr28_sgpr29
                                        ; implicit-def: $sgpr38_sgpr39
                                        ; implicit-def: $sgpr12_sgpr13
	s_waitcnt vmcnt(0) lgkmcnt(0)
	v_mul_lo_u32 v68, v84, v7
	v_mul_lo_u32 v83, v85, v6
	v_mad_u64_u32 v[84:85], s[40:41], v84, v6, v[8:9]
	v_mul_lo_u32 v96, v86, v7
	v_mul_lo_u32 v97, v87, v6
	v_mad_u64_u32 v[86:87], s[40:41], v86, v6, v[8:9]
	v_add3_u32 v85, v83, v85, v68
	v_add3_u32 v87, v97, v87, v96
	v_mov_b64_e32 v[96:97], v[6:7]
	s_branch .LBB10_1196
.LBB10_1195:                            ;   in Loop: Header=BB10_1196 Depth=2
	s_or_b64 exec, exec, s[40:41]
	s_and_b64 s[40:41], exec, s[26:27]
	s_or_b64 s[22:23], s[40:41], s[22:23]
	s_andn2_b64 s[12:13], s[12:13], exec
	s_and_b64 s[40:41], s[28:29], exec
	s_or_b64 s[12:13], s[12:13], s[40:41]
	s_andn2_b64 s[24:25], s[24:25], exec
	s_and_b64 s[40:41], s[38:39], exec
	s_or_b64 s[24:25], s[24:25], s[40:41]
	s_andn2_b64 exec, exec, s[22:23]
	s_cbranch_execz .LBB10_1191
.LBB10_1196:                            ;   Parent Loop BB10_1193 Depth=1
                                        ; =>  This Inner Loop Header: Depth=2
	flat_load_ubyte v68, v[86:87]
	flat_load_ubyte v83, v[84:85]
	s_andn2_b64 s[38:39], s[38:39], exec
	s_andn2_b64 s[28:29], s[28:29], exec
	s_or_b64 s[26:27], s[26:27], exec
	s_waitcnt vmcnt(0) lgkmcnt(0)
	v_cmp_le_u16_sdwa s[42:43], v68, v83 src0_sel:BYTE_0 src1_sel:BYTE_0
	v_cmp_lt_u16_sdwa s[40:41], v68, v83 src0_sel:BYTE_0 src1_sel:BYTE_0
	s_and_b64 s[42:43], s[42:43], s[12:13]
	s_or_b64 s[42:43], s[40:41], s[42:43]
	s_and_b64 s[40:41], s[42:43], exec
	v_cmp_eq_u16_sdwa s[44:45], v68, v83 src0_sel:BYTE_0 src1_sel:BYTE_0
	s_or_b64 s[38:39], s[38:39], s[40:41]
	s_and_saveexec_b64 s[40:41], s[44:45]
	s_cbranch_execz .LBB10_1195
; %bb.1197:                             ;   in Loop: Header=BB10_1196 Depth=2
	v_lshl_add_u64 v[96:97], v[96:97], 0, -1
	v_cmp_eq_u64_e64 s[12:13], 0, v[96:97]
	s_andn2_b64 s[28:29], s[28:29], exec
	s_and_b64 s[42:43], s[42:43], exec
	s_andn2_b64 s[26:27], s[26:27], exec
	s_and_b64 s[12:13], s[12:13], exec
	v_lshl_add_u64 v[84:85], v[84:85], 0, 1
	v_lshl_add_u64 v[86:87], v[86:87], 0, 1
	s_andn2_b64 s[38:39], s[38:39], exec
	s_or_b64 s[28:29], s[28:29], s[42:43]
	s_or_b64 s[26:27], s[26:27], s[12:13]
                                        ; implicit-def: $sgpr12_sgpr13
	s_branch .LBB10_1195
.LBB10_1198:
	s_or_b64 exec, exec, s[18:19]
.LBB10_1199:
	s_or_b64 exec, exec, s[16:17]
	v_add_u32_e32 v69, v98, v101
	v_add_u32_e32 v68, v102, v100
	v_sub_u32_e32 v70, v69, v102
	v_cmp_le_u32_e64 s[12:13], v68, v98
	v_cmp_le_u32_e64 s[16:17], v70, v99
	s_or_b64 s[12:13], s[12:13], s[16:17]
	s_and_saveexec_b64 s[18:19], s[12:13]
	s_cbranch_execz .LBB10_1283
; %bb.1200:
	v_cmp_ge_u32_e64 s[16:17], v68, v98
	v_cmp_lt_u32_e64 s[12:13], v68, v98
                                        ; implicit-def: $vgpr12_vgpr13
	s_and_saveexec_b64 s[20:21], s[12:13]
	s_cbranch_execz .LBB10_1202
; %bb.1201:
	v_mov_b32_e32 v69, 0
	v_lshl_add_u64 v[12:13], v[68:69], 3, v[64:65]
	flat_load_dwordx2 v[12:13], v[12:13]
.LBB10_1202:
	s_or_b64 exec, exec, s[20:21]
	v_cmp_ge_u32_e64 s[20:21], v70, v99
	v_cmp_lt_u32_e64 s[12:13], v70, v99
                                        ; implicit-def: $vgpr14_vgpr15
	s_and_saveexec_b64 s[22:23], s[12:13]
	s_cbranch_execz .LBB10_1204
; %bb.1203:
	v_mov_b32_e32 v71, 0
	v_lshl_add_u64 v[14:15], v[70:71], 3, v[64:65]
	flat_load_dwordx2 v[14:15], v[14:15]
.LBB10_1204:
	s_or_b64 exec, exec, s[22:23]
	s_or_b64 s[12:13], s[16:17], s[20:21]
	s_xor_b64 s[12:13], s[12:13], -1
	s_and_saveexec_b64 s[16:17], s[12:13]
	s_cbranch_execz .LBB10_1212
; %bb.1205:
	s_mov_b64 s[12:13], 0
	s_and_saveexec_b64 s[22:23], s[8:9]
	s_cbranch_execz .LBB10_1211
; %bb.1206:
	s_waitcnt vmcnt(0) lgkmcnt(0)
	v_mad_u64_u32 v[16:17], s[12:13], v12, v6, v[8:9]
	v_mul_lo_u32 v18, v12, v7
	v_mul_lo_u32 v19, v13, v6
	v_add3_u32 v17, v19, v17, v18
	v_mad_u64_u32 v[18:19], s[12:13], v14, v6, v[8:9]
	v_mul_lo_u32 v20, v14, v7
	v_mul_lo_u32 v21, v15, v6
	v_add3_u32 v19, v21, v19, v20
	s_mov_b64 s[24:25], 0
	v_mov_b64_e32 v[20:21], v[6:7]
                                        ; implicit-def: $sgpr26_sgpr27
                                        ; implicit-def: $sgpr28_sgpr29
                                        ; implicit-def: $sgpr38_sgpr39
                                        ; implicit-def: $sgpr40_sgpr41
                                        ; implicit-def: $sgpr12_sgpr13
	s_branch .LBB10_1208
.LBB10_1207:                            ;   in Loop: Header=BB10_1208 Depth=1
	s_or_b64 exec, exec, s[42:43]
	s_and_b64 s[42:43], exec, s[28:29]
	s_or_b64 s[24:25], s[42:43], s[24:25]
	s_andn2_b64 s[12:13], s[12:13], exec
	s_and_b64 s[42:43], s[38:39], exec
	s_or_b64 s[12:13], s[12:13], s[42:43]
	s_andn2_b64 s[26:27], s[26:27], exec
	s_and_b64 s[42:43], s[40:41], exec
	s_or_b64 s[26:27], s[26:27], s[42:43]
	s_andn2_b64 exec, exec, s[24:25]
	s_cbranch_execz .LBB10_1210
.LBB10_1208:                            ; =>This Inner Loop Header: Depth=1
	flat_load_ubyte v22, v[18:19]
	flat_load_ubyte v23, v[16:17]
	s_andn2_b64 s[40:41], s[40:41], exec
	s_andn2_b64 s[38:39], s[38:39], exec
	s_or_b64 s[28:29], s[28:29], exec
	s_waitcnt vmcnt(0) lgkmcnt(0)
	v_cmp_le_u16_sdwa s[44:45], v22, v23 src0_sel:BYTE_0 src1_sel:BYTE_0
	v_cmp_lt_u16_sdwa s[42:43], v22, v23 src0_sel:BYTE_0 src1_sel:BYTE_0
	s_and_b64 s[44:45], s[44:45], s[12:13]
	s_or_b64 s[44:45], s[42:43], s[44:45]
	s_and_b64 s[42:43], s[44:45], exec
	v_cmp_eq_u16_sdwa s[46:47], v22, v23 src0_sel:BYTE_0 src1_sel:BYTE_0
	s_or_b64 s[40:41], s[40:41], s[42:43]
	s_and_saveexec_b64 s[42:43], s[46:47]
	s_cbranch_execz .LBB10_1207
; %bb.1209:                             ;   in Loop: Header=BB10_1208 Depth=1
	v_lshl_add_u64 v[20:21], v[20:21], 0, -1
	v_cmp_eq_u64_e64 s[12:13], 0, v[20:21]
	s_andn2_b64 s[38:39], s[38:39], exec
	s_and_b64 s[44:45], s[44:45], exec
	s_andn2_b64 s[28:29], s[28:29], exec
	s_and_b64 s[12:13], s[12:13], exec
	v_lshl_add_u64 v[16:17], v[16:17], 0, 1
	v_lshl_add_u64 v[18:19], v[18:19], 0, 1
	s_andn2_b64 s[40:41], s[40:41], exec
	s_or_b64 s[38:39], s[38:39], s[44:45]
	s_or_b64 s[28:29], s[28:29], s[12:13]
                                        ; implicit-def: $sgpr12_sgpr13
	s_branch .LBB10_1207
.LBB10_1210:
	s_or_b64 exec, exec, s[24:25]
	s_and_b64 s[12:13], s[26:27], exec
.LBB10_1211:
	s_or_b64 exec, exec, s[22:23]
	s_xor_b64 s[12:13], s[12:13], -1
	s_andn2_b64 s[20:21], s[20:21], exec
	s_and_b64 s[12:13], s[12:13], exec
	s_or_b64 s[20:21], s[20:21], s[12:13]
.LBB10_1212:
	s_or_b64 exec, exec, s[16:17]
	v_cndmask_b32_e64 v16, v70, v68, s[20:21]
	v_cndmask_b32_e64 v17, v99, v98, s[20:21]
	v_add_u32_e32 v20, 1, v16
	v_add_u32_e32 v16, -1, v17
	v_min_u32_e32 v16, v20, v16
	v_mov_b32_e32 v17, 0
	v_lshl_add_u64 v[18:19], v[16:17], 3, v[64:65]
	flat_load_dwordx2 v[18:19], v[18:19]
	v_cndmask_b32_e64 v27, v20, v70, s[20:21]
	s_mov_b64 s[16:17], -1
	v_cndmask_b32_e64 v68, v68, v20, s[20:21]
	v_cmp_lt_u32_e64 s[12:13], v27, v99
	s_mov_b64 s[22:23], -1
	s_waitcnt vmcnt(0) lgkmcnt(0)
	v_cndmask_b32_e64 v24, v19, v15, s[20:21]
	v_cndmask_b32_e64 v25, v18, v14, s[20:21]
	;; [unrolled: 1-line block ×4, first 2 shown]
	s_and_saveexec_b64 s[24:25], s[12:13]
	s_cbranch_execz .LBB10_1222
; %bb.1213:
	v_cmp_lt_u32_e64 s[12:13], v68, v98
	s_mov_b64 s[26:27], 0
	s_and_saveexec_b64 s[22:23], s[12:13]
	s_cbranch_execz .LBB10_1221
; %bb.1214:
	s_mov_b64 s[12:13], 0
	s_and_saveexec_b64 s[26:27], s[8:9]
	s_cbranch_execz .LBB10_1220
; %bb.1215:
	v_mad_u64_u32 v[18:19], s[12:13], v70, v6, v[8:9]
	v_mul_lo_u32 v16, v70, v7
	v_mul_lo_u32 v20, v26, v6
	v_add3_u32 v19, v20, v19, v16
	v_mad_u64_u32 v[20:21], s[12:13], v25, v6, v[8:9]
	v_mul_lo_u32 v16, v25, v7
	v_mul_lo_u32 v22, v24, v6
	v_add3_u32 v21, v22, v21, v16
	s_mov_b64 s[28:29], 0
	v_mov_b64_e32 v[22:23], v[6:7]
                                        ; implicit-def: $sgpr38_sgpr39
                                        ; implicit-def: $sgpr40_sgpr41
                                        ; implicit-def: $sgpr42_sgpr43
                                        ; implicit-def: $sgpr44_sgpr45
                                        ; implicit-def: $sgpr12_sgpr13
	s_branch .LBB10_1217
.LBB10_1216:                            ;   in Loop: Header=BB10_1217 Depth=1
	s_or_b64 exec, exec, s[46:47]
	s_and_b64 s[46:47], exec, s[40:41]
	s_or_b64 s[28:29], s[46:47], s[28:29]
	s_andn2_b64 s[12:13], s[12:13], exec
	s_and_b64 s[46:47], s[42:43], exec
	s_or_b64 s[12:13], s[12:13], s[46:47]
	s_andn2_b64 s[38:39], s[38:39], exec
	s_and_b64 s[46:47], s[44:45], exec
	s_or_b64 s[38:39], s[38:39], s[46:47]
	s_andn2_b64 exec, exec, s[28:29]
	s_cbranch_execz .LBB10_1219
.LBB10_1217:                            ; =>This Inner Loop Header: Depth=1
	flat_load_ubyte v16, v[20:21]
	flat_load_ubyte v69, v[18:19]
	s_andn2_b64 s[44:45], s[44:45], exec
	s_andn2_b64 s[42:43], s[42:43], exec
	s_or_b64 s[40:41], s[40:41], exec
	s_waitcnt vmcnt(0) lgkmcnt(0)
	v_cmp_le_u16_sdwa s[48:49], v16, v69 src0_sel:BYTE_0 src1_sel:BYTE_0
	v_cmp_lt_u16_sdwa s[46:47], v16, v69 src0_sel:BYTE_0 src1_sel:BYTE_0
	s_and_b64 s[48:49], s[48:49], s[12:13]
	s_or_b64 s[48:49], s[46:47], s[48:49]
	s_and_b64 s[46:47], s[48:49], exec
	v_cmp_eq_u16_sdwa s[50:51], v16, v69 src0_sel:BYTE_0 src1_sel:BYTE_0
	s_or_b64 s[44:45], s[44:45], s[46:47]
	s_and_saveexec_b64 s[46:47], s[50:51]
	s_cbranch_execz .LBB10_1216
; %bb.1218:                             ;   in Loop: Header=BB10_1217 Depth=1
	v_lshl_add_u64 v[22:23], v[22:23], 0, -1
	v_cmp_eq_u64_e64 s[12:13], 0, v[22:23]
	s_andn2_b64 s[42:43], s[42:43], exec
	s_and_b64 s[48:49], s[48:49], exec
	s_andn2_b64 s[40:41], s[40:41], exec
	s_and_b64 s[12:13], s[12:13], exec
	v_lshl_add_u64 v[18:19], v[18:19], 0, 1
	v_lshl_add_u64 v[20:21], v[20:21], 0, 1
	s_andn2_b64 s[44:45], s[44:45], exec
	s_or_b64 s[42:43], s[42:43], s[48:49]
	s_or_b64 s[40:41], s[40:41], s[12:13]
                                        ; implicit-def: $sgpr12_sgpr13
	s_branch .LBB10_1216
.LBB10_1219:
	s_or_b64 exec, exec, s[28:29]
	s_and_b64 s[12:13], s[38:39], exec
.LBB10_1220:
	s_or_b64 exec, exec, s[26:27]
	s_xor_b64 s[12:13], s[12:13], -1
	s_and_b64 s[26:27], s[12:13], exec
.LBB10_1221:
	s_or_b64 exec, exec, s[22:23]
	s_orn2_b64 s[22:23], s[26:27], exec
.LBB10_1222:
	s_or_b64 exec, exec, s[24:25]
	v_cndmask_b32_e64 v16, v27, v68, s[22:23]
	v_cndmask_b32_e64 v18, v99, v98, s[22:23]
	v_add_u32_e32 v19, 1, v16
	v_add_u32_e32 v16, -1, v18
	v_min_u32_e32 v16, v19, v16
	v_lshl_add_u64 v[16:17], v[16:17], 3, v[64:65]
	flat_load_dwordx2 v[16:17], v[16:17]
	v_cndmask_b32_e64 v22, v19, v27, s[22:23]
	v_cndmask_b32_e64 v23, v68, v19, s[22:23]
	v_cmp_lt_u32_e64 s[12:13], v22, v99
	s_waitcnt vmcnt(0) lgkmcnt(0)
	v_cndmask_b32_e64 v27, v17, v24, s[22:23]
	v_cndmask_b32_e64 v71, v16, v25, s[22:23]
	;; [unrolled: 1-line block ×4, first 2 shown]
	s_and_saveexec_b64 s[24:25], s[12:13]
	s_cbranch_execz .LBB10_1232
; %bb.1223:
	v_cmp_lt_u32_e64 s[12:13], v23, v98
	s_mov_b64 s[26:27], 0
	s_and_saveexec_b64 s[16:17], s[12:13]
	s_cbranch_execz .LBB10_1231
; %bb.1224:
	s_mov_b64 s[12:13], 0
	s_and_saveexec_b64 s[26:27], s[8:9]
	s_cbranch_execz .LBB10_1230
; %bb.1225:
	v_mad_u64_u32 v[16:17], s[12:13], v81, v6, v[8:9]
	v_mul_lo_u32 v18, v81, v7
	v_mul_lo_u32 v19, v80, v6
	v_add3_u32 v17, v19, v17, v18
	v_mad_u64_u32 v[18:19], s[12:13], v71, v6, v[8:9]
	v_mul_lo_u32 v20, v71, v7
	v_mul_lo_u32 v21, v27, v6
	v_add3_u32 v19, v21, v19, v20
	s_mov_b64 s[28:29], 0
	v_mov_b64_e32 v[20:21], v[6:7]
                                        ; implicit-def: $sgpr38_sgpr39
                                        ; implicit-def: $sgpr40_sgpr41
                                        ; implicit-def: $sgpr42_sgpr43
                                        ; implicit-def: $sgpr44_sgpr45
                                        ; implicit-def: $sgpr12_sgpr13
	s_branch .LBB10_1227
.LBB10_1226:                            ;   in Loop: Header=BB10_1227 Depth=1
	s_or_b64 exec, exec, s[46:47]
	s_and_b64 s[46:47], exec, s[40:41]
	s_or_b64 s[28:29], s[46:47], s[28:29]
	s_andn2_b64 s[12:13], s[12:13], exec
	s_and_b64 s[46:47], s[42:43], exec
	s_or_b64 s[12:13], s[12:13], s[46:47]
	s_andn2_b64 s[38:39], s[38:39], exec
	s_and_b64 s[46:47], s[44:45], exec
	s_or_b64 s[38:39], s[38:39], s[46:47]
	s_andn2_b64 exec, exec, s[28:29]
	s_cbranch_execz .LBB10_1229
.LBB10_1227:                            ; =>This Inner Loop Header: Depth=1
	flat_load_ubyte v68, v[18:19]
	flat_load_ubyte v69, v[16:17]
	s_andn2_b64 s[44:45], s[44:45], exec
	s_andn2_b64 s[42:43], s[42:43], exec
	s_or_b64 s[40:41], s[40:41], exec
	s_waitcnt vmcnt(0) lgkmcnt(0)
	v_cmp_le_u16_sdwa s[48:49], v68, v69 src0_sel:BYTE_0 src1_sel:BYTE_0
	v_cmp_lt_u16_sdwa s[46:47], v68, v69 src0_sel:BYTE_0 src1_sel:BYTE_0
	s_and_b64 s[48:49], s[48:49], s[12:13]
	s_or_b64 s[48:49], s[46:47], s[48:49]
	s_and_b64 s[46:47], s[48:49], exec
	v_cmp_eq_u16_sdwa s[50:51], v68, v69 src0_sel:BYTE_0 src1_sel:BYTE_0
	s_or_b64 s[44:45], s[44:45], s[46:47]
	s_and_saveexec_b64 s[46:47], s[50:51]
	s_cbranch_execz .LBB10_1226
; %bb.1228:                             ;   in Loop: Header=BB10_1227 Depth=1
	v_lshl_add_u64 v[20:21], v[20:21], 0, -1
	v_cmp_eq_u64_e64 s[12:13], 0, v[20:21]
	s_andn2_b64 s[42:43], s[42:43], exec
	s_and_b64 s[48:49], s[48:49], exec
	s_andn2_b64 s[40:41], s[40:41], exec
	s_and_b64 s[12:13], s[12:13], exec
	v_lshl_add_u64 v[16:17], v[16:17], 0, 1
	v_lshl_add_u64 v[18:19], v[18:19], 0, 1
	s_andn2_b64 s[44:45], s[44:45], exec
	s_or_b64 s[42:43], s[42:43], s[48:49]
	s_or_b64 s[40:41], s[40:41], s[12:13]
                                        ; implicit-def: $sgpr12_sgpr13
	s_branch .LBB10_1226
.LBB10_1229:
	s_or_b64 exec, exec, s[28:29]
	s_and_b64 s[12:13], s[38:39], exec
.LBB10_1230:
	s_or_b64 exec, exec, s[26:27]
	s_xor_b64 s[12:13], s[12:13], -1
	s_and_b64 s[26:27], s[12:13], exec
.LBB10_1231:
	s_or_b64 exec, exec, s[16:17]
	s_orn2_b64 s[16:17], s[26:27], exec
.LBB10_1232:
	s_or_b64 exec, exec, s[24:25]
	v_cndmask_b32_e64 v16, v22, v23, s[16:17]
	v_cndmask_b32_e64 v17, v99, v98, s[16:17]
	v_add_u32_e32 v20, 1, v16
	v_add_u32_e32 v16, -1, v17
	v_min_u32_e32 v16, v20, v16
	v_mov_b32_e32 v17, 0
	v_lshl_add_u64 v[18:19], v[16:17], 3, v[64:65]
	flat_load_dwordx2 v[18:19], v[18:19]
	v_cndmask_b32_e64 v68, v20, v22, s[16:17]
	s_mov_b64 s[24:25], -1
	v_cndmask_b32_e64 v69, v23, v20, s[16:17]
	v_cmp_lt_u32_e64 s[12:13], v68, v99
	s_mov_b64 s[26:27], -1
	s_waitcnt vmcnt(0) lgkmcnt(0)
	v_cndmask_b32_e64 v82, v19, v27, s[16:17]
	v_cndmask_b32_e64 v83, v18, v71, s[16:17]
	;; [unrolled: 1-line block ×4, first 2 shown]
	s_and_saveexec_b64 s[28:29], s[12:13]
	s_cbranch_execz .LBB10_1242
; %bb.1233:
	v_cmp_lt_u32_e64 s[12:13], v69, v98
	s_mov_b64 s[38:39], 0
	s_and_saveexec_b64 s[26:27], s[12:13]
	s_cbranch_execz .LBB10_1241
; %bb.1234:
	s_mov_b64 s[12:13], -1
	s_and_saveexec_b64 s[38:39], s[8:9]
	s_cbranch_execz .LBB10_1240
; %bb.1235:
	v_mad_u64_u32 v[18:19], s[12:13], v85, v6, v[8:9]
	v_mul_lo_u32 v16, v85, v7
	v_mul_lo_u32 v20, v84, v6
	v_add3_u32 v19, v20, v19, v16
	v_mad_u64_u32 v[20:21], s[12:13], v83, v6, v[8:9]
	v_mul_lo_u32 v16, v83, v7
	v_mul_lo_u32 v22, v82, v6
	v_add3_u32 v21, v22, v21, v16
	s_mov_b64 s[40:41], 0
	v_mov_b64_e32 v[22:23], v[6:7]
                                        ; implicit-def: $sgpr42_sgpr43
                                        ; implicit-def: $sgpr44_sgpr45
                                        ; implicit-def: $sgpr48_sgpr49
                                        ; implicit-def: $sgpr46_sgpr47
                                        ; implicit-def: $sgpr12_sgpr13
	s_branch .LBB10_1237
.LBB10_1236:                            ;   in Loop: Header=BB10_1237 Depth=1
	s_or_b64 exec, exec, s[50:51]
	s_and_b64 s[50:51], exec, s[44:45]
	s_or_b64 s[40:41], s[50:51], s[40:41]
	s_andn2_b64 s[12:13], s[12:13], exec
	s_and_b64 s[50:51], s[46:47], exec
	s_or_b64 s[12:13], s[12:13], s[50:51]
	s_andn2_b64 s[42:43], s[42:43], exec
	s_and_b64 s[50:51], s[48:49], exec
	s_or_b64 s[42:43], s[42:43], s[50:51]
	s_andn2_b64 exec, exec, s[40:41]
	s_cbranch_execz .LBB10_1239
.LBB10_1237:                            ; =>This Inner Loop Header: Depth=1
	flat_load_ubyte v16, v[20:21]
	flat_load_ubyte v86, v[18:19]
	s_andn2_b64 s[48:49], s[48:49], exec
	s_andn2_b64 s[46:47], s[46:47], exec
	s_or_b64 s[44:45], s[44:45], exec
	s_waitcnt vmcnt(0) lgkmcnt(0)
	v_cmp_le_u16_sdwa s[52:53], v16, v86 src0_sel:BYTE_0 src1_sel:BYTE_0
	v_cmp_lt_u16_sdwa s[50:51], v16, v86 src0_sel:BYTE_0 src1_sel:BYTE_0
	s_and_b64 s[52:53], s[52:53], s[12:13]
	s_or_b64 s[52:53], s[50:51], s[52:53]
	s_and_b64 s[50:51], s[52:53], exec
	v_cmp_eq_u16_sdwa s[54:55], v16, v86 src0_sel:BYTE_0 src1_sel:BYTE_0
	s_or_b64 s[48:49], s[48:49], s[50:51]
	s_and_saveexec_b64 s[50:51], s[54:55]
	s_cbranch_execz .LBB10_1236
; %bb.1238:                             ;   in Loop: Header=BB10_1237 Depth=1
	v_lshl_add_u64 v[22:23], v[22:23], 0, -1
	v_cmp_eq_u64_e64 s[12:13], 0, v[22:23]
	s_andn2_b64 s[46:47], s[46:47], exec
	s_and_b64 s[52:53], s[52:53], exec
	s_andn2_b64 s[44:45], s[44:45], exec
	s_and_b64 s[12:13], s[12:13], exec
	v_lshl_add_u64 v[18:19], v[18:19], 0, 1
	v_lshl_add_u64 v[20:21], v[20:21], 0, 1
	s_or_b64 s[46:47], s[46:47], s[52:53]
	s_andn2_b64 s[48:49], s[48:49], exec
	s_or_b64 s[44:45], s[44:45], s[12:13]
                                        ; implicit-def: $sgpr12_sgpr13
	s_branch .LBB10_1236
.LBB10_1239:
	s_or_b64 exec, exec, s[40:41]
	s_xor_b64 s[12:13], s[42:43], -1
	s_orn2_b64 s[12:13], s[12:13], exec
.LBB10_1240:
	s_or_b64 exec, exec, s[38:39]
	s_and_b64 s[38:39], s[12:13], exec
.LBB10_1241:
	s_or_b64 exec, exec, s[26:27]
	s_orn2_b64 s[26:27], s[38:39], exec
.LBB10_1242:
	s_or_b64 exec, exec, s[28:29]
	v_cndmask_b32_e64 v16, v68, v69, s[26:27]
	v_cndmask_b32_e64 v18, v99, v98, s[26:27]
	v_add_u32_e32 v19, 1, v16
	v_add_u32_e32 v16, -1, v18
	v_min_u32_e32 v16, v19, v16
	v_lshl_add_u64 v[16:17], v[16:17], 3, v[64:65]
	flat_load_dwordx2 v[16:17], v[16:17]
	v_cndmask_b32_e64 v22, v19, v68, s[26:27]
	v_cndmask_b32_e64 v23, v69, v19, s[26:27]
	v_cmp_lt_u32_e64 s[12:13], v22, v99
	s_waitcnt vmcnt(0) lgkmcnt(0)
	v_cndmask_b32_e64 v86, v17, v82, s[26:27]
	v_cndmask_b32_e64 v87, v16, v83, s[26:27]
	;; [unrolled: 1-line block ×4, first 2 shown]
	s_and_saveexec_b64 s[28:29], s[12:13]
	s_cbranch_execz .LBB10_1252
; %bb.1243:
	v_cmp_lt_u32_e64 s[12:13], v23, v98
	s_mov_b64 s[38:39], 0
	s_and_saveexec_b64 s[24:25], s[12:13]
	s_cbranch_execz .LBB10_1251
; %bb.1244:
	s_mov_b64 s[12:13], -1
	s_and_saveexec_b64 s[38:39], s[8:9]
	s_cbranch_execz .LBB10_1250
; %bb.1245:
	v_mad_u64_u32 v[16:17], s[12:13], v97, v6, v[8:9]
	v_mul_lo_u32 v18, v97, v7
	v_mul_lo_u32 v19, v96, v6
	v_add3_u32 v17, v19, v17, v18
	v_mad_u64_u32 v[18:19], s[12:13], v87, v6, v[8:9]
	v_mul_lo_u32 v20, v87, v7
	v_mul_lo_u32 v21, v86, v6
	v_add3_u32 v19, v21, v19, v20
	s_mov_b64 s[40:41], 0
	v_mov_b64_e32 v[20:21], v[6:7]
                                        ; implicit-def: $sgpr42_sgpr43
                                        ; implicit-def: $sgpr44_sgpr45
                                        ; implicit-def: $sgpr48_sgpr49
                                        ; implicit-def: $sgpr46_sgpr47
                                        ; implicit-def: $sgpr12_sgpr13
	s_branch .LBB10_1247
.LBB10_1246:                            ;   in Loop: Header=BB10_1247 Depth=1
	s_or_b64 exec, exec, s[50:51]
	s_and_b64 s[50:51], exec, s[44:45]
	s_or_b64 s[40:41], s[50:51], s[40:41]
	s_andn2_b64 s[12:13], s[12:13], exec
	s_and_b64 s[50:51], s[46:47], exec
	s_or_b64 s[12:13], s[12:13], s[50:51]
	s_andn2_b64 s[42:43], s[42:43], exec
	s_and_b64 s[50:51], s[48:49], exec
	s_or_b64 s[42:43], s[42:43], s[50:51]
	s_andn2_b64 exec, exec, s[40:41]
	s_cbranch_execz .LBB10_1249
.LBB10_1247:                            ; =>This Inner Loop Header: Depth=1
	flat_load_ubyte v68, v[18:19]
	flat_load_ubyte v69, v[16:17]
	s_andn2_b64 s[48:49], s[48:49], exec
	s_andn2_b64 s[46:47], s[46:47], exec
	s_or_b64 s[44:45], s[44:45], exec
	s_waitcnt vmcnt(0) lgkmcnt(0)
	v_cmp_le_u16_sdwa s[52:53], v68, v69 src0_sel:BYTE_0 src1_sel:BYTE_0
	v_cmp_lt_u16_sdwa s[50:51], v68, v69 src0_sel:BYTE_0 src1_sel:BYTE_0
	s_and_b64 s[52:53], s[52:53], s[12:13]
	s_or_b64 s[52:53], s[50:51], s[52:53]
	s_and_b64 s[50:51], s[52:53], exec
	v_cmp_eq_u16_sdwa s[54:55], v68, v69 src0_sel:BYTE_0 src1_sel:BYTE_0
	s_or_b64 s[48:49], s[48:49], s[50:51]
	s_and_saveexec_b64 s[50:51], s[54:55]
	s_cbranch_execz .LBB10_1246
; %bb.1248:                             ;   in Loop: Header=BB10_1247 Depth=1
	v_lshl_add_u64 v[20:21], v[20:21], 0, -1
	v_cmp_eq_u64_e64 s[12:13], 0, v[20:21]
	s_andn2_b64 s[46:47], s[46:47], exec
	s_and_b64 s[52:53], s[52:53], exec
	s_andn2_b64 s[44:45], s[44:45], exec
	s_and_b64 s[12:13], s[12:13], exec
	v_lshl_add_u64 v[16:17], v[16:17], 0, 1
	v_lshl_add_u64 v[18:19], v[18:19], 0, 1
	s_or_b64 s[46:47], s[46:47], s[52:53]
	s_andn2_b64 s[48:49], s[48:49], exec
	s_or_b64 s[44:45], s[44:45], s[12:13]
                                        ; implicit-def: $sgpr12_sgpr13
	s_branch .LBB10_1246
.LBB10_1249:
	s_or_b64 exec, exec, s[40:41]
	s_xor_b64 s[12:13], s[42:43], -1
	s_orn2_b64 s[12:13], s[12:13], exec
.LBB10_1250:
	s_or_b64 exec, exec, s[38:39]
	s_and_b64 s[38:39], s[12:13], exec
.LBB10_1251:
	s_or_b64 exec, exec, s[24:25]
	s_orn2_b64 s[24:25], s[38:39], exec
.LBB10_1252:
	s_or_b64 exec, exec, s[28:29]
	v_cndmask_b32_e64 v16, v22, v23, s[24:25]
	v_cndmask_b32_e64 v17, v99, v98, s[24:25]
	v_add_u32_e32 v20, 1, v16
	v_add_u32_e32 v16, -1, v17
	v_min_u32_e32 v16, v20, v16
	v_mov_b32_e32 v17, 0
	v_lshl_add_u64 v[18:19], v[16:17], 3, v[64:65]
	flat_load_dwordx2 v[18:19], v[18:19]
	v_cndmask_b32_e64 v68, v20, v22, s[24:25]
	s_mov_b64 s[28:29], -1
	v_cndmask_b32_e64 v69, v23, v20, s[24:25]
	v_cmp_lt_u32_e64 s[12:13], v68, v99
	s_mov_b64 s[38:39], -1
	s_waitcnt vmcnt(0) lgkmcnt(0)
	v_cndmask_b32_e64 v100, v19, v86, s[24:25]
	v_cndmask_b32_e64 v101, v18, v87, s[24:25]
	;; [unrolled: 1-line block ×4, first 2 shown]
	s_and_saveexec_b64 s[40:41], s[12:13]
	s_cbranch_execz .LBB10_1262
; %bb.1253:
	v_cmp_lt_u32_e64 s[12:13], v69, v98
	s_mov_b64 s[42:43], 0
	s_and_saveexec_b64 s[38:39], s[12:13]
	s_cbranch_execz .LBB10_1261
; %bb.1254:
	s_mov_b64 s[12:13], -1
	s_and_saveexec_b64 s[42:43], s[8:9]
	s_cbranch_execz .LBB10_1260
; %bb.1255:
	v_mad_u64_u32 v[18:19], s[12:13], v103, v6, v[8:9]
	v_mul_lo_u32 v16, v103, v7
	v_mul_lo_u32 v20, v102, v6
	v_add3_u32 v19, v20, v19, v16
	v_mad_u64_u32 v[20:21], s[12:13], v101, v6, v[8:9]
	v_mul_lo_u32 v16, v101, v7
	v_mul_lo_u32 v22, v100, v6
	v_add3_u32 v21, v22, v21, v16
	s_mov_b64 s[44:45], 0
	v_mov_b64_e32 v[22:23], v[6:7]
                                        ; implicit-def: $sgpr46_sgpr47
                                        ; implicit-def: $sgpr48_sgpr49
                                        ; implicit-def: $sgpr52_sgpr53
                                        ; implicit-def: $sgpr50_sgpr51
                                        ; implicit-def: $sgpr12_sgpr13
	s_branch .LBB10_1257
.LBB10_1256:                            ;   in Loop: Header=BB10_1257 Depth=1
	s_or_b64 exec, exec, s[54:55]
	s_and_b64 s[54:55], exec, s[48:49]
	s_or_b64 s[44:45], s[54:55], s[44:45]
	s_andn2_b64 s[12:13], s[12:13], exec
	s_and_b64 s[54:55], s[50:51], exec
	s_or_b64 s[12:13], s[12:13], s[54:55]
	s_andn2_b64 s[46:47], s[46:47], exec
	s_and_b64 s[54:55], s[52:53], exec
	s_or_b64 s[46:47], s[46:47], s[54:55]
	s_andn2_b64 exec, exec, s[44:45]
	s_cbranch_execz .LBB10_1259
.LBB10_1257:                            ; =>This Inner Loop Header: Depth=1
	flat_load_ubyte v16, v[20:21]
	flat_load_ubyte v112, v[18:19]
	s_andn2_b64 s[52:53], s[52:53], exec
	s_andn2_b64 s[50:51], s[50:51], exec
	s_or_b64 s[48:49], s[48:49], exec
	s_waitcnt vmcnt(0) lgkmcnt(0)
	v_cmp_le_u16_sdwa s[56:57], v16, v112 src0_sel:BYTE_0 src1_sel:BYTE_0
	v_cmp_lt_u16_sdwa s[54:55], v16, v112 src0_sel:BYTE_0 src1_sel:BYTE_0
	s_and_b64 s[56:57], s[56:57], s[12:13]
	s_or_b64 s[56:57], s[54:55], s[56:57]
	s_and_b64 s[54:55], s[56:57], exec
	v_cmp_eq_u16_sdwa s[58:59], v16, v112 src0_sel:BYTE_0 src1_sel:BYTE_0
	s_or_b64 s[52:53], s[52:53], s[54:55]
	s_and_saveexec_b64 s[54:55], s[58:59]
	s_cbranch_execz .LBB10_1256
; %bb.1258:                             ;   in Loop: Header=BB10_1257 Depth=1
	v_lshl_add_u64 v[22:23], v[22:23], 0, -1
	v_cmp_eq_u64_e64 s[12:13], 0, v[22:23]
	s_andn2_b64 s[50:51], s[50:51], exec
	s_and_b64 s[56:57], s[56:57], exec
	s_andn2_b64 s[48:49], s[48:49], exec
	s_and_b64 s[12:13], s[12:13], exec
	v_lshl_add_u64 v[18:19], v[18:19], 0, 1
	v_lshl_add_u64 v[20:21], v[20:21], 0, 1
	s_or_b64 s[50:51], s[50:51], s[56:57]
	s_andn2_b64 s[52:53], s[52:53], exec
	s_or_b64 s[48:49], s[48:49], s[12:13]
                                        ; implicit-def: $sgpr12_sgpr13
	s_branch .LBB10_1256
.LBB10_1259:
	s_or_b64 exec, exec, s[44:45]
	s_xor_b64 s[12:13], s[46:47], -1
	s_orn2_b64 s[12:13], s[12:13], exec
.LBB10_1260:
	s_or_b64 exec, exec, s[42:43]
	s_and_b64 s[42:43], s[12:13], exec
.LBB10_1261:
	s_or_b64 exec, exec, s[38:39]
	s_orn2_b64 s[38:39], s[42:43], exec
.LBB10_1262:
	s_or_b64 exec, exec, s[40:41]
	v_cndmask_b32_e64 v16, v68, v69, s[38:39]
	v_cndmask_b32_e64 v18, v99, v98, s[38:39]
	v_add_u32_e32 v19, 1, v16
	v_add_u32_e32 v16, -1, v18
	v_min_u32_e32 v16, v19, v16
	v_lshl_add_u64 v[16:17], v[16:17], 3, v[64:65]
	flat_load_dwordx2 v[16:17], v[16:17]
	v_cndmask_b32_e64 v115, v19, v68, s[38:39]
	v_cndmask_b32_e64 v112, v69, v19, s[38:39]
	v_cmp_lt_u32_e64 s[12:13], v115, v99
	s_waitcnt vmcnt(0) lgkmcnt(0)
	v_cndmask_b32_e64 v113, v17, v100, s[38:39]
	v_cndmask_b32_e64 v114, v16, v101, s[38:39]
	;; [unrolled: 1-line block ×4, first 2 shown]
	s_and_saveexec_b64 s[40:41], s[12:13]
	s_cbranch_execz .LBB10_1272
; %bb.1263:
	v_cmp_lt_u32_e64 s[12:13], v112, v98
	s_mov_b64 s[42:43], 0
	s_and_saveexec_b64 s[28:29], s[12:13]
	s_cbranch_execz .LBB10_1271
; %bb.1264:
	s_mov_b64 s[12:13], -1
	s_and_saveexec_b64 s[42:43], s[8:9]
	s_cbranch_execz .LBB10_1270
; %bb.1265:
	v_mad_u64_u32 v[16:17], s[12:13], v117, v6, v[8:9]
	v_mul_lo_u32 v18, v117, v7
	v_mul_lo_u32 v19, v116, v6
	v_add3_u32 v17, v19, v17, v18
	v_mad_u64_u32 v[18:19], s[12:13], v114, v6, v[8:9]
	v_mul_lo_u32 v20, v114, v7
	v_mul_lo_u32 v21, v113, v6
	v_add3_u32 v19, v21, v19, v20
	s_mov_b64 s[44:45], 0
	v_mov_b64_e32 v[20:21], v[6:7]
                                        ; implicit-def: $sgpr46_sgpr47
                                        ; implicit-def: $sgpr48_sgpr49
                                        ; implicit-def: $sgpr52_sgpr53
                                        ; implicit-def: $sgpr50_sgpr51
                                        ; implicit-def: $sgpr12_sgpr13
	s_branch .LBB10_1267
.LBB10_1266:                            ;   in Loop: Header=BB10_1267 Depth=1
	s_or_b64 exec, exec, s[54:55]
	s_and_b64 s[54:55], exec, s[48:49]
	s_or_b64 s[44:45], s[54:55], s[44:45]
	s_andn2_b64 s[12:13], s[12:13], exec
	s_and_b64 s[54:55], s[50:51], exec
	s_or_b64 s[12:13], s[12:13], s[54:55]
	s_andn2_b64 s[46:47], s[46:47], exec
	s_and_b64 s[54:55], s[52:53], exec
	s_or_b64 s[46:47], s[46:47], s[54:55]
	s_andn2_b64 exec, exec, s[44:45]
	s_cbranch_execz .LBB10_1269
.LBB10_1267:                            ; =>This Inner Loop Header: Depth=1
	flat_load_ubyte v22, v[18:19]
	flat_load_ubyte v23, v[16:17]
	s_andn2_b64 s[52:53], s[52:53], exec
	s_andn2_b64 s[50:51], s[50:51], exec
	s_or_b64 s[48:49], s[48:49], exec
	s_waitcnt vmcnt(0) lgkmcnt(0)
	v_cmp_le_u16_sdwa s[56:57], v22, v23 src0_sel:BYTE_0 src1_sel:BYTE_0
	v_cmp_lt_u16_sdwa s[54:55], v22, v23 src0_sel:BYTE_0 src1_sel:BYTE_0
	s_and_b64 s[56:57], s[56:57], s[12:13]
	s_or_b64 s[56:57], s[54:55], s[56:57]
	s_and_b64 s[54:55], s[56:57], exec
	v_cmp_eq_u16_sdwa s[58:59], v22, v23 src0_sel:BYTE_0 src1_sel:BYTE_0
	s_or_b64 s[52:53], s[52:53], s[54:55]
	s_and_saveexec_b64 s[54:55], s[58:59]
	s_cbranch_execz .LBB10_1266
; %bb.1268:                             ;   in Loop: Header=BB10_1267 Depth=1
	v_lshl_add_u64 v[20:21], v[20:21], 0, -1
	v_cmp_eq_u64_e64 s[12:13], 0, v[20:21]
	s_andn2_b64 s[50:51], s[50:51], exec
	s_and_b64 s[56:57], s[56:57], exec
	s_andn2_b64 s[48:49], s[48:49], exec
	s_and_b64 s[12:13], s[12:13], exec
	v_lshl_add_u64 v[16:17], v[16:17], 0, 1
	v_lshl_add_u64 v[18:19], v[18:19], 0, 1
	s_or_b64 s[50:51], s[50:51], s[56:57]
	s_andn2_b64 s[52:53], s[52:53], exec
	s_or_b64 s[48:49], s[48:49], s[12:13]
                                        ; implicit-def: $sgpr12_sgpr13
	s_branch .LBB10_1266
.LBB10_1269:
	s_or_b64 exec, exec, s[44:45]
	s_xor_b64 s[12:13], s[46:47], -1
	s_orn2_b64 s[12:13], s[12:13], exec
.LBB10_1270:
	s_or_b64 exec, exec, s[42:43]
	s_and_b64 s[42:43], s[12:13], exec
.LBB10_1271:
	s_or_b64 exec, exec, s[28:29]
	s_orn2_b64 s[28:29], s[42:43], exec
.LBB10_1272:
	s_or_b64 exec, exec, s[40:41]
	v_cndmask_b32_e64 v16, v115, v112, s[28:29]
	v_cndmask_b32_e64 v17, v99, v98, s[28:29]
	v_add_u32_e32 v118, 1, v16
	v_add_u32_e32 v16, -1, v17
	v_min_u32_e32 v16, v118, v16
	v_mov_b32_e32 v17, 0
	v_lshl_add_u64 v[16:17], v[16:17], 3, v[64:65]
	flat_load_dwordx2 v[68:69], v[16:17]
	v_cndmask_b32_e64 v21, v27, v80, s[16:17]
	v_cndmask_b32_e64 v27, v24, v26, s[22:23]
	v_cndmask_b32_e64 v26, v25, v70, s[22:23]
	v_cndmask_b32_e64 v70, v118, v115, s[28:29]
	v_cndmask_b32_e64 v19, v100, v102, s[38:39]
	v_cndmask_b32_e64 v18, v101, v103, s[38:39]
	v_cndmask_b32_e64 v17, v86, v96, s[24:25]
	v_cndmask_b32_e64 v16, v87, v97, s[24:25]
	v_cndmask_b32_e64 v23, v82, v84, s[26:27]
	v_cndmask_b32_e64 v22, v83, v85, s[26:27]
	v_cndmask_b32_e64 v20, v71, v81, s[16:17]
	v_cndmask_b32_e64 v25, v15, v13, s[20:21]
	v_cndmask_b32_e64 v24, v14, v12, s[20:21]
	v_cndmask_b32_e64 v13, v113, v116, s[28:29]
	v_cndmask_b32_e64 v12, v114, v117, s[28:29]
	v_cmp_lt_u32_e64 s[12:13], v70, v99
	s_waitcnt vmcnt(0) lgkmcnt(0)
	v_cndmask_b32_e64 v15, v116, v69, s[28:29]
	v_cndmask_b32_e64 v14, v117, v68, s[28:29]
	s_and_saveexec_b64 s[16:17], s[12:13]
	s_cbranch_execz .LBB10_1282
; %bb.1273:
	v_cndmask_b32_e64 v70, v112, v118, s[28:29]
	v_cndmask_b32_e64 v69, v69, v113, s[28:29]
	;; [unrolled: 1-line block ×3, first 2 shown]
	v_cmp_lt_u32_e64 s[12:13], v70, v98
	s_and_saveexec_b64 s[20:21], s[12:13]
	s_cbranch_execz .LBB10_1281
; %bb.1274:
	s_and_saveexec_b64 s[22:23], s[8:9]
	s_cbranch_execz .LBB10_1280
; %bb.1275:
	v_mad_u64_u32 v[70:71], s[12:13], v14, v6, v[8:9]
	v_mul_lo_u32 v80, v14, v7
	v_mul_lo_u32 v81, v15, v6
	v_add3_u32 v71, v81, v71, v80
	v_mad_u64_u32 v[80:81], s[12:13], v68, v6, v[8:9]
	v_mul_lo_u32 v82, v68, v7
	v_mul_lo_u32 v83, v69, v6
	v_add3_u32 v81, v83, v81, v82
	s_mov_b64 s[24:25], 0
	v_mov_b64_e32 v[82:83], v[6:7]
                                        ; implicit-def: $sgpr26_sgpr27
                                        ; implicit-def: $sgpr28_sgpr29
                                        ; implicit-def: $sgpr40_sgpr41
                                        ; implicit-def: $sgpr38_sgpr39
                                        ; implicit-def: $sgpr12_sgpr13
	s_branch .LBB10_1277
.LBB10_1276:                            ;   in Loop: Header=BB10_1277 Depth=1
	s_or_b64 exec, exec, s[42:43]
	s_and_b64 s[42:43], exec, s[28:29]
	s_or_b64 s[24:25], s[42:43], s[24:25]
	s_andn2_b64 s[12:13], s[12:13], exec
	s_and_b64 s[42:43], s[38:39], exec
	s_or_b64 s[12:13], s[12:13], s[42:43]
	s_andn2_b64 s[26:27], s[26:27], exec
	s_and_b64 s[42:43], s[40:41], exec
	s_or_b64 s[26:27], s[26:27], s[42:43]
	s_andn2_b64 exec, exec, s[24:25]
	s_cbranch_execz .LBB10_1279
.LBB10_1277:                            ; =>This Inner Loop Header: Depth=1
	flat_load_ubyte v84, v[80:81]
	flat_load_ubyte v85, v[70:71]
	s_andn2_b64 s[40:41], s[40:41], exec
	s_andn2_b64 s[38:39], s[38:39], exec
	s_or_b64 s[28:29], s[28:29], exec
	s_waitcnt vmcnt(0) lgkmcnt(0)
	v_cmp_le_u16_sdwa s[44:45], v84, v85 src0_sel:BYTE_0 src1_sel:BYTE_0
	v_cmp_lt_u16_sdwa s[42:43], v84, v85 src0_sel:BYTE_0 src1_sel:BYTE_0
	s_and_b64 s[44:45], s[44:45], s[12:13]
	s_or_b64 s[44:45], s[42:43], s[44:45]
	s_and_b64 s[42:43], s[44:45], exec
	v_cmp_eq_u16_sdwa s[46:47], v84, v85 src0_sel:BYTE_0 src1_sel:BYTE_0
	s_or_b64 s[40:41], s[40:41], s[42:43]
	s_and_saveexec_b64 s[42:43], s[46:47]
	s_cbranch_execz .LBB10_1276
; %bb.1278:                             ;   in Loop: Header=BB10_1277 Depth=1
	v_lshl_add_u64 v[82:83], v[82:83], 0, -1
	v_cmp_eq_u64_e64 s[12:13], 0, v[82:83]
	s_andn2_b64 s[38:39], s[38:39], exec
	s_and_b64 s[44:45], s[44:45], exec
	s_andn2_b64 s[28:29], s[28:29], exec
	s_and_b64 s[12:13], s[12:13], exec
	v_lshl_add_u64 v[70:71], v[70:71], 0, 1
	v_lshl_add_u64 v[80:81], v[80:81], 0, 1
	s_or_b64 s[38:39], s[38:39], s[44:45]
	s_andn2_b64 s[40:41], s[40:41], exec
	s_or_b64 s[28:29], s[28:29], s[12:13]
                                        ; implicit-def: $sgpr12_sgpr13
	s_branch .LBB10_1276
.LBB10_1279:
	s_or_b64 exec, exec, s[24:25]
	v_cndmask_b32_e64 v15, v15, v69, s[26:27]
	v_cndmask_b32_e64 v14, v14, v68, s[26:27]
.LBB10_1280:
	s_or_b64 exec, exec, s[22:23]
	v_mov_b64_e32 v[68:69], v[14:15]
.LBB10_1281:
	s_or_b64 exec, exec, s[20:21]
	v_mov_b64_e32 v[14:15], v[68:69]
.LBB10_1282:
	s_or_b64 exec, exec, s[16:17]
.LBB10_1283:
	s_or_b64 exec, exec, s[18:19]
	v_and_b32_e32 v98, 0x380, v31
	; wave barrier
	flat_store_dwordx4 v[66:67], v[24:27]
	flat_store_dwordx4 v[66:67], v[20:23] offset:16
	flat_store_dwordx4 v[66:67], v[16:19] offset:32
	;; [unrolled: 1-line block ×3, first 2 shown]
	v_or_b32_e32 v66, 64, v98
	v_min_u32_e32 v96, v1, v66
	v_add_u32_e32 v66, 64, v96
	v_min_u32_e32 v97, v1, v66
	v_and_b32_e32 v31, 0x78, v31
	v_min_u32_e32 v1, v1, v31
	v_sub_u32_e32 v66, v96, v98
	v_sub_u32_e32 v31, v97, v96
	v_sub_u32_e64 v31, v1, v31 clamp
	v_min_u32_e32 v99, v1, v66
	v_cmp_lt_u32_e64 s[12:13], v31, v99
	; wave barrier
	s_and_saveexec_b64 s[16:17], s[12:13]
	s_cbranch_execz .LBB10_1293
; %bb.1284:
	v_lshlrev_b32_e32 v66, 3, v98
	v_mov_b32_e32 v67, 0
	v_lshl_add_u64 v[68:69], v[64:65], 0, v[66:67]
	v_lshlrev_b32_e32 v66, 3, v96
	v_lshl_add_u64 v[70:71], v[64:65], 0, v[66:67]
	s_mov_b64 s[18:19], 0
	s_branch .LBB10_1287
.LBB10_1285:                            ;   in Loop: Header=BB10_1287 Depth=1
	s_or_b64 exec, exec, s[22:23]
	s_and_b64 s[12:13], s[24:25], exec
.LBB10_1286:                            ;   in Loop: Header=BB10_1287 Depth=1
	s_or_b64 exec, exec, s[20:21]
	v_add_u32_e32 v66, 1, v80
	v_cndmask_b32_e64 v99, v99, v80, s[12:13]
	v_cndmask_b32_e64 v31, v66, v31, s[12:13]
	v_cmp_ge_u32_e64 s[12:13], v31, v99
	s_or_b64 s[18:19], s[12:13], s[18:19]
	s_andn2_b64 exec, exec, s[18:19]
	s_cbranch_execz .LBB10_1292
.LBB10_1287:                            ; =>This Loop Header: Depth=1
                                        ;     Child Loop BB10_1290 Depth 2
	v_add_u32_e32 v66, v99, v31
	v_lshrrev_b32_e32 v80, 1, v66
	s_mov_b64 s[12:13], 0
	s_and_saveexec_b64 s[20:21], s[8:9]
	s_cbranch_execz .LBB10_1286
; %bb.1288:                             ;   in Loop: Header=BB10_1287 Depth=1
	v_mov_b32_e32 v81, v67
	v_xad_u32 v66, v80, -1, v1
	v_lshl_add_u64 v[82:83], v[80:81], 3, v[68:69]
	v_lshl_add_u64 v[84:85], v[66:67], 3, v[70:71]
	flat_load_dwordx2 v[82:83], v[82:83]
	s_mov_b64 s[22:23], 0
	flat_load_dwordx2 v[84:85], v[84:85]
                                        ; implicit-def: $sgpr24_sgpr25
                                        ; implicit-def: $sgpr26_sgpr27
                                        ; implicit-def: $sgpr28_sgpr29
                                        ; implicit-def: $sgpr38_sgpr39
                                        ; implicit-def: $sgpr12_sgpr13
	s_waitcnt vmcnt(0) lgkmcnt(0)
	v_mul_lo_u32 v66, v82, v7
	v_mul_lo_u32 v81, v83, v6
	v_mad_u64_u32 v[82:83], s[40:41], v82, v6, v[8:9]
	v_mul_lo_u32 v86, v84, v7
	v_mul_lo_u32 v87, v85, v6
	v_mad_u64_u32 v[84:85], s[40:41], v84, v6, v[8:9]
	v_add3_u32 v83, v81, v83, v66
	v_add3_u32 v85, v87, v85, v86
	v_mov_b64_e32 v[86:87], v[6:7]
	s_branch .LBB10_1290
.LBB10_1289:                            ;   in Loop: Header=BB10_1290 Depth=2
	s_or_b64 exec, exec, s[40:41]
	s_and_b64 s[40:41], exec, s[26:27]
	s_or_b64 s[22:23], s[40:41], s[22:23]
	s_andn2_b64 s[12:13], s[12:13], exec
	s_and_b64 s[40:41], s[28:29], exec
	s_or_b64 s[12:13], s[12:13], s[40:41]
	s_andn2_b64 s[24:25], s[24:25], exec
	s_and_b64 s[40:41], s[38:39], exec
	s_or_b64 s[24:25], s[24:25], s[40:41]
	s_andn2_b64 exec, exec, s[22:23]
	s_cbranch_execz .LBB10_1285
.LBB10_1290:                            ;   Parent Loop BB10_1287 Depth=1
                                        ; =>  This Inner Loop Header: Depth=2
	flat_load_ubyte v66, v[84:85]
	flat_load_ubyte v81, v[82:83]
	s_andn2_b64 s[38:39], s[38:39], exec
	s_andn2_b64 s[28:29], s[28:29], exec
	s_or_b64 s[26:27], s[26:27], exec
	s_waitcnt vmcnt(0) lgkmcnt(0)
	v_cmp_le_u16_sdwa s[42:43], v66, v81 src0_sel:BYTE_0 src1_sel:BYTE_0
	v_cmp_lt_u16_sdwa s[40:41], v66, v81 src0_sel:BYTE_0 src1_sel:BYTE_0
	s_and_b64 s[42:43], s[42:43], s[12:13]
	s_or_b64 s[42:43], s[40:41], s[42:43]
	s_and_b64 s[40:41], s[42:43], exec
	v_cmp_eq_u16_sdwa s[44:45], v66, v81 src0_sel:BYTE_0 src1_sel:BYTE_0
	s_or_b64 s[38:39], s[38:39], s[40:41]
	s_and_saveexec_b64 s[40:41], s[44:45]
	s_cbranch_execz .LBB10_1289
; %bb.1291:                             ;   in Loop: Header=BB10_1290 Depth=2
	v_lshl_add_u64 v[86:87], v[86:87], 0, -1
	v_cmp_eq_u64_e64 s[12:13], 0, v[86:87]
	s_andn2_b64 s[28:29], s[28:29], exec
	s_and_b64 s[42:43], s[42:43], exec
	s_andn2_b64 s[26:27], s[26:27], exec
	s_and_b64 s[12:13], s[12:13], exec
	v_lshl_add_u64 v[82:83], v[82:83], 0, 1
	v_lshl_add_u64 v[84:85], v[84:85], 0, 1
	s_andn2_b64 s[38:39], s[38:39], exec
	s_or_b64 s[28:29], s[28:29], s[42:43]
	s_or_b64 s[26:27], s[26:27], s[12:13]
                                        ; implicit-def: $sgpr12_sgpr13
	s_branch .LBB10_1289
.LBB10_1292:
	s_or_b64 exec, exec, s[18:19]
.LBB10_1293:
	s_or_b64 exec, exec, s[16:17]
	v_add_u32_e32 v1, v96, v1
	v_add_u32_e32 v66, v31, v98
	v_sub_u32_e32 v68, v1, v31
	v_cmp_le_u32_e64 s[12:13], v66, v96
	v_cmp_le_u32_e64 s[16:17], v68, v97
	s_or_b64 s[12:13], s[12:13], s[16:17]
	s_and_saveexec_b64 s[18:19], s[12:13]
	s_cbranch_execz .LBB10_1377
; %bb.1294:
	v_cmp_ge_u32_e64 s[16:17], v66, v96
	v_cmp_lt_u32_e64 s[12:13], v66, v96
                                        ; implicit-def: $vgpr12_vgpr13
	s_and_saveexec_b64 s[20:21], s[12:13]
	s_cbranch_execz .LBB10_1296
; %bb.1295:
	v_mov_b32_e32 v67, 0
	v_lshl_add_u64 v[12:13], v[66:67], 3, v[64:65]
	flat_load_dwordx2 v[12:13], v[12:13]
.LBB10_1296:
	s_or_b64 exec, exec, s[20:21]
	v_cmp_ge_u32_e64 s[20:21], v68, v97
	v_cmp_lt_u32_e64 s[12:13], v68, v97
                                        ; implicit-def: $vgpr14_vgpr15
	s_and_saveexec_b64 s[22:23], s[12:13]
	s_cbranch_execz .LBB10_1298
; %bb.1297:
	v_mov_b32_e32 v69, 0
	v_lshl_add_u64 v[14:15], v[68:69], 3, v[64:65]
	flat_load_dwordx2 v[14:15], v[14:15]
.LBB10_1298:
	s_or_b64 exec, exec, s[22:23]
	s_or_b64 s[12:13], s[16:17], s[20:21]
	s_xor_b64 s[12:13], s[12:13], -1
	s_and_saveexec_b64 s[16:17], s[12:13]
	s_cbranch_execz .LBB10_1306
; %bb.1299:
	s_mov_b64 s[12:13], 0
	s_and_saveexec_b64 s[22:23], s[8:9]
	s_cbranch_execz .LBB10_1305
; %bb.1300:
	s_waitcnt vmcnt(0) lgkmcnt(0)
	v_mad_u64_u32 v[16:17], s[12:13], v12, v6, v[8:9]
	v_mul_lo_u32 v1, v12, v7
	v_mul_lo_u32 v18, v13, v6
	v_add3_u32 v17, v18, v17, v1
	v_mad_u64_u32 v[18:19], s[12:13], v14, v6, v[8:9]
	v_mul_lo_u32 v1, v14, v7
	v_mul_lo_u32 v20, v15, v6
	v_add3_u32 v19, v20, v19, v1
	s_mov_b64 s[24:25], 0
	v_mov_b64_e32 v[20:21], v[6:7]
                                        ; implicit-def: $sgpr26_sgpr27
                                        ; implicit-def: $sgpr28_sgpr29
                                        ; implicit-def: $sgpr38_sgpr39
                                        ; implicit-def: $sgpr40_sgpr41
                                        ; implicit-def: $sgpr12_sgpr13
	s_branch .LBB10_1302
.LBB10_1301:                            ;   in Loop: Header=BB10_1302 Depth=1
	s_or_b64 exec, exec, s[42:43]
	s_and_b64 s[42:43], exec, s[28:29]
	s_or_b64 s[24:25], s[42:43], s[24:25]
	s_andn2_b64 s[12:13], s[12:13], exec
	s_and_b64 s[42:43], s[38:39], exec
	s_or_b64 s[12:13], s[12:13], s[42:43]
	s_andn2_b64 s[26:27], s[26:27], exec
	s_and_b64 s[42:43], s[40:41], exec
	s_or_b64 s[26:27], s[26:27], s[42:43]
	s_andn2_b64 exec, exec, s[24:25]
	s_cbranch_execz .LBB10_1304
.LBB10_1302:                            ; =>This Inner Loop Header: Depth=1
	flat_load_ubyte v1, v[18:19]
	flat_load_ubyte v22, v[16:17]
	s_andn2_b64 s[40:41], s[40:41], exec
	s_andn2_b64 s[38:39], s[38:39], exec
	s_or_b64 s[28:29], s[28:29], exec
	s_waitcnt vmcnt(0) lgkmcnt(0)
	v_cmp_le_u16_sdwa s[44:45], v1, v22 src0_sel:BYTE_0 src1_sel:BYTE_0
	v_cmp_lt_u16_sdwa s[42:43], v1, v22 src0_sel:BYTE_0 src1_sel:BYTE_0
	s_and_b64 s[44:45], s[44:45], s[12:13]
	s_or_b64 s[44:45], s[42:43], s[44:45]
	s_and_b64 s[42:43], s[44:45], exec
	v_cmp_eq_u16_sdwa s[46:47], v1, v22 src0_sel:BYTE_0 src1_sel:BYTE_0
	s_or_b64 s[40:41], s[40:41], s[42:43]
	s_and_saveexec_b64 s[42:43], s[46:47]
	s_cbranch_execz .LBB10_1301
; %bb.1303:                             ;   in Loop: Header=BB10_1302 Depth=1
	v_lshl_add_u64 v[20:21], v[20:21], 0, -1
	v_cmp_eq_u64_e64 s[12:13], 0, v[20:21]
	s_andn2_b64 s[38:39], s[38:39], exec
	s_and_b64 s[44:45], s[44:45], exec
	s_andn2_b64 s[28:29], s[28:29], exec
	s_and_b64 s[12:13], s[12:13], exec
	v_lshl_add_u64 v[16:17], v[16:17], 0, 1
	v_lshl_add_u64 v[18:19], v[18:19], 0, 1
	s_andn2_b64 s[40:41], s[40:41], exec
	s_or_b64 s[38:39], s[38:39], s[44:45]
	s_or_b64 s[28:29], s[28:29], s[12:13]
                                        ; implicit-def: $sgpr12_sgpr13
	s_branch .LBB10_1301
.LBB10_1304:
	s_or_b64 exec, exec, s[24:25]
	s_and_b64 s[12:13], s[26:27], exec
.LBB10_1305:
	s_or_b64 exec, exec, s[22:23]
	s_xor_b64 s[12:13], s[12:13], -1
	s_andn2_b64 s[20:21], s[20:21], exec
	s_and_b64 s[12:13], s[12:13], exec
	s_or_b64 s[20:21], s[20:21], s[12:13]
.LBB10_1306:
	s_or_b64 exec, exec, s[16:17]
	v_cndmask_b32_e64 v1, v68, v66, s[20:21]
	v_cndmask_b32_e64 v16, v97, v96, s[20:21]
	v_add_u32_e32 v1, 1, v1
	v_add_u32_e32 v16, -1, v16
	v_min_u32_e32 v16, v1, v16
	v_mov_b32_e32 v17, 0
	v_lshl_add_u64 v[18:19], v[16:17], 3, v[64:65]
	flat_load_dwordx2 v[18:19], v[18:19]
	v_cndmask_b32_e64 v27, v1, v68, s[20:21]
	s_mov_b64 s[16:17], -1
	v_cndmask_b32_e64 v31, v66, v1, s[20:21]
	v_cmp_lt_u32_e64 s[12:13], v27, v97
	s_mov_b64 s[22:23], -1
	s_waitcnt vmcnt(0) lgkmcnt(0)
	v_cndmask_b32_e64 v1, v19, v15, s[20:21]
	v_cndmask_b32_e64 v24, v18, v14, s[20:21]
	;; [unrolled: 1-line block ×4, first 2 shown]
	s_and_saveexec_b64 s[24:25], s[12:13]
	s_cbranch_execz .LBB10_1316
; %bb.1307:
	v_cmp_lt_u32_e64 s[12:13], v31, v96
	s_mov_b64 s[26:27], 0
	s_and_saveexec_b64 s[22:23], s[12:13]
	s_cbranch_execz .LBB10_1315
; %bb.1308:
	s_mov_b64 s[12:13], 0
	s_and_saveexec_b64 s[26:27], s[8:9]
	s_cbranch_execz .LBB10_1314
; %bb.1309:
	v_mad_u64_u32 v[18:19], s[12:13], v26, v6, v[8:9]
	v_mul_lo_u32 v16, v26, v7
	v_mul_lo_u32 v20, v25, v6
	v_add3_u32 v19, v20, v19, v16
	v_mad_u64_u32 v[20:21], s[12:13], v24, v6, v[8:9]
	v_mul_lo_u32 v16, v24, v7
	v_mul_lo_u32 v22, v1, v6
	v_add3_u32 v21, v22, v21, v16
	s_mov_b64 s[28:29], 0
	v_mov_b64_e32 v[22:23], v[6:7]
                                        ; implicit-def: $sgpr38_sgpr39
                                        ; implicit-def: $sgpr40_sgpr41
                                        ; implicit-def: $sgpr42_sgpr43
                                        ; implicit-def: $sgpr44_sgpr45
                                        ; implicit-def: $sgpr12_sgpr13
	s_branch .LBB10_1311
.LBB10_1310:                            ;   in Loop: Header=BB10_1311 Depth=1
	s_or_b64 exec, exec, s[46:47]
	s_and_b64 s[46:47], exec, s[40:41]
	s_or_b64 s[28:29], s[46:47], s[28:29]
	s_andn2_b64 s[12:13], s[12:13], exec
	s_and_b64 s[46:47], s[42:43], exec
	s_or_b64 s[12:13], s[12:13], s[46:47]
	s_andn2_b64 s[38:39], s[38:39], exec
	s_and_b64 s[46:47], s[44:45], exec
	s_or_b64 s[38:39], s[38:39], s[46:47]
	s_andn2_b64 exec, exec, s[28:29]
	s_cbranch_execz .LBB10_1313
.LBB10_1311:                            ; =>This Inner Loop Header: Depth=1
	flat_load_ubyte v16, v[20:21]
	flat_load_ubyte v66, v[18:19]
	s_andn2_b64 s[44:45], s[44:45], exec
	s_andn2_b64 s[42:43], s[42:43], exec
	s_or_b64 s[40:41], s[40:41], exec
	s_waitcnt vmcnt(0) lgkmcnt(0)
	v_cmp_le_u16_sdwa s[48:49], v16, v66 src0_sel:BYTE_0 src1_sel:BYTE_0
	v_cmp_lt_u16_sdwa s[46:47], v16, v66 src0_sel:BYTE_0 src1_sel:BYTE_0
	s_and_b64 s[48:49], s[48:49], s[12:13]
	s_or_b64 s[48:49], s[46:47], s[48:49]
	s_and_b64 s[46:47], s[48:49], exec
	v_cmp_eq_u16_sdwa s[50:51], v16, v66 src0_sel:BYTE_0 src1_sel:BYTE_0
	s_or_b64 s[44:45], s[44:45], s[46:47]
	s_and_saveexec_b64 s[46:47], s[50:51]
	s_cbranch_execz .LBB10_1310
; %bb.1312:                             ;   in Loop: Header=BB10_1311 Depth=1
	v_lshl_add_u64 v[22:23], v[22:23], 0, -1
	v_cmp_eq_u64_e64 s[12:13], 0, v[22:23]
	s_andn2_b64 s[42:43], s[42:43], exec
	s_and_b64 s[48:49], s[48:49], exec
	s_andn2_b64 s[40:41], s[40:41], exec
	s_and_b64 s[12:13], s[12:13], exec
	v_lshl_add_u64 v[18:19], v[18:19], 0, 1
	v_lshl_add_u64 v[20:21], v[20:21], 0, 1
	s_andn2_b64 s[44:45], s[44:45], exec
	s_or_b64 s[42:43], s[42:43], s[48:49]
	s_or_b64 s[40:41], s[40:41], s[12:13]
                                        ; implicit-def: $sgpr12_sgpr13
	s_branch .LBB10_1310
.LBB10_1313:
	s_or_b64 exec, exec, s[28:29]
	s_and_b64 s[12:13], s[38:39], exec
.LBB10_1314:
	s_or_b64 exec, exec, s[26:27]
	s_xor_b64 s[12:13], s[12:13], -1
	s_and_b64 s[26:27], s[12:13], exec
.LBB10_1315:
	s_or_b64 exec, exec, s[22:23]
	s_orn2_b64 s[22:23], s[26:27], exec
.LBB10_1316:
	s_or_b64 exec, exec, s[24:25]
	v_cndmask_b32_e64 v16, v27, v31, s[22:23]
	v_cndmask_b32_e64 v18, v97, v96, s[22:23]
	v_add_u32_e32 v19, 1, v16
	v_add_u32_e32 v16, -1, v18
	v_min_u32_e32 v16, v19, v16
	v_lshl_add_u64 v[16:17], v[16:17], 3, v[64:65]
	flat_load_dwordx2 v[16:17], v[16:17]
	v_cndmask_b32_e64 v22, v19, v27, s[22:23]
	v_cndmask_b32_e64 v23, v31, v19, s[22:23]
	v_cmp_lt_u32_e64 s[12:13], v22, v97
	s_waitcnt vmcnt(0) lgkmcnt(0)
	v_cndmask_b32_e64 v27, v17, v1, s[22:23]
	v_cndmask_b32_e64 v31, v16, v24, s[22:23]
	;; [unrolled: 1-line block ×4, first 2 shown]
	s_and_saveexec_b64 s[24:25], s[12:13]
	s_cbranch_execz .LBB10_1326
; %bb.1317:
	v_cmp_lt_u32_e64 s[12:13], v23, v96
	s_mov_b64 s[26:27], 0
	s_and_saveexec_b64 s[16:17], s[12:13]
	s_cbranch_execz .LBB10_1325
; %bb.1318:
	s_mov_b64 s[12:13], 0
	s_and_saveexec_b64 s[26:27], s[8:9]
	s_cbranch_execz .LBB10_1324
; %bb.1319:
	v_mad_u64_u32 v[16:17], s[12:13], v67, v6, v[8:9]
	v_mul_lo_u32 v18, v67, v7
	v_mul_lo_u32 v19, v66, v6
	v_add3_u32 v17, v19, v17, v18
	v_mad_u64_u32 v[18:19], s[12:13], v31, v6, v[8:9]
	v_mul_lo_u32 v20, v31, v7
	v_mul_lo_u32 v21, v27, v6
	v_add3_u32 v19, v21, v19, v20
	s_mov_b64 s[28:29], 0
	v_mov_b64_e32 v[20:21], v[6:7]
                                        ; implicit-def: $sgpr38_sgpr39
                                        ; implicit-def: $sgpr40_sgpr41
                                        ; implicit-def: $sgpr42_sgpr43
                                        ; implicit-def: $sgpr44_sgpr45
                                        ; implicit-def: $sgpr12_sgpr13
	s_branch .LBB10_1321
.LBB10_1320:                            ;   in Loop: Header=BB10_1321 Depth=1
	s_or_b64 exec, exec, s[46:47]
	s_and_b64 s[46:47], exec, s[40:41]
	s_or_b64 s[28:29], s[46:47], s[28:29]
	s_andn2_b64 s[12:13], s[12:13], exec
	s_and_b64 s[46:47], s[42:43], exec
	s_or_b64 s[12:13], s[12:13], s[46:47]
	s_andn2_b64 s[38:39], s[38:39], exec
	s_and_b64 s[46:47], s[44:45], exec
	s_or_b64 s[38:39], s[38:39], s[46:47]
	s_andn2_b64 exec, exec, s[28:29]
	s_cbranch_execz .LBB10_1323
.LBB10_1321:                            ; =>This Inner Loop Header: Depth=1
	flat_load_ubyte v68, v[18:19]
	flat_load_ubyte v69, v[16:17]
	s_andn2_b64 s[44:45], s[44:45], exec
	s_andn2_b64 s[42:43], s[42:43], exec
	s_or_b64 s[40:41], s[40:41], exec
	s_waitcnt vmcnt(0) lgkmcnt(0)
	v_cmp_le_u16_sdwa s[48:49], v68, v69 src0_sel:BYTE_0 src1_sel:BYTE_0
	v_cmp_lt_u16_sdwa s[46:47], v68, v69 src0_sel:BYTE_0 src1_sel:BYTE_0
	s_and_b64 s[48:49], s[48:49], s[12:13]
	s_or_b64 s[48:49], s[46:47], s[48:49]
	s_and_b64 s[46:47], s[48:49], exec
	v_cmp_eq_u16_sdwa s[50:51], v68, v69 src0_sel:BYTE_0 src1_sel:BYTE_0
	s_or_b64 s[44:45], s[44:45], s[46:47]
	s_and_saveexec_b64 s[46:47], s[50:51]
	s_cbranch_execz .LBB10_1320
; %bb.1322:                             ;   in Loop: Header=BB10_1321 Depth=1
	v_lshl_add_u64 v[20:21], v[20:21], 0, -1
	v_cmp_eq_u64_e64 s[12:13], 0, v[20:21]
	s_andn2_b64 s[42:43], s[42:43], exec
	s_and_b64 s[48:49], s[48:49], exec
	s_andn2_b64 s[40:41], s[40:41], exec
	s_and_b64 s[12:13], s[12:13], exec
	v_lshl_add_u64 v[16:17], v[16:17], 0, 1
	v_lshl_add_u64 v[18:19], v[18:19], 0, 1
	s_andn2_b64 s[44:45], s[44:45], exec
	s_or_b64 s[42:43], s[42:43], s[48:49]
	s_or_b64 s[40:41], s[40:41], s[12:13]
                                        ; implicit-def: $sgpr12_sgpr13
	s_branch .LBB10_1320
.LBB10_1323:
	s_or_b64 exec, exec, s[28:29]
	s_and_b64 s[12:13], s[38:39], exec
.LBB10_1324:
	s_or_b64 exec, exec, s[26:27]
	s_xor_b64 s[12:13], s[12:13], -1
	s_and_b64 s[26:27], s[12:13], exec
.LBB10_1325:
	s_or_b64 exec, exec, s[16:17]
	s_orn2_b64 s[16:17], s[26:27], exec
.LBB10_1326:
	s_or_b64 exec, exec, s[24:25]
	v_cndmask_b32_e64 v16, v22, v23, s[16:17]
	v_cndmask_b32_e64 v17, v97, v96, s[16:17]
	v_add_u32_e32 v20, 1, v16
	v_add_u32_e32 v16, -1, v17
	v_min_u32_e32 v16, v20, v16
	v_mov_b32_e32 v17, 0
	v_lshl_add_u64 v[18:19], v[16:17], 3, v[64:65]
	flat_load_dwordx2 v[18:19], v[18:19]
	v_cndmask_b32_e64 v80, v20, v22, s[16:17]
	s_mov_b64 s[24:25], -1
	v_cndmask_b32_e64 v81, v23, v20, s[16:17]
	v_cmp_lt_u32_e64 s[12:13], v80, v97
	s_mov_b64 s[26:27], -1
	s_waitcnt vmcnt(0) lgkmcnt(0)
	v_cndmask_b32_e64 v68, v19, v27, s[16:17]
	v_cndmask_b32_e64 v69, v18, v31, s[16:17]
	;; [unrolled: 1-line block ×4, first 2 shown]
	s_and_saveexec_b64 s[28:29], s[12:13]
	s_cbranch_execz .LBB10_1336
; %bb.1327:
	v_cmp_lt_u32_e64 s[12:13], v81, v96
	s_mov_b64 s[38:39], 0
	s_and_saveexec_b64 s[26:27], s[12:13]
	s_cbranch_execz .LBB10_1335
; %bb.1328:
	s_mov_b64 s[12:13], -1
	s_and_saveexec_b64 s[38:39], s[8:9]
	s_cbranch_execz .LBB10_1334
; %bb.1329:
	v_mad_u64_u32 v[18:19], s[12:13], v71, v6, v[8:9]
	v_mul_lo_u32 v16, v71, v7
	v_mul_lo_u32 v20, v70, v6
	v_add3_u32 v19, v20, v19, v16
	v_mad_u64_u32 v[20:21], s[12:13], v69, v6, v[8:9]
	v_mul_lo_u32 v16, v69, v7
	v_mul_lo_u32 v22, v68, v6
	v_add3_u32 v21, v22, v21, v16
	s_mov_b64 s[40:41], 0
	v_mov_b64_e32 v[22:23], v[6:7]
                                        ; implicit-def: $sgpr42_sgpr43
                                        ; implicit-def: $sgpr44_sgpr45
                                        ; implicit-def: $sgpr48_sgpr49
                                        ; implicit-def: $sgpr46_sgpr47
                                        ; implicit-def: $sgpr12_sgpr13
	s_branch .LBB10_1331
.LBB10_1330:                            ;   in Loop: Header=BB10_1331 Depth=1
	s_or_b64 exec, exec, s[50:51]
	s_and_b64 s[50:51], exec, s[44:45]
	s_or_b64 s[40:41], s[50:51], s[40:41]
	s_andn2_b64 s[12:13], s[12:13], exec
	s_and_b64 s[50:51], s[46:47], exec
	s_or_b64 s[12:13], s[12:13], s[50:51]
	s_andn2_b64 s[42:43], s[42:43], exec
	s_and_b64 s[50:51], s[48:49], exec
	s_or_b64 s[42:43], s[42:43], s[50:51]
	s_andn2_b64 exec, exec, s[40:41]
	s_cbranch_execz .LBB10_1333
.LBB10_1331:                            ; =>This Inner Loop Header: Depth=1
	flat_load_ubyte v16, v[20:21]
	flat_load_ubyte v82, v[18:19]
	s_andn2_b64 s[48:49], s[48:49], exec
	s_andn2_b64 s[46:47], s[46:47], exec
	s_or_b64 s[44:45], s[44:45], exec
	s_waitcnt vmcnt(0) lgkmcnt(0)
	v_cmp_le_u16_sdwa s[52:53], v16, v82 src0_sel:BYTE_0 src1_sel:BYTE_0
	v_cmp_lt_u16_sdwa s[50:51], v16, v82 src0_sel:BYTE_0 src1_sel:BYTE_0
	s_and_b64 s[52:53], s[52:53], s[12:13]
	s_or_b64 s[52:53], s[50:51], s[52:53]
	s_and_b64 s[50:51], s[52:53], exec
	v_cmp_eq_u16_sdwa s[54:55], v16, v82 src0_sel:BYTE_0 src1_sel:BYTE_0
	s_or_b64 s[48:49], s[48:49], s[50:51]
	s_and_saveexec_b64 s[50:51], s[54:55]
	s_cbranch_execz .LBB10_1330
; %bb.1332:                             ;   in Loop: Header=BB10_1331 Depth=1
	v_lshl_add_u64 v[22:23], v[22:23], 0, -1
	v_cmp_eq_u64_e64 s[12:13], 0, v[22:23]
	s_andn2_b64 s[46:47], s[46:47], exec
	s_and_b64 s[52:53], s[52:53], exec
	s_andn2_b64 s[44:45], s[44:45], exec
	s_and_b64 s[12:13], s[12:13], exec
	v_lshl_add_u64 v[18:19], v[18:19], 0, 1
	v_lshl_add_u64 v[20:21], v[20:21], 0, 1
	s_or_b64 s[46:47], s[46:47], s[52:53]
	s_andn2_b64 s[48:49], s[48:49], exec
	s_or_b64 s[44:45], s[44:45], s[12:13]
                                        ; implicit-def: $sgpr12_sgpr13
	s_branch .LBB10_1330
.LBB10_1333:
	s_or_b64 exec, exec, s[40:41]
	s_xor_b64 s[12:13], s[42:43], -1
	s_orn2_b64 s[12:13], s[12:13], exec
.LBB10_1334:
	s_or_b64 exec, exec, s[38:39]
	s_and_b64 s[38:39], s[12:13], exec
.LBB10_1335:
	s_or_b64 exec, exec, s[26:27]
	s_orn2_b64 s[26:27], s[38:39], exec
.LBB10_1336:
	s_or_b64 exec, exec, s[28:29]
	v_cndmask_b32_e64 v16, v80, v81, s[26:27]
	v_cndmask_b32_e64 v18, v97, v96, s[26:27]
	v_add_u32_e32 v19, 1, v16
	v_add_u32_e32 v16, -1, v18
	v_min_u32_e32 v16, v19, v16
	v_lshl_add_u64 v[16:17], v[16:17], 3, v[64:65]
	flat_load_dwordx2 v[16:17], v[16:17]
	v_cndmask_b32_e64 v22, v19, v80, s[26:27]
	v_cndmask_b32_e64 v23, v81, v19, s[26:27]
	v_cmp_lt_u32_e64 s[12:13], v22, v97
	s_waitcnt vmcnt(0) lgkmcnt(0)
	v_cndmask_b32_e64 v80, v17, v68, s[26:27]
	v_cndmask_b32_e64 v81, v16, v69, s[26:27]
	;; [unrolled: 1-line block ×4, first 2 shown]
	s_and_saveexec_b64 s[28:29], s[12:13]
	s_cbranch_execz .LBB10_1346
; %bb.1337:
	v_cmp_lt_u32_e64 s[12:13], v23, v96
	s_mov_b64 s[38:39], 0
	s_and_saveexec_b64 s[24:25], s[12:13]
	s_cbranch_execz .LBB10_1345
; %bb.1338:
	s_mov_b64 s[12:13], -1
	s_and_saveexec_b64 s[38:39], s[8:9]
	s_cbranch_execz .LBB10_1344
; %bb.1339:
	v_mad_u64_u32 v[16:17], s[12:13], v83, v6, v[8:9]
	v_mul_lo_u32 v18, v83, v7
	v_mul_lo_u32 v19, v82, v6
	v_add3_u32 v17, v19, v17, v18
	v_mad_u64_u32 v[18:19], s[12:13], v81, v6, v[8:9]
	v_mul_lo_u32 v20, v81, v7
	v_mul_lo_u32 v21, v80, v6
	v_add3_u32 v19, v21, v19, v20
	s_mov_b64 s[40:41], 0
	v_mov_b64_e32 v[20:21], v[6:7]
                                        ; implicit-def: $sgpr42_sgpr43
                                        ; implicit-def: $sgpr44_sgpr45
                                        ; implicit-def: $sgpr48_sgpr49
                                        ; implicit-def: $sgpr46_sgpr47
                                        ; implicit-def: $sgpr12_sgpr13
	s_branch .LBB10_1341
.LBB10_1340:                            ;   in Loop: Header=BB10_1341 Depth=1
	s_or_b64 exec, exec, s[50:51]
	s_and_b64 s[50:51], exec, s[44:45]
	s_or_b64 s[40:41], s[50:51], s[40:41]
	s_andn2_b64 s[12:13], s[12:13], exec
	s_and_b64 s[50:51], s[46:47], exec
	s_or_b64 s[12:13], s[12:13], s[50:51]
	s_andn2_b64 s[42:43], s[42:43], exec
	s_and_b64 s[50:51], s[48:49], exec
	s_or_b64 s[42:43], s[42:43], s[50:51]
	s_andn2_b64 exec, exec, s[40:41]
	s_cbranch_execz .LBB10_1343
.LBB10_1341:                            ; =>This Inner Loop Header: Depth=1
	flat_load_ubyte v84, v[18:19]
	flat_load_ubyte v85, v[16:17]
	s_andn2_b64 s[48:49], s[48:49], exec
	s_andn2_b64 s[46:47], s[46:47], exec
	s_or_b64 s[44:45], s[44:45], exec
	s_waitcnt vmcnt(0) lgkmcnt(0)
	v_cmp_le_u16_sdwa s[52:53], v84, v85 src0_sel:BYTE_0 src1_sel:BYTE_0
	v_cmp_lt_u16_sdwa s[50:51], v84, v85 src0_sel:BYTE_0 src1_sel:BYTE_0
	s_and_b64 s[52:53], s[52:53], s[12:13]
	s_or_b64 s[52:53], s[50:51], s[52:53]
	s_and_b64 s[50:51], s[52:53], exec
	v_cmp_eq_u16_sdwa s[54:55], v84, v85 src0_sel:BYTE_0 src1_sel:BYTE_0
	s_or_b64 s[48:49], s[48:49], s[50:51]
	s_and_saveexec_b64 s[50:51], s[54:55]
	s_cbranch_execz .LBB10_1340
; %bb.1342:                             ;   in Loop: Header=BB10_1341 Depth=1
	v_lshl_add_u64 v[20:21], v[20:21], 0, -1
	v_cmp_eq_u64_e64 s[12:13], 0, v[20:21]
	s_andn2_b64 s[46:47], s[46:47], exec
	s_and_b64 s[52:53], s[52:53], exec
	s_andn2_b64 s[44:45], s[44:45], exec
	s_and_b64 s[12:13], s[12:13], exec
	v_lshl_add_u64 v[16:17], v[16:17], 0, 1
	v_lshl_add_u64 v[18:19], v[18:19], 0, 1
	s_or_b64 s[46:47], s[46:47], s[52:53]
	s_andn2_b64 s[48:49], s[48:49], exec
	s_or_b64 s[44:45], s[44:45], s[12:13]
                                        ; implicit-def: $sgpr12_sgpr13
	s_branch .LBB10_1340
.LBB10_1343:
	s_or_b64 exec, exec, s[40:41]
	s_xor_b64 s[12:13], s[42:43], -1
	s_orn2_b64 s[12:13], s[12:13], exec
.LBB10_1344:
	s_or_b64 exec, exec, s[38:39]
	s_and_b64 s[38:39], s[12:13], exec
.LBB10_1345:
	s_or_b64 exec, exec, s[24:25]
	s_orn2_b64 s[24:25], s[38:39], exec
.LBB10_1346:
	s_or_b64 exec, exec, s[28:29]
	v_cndmask_b32_e64 v16, v22, v23, s[24:25]
	v_cndmask_b32_e64 v17, v97, v96, s[24:25]
	v_add_u32_e32 v20, 1, v16
	v_add_u32_e32 v16, -1, v17
	v_min_u32_e32 v16, v20, v16
	v_mov_b32_e32 v17, 0
	v_lshl_add_u64 v[18:19], v[16:17], 3, v[64:65]
	flat_load_dwordx2 v[18:19], v[18:19]
	v_cndmask_b32_e64 v98, v20, v22, s[24:25]
	s_mov_b64 s[28:29], -1
	v_cndmask_b32_e64 v99, v23, v20, s[24:25]
	v_cmp_lt_u32_e64 s[12:13], v98, v97
	s_mov_b64 s[38:39], -1
	s_waitcnt vmcnt(0) lgkmcnt(0)
	v_cndmask_b32_e64 v84, v19, v80, s[24:25]
	v_cndmask_b32_e64 v85, v18, v81, s[24:25]
	;; [unrolled: 1-line block ×4, first 2 shown]
	s_and_saveexec_b64 s[40:41], s[12:13]
	s_cbranch_execz .LBB10_1356
; %bb.1347:
	v_cmp_lt_u32_e64 s[12:13], v99, v96
	s_mov_b64 s[42:43], 0
	s_and_saveexec_b64 s[38:39], s[12:13]
	s_cbranch_execz .LBB10_1355
; %bb.1348:
	s_mov_b64 s[12:13], -1
	s_and_saveexec_b64 s[42:43], s[8:9]
	s_cbranch_execz .LBB10_1354
; %bb.1349:
	v_mad_u64_u32 v[18:19], s[12:13], v87, v6, v[8:9]
	v_mul_lo_u32 v16, v87, v7
	v_mul_lo_u32 v20, v86, v6
	v_add3_u32 v19, v20, v19, v16
	v_mad_u64_u32 v[20:21], s[12:13], v85, v6, v[8:9]
	v_mul_lo_u32 v16, v85, v7
	v_mul_lo_u32 v22, v84, v6
	v_add3_u32 v21, v22, v21, v16
	s_mov_b64 s[44:45], 0
	v_mov_b64_e32 v[22:23], v[6:7]
                                        ; implicit-def: $sgpr46_sgpr47
                                        ; implicit-def: $sgpr48_sgpr49
                                        ; implicit-def: $sgpr52_sgpr53
                                        ; implicit-def: $sgpr50_sgpr51
                                        ; implicit-def: $sgpr12_sgpr13
	s_branch .LBB10_1351
.LBB10_1350:                            ;   in Loop: Header=BB10_1351 Depth=1
	s_or_b64 exec, exec, s[54:55]
	s_and_b64 s[54:55], exec, s[48:49]
	s_or_b64 s[44:45], s[54:55], s[44:45]
	s_andn2_b64 s[12:13], s[12:13], exec
	s_and_b64 s[54:55], s[50:51], exec
	s_or_b64 s[12:13], s[12:13], s[54:55]
	s_andn2_b64 s[46:47], s[46:47], exec
	s_and_b64 s[54:55], s[52:53], exec
	s_or_b64 s[46:47], s[46:47], s[54:55]
	s_andn2_b64 exec, exec, s[44:45]
	s_cbranch_execz .LBB10_1353
.LBB10_1351:                            ; =>This Inner Loop Header: Depth=1
	flat_load_ubyte v16, v[20:21]
	flat_load_ubyte v100, v[18:19]
	s_andn2_b64 s[52:53], s[52:53], exec
	s_andn2_b64 s[50:51], s[50:51], exec
	s_or_b64 s[48:49], s[48:49], exec
	s_waitcnt vmcnt(0) lgkmcnt(0)
	v_cmp_le_u16_sdwa s[56:57], v16, v100 src0_sel:BYTE_0 src1_sel:BYTE_0
	v_cmp_lt_u16_sdwa s[54:55], v16, v100 src0_sel:BYTE_0 src1_sel:BYTE_0
	s_and_b64 s[56:57], s[56:57], s[12:13]
	s_or_b64 s[56:57], s[54:55], s[56:57]
	s_and_b64 s[54:55], s[56:57], exec
	v_cmp_eq_u16_sdwa s[58:59], v16, v100 src0_sel:BYTE_0 src1_sel:BYTE_0
	s_or_b64 s[52:53], s[52:53], s[54:55]
	s_and_saveexec_b64 s[54:55], s[58:59]
	s_cbranch_execz .LBB10_1350
; %bb.1352:                             ;   in Loop: Header=BB10_1351 Depth=1
	v_lshl_add_u64 v[22:23], v[22:23], 0, -1
	v_cmp_eq_u64_e64 s[12:13], 0, v[22:23]
	s_andn2_b64 s[50:51], s[50:51], exec
	s_and_b64 s[56:57], s[56:57], exec
	s_andn2_b64 s[48:49], s[48:49], exec
	s_and_b64 s[12:13], s[12:13], exec
	v_lshl_add_u64 v[18:19], v[18:19], 0, 1
	v_lshl_add_u64 v[20:21], v[20:21], 0, 1
	s_or_b64 s[50:51], s[50:51], s[56:57]
	s_andn2_b64 s[52:53], s[52:53], exec
	s_or_b64 s[48:49], s[48:49], s[12:13]
                                        ; implicit-def: $sgpr12_sgpr13
	s_branch .LBB10_1350
.LBB10_1353:
	s_or_b64 exec, exec, s[44:45]
	s_xor_b64 s[12:13], s[46:47], -1
	s_orn2_b64 s[12:13], s[12:13], exec
.LBB10_1354:
	s_or_b64 exec, exec, s[42:43]
	s_and_b64 s[42:43], s[12:13], exec
.LBB10_1355:
	s_or_b64 exec, exec, s[38:39]
	s_orn2_b64 s[38:39], s[42:43], exec
.LBB10_1356:
	s_or_b64 exec, exec, s[40:41]
	v_cndmask_b32_e64 v16, v98, v99, s[38:39]
	v_cndmask_b32_e64 v18, v97, v96, s[38:39]
	v_add_u32_e32 v19, 1, v16
	v_add_u32_e32 v16, -1, v18
	v_min_u32_e32 v16, v19, v16
	v_lshl_add_u64 v[16:17], v[16:17], 3, v[64:65]
	flat_load_dwordx2 v[16:17], v[16:17]
	v_cndmask_b32_e64 v101, v19, v98, s[38:39]
	v_cndmask_b32_e64 v98, v99, v19, s[38:39]
	v_cmp_lt_u32_e64 s[12:13], v101, v97
	s_waitcnt vmcnt(0) lgkmcnt(0)
	v_cndmask_b32_e64 v99, v17, v84, s[38:39]
	v_cndmask_b32_e64 v100, v16, v85, s[38:39]
	v_cndmask_b32_e64 v102, v86, v17, s[38:39]
	v_cndmask_b32_e64 v103, v87, v16, s[38:39]
	s_and_saveexec_b64 s[40:41], s[12:13]
	s_cbranch_execz .LBB10_1366
; %bb.1357:
	v_cmp_lt_u32_e64 s[12:13], v98, v96
	s_mov_b64 s[42:43], 0
	s_and_saveexec_b64 s[28:29], s[12:13]
	s_cbranch_execz .LBB10_1365
; %bb.1358:
	s_mov_b64 s[12:13], -1
	s_and_saveexec_b64 s[42:43], s[8:9]
	s_cbranch_execz .LBB10_1364
; %bb.1359:
	v_mad_u64_u32 v[16:17], s[12:13], v103, v6, v[8:9]
	v_mul_lo_u32 v18, v103, v7
	v_mul_lo_u32 v19, v102, v6
	v_add3_u32 v17, v19, v17, v18
	v_mad_u64_u32 v[18:19], s[12:13], v100, v6, v[8:9]
	v_mul_lo_u32 v20, v100, v7
	v_mul_lo_u32 v21, v99, v6
	v_add3_u32 v19, v21, v19, v20
	s_mov_b64 s[44:45], 0
	v_mov_b64_e32 v[20:21], v[6:7]
                                        ; implicit-def: $sgpr46_sgpr47
                                        ; implicit-def: $sgpr48_sgpr49
                                        ; implicit-def: $sgpr52_sgpr53
                                        ; implicit-def: $sgpr50_sgpr51
                                        ; implicit-def: $sgpr12_sgpr13
	s_branch .LBB10_1361
.LBB10_1360:                            ;   in Loop: Header=BB10_1361 Depth=1
	s_or_b64 exec, exec, s[54:55]
	s_and_b64 s[54:55], exec, s[48:49]
	s_or_b64 s[44:45], s[54:55], s[44:45]
	s_andn2_b64 s[12:13], s[12:13], exec
	s_and_b64 s[54:55], s[50:51], exec
	s_or_b64 s[12:13], s[12:13], s[54:55]
	s_andn2_b64 s[46:47], s[46:47], exec
	s_and_b64 s[54:55], s[52:53], exec
	s_or_b64 s[46:47], s[46:47], s[54:55]
	s_andn2_b64 exec, exec, s[44:45]
	s_cbranch_execz .LBB10_1363
.LBB10_1361:                            ; =>This Inner Loop Header: Depth=1
	flat_load_ubyte v22, v[18:19]
	flat_load_ubyte v23, v[16:17]
	s_andn2_b64 s[52:53], s[52:53], exec
	s_andn2_b64 s[50:51], s[50:51], exec
	s_or_b64 s[48:49], s[48:49], exec
	s_waitcnt vmcnt(0) lgkmcnt(0)
	v_cmp_le_u16_sdwa s[56:57], v22, v23 src0_sel:BYTE_0 src1_sel:BYTE_0
	v_cmp_lt_u16_sdwa s[54:55], v22, v23 src0_sel:BYTE_0 src1_sel:BYTE_0
	s_and_b64 s[56:57], s[56:57], s[12:13]
	s_or_b64 s[56:57], s[54:55], s[56:57]
	s_and_b64 s[54:55], s[56:57], exec
	v_cmp_eq_u16_sdwa s[58:59], v22, v23 src0_sel:BYTE_0 src1_sel:BYTE_0
	s_or_b64 s[52:53], s[52:53], s[54:55]
	s_and_saveexec_b64 s[54:55], s[58:59]
	s_cbranch_execz .LBB10_1360
; %bb.1362:                             ;   in Loop: Header=BB10_1361 Depth=1
	v_lshl_add_u64 v[20:21], v[20:21], 0, -1
	v_cmp_eq_u64_e64 s[12:13], 0, v[20:21]
	s_andn2_b64 s[50:51], s[50:51], exec
	s_and_b64 s[56:57], s[56:57], exec
	s_andn2_b64 s[48:49], s[48:49], exec
	s_and_b64 s[12:13], s[12:13], exec
	v_lshl_add_u64 v[16:17], v[16:17], 0, 1
	v_lshl_add_u64 v[18:19], v[18:19], 0, 1
	s_or_b64 s[50:51], s[50:51], s[56:57]
	s_andn2_b64 s[52:53], s[52:53], exec
	s_or_b64 s[48:49], s[48:49], s[12:13]
                                        ; implicit-def: $sgpr12_sgpr13
	s_branch .LBB10_1360
.LBB10_1363:
	s_or_b64 exec, exec, s[44:45]
	s_xor_b64 s[12:13], s[46:47], -1
	s_orn2_b64 s[12:13], s[12:13], exec
.LBB10_1364:
	s_or_b64 exec, exec, s[42:43]
	s_and_b64 s[42:43], s[12:13], exec
.LBB10_1365:
	s_or_b64 exec, exec, s[28:29]
	s_orn2_b64 s[28:29], s[42:43], exec
.LBB10_1366:
	s_or_b64 exec, exec, s[40:41]
	v_cndmask_b32_e64 v16, v101, v98, s[28:29]
	v_cndmask_b32_e64 v17, v97, v96, s[28:29]
	v_add_u32_e32 v112, 1, v16
	v_add_u32_e32 v16, -1, v17
	v_min_u32_e32 v16, v112, v16
	v_mov_b32_e32 v17, 0
	v_lshl_add_u64 v[16:17], v[16:17], 3, v[64:65]
	flat_load_dwordx2 v[64:65], v[16:17]
	v_cndmask_b32_e64 v21, v27, v66, s[16:17]
	v_cndmask_b32_e64 v27, v1, v25, s[22:23]
	;; [unrolled: 1-line block ×15, first 2 shown]
	v_cmp_lt_u32_e64 s[12:13], v1, v97
	s_waitcnt vmcnt(0) lgkmcnt(0)
	v_cndmask_b32_e64 v15, v102, v65, s[28:29]
	v_cndmask_b32_e64 v14, v103, v64, s[28:29]
	s_and_saveexec_b64 s[16:17], s[12:13]
	s_cbranch_execz .LBB10_1376
; %bb.1367:
	v_cndmask_b32_e64 v1, v98, v112, s[28:29]
	v_cndmask_b32_e64 v65, v65, v99, s[28:29]
	;; [unrolled: 1-line block ×3, first 2 shown]
	v_cmp_lt_u32_e64 s[12:13], v1, v96
	s_and_saveexec_b64 s[20:21], s[12:13]
	s_cbranch_execz .LBB10_1375
; %bb.1368:
	s_and_saveexec_b64 s[22:23], s[8:9]
	s_cbranch_execz .LBB10_1374
; %bb.1369:
	v_mad_u64_u32 v[66:67], s[12:13], v14, v6, v[8:9]
	v_mul_lo_u32 v1, v14, v7
	v_mul_lo_u32 v31, v15, v6
	v_add3_u32 v67, v31, v67, v1
	v_mad_u64_u32 v[68:69], s[12:13], v64, v6, v[8:9]
	v_mul_lo_u32 v1, v64, v7
	v_mul_lo_u32 v31, v65, v6
	v_add3_u32 v69, v31, v69, v1
	s_mov_b64 s[24:25], 0
	v_mov_b64_e32 v[70:71], v[6:7]
                                        ; implicit-def: $sgpr26_sgpr27
                                        ; implicit-def: $sgpr28_sgpr29
                                        ; implicit-def: $sgpr40_sgpr41
                                        ; implicit-def: $sgpr38_sgpr39
                                        ; implicit-def: $sgpr12_sgpr13
	s_branch .LBB10_1371
.LBB10_1370:                            ;   in Loop: Header=BB10_1371 Depth=1
	s_or_b64 exec, exec, s[42:43]
	s_and_b64 s[42:43], exec, s[28:29]
	s_or_b64 s[24:25], s[42:43], s[24:25]
	s_andn2_b64 s[12:13], s[12:13], exec
	s_and_b64 s[42:43], s[38:39], exec
	s_or_b64 s[12:13], s[12:13], s[42:43]
	s_andn2_b64 s[26:27], s[26:27], exec
	s_and_b64 s[42:43], s[40:41], exec
	s_or_b64 s[26:27], s[26:27], s[42:43]
	s_andn2_b64 exec, exec, s[24:25]
	s_cbranch_execz .LBB10_1373
.LBB10_1371:                            ; =>This Inner Loop Header: Depth=1
	flat_load_ubyte v1, v[68:69]
	flat_load_ubyte v31, v[66:67]
	s_andn2_b64 s[40:41], s[40:41], exec
	s_andn2_b64 s[38:39], s[38:39], exec
	s_or_b64 s[28:29], s[28:29], exec
	s_waitcnt vmcnt(0) lgkmcnt(0)
	v_cmp_le_u16_sdwa s[44:45], v1, v31 src0_sel:BYTE_0 src1_sel:BYTE_0
	v_cmp_lt_u16_sdwa s[42:43], v1, v31 src0_sel:BYTE_0 src1_sel:BYTE_0
	s_and_b64 s[44:45], s[44:45], s[12:13]
	s_or_b64 s[44:45], s[42:43], s[44:45]
	s_and_b64 s[42:43], s[44:45], exec
	v_cmp_eq_u16_sdwa s[46:47], v1, v31 src0_sel:BYTE_0 src1_sel:BYTE_0
	s_or_b64 s[40:41], s[40:41], s[42:43]
	s_and_saveexec_b64 s[42:43], s[46:47]
	s_cbranch_execz .LBB10_1370
; %bb.1372:                             ;   in Loop: Header=BB10_1371 Depth=1
	v_lshl_add_u64 v[70:71], v[70:71], 0, -1
	v_cmp_eq_u64_e64 s[12:13], 0, v[70:71]
	s_andn2_b64 s[38:39], s[38:39], exec
	s_and_b64 s[44:45], s[44:45], exec
	s_andn2_b64 s[28:29], s[28:29], exec
	s_and_b64 s[12:13], s[12:13], exec
	v_lshl_add_u64 v[66:67], v[66:67], 0, 1
	v_lshl_add_u64 v[68:69], v[68:69], 0, 1
	s_or_b64 s[38:39], s[38:39], s[44:45]
	s_andn2_b64 s[40:41], s[40:41], exec
	s_or_b64 s[28:29], s[28:29], s[12:13]
                                        ; implicit-def: $sgpr12_sgpr13
	s_branch .LBB10_1370
.LBB10_1373:
	s_or_b64 exec, exec, s[24:25]
	v_cndmask_b32_e64 v15, v15, v65, s[26:27]
	v_cndmask_b32_e64 v14, v14, v64, s[26:27]
.LBB10_1374:
	s_or_b64 exec, exec, s[22:23]
	v_mov_b64_e32 v[64:65], v[14:15]
.LBB10_1375:
	s_or_b64 exec, exec, s[20:21]
	v_mov_b64_e32 v[14:15], v[64:65]
.LBB10_1376:
	s_or_b64 exec, exec, s[16:17]
.LBB10_1377:
	s_or_b64 exec, exec, s[18:19]
	s_movk_i32 s64, 0x80
	v_cmp_lt_u32_e64 s[12:13], s64, v0
	; wave barrier
	s_waitcnt lgkmcnt(0)
	s_barrier
	s_and_saveexec_b64 s[18:19], s[12:13]
	s_cbranch_execz .LBB10_1475
; %bb.1378:
	v_lshlrev_b32_e32 v64, 3, v30
	v_mov_b32_e32 v65, 0
	v_lshl_add_u64 v[66:67], v[10:11], 0, v[64:65]
	s_mov_b64 s[20:21], 0
	s_branch .LBB10_1384
.LBB10_1379:                            ;   in Loop: Header=BB10_1384 Depth=1
	s_or_b64 exec, exec, s[50:51]
	v_cndmask_b32_e64 v15, v15, v17, s[52:53]
	v_cndmask_b32_e64 v14, v14, v16, s[52:53]
.LBB10_1380:                            ;   in Loop: Header=BB10_1384 Depth=1
	s_or_b64 exec, exec, s[48:49]
	v_mov_b64_e32 v[16:17], v[14:15]
.LBB10_1381:                            ;   in Loop: Header=BB10_1384 Depth=1
	s_or_b64 exec, exec, s[46:47]
	v_mov_b64_e32 v[14:15], v[16:17]
.LBB10_1382:                            ;   in Loop: Header=BB10_1384 Depth=1
	s_or_b64 exec, exec, s[44:45]
	v_cndmask_b32_e64 v19, v98, v100, s[42:43]
	v_cndmask_b32_e64 v18, v99, v101, s[42:43]
	;; [unrolled: 1-line block ×14, first 2 shown]
.LBB10_1383:                            ;   in Loop: Header=BB10_1384 Depth=1
	s_or_b64 exec, exec, s[22:23]
	v_cmp_ge_u32_e64 s[12:13], s64, v0
	s_or_b64 s[20:21], s[12:13], s[20:21]
	s_barrier
	s_andn2_b64 exec, exec, s[20:21]
	s_cbranch_execz .LBB10_1474
.LBB10_1384:                            ; =>This Loop Header: Depth=1
                                        ;     Child Loop BB10_1388 Depth 2
                                        ;       Child Loop BB10_1391 Depth 3
                                        ;     Child Loop BB10_1403 Depth 2
                                        ;     Child Loop BB10_1412 Depth 2
                                        ;     Child Loop BB10_1422 Depth 2
                                        ;     Child Loop BB10_1432 Depth 2
                                        ;     Child Loop BB10_1442 Depth 2
                                        ;     Child Loop BB10_1452 Depth 2
                                        ;     Child Loop BB10_1462 Depth 2
                                        ;     Child Loop BB10_1472 Depth 2
	s_mov_b32 s12, s64
	s_lshl_b32 s64, s64, 1
	s_sub_i32 s16, 0, s64
	v_and_b32_e32 v31, s16, v30
	v_add_u32_e32 v1, s12, v31
	v_min_u32_e32 v68, v1, v0
	s_add_i32 s13, s64, -1
	v_add_u32_e32 v1, s12, v68
	v_min_u32_e32 v1, v1, v0
	v_and_b32_e32 v64, s13, v30
	v_min_u32_e32 v98, v64, v0
	v_sub_u32_e32 v64, v68, v31
	v_sub_u32_e32 v69, v1, v68
	v_sub_u32_e64 v99, v98, v69 clamp
	v_min_u32_e32 v100, v98, v64
	v_cmp_lt_u32_e64 s[12:13], v99, v100
	flat_store_dwordx4 v[66:67], v[24:27]
	flat_store_dwordx4 v[66:67], v[20:23] offset:16
	flat_store_dwordx4 v[66:67], v[16:19] offset:32
	;; [unrolled: 1-line block ×3, first 2 shown]
	s_waitcnt lgkmcnt(0)
	s_barrier
	s_and_saveexec_b64 s[16:17], s[12:13]
	s_cbranch_execz .LBB10_1394
; %bb.1385:                             ;   in Loop: Header=BB10_1384 Depth=1
	v_lshlrev_b32_e32 v64, 3, v31
	v_mov_b32_e32 v69, v65
	v_lshl_add_u64 v[70:71], v[10:11], 0, v[64:65]
	v_lshl_add_u64 v[80:81], v[68:69], 3, v[10:11]
	s_mov_b64 s[22:23], 0
	s_branch .LBB10_1388
.LBB10_1386:                            ;   in Loop: Header=BB10_1388 Depth=2
	s_or_b64 exec, exec, s[26:27]
	s_and_b64 s[12:13], s[28:29], exec
.LBB10_1387:                            ;   in Loop: Header=BB10_1388 Depth=2
	s_or_b64 exec, exec, s[24:25]
	v_add_u32_e32 v64, 1, v82
	v_cndmask_b32_e64 v100, v100, v82, s[12:13]
	v_cndmask_b32_e64 v99, v64, v99, s[12:13]
	v_cmp_ge_u32_e64 s[12:13], v99, v100
	s_or_b64 s[22:23], s[12:13], s[22:23]
	s_andn2_b64 exec, exec, s[22:23]
	s_cbranch_execz .LBB10_1393
.LBB10_1388:                            ;   Parent Loop BB10_1384 Depth=1
                                        ; =>  This Loop Header: Depth=2
                                        ;       Child Loop BB10_1391 Depth 3
	v_add_u32_e32 v64, v100, v99
	v_lshrrev_b32_e32 v82, 1, v64
	s_mov_b64 s[12:13], 0
	s_and_saveexec_b64 s[24:25], s[8:9]
	s_cbranch_execz .LBB10_1387
; %bb.1389:                             ;   in Loop: Header=BB10_1388 Depth=2
	v_mov_b32_e32 v83, v65
	v_xad_u32 v64, v82, -1, v98
	v_lshl_add_u64 v[84:85], v[82:83], 3, v[70:71]
	v_lshl_add_u64 v[86:87], v[64:65], 3, v[80:81]
	flat_load_dwordx2 v[84:85], v[84:85]
	s_mov_b64 s[26:27], 0
	flat_load_dwordx2 v[86:87], v[86:87]
                                        ; implicit-def: $sgpr28_sgpr29
                                        ; implicit-def: $sgpr38_sgpr39
                                        ; implicit-def: $sgpr40_sgpr41
                                        ; implicit-def: $sgpr42_sgpr43
                                        ; implicit-def: $sgpr12_sgpr13
	s_waitcnt vmcnt(0) lgkmcnt(0)
	v_mul_lo_u32 v64, v84, v7
	v_mul_lo_u32 v69, v85, v6
	v_mad_u64_u32 v[84:85], s[44:45], v84, v6, v[8:9]
	v_mul_lo_u32 v83, v86, v7
	v_mul_lo_u32 v96, v87, v6
	v_mad_u64_u32 v[86:87], s[44:45], v86, v6, v[8:9]
	v_add3_u32 v85, v69, v85, v64
	v_add3_u32 v87, v96, v87, v83
	v_mov_b64_e32 v[96:97], v[6:7]
	s_branch .LBB10_1391
.LBB10_1390:                            ;   in Loop: Header=BB10_1391 Depth=3
	s_or_b64 exec, exec, s[44:45]
	s_and_b64 s[44:45], exec, s[38:39]
	s_or_b64 s[26:27], s[44:45], s[26:27]
	s_andn2_b64 s[12:13], s[12:13], exec
	s_and_b64 s[44:45], s[40:41], exec
	s_or_b64 s[12:13], s[12:13], s[44:45]
	s_andn2_b64 s[28:29], s[28:29], exec
	s_and_b64 s[44:45], s[42:43], exec
	s_or_b64 s[28:29], s[28:29], s[44:45]
	s_andn2_b64 exec, exec, s[26:27]
	s_cbranch_execz .LBB10_1386
.LBB10_1391:                            ;   Parent Loop BB10_1384 Depth=1
                                        ;     Parent Loop BB10_1388 Depth=2
                                        ; =>    This Inner Loop Header: Depth=3
	flat_load_ubyte v64, v[86:87]
	flat_load_ubyte v69, v[84:85]
	s_andn2_b64 s[42:43], s[42:43], exec
	s_andn2_b64 s[40:41], s[40:41], exec
	s_or_b64 s[38:39], s[38:39], exec
	s_waitcnt vmcnt(0) lgkmcnt(0)
	v_cmp_le_u16_sdwa s[46:47], v64, v69 src0_sel:BYTE_0 src1_sel:BYTE_0
	v_cmp_lt_u16_sdwa s[44:45], v64, v69 src0_sel:BYTE_0 src1_sel:BYTE_0
	s_and_b64 s[46:47], s[46:47], s[12:13]
	s_or_b64 s[46:47], s[44:45], s[46:47]
	s_and_b64 s[44:45], s[46:47], exec
	v_cmp_eq_u16_sdwa s[48:49], v64, v69 src0_sel:BYTE_0 src1_sel:BYTE_0
	s_or_b64 s[42:43], s[42:43], s[44:45]
	s_and_saveexec_b64 s[44:45], s[48:49]
	s_cbranch_execz .LBB10_1390
; %bb.1392:                             ;   in Loop: Header=BB10_1391 Depth=3
	v_lshl_add_u64 v[96:97], v[96:97], 0, -1
	v_cmp_eq_u64_e64 s[12:13], 0, v[96:97]
	s_andn2_b64 s[40:41], s[40:41], exec
	s_and_b64 s[46:47], s[46:47], exec
	s_andn2_b64 s[38:39], s[38:39], exec
	s_and_b64 s[12:13], s[12:13], exec
	v_lshl_add_u64 v[84:85], v[84:85], 0, 1
	v_lshl_add_u64 v[86:87], v[86:87], 0, 1
	s_andn2_b64 s[42:43], s[42:43], exec
	s_or_b64 s[40:41], s[40:41], s[46:47]
	s_or_b64 s[38:39], s[38:39], s[12:13]
                                        ; implicit-def: $sgpr12_sgpr13
	s_branch .LBB10_1390
.LBB10_1393:                            ;   in Loop: Header=BB10_1384 Depth=1
	s_or_b64 exec, exec, s[22:23]
.LBB10_1394:                            ;   in Loop: Header=BB10_1384 Depth=1
	s_or_b64 exec, exec, s[16:17]
	v_sub_u32_e32 v64, v98, v99
	v_add_u32_e32 v70, v99, v31
	v_add_u32_e32 v80, v64, v68
	v_cmp_le_u32_e64 s[12:13], v70, v68
	v_cmp_le_u32_e64 s[16:17], v80, v1
	s_or_b64 s[12:13], s[12:13], s[16:17]
	s_and_saveexec_b64 s[22:23], s[12:13]
	s_cbranch_execz .LBB10_1383
; %bb.1395:                             ;   in Loop: Header=BB10_1384 Depth=1
	v_cmp_ge_u32_e64 s[16:17], v70, v68
	v_cmp_lt_u32_e64 s[12:13], v70, v68
                                        ; implicit-def: $vgpr12_vgpr13
	s_and_saveexec_b64 s[24:25], s[12:13]
	s_cbranch_execz .LBB10_1397
; %bb.1396:                             ;   in Loop: Header=BB10_1384 Depth=1
	v_mov_b32_e32 v71, v65
	v_lshl_add_u64 v[12:13], v[70:71], 3, v[10:11]
	flat_load_dwordx2 v[12:13], v[12:13]
.LBB10_1397:                            ;   in Loop: Header=BB10_1384 Depth=1
	s_or_b64 exec, exec, s[24:25]
	v_cmp_ge_u32_e64 s[24:25], v80, v1
	v_cmp_lt_u32_e64 s[12:13], v80, v1
                                        ; implicit-def: $vgpr24_vgpr25
	s_and_saveexec_b64 s[26:27], s[12:13]
	s_cbranch_execz .LBB10_1399
; %bb.1398:                             ;   in Loop: Header=BB10_1384 Depth=1
	v_mov_b32_e32 v81, v65
	v_lshl_add_u64 v[14:15], v[80:81], 3, v[10:11]
	flat_load_dwordx2 v[24:25], v[14:15]
.LBB10_1399:                            ;   in Loop: Header=BB10_1384 Depth=1
	s_or_b64 exec, exec, s[26:27]
	s_or_b64 s[12:13], s[16:17], s[24:25]
	s_xor_b64 s[12:13], s[12:13], -1
	s_and_saveexec_b64 s[16:17], s[12:13]
	s_cbranch_execz .LBB10_1407
; %bb.1400:                             ;   in Loop: Header=BB10_1384 Depth=1
	s_mov_b64 s[12:13], 0
	s_and_saveexec_b64 s[26:27], s[8:9]
	s_cbranch_execz .LBB10_1406
; %bb.1401:                             ;   in Loop: Header=BB10_1384 Depth=1
	s_waitcnt vmcnt(0) lgkmcnt(0)
	v_mad_u64_u32 v[14:15], s[12:13], v12, v6, v[8:9]
	v_mul_lo_u32 v16, v12, v7
	v_mul_lo_u32 v17, v13, v6
	v_add3_u32 v15, v17, v15, v16
	v_mad_u64_u32 v[16:17], s[12:13], v24, v6, v[8:9]
	v_mul_lo_u32 v18, v24, v7
	v_mul_lo_u32 v19, v25, v6
	v_add3_u32 v17, v19, v17, v18
	s_mov_b64 s[28:29], 0
	v_mov_b64_e32 v[18:19], v[6:7]
                                        ; implicit-def: $sgpr38_sgpr39
                                        ; implicit-def: $sgpr40_sgpr41
                                        ; implicit-def: $sgpr42_sgpr43
                                        ; implicit-def: $sgpr44_sgpr45
                                        ; implicit-def: $sgpr12_sgpr13
	s_branch .LBB10_1403
.LBB10_1402:                            ;   in Loop: Header=BB10_1403 Depth=2
	s_or_b64 exec, exec, s[46:47]
	s_and_b64 s[46:47], exec, s[40:41]
	s_or_b64 s[28:29], s[46:47], s[28:29]
	s_andn2_b64 s[12:13], s[12:13], exec
	s_and_b64 s[46:47], s[42:43], exec
	s_or_b64 s[12:13], s[12:13], s[46:47]
	s_andn2_b64 s[38:39], s[38:39], exec
	s_and_b64 s[46:47], s[44:45], exec
	s_or_b64 s[38:39], s[38:39], s[46:47]
	s_andn2_b64 exec, exec, s[28:29]
	s_cbranch_execz .LBB10_1405
.LBB10_1403:                            ;   Parent Loop BB10_1384 Depth=1
                                        ; =>  This Inner Loop Header: Depth=2
	flat_load_ubyte v20, v[16:17]
	flat_load_ubyte v21, v[14:15]
	s_andn2_b64 s[44:45], s[44:45], exec
	s_andn2_b64 s[42:43], s[42:43], exec
	s_or_b64 s[40:41], s[40:41], exec
	s_waitcnt vmcnt(0) lgkmcnt(0)
	v_cmp_le_u16_sdwa s[48:49], v20, v21 src0_sel:BYTE_0 src1_sel:BYTE_0
	v_cmp_lt_u16_sdwa s[46:47], v20, v21 src0_sel:BYTE_0 src1_sel:BYTE_0
	s_and_b64 s[48:49], s[48:49], s[12:13]
	s_or_b64 s[48:49], s[46:47], s[48:49]
	s_and_b64 s[46:47], s[48:49], exec
	v_cmp_eq_u16_sdwa s[50:51], v20, v21 src0_sel:BYTE_0 src1_sel:BYTE_0
	s_or_b64 s[44:45], s[44:45], s[46:47]
	s_and_saveexec_b64 s[46:47], s[50:51]
	s_cbranch_execz .LBB10_1402
; %bb.1404:                             ;   in Loop: Header=BB10_1403 Depth=2
	v_lshl_add_u64 v[18:19], v[18:19], 0, -1
	v_cmp_eq_u64_e64 s[12:13], 0, v[18:19]
	s_andn2_b64 s[42:43], s[42:43], exec
	s_and_b64 s[48:49], s[48:49], exec
	s_andn2_b64 s[40:41], s[40:41], exec
	s_and_b64 s[12:13], s[12:13], exec
	v_lshl_add_u64 v[14:15], v[14:15], 0, 1
	v_lshl_add_u64 v[16:17], v[16:17], 0, 1
	s_andn2_b64 s[44:45], s[44:45], exec
	s_or_b64 s[42:43], s[42:43], s[48:49]
	s_or_b64 s[40:41], s[40:41], s[12:13]
                                        ; implicit-def: $sgpr12_sgpr13
	s_branch .LBB10_1402
.LBB10_1405:                            ;   in Loop: Header=BB10_1384 Depth=1
	s_or_b64 exec, exec, s[28:29]
	s_and_b64 s[12:13], s[38:39], exec
.LBB10_1406:                            ;   in Loop: Header=BB10_1384 Depth=1
	s_or_b64 exec, exec, s[26:27]
	s_xor_b64 s[12:13], s[12:13], -1
	s_andn2_b64 s[24:25], s[24:25], exec
	s_and_b64 s[12:13], s[12:13], exec
	s_or_b64 s[24:25], s[24:25], s[12:13]
.LBB10_1407:                            ;   in Loop: Header=BB10_1384 Depth=1
	s_or_b64 exec, exec, s[16:17]
	v_cndmask_b32_e64 v14, v80, v70, s[24:25]
	v_cndmask_b32_e64 v15, v1, v68, s[24:25]
	v_add_u32_e32 v16, 1, v14
	v_add_u32_e32 v14, -1, v15
	v_min_u32_e32 v64, v16, v14
	v_lshl_add_u64 v[14:15], v[64:65], 3, v[10:11]
	flat_load_dwordx2 v[14:15], v[14:15]
	v_cndmask_b32_e64 v20, v16, v80, s[24:25]
	s_mov_b64 s[16:17], -1
	v_cndmask_b32_e64 v21, v70, v16, s[24:25]
	v_cmp_lt_u32_e64 s[12:13], v20, v1
	s_mov_b64 s[26:27], -1
	s_waitcnt vmcnt(0) lgkmcnt(0)
	v_cndmask_b32_e64 v26, v15, v25, s[24:25]
	v_cndmask_b32_e64 v31, v14, v24, s[24:25]
	;; [unrolled: 1-line block ×4, first 2 shown]
	s_and_saveexec_b64 s[28:29], s[12:13]
	s_cbranch_execz .LBB10_1417
; %bb.1408:                             ;   in Loop: Header=BB10_1384 Depth=1
	v_cmp_lt_u32_e64 s[12:13], v21, v68
	s_mov_b64 s[38:39], 0
	s_and_saveexec_b64 s[26:27], s[12:13]
	s_cbranch_execz .LBB10_1416
; %bb.1409:                             ;   in Loop: Header=BB10_1384 Depth=1
	s_mov_b64 s[12:13], 0
	s_and_saveexec_b64 s[38:39], s[8:9]
	s_cbranch_execz .LBB10_1415
; %bb.1410:                             ;   in Loop: Header=BB10_1384 Depth=1
	v_mad_u64_u32 v[14:15], s[12:13], v69, v6, v[8:9]
	v_mul_lo_u32 v16, v69, v7
	v_mul_lo_u32 v17, v27, v6
	v_add3_u32 v15, v17, v15, v16
	v_mad_u64_u32 v[16:17], s[12:13], v31, v6, v[8:9]
	v_mul_lo_u32 v18, v31, v7
	v_mul_lo_u32 v19, v26, v6
	v_add3_u32 v17, v19, v17, v18
	s_mov_b64 s[40:41], 0
	v_mov_b64_e32 v[18:19], v[6:7]
                                        ; implicit-def: $sgpr42_sgpr43
                                        ; implicit-def: $sgpr44_sgpr45
                                        ; implicit-def: $sgpr46_sgpr47
                                        ; implicit-def: $sgpr48_sgpr49
                                        ; implicit-def: $sgpr12_sgpr13
	s_branch .LBB10_1412
.LBB10_1411:                            ;   in Loop: Header=BB10_1412 Depth=2
	s_or_b64 exec, exec, s[50:51]
	s_and_b64 s[50:51], exec, s[44:45]
	s_or_b64 s[40:41], s[50:51], s[40:41]
	s_andn2_b64 s[12:13], s[12:13], exec
	s_and_b64 s[50:51], s[46:47], exec
	s_or_b64 s[12:13], s[12:13], s[50:51]
	s_andn2_b64 s[42:43], s[42:43], exec
	s_and_b64 s[50:51], s[48:49], exec
	s_or_b64 s[42:43], s[42:43], s[50:51]
	s_andn2_b64 exec, exec, s[40:41]
	s_cbranch_execz .LBB10_1414
.LBB10_1412:                            ;   Parent Loop BB10_1384 Depth=1
                                        ; =>  This Inner Loop Header: Depth=2
	flat_load_ubyte v22, v[16:17]
	flat_load_ubyte v23, v[14:15]
	s_andn2_b64 s[48:49], s[48:49], exec
	s_andn2_b64 s[46:47], s[46:47], exec
	s_or_b64 s[44:45], s[44:45], exec
	s_waitcnt vmcnt(0) lgkmcnt(0)
	v_cmp_le_u16_sdwa s[52:53], v22, v23 src0_sel:BYTE_0 src1_sel:BYTE_0
	v_cmp_lt_u16_sdwa s[50:51], v22, v23 src0_sel:BYTE_0 src1_sel:BYTE_0
	s_and_b64 s[52:53], s[52:53], s[12:13]
	s_or_b64 s[52:53], s[50:51], s[52:53]
	s_and_b64 s[50:51], s[52:53], exec
	v_cmp_eq_u16_sdwa s[54:55], v22, v23 src0_sel:BYTE_0 src1_sel:BYTE_0
	s_or_b64 s[48:49], s[48:49], s[50:51]
	s_and_saveexec_b64 s[50:51], s[54:55]
	s_cbranch_execz .LBB10_1411
; %bb.1413:                             ;   in Loop: Header=BB10_1412 Depth=2
	v_lshl_add_u64 v[18:19], v[18:19], 0, -1
	v_cmp_eq_u64_e64 s[12:13], 0, v[18:19]
	s_andn2_b64 s[46:47], s[46:47], exec
	s_and_b64 s[52:53], s[52:53], exec
	s_andn2_b64 s[44:45], s[44:45], exec
	s_and_b64 s[12:13], s[12:13], exec
	v_lshl_add_u64 v[14:15], v[14:15], 0, 1
	v_lshl_add_u64 v[16:17], v[16:17], 0, 1
	s_andn2_b64 s[48:49], s[48:49], exec
	s_or_b64 s[46:47], s[46:47], s[52:53]
	s_or_b64 s[44:45], s[44:45], s[12:13]
                                        ; implicit-def: $sgpr12_sgpr13
	s_branch .LBB10_1411
.LBB10_1414:                            ;   in Loop: Header=BB10_1384 Depth=1
	s_or_b64 exec, exec, s[40:41]
	s_and_b64 s[12:13], s[42:43], exec
.LBB10_1415:                            ;   in Loop: Header=BB10_1384 Depth=1
	s_or_b64 exec, exec, s[38:39]
	s_xor_b64 s[12:13], s[12:13], -1
	s_and_b64 s[38:39], s[12:13], exec
.LBB10_1416:                            ;   in Loop: Header=BB10_1384 Depth=1
	s_or_b64 exec, exec, s[26:27]
	s_orn2_b64 s[26:27], s[38:39], exec
.LBB10_1417:                            ;   in Loop: Header=BB10_1384 Depth=1
	s_or_b64 exec, exec, s[28:29]
	v_cndmask_b32_e64 v14, v20, v21, s[26:27]
	v_cndmask_b32_e64 v15, v1, v68, s[26:27]
	v_add_u32_e32 v16, 1, v14
	v_add_u32_e32 v14, -1, v15
	v_min_u32_e32 v64, v16, v14
	v_lshl_add_u64 v[14:15], v[64:65], 3, v[10:11]
	flat_load_dwordx2 v[14:15], v[14:15]
	v_cndmask_b32_e64 v20, v16, v20, s[26:27]
	v_cndmask_b32_e64 v21, v21, v16, s[26:27]
	v_cmp_lt_u32_e64 s[12:13], v20, v1
	s_waitcnt vmcnt(0) lgkmcnt(0)
	v_cndmask_b32_e64 v70, v15, v26, s[26:27]
	v_cndmask_b32_e64 v71, v14, v31, s[26:27]
	;; [unrolled: 1-line block ×4, first 2 shown]
	s_and_saveexec_b64 s[28:29], s[12:13]
	s_cbranch_execz .LBB10_1427
; %bb.1418:                             ;   in Loop: Header=BB10_1384 Depth=1
	v_cmp_lt_u32_e64 s[12:13], v21, v68
	s_mov_b64 s[38:39], 0
	s_and_saveexec_b64 s[16:17], s[12:13]
	s_cbranch_execz .LBB10_1426
; %bb.1419:                             ;   in Loop: Header=BB10_1384 Depth=1
	s_mov_b64 s[12:13], 0
	s_and_saveexec_b64 s[38:39], s[8:9]
	s_cbranch_execz .LBB10_1425
; %bb.1420:                             ;   in Loop: Header=BB10_1384 Depth=1
	v_mad_u64_u32 v[14:15], s[12:13], v81, v6, v[8:9]
	v_mul_lo_u32 v16, v81, v7
	v_mul_lo_u32 v17, v80, v6
	v_add3_u32 v15, v17, v15, v16
	v_mad_u64_u32 v[16:17], s[12:13], v71, v6, v[8:9]
	v_mul_lo_u32 v18, v71, v7
	v_mul_lo_u32 v19, v70, v6
	v_add3_u32 v17, v19, v17, v18
	s_mov_b64 s[40:41], 0
	v_mov_b64_e32 v[18:19], v[6:7]
                                        ; implicit-def: $sgpr42_sgpr43
                                        ; implicit-def: $sgpr44_sgpr45
                                        ; implicit-def: $sgpr46_sgpr47
                                        ; implicit-def: $sgpr48_sgpr49
                                        ; implicit-def: $sgpr12_sgpr13
	s_branch .LBB10_1422
.LBB10_1421:                            ;   in Loop: Header=BB10_1422 Depth=2
	s_or_b64 exec, exec, s[50:51]
	s_and_b64 s[50:51], exec, s[44:45]
	s_or_b64 s[40:41], s[50:51], s[40:41]
	s_andn2_b64 s[12:13], s[12:13], exec
	s_and_b64 s[50:51], s[46:47], exec
	s_or_b64 s[12:13], s[12:13], s[50:51]
	s_andn2_b64 s[42:43], s[42:43], exec
	s_and_b64 s[50:51], s[48:49], exec
	s_or_b64 s[42:43], s[42:43], s[50:51]
	s_andn2_b64 exec, exec, s[40:41]
	s_cbranch_execz .LBB10_1424
.LBB10_1422:                            ;   Parent Loop BB10_1384 Depth=1
                                        ; =>  This Inner Loop Header: Depth=2
	flat_load_ubyte v22, v[16:17]
	flat_load_ubyte v23, v[14:15]
	s_andn2_b64 s[48:49], s[48:49], exec
	s_andn2_b64 s[46:47], s[46:47], exec
	s_or_b64 s[44:45], s[44:45], exec
	s_waitcnt vmcnt(0) lgkmcnt(0)
	v_cmp_le_u16_sdwa s[52:53], v22, v23 src0_sel:BYTE_0 src1_sel:BYTE_0
	v_cmp_lt_u16_sdwa s[50:51], v22, v23 src0_sel:BYTE_0 src1_sel:BYTE_0
	s_and_b64 s[52:53], s[52:53], s[12:13]
	s_or_b64 s[52:53], s[50:51], s[52:53]
	s_and_b64 s[50:51], s[52:53], exec
	v_cmp_eq_u16_sdwa s[54:55], v22, v23 src0_sel:BYTE_0 src1_sel:BYTE_0
	s_or_b64 s[48:49], s[48:49], s[50:51]
	s_and_saveexec_b64 s[50:51], s[54:55]
	s_cbranch_execz .LBB10_1421
; %bb.1423:                             ;   in Loop: Header=BB10_1422 Depth=2
	v_lshl_add_u64 v[18:19], v[18:19], 0, -1
	v_cmp_eq_u64_e64 s[12:13], 0, v[18:19]
	s_andn2_b64 s[46:47], s[46:47], exec
	s_and_b64 s[52:53], s[52:53], exec
	s_andn2_b64 s[44:45], s[44:45], exec
	s_and_b64 s[12:13], s[12:13], exec
	v_lshl_add_u64 v[14:15], v[14:15], 0, 1
	v_lshl_add_u64 v[16:17], v[16:17], 0, 1
	s_andn2_b64 s[48:49], s[48:49], exec
	s_or_b64 s[46:47], s[46:47], s[52:53]
	s_or_b64 s[44:45], s[44:45], s[12:13]
                                        ; implicit-def: $sgpr12_sgpr13
	s_branch .LBB10_1421
.LBB10_1424:                            ;   in Loop: Header=BB10_1384 Depth=1
	s_or_b64 exec, exec, s[40:41]
	s_and_b64 s[12:13], s[42:43], exec
.LBB10_1425:                            ;   in Loop: Header=BB10_1384 Depth=1
	s_or_b64 exec, exec, s[38:39]
	s_xor_b64 s[12:13], s[12:13], -1
	s_and_b64 s[38:39], s[12:13], exec
.LBB10_1426:                            ;   in Loop: Header=BB10_1384 Depth=1
	s_or_b64 exec, exec, s[16:17]
	s_orn2_b64 s[16:17], s[38:39], exec
.LBB10_1427:                            ;   in Loop: Header=BB10_1384 Depth=1
	s_or_b64 exec, exec, s[28:29]
	v_cndmask_b32_e64 v14, v20, v21, s[16:17]
	v_cndmask_b32_e64 v15, v1, v68, s[16:17]
	v_add_u32_e32 v16, 1, v14
	v_add_u32_e32 v14, -1, v15
	v_min_u32_e32 v64, v16, v14
	v_lshl_add_u64 v[14:15], v[64:65], 3, v[10:11]
	flat_load_dwordx2 v[14:15], v[14:15]
	v_cndmask_b32_e64 v20, v16, v20, s[16:17]
	s_mov_b64 s[28:29], -1
	v_cndmask_b32_e64 v21, v21, v16, s[16:17]
	v_cmp_lt_u32_e64 s[12:13], v20, v1
	s_mov_b64 s[38:39], -1
	s_waitcnt vmcnt(0) lgkmcnt(0)
	v_cndmask_b32_e64 v82, v15, v70, s[16:17]
	v_cndmask_b32_e64 v83, v14, v71, s[16:17]
	;; [unrolled: 1-line block ×4, first 2 shown]
	s_and_saveexec_b64 s[40:41], s[12:13]
	s_cbranch_execz .LBB10_1437
; %bb.1428:                             ;   in Loop: Header=BB10_1384 Depth=1
	v_cmp_lt_u32_e64 s[12:13], v21, v68
	s_mov_b64 s[42:43], 0
	s_and_saveexec_b64 s[38:39], s[12:13]
	s_cbranch_execz .LBB10_1436
; %bb.1429:                             ;   in Loop: Header=BB10_1384 Depth=1
	s_mov_b64 s[12:13], -1
	s_and_saveexec_b64 s[42:43], s[8:9]
	s_cbranch_execz .LBB10_1435
; %bb.1430:                             ;   in Loop: Header=BB10_1384 Depth=1
	v_mad_u64_u32 v[14:15], s[12:13], v85, v6, v[8:9]
	v_mul_lo_u32 v16, v85, v7
	v_mul_lo_u32 v17, v84, v6
	v_add3_u32 v15, v17, v15, v16
	v_mad_u64_u32 v[16:17], s[12:13], v83, v6, v[8:9]
	v_mul_lo_u32 v18, v83, v7
	v_mul_lo_u32 v19, v82, v6
	v_add3_u32 v17, v19, v17, v18
	s_mov_b64 s[44:45], 0
	v_mov_b64_e32 v[18:19], v[6:7]
                                        ; implicit-def: $sgpr46_sgpr47
                                        ; implicit-def: $sgpr48_sgpr49
                                        ; implicit-def: $sgpr52_sgpr53
                                        ; implicit-def: $sgpr50_sgpr51
                                        ; implicit-def: $sgpr12_sgpr13
	s_branch .LBB10_1432
.LBB10_1431:                            ;   in Loop: Header=BB10_1432 Depth=2
	s_or_b64 exec, exec, s[54:55]
	s_and_b64 s[54:55], exec, s[48:49]
	s_or_b64 s[44:45], s[54:55], s[44:45]
	s_andn2_b64 s[12:13], s[12:13], exec
	s_and_b64 s[54:55], s[50:51], exec
	s_or_b64 s[12:13], s[12:13], s[54:55]
	s_andn2_b64 s[46:47], s[46:47], exec
	s_and_b64 s[54:55], s[52:53], exec
	s_or_b64 s[46:47], s[46:47], s[54:55]
	s_andn2_b64 exec, exec, s[44:45]
	s_cbranch_execz .LBB10_1434
.LBB10_1432:                            ;   Parent Loop BB10_1384 Depth=1
                                        ; =>  This Inner Loop Header: Depth=2
	flat_load_ubyte v22, v[16:17]
	flat_load_ubyte v23, v[14:15]
	s_andn2_b64 s[52:53], s[52:53], exec
	s_andn2_b64 s[50:51], s[50:51], exec
	s_or_b64 s[48:49], s[48:49], exec
	s_waitcnt vmcnt(0) lgkmcnt(0)
	v_cmp_le_u16_sdwa s[56:57], v22, v23 src0_sel:BYTE_0 src1_sel:BYTE_0
	v_cmp_lt_u16_sdwa s[54:55], v22, v23 src0_sel:BYTE_0 src1_sel:BYTE_0
	s_and_b64 s[56:57], s[56:57], s[12:13]
	s_or_b64 s[56:57], s[54:55], s[56:57]
	s_and_b64 s[54:55], s[56:57], exec
	v_cmp_eq_u16_sdwa s[58:59], v22, v23 src0_sel:BYTE_0 src1_sel:BYTE_0
	s_or_b64 s[52:53], s[52:53], s[54:55]
	s_and_saveexec_b64 s[54:55], s[58:59]
	s_cbranch_execz .LBB10_1431
; %bb.1433:                             ;   in Loop: Header=BB10_1432 Depth=2
	v_lshl_add_u64 v[18:19], v[18:19], 0, -1
	v_cmp_eq_u64_e64 s[12:13], 0, v[18:19]
	s_andn2_b64 s[50:51], s[50:51], exec
	s_and_b64 s[56:57], s[56:57], exec
	s_andn2_b64 s[48:49], s[48:49], exec
	s_and_b64 s[12:13], s[12:13], exec
	v_lshl_add_u64 v[14:15], v[14:15], 0, 1
	v_lshl_add_u64 v[16:17], v[16:17], 0, 1
	s_or_b64 s[50:51], s[50:51], s[56:57]
	s_andn2_b64 s[52:53], s[52:53], exec
	s_or_b64 s[48:49], s[48:49], s[12:13]
                                        ; implicit-def: $sgpr12_sgpr13
	s_branch .LBB10_1431
.LBB10_1434:                            ;   in Loop: Header=BB10_1384 Depth=1
	s_or_b64 exec, exec, s[44:45]
	s_xor_b64 s[12:13], s[46:47], -1
	s_orn2_b64 s[12:13], s[12:13], exec
.LBB10_1435:                            ;   in Loop: Header=BB10_1384 Depth=1
	s_or_b64 exec, exec, s[42:43]
	s_and_b64 s[42:43], s[12:13], exec
.LBB10_1436:                            ;   in Loop: Header=BB10_1384 Depth=1
	s_or_b64 exec, exec, s[38:39]
	s_orn2_b64 s[38:39], s[42:43], exec
.LBB10_1437:                            ;   in Loop: Header=BB10_1384 Depth=1
	s_or_b64 exec, exec, s[40:41]
	v_cndmask_b32_e64 v14, v20, v21, s[38:39]
	v_cndmask_b32_e64 v15, v1, v68, s[38:39]
	v_add_u32_e32 v16, 1, v14
	v_add_u32_e32 v14, -1, v15
	v_min_u32_e32 v64, v16, v14
	v_lshl_add_u64 v[14:15], v[64:65], 3, v[10:11]
	flat_load_dwordx2 v[14:15], v[14:15]
	v_cndmask_b32_e64 v20, v16, v20, s[38:39]
	v_cndmask_b32_e64 v21, v21, v16, s[38:39]
	v_cmp_lt_u32_e64 s[12:13], v20, v1
	s_waitcnt vmcnt(0) lgkmcnt(0)
	v_cndmask_b32_e64 v86, v15, v82, s[38:39]
	v_cndmask_b32_e64 v87, v14, v83, s[38:39]
	;; [unrolled: 1-line block ×4, first 2 shown]
	s_and_saveexec_b64 s[40:41], s[12:13]
	s_cbranch_execz .LBB10_1447
; %bb.1438:                             ;   in Loop: Header=BB10_1384 Depth=1
	v_cmp_lt_u32_e64 s[12:13], v21, v68
	s_mov_b64 s[42:43], 0
	s_and_saveexec_b64 s[28:29], s[12:13]
	s_cbranch_execz .LBB10_1446
; %bb.1439:                             ;   in Loop: Header=BB10_1384 Depth=1
	s_mov_b64 s[12:13], -1
	s_and_saveexec_b64 s[42:43], s[8:9]
	s_cbranch_execz .LBB10_1445
; %bb.1440:                             ;   in Loop: Header=BB10_1384 Depth=1
	v_mad_u64_u32 v[14:15], s[12:13], v97, v6, v[8:9]
	v_mul_lo_u32 v16, v97, v7
	v_mul_lo_u32 v17, v96, v6
	v_add3_u32 v15, v17, v15, v16
	v_mad_u64_u32 v[16:17], s[12:13], v87, v6, v[8:9]
	v_mul_lo_u32 v18, v87, v7
	v_mul_lo_u32 v19, v86, v6
	v_add3_u32 v17, v19, v17, v18
	s_mov_b64 s[44:45], 0
	v_mov_b64_e32 v[18:19], v[6:7]
                                        ; implicit-def: $sgpr46_sgpr47
                                        ; implicit-def: $sgpr48_sgpr49
                                        ; implicit-def: $sgpr52_sgpr53
                                        ; implicit-def: $sgpr50_sgpr51
                                        ; implicit-def: $sgpr12_sgpr13
	s_branch .LBB10_1442
.LBB10_1441:                            ;   in Loop: Header=BB10_1442 Depth=2
	s_or_b64 exec, exec, s[54:55]
	s_and_b64 s[54:55], exec, s[48:49]
	s_or_b64 s[44:45], s[54:55], s[44:45]
	s_andn2_b64 s[12:13], s[12:13], exec
	s_and_b64 s[54:55], s[50:51], exec
	s_or_b64 s[12:13], s[12:13], s[54:55]
	s_andn2_b64 s[46:47], s[46:47], exec
	s_and_b64 s[54:55], s[52:53], exec
	s_or_b64 s[46:47], s[46:47], s[54:55]
	s_andn2_b64 exec, exec, s[44:45]
	s_cbranch_execz .LBB10_1444
.LBB10_1442:                            ;   Parent Loop BB10_1384 Depth=1
                                        ; =>  This Inner Loop Header: Depth=2
	flat_load_ubyte v22, v[16:17]
	flat_load_ubyte v23, v[14:15]
	s_andn2_b64 s[52:53], s[52:53], exec
	s_andn2_b64 s[50:51], s[50:51], exec
	s_or_b64 s[48:49], s[48:49], exec
	s_waitcnt vmcnt(0) lgkmcnt(0)
	v_cmp_le_u16_sdwa s[56:57], v22, v23 src0_sel:BYTE_0 src1_sel:BYTE_0
	v_cmp_lt_u16_sdwa s[54:55], v22, v23 src0_sel:BYTE_0 src1_sel:BYTE_0
	s_and_b64 s[56:57], s[56:57], s[12:13]
	s_or_b64 s[56:57], s[54:55], s[56:57]
	s_and_b64 s[54:55], s[56:57], exec
	v_cmp_eq_u16_sdwa s[58:59], v22, v23 src0_sel:BYTE_0 src1_sel:BYTE_0
	s_or_b64 s[52:53], s[52:53], s[54:55]
	s_and_saveexec_b64 s[54:55], s[58:59]
	s_cbranch_execz .LBB10_1441
; %bb.1443:                             ;   in Loop: Header=BB10_1442 Depth=2
	v_lshl_add_u64 v[18:19], v[18:19], 0, -1
	v_cmp_eq_u64_e64 s[12:13], 0, v[18:19]
	s_andn2_b64 s[50:51], s[50:51], exec
	s_and_b64 s[56:57], s[56:57], exec
	s_andn2_b64 s[48:49], s[48:49], exec
	s_and_b64 s[12:13], s[12:13], exec
	v_lshl_add_u64 v[14:15], v[14:15], 0, 1
	v_lshl_add_u64 v[16:17], v[16:17], 0, 1
	s_or_b64 s[50:51], s[50:51], s[56:57]
	s_andn2_b64 s[52:53], s[52:53], exec
	s_or_b64 s[48:49], s[48:49], s[12:13]
                                        ; implicit-def: $sgpr12_sgpr13
	s_branch .LBB10_1441
.LBB10_1444:                            ;   in Loop: Header=BB10_1384 Depth=1
	s_or_b64 exec, exec, s[44:45]
	s_xor_b64 s[12:13], s[46:47], -1
	s_orn2_b64 s[12:13], s[12:13], exec
.LBB10_1445:                            ;   in Loop: Header=BB10_1384 Depth=1
	s_or_b64 exec, exec, s[42:43]
	s_and_b64 s[42:43], s[12:13], exec
.LBB10_1446:                            ;   in Loop: Header=BB10_1384 Depth=1
	s_or_b64 exec, exec, s[28:29]
	s_orn2_b64 s[28:29], s[42:43], exec
.LBB10_1447:                            ;   in Loop: Header=BB10_1384 Depth=1
	s_or_b64 exec, exec, s[40:41]
	v_cndmask_b32_e64 v14, v20, v21, s[28:29]
	v_cndmask_b32_e64 v15, v1, v68, s[28:29]
	v_add_u32_e32 v16, 1, v14
	v_add_u32_e32 v14, -1, v15
	v_min_u32_e32 v64, v16, v14
	v_lshl_add_u64 v[14:15], v[64:65], 3, v[10:11]
	flat_load_dwordx2 v[14:15], v[14:15]
	v_cndmask_b32_e64 v20, v16, v20, s[28:29]
	s_mov_b64 s[40:41], -1
	v_cndmask_b32_e64 v21, v21, v16, s[28:29]
	v_cmp_lt_u32_e64 s[12:13], v20, v1
	s_mov_b64 s[42:43], -1
	s_waitcnt vmcnt(0) lgkmcnt(0)
	v_cndmask_b32_e64 v98, v15, v86, s[28:29]
	v_cndmask_b32_e64 v99, v14, v87, s[28:29]
	;; [unrolled: 1-line block ×4, first 2 shown]
	s_and_saveexec_b64 s[44:45], s[12:13]
	s_cbranch_execz .LBB10_1457
; %bb.1448:                             ;   in Loop: Header=BB10_1384 Depth=1
	v_cmp_lt_u32_e64 s[12:13], v21, v68
	s_mov_b64 s[46:47], 0
	s_and_saveexec_b64 s[42:43], s[12:13]
	s_cbranch_execz .LBB10_1456
; %bb.1449:                             ;   in Loop: Header=BB10_1384 Depth=1
	s_mov_b64 s[12:13], -1
	s_and_saveexec_b64 s[46:47], s[8:9]
	s_cbranch_execz .LBB10_1455
; %bb.1450:                             ;   in Loop: Header=BB10_1384 Depth=1
	v_mad_u64_u32 v[14:15], s[12:13], v101, v6, v[8:9]
	v_mul_lo_u32 v16, v101, v7
	v_mul_lo_u32 v17, v100, v6
	v_add3_u32 v15, v17, v15, v16
	v_mad_u64_u32 v[16:17], s[12:13], v99, v6, v[8:9]
	v_mul_lo_u32 v18, v99, v7
	v_mul_lo_u32 v19, v98, v6
	v_add3_u32 v17, v19, v17, v18
	s_mov_b64 s[48:49], 0
	v_mov_b64_e32 v[18:19], v[6:7]
                                        ; implicit-def: $sgpr50_sgpr51
                                        ; implicit-def: $sgpr52_sgpr53
                                        ; implicit-def: $sgpr56_sgpr57
                                        ; implicit-def: $sgpr54_sgpr55
                                        ; implicit-def: $sgpr12_sgpr13
	s_branch .LBB10_1452
.LBB10_1451:                            ;   in Loop: Header=BB10_1452 Depth=2
	s_or_b64 exec, exec, s[58:59]
	s_and_b64 s[58:59], exec, s[52:53]
	s_or_b64 s[48:49], s[58:59], s[48:49]
	s_andn2_b64 s[12:13], s[12:13], exec
	s_and_b64 s[58:59], s[54:55], exec
	s_or_b64 s[12:13], s[12:13], s[58:59]
	s_andn2_b64 s[50:51], s[50:51], exec
	s_and_b64 s[58:59], s[56:57], exec
	s_or_b64 s[50:51], s[50:51], s[58:59]
	s_andn2_b64 exec, exec, s[48:49]
	s_cbranch_execz .LBB10_1454
.LBB10_1452:                            ;   Parent Loop BB10_1384 Depth=1
                                        ; =>  This Inner Loop Header: Depth=2
	flat_load_ubyte v22, v[16:17]
	flat_load_ubyte v23, v[14:15]
	s_andn2_b64 s[56:57], s[56:57], exec
	s_andn2_b64 s[54:55], s[54:55], exec
	s_or_b64 s[52:53], s[52:53], exec
	s_waitcnt vmcnt(0) lgkmcnt(0)
	v_cmp_le_u16_sdwa s[60:61], v22, v23 src0_sel:BYTE_0 src1_sel:BYTE_0
	v_cmp_lt_u16_sdwa s[58:59], v22, v23 src0_sel:BYTE_0 src1_sel:BYTE_0
	s_and_b64 s[60:61], s[60:61], s[12:13]
	s_or_b64 s[60:61], s[58:59], s[60:61]
	s_and_b64 s[58:59], s[60:61], exec
	v_cmp_eq_u16_sdwa s[62:63], v22, v23 src0_sel:BYTE_0 src1_sel:BYTE_0
	s_or_b64 s[56:57], s[56:57], s[58:59]
	s_and_saveexec_b64 s[58:59], s[62:63]
	s_cbranch_execz .LBB10_1451
; %bb.1453:                             ;   in Loop: Header=BB10_1452 Depth=2
	v_lshl_add_u64 v[18:19], v[18:19], 0, -1
	v_cmp_eq_u64_e64 s[12:13], 0, v[18:19]
	s_andn2_b64 s[54:55], s[54:55], exec
	s_and_b64 s[60:61], s[60:61], exec
	s_andn2_b64 s[52:53], s[52:53], exec
	s_and_b64 s[12:13], s[12:13], exec
	v_lshl_add_u64 v[14:15], v[14:15], 0, 1
	v_lshl_add_u64 v[16:17], v[16:17], 0, 1
	s_or_b64 s[54:55], s[54:55], s[60:61]
	s_andn2_b64 s[56:57], s[56:57], exec
	s_or_b64 s[52:53], s[52:53], s[12:13]
                                        ; implicit-def: $sgpr12_sgpr13
	s_branch .LBB10_1451
.LBB10_1454:                            ;   in Loop: Header=BB10_1384 Depth=1
	s_or_b64 exec, exec, s[48:49]
	s_xor_b64 s[12:13], s[50:51], -1
	s_orn2_b64 s[12:13], s[12:13], exec
.LBB10_1455:                            ;   in Loop: Header=BB10_1384 Depth=1
	s_or_b64 exec, exec, s[46:47]
	s_and_b64 s[46:47], s[12:13], exec
.LBB10_1456:                            ;   in Loop: Header=BB10_1384 Depth=1
	s_or_b64 exec, exec, s[42:43]
	s_orn2_b64 s[42:43], s[46:47], exec
.LBB10_1457:                            ;   in Loop: Header=BB10_1384 Depth=1
	s_or_b64 exec, exec, s[44:45]
	v_cndmask_b32_e64 v14, v20, v21, s[42:43]
	v_cndmask_b32_e64 v15, v1, v68, s[42:43]
	v_add_u32_e32 v16, 1, v14
	v_add_u32_e32 v14, -1, v15
	v_min_u32_e32 v64, v16, v14
	v_lshl_add_u64 v[14:15], v[64:65], 3, v[10:11]
	flat_load_dwordx2 v[14:15], v[14:15]
	v_cndmask_b32_e64 v22, v16, v20, s[42:43]
	v_cndmask_b32_e64 v20, v21, v16, s[42:43]
	v_cmp_lt_u32_e64 s[12:13], v22, v1
	s_waitcnt vmcnt(0) lgkmcnt(0)
	v_cndmask_b32_e64 v102, v15, v98, s[42:43]
	v_cndmask_b32_e64 v103, v14, v99, s[42:43]
	;; [unrolled: 1-line block ×4, first 2 shown]
	s_and_saveexec_b64 s[44:45], s[12:13]
	s_cbranch_execz .LBB10_1467
; %bb.1458:                             ;   in Loop: Header=BB10_1384 Depth=1
	v_cmp_lt_u32_e64 s[12:13], v20, v68
	s_mov_b64 s[46:47], 0
	s_and_saveexec_b64 s[40:41], s[12:13]
	s_cbranch_execz .LBB10_1466
; %bb.1459:                             ;   in Loop: Header=BB10_1384 Depth=1
	s_mov_b64 s[12:13], -1
	s_and_saveexec_b64 s[46:47], s[8:9]
	s_cbranch_execz .LBB10_1465
; %bb.1460:                             ;   in Loop: Header=BB10_1384 Depth=1
	v_mad_u64_u32 v[14:15], s[12:13], v113, v6, v[8:9]
	v_mul_lo_u32 v16, v113, v7
	v_mul_lo_u32 v17, v112, v6
	v_add3_u32 v15, v17, v15, v16
	v_mad_u64_u32 v[16:17], s[12:13], v103, v6, v[8:9]
	v_mul_lo_u32 v18, v103, v7
	v_mul_lo_u32 v19, v102, v6
	v_add3_u32 v17, v19, v17, v18
	s_mov_b64 s[48:49], 0
	v_mov_b64_e32 v[18:19], v[6:7]
                                        ; implicit-def: $sgpr50_sgpr51
                                        ; implicit-def: $sgpr52_sgpr53
                                        ; implicit-def: $sgpr56_sgpr57
                                        ; implicit-def: $sgpr54_sgpr55
                                        ; implicit-def: $sgpr12_sgpr13
	s_branch .LBB10_1462
.LBB10_1461:                            ;   in Loop: Header=BB10_1462 Depth=2
	s_or_b64 exec, exec, s[58:59]
	s_and_b64 s[58:59], exec, s[52:53]
	s_or_b64 s[48:49], s[58:59], s[48:49]
	s_andn2_b64 s[12:13], s[12:13], exec
	s_and_b64 s[58:59], s[54:55], exec
	s_or_b64 s[12:13], s[12:13], s[58:59]
	s_andn2_b64 s[50:51], s[50:51], exec
	s_and_b64 s[58:59], s[56:57], exec
	s_or_b64 s[50:51], s[50:51], s[58:59]
	s_andn2_b64 exec, exec, s[48:49]
	s_cbranch_execz .LBB10_1464
.LBB10_1462:                            ;   Parent Loop BB10_1384 Depth=1
                                        ; =>  This Inner Loop Header: Depth=2
	flat_load_ubyte v21, v[16:17]
	flat_load_ubyte v23, v[14:15]
	s_andn2_b64 s[56:57], s[56:57], exec
	s_andn2_b64 s[54:55], s[54:55], exec
	s_or_b64 s[52:53], s[52:53], exec
	s_waitcnt vmcnt(0) lgkmcnt(0)
	v_cmp_le_u16_sdwa s[60:61], v21, v23 src0_sel:BYTE_0 src1_sel:BYTE_0
	v_cmp_lt_u16_sdwa s[58:59], v21, v23 src0_sel:BYTE_0 src1_sel:BYTE_0
	s_and_b64 s[60:61], s[60:61], s[12:13]
	s_or_b64 s[60:61], s[58:59], s[60:61]
	s_and_b64 s[58:59], s[60:61], exec
	v_cmp_eq_u16_sdwa s[62:63], v21, v23 src0_sel:BYTE_0 src1_sel:BYTE_0
	s_or_b64 s[56:57], s[56:57], s[58:59]
	s_and_saveexec_b64 s[58:59], s[62:63]
	s_cbranch_execz .LBB10_1461
; %bb.1463:                             ;   in Loop: Header=BB10_1462 Depth=2
	v_lshl_add_u64 v[18:19], v[18:19], 0, -1
	v_cmp_eq_u64_e64 s[12:13], 0, v[18:19]
	s_andn2_b64 s[54:55], s[54:55], exec
	s_and_b64 s[60:61], s[60:61], exec
	s_andn2_b64 s[52:53], s[52:53], exec
	s_and_b64 s[12:13], s[12:13], exec
	v_lshl_add_u64 v[14:15], v[14:15], 0, 1
	v_lshl_add_u64 v[16:17], v[16:17], 0, 1
	s_or_b64 s[54:55], s[54:55], s[60:61]
	s_andn2_b64 s[56:57], s[56:57], exec
	s_or_b64 s[52:53], s[52:53], s[12:13]
                                        ; implicit-def: $sgpr12_sgpr13
	s_branch .LBB10_1461
.LBB10_1464:                            ;   in Loop: Header=BB10_1384 Depth=1
	s_or_b64 exec, exec, s[48:49]
	s_xor_b64 s[12:13], s[50:51], -1
	s_orn2_b64 s[12:13], s[12:13], exec
.LBB10_1465:                            ;   in Loop: Header=BB10_1384 Depth=1
	s_or_b64 exec, exec, s[46:47]
	s_and_b64 s[46:47], s[12:13], exec
.LBB10_1466:                            ;   in Loop: Header=BB10_1384 Depth=1
	s_or_b64 exec, exec, s[40:41]
	s_orn2_b64 s[40:41], s[46:47], exec
.LBB10_1467:                            ;   in Loop: Header=BB10_1384 Depth=1
	s_or_b64 exec, exec, s[44:45]
	v_cndmask_b32_e64 v14, v22, v20, s[40:41]
	v_cndmask_b32_e64 v15, v1, v68, s[40:41]
	v_add_u32_e32 v18, 1, v14
	v_add_u32_e32 v14, -1, v15
	v_min_u32_e32 v64, v18, v14
	v_lshl_add_u64 v[14:15], v[64:65], 3, v[10:11]
	flat_load_dwordx2 v[16:17], v[14:15]
	v_cndmask_b32_e64 v19, v18, v22, s[40:41]
	v_cmp_lt_u32_e64 s[12:13], v19, v1
	s_waitcnt vmcnt(0) lgkmcnt(0)
	v_cndmask_b32_e64 v15, v112, v17, s[40:41]
	v_cndmask_b32_e64 v14, v113, v16, s[40:41]
	s_and_saveexec_b64 s[44:45], s[12:13]
	s_cbranch_execz .LBB10_1382
; %bb.1468:                             ;   in Loop: Header=BB10_1384 Depth=1
	v_cndmask_b32_e64 v1, v20, v18, s[40:41]
	v_cndmask_b32_e64 v17, v17, v102, s[40:41]
	v_cndmask_b32_e64 v16, v16, v103, s[40:41]
	v_cmp_lt_u32_e64 s[12:13], v1, v68
	s_and_saveexec_b64 s[46:47], s[12:13]
	s_cbranch_execz .LBB10_1381
; %bb.1469:                             ;   in Loop: Header=BB10_1384 Depth=1
	s_and_saveexec_b64 s[48:49], s[8:9]
	s_cbranch_execz .LBB10_1380
; %bb.1470:                             ;   in Loop: Header=BB10_1384 Depth=1
	v_mad_u64_u32 v[18:19], s[12:13], v14, v6, v[8:9]
	v_mul_lo_u32 v1, v14, v7
	v_mul_lo_u32 v20, v15, v6
	v_add3_u32 v19, v20, v19, v1
	v_mad_u64_u32 v[20:21], s[12:13], v16, v6, v[8:9]
	v_mul_lo_u32 v1, v16, v7
	v_mul_lo_u32 v22, v17, v6
	v_add3_u32 v21, v22, v21, v1
	s_mov_b64 s[50:51], 0
	v_mov_b64_e32 v[22:23], v[6:7]
                                        ; implicit-def: $sgpr52_sgpr53
                                        ; implicit-def: $sgpr54_sgpr55
                                        ; implicit-def: $sgpr58_sgpr59
                                        ; implicit-def: $sgpr56_sgpr57
                                        ; implicit-def: $sgpr12_sgpr13
	s_branch .LBB10_1472
.LBB10_1471:                            ;   in Loop: Header=BB10_1472 Depth=2
	s_or_b64 exec, exec, s[60:61]
	s_and_b64 s[60:61], exec, s[54:55]
	s_or_b64 s[50:51], s[60:61], s[50:51]
	s_andn2_b64 s[12:13], s[12:13], exec
	s_and_b64 s[60:61], s[56:57], exec
	s_or_b64 s[12:13], s[12:13], s[60:61]
	s_andn2_b64 s[52:53], s[52:53], exec
	s_and_b64 s[60:61], s[58:59], exec
	s_or_b64 s[52:53], s[52:53], s[60:61]
	s_andn2_b64 exec, exec, s[50:51]
	s_cbranch_execz .LBB10_1379
.LBB10_1472:                            ;   Parent Loop BB10_1384 Depth=1
                                        ; =>  This Inner Loop Header: Depth=2
	flat_load_ubyte v1, v[20:21]
	flat_load_ubyte v64, v[18:19]
	s_andn2_b64 s[58:59], s[58:59], exec
	s_andn2_b64 s[56:57], s[56:57], exec
	s_or_b64 s[54:55], s[54:55], exec
	s_waitcnt vmcnt(0) lgkmcnt(0)
	v_cmp_le_u16_sdwa s[62:63], v1, v64 src0_sel:BYTE_0 src1_sel:BYTE_0
	v_cmp_lt_u16_sdwa s[60:61], v1, v64 src0_sel:BYTE_0 src1_sel:BYTE_0
	s_and_b64 s[62:63], s[62:63], s[12:13]
	s_or_b64 s[62:63], s[60:61], s[62:63]
	s_and_b64 s[60:61], s[62:63], exec
	v_cmp_eq_u16_sdwa s[66:67], v1, v64 src0_sel:BYTE_0 src1_sel:BYTE_0
	s_or_b64 s[58:59], s[58:59], s[60:61]
	s_and_saveexec_b64 s[60:61], s[66:67]
	s_cbranch_execz .LBB10_1471
; %bb.1473:                             ;   in Loop: Header=BB10_1472 Depth=2
	v_lshl_add_u64 v[22:23], v[22:23], 0, -1
	v_cmp_eq_u64_e64 s[12:13], 0, v[22:23]
	s_andn2_b64 s[56:57], s[56:57], exec
	s_and_b64 s[62:63], s[62:63], exec
	s_andn2_b64 s[54:55], s[54:55], exec
	s_and_b64 s[12:13], s[12:13], exec
	v_lshl_add_u64 v[18:19], v[18:19], 0, 1
	v_lshl_add_u64 v[20:21], v[20:21], 0, 1
	s_or_b64 s[56:57], s[56:57], s[62:63]
	s_andn2_b64 s[58:59], s[58:59], exec
	s_or_b64 s[54:55], s[54:55], s[12:13]
                                        ; implicit-def: $sgpr12_sgpr13
	s_branch .LBB10_1471
.LBB10_1474:
	s_or_b64 exec, exec, s[20:21]
.LBB10_1475:
	s_or_b64 exec, exec, s[18:19]
	s_barrier
	flat_store_dwordx4 v[54:55], v[24:27]
	flat_store_dwordx4 v[54:55], v[20:23] offset:16
	flat_store_dwordx4 v[54:55], v[16:19] offset:32
	;; [unrolled: 1-line block ×3, first 2 shown]
	s_waitcnt lgkmcnt(0)
	s_barrier
	flat_load_dwordx2 v[18:19], v[32:33] offset:2048
	flat_load_dwordx2 v[16:17], v[34:35]
	flat_load_dwordx2 v[14:15], v[36:37]
	;; [unrolled: 1-line block ×6, first 2 shown]
	v_mov_b32_e32 v31, 0
	v_lshl_add_u64 v[8:9], v[4:5], 0, v[30:31]
	s_and_saveexec_b64 s[8:9], vcc
	s_cbranch_execnz .LBB10_1484
; %bb.1476:
	s_or_b64 exec, exec, s[8:9]
	s_and_saveexec_b64 s[8:9], s[0:1]
	s_cbranch_execnz .LBB10_1485
.LBB10_1477:
	s_or_b64 exec, exec, s[8:9]
	s_and_saveexec_b64 s[0:1], s[2:3]
	s_cbranch_execnz .LBB10_1486
.LBB10_1478:
	s_or_b64 exec, exec, s[0:1]
	s_and_saveexec_b64 s[0:1], s[4:5]
	s_cbranch_execnz .LBB10_1487
.LBB10_1479:
	s_or_b64 exec, exec, s[0:1]
	s_and_saveexec_b64 s[0:1], s[6:7]
	s_cbranch_execnz .LBB10_1488
.LBB10_1480:
	s_or_b64 exec, exec, s[0:1]
	s_and_saveexec_b64 s[0:1], s[14:15]
	s_cbranch_execnz .LBB10_1489
.LBB10_1481:
	s_or_b64 exec, exec, s[0:1]
	s_and_saveexec_b64 s[0:1], s[10:11]
	s_cbranch_execz .LBB10_1483
.LBB10_1482:
	v_add_co_u32_e32 v2, vcc, 0x3000, v8
	s_nop 1
	v_addc_co_u32_e32 v3, vcc, 0, v9, vcc
	s_waitcnt vmcnt(0) lgkmcnt(0)
	flat_store_dwordx2 v[2:3], v[0:1]
.LBB10_1483:
	s_or_b64 exec, exec, s[0:1]
	s_andn2_b64 s[0:1], s[34:35], exec
	s_and_b64 s[2:3], s[30:31], exec
	s_or_b64 s[34:35], s[0:1], s[2:3]
	s_or_b64 exec, exec, s[36:37]
	s_and_saveexec_b64 s[0:1], s[34:35]
	s_cbranch_execnz .LBB10_3
	s_branch .LBB10_4
.LBB10_1484:
	flat_load_dwordx2 v[2:3], v[2:3]
	s_waitcnt vmcnt(0) lgkmcnt(0)
	flat_store_dwordx2 v[8:9], v[2:3]
	s_or_b64 exec, exec, s[8:9]
	s_and_saveexec_b64 s[8:9], s[0:1]
	s_cbranch_execz .LBB10_1477
.LBB10_1485:
	s_waitcnt vmcnt(0) lgkmcnt(0)
	flat_store_dwordx2 v[8:9], v[18:19] offset:2048
	s_or_b64 exec, exec, s[8:9]
	s_and_saveexec_b64 s[0:1], s[2:3]
	s_cbranch_execz .LBB10_1478
.LBB10_1486:
	v_add_co_u32_e32 v2, vcc, 0x1000, v8
	s_nop 1
	v_addc_co_u32_e32 v3, vcc, 0, v9, vcc
	s_waitcnt vmcnt(0) lgkmcnt(0)
	flat_store_dwordx2 v[2:3], v[16:17]
	s_or_b64 exec, exec, s[0:1]
	s_and_saveexec_b64 s[0:1], s[4:5]
	s_cbranch_execz .LBB10_1479
.LBB10_1487:
	v_add_co_u32_e32 v2, vcc, 0x1000, v8
	s_nop 1
	v_addc_co_u32_e32 v3, vcc, 0, v9, vcc
	s_waitcnt vmcnt(0) lgkmcnt(0)
	flat_store_dwordx2 v[2:3], v[14:15] offset:2048
	s_or_b64 exec, exec, s[0:1]
	s_and_saveexec_b64 s[0:1], s[6:7]
	s_cbranch_execz .LBB10_1480
.LBB10_1488:
	v_add_co_u32_e32 v2, vcc, 0x2000, v8
	s_nop 1
	v_addc_co_u32_e32 v3, vcc, 0, v9, vcc
	s_waitcnt vmcnt(0) lgkmcnt(0)
	flat_store_dwordx2 v[2:3], v[10:11]
	s_or_b64 exec, exec, s[0:1]
	s_and_saveexec_b64 s[0:1], s[14:15]
	s_cbranch_execz .LBB10_1481
.LBB10_1489:
	v_add_co_u32_e32 v2, vcc, 0x2000, v8
	s_nop 1
	v_addc_co_u32_e32 v3, vcc, 0, v9, vcc
	s_waitcnt vmcnt(0) lgkmcnt(0)
	flat_store_dwordx2 v[2:3], v[6:7] offset:2048
	s_or_b64 exec, exec, s[0:1]
	s_and_saveexec_b64 s[0:1], s[10:11]
	s_cbranch_execnz .LBB10_1482
	s_branch .LBB10_1483
.Lfunc_end10:
	.size	_ZN7rocprim17ROCPRIM_400000_NS6detail15block_sort_implIlNS0_10empty_typeELj256ELj8ELNS0_4arch9wavefront6targetE1EvE4sortIPlS9_PS3_SA_ZN2at6native12_GLOBAL__N_124unique_dim_cuda_templateIhEESt5tupleIJNSB_6TensorESG_SG_EERKSG_lbbbEUlllE_EEvjbT_T0_T1_T2_T3_RNS7_12storage_typeE, .Lfunc_end10-_ZN7rocprim17ROCPRIM_400000_NS6detail15block_sort_implIlNS0_10empty_typeELj256ELj8ELNS0_4arch9wavefront6targetE1EvE4sortIPlS9_PS3_SA_ZN2at6native12_GLOBAL__N_124unique_dim_cuda_templateIhEESt5tupleIJNSB_6TensorESG_SG_EERKSG_lbbbEUlllE_EEvjbT_T0_T1_T2_T3_RNS7_12storage_typeE
                                        ; -- End function
	.section	.AMDGPU.csdata,"",@progbits
; Function info:
; codeLenInByte = 65096
; NumSgprs: 74
; NumVgprs: 119
; NumAgprs: 0
; TotalNumVgprs: 119
; ScratchSize: 8
; MemoryBound: 1
	.section	.text._ZN7rocprim17ROCPRIM_400000_NS6detail17trampoline_kernelINS0_14default_configENS1_37merge_sort_block_sort_config_selectorIlNS0_10empty_typeEEEZNS1_21merge_sort_block_sortIS3_PlS8_PS5_S9_ZN2at6native12_GLOBAL__N_124unique_dim_cuda_templateIhEESt5tupleIJNSA_6TensorESF_SF_EERKSF_lbbbEUlllE_EE10hipError_tT0_T1_T2_T3_mRjT4_P12ihipStream_tbNS1_7vsmem_tEEUlT_E_NS1_11comp_targetILNS1_3genE5ELNS1_11target_archE942ELNS1_3gpuE9ELNS1_3repE0EEENS1_30default_config_static_selectorELNS0_4arch9wavefront6targetE1EEEvSM_,"axG",@progbits,_ZN7rocprim17ROCPRIM_400000_NS6detail17trampoline_kernelINS0_14default_configENS1_37merge_sort_block_sort_config_selectorIlNS0_10empty_typeEEEZNS1_21merge_sort_block_sortIS3_PlS8_PS5_S9_ZN2at6native12_GLOBAL__N_124unique_dim_cuda_templateIhEESt5tupleIJNSA_6TensorESF_SF_EERKSF_lbbbEUlllE_EE10hipError_tT0_T1_T2_T3_mRjT4_P12ihipStream_tbNS1_7vsmem_tEEUlT_E_NS1_11comp_targetILNS1_3genE5ELNS1_11target_archE942ELNS1_3gpuE9ELNS1_3repE0EEENS1_30default_config_static_selectorELNS0_4arch9wavefront6targetE1EEEvSM_,comdat
	.globl	_ZN7rocprim17ROCPRIM_400000_NS6detail17trampoline_kernelINS0_14default_configENS1_37merge_sort_block_sort_config_selectorIlNS0_10empty_typeEEEZNS1_21merge_sort_block_sortIS3_PlS8_PS5_S9_ZN2at6native12_GLOBAL__N_124unique_dim_cuda_templateIhEESt5tupleIJNSA_6TensorESF_SF_EERKSF_lbbbEUlllE_EE10hipError_tT0_T1_T2_T3_mRjT4_P12ihipStream_tbNS1_7vsmem_tEEUlT_E_NS1_11comp_targetILNS1_3genE5ELNS1_11target_archE942ELNS1_3gpuE9ELNS1_3repE0EEENS1_30default_config_static_selectorELNS0_4arch9wavefront6targetE1EEEvSM_ ; -- Begin function _ZN7rocprim17ROCPRIM_400000_NS6detail17trampoline_kernelINS0_14default_configENS1_37merge_sort_block_sort_config_selectorIlNS0_10empty_typeEEEZNS1_21merge_sort_block_sortIS3_PlS8_PS5_S9_ZN2at6native12_GLOBAL__N_124unique_dim_cuda_templateIhEESt5tupleIJNSA_6TensorESF_SF_EERKSF_lbbbEUlllE_EE10hipError_tT0_T1_T2_T3_mRjT4_P12ihipStream_tbNS1_7vsmem_tEEUlT_E_NS1_11comp_targetILNS1_3genE5ELNS1_11target_archE942ELNS1_3gpuE9ELNS1_3repE0EEENS1_30default_config_static_selectorELNS0_4arch9wavefront6targetE1EEEvSM_
	.p2align	8
	.type	_ZN7rocprim17ROCPRIM_400000_NS6detail17trampoline_kernelINS0_14default_configENS1_37merge_sort_block_sort_config_selectorIlNS0_10empty_typeEEEZNS1_21merge_sort_block_sortIS3_PlS8_PS5_S9_ZN2at6native12_GLOBAL__N_124unique_dim_cuda_templateIhEESt5tupleIJNSA_6TensorESF_SF_EERKSF_lbbbEUlllE_EE10hipError_tT0_T1_T2_T3_mRjT4_P12ihipStream_tbNS1_7vsmem_tEEUlT_E_NS1_11comp_targetILNS1_3genE5ELNS1_11target_archE942ELNS1_3gpuE9ELNS1_3repE0EEENS1_30default_config_static_selectorELNS0_4arch9wavefront6targetE1EEEvSM_,@function
_ZN7rocprim17ROCPRIM_400000_NS6detail17trampoline_kernelINS0_14default_configENS1_37merge_sort_block_sort_config_selectorIlNS0_10empty_typeEEEZNS1_21merge_sort_block_sortIS3_PlS8_PS5_S9_ZN2at6native12_GLOBAL__N_124unique_dim_cuda_templateIhEESt5tupleIJNSA_6TensorESF_SF_EERKSF_lbbbEUlllE_EE10hipError_tT0_T1_T2_T3_mRjT4_P12ihipStream_tbNS1_7vsmem_tEEUlT_E_NS1_11comp_targetILNS1_3genE5ELNS1_11target_archE942ELNS1_3gpuE9ELNS1_3repE0EEENS1_30default_config_static_selectorELNS0_4arch9wavefront6targetE1EEEvSM_: ; @_ZN7rocprim17ROCPRIM_400000_NS6detail17trampoline_kernelINS0_14default_configENS1_37merge_sort_block_sort_config_selectorIlNS0_10empty_typeEEEZNS1_21merge_sort_block_sortIS3_PlS8_PS5_S9_ZN2at6native12_GLOBAL__N_124unique_dim_cuda_templateIhEESt5tupleIJNSA_6TensorESF_SF_EERKSF_lbbbEUlllE_EE10hipError_tT0_T1_T2_T3_mRjT4_P12ihipStream_tbNS1_7vsmem_tEEUlT_E_NS1_11comp_targetILNS1_3genE5ELNS1_11target_archE942ELNS1_3gpuE9ELNS1_3repE0EEENS1_30default_config_static_selectorELNS0_4arch9wavefront6targetE1EEEvSM_
; %bb.0:
	s_load_dwordx2 s[6:7], s[0:1], 0x48
	s_load_dword s5, s[0:1], 0x0
	s_mov_b32 s32, 0
	s_waitcnt lgkmcnt(0)
	s_mul_i32 s4, s7, s4
	s_add_i32 s4, s4, s3
	s_mul_i32 s4, s4, s6
	s_add_i32 s4, s4, s2
	s_cmp_ge_u32 s4, s5
	s_cbranch_scc1 .LBB11_2
; %bb.1:
	s_load_dwordx4 s[8:11], s[0:1], 0x18
	s_load_dwordx2 s[6:7], s[0:1], 0x8
	s_load_dwordx4 s[16:19], s[0:1], 0x38
	s_mov_b32 s5, 0
	s_lshl_b64 s[12:13], s[4:5], 14
	s_waitcnt lgkmcnt(0)
	s_add_u32 s10, s10, s12
	s_addc_u32 s11, s11, s13
	s_add_u32 s14, s8, s12
	s_addc_u32 s15, s9, s13
	s_lshr_b64 s[8:9], s[6:7], 11
	s_cmp_eq_u64 s[8:9], s[4:5]
	s_cselect_b64 s[8:9], -1, 0
	s_lshl_b32 s4, s4, 11
	s_sub_i32 s6, s6, s4
	v_cndmask_b32_e64 v1, 0, 1, s[8:9]
	s_add_u32 s8, s0, 0x48
	s_addc_u32 s9, s1, 0
	s_mov_b64 s[0:1], src_shared_base
	s_mov_b32 s12, s2
	s_mov_b32 s13, s3
	v_mov_b32_e32 v31, v0
	v_mov_b32_e32 v0, s6
	;; [unrolled: 1-line block ×12, first 2 shown]
	s_getpc_b64 s[4:5]
	s_add_u32 s4, s4, _ZN7rocprim17ROCPRIM_400000_NS6detail15block_sort_implIlNS0_10empty_typeELj256ELj8ELNS0_4arch9wavefront6targetE1EvE4sortIPlS9_PS3_SA_ZN2at6native12_GLOBAL__N_124unique_dim_cuda_templateIhEESt5tupleIJNSB_6TensorESG_SG_EERKSG_lbbbEUlllE_EEvjbT_T0_T1_T2_T3_RNS7_12storage_typeE@rel32@lo+4
	s_addc_u32 s5, s5, _ZN7rocprim17ROCPRIM_400000_NS6detail15block_sort_implIlNS0_10empty_typeELj256ELj8ELNS0_4arch9wavefront6targetE1EvE4sortIPlS9_PS3_SA_ZN2at6native12_GLOBAL__N_124unique_dim_cuda_templateIhEESt5tupleIJNSB_6TensorESG_SG_EERKSG_lbbbEUlllE_EEvjbT_T0_T1_T2_T3_RNS7_12storage_typeE@rel32@hi+12
	s_swappc_b64 s[30:31], s[4:5]
.LBB11_2:
	s_endpgm
	.section	.rodata,"a",@progbits
	.p2align	6, 0x0
	.amdhsa_kernel _ZN7rocprim17ROCPRIM_400000_NS6detail17trampoline_kernelINS0_14default_configENS1_37merge_sort_block_sort_config_selectorIlNS0_10empty_typeEEEZNS1_21merge_sort_block_sortIS3_PlS8_PS5_S9_ZN2at6native12_GLOBAL__N_124unique_dim_cuda_templateIhEESt5tupleIJNSA_6TensorESF_SF_EERKSF_lbbbEUlllE_EE10hipError_tT0_T1_T2_T3_mRjT4_P12ihipStream_tbNS1_7vsmem_tEEUlT_E_NS1_11comp_targetILNS1_3genE5ELNS1_11target_archE942ELNS1_3gpuE9ELNS1_3repE0EEENS1_30default_config_static_selectorELNS0_4arch9wavefront6targetE1EEEvSM_
		.amdhsa_group_segment_fixed_size 16896
		.amdhsa_private_segment_fixed_size 8
		.amdhsa_kernarg_size 328
		.amdhsa_user_sgpr_count 2
		.amdhsa_user_sgpr_dispatch_ptr 0
		.amdhsa_user_sgpr_queue_ptr 0
		.amdhsa_user_sgpr_kernarg_segment_ptr 1
		.amdhsa_user_sgpr_dispatch_id 0
		.amdhsa_user_sgpr_kernarg_preload_length 0
		.amdhsa_user_sgpr_kernarg_preload_offset 0
		.amdhsa_user_sgpr_private_segment_size 0
		.amdhsa_uses_dynamic_stack 0
		.amdhsa_enable_private_segment 1
		.amdhsa_system_sgpr_workgroup_id_x 1
		.amdhsa_system_sgpr_workgroup_id_y 1
		.amdhsa_system_sgpr_workgroup_id_z 1
		.amdhsa_system_sgpr_workgroup_info 0
		.amdhsa_system_vgpr_workitem_id 2
		.amdhsa_next_free_vgpr 119
		.amdhsa_next_free_sgpr 68
		.amdhsa_accum_offset 120
		.amdhsa_reserve_vcc 1
		.amdhsa_float_round_mode_32 0
		.amdhsa_float_round_mode_16_64 0
		.amdhsa_float_denorm_mode_32 3
		.amdhsa_float_denorm_mode_16_64 3
		.amdhsa_dx10_clamp 1
		.amdhsa_ieee_mode 1
		.amdhsa_fp16_overflow 0
		.amdhsa_tg_split 0
		.amdhsa_exception_fp_ieee_invalid_op 0
		.amdhsa_exception_fp_denorm_src 0
		.amdhsa_exception_fp_ieee_div_zero 0
		.amdhsa_exception_fp_ieee_overflow 0
		.amdhsa_exception_fp_ieee_underflow 0
		.amdhsa_exception_fp_ieee_inexact 0
		.amdhsa_exception_int_div_zero 0
	.end_amdhsa_kernel
	.section	.text._ZN7rocprim17ROCPRIM_400000_NS6detail17trampoline_kernelINS0_14default_configENS1_37merge_sort_block_sort_config_selectorIlNS0_10empty_typeEEEZNS1_21merge_sort_block_sortIS3_PlS8_PS5_S9_ZN2at6native12_GLOBAL__N_124unique_dim_cuda_templateIhEESt5tupleIJNSA_6TensorESF_SF_EERKSF_lbbbEUlllE_EE10hipError_tT0_T1_T2_T3_mRjT4_P12ihipStream_tbNS1_7vsmem_tEEUlT_E_NS1_11comp_targetILNS1_3genE5ELNS1_11target_archE942ELNS1_3gpuE9ELNS1_3repE0EEENS1_30default_config_static_selectorELNS0_4arch9wavefront6targetE1EEEvSM_,"axG",@progbits,_ZN7rocprim17ROCPRIM_400000_NS6detail17trampoline_kernelINS0_14default_configENS1_37merge_sort_block_sort_config_selectorIlNS0_10empty_typeEEEZNS1_21merge_sort_block_sortIS3_PlS8_PS5_S9_ZN2at6native12_GLOBAL__N_124unique_dim_cuda_templateIhEESt5tupleIJNSA_6TensorESF_SF_EERKSF_lbbbEUlllE_EE10hipError_tT0_T1_T2_T3_mRjT4_P12ihipStream_tbNS1_7vsmem_tEEUlT_E_NS1_11comp_targetILNS1_3genE5ELNS1_11target_archE942ELNS1_3gpuE9ELNS1_3repE0EEENS1_30default_config_static_selectorELNS0_4arch9wavefront6targetE1EEEvSM_,comdat
.Lfunc_end11:
	.size	_ZN7rocprim17ROCPRIM_400000_NS6detail17trampoline_kernelINS0_14default_configENS1_37merge_sort_block_sort_config_selectorIlNS0_10empty_typeEEEZNS1_21merge_sort_block_sortIS3_PlS8_PS5_S9_ZN2at6native12_GLOBAL__N_124unique_dim_cuda_templateIhEESt5tupleIJNSA_6TensorESF_SF_EERKSF_lbbbEUlllE_EE10hipError_tT0_T1_T2_T3_mRjT4_P12ihipStream_tbNS1_7vsmem_tEEUlT_E_NS1_11comp_targetILNS1_3genE5ELNS1_11target_archE942ELNS1_3gpuE9ELNS1_3repE0EEENS1_30default_config_static_selectorELNS0_4arch9wavefront6targetE1EEEvSM_, .Lfunc_end11-_ZN7rocprim17ROCPRIM_400000_NS6detail17trampoline_kernelINS0_14default_configENS1_37merge_sort_block_sort_config_selectorIlNS0_10empty_typeEEEZNS1_21merge_sort_block_sortIS3_PlS8_PS5_S9_ZN2at6native12_GLOBAL__N_124unique_dim_cuda_templateIhEESt5tupleIJNSA_6TensorESF_SF_EERKSF_lbbbEUlllE_EE10hipError_tT0_T1_T2_T3_mRjT4_P12ihipStream_tbNS1_7vsmem_tEEUlT_E_NS1_11comp_targetILNS1_3genE5ELNS1_11target_archE942ELNS1_3gpuE9ELNS1_3repE0EEENS1_30default_config_static_selectorELNS0_4arch9wavefront6targetE1EEEvSM_
                                        ; -- End function
	.section	.AMDGPU.csdata,"",@progbits
; Kernel info:
; codeLenInByte = 228
; NumSgprs: 74
; NumVgprs: 119
; NumAgprs: 0
; TotalNumVgprs: 119
; ScratchSize: 8
; MemoryBound: 0
; FloatMode: 240
; IeeeMode: 1
; LDSByteSize: 16896 bytes/workgroup (compile time only)
; SGPRBlocks: 9
; VGPRBlocks: 14
; NumSGPRsForWavesPerEU: 74
; NumVGPRsForWavesPerEU: 119
; AccumOffset: 120
; Occupancy: 3
; WaveLimiterHint : 1
; COMPUTE_PGM_RSRC2:SCRATCH_EN: 1
; COMPUTE_PGM_RSRC2:USER_SGPR: 2
; COMPUTE_PGM_RSRC2:TRAP_HANDLER: 0
; COMPUTE_PGM_RSRC2:TGID_X_EN: 1
; COMPUTE_PGM_RSRC2:TGID_Y_EN: 1
; COMPUTE_PGM_RSRC2:TGID_Z_EN: 1
; COMPUTE_PGM_RSRC2:TIDIG_COMP_CNT: 2
; COMPUTE_PGM_RSRC3_GFX90A:ACCUM_OFFSET: 29
; COMPUTE_PGM_RSRC3_GFX90A:TG_SPLIT: 0
	.section	.text._ZN7rocprim17ROCPRIM_400000_NS6detail17trampoline_kernelINS0_14default_configENS1_37merge_sort_block_sort_config_selectorIlNS0_10empty_typeEEEZNS1_21merge_sort_block_sortIS3_PlS8_PS5_S9_ZN2at6native12_GLOBAL__N_124unique_dim_cuda_templateIhEESt5tupleIJNSA_6TensorESF_SF_EERKSF_lbbbEUlllE_EE10hipError_tT0_T1_T2_T3_mRjT4_P12ihipStream_tbNS1_7vsmem_tEEUlT_E_NS1_11comp_targetILNS1_3genE4ELNS1_11target_archE910ELNS1_3gpuE8ELNS1_3repE0EEENS1_30default_config_static_selectorELNS0_4arch9wavefront6targetE1EEEvSM_,"axG",@progbits,_ZN7rocprim17ROCPRIM_400000_NS6detail17trampoline_kernelINS0_14default_configENS1_37merge_sort_block_sort_config_selectorIlNS0_10empty_typeEEEZNS1_21merge_sort_block_sortIS3_PlS8_PS5_S9_ZN2at6native12_GLOBAL__N_124unique_dim_cuda_templateIhEESt5tupleIJNSA_6TensorESF_SF_EERKSF_lbbbEUlllE_EE10hipError_tT0_T1_T2_T3_mRjT4_P12ihipStream_tbNS1_7vsmem_tEEUlT_E_NS1_11comp_targetILNS1_3genE4ELNS1_11target_archE910ELNS1_3gpuE8ELNS1_3repE0EEENS1_30default_config_static_selectorELNS0_4arch9wavefront6targetE1EEEvSM_,comdat
	.globl	_ZN7rocprim17ROCPRIM_400000_NS6detail17trampoline_kernelINS0_14default_configENS1_37merge_sort_block_sort_config_selectorIlNS0_10empty_typeEEEZNS1_21merge_sort_block_sortIS3_PlS8_PS5_S9_ZN2at6native12_GLOBAL__N_124unique_dim_cuda_templateIhEESt5tupleIJNSA_6TensorESF_SF_EERKSF_lbbbEUlllE_EE10hipError_tT0_T1_T2_T3_mRjT4_P12ihipStream_tbNS1_7vsmem_tEEUlT_E_NS1_11comp_targetILNS1_3genE4ELNS1_11target_archE910ELNS1_3gpuE8ELNS1_3repE0EEENS1_30default_config_static_selectorELNS0_4arch9wavefront6targetE1EEEvSM_ ; -- Begin function _ZN7rocprim17ROCPRIM_400000_NS6detail17trampoline_kernelINS0_14default_configENS1_37merge_sort_block_sort_config_selectorIlNS0_10empty_typeEEEZNS1_21merge_sort_block_sortIS3_PlS8_PS5_S9_ZN2at6native12_GLOBAL__N_124unique_dim_cuda_templateIhEESt5tupleIJNSA_6TensorESF_SF_EERKSF_lbbbEUlllE_EE10hipError_tT0_T1_T2_T3_mRjT4_P12ihipStream_tbNS1_7vsmem_tEEUlT_E_NS1_11comp_targetILNS1_3genE4ELNS1_11target_archE910ELNS1_3gpuE8ELNS1_3repE0EEENS1_30default_config_static_selectorELNS0_4arch9wavefront6targetE1EEEvSM_
	.p2align	8
	.type	_ZN7rocprim17ROCPRIM_400000_NS6detail17trampoline_kernelINS0_14default_configENS1_37merge_sort_block_sort_config_selectorIlNS0_10empty_typeEEEZNS1_21merge_sort_block_sortIS3_PlS8_PS5_S9_ZN2at6native12_GLOBAL__N_124unique_dim_cuda_templateIhEESt5tupleIJNSA_6TensorESF_SF_EERKSF_lbbbEUlllE_EE10hipError_tT0_T1_T2_T3_mRjT4_P12ihipStream_tbNS1_7vsmem_tEEUlT_E_NS1_11comp_targetILNS1_3genE4ELNS1_11target_archE910ELNS1_3gpuE8ELNS1_3repE0EEENS1_30default_config_static_selectorELNS0_4arch9wavefront6targetE1EEEvSM_,@function
_ZN7rocprim17ROCPRIM_400000_NS6detail17trampoline_kernelINS0_14default_configENS1_37merge_sort_block_sort_config_selectorIlNS0_10empty_typeEEEZNS1_21merge_sort_block_sortIS3_PlS8_PS5_S9_ZN2at6native12_GLOBAL__N_124unique_dim_cuda_templateIhEESt5tupleIJNSA_6TensorESF_SF_EERKSF_lbbbEUlllE_EE10hipError_tT0_T1_T2_T3_mRjT4_P12ihipStream_tbNS1_7vsmem_tEEUlT_E_NS1_11comp_targetILNS1_3genE4ELNS1_11target_archE910ELNS1_3gpuE8ELNS1_3repE0EEENS1_30default_config_static_selectorELNS0_4arch9wavefront6targetE1EEEvSM_: ; @_ZN7rocprim17ROCPRIM_400000_NS6detail17trampoline_kernelINS0_14default_configENS1_37merge_sort_block_sort_config_selectorIlNS0_10empty_typeEEEZNS1_21merge_sort_block_sortIS3_PlS8_PS5_S9_ZN2at6native12_GLOBAL__N_124unique_dim_cuda_templateIhEESt5tupleIJNSA_6TensorESF_SF_EERKSF_lbbbEUlllE_EE10hipError_tT0_T1_T2_T3_mRjT4_P12ihipStream_tbNS1_7vsmem_tEEUlT_E_NS1_11comp_targetILNS1_3genE4ELNS1_11target_archE910ELNS1_3gpuE8ELNS1_3repE0EEENS1_30default_config_static_selectorELNS0_4arch9wavefront6targetE1EEEvSM_
; %bb.0:
	.section	.rodata,"a",@progbits
	.p2align	6, 0x0
	.amdhsa_kernel _ZN7rocprim17ROCPRIM_400000_NS6detail17trampoline_kernelINS0_14default_configENS1_37merge_sort_block_sort_config_selectorIlNS0_10empty_typeEEEZNS1_21merge_sort_block_sortIS3_PlS8_PS5_S9_ZN2at6native12_GLOBAL__N_124unique_dim_cuda_templateIhEESt5tupleIJNSA_6TensorESF_SF_EERKSF_lbbbEUlllE_EE10hipError_tT0_T1_T2_T3_mRjT4_P12ihipStream_tbNS1_7vsmem_tEEUlT_E_NS1_11comp_targetILNS1_3genE4ELNS1_11target_archE910ELNS1_3gpuE8ELNS1_3repE0EEENS1_30default_config_static_selectorELNS0_4arch9wavefront6targetE1EEEvSM_
		.amdhsa_group_segment_fixed_size 0
		.amdhsa_private_segment_fixed_size 0
		.amdhsa_kernarg_size 72
		.amdhsa_user_sgpr_count 2
		.amdhsa_user_sgpr_dispatch_ptr 0
		.amdhsa_user_sgpr_queue_ptr 0
		.amdhsa_user_sgpr_kernarg_segment_ptr 1
		.amdhsa_user_sgpr_dispatch_id 0
		.amdhsa_user_sgpr_kernarg_preload_length 0
		.amdhsa_user_sgpr_kernarg_preload_offset 0
		.amdhsa_user_sgpr_private_segment_size 0
		.amdhsa_uses_dynamic_stack 0
		.amdhsa_enable_private_segment 0
		.amdhsa_system_sgpr_workgroup_id_x 1
		.amdhsa_system_sgpr_workgroup_id_y 0
		.amdhsa_system_sgpr_workgroup_id_z 0
		.amdhsa_system_sgpr_workgroup_info 0
		.amdhsa_system_vgpr_workitem_id 0
		.amdhsa_next_free_vgpr 1
		.amdhsa_next_free_sgpr 0
		.amdhsa_accum_offset 4
		.amdhsa_reserve_vcc 0
		.amdhsa_float_round_mode_32 0
		.amdhsa_float_round_mode_16_64 0
		.amdhsa_float_denorm_mode_32 3
		.amdhsa_float_denorm_mode_16_64 3
		.amdhsa_dx10_clamp 1
		.amdhsa_ieee_mode 1
		.amdhsa_fp16_overflow 0
		.amdhsa_tg_split 0
		.amdhsa_exception_fp_ieee_invalid_op 0
		.amdhsa_exception_fp_denorm_src 0
		.amdhsa_exception_fp_ieee_div_zero 0
		.amdhsa_exception_fp_ieee_overflow 0
		.amdhsa_exception_fp_ieee_underflow 0
		.amdhsa_exception_fp_ieee_inexact 0
		.amdhsa_exception_int_div_zero 0
	.end_amdhsa_kernel
	.section	.text._ZN7rocprim17ROCPRIM_400000_NS6detail17trampoline_kernelINS0_14default_configENS1_37merge_sort_block_sort_config_selectorIlNS0_10empty_typeEEEZNS1_21merge_sort_block_sortIS3_PlS8_PS5_S9_ZN2at6native12_GLOBAL__N_124unique_dim_cuda_templateIhEESt5tupleIJNSA_6TensorESF_SF_EERKSF_lbbbEUlllE_EE10hipError_tT0_T1_T2_T3_mRjT4_P12ihipStream_tbNS1_7vsmem_tEEUlT_E_NS1_11comp_targetILNS1_3genE4ELNS1_11target_archE910ELNS1_3gpuE8ELNS1_3repE0EEENS1_30default_config_static_selectorELNS0_4arch9wavefront6targetE1EEEvSM_,"axG",@progbits,_ZN7rocprim17ROCPRIM_400000_NS6detail17trampoline_kernelINS0_14default_configENS1_37merge_sort_block_sort_config_selectorIlNS0_10empty_typeEEEZNS1_21merge_sort_block_sortIS3_PlS8_PS5_S9_ZN2at6native12_GLOBAL__N_124unique_dim_cuda_templateIhEESt5tupleIJNSA_6TensorESF_SF_EERKSF_lbbbEUlllE_EE10hipError_tT0_T1_T2_T3_mRjT4_P12ihipStream_tbNS1_7vsmem_tEEUlT_E_NS1_11comp_targetILNS1_3genE4ELNS1_11target_archE910ELNS1_3gpuE8ELNS1_3repE0EEENS1_30default_config_static_selectorELNS0_4arch9wavefront6targetE1EEEvSM_,comdat
.Lfunc_end12:
	.size	_ZN7rocprim17ROCPRIM_400000_NS6detail17trampoline_kernelINS0_14default_configENS1_37merge_sort_block_sort_config_selectorIlNS0_10empty_typeEEEZNS1_21merge_sort_block_sortIS3_PlS8_PS5_S9_ZN2at6native12_GLOBAL__N_124unique_dim_cuda_templateIhEESt5tupleIJNSA_6TensorESF_SF_EERKSF_lbbbEUlllE_EE10hipError_tT0_T1_T2_T3_mRjT4_P12ihipStream_tbNS1_7vsmem_tEEUlT_E_NS1_11comp_targetILNS1_3genE4ELNS1_11target_archE910ELNS1_3gpuE8ELNS1_3repE0EEENS1_30default_config_static_selectorELNS0_4arch9wavefront6targetE1EEEvSM_, .Lfunc_end12-_ZN7rocprim17ROCPRIM_400000_NS6detail17trampoline_kernelINS0_14default_configENS1_37merge_sort_block_sort_config_selectorIlNS0_10empty_typeEEEZNS1_21merge_sort_block_sortIS3_PlS8_PS5_S9_ZN2at6native12_GLOBAL__N_124unique_dim_cuda_templateIhEESt5tupleIJNSA_6TensorESF_SF_EERKSF_lbbbEUlllE_EE10hipError_tT0_T1_T2_T3_mRjT4_P12ihipStream_tbNS1_7vsmem_tEEUlT_E_NS1_11comp_targetILNS1_3genE4ELNS1_11target_archE910ELNS1_3gpuE8ELNS1_3repE0EEENS1_30default_config_static_selectorELNS0_4arch9wavefront6targetE1EEEvSM_
                                        ; -- End function
	.section	.AMDGPU.csdata,"",@progbits
; Kernel info:
; codeLenInByte = 0
; NumSgprs: 6
; NumVgprs: 0
; NumAgprs: 0
; TotalNumVgprs: 0
; ScratchSize: 0
; MemoryBound: 0
; FloatMode: 240
; IeeeMode: 1
; LDSByteSize: 0 bytes/workgroup (compile time only)
; SGPRBlocks: 0
; VGPRBlocks: 0
; NumSGPRsForWavesPerEU: 6
; NumVGPRsForWavesPerEU: 1
; AccumOffset: 4
; Occupancy: 8
; WaveLimiterHint : 0
; COMPUTE_PGM_RSRC2:SCRATCH_EN: 0
; COMPUTE_PGM_RSRC2:USER_SGPR: 2
; COMPUTE_PGM_RSRC2:TRAP_HANDLER: 0
; COMPUTE_PGM_RSRC2:TGID_X_EN: 1
; COMPUTE_PGM_RSRC2:TGID_Y_EN: 0
; COMPUTE_PGM_RSRC2:TGID_Z_EN: 0
; COMPUTE_PGM_RSRC2:TIDIG_COMP_CNT: 0
; COMPUTE_PGM_RSRC3_GFX90A:ACCUM_OFFSET: 0
; COMPUTE_PGM_RSRC3_GFX90A:TG_SPLIT: 0
	.section	.text._ZN7rocprim17ROCPRIM_400000_NS6detail17trampoline_kernelINS0_14default_configENS1_37merge_sort_block_sort_config_selectorIlNS0_10empty_typeEEEZNS1_21merge_sort_block_sortIS3_PlS8_PS5_S9_ZN2at6native12_GLOBAL__N_124unique_dim_cuda_templateIhEESt5tupleIJNSA_6TensorESF_SF_EERKSF_lbbbEUlllE_EE10hipError_tT0_T1_T2_T3_mRjT4_P12ihipStream_tbNS1_7vsmem_tEEUlT_E_NS1_11comp_targetILNS1_3genE3ELNS1_11target_archE908ELNS1_3gpuE7ELNS1_3repE0EEENS1_30default_config_static_selectorELNS0_4arch9wavefront6targetE1EEEvSM_,"axG",@progbits,_ZN7rocprim17ROCPRIM_400000_NS6detail17trampoline_kernelINS0_14default_configENS1_37merge_sort_block_sort_config_selectorIlNS0_10empty_typeEEEZNS1_21merge_sort_block_sortIS3_PlS8_PS5_S9_ZN2at6native12_GLOBAL__N_124unique_dim_cuda_templateIhEESt5tupleIJNSA_6TensorESF_SF_EERKSF_lbbbEUlllE_EE10hipError_tT0_T1_T2_T3_mRjT4_P12ihipStream_tbNS1_7vsmem_tEEUlT_E_NS1_11comp_targetILNS1_3genE3ELNS1_11target_archE908ELNS1_3gpuE7ELNS1_3repE0EEENS1_30default_config_static_selectorELNS0_4arch9wavefront6targetE1EEEvSM_,comdat
	.globl	_ZN7rocprim17ROCPRIM_400000_NS6detail17trampoline_kernelINS0_14default_configENS1_37merge_sort_block_sort_config_selectorIlNS0_10empty_typeEEEZNS1_21merge_sort_block_sortIS3_PlS8_PS5_S9_ZN2at6native12_GLOBAL__N_124unique_dim_cuda_templateIhEESt5tupleIJNSA_6TensorESF_SF_EERKSF_lbbbEUlllE_EE10hipError_tT0_T1_T2_T3_mRjT4_P12ihipStream_tbNS1_7vsmem_tEEUlT_E_NS1_11comp_targetILNS1_3genE3ELNS1_11target_archE908ELNS1_3gpuE7ELNS1_3repE0EEENS1_30default_config_static_selectorELNS0_4arch9wavefront6targetE1EEEvSM_ ; -- Begin function _ZN7rocprim17ROCPRIM_400000_NS6detail17trampoline_kernelINS0_14default_configENS1_37merge_sort_block_sort_config_selectorIlNS0_10empty_typeEEEZNS1_21merge_sort_block_sortIS3_PlS8_PS5_S9_ZN2at6native12_GLOBAL__N_124unique_dim_cuda_templateIhEESt5tupleIJNSA_6TensorESF_SF_EERKSF_lbbbEUlllE_EE10hipError_tT0_T1_T2_T3_mRjT4_P12ihipStream_tbNS1_7vsmem_tEEUlT_E_NS1_11comp_targetILNS1_3genE3ELNS1_11target_archE908ELNS1_3gpuE7ELNS1_3repE0EEENS1_30default_config_static_selectorELNS0_4arch9wavefront6targetE1EEEvSM_
	.p2align	8
	.type	_ZN7rocprim17ROCPRIM_400000_NS6detail17trampoline_kernelINS0_14default_configENS1_37merge_sort_block_sort_config_selectorIlNS0_10empty_typeEEEZNS1_21merge_sort_block_sortIS3_PlS8_PS5_S9_ZN2at6native12_GLOBAL__N_124unique_dim_cuda_templateIhEESt5tupleIJNSA_6TensorESF_SF_EERKSF_lbbbEUlllE_EE10hipError_tT0_T1_T2_T3_mRjT4_P12ihipStream_tbNS1_7vsmem_tEEUlT_E_NS1_11comp_targetILNS1_3genE3ELNS1_11target_archE908ELNS1_3gpuE7ELNS1_3repE0EEENS1_30default_config_static_selectorELNS0_4arch9wavefront6targetE1EEEvSM_,@function
_ZN7rocprim17ROCPRIM_400000_NS6detail17trampoline_kernelINS0_14default_configENS1_37merge_sort_block_sort_config_selectorIlNS0_10empty_typeEEEZNS1_21merge_sort_block_sortIS3_PlS8_PS5_S9_ZN2at6native12_GLOBAL__N_124unique_dim_cuda_templateIhEESt5tupleIJNSA_6TensorESF_SF_EERKSF_lbbbEUlllE_EE10hipError_tT0_T1_T2_T3_mRjT4_P12ihipStream_tbNS1_7vsmem_tEEUlT_E_NS1_11comp_targetILNS1_3genE3ELNS1_11target_archE908ELNS1_3gpuE7ELNS1_3repE0EEENS1_30default_config_static_selectorELNS0_4arch9wavefront6targetE1EEEvSM_: ; @_ZN7rocprim17ROCPRIM_400000_NS6detail17trampoline_kernelINS0_14default_configENS1_37merge_sort_block_sort_config_selectorIlNS0_10empty_typeEEEZNS1_21merge_sort_block_sortIS3_PlS8_PS5_S9_ZN2at6native12_GLOBAL__N_124unique_dim_cuda_templateIhEESt5tupleIJNSA_6TensorESF_SF_EERKSF_lbbbEUlllE_EE10hipError_tT0_T1_T2_T3_mRjT4_P12ihipStream_tbNS1_7vsmem_tEEUlT_E_NS1_11comp_targetILNS1_3genE3ELNS1_11target_archE908ELNS1_3gpuE7ELNS1_3repE0EEENS1_30default_config_static_selectorELNS0_4arch9wavefront6targetE1EEEvSM_
; %bb.0:
	.section	.rodata,"a",@progbits
	.p2align	6, 0x0
	.amdhsa_kernel _ZN7rocprim17ROCPRIM_400000_NS6detail17trampoline_kernelINS0_14default_configENS1_37merge_sort_block_sort_config_selectorIlNS0_10empty_typeEEEZNS1_21merge_sort_block_sortIS3_PlS8_PS5_S9_ZN2at6native12_GLOBAL__N_124unique_dim_cuda_templateIhEESt5tupleIJNSA_6TensorESF_SF_EERKSF_lbbbEUlllE_EE10hipError_tT0_T1_T2_T3_mRjT4_P12ihipStream_tbNS1_7vsmem_tEEUlT_E_NS1_11comp_targetILNS1_3genE3ELNS1_11target_archE908ELNS1_3gpuE7ELNS1_3repE0EEENS1_30default_config_static_selectorELNS0_4arch9wavefront6targetE1EEEvSM_
		.amdhsa_group_segment_fixed_size 0
		.amdhsa_private_segment_fixed_size 0
		.amdhsa_kernarg_size 72
		.amdhsa_user_sgpr_count 2
		.amdhsa_user_sgpr_dispatch_ptr 0
		.amdhsa_user_sgpr_queue_ptr 0
		.amdhsa_user_sgpr_kernarg_segment_ptr 1
		.amdhsa_user_sgpr_dispatch_id 0
		.amdhsa_user_sgpr_kernarg_preload_length 0
		.amdhsa_user_sgpr_kernarg_preload_offset 0
		.amdhsa_user_sgpr_private_segment_size 0
		.amdhsa_uses_dynamic_stack 0
		.amdhsa_enable_private_segment 0
		.amdhsa_system_sgpr_workgroup_id_x 1
		.amdhsa_system_sgpr_workgroup_id_y 0
		.amdhsa_system_sgpr_workgroup_id_z 0
		.amdhsa_system_sgpr_workgroup_info 0
		.amdhsa_system_vgpr_workitem_id 0
		.amdhsa_next_free_vgpr 1
		.amdhsa_next_free_sgpr 0
		.amdhsa_accum_offset 4
		.amdhsa_reserve_vcc 0
		.amdhsa_float_round_mode_32 0
		.amdhsa_float_round_mode_16_64 0
		.amdhsa_float_denorm_mode_32 3
		.amdhsa_float_denorm_mode_16_64 3
		.amdhsa_dx10_clamp 1
		.amdhsa_ieee_mode 1
		.amdhsa_fp16_overflow 0
		.amdhsa_tg_split 0
		.amdhsa_exception_fp_ieee_invalid_op 0
		.amdhsa_exception_fp_denorm_src 0
		.amdhsa_exception_fp_ieee_div_zero 0
		.amdhsa_exception_fp_ieee_overflow 0
		.amdhsa_exception_fp_ieee_underflow 0
		.amdhsa_exception_fp_ieee_inexact 0
		.amdhsa_exception_int_div_zero 0
	.end_amdhsa_kernel
	.section	.text._ZN7rocprim17ROCPRIM_400000_NS6detail17trampoline_kernelINS0_14default_configENS1_37merge_sort_block_sort_config_selectorIlNS0_10empty_typeEEEZNS1_21merge_sort_block_sortIS3_PlS8_PS5_S9_ZN2at6native12_GLOBAL__N_124unique_dim_cuda_templateIhEESt5tupleIJNSA_6TensorESF_SF_EERKSF_lbbbEUlllE_EE10hipError_tT0_T1_T2_T3_mRjT4_P12ihipStream_tbNS1_7vsmem_tEEUlT_E_NS1_11comp_targetILNS1_3genE3ELNS1_11target_archE908ELNS1_3gpuE7ELNS1_3repE0EEENS1_30default_config_static_selectorELNS0_4arch9wavefront6targetE1EEEvSM_,"axG",@progbits,_ZN7rocprim17ROCPRIM_400000_NS6detail17trampoline_kernelINS0_14default_configENS1_37merge_sort_block_sort_config_selectorIlNS0_10empty_typeEEEZNS1_21merge_sort_block_sortIS3_PlS8_PS5_S9_ZN2at6native12_GLOBAL__N_124unique_dim_cuda_templateIhEESt5tupleIJNSA_6TensorESF_SF_EERKSF_lbbbEUlllE_EE10hipError_tT0_T1_T2_T3_mRjT4_P12ihipStream_tbNS1_7vsmem_tEEUlT_E_NS1_11comp_targetILNS1_3genE3ELNS1_11target_archE908ELNS1_3gpuE7ELNS1_3repE0EEENS1_30default_config_static_selectorELNS0_4arch9wavefront6targetE1EEEvSM_,comdat
.Lfunc_end13:
	.size	_ZN7rocprim17ROCPRIM_400000_NS6detail17trampoline_kernelINS0_14default_configENS1_37merge_sort_block_sort_config_selectorIlNS0_10empty_typeEEEZNS1_21merge_sort_block_sortIS3_PlS8_PS5_S9_ZN2at6native12_GLOBAL__N_124unique_dim_cuda_templateIhEESt5tupleIJNSA_6TensorESF_SF_EERKSF_lbbbEUlllE_EE10hipError_tT0_T1_T2_T3_mRjT4_P12ihipStream_tbNS1_7vsmem_tEEUlT_E_NS1_11comp_targetILNS1_3genE3ELNS1_11target_archE908ELNS1_3gpuE7ELNS1_3repE0EEENS1_30default_config_static_selectorELNS0_4arch9wavefront6targetE1EEEvSM_, .Lfunc_end13-_ZN7rocprim17ROCPRIM_400000_NS6detail17trampoline_kernelINS0_14default_configENS1_37merge_sort_block_sort_config_selectorIlNS0_10empty_typeEEEZNS1_21merge_sort_block_sortIS3_PlS8_PS5_S9_ZN2at6native12_GLOBAL__N_124unique_dim_cuda_templateIhEESt5tupleIJNSA_6TensorESF_SF_EERKSF_lbbbEUlllE_EE10hipError_tT0_T1_T2_T3_mRjT4_P12ihipStream_tbNS1_7vsmem_tEEUlT_E_NS1_11comp_targetILNS1_3genE3ELNS1_11target_archE908ELNS1_3gpuE7ELNS1_3repE0EEENS1_30default_config_static_selectorELNS0_4arch9wavefront6targetE1EEEvSM_
                                        ; -- End function
	.section	.AMDGPU.csdata,"",@progbits
; Kernel info:
; codeLenInByte = 0
; NumSgprs: 6
; NumVgprs: 0
; NumAgprs: 0
; TotalNumVgprs: 0
; ScratchSize: 0
; MemoryBound: 0
; FloatMode: 240
; IeeeMode: 1
; LDSByteSize: 0 bytes/workgroup (compile time only)
; SGPRBlocks: 0
; VGPRBlocks: 0
; NumSGPRsForWavesPerEU: 6
; NumVGPRsForWavesPerEU: 1
; AccumOffset: 4
; Occupancy: 8
; WaveLimiterHint : 0
; COMPUTE_PGM_RSRC2:SCRATCH_EN: 0
; COMPUTE_PGM_RSRC2:USER_SGPR: 2
; COMPUTE_PGM_RSRC2:TRAP_HANDLER: 0
; COMPUTE_PGM_RSRC2:TGID_X_EN: 1
; COMPUTE_PGM_RSRC2:TGID_Y_EN: 0
; COMPUTE_PGM_RSRC2:TGID_Z_EN: 0
; COMPUTE_PGM_RSRC2:TIDIG_COMP_CNT: 0
; COMPUTE_PGM_RSRC3_GFX90A:ACCUM_OFFSET: 0
; COMPUTE_PGM_RSRC3_GFX90A:TG_SPLIT: 0
	.section	.text._ZN7rocprim17ROCPRIM_400000_NS6detail17trampoline_kernelINS0_14default_configENS1_37merge_sort_block_sort_config_selectorIlNS0_10empty_typeEEEZNS1_21merge_sort_block_sortIS3_PlS8_PS5_S9_ZN2at6native12_GLOBAL__N_124unique_dim_cuda_templateIhEESt5tupleIJNSA_6TensorESF_SF_EERKSF_lbbbEUlllE_EE10hipError_tT0_T1_T2_T3_mRjT4_P12ihipStream_tbNS1_7vsmem_tEEUlT_E_NS1_11comp_targetILNS1_3genE2ELNS1_11target_archE906ELNS1_3gpuE6ELNS1_3repE0EEENS1_30default_config_static_selectorELNS0_4arch9wavefront6targetE1EEEvSM_,"axG",@progbits,_ZN7rocprim17ROCPRIM_400000_NS6detail17trampoline_kernelINS0_14default_configENS1_37merge_sort_block_sort_config_selectorIlNS0_10empty_typeEEEZNS1_21merge_sort_block_sortIS3_PlS8_PS5_S9_ZN2at6native12_GLOBAL__N_124unique_dim_cuda_templateIhEESt5tupleIJNSA_6TensorESF_SF_EERKSF_lbbbEUlllE_EE10hipError_tT0_T1_T2_T3_mRjT4_P12ihipStream_tbNS1_7vsmem_tEEUlT_E_NS1_11comp_targetILNS1_3genE2ELNS1_11target_archE906ELNS1_3gpuE6ELNS1_3repE0EEENS1_30default_config_static_selectorELNS0_4arch9wavefront6targetE1EEEvSM_,comdat
	.globl	_ZN7rocprim17ROCPRIM_400000_NS6detail17trampoline_kernelINS0_14default_configENS1_37merge_sort_block_sort_config_selectorIlNS0_10empty_typeEEEZNS1_21merge_sort_block_sortIS3_PlS8_PS5_S9_ZN2at6native12_GLOBAL__N_124unique_dim_cuda_templateIhEESt5tupleIJNSA_6TensorESF_SF_EERKSF_lbbbEUlllE_EE10hipError_tT0_T1_T2_T3_mRjT4_P12ihipStream_tbNS1_7vsmem_tEEUlT_E_NS1_11comp_targetILNS1_3genE2ELNS1_11target_archE906ELNS1_3gpuE6ELNS1_3repE0EEENS1_30default_config_static_selectorELNS0_4arch9wavefront6targetE1EEEvSM_ ; -- Begin function _ZN7rocprim17ROCPRIM_400000_NS6detail17trampoline_kernelINS0_14default_configENS1_37merge_sort_block_sort_config_selectorIlNS0_10empty_typeEEEZNS1_21merge_sort_block_sortIS3_PlS8_PS5_S9_ZN2at6native12_GLOBAL__N_124unique_dim_cuda_templateIhEESt5tupleIJNSA_6TensorESF_SF_EERKSF_lbbbEUlllE_EE10hipError_tT0_T1_T2_T3_mRjT4_P12ihipStream_tbNS1_7vsmem_tEEUlT_E_NS1_11comp_targetILNS1_3genE2ELNS1_11target_archE906ELNS1_3gpuE6ELNS1_3repE0EEENS1_30default_config_static_selectorELNS0_4arch9wavefront6targetE1EEEvSM_
	.p2align	8
	.type	_ZN7rocprim17ROCPRIM_400000_NS6detail17trampoline_kernelINS0_14default_configENS1_37merge_sort_block_sort_config_selectorIlNS0_10empty_typeEEEZNS1_21merge_sort_block_sortIS3_PlS8_PS5_S9_ZN2at6native12_GLOBAL__N_124unique_dim_cuda_templateIhEESt5tupleIJNSA_6TensorESF_SF_EERKSF_lbbbEUlllE_EE10hipError_tT0_T1_T2_T3_mRjT4_P12ihipStream_tbNS1_7vsmem_tEEUlT_E_NS1_11comp_targetILNS1_3genE2ELNS1_11target_archE906ELNS1_3gpuE6ELNS1_3repE0EEENS1_30default_config_static_selectorELNS0_4arch9wavefront6targetE1EEEvSM_,@function
_ZN7rocprim17ROCPRIM_400000_NS6detail17trampoline_kernelINS0_14default_configENS1_37merge_sort_block_sort_config_selectorIlNS0_10empty_typeEEEZNS1_21merge_sort_block_sortIS3_PlS8_PS5_S9_ZN2at6native12_GLOBAL__N_124unique_dim_cuda_templateIhEESt5tupleIJNSA_6TensorESF_SF_EERKSF_lbbbEUlllE_EE10hipError_tT0_T1_T2_T3_mRjT4_P12ihipStream_tbNS1_7vsmem_tEEUlT_E_NS1_11comp_targetILNS1_3genE2ELNS1_11target_archE906ELNS1_3gpuE6ELNS1_3repE0EEENS1_30default_config_static_selectorELNS0_4arch9wavefront6targetE1EEEvSM_: ; @_ZN7rocprim17ROCPRIM_400000_NS6detail17trampoline_kernelINS0_14default_configENS1_37merge_sort_block_sort_config_selectorIlNS0_10empty_typeEEEZNS1_21merge_sort_block_sortIS3_PlS8_PS5_S9_ZN2at6native12_GLOBAL__N_124unique_dim_cuda_templateIhEESt5tupleIJNSA_6TensorESF_SF_EERKSF_lbbbEUlllE_EE10hipError_tT0_T1_T2_T3_mRjT4_P12ihipStream_tbNS1_7vsmem_tEEUlT_E_NS1_11comp_targetILNS1_3genE2ELNS1_11target_archE906ELNS1_3gpuE6ELNS1_3repE0EEENS1_30default_config_static_selectorELNS0_4arch9wavefront6targetE1EEEvSM_
; %bb.0:
	.section	.rodata,"a",@progbits
	.p2align	6, 0x0
	.amdhsa_kernel _ZN7rocprim17ROCPRIM_400000_NS6detail17trampoline_kernelINS0_14default_configENS1_37merge_sort_block_sort_config_selectorIlNS0_10empty_typeEEEZNS1_21merge_sort_block_sortIS3_PlS8_PS5_S9_ZN2at6native12_GLOBAL__N_124unique_dim_cuda_templateIhEESt5tupleIJNSA_6TensorESF_SF_EERKSF_lbbbEUlllE_EE10hipError_tT0_T1_T2_T3_mRjT4_P12ihipStream_tbNS1_7vsmem_tEEUlT_E_NS1_11comp_targetILNS1_3genE2ELNS1_11target_archE906ELNS1_3gpuE6ELNS1_3repE0EEENS1_30default_config_static_selectorELNS0_4arch9wavefront6targetE1EEEvSM_
		.amdhsa_group_segment_fixed_size 0
		.amdhsa_private_segment_fixed_size 0
		.amdhsa_kernarg_size 72
		.amdhsa_user_sgpr_count 2
		.amdhsa_user_sgpr_dispatch_ptr 0
		.amdhsa_user_sgpr_queue_ptr 0
		.amdhsa_user_sgpr_kernarg_segment_ptr 1
		.amdhsa_user_sgpr_dispatch_id 0
		.amdhsa_user_sgpr_kernarg_preload_length 0
		.amdhsa_user_sgpr_kernarg_preload_offset 0
		.amdhsa_user_sgpr_private_segment_size 0
		.amdhsa_uses_dynamic_stack 0
		.amdhsa_enable_private_segment 0
		.amdhsa_system_sgpr_workgroup_id_x 1
		.amdhsa_system_sgpr_workgroup_id_y 0
		.amdhsa_system_sgpr_workgroup_id_z 0
		.amdhsa_system_sgpr_workgroup_info 0
		.amdhsa_system_vgpr_workitem_id 0
		.amdhsa_next_free_vgpr 1
		.amdhsa_next_free_sgpr 0
		.amdhsa_accum_offset 4
		.amdhsa_reserve_vcc 0
		.amdhsa_float_round_mode_32 0
		.amdhsa_float_round_mode_16_64 0
		.amdhsa_float_denorm_mode_32 3
		.amdhsa_float_denorm_mode_16_64 3
		.amdhsa_dx10_clamp 1
		.amdhsa_ieee_mode 1
		.amdhsa_fp16_overflow 0
		.amdhsa_tg_split 0
		.amdhsa_exception_fp_ieee_invalid_op 0
		.amdhsa_exception_fp_denorm_src 0
		.amdhsa_exception_fp_ieee_div_zero 0
		.amdhsa_exception_fp_ieee_overflow 0
		.amdhsa_exception_fp_ieee_underflow 0
		.amdhsa_exception_fp_ieee_inexact 0
		.amdhsa_exception_int_div_zero 0
	.end_amdhsa_kernel
	.section	.text._ZN7rocprim17ROCPRIM_400000_NS6detail17trampoline_kernelINS0_14default_configENS1_37merge_sort_block_sort_config_selectorIlNS0_10empty_typeEEEZNS1_21merge_sort_block_sortIS3_PlS8_PS5_S9_ZN2at6native12_GLOBAL__N_124unique_dim_cuda_templateIhEESt5tupleIJNSA_6TensorESF_SF_EERKSF_lbbbEUlllE_EE10hipError_tT0_T1_T2_T3_mRjT4_P12ihipStream_tbNS1_7vsmem_tEEUlT_E_NS1_11comp_targetILNS1_3genE2ELNS1_11target_archE906ELNS1_3gpuE6ELNS1_3repE0EEENS1_30default_config_static_selectorELNS0_4arch9wavefront6targetE1EEEvSM_,"axG",@progbits,_ZN7rocprim17ROCPRIM_400000_NS6detail17trampoline_kernelINS0_14default_configENS1_37merge_sort_block_sort_config_selectorIlNS0_10empty_typeEEEZNS1_21merge_sort_block_sortIS3_PlS8_PS5_S9_ZN2at6native12_GLOBAL__N_124unique_dim_cuda_templateIhEESt5tupleIJNSA_6TensorESF_SF_EERKSF_lbbbEUlllE_EE10hipError_tT0_T1_T2_T3_mRjT4_P12ihipStream_tbNS1_7vsmem_tEEUlT_E_NS1_11comp_targetILNS1_3genE2ELNS1_11target_archE906ELNS1_3gpuE6ELNS1_3repE0EEENS1_30default_config_static_selectorELNS0_4arch9wavefront6targetE1EEEvSM_,comdat
.Lfunc_end14:
	.size	_ZN7rocprim17ROCPRIM_400000_NS6detail17trampoline_kernelINS0_14default_configENS1_37merge_sort_block_sort_config_selectorIlNS0_10empty_typeEEEZNS1_21merge_sort_block_sortIS3_PlS8_PS5_S9_ZN2at6native12_GLOBAL__N_124unique_dim_cuda_templateIhEESt5tupleIJNSA_6TensorESF_SF_EERKSF_lbbbEUlllE_EE10hipError_tT0_T1_T2_T3_mRjT4_P12ihipStream_tbNS1_7vsmem_tEEUlT_E_NS1_11comp_targetILNS1_3genE2ELNS1_11target_archE906ELNS1_3gpuE6ELNS1_3repE0EEENS1_30default_config_static_selectorELNS0_4arch9wavefront6targetE1EEEvSM_, .Lfunc_end14-_ZN7rocprim17ROCPRIM_400000_NS6detail17trampoline_kernelINS0_14default_configENS1_37merge_sort_block_sort_config_selectorIlNS0_10empty_typeEEEZNS1_21merge_sort_block_sortIS3_PlS8_PS5_S9_ZN2at6native12_GLOBAL__N_124unique_dim_cuda_templateIhEESt5tupleIJNSA_6TensorESF_SF_EERKSF_lbbbEUlllE_EE10hipError_tT0_T1_T2_T3_mRjT4_P12ihipStream_tbNS1_7vsmem_tEEUlT_E_NS1_11comp_targetILNS1_3genE2ELNS1_11target_archE906ELNS1_3gpuE6ELNS1_3repE0EEENS1_30default_config_static_selectorELNS0_4arch9wavefront6targetE1EEEvSM_
                                        ; -- End function
	.section	.AMDGPU.csdata,"",@progbits
; Kernel info:
; codeLenInByte = 0
; NumSgprs: 6
; NumVgprs: 0
; NumAgprs: 0
; TotalNumVgprs: 0
; ScratchSize: 0
; MemoryBound: 0
; FloatMode: 240
; IeeeMode: 1
; LDSByteSize: 0 bytes/workgroup (compile time only)
; SGPRBlocks: 0
; VGPRBlocks: 0
; NumSGPRsForWavesPerEU: 6
; NumVGPRsForWavesPerEU: 1
; AccumOffset: 4
; Occupancy: 8
; WaveLimiterHint : 0
; COMPUTE_PGM_RSRC2:SCRATCH_EN: 0
; COMPUTE_PGM_RSRC2:USER_SGPR: 2
; COMPUTE_PGM_RSRC2:TRAP_HANDLER: 0
; COMPUTE_PGM_RSRC2:TGID_X_EN: 1
; COMPUTE_PGM_RSRC2:TGID_Y_EN: 0
; COMPUTE_PGM_RSRC2:TGID_Z_EN: 0
; COMPUTE_PGM_RSRC2:TIDIG_COMP_CNT: 0
; COMPUTE_PGM_RSRC3_GFX90A:ACCUM_OFFSET: 0
; COMPUTE_PGM_RSRC3_GFX90A:TG_SPLIT: 0
	.section	.text._ZN7rocprim17ROCPRIM_400000_NS6detail17trampoline_kernelINS0_14default_configENS1_37merge_sort_block_sort_config_selectorIlNS0_10empty_typeEEEZNS1_21merge_sort_block_sortIS3_PlS8_PS5_S9_ZN2at6native12_GLOBAL__N_124unique_dim_cuda_templateIhEESt5tupleIJNSA_6TensorESF_SF_EERKSF_lbbbEUlllE_EE10hipError_tT0_T1_T2_T3_mRjT4_P12ihipStream_tbNS1_7vsmem_tEEUlT_E_NS1_11comp_targetILNS1_3genE10ELNS1_11target_archE1201ELNS1_3gpuE5ELNS1_3repE0EEENS1_30default_config_static_selectorELNS0_4arch9wavefront6targetE1EEEvSM_,"axG",@progbits,_ZN7rocprim17ROCPRIM_400000_NS6detail17trampoline_kernelINS0_14default_configENS1_37merge_sort_block_sort_config_selectorIlNS0_10empty_typeEEEZNS1_21merge_sort_block_sortIS3_PlS8_PS5_S9_ZN2at6native12_GLOBAL__N_124unique_dim_cuda_templateIhEESt5tupleIJNSA_6TensorESF_SF_EERKSF_lbbbEUlllE_EE10hipError_tT0_T1_T2_T3_mRjT4_P12ihipStream_tbNS1_7vsmem_tEEUlT_E_NS1_11comp_targetILNS1_3genE10ELNS1_11target_archE1201ELNS1_3gpuE5ELNS1_3repE0EEENS1_30default_config_static_selectorELNS0_4arch9wavefront6targetE1EEEvSM_,comdat
	.globl	_ZN7rocprim17ROCPRIM_400000_NS6detail17trampoline_kernelINS0_14default_configENS1_37merge_sort_block_sort_config_selectorIlNS0_10empty_typeEEEZNS1_21merge_sort_block_sortIS3_PlS8_PS5_S9_ZN2at6native12_GLOBAL__N_124unique_dim_cuda_templateIhEESt5tupleIJNSA_6TensorESF_SF_EERKSF_lbbbEUlllE_EE10hipError_tT0_T1_T2_T3_mRjT4_P12ihipStream_tbNS1_7vsmem_tEEUlT_E_NS1_11comp_targetILNS1_3genE10ELNS1_11target_archE1201ELNS1_3gpuE5ELNS1_3repE0EEENS1_30default_config_static_selectorELNS0_4arch9wavefront6targetE1EEEvSM_ ; -- Begin function _ZN7rocprim17ROCPRIM_400000_NS6detail17trampoline_kernelINS0_14default_configENS1_37merge_sort_block_sort_config_selectorIlNS0_10empty_typeEEEZNS1_21merge_sort_block_sortIS3_PlS8_PS5_S9_ZN2at6native12_GLOBAL__N_124unique_dim_cuda_templateIhEESt5tupleIJNSA_6TensorESF_SF_EERKSF_lbbbEUlllE_EE10hipError_tT0_T1_T2_T3_mRjT4_P12ihipStream_tbNS1_7vsmem_tEEUlT_E_NS1_11comp_targetILNS1_3genE10ELNS1_11target_archE1201ELNS1_3gpuE5ELNS1_3repE0EEENS1_30default_config_static_selectorELNS0_4arch9wavefront6targetE1EEEvSM_
	.p2align	8
	.type	_ZN7rocprim17ROCPRIM_400000_NS6detail17trampoline_kernelINS0_14default_configENS1_37merge_sort_block_sort_config_selectorIlNS0_10empty_typeEEEZNS1_21merge_sort_block_sortIS3_PlS8_PS5_S9_ZN2at6native12_GLOBAL__N_124unique_dim_cuda_templateIhEESt5tupleIJNSA_6TensorESF_SF_EERKSF_lbbbEUlllE_EE10hipError_tT0_T1_T2_T3_mRjT4_P12ihipStream_tbNS1_7vsmem_tEEUlT_E_NS1_11comp_targetILNS1_3genE10ELNS1_11target_archE1201ELNS1_3gpuE5ELNS1_3repE0EEENS1_30default_config_static_selectorELNS0_4arch9wavefront6targetE1EEEvSM_,@function
_ZN7rocprim17ROCPRIM_400000_NS6detail17trampoline_kernelINS0_14default_configENS1_37merge_sort_block_sort_config_selectorIlNS0_10empty_typeEEEZNS1_21merge_sort_block_sortIS3_PlS8_PS5_S9_ZN2at6native12_GLOBAL__N_124unique_dim_cuda_templateIhEESt5tupleIJNSA_6TensorESF_SF_EERKSF_lbbbEUlllE_EE10hipError_tT0_T1_T2_T3_mRjT4_P12ihipStream_tbNS1_7vsmem_tEEUlT_E_NS1_11comp_targetILNS1_3genE10ELNS1_11target_archE1201ELNS1_3gpuE5ELNS1_3repE0EEENS1_30default_config_static_selectorELNS0_4arch9wavefront6targetE1EEEvSM_: ; @_ZN7rocprim17ROCPRIM_400000_NS6detail17trampoline_kernelINS0_14default_configENS1_37merge_sort_block_sort_config_selectorIlNS0_10empty_typeEEEZNS1_21merge_sort_block_sortIS3_PlS8_PS5_S9_ZN2at6native12_GLOBAL__N_124unique_dim_cuda_templateIhEESt5tupleIJNSA_6TensorESF_SF_EERKSF_lbbbEUlllE_EE10hipError_tT0_T1_T2_T3_mRjT4_P12ihipStream_tbNS1_7vsmem_tEEUlT_E_NS1_11comp_targetILNS1_3genE10ELNS1_11target_archE1201ELNS1_3gpuE5ELNS1_3repE0EEENS1_30default_config_static_selectorELNS0_4arch9wavefront6targetE1EEEvSM_
; %bb.0:
	.section	.rodata,"a",@progbits
	.p2align	6, 0x0
	.amdhsa_kernel _ZN7rocprim17ROCPRIM_400000_NS6detail17trampoline_kernelINS0_14default_configENS1_37merge_sort_block_sort_config_selectorIlNS0_10empty_typeEEEZNS1_21merge_sort_block_sortIS3_PlS8_PS5_S9_ZN2at6native12_GLOBAL__N_124unique_dim_cuda_templateIhEESt5tupleIJNSA_6TensorESF_SF_EERKSF_lbbbEUlllE_EE10hipError_tT0_T1_T2_T3_mRjT4_P12ihipStream_tbNS1_7vsmem_tEEUlT_E_NS1_11comp_targetILNS1_3genE10ELNS1_11target_archE1201ELNS1_3gpuE5ELNS1_3repE0EEENS1_30default_config_static_selectorELNS0_4arch9wavefront6targetE1EEEvSM_
		.amdhsa_group_segment_fixed_size 0
		.amdhsa_private_segment_fixed_size 0
		.amdhsa_kernarg_size 72
		.amdhsa_user_sgpr_count 2
		.amdhsa_user_sgpr_dispatch_ptr 0
		.amdhsa_user_sgpr_queue_ptr 0
		.amdhsa_user_sgpr_kernarg_segment_ptr 1
		.amdhsa_user_sgpr_dispatch_id 0
		.amdhsa_user_sgpr_kernarg_preload_length 0
		.amdhsa_user_sgpr_kernarg_preload_offset 0
		.amdhsa_user_sgpr_private_segment_size 0
		.amdhsa_uses_dynamic_stack 0
		.amdhsa_enable_private_segment 0
		.amdhsa_system_sgpr_workgroup_id_x 1
		.amdhsa_system_sgpr_workgroup_id_y 0
		.amdhsa_system_sgpr_workgroup_id_z 0
		.amdhsa_system_sgpr_workgroup_info 0
		.amdhsa_system_vgpr_workitem_id 0
		.amdhsa_next_free_vgpr 1
		.amdhsa_next_free_sgpr 0
		.amdhsa_accum_offset 4
		.amdhsa_reserve_vcc 0
		.amdhsa_float_round_mode_32 0
		.amdhsa_float_round_mode_16_64 0
		.amdhsa_float_denorm_mode_32 3
		.amdhsa_float_denorm_mode_16_64 3
		.amdhsa_dx10_clamp 1
		.amdhsa_ieee_mode 1
		.amdhsa_fp16_overflow 0
		.amdhsa_tg_split 0
		.amdhsa_exception_fp_ieee_invalid_op 0
		.amdhsa_exception_fp_denorm_src 0
		.amdhsa_exception_fp_ieee_div_zero 0
		.amdhsa_exception_fp_ieee_overflow 0
		.amdhsa_exception_fp_ieee_underflow 0
		.amdhsa_exception_fp_ieee_inexact 0
		.amdhsa_exception_int_div_zero 0
	.end_amdhsa_kernel
	.section	.text._ZN7rocprim17ROCPRIM_400000_NS6detail17trampoline_kernelINS0_14default_configENS1_37merge_sort_block_sort_config_selectorIlNS0_10empty_typeEEEZNS1_21merge_sort_block_sortIS3_PlS8_PS5_S9_ZN2at6native12_GLOBAL__N_124unique_dim_cuda_templateIhEESt5tupleIJNSA_6TensorESF_SF_EERKSF_lbbbEUlllE_EE10hipError_tT0_T1_T2_T3_mRjT4_P12ihipStream_tbNS1_7vsmem_tEEUlT_E_NS1_11comp_targetILNS1_3genE10ELNS1_11target_archE1201ELNS1_3gpuE5ELNS1_3repE0EEENS1_30default_config_static_selectorELNS0_4arch9wavefront6targetE1EEEvSM_,"axG",@progbits,_ZN7rocprim17ROCPRIM_400000_NS6detail17trampoline_kernelINS0_14default_configENS1_37merge_sort_block_sort_config_selectorIlNS0_10empty_typeEEEZNS1_21merge_sort_block_sortIS3_PlS8_PS5_S9_ZN2at6native12_GLOBAL__N_124unique_dim_cuda_templateIhEESt5tupleIJNSA_6TensorESF_SF_EERKSF_lbbbEUlllE_EE10hipError_tT0_T1_T2_T3_mRjT4_P12ihipStream_tbNS1_7vsmem_tEEUlT_E_NS1_11comp_targetILNS1_3genE10ELNS1_11target_archE1201ELNS1_3gpuE5ELNS1_3repE0EEENS1_30default_config_static_selectorELNS0_4arch9wavefront6targetE1EEEvSM_,comdat
.Lfunc_end15:
	.size	_ZN7rocprim17ROCPRIM_400000_NS6detail17trampoline_kernelINS0_14default_configENS1_37merge_sort_block_sort_config_selectorIlNS0_10empty_typeEEEZNS1_21merge_sort_block_sortIS3_PlS8_PS5_S9_ZN2at6native12_GLOBAL__N_124unique_dim_cuda_templateIhEESt5tupleIJNSA_6TensorESF_SF_EERKSF_lbbbEUlllE_EE10hipError_tT0_T1_T2_T3_mRjT4_P12ihipStream_tbNS1_7vsmem_tEEUlT_E_NS1_11comp_targetILNS1_3genE10ELNS1_11target_archE1201ELNS1_3gpuE5ELNS1_3repE0EEENS1_30default_config_static_selectorELNS0_4arch9wavefront6targetE1EEEvSM_, .Lfunc_end15-_ZN7rocprim17ROCPRIM_400000_NS6detail17trampoline_kernelINS0_14default_configENS1_37merge_sort_block_sort_config_selectorIlNS0_10empty_typeEEEZNS1_21merge_sort_block_sortIS3_PlS8_PS5_S9_ZN2at6native12_GLOBAL__N_124unique_dim_cuda_templateIhEESt5tupleIJNSA_6TensorESF_SF_EERKSF_lbbbEUlllE_EE10hipError_tT0_T1_T2_T3_mRjT4_P12ihipStream_tbNS1_7vsmem_tEEUlT_E_NS1_11comp_targetILNS1_3genE10ELNS1_11target_archE1201ELNS1_3gpuE5ELNS1_3repE0EEENS1_30default_config_static_selectorELNS0_4arch9wavefront6targetE1EEEvSM_
                                        ; -- End function
	.section	.AMDGPU.csdata,"",@progbits
; Kernel info:
; codeLenInByte = 0
; NumSgprs: 6
; NumVgprs: 0
; NumAgprs: 0
; TotalNumVgprs: 0
; ScratchSize: 0
; MemoryBound: 0
; FloatMode: 240
; IeeeMode: 1
; LDSByteSize: 0 bytes/workgroup (compile time only)
; SGPRBlocks: 0
; VGPRBlocks: 0
; NumSGPRsForWavesPerEU: 6
; NumVGPRsForWavesPerEU: 1
; AccumOffset: 4
; Occupancy: 8
; WaveLimiterHint : 0
; COMPUTE_PGM_RSRC2:SCRATCH_EN: 0
; COMPUTE_PGM_RSRC2:USER_SGPR: 2
; COMPUTE_PGM_RSRC2:TRAP_HANDLER: 0
; COMPUTE_PGM_RSRC2:TGID_X_EN: 1
; COMPUTE_PGM_RSRC2:TGID_Y_EN: 0
; COMPUTE_PGM_RSRC2:TGID_Z_EN: 0
; COMPUTE_PGM_RSRC2:TIDIG_COMP_CNT: 0
; COMPUTE_PGM_RSRC3_GFX90A:ACCUM_OFFSET: 0
; COMPUTE_PGM_RSRC3_GFX90A:TG_SPLIT: 0
	.section	.text._ZN7rocprim17ROCPRIM_400000_NS6detail17trampoline_kernelINS0_14default_configENS1_37merge_sort_block_sort_config_selectorIlNS0_10empty_typeEEEZNS1_21merge_sort_block_sortIS3_PlS8_PS5_S9_ZN2at6native12_GLOBAL__N_124unique_dim_cuda_templateIhEESt5tupleIJNSA_6TensorESF_SF_EERKSF_lbbbEUlllE_EE10hipError_tT0_T1_T2_T3_mRjT4_P12ihipStream_tbNS1_7vsmem_tEEUlT_E_NS1_11comp_targetILNS1_3genE10ELNS1_11target_archE1200ELNS1_3gpuE4ELNS1_3repE0EEENS1_30default_config_static_selectorELNS0_4arch9wavefront6targetE1EEEvSM_,"axG",@progbits,_ZN7rocprim17ROCPRIM_400000_NS6detail17trampoline_kernelINS0_14default_configENS1_37merge_sort_block_sort_config_selectorIlNS0_10empty_typeEEEZNS1_21merge_sort_block_sortIS3_PlS8_PS5_S9_ZN2at6native12_GLOBAL__N_124unique_dim_cuda_templateIhEESt5tupleIJNSA_6TensorESF_SF_EERKSF_lbbbEUlllE_EE10hipError_tT0_T1_T2_T3_mRjT4_P12ihipStream_tbNS1_7vsmem_tEEUlT_E_NS1_11comp_targetILNS1_3genE10ELNS1_11target_archE1200ELNS1_3gpuE4ELNS1_3repE0EEENS1_30default_config_static_selectorELNS0_4arch9wavefront6targetE1EEEvSM_,comdat
	.globl	_ZN7rocprim17ROCPRIM_400000_NS6detail17trampoline_kernelINS0_14default_configENS1_37merge_sort_block_sort_config_selectorIlNS0_10empty_typeEEEZNS1_21merge_sort_block_sortIS3_PlS8_PS5_S9_ZN2at6native12_GLOBAL__N_124unique_dim_cuda_templateIhEESt5tupleIJNSA_6TensorESF_SF_EERKSF_lbbbEUlllE_EE10hipError_tT0_T1_T2_T3_mRjT4_P12ihipStream_tbNS1_7vsmem_tEEUlT_E_NS1_11comp_targetILNS1_3genE10ELNS1_11target_archE1200ELNS1_3gpuE4ELNS1_3repE0EEENS1_30default_config_static_selectorELNS0_4arch9wavefront6targetE1EEEvSM_ ; -- Begin function _ZN7rocprim17ROCPRIM_400000_NS6detail17trampoline_kernelINS0_14default_configENS1_37merge_sort_block_sort_config_selectorIlNS0_10empty_typeEEEZNS1_21merge_sort_block_sortIS3_PlS8_PS5_S9_ZN2at6native12_GLOBAL__N_124unique_dim_cuda_templateIhEESt5tupleIJNSA_6TensorESF_SF_EERKSF_lbbbEUlllE_EE10hipError_tT0_T1_T2_T3_mRjT4_P12ihipStream_tbNS1_7vsmem_tEEUlT_E_NS1_11comp_targetILNS1_3genE10ELNS1_11target_archE1200ELNS1_3gpuE4ELNS1_3repE0EEENS1_30default_config_static_selectorELNS0_4arch9wavefront6targetE1EEEvSM_
	.p2align	8
	.type	_ZN7rocprim17ROCPRIM_400000_NS6detail17trampoline_kernelINS0_14default_configENS1_37merge_sort_block_sort_config_selectorIlNS0_10empty_typeEEEZNS1_21merge_sort_block_sortIS3_PlS8_PS5_S9_ZN2at6native12_GLOBAL__N_124unique_dim_cuda_templateIhEESt5tupleIJNSA_6TensorESF_SF_EERKSF_lbbbEUlllE_EE10hipError_tT0_T1_T2_T3_mRjT4_P12ihipStream_tbNS1_7vsmem_tEEUlT_E_NS1_11comp_targetILNS1_3genE10ELNS1_11target_archE1200ELNS1_3gpuE4ELNS1_3repE0EEENS1_30default_config_static_selectorELNS0_4arch9wavefront6targetE1EEEvSM_,@function
_ZN7rocprim17ROCPRIM_400000_NS6detail17trampoline_kernelINS0_14default_configENS1_37merge_sort_block_sort_config_selectorIlNS0_10empty_typeEEEZNS1_21merge_sort_block_sortIS3_PlS8_PS5_S9_ZN2at6native12_GLOBAL__N_124unique_dim_cuda_templateIhEESt5tupleIJNSA_6TensorESF_SF_EERKSF_lbbbEUlllE_EE10hipError_tT0_T1_T2_T3_mRjT4_P12ihipStream_tbNS1_7vsmem_tEEUlT_E_NS1_11comp_targetILNS1_3genE10ELNS1_11target_archE1200ELNS1_3gpuE4ELNS1_3repE0EEENS1_30default_config_static_selectorELNS0_4arch9wavefront6targetE1EEEvSM_: ; @_ZN7rocprim17ROCPRIM_400000_NS6detail17trampoline_kernelINS0_14default_configENS1_37merge_sort_block_sort_config_selectorIlNS0_10empty_typeEEEZNS1_21merge_sort_block_sortIS3_PlS8_PS5_S9_ZN2at6native12_GLOBAL__N_124unique_dim_cuda_templateIhEESt5tupleIJNSA_6TensorESF_SF_EERKSF_lbbbEUlllE_EE10hipError_tT0_T1_T2_T3_mRjT4_P12ihipStream_tbNS1_7vsmem_tEEUlT_E_NS1_11comp_targetILNS1_3genE10ELNS1_11target_archE1200ELNS1_3gpuE4ELNS1_3repE0EEENS1_30default_config_static_selectorELNS0_4arch9wavefront6targetE1EEEvSM_
; %bb.0:
	.section	.rodata,"a",@progbits
	.p2align	6, 0x0
	.amdhsa_kernel _ZN7rocprim17ROCPRIM_400000_NS6detail17trampoline_kernelINS0_14default_configENS1_37merge_sort_block_sort_config_selectorIlNS0_10empty_typeEEEZNS1_21merge_sort_block_sortIS3_PlS8_PS5_S9_ZN2at6native12_GLOBAL__N_124unique_dim_cuda_templateIhEESt5tupleIJNSA_6TensorESF_SF_EERKSF_lbbbEUlllE_EE10hipError_tT0_T1_T2_T3_mRjT4_P12ihipStream_tbNS1_7vsmem_tEEUlT_E_NS1_11comp_targetILNS1_3genE10ELNS1_11target_archE1200ELNS1_3gpuE4ELNS1_3repE0EEENS1_30default_config_static_selectorELNS0_4arch9wavefront6targetE1EEEvSM_
		.amdhsa_group_segment_fixed_size 0
		.amdhsa_private_segment_fixed_size 0
		.amdhsa_kernarg_size 72
		.amdhsa_user_sgpr_count 2
		.amdhsa_user_sgpr_dispatch_ptr 0
		.amdhsa_user_sgpr_queue_ptr 0
		.amdhsa_user_sgpr_kernarg_segment_ptr 1
		.amdhsa_user_sgpr_dispatch_id 0
		.amdhsa_user_sgpr_kernarg_preload_length 0
		.amdhsa_user_sgpr_kernarg_preload_offset 0
		.amdhsa_user_sgpr_private_segment_size 0
		.amdhsa_uses_dynamic_stack 0
		.amdhsa_enable_private_segment 0
		.amdhsa_system_sgpr_workgroup_id_x 1
		.amdhsa_system_sgpr_workgroup_id_y 0
		.amdhsa_system_sgpr_workgroup_id_z 0
		.amdhsa_system_sgpr_workgroup_info 0
		.amdhsa_system_vgpr_workitem_id 0
		.amdhsa_next_free_vgpr 1
		.amdhsa_next_free_sgpr 0
		.amdhsa_accum_offset 4
		.amdhsa_reserve_vcc 0
		.amdhsa_float_round_mode_32 0
		.amdhsa_float_round_mode_16_64 0
		.amdhsa_float_denorm_mode_32 3
		.amdhsa_float_denorm_mode_16_64 3
		.amdhsa_dx10_clamp 1
		.amdhsa_ieee_mode 1
		.amdhsa_fp16_overflow 0
		.amdhsa_tg_split 0
		.amdhsa_exception_fp_ieee_invalid_op 0
		.amdhsa_exception_fp_denorm_src 0
		.amdhsa_exception_fp_ieee_div_zero 0
		.amdhsa_exception_fp_ieee_overflow 0
		.amdhsa_exception_fp_ieee_underflow 0
		.amdhsa_exception_fp_ieee_inexact 0
		.amdhsa_exception_int_div_zero 0
	.end_amdhsa_kernel
	.section	.text._ZN7rocprim17ROCPRIM_400000_NS6detail17trampoline_kernelINS0_14default_configENS1_37merge_sort_block_sort_config_selectorIlNS0_10empty_typeEEEZNS1_21merge_sort_block_sortIS3_PlS8_PS5_S9_ZN2at6native12_GLOBAL__N_124unique_dim_cuda_templateIhEESt5tupleIJNSA_6TensorESF_SF_EERKSF_lbbbEUlllE_EE10hipError_tT0_T1_T2_T3_mRjT4_P12ihipStream_tbNS1_7vsmem_tEEUlT_E_NS1_11comp_targetILNS1_3genE10ELNS1_11target_archE1200ELNS1_3gpuE4ELNS1_3repE0EEENS1_30default_config_static_selectorELNS0_4arch9wavefront6targetE1EEEvSM_,"axG",@progbits,_ZN7rocprim17ROCPRIM_400000_NS6detail17trampoline_kernelINS0_14default_configENS1_37merge_sort_block_sort_config_selectorIlNS0_10empty_typeEEEZNS1_21merge_sort_block_sortIS3_PlS8_PS5_S9_ZN2at6native12_GLOBAL__N_124unique_dim_cuda_templateIhEESt5tupleIJNSA_6TensorESF_SF_EERKSF_lbbbEUlllE_EE10hipError_tT0_T1_T2_T3_mRjT4_P12ihipStream_tbNS1_7vsmem_tEEUlT_E_NS1_11comp_targetILNS1_3genE10ELNS1_11target_archE1200ELNS1_3gpuE4ELNS1_3repE0EEENS1_30default_config_static_selectorELNS0_4arch9wavefront6targetE1EEEvSM_,comdat
.Lfunc_end16:
	.size	_ZN7rocprim17ROCPRIM_400000_NS6detail17trampoline_kernelINS0_14default_configENS1_37merge_sort_block_sort_config_selectorIlNS0_10empty_typeEEEZNS1_21merge_sort_block_sortIS3_PlS8_PS5_S9_ZN2at6native12_GLOBAL__N_124unique_dim_cuda_templateIhEESt5tupleIJNSA_6TensorESF_SF_EERKSF_lbbbEUlllE_EE10hipError_tT0_T1_T2_T3_mRjT4_P12ihipStream_tbNS1_7vsmem_tEEUlT_E_NS1_11comp_targetILNS1_3genE10ELNS1_11target_archE1200ELNS1_3gpuE4ELNS1_3repE0EEENS1_30default_config_static_selectorELNS0_4arch9wavefront6targetE1EEEvSM_, .Lfunc_end16-_ZN7rocprim17ROCPRIM_400000_NS6detail17trampoline_kernelINS0_14default_configENS1_37merge_sort_block_sort_config_selectorIlNS0_10empty_typeEEEZNS1_21merge_sort_block_sortIS3_PlS8_PS5_S9_ZN2at6native12_GLOBAL__N_124unique_dim_cuda_templateIhEESt5tupleIJNSA_6TensorESF_SF_EERKSF_lbbbEUlllE_EE10hipError_tT0_T1_T2_T3_mRjT4_P12ihipStream_tbNS1_7vsmem_tEEUlT_E_NS1_11comp_targetILNS1_3genE10ELNS1_11target_archE1200ELNS1_3gpuE4ELNS1_3repE0EEENS1_30default_config_static_selectorELNS0_4arch9wavefront6targetE1EEEvSM_
                                        ; -- End function
	.section	.AMDGPU.csdata,"",@progbits
; Kernel info:
; codeLenInByte = 0
; NumSgprs: 6
; NumVgprs: 0
; NumAgprs: 0
; TotalNumVgprs: 0
; ScratchSize: 0
; MemoryBound: 0
; FloatMode: 240
; IeeeMode: 1
; LDSByteSize: 0 bytes/workgroup (compile time only)
; SGPRBlocks: 0
; VGPRBlocks: 0
; NumSGPRsForWavesPerEU: 6
; NumVGPRsForWavesPerEU: 1
; AccumOffset: 4
; Occupancy: 8
; WaveLimiterHint : 0
; COMPUTE_PGM_RSRC2:SCRATCH_EN: 0
; COMPUTE_PGM_RSRC2:USER_SGPR: 2
; COMPUTE_PGM_RSRC2:TRAP_HANDLER: 0
; COMPUTE_PGM_RSRC2:TGID_X_EN: 1
; COMPUTE_PGM_RSRC2:TGID_Y_EN: 0
; COMPUTE_PGM_RSRC2:TGID_Z_EN: 0
; COMPUTE_PGM_RSRC2:TIDIG_COMP_CNT: 0
; COMPUTE_PGM_RSRC3_GFX90A:ACCUM_OFFSET: 0
; COMPUTE_PGM_RSRC3_GFX90A:TG_SPLIT: 0
	.section	.text._ZN7rocprim17ROCPRIM_400000_NS6detail17trampoline_kernelINS0_14default_configENS1_37merge_sort_block_sort_config_selectorIlNS0_10empty_typeEEEZNS1_21merge_sort_block_sortIS3_PlS8_PS5_S9_ZN2at6native12_GLOBAL__N_124unique_dim_cuda_templateIhEESt5tupleIJNSA_6TensorESF_SF_EERKSF_lbbbEUlllE_EE10hipError_tT0_T1_T2_T3_mRjT4_P12ihipStream_tbNS1_7vsmem_tEEUlT_E_NS1_11comp_targetILNS1_3genE9ELNS1_11target_archE1100ELNS1_3gpuE3ELNS1_3repE0EEENS1_30default_config_static_selectorELNS0_4arch9wavefront6targetE1EEEvSM_,"axG",@progbits,_ZN7rocprim17ROCPRIM_400000_NS6detail17trampoline_kernelINS0_14default_configENS1_37merge_sort_block_sort_config_selectorIlNS0_10empty_typeEEEZNS1_21merge_sort_block_sortIS3_PlS8_PS5_S9_ZN2at6native12_GLOBAL__N_124unique_dim_cuda_templateIhEESt5tupleIJNSA_6TensorESF_SF_EERKSF_lbbbEUlllE_EE10hipError_tT0_T1_T2_T3_mRjT4_P12ihipStream_tbNS1_7vsmem_tEEUlT_E_NS1_11comp_targetILNS1_3genE9ELNS1_11target_archE1100ELNS1_3gpuE3ELNS1_3repE0EEENS1_30default_config_static_selectorELNS0_4arch9wavefront6targetE1EEEvSM_,comdat
	.globl	_ZN7rocprim17ROCPRIM_400000_NS6detail17trampoline_kernelINS0_14default_configENS1_37merge_sort_block_sort_config_selectorIlNS0_10empty_typeEEEZNS1_21merge_sort_block_sortIS3_PlS8_PS5_S9_ZN2at6native12_GLOBAL__N_124unique_dim_cuda_templateIhEESt5tupleIJNSA_6TensorESF_SF_EERKSF_lbbbEUlllE_EE10hipError_tT0_T1_T2_T3_mRjT4_P12ihipStream_tbNS1_7vsmem_tEEUlT_E_NS1_11comp_targetILNS1_3genE9ELNS1_11target_archE1100ELNS1_3gpuE3ELNS1_3repE0EEENS1_30default_config_static_selectorELNS0_4arch9wavefront6targetE1EEEvSM_ ; -- Begin function _ZN7rocprim17ROCPRIM_400000_NS6detail17trampoline_kernelINS0_14default_configENS1_37merge_sort_block_sort_config_selectorIlNS0_10empty_typeEEEZNS1_21merge_sort_block_sortIS3_PlS8_PS5_S9_ZN2at6native12_GLOBAL__N_124unique_dim_cuda_templateIhEESt5tupleIJNSA_6TensorESF_SF_EERKSF_lbbbEUlllE_EE10hipError_tT0_T1_T2_T3_mRjT4_P12ihipStream_tbNS1_7vsmem_tEEUlT_E_NS1_11comp_targetILNS1_3genE9ELNS1_11target_archE1100ELNS1_3gpuE3ELNS1_3repE0EEENS1_30default_config_static_selectorELNS0_4arch9wavefront6targetE1EEEvSM_
	.p2align	8
	.type	_ZN7rocprim17ROCPRIM_400000_NS6detail17trampoline_kernelINS0_14default_configENS1_37merge_sort_block_sort_config_selectorIlNS0_10empty_typeEEEZNS1_21merge_sort_block_sortIS3_PlS8_PS5_S9_ZN2at6native12_GLOBAL__N_124unique_dim_cuda_templateIhEESt5tupleIJNSA_6TensorESF_SF_EERKSF_lbbbEUlllE_EE10hipError_tT0_T1_T2_T3_mRjT4_P12ihipStream_tbNS1_7vsmem_tEEUlT_E_NS1_11comp_targetILNS1_3genE9ELNS1_11target_archE1100ELNS1_3gpuE3ELNS1_3repE0EEENS1_30default_config_static_selectorELNS0_4arch9wavefront6targetE1EEEvSM_,@function
_ZN7rocprim17ROCPRIM_400000_NS6detail17trampoline_kernelINS0_14default_configENS1_37merge_sort_block_sort_config_selectorIlNS0_10empty_typeEEEZNS1_21merge_sort_block_sortIS3_PlS8_PS5_S9_ZN2at6native12_GLOBAL__N_124unique_dim_cuda_templateIhEESt5tupleIJNSA_6TensorESF_SF_EERKSF_lbbbEUlllE_EE10hipError_tT0_T1_T2_T3_mRjT4_P12ihipStream_tbNS1_7vsmem_tEEUlT_E_NS1_11comp_targetILNS1_3genE9ELNS1_11target_archE1100ELNS1_3gpuE3ELNS1_3repE0EEENS1_30default_config_static_selectorELNS0_4arch9wavefront6targetE1EEEvSM_: ; @_ZN7rocprim17ROCPRIM_400000_NS6detail17trampoline_kernelINS0_14default_configENS1_37merge_sort_block_sort_config_selectorIlNS0_10empty_typeEEEZNS1_21merge_sort_block_sortIS3_PlS8_PS5_S9_ZN2at6native12_GLOBAL__N_124unique_dim_cuda_templateIhEESt5tupleIJNSA_6TensorESF_SF_EERKSF_lbbbEUlllE_EE10hipError_tT0_T1_T2_T3_mRjT4_P12ihipStream_tbNS1_7vsmem_tEEUlT_E_NS1_11comp_targetILNS1_3genE9ELNS1_11target_archE1100ELNS1_3gpuE3ELNS1_3repE0EEENS1_30default_config_static_selectorELNS0_4arch9wavefront6targetE1EEEvSM_
; %bb.0:
	.section	.rodata,"a",@progbits
	.p2align	6, 0x0
	.amdhsa_kernel _ZN7rocprim17ROCPRIM_400000_NS6detail17trampoline_kernelINS0_14default_configENS1_37merge_sort_block_sort_config_selectorIlNS0_10empty_typeEEEZNS1_21merge_sort_block_sortIS3_PlS8_PS5_S9_ZN2at6native12_GLOBAL__N_124unique_dim_cuda_templateIhEESt5tupleIJNSA_6TensorESF_SF_EERKSF_lbbbEUlllE_EE10hipError_tT0_T1_T2_T3_mRjT4_P12ihipStream_tbNS1_7vsmem_tEEUlT_E_NS1_11comp_targetILNS1_3genE9ELNS1_11target_archE1100ELNS1_3gpuE3ELNS1_3repE0EEENS1_30default_config_static_selectorELNS0_4arch9wavefront6targetE1EEEvSM_
		.amdhsa_group_segment_fixed_size 0
		.amdhsa_private_segment_fixed_size 0
		.amdhsa_kernarg_size 72
		.amdhsa_user_sgpr_count 2
		.amdhsa_user_sgpr_dispatch_ptr 0
		.amdhsa_user_sgpr_queue_ptr 0
		.amdhsa_user_sgpr_kernarg_segment_ptr 1
		.amdhsa_user_sgpr_dispatch_id 0
		.amdhsa_user_sgpr_kernarg_preload_length 0
		.amdhsa_user_sgpr_kernarg_preload_offset 0
		.amdhsa_user_sgpr_private_segment_size 0
		.amdhsa_uses_dynamic_stack 0
		.amdhsa_enable_private_segment 0
		.amdhsa_system_sgpr_workgroup_id_x 1
		.amdhsa_system_sgpr_workgroup_id_y 0
		.amdhsa_system_sgpr_workgroup_id_z 0
		.amdhsa_system_sgpr_workgroup_info 0
		.amdhsa_system_vgpr_workitem_id 0
		.amdhsa_next_free_vgpr 1
		.amdhsa_next_free_sgpr 0
		.amdhsa_accum_offset 4
		.amdhsa_reserve_vcc 0
		.amdhsa_float_round_mode_32 0
		.amdhsa_float_round_mode_16_64 0
		.amdhsa_float_denorm_mode_32 3
		.amdhsa_float_denorm_mode_16_64 3
		.amdhsa_dx10_clamp 1
		.amdhsa_ieee_mode 1
		.amdhsa_fp16_overflow 0
		.amdhsa_tg_split 0
		.amdhsa_exception_fp_ieee_invalid_op 0
		.amdhsa_exception_fp_denorm_src 0
		.amdhsa_exception_fp_ieee_div_zero 0
		.amdhsa_exception_fp_ieee_overflow 0
		.amdhsa_exception_fp_ieee_underflow 0
		.amdhsa_exception_fp_ieee_inexact 0
		.amdhsa_exception_int_div_zero 0
	.end_amdhsa_kernel
	.section	.text._ZN7rocprim17ROCPRIM_400000_NS6detail17trampoline_kernelINS0_14default_configENS1_37merge_sort_block_sort_config_selectorIlNS0_10empty_typeEEEZNS1_21merge_sort_block_sortIS3_PlS8_PS5_S9_ZN2at6native12_GLOBAL__N_124unique_dim_cuda_templateIhEESt5tupleIJNSA_6TensorESF_SF_EERKSF_lbbbEUlllE_EE10hipError_tT0_T1_T2_T3_mRjT4_P12ihipStream_tbNS1_7vsmem_tEEUlT_E_NS1_11comp_targetILNS1_3genE9ELNS1_11target_archE1100ELNS1_3gpuE3ELNS1_3repE0EEENS1_30default_config_static_selectorELNS0_4arch9wavefront6targetE1EEEvSM_,"axG",@progbits,_ZN7rocprim17ROCPRIM_400000_NS6detail17trampoline_kernelINS0_14default_configENS1_37merge_sort_block_sort_config_selectorIlNS0_10empty_typeEEEZNS1_21merge_sort_block_sortIS3_PlS8_PS5_S9_ZN2at6native12_GLOBAL__N_124unique_dim_cuda_templateIhEESt5tupleIJNSA_6TensorESF_SF_EERKSF_lbbbEUlllE_EE10hipError_tT0_T1_T2_T3_mRjT4_P12ihipStream_tbNS1_7vsmem_tEEUlT_E_NS1_11comp_targetILNS1_3genE9ELNS1_11target_archE1100ELNS1_3gpuE3ELNS1_3repE0EEENS1_30default_config_static_selectorELNS0_4arch9wavefront6targetE1EEEvSM_,comdat
.Lfunc_end17:
	.size	_ZN7rocprim17ROCPRIM_400000_NS6detail17trampoline_kernelINS0_14default_configENS1_37merge_sort_block_sort_config_selectorIlNS0_10empty_typeEEEZNS1_21merge_sort_block_sortIS3_PlS8_PS5_S9_ZN2at6native12_GLOBAL__N_124unique_dim_cuda_templateIhEESt5tupleIJNSA_6TensorESF_SF_EERKSF_lbbbEUlllE_EE10hipError_tT0_T1_T2_T3_mRjT4_P12ihipStream_tbNS1_7vsmem_tEEUlT_E_NS1_11comp_targetILNS1_3genE9ELNS1_11target_archE1100ELNS1_3gpuE3ELNS1_3repE0EEENS1_30default_config_static_selectorELNS0_4arch9wavefront6targetE1EEEvSM_, .Lfunc_end17-_ZN7rocprim17ROCPRIM_400000_NS6detail17trampoline_kernelINS0_14default_configENS1_37merge_sort_block_sort_config_selectorIlNS0_10empty_typeEEEZNS1_21merge_sort_block_sortIS3_PlS8_PS5_S9_ZN2at6native12_GLOBAL__N_124unique_dim_cuda_templateIhEESt5tupleIJNSA_6TensorESF_SF_EERKSF_lbbbEUlllE_EE10hipError_tT0_T1_T2_T3_mRjT4_P12ihipStream_tbNS1_7vsmem_tEEUlT_E_NS1_11comp_targetILNS1_3genE9ELNS1_11target_archE1100ELNS1_3gpuE3ELNS1_3repE0EEENS1_30default_config_static_selectorELNS0_4arch9wavefront6targetE1EEEvSM_
                                        ; -- End function
	.section	.AMDGPU.csdata,"",@progbits
; Kernel info:
; codeLenInByte = 0
; NumSgprs: 6
; NumVgprs: 0
; NumAgprs: 0
; TotalNumVgprs: 0
; ScratchSize: 0
; MemoryBound: 0
; FloatMode: 240
; IeeeMode: 1
; LDSByteSize: 0 bytes/workgroup (compile time only)
; SGPRBlocks: 0
; VGPRBlocks: 0
; NumSGPRsForWavesPerEU: 6
; NumVGPRsForWavesPerEU: 1
; AccumOffset: 4
; Occupancy: 8
; WaveLimiterHint : 0
; COMPUTE_PGM_RSRC2:SCRATCH_EN: 0
; COMPUTE_PGM_RSRC2:USER_SGPR: 2
; COMPUTE_PGM_RSRC2:TRAP_HANDLER: 0
; COMPUTE_PGM_RSRC2:TGID_X_EN: 1
; COMPUTE_PGM_RSRC2:TGID_Y_EN: 0
; COMPUTE_PGM_RSRC2:TGID_Z_EN: 0
; COMPUTE_PGM_RSRC2:TIDIG_COMP_CNT: 0
; COMPUTE_PGM_RSRC3_GFX90A:ACCUM_OFFSET: 0
; COMPUTE_PGM_RSRC3_GFX90A:TG_SPLIT: 0
	.section	.text._ZN7rocprim17ROCPRIM_400000_NS6detail17trampoline_kernelINS0_14default_configENS1_37merge_sort_block_sort_config_selectorIlNS0_10empty_typeEEEZNS1_21merge_sort_block_sortIS3_PlS8_PS5_S9_ZN2at6native12_GLOBAL__N_124unique_dim_cuda_templateIhEESt5tupleIJNSA_6TensorESF_SF_EERKSF_lbbbEUlllE_EE10hipError_tT0_T1_T2_T3_mRjT4_P12ihipStream_tbNS1_7vsmem_tEEUlT_E_NS1_11comp_targetILNS1_3genE8ELNS1_11target_archE1030ELNS1_3gpuE2ELNS1_3repE0EEENS1_30default_config_static_selectorELNS0_4arch9wavefront6targetE1EEEvSM_,"axG",@progbits,_ZN7rocprim17ROCPRIM_400000_NS6detail17trampoline_kernelINS0_14default_configENS1_37merge_sort_block_sort_config_selectorIlNS0_10empty_typeEEEZNS1_21merge_sort_block_sortIS3_PlS8_PS5_S9_ZN2at6native12_GLOBAL__N_124unique_dim_cuda_templateIhEESt5tupleIJNSA_6TensorESF_SF_EERKSF_lbbbEUlllE_EE10hipError_tT0_T1_T2_T3_mRjT4_P12ihipStream_tbNS1_7vsmem_tEEUlT_E_NS1_11comp_targetILNS1_3genE8ELNS1_11target_archE1030ELNS1_3gpuE2ELNS1_3repE0EEENS1_30default_config_static_selectorELNS0_4arch9wavefront6targetE1EEEvSM_,comdat
	.globl	_ZN7rocprim17ROCPRIM_400000_NS6detail17trampoline_kernelINS0_14default_configENS1_37merge_sort_block_sort_config_selectorIlNS0_10empty_typeEEEZNS1_21merge_sort_block_sortIS3_PlS8_PS5_S9_ZN2at6native12_GLOBAL__N_124unique_dim_cuda_templateIhEESt5tupleIJNSA_6TensorESF_SF_EERKSF_lbbbEUlllE_EE10hipError_tT0_T1_T2_T3_mRjT4_P12ihipStream_tbNS1_7vsmem_tEEUlT_E_NS1_11comp_targetILNS1_3genE8ELNS1_11target_archE1030ELNS1_3gpuE2ELNS1_3repE0EEENS1_30default_config_static_selectorELNS0_4arch9wavefront6targetE1EEEvSM_ ; -- Begin function _ZN7rocprim17ROCPRIM_400000_NS6detail17trampoline_kernelINS0_14default_configENS1_37merge_sort_block_sort_config_selectorIlNS0_10empty_typeEEEZNS1_21merge_sort_block_sortIS3_PlS8_PS5_S9_ZN2at6native12_GLOBAL__N_124unique_dim_cuda_templateIhEESt5tupleIJNSA_6TensorESF_SF_EERKSF_lbbbEUlllE_EE10hipError_tT0_T1_T2_T3_mRjT4_P12ihipStream_tbNS1_7vsmem_tEEUlT_E_NS1_11comp_targetILNS1_3genE8ELNS1_11target_archE1030ELNS1_3gpuE2ELNS1_3repE0EEENS1_30default_config_static_selectorELNS0_4arch9wavefront6targetE1EEEvSM_
	.p2align	8
	.type	_ZN7rocprim17ROCPRIM_400000_NS6detail17trampoline_kernelINS0_14default_configENS1_37merge_sort_block_sort_config_selectorIlNS0_10empty_typeEEEZNS1_21merge_sort_block_sortIS3_PlS8_PS5_S9_ZN2at6native12_GLOBAL__N_124unique_dim_cuda_templateIhEESt5tupleIJNSA_6TensorESF_SF_EERKSF_lbbbEUlllE_EE10hipError_tT0_T1_T2_T3_mRjT4_P12ihipStream_tbNS1_7vsmem_tEEUlT_E_NS1_11comp_targetILNS1_3genE8ELNS1_11target_archE1030ELNS1_3gpuE2ELNS1_3repE0EEENS1_30default_config_static_selectorELNS0_4arch9wavefront6targetE1EEEvSM_,@function
_ZN7rocprim17ROCPRIM_400000_NS6detail17trampoline_kernelINS0_14default_configENS1_37merge_sort_block_sort_config_selectorIlNS0_10empty_typeEEEZNS1_21merge_sort_block_sortIS3_PlS8_PS5_S9_ZN2at6native12_GLOBAL__N_124unique_dim_cuda_templateIhEESt5tupleIJNSA_6TensorESF_SF_EERKSF_lbbbEUlllE_EE10hipError_tT0_T1_T2_T3_mRjT4_P12ihipStream_tbNS1_7vsmem_tEEUlT_E_NS1_11comp_targetILNS1_3genE8ELNS1_11target_archE1030ELNS1_3gpuE2ELNS1_3repE0EEENS1_30default_config_static_selectorELNS0_4arch9wavefront6targetE1EEEvSM_: ; @_ZN7rocprim17ROCPRIM_400000_NS6detail17trampoline_kernelINS0_14default_configENS1_37merge_sort_block_sort_config_selectorIlNS0_10empty_typeEEEZNS1_21merge_sort_block_sortIS3_PlS8_PS5_S9_ZN2at6native12_GLOBAL__N_124unique_dim_cuda_templateIhEESt5tupleIJNSA_6TensorESF_SF_EERKSF_lbbbEUlllE_EE10hipError_tT0_T1_T2_T3_mRjT4_P12ihipStream_tbNS1_7vsmem_tEEUlT_E_NS1_11comp_targetILNS1_3genE8ELNS1_11target_archE1030ELNS1_3gpuE2ELNS1_3repE0EEENS1_30default_config_static_selectorELNS0_4arch9wavefront6targetE1EEEvSM_
; %bb.0:
	.section	.rodata,"a",@progbits
	.p2align	6, 0x0
	.amdhsa_kernel _ZN7rocprim17ROCPRIM_400000_NS6detail17trampoline_kernelINS0_14default_configENS1_37merge_sort_block_sort_config_selectorIlNS0_10empty_typeEEEZNS1_21merge_sort_block_sortIS3_PlS8_PS5_S9_ZN2at6native12_GLOBAL__N_124unique_dim_cuda_templateIhEESt5tupleIJNSA_6TensorESF_SF_EERKSF_lbbbEUlllE_EE10hipError_tT0_T1_T2_T3_mRjT4_P12ihipStream_tbNS1_7vsmem_tEEUlT_E_NS1_11comp_targetILNS1_3genE8ELNS1_11target_archE1030ELNS1_3gpuE2ELNS1_3repE0EEENS1_30default_config_static_selectorELNS0_4arch9wavefront6targetE1EEEvSM_
		.amdhsa_group_segment_fixed_size 0
		.amdhsa_private_segment_fixed_size 0
		.amdhsa_kernarg_size 72
		.amdhsa_user_sgpr_count 2
		.amdhsa_user_sgpr_dispatch_ptr 0
		.amdhsa_user_sgpr_queue_ptr 0
		.amdhsa_user_sgpr_kernarg_segment_ptr 1
		.amdhsa_user_sgpr_dispatch_id 0
		.amdhsa_user_sgpr_kernarg_preload_length 0
		.amdhsa_user_sgpr_kernarg_preload_offset 0
		.amdhsa_user_sgpr_private_segment_size 0
		.amdhsa_uses_dynamic_stack 0
		.amdhsa_enable_private_segment 0
		.amdhsa_system_sgpr_workgroup_id_x 1
		.amdhsa_system_sgpr_workgroup_id_y 0
		.amdhsa_system_sgpr_workgroup_id_z 0
		.amdhsa_system_sgpr_workgroup_info 0
		.amdhsa_system_vgpr_workitem_id 0
		.amdhsa_next_free_vgpr 1
		.amdhsa_next_free_sgpr 0
		.amdhsa_accum_offset 4
		.amdhsa_reserve_vcc 0
		.amdhsa_float_round_mode_32 0
		.amdhsa_float_round_mode_16_64 0
		.amdhsa_float_denorm_mode_32 3
		.amdhsa_float_denorm_mode_16_64 3
		.amdhsa_dx10_clamp 1
		.amdhsa_ieee_mode 1
		.amdhsa_fp16_overflow 0
		.amdhsa_tg_split 0
		.amdhsa_exception_fp_ieee_invalid_op 0
		.amdhsa_exception_fp_denorm_src 0
		.amdhsa_exception_fp_ieee_div_zero 0
		.amdhsa_exception_fp_ieee_overflow 0
		.amdhsa_exception_fp_ieee_underflow 0
		.amdhsa_exception_fp_ieee_inexact 0
		.amdhsa_exception_int_div_zero 0
	.end_amdhsa_kernel
	.section	.text._ZN7rocprim17ROCPRIM_400000_NS6detail17trampoline_kernelINS0_14default_configENS1_37merge_sort_block_sort_config_selectorIlNS0_10empty_typeEEEZNS1_21merge_sort_block_sortIS3_PlS8_PS5_S9_ZN2at6native12_GLOBAL__N_124unique_dim_cuda_templateIhEESt5tupleIJNSA_6TensorESF_SF_EERKSF_lbbbEUlllE_EE10hipError_tT0_T1_T2_T3_mRjT4_P12ihipStream_tbNS1_7vsmem_tEEUlT_E_NS1_11comp_targetILNS1_3genE8ELNS1_11target_archE1030ELNS1_3gpuE2ELNS1_3repE0EEENS1_30default_config_static_selectorELNS0_4arch9wavefront6targetE1EEEvSM_,"axG",@progbits,_ZN7rocprim17ROCPRIM_400000_NS6detail17trampoline_kernelINS0_14default_configENS1_37merge_sort_block_sort_config_selectorIlNS0_10empty_typeEEEZNS1_21merge_sort_block_sortIS3_PlS8_PS5_S9_ZN2at6native12_GLOBAL__N_124unique_dim_cuda_templateIhEESt5tupleIJNSA_6TensorESF_SF_EERKSF_lbbbEUlllE_EE10hipError_tT0_T1_T2_T3_mRjT4_P12ihipStream_tbNS1_7vsmem_tEEUlT_E_NS1_11comp_targetILNS1_3genE8ELNS1_11target_archE1030ELNS1_3gpuE2ELNS1_3repE0EEENS1_30default_config_static_selectorELNS0_4arch9wavefront6targetE1EEEvSM_,comdat
.Lfunc_end18:
	.size	_ZN7rocprim17ROCPRIM_400000_NS6detail17trampoline_kernelINS0_14default_configENS1_37merge_sort_block_sort_config_selectorIlNS0_10empty_typeEEEZNS1_21merge_sort_block_sortIS3_PlS8_PS5_S9_ZN2at6native12_GLOBAL__N_124unique_dim_cuda_templateIhEESt5tupleIJNSA_6TensorESF_SF_EERKSF_lbbbEUlllE_EE10hipError_tT0_T1_T2_T3_mRjT4_P12ihipStream_tbNS1_7vsmem_tEEUlT_E_NS1_11comp_targetILNS1_3genE8ELNS1_11target_archE1030ELNS1_3gpuE2ELNS1_3repE0EEENS1_30default_config_static_selectorELNS0_4arch9wavefront6targetE1EEEvSM_, .Lfunc_end18-_ZN7rocprim17ROCPRIM_400000_NS6detail17trampoline_kernelINS0_14default_configENS1_37merge_sort_block_sort_config_selectorIlNS0_10empty_typeEEEZNS1_21merge_sort_block_sortIS3_PlS8_PS5_S9_ZN2at6native12_GLOBAL__N_124unique_dim_cuda_templateIhEESt5tupleIJNSA_6TensorESF_SF_EERKSF_lbbbEUlllE_EE10hipError_tT0_T1_T2_T3_mRjT4_P12ihipStream_tbNS1_7vsmem_tEEUlT_E_NS1_11comp_targetILNS1_3genE8ELNS1_11target_archE1030ELNS1_3gpuE2ELNS1_3repE0EEENS1_30default_config_static_selectorELNS0_4arch9wavefront6targetE1EEEvSM_
                                        ; -- End function
	.section	.AMDGPU.csdata,"",@progbits
; Kernel info:
; codeLenInByte = 0
; NumSgprs: 6
; NumVgprs: 0
; NumAgprs: 0
; TotalNumVgprs: 0
; ScratchSize: 0
; MemoryBound: 0
; FloatMode: 240
; IeeeMode: 1
; LDSByteSize: 0 bytes/workgroup (compile time only)
; SGPRBlocks: 0
; VGPRBlocks: 0
; NumSGPRsForWavesPerEU: 6
; NumVGPRsForWavesPerEU: 1
; AccumOffset: 4
; Occupancy: 8
; WaveLimiterHint : 0
; COMPUTE_PGM_RSRC2:SCRATCH_EN: 0
; COMPUTE_PGM_RSRC2:USER_SGPR: 2
; COMPUTE_PGM_RSRC2:TRAP_HANDLER: 0
; COMPUTE_PGM_RSRC2:TGID_X_EN: 1
; COMPUTE_PGM_RSRC2:TGID_Y_EN: 0
; COMPUTE_PGM_RSRC2:TGID_Z_EN: 0
; COMPUTE_PGM_RSRC2:TIDIG_COMP_CNT: 0
; COMPUTE_PGM_RSRC3_GFX90A:ACCUM_OFFSET: 0
; COMPUTE_PGM_RSRC3_GFX90A:TG_SPLIT: 0
	.section	.text._ZN7rocprim17ROCPRIM_400000_NS6detail17trampoline_kernelINS0_14default_configENS1_38merge_sort_block_merge_config_selectorIlNS0_10empty_typeEEEZZNS1_27merge_sort_block_merge_implIS3_PlPS5_mZN2at6native12_GLOBAL__N_124unique_dim_cuda_templateIhEESt5tupleIJNSA_6TensorESF_SF_EERKSF_lbbbEUlllE_EE10hipError_tT0_T1_T2_jT3_P12ihipStream_tbPNSt15iterator_traitsISL_E10value_typeEPNSR_ISM_E10value_typeEPSN_NS1_7vsmem_tEENKUlT_SL_SM_SN_E_clIS8_S8_S9_S9_EESK_S10_SL_SM_SN_EUlS10_E_NS1_11comp_targetILNS1_3genE0ELNS1_11target_archE4294967295ELNS1_3gpuE0ELNS1_3repE0EEENS1_48merge_mergepath_partition_config_static_selectorELNS0_4arch9wavefront6targetE1EEEvSM_,"axG",@progbits,_ZN7rocprim17ROCPRIM_400000_NS6detail17trampoline_kernelINS0_14default_configENS1_38merge_sort_block_merge_config_selectorIlNS0_10empty_typeEEEZZNS1_27merge_sort_block_merge_implIS3_PlPS5_mZN2at6native12_GLOBAL__N_124unique_dim_cuda_templateIhEESt5tupleIJNSA_6TensorESF_SF_EERKSF_lbbbEUlllE_EE10hipError_tT0_T1_T2_jT3_P12ihipStream_tbPNSt15iterator_traitsISL_E10value_typeEPNSR_ISM_E10value_typeEPSN_NS1_7vsmem_tEENKUlT_SL_SM_SN_E_clIS8_S8_S9_S9_EESK_S10_SL_SM_SN_EUlS10_E_NS1_11comp_targetILNS1_3genE0ELNS1_11target_archE4294967295ELNS1_3gpuE0ELNS1_3repE0EEENS1_48merge_mergepath_partition_config_static_selectorELNS0_4arch9wavefront6targetE1EEEvSM_,comdat
	.globl	_ZN7rocprim17ROCPRIM_400000_NS6detail17trampoline_kernelINS0_14default_configENS1_38merge_sort_block_merge_config_selectorIlNS0_10empty_typeEEEZZNS1_27merge_sort_block_merge_implIS3_PlPS5_mZN2at6native12_GLOBAL__N_124unique_dim_cuda_templateIhEESt5tupleIJNSA_6TensorESF_SF_EERKSF_lbbbEUlllE_EE10hipError_tT0_T1_T2_jT3_P12ihipStream_tbPNSt15iterator_traitsISL_E10value_typeEPNSR_ISM_E10value_typeEPSN_NS1_7vsmem_tEENKUlT_SL_SM_SN_E_clIS8_S8_S9_S9_EESK_S10_SL_SM_SN_EUlS10_E_NS1_11comp_targetILNS1_3genE0ELNS1_11target_archE4294967295ELNS1_3gpuE0ELNS1_3repE0EEENS1_48merge_mergepath_partition_config_static_selectorELNS0_4arch9wavefront6targetE1EEEvSM_ ; -- Begin function _ZN7rocprim17ROCPRIM_400000_NS6detail17trampoline_kernelINS0_14default_configENS1_38merge_sort_block_merge_config_selectorIlNS0_10empty_typeEEEZZNS1_27merge_sort_block_merge_implIS3_PlPS5_mZN2at6native12_GLOBAL__N_124unique_dim_cuda_templateIhEESt5tupleIJNSA_6TensorESF_SF_EERKSF_lbbbEUlllE_EE10hipError_tT0_T1_T2_jT3_P12ihipStream_tbPNSt15iterator_traitsISL_E10value_typeEPNSR_ISM_E10value_typeEPSN_NS1_7vsmem_tEENKUlT_SL_SM_SN_E_clIS8_S8_S9_S9_EESK_S10_SL_SM_SN_EUlS10_E_NS1_11comp_targetILNS1_3genE0ELNS1_11target_archE4294967295ELNS1_3gpuE0ELNS1_3repE0EEENS1_48merge_mergepath_partition_config_static_selectorELNS0_4arch9wavefront6targetE1EEEvSM_
	.p2align	8
	.type	_ZN7rocprim17ROCPRIM_400000_NS6detail17trampoline_kernelINS0_14default_configENS1_38merge_sort_block_merge_config_selectorIlNS0_10empty_typeEEEZZNS1_27merge_sort_block_merge_implIS3_PlPS5_mZN2at6native12_GLOBAL__N_124unique_dim_cuda_templateIhEESt5tupleIJNSA_6TensorESF_SF_EERKSF_lbbbEUlllE_EE10hipError_tT0_T1_T2_jT3_P12ihipStream_tbPNSt15iterator_traitsISL_E10value_typeEPNSR_ISM_E10value_typeEPSN_NS1_7vsmem_tEENKUlT_SL_SM_SN_E_clIS8_S8_S9_S9_EESK_S10_SL_SM_SN_EUlS10_E_NS1_11comp_targetILNS1_3genE0ELNS1_11target_archE4294967295ELNS1_3gpuE0ELNS1_3repE0EEENS1_48merge_mergepath_partition_config_static_selectorELNS0_4arch9wavefront6targetE1EEEvSM_,@function
_ZN7rocprim17ROCPRIM_400000_NS6detail17trampoline_kernelINS0_14default_configENS1_38merge_sort_block_merge_config_selectorIlNS0_10empty_typeEEEZZNS1_27merge_sort_block_merge_implIS3_PlPS5_mZN2at6native12_GLOBAL__N_124unique_dim_cuda_templateIhEESt5tupleIJNSA_6TensorESF_SF_EERKSF_lbbbEUlllE_EE10hipError_tT0_T1_T2_jT3_P12ihipStream_tbPNSt15iterator_traitsISL_E10value_typeEPNSR_ISM_E10value_typeEPSN_NS1_7vsmem_tEENKUlT_SL_SM_SN_E_clIS8_S8_S9_S9_EESK_S10_SL_SM_SN_EUlS10_E_NS1_11comp_targetILNS1_3genE0ELNS1_11target_archE4294967295ELNS1_3gpuE0ELNS1_3repE0EEENS1_48merge_mergepath_partition_config_static_selectorELNS0_4arch9wavefront6targetE1EEEvSM_: ; @_ZN7rocprim17ROCPRIM_400000_NS6detail17trampoline_kernelINS0_14default_configENS1_38merge_sort_block_merge_config_selectorIlNS0_10empty_typeEEEZZNS1_27merge_sort_block_merge_implIS3_PlPS5_mZN2at6native12_GLOBAL__N_124unique_dim_cuda_templateIhEESt5tupleIJNSA_6TensorESF_SF_EERKSF_lbbbEUlllE_EE10hipError_tT0_T1_T2_jT3_P12ihipStream_tbPNSt15iterator_traitsISL_E10value_typeEPNSR_ISM_E10value_typeEPSN_NS1_7vsmem_tEENKUlT_SL_SM_SN_E_clIS8_S8_S9_S9_EESK_S10_SL_SM_SN_EUlS10_E_NS1_11comp_targetILNS1_3genE0ELNS1_11target_archE4294967295ELNS1_3gpuE0ELNS1_3repE0EEENS1_48merge_mergepath_partition_config_static_selectorELNS0_4arch9wavefront6targetE1EEEvSM_
; %bb.0:
	.section	.rodata,"a",@progbits
	.p2align	6, 0x0
	.amdhsa_kernel _ZN7rocprim17ROCPRIM_400000_NS6detail17trampoline_kernelINS0_14default_configENS1_38merge_sort_block_merge_config_selectorIlNS0_10empty_typeEEEZZNS1_27merge_sort_block_merge_implIS3_PlPS5_mZN2at6native12_GLOBAL__N_124unique_dim_cuda_templateIhEESt5tupleIJNSA_6TensorESF_SF_EERKSF_lbbbEUlllE_EE10hipError_tT0_T1_T2_jT3_P12ihipStream_tbPNSt15iterator_traitsISL_E10value_typeEPNSR_ISM_E10value_typeEPSN_NS1_7vsmem_tEENKUlT_SL_SM_SN_E_clIS8_S8_S9_S9_EESK_S10_SL_SM_SN_EUlS10_E_NS1_11comp_targetILNS1_3genE0ELNS1_11target_archE4294967295ELNS1_3gpuE0ELNS1_3repE0EEENS1_48merge_mergepath_partition_config_static_selectorELNS0_4arch9wavefront6targetE1EEEvSM_
		.amdhsa_group_segment_fixed_size 0
		.amdhsa_private_segment_fixed_size 0
		.amdhsa_kernarg_size 56
		.amdhsa_user_sgpr_count 2
		.amdhsa_user_sgpr_dispatch_ptr 0
		.amdhsa_user_sgpr_queue_ptr 0
		.amdhsa_user_sgpr_kernarg_segment_ptr 1
		.amdhsa_user_sgpr_dispatch_id 0
		.amdhsa_user_sgpr_kernarg_preload_length 0
		.amdhsa_user_sgpr_kernarg_preload_offset 0
		.amdhsa_user_sgpr_private_segment_size 0
		.amdhsa_uses_dynamic_stack 0
		.amdhsa_enable_private_segment 0
		.amdhsa_system_sgpr_workgroup_id_x 1
		.amdhsa_system_sgpr_workgroup_id_y 0
		.amdhsa_system_sgpr_workgroup_id_z 0
		.amdhsa_system_sgpr_workgroup_info 0
		.amdhsa_system_vgpr_workitem_id 0
		.amdhsa_next_free_vgpr 1
		.amdhsa_next_free_sgpr 0
		.amdhsa_accum_offset 4
		.amdhsa_reserve_vcc 0
		.amdhsa_float_round_mode_32 0
		.amdhsa_float_round_mode_16_64 0
		.amdhsa_float_denorm_mode_32 3
		.amdhsa_float_denorm_mode_16_64 3
		.amdhsa_dx10_clamp 1
		.amdhsa_ieee_mode 1
		.amdhsa_fp16_overflow 0
		.amdhsa_tg_split 0
		.amdhsa_exception_fp_ieee_invalid_op 0
		.amdhsa_exception_fp_denorm_src 0
		.amdhsa_exception_fp_ieee_div_zero 0
		.amdhsa_exception_fp_ieee_overflow 0
		.amdhsa_exception_fp_ieee_underflow 0
		.amdhsa_exception_fp_ieee_inexact 0
		.amdhsa_exception_int_div_zero 0
	.end_amdhsa_kernel
	.section	.text._ZN7rocprim17ROCPRIM_400000_NS6detail17trampoline_kernelINS0_14default_configENS1_38merge_sort_block_merge_config_selectorIlNS0_10empty_typeEEEZZNS1_27merge_sort_block_merge_implIS3_PlPS5_mZN2at6native12_GLOBAL__N_124unique_dim_cuda_templateIhEESt5tupleIJNSA_6TensorESF_SF_EERKSF_lbbbEUlllE_EE10hipError_tT0_T1_T2_jT3_P12ihipStream_tbPNSt15iterator_traitsISL_E10value_typeEPNSR_ISM_E10value_typeEPSN_NS1_7vsmem_tEENKUlT_SL_SM_SN_E_clIS8_S8_S9_S9_EESK_S10_SL_SM_SN_EUlS10_E_NS1_11comp_targetILNS1_3genE0ELNS1_11target_archE4294967295ELNS1_3gpuE0ELNS1_3repE0EEENS1_48merge_mergepath_partition_config_static_selectorELNS0_4arch9wavefront6targetE1EEEvSM_,"axG",@progbits,_ZN7rocprim17ROCPRIM_400000_NS6detail17trampoline_kernelINS0_14default_configENS1_38merge_sort_block_merge_config_selectorIlNS0_10empty_typeEEEZZNS1_27merge_sort_block_merge_implIS3_PlPS5_mZN2at6native12_GLOBAL__N_124unique_dim_cuda_templateIhEESt5tupleIJNSA_6TensorESF_SF_EERKSF_lbbbEUlllE_EE10hipError_tT0_T1_T2_jT3_P12ihipStream_tbPNSt15iterator_traitsISL_E10value_typeEPNSR_ISM_E10value_typeEPSN_NS1_7vsmem_tEENKUlT_SL_SM_SN_E_clIS8_S8_S9_S9_EESK_S10_SL_SM_SN_EUlS10_E_NS1_11comp_targetILNS1_3genE0ELNS1_11target_archE4294967295ELNS1_3gpuE0ELNS1_3repE0EEENS1_48merge_mergepath_partition_config_static_selectorELNS0_4arch9wavefront6targetE1EEEvSM_,comdat
.Lfunc_end19:
	.size	_ZN7rocprim17ROCPRIM_400000_NS6detail17trampoline_kernelINS0_14default_configENS1_38merge_sort_block_merge_config_selectorIlNS0_10empty_typeEEEZZNS1_27merge_sort_block_merge_implIS3_PlPS5_mZN2at6native12_GLOBAL__N_124unique_dim_cuda_templateIhEESt5tupleIJNSA_6TensorESF_SF_EERKSF_lbbbEUlllE_EE10hipError_tT0_T1_T2_jT3_P12ihipStream_tbPNSt15iterator_traitsISL_E10value_typeEPNSR_ISM_E10value_typeEPSN_NS1_7vsmem_tEENKUlT_SL_SM_SN_E_clIS8_S8_S9_S9_EESK_S10_SL_SM_SN_EUlS10_E_NS1_11comp_targetILNS1_3genE0ELNS1_11target_archE4294967295ELNS1_3gpuE0ELNS1_3repE0EEENS1_48merge_mergepath_partition_config_static_selectorELNS0_4arch9wavefront6targetE1EEEvSM_, .Lfunc_end19-_ZN7rocprim17ROCPRIM_400000_NS6detail17trampoline_kernelINS0_14default_configENS1_38merge_sort_block_merge_config_selectorIlNS0_10empty_typeEEEZZNS1_27merge_sort_block_merge_implIS3_PlPS5_mZN2at6native12_GLOBAL__N_124unique_dim_cuda_templateIhEESt5tupleIJNSA_6TensorESF_SF_EERKSF_lbbbEUlllE_EE10hipError_tT0_T1_T2_jT3_P12ihipStream_tbPNSt15iterator_traitsISL_E10value_typeEPNSR_ISM_E10value_typeEPSN_NS1_7vsmem_tEENKUlT_SL_SM_SN_E_clIS8_S8_S9_S9_EESK_S10_SL_SM_SN_EUlS10_E_NS1_11comp_targetILNS1_3genE0ELNS1_11target_archE4294967295ELNS1_3gpuE0ELNS1_3repE0EEENS1_48merge_mergepath_partition_config_static_selectorELNS0_4arch9wavefront6targetE1EEEvSM_
                                        ; -- End function
	.section	.AMDGPU.csdata,"",@progbits
; Kernel info:
; codeLenInByte = 0
; NumSgprs: 6
; NumVgprs: 0
; NumAgprs: 0
; TotalNumVgprs: 0
; ScratchSize: 0
; MemoryBound: 0
; FloatMode: 240
; IeeeMode: 1
; LDSByteSize: 0 bytes/workgroup (compile time only)
; SGPRBlocks: 0
; VGPRBlocks: 0
; NumSGPRsForWavesPerEU: 6
; NumVGPRsForWavesPerEU: 1
; AccumOffset: 4
; Occupancy: 8
; WaveLimiterHint : 0
; COMPUTE_PGM_RSRC2:SCRATCH_EN: 0
; COMPUTE_PGM_RSRC2:USER_SGPR: 2
; COMPUTE_PGM_RSRC2:TRAP_HANDLER: 0
; COMPUTE_PGM_RSRC2:TGID_X_EN: 1
; COMPUTE_PGM_RSRC2:TGID_Y_EN: 0
; COMPUTE_PGM_RSRC2:TGID_Z_EN: 0
; COMPUTE_PGM_RSRC2:TIDIG_COMP_CNT: 0
; COMPUTE_PGM_RSRC3_GFX90A:ACCUM_OFFSET: 0
; COMPUTE_PGM_RSRC3_GFX90A:TG_SPLIT: 0
	.section	.text._ZN7rocprim17ROCPRIM_400000_NS6detail17trampoline_kernelINS0_14default_configENS1_38merge_sort_block_merge_config_selectorIlNS0_10empty_typeEEEZZNS1_27merge_sort_block_merge_implIS3_PlPS5_mZN2at6native12_GLOBAL__N_124unique_dim_cuda_templateIhEESt5tupleIJNSA_6TensorESF_SF_EERKSF_lbbbEUlllE_EE10hipError_tT0_T1_T2_jT3_P12ihipStream_tbPNSt15iterator_traitsISL_E10value_typeEPNSR_ISM_E10value_typeEPSN_NS1_7vsmem_tEENKUlT_SL_SM_SN_E_clIS8_S8_S9_S9_EESK_S10_SL_SM_SN_EUlS10_E_NS1_11comp_targetILNS1_3genE10ELNS1_11target_archE1201ELNS1_3gpuE5ELNS1_3repE0EEENS1_48merge_mergepath_partition_config_static_selectorELNS0_4arch9wavefront6targetE1EEEvSM_,"axG",@progbits,_ZN7rocprim17ROCPRIM_400000_NS6detail17trampoline_kernelINS0_14default_configENS1_38merge_sort_block_merge_config_selectorIlNS0_10empty_typeEEEZZNS1_27merge_sort_block_merge_implIS3_PlPS5_mZN2at6native12_GLOBAL__N_124unique_dim_cuda_templateIhEESt5tupleIJNSA_6TensorESF_SF_EERKSF_lbbbEUlllE_EE10hipError_tT0_T1_T2_jT3_P12ihipStream_tbPNSt15iterator_traitsISL_E10value_typeEPNSR_ISM_E10value_typeEPSN_NS1_7vsmem_tEENKUlT_SL_SM_SN_E_clIS8_S8_S9_S9_EESK_S10_SL_SM_SN_EUlS10_E_NS1_11comp_targetILNS1_3genE10ELNS1_11target_archE1201ELNS1_3gpuE5ELNS1_3repE0EEENS1_48merge_mergepath_partition_config_static_selectorELNS0_4arch9wavefront6targetE1EEEvSM_,comdat
	.globl	_ZN7rocprim17ROCPRIM_400000_NS6detail17trampoline_kernelINS0_14default_configENS1_38merge_sort_block_merge_config_selectorIlNS0_10empty_typeEEEZZNS1_27merge_sort_block_merge_implIS3_PlPS5_mZN2at6native12_GLOBAL__N_124unique_dim_cuda_templateIhEESt5tupleIJNSA_6TensorESF_SF_EERKSF_lbbbEUlllE_EE10hipError_tT0_T1_T2_jT3_P12ihipStream_tbPNSt15iterator_traitsISL_E10value_typeEPNSR_ISM_E10value_typeEPSN_NS1_7vsmem_tEENKUlT_SL_SM_SN_E_clIS8_S8_S9_S9_EESK_S10_SL_SM_SN_EUlS10_E_NS1_11comp_targetILNS1_3genE10ELNS1_11target_archE1201ELNS1_3gpuE5ELNS1_3repE0EEENS1_48merge_mergepath_partition_config_static_selectorELNS0_4arch9wavefront6targetE1EEEvSM_ ; -- Begin function _ZN7rocprim17ROCPRIM_400000_NS6detail17trampoline_kernelINS0_14default_configENS1_38merge_sort_block_merge_config_selectorIlNS0_10empty_typeEEEZZNS1_27merge_sort_block_merge_implIS3_PlPS5_mZN2at6native12_GLOBAL__N_124unique_dim_cuda_templateIhEESt5tupleIJNSA_6TensorESF_SF_EERKSF_lbbbEUlllE_EE10hipError_tT0_T1_T2_jT3_P12ihipStream_tbPNSt15iterator_traitsISL_E10value_typeEPNSR_ISM_E10value_typeEPSN_NS1_7vsmem_tEENKUlT_SL_SM_SN_E_clIS8_S8_S9_S9_EESK_S10_SL_SM_SN_EUlS10_E_NS1_11comp_targetILNS1_3genE10ELNS1_11target_archE1201ELNS1_3gpuE5ELNS1_3repE0EEENS1_48merge_mergepath_partition_config_static_selectorELNS0_4arch9wavefront6targetE1EEEvSM_
	.p2align	8
	.type	_ZN7rocprim17ROCPRIM_400000_NS6detail17trampoline_kernelINS0_14default_configENS1_38merge_sort_block_merge_config_selectorIlNS0_10empty_typeEEEZZNS1_27merge_sort_block_merge_implIS3_PlPS5_mZN2at6native12_GLOBAL__N_124unique_dim_cuda_templateIhEESt5tupleIJNSA_6TensorESF_SF_EERKSF_lbbbEUlllE_EE10hipError_tT0_T1_T2_jT3_P12ihipStream_tbPNSt15iterator_traitsISL_E10value_typeEPNSR_ISM_E10value_typeEPSN_NS1_7vsmem_tEENKUlT_SL_SM_SN_E_clIS8_S8_S9_S9_EESK_S10_SL_SM_SN_EUlS10_E_NS1_11comp_targetILNS1_3genE10ELNS1_11target_archE1201ELNS1_3gpuE5ELNS1_3repE0EEENS1_48merge_mergepath_partition_config_static_selectorELNS0_4arch9wavefront6targetE1EEEvSM_,@function
_ZN7rocprim17ROCPRIM_400000_NS6detail17trampoline_kernelINS0_14default_configENS1_38merge_sort_block_merge_config_selectorIlNS0_10empty_typeEEEZZNS1_27merge_sort_block_merge_implIS3_PlPS5_mZN2at6native12_GLOBAL__N_124unique_dim_cuda_templateIhEESt5tupleIJNSA_6TensorESF_SF_EERKSF_lbbbEUlllE_EE10hipError_tT0_T1_T2_jT3_P12ihipStream_tbPNSt15iterator_traitsISL_E10value_typeEPNSR_ISM_E10value_typeEPSN_NS1_7vsmem_tEENKUlT_SL_SM_SN_E_clIS8_S8_S9_S9_EESK_S10_SL_SM_SN_EUlS10_E_NS1_11comp_targetILNS1_3genE10ELNS1_11target_archE1201ELNS1_3gpuE5ELNS1_3repE0EEENS1_48merge_mergepath_partition_config_static_selectorELNS0_4arch9wavefront6targetE1EEEvSM_: ; @_ZN7rocprim17ROCPRIM_400000_NS6detail17trampoline_kernelINS0_14default_configENS1_38merge_sort_block_merge_config_selectorIlNS0_10empty_typeEEEZZNS1_27merge_sort_block_merge_implIS3_PlPS5_mZN2at6native12_GLOBAL__N_124unique_dim_cuda_templateIhEESt5tupleIJNSA_6TensorESF_SF_EERKSF_lbbbEUlllE_EE10hipError_tT0_T1_T2_jT3_P12ihipStream_tbPNSt15iterator_traitsISL_E10value_typeEPNSR_ISM_E10value_typeEPSN_NS1_7vsmem_tEENKUlT_SL_SM_SN_E_clIS8_S8_S9_S9_EESK_S10_SL_SM_SN_EUlS10_E_NS1_11comp_targetILNS1_3genE10ELNS1_11target_archE1201ELNS1_3gpuE5ELNS1_3repE0EEENS1_48merge_mergepath_partition_config_static_selectorELNS0_4arch9wavefront6targetE1EEEvSM_
; %bb.0:
	.section	.rodata,"a",@progbits
	.p2align	6, 0x0
	.amdhsa_kernel _ZN7rocprim17ROCPRIM_400000_NS6detail17trampoline_kernelINS0_14default_configENS1_38merge_sort_block_merge_config_selectorIlNS0_10empty_typeEEEZZNS1_27merge_sort_block_merge_implIS3_PlPS5_mZN2at6native12_GLOBAL__N_124unique_dim_cuda_templateIhEESt5tupleIJNSA_6TensorESF_SF_EERKSF_lbbbEUlllE_EE10hipError_tT0_T1_T2_jT3_P12ihipStream_tbPNSt15iterator_traitsISL_E10value_typeEPNSR_ISM_E10value_typeEPSN_NS1_7vsmem_tEENKUlT_SL_SM_SN_E_clIS8_S8_S9_S9_EESK_S10_SL_SM_SN_EUlS10_E_NS1_11comp_targetILNS1_3genE10ELNS1_11target_archE1201ELNS1_3gpuE5ELNS1_3repE0EEENS1_48merge_mergepath_partition_config_static_selectorELNS0_4arch9wavefront6targetE1EEEvSM_
		.amdhsa_group_segment_fixed_size 0
		.amdhsa_private_segment_fixed_size 0
		.amdhsa_kernarg_size 56
		.amdhsa_user_sgpr_count 2
		.amdhsa_user_sgpr_dispatch_ptr 0
		.amdhsa_user_sgpr_queue_ptr 0
		.amdhsa_user_sgpr_kernarg_segment_ptr 1
		.amdhsa_user_sgpr_dispatch_id 0
		.amdhsa_user_sgpr_kernarg_preload_length 0
		.amdhsa_user_sgpr_kernarg_preload_offset 0
		.amdhsa_user_sgpr_private_segment_size 0
		.amdhsa_uses_dynamic_stack 0
		.amdhsa_enable_private_segment 0
		.amdhsa_system_sgpr_workgroup_id_x 1
		.amdhsa_system_sgpr_workgroup_id_y 0
		.amdhsa_system_sgpr_workgroup_id_z 0
		.amdhsa_system_sgpr_workgroup_info 0
		.amdhsa_system_vgpr_workitem_id 0
		.amdhsa_next_free_vgpr 1
		.amdhsa_next_free_sgpr 0
		.amdhsa_accum_offset 4
		.amdhsa_reserve_vcc 0
		.amdhsa_float_round_mode_32 0
		.amdhsa_float_round_mode_16_64 0
		.amdhsa_float_denorm_mode_32 3
		.amdhsa_float_denorm_mode_16_64 3
		.amdhsa_dx10_clamp 1
		.amdhsa_ieee_mode 1
		.amdhsa_fp16_overflow 0
		.amdhsa_tg_split 0
		.amdhsa_exception_fp_ieee_invalid_op 0
		.amdhsa_exception_fp_denorm_src 0
		.amdhsa_exception_fp_ieee_div_zero 0
		.amdhsa_exception_fp_ieee_overflow 0
		.amdhsa_exception_fp_ieee_underflow 0
		.amdhsa_exception_fp_ieee_inexact 0
		.amdhsa_exception_int_div_zero 0
	.end_amdhsa_kernel
	.section	.text._ZN7rocprim17ROCPRIM_400000_NS6detail17trampoline_kernelINS0_14default_configENS1_38merge_sort_block_merge_config_selectorIlNS0_10empty_typeEEEZZNS1_27merge_sort_block_merge_implIS3_PlPS5_mZN2at6native12_GLOBAL__N_124unique_dim_cuda_templateIhEESt5tupleIJNSA_6TensorESF_SF_EERKSF_lbbbEUlllE_EE10hipError_tT0_T1_T2_jT3_P12ihipStream_tbPNSt15iterator_traitsISL_E10value_typeEPNSR_ISM_E10value_typeEPSN_NS1_7vsmem_tEENKUlT_SL_SM_SN_E_clIS8_S8_S9_S9_EESK_S10_SL_SM_SN_EUlS10_E_NS1_11comp_targetILNS1_3genE10ELNS1_11target_archE1201ELNS1_3gpuE5ELNS1_3repE0EEENS1_48merge_mergepath_partition_config_static_selectorELNS0_4arch9wavefront6targetE1EEEvSM_,"axG",@progbits,_ZN7rocprim17ROCPRIM_400000_NS6detail17trampoline_kernelINS0_14default_configENS1_38merge_sort_block_merge_config_selectorIlNS0_10empty_typeEEEZZNS1_27merge_sort_block_merge_implIS3_PlPS5_mZN2at6native12_GLOBAL__N_124unique_dim_cuda_templateIhEESt5tupleIJNSA_6TensorESF_SF_EERKSF_lbbbEUlllE_EE10hipError_tT0_T1_T2_jT3_P12ihipStream_tbPNSt15iterator_traitsISL_E10value_typeEPNSR_ISM_E10value_typeEPSN_NS1_7vsmem_tEENKUlT_SL_SM_SN_E_clIS8_S8_S9_S9_EESK_S10_SL_SM_SN_EUlS10_E_NS1_11comp_targetILNS1_3genE10ELNS1_11target_archE1201ELNS1_3gpuE5ELNS1_3repE0EEENS1_48merge_mergepath_partition_config_static_selectorELNS0_4arch9wavefront6targetE1EEEvSM_,comdat
.Lfunc_end20:
	.size	_ZN7rocprim17ROCPRIM_400000_NS6detail17trampoline_kernelINS0_14default_configENS1_38merge_sort_block_merge_config_selectorIlNS0_10empty_typeEEEZZNS1_27merge_sort_block_merge_implIS3_PlPS5_mZN2at6native12_GLOBAL__N_124unique_dim_cuda_templateIhEESt5tupleIJNSA_6TensorESF_SF_EERKSF_lbbbEUlllE_EE10hipError_tT0_T1_T2_jT3_P12ihipStream_tbPNSt15iterator_traitsISL_E10value_typeEPNSR_ISM_E10value_typeEPSN_NS1_7vsmem_tEENKUlT_SL_SM_SN_E_clIS8_S8_S9_S9_EESK_S10_SL_SM_SN_EUlS10_E_NS1_11comp_targetILNS1_3genE10ELNS1_11target_archE1201ELNS1_3gpuE5ELNS1_3repE0EEENS1_48merge_mergepath_partition_config_static_selectorELNS0_4arch9wavefront6targetE1EEEvSM_, .Lfunc_end20-_ZN7rocprim17ROCPRIM_400000_NS6detail17trampoline_kernelINS0_14default_configENS1_38merge_sort_block_merge_config_selectorIlNS0_10empty_typeEEEZZNS1_27merge_sort_block_merge_implIS3_PlPS5_mZN2at6native12_GLOBAL__N_124unique_dim_cuda_templateIhEESt5tupleIJNSA_6TensorESF_SF_EERKSF_lbbbEUlllE_EE10hipError_tT0_T1_T2_jT3_P12ihipStream_tbPNSt15iterator_traitsISL_E10value_typeEPNSR_ISM_E10value_typeEPSN_NS1_7vsmem_tEENKUlT_SL_SM_SN_E_clIS8_S8_S9_S9_EESK_S10_SL_SM_SN_EUlS10_E_NS1_11comp_targetILNS1_3genE10ELNS1_11target_archE1201ELNS1_3gpuE5ELNS1_3repE0EEENS1_48merge_mergepath_partition_config_static_selectorELNS0_4arch9wavefront6targetE1EEEvSM_
                                        ; -- End function
	.section	.AMDGPU.csdata,"",@progbits
; Kernel info:
; codeLenInByte = 0
; NumSgprs: 6
; NumVgprs: 0
; NumAgprs: 0
; TotalNumVgprs: 0
; ScratchSize: 0
; MemoryBound: 0
; FloatMode: 240
; IeeeMode: 1
; LDSByteSize: 0 bytes/workgroup (compile time only)
; SGPRBlocks: 0
; VGPRBlocks: 0
; NumSGPRsForWavesPerEU: 6
; NumVGPRsForWavesPerEU: 1
; AccumOffset: 4
; Occupancy: 8
; WaveLimiterHint : 0
; COMPUTE_PGM_RSRC2:SCRATCH_EN: 0
; COMPUTE_PGM_RSRC2:USER_SGPR: 2
; COMPUTE_PGM_RSRC2:TRAP_HANDLER: 0
; COMPUTE_PGM_RSRC2:TGID_X_EN: 1
; COMPUTE_PGM_RSRC2:TGID_Y_EN: 0
; COMPUTE_PGM_RSRC2:TGID_Z_EN: 0
; COMPUTE_PGM_RSRC2:TIDIG_COMP_CNT: 0
; COMPUTE_PGM_RSRC3_GFX90A:ACCUM_OFFSET: 0
; COMPUTE_PGM_RSRC3_GFX90A:TG_SPLIT: 0
	.section	.text._ZN7rocprim17ROCPRIM_400000_NS6detail17trampoline_kernelINS0_14default_configENS1_38merge_sort_block_merge_config_selectorIlNS0_10empty_typeEEEZZNS1_27merge_sort_block_merge_implIS3_PlPS5_mZN2at6native12_GLOBAL__N_124unique_dim_cuda_templateIhEESt5tupleIJNSA_6TensorESF_SF_EERKSF_lbbbEUlllE_EE10hipError_tT0_T1_T2_jT3_P12ihipStream_tbPNSt15iterator_traitsISL_E10value_typeEPNSR_ISM_E10value_typeEPSN_NS1_7vsmem_tEENKUlT_SL_SM_SN_E_clIS8_S8_S9_S9_EESK_S10_SL_SM_SN_EUlS10_E_NS1_11comp_targetILNS1_3genE5ELNS1_11target_archE942ELNS1_3gpuE9ELNS1_3repE0EEENS1_48merge_mergepath_partition_config_static_selectorELNS0_4arch9wavefront6targetE1EEEvSM_,"axG",@progbits,_ZN7rocprim17ROCPRIM_400000_NS6detail17trampoline_kernelINS0_14default_configENS1_38merge_sort_block_merge_config_selectorIlNS0_10empty_typeEEEZZNS1_27merge_sort_block_merge_implIS3_PlPS5_mZN2at6native12_GLOBAL__N_124unique_dim_cuda_templateIhEESt5tupleIJNSA_6TensorESF_SF_EERKSF_lbbbEUlllE_EE10hipError_tT0_T1_T2_jT3_P12ihipStream_tbPNSt15iterator_traitsISL_E10value_typeEPNSR_ISM_E10value_typeEPSN_NS1_7vsmem_tEENKUlT_SL_SM_SN_E_clIS8_S8_S9_S9_EESK_S10_SL_SM_SN_EUlS10_E_NS1_11comp_targetILNS1_3genE5ELNS1_11target_archE942ELNS1_3gpuE9ELNS1_3repE0EEENS1_48merge_mergepath_partition_config_static_selectorELNS0_4arch9wavefront6targetE1EEEvSM_,comdat
	.globl	_ZN7rocprim17ROCPRIM_400000_NS6detail17trampoline_kernelINS0_14default_configENS1_38merge_sort_block_merge_config_selectorIlNS0_10empty_typeEEEZZNS1_27merge_sort_block_merge_implIS3_PlPS5_mZN2at6native12_GLOBAL__N_124unique_dim_cuda_templateIhEESt5tupleIJNSA_6TensorESF_SF_EERKSF_lbbbEUlllE_EE10hipError_tT0_T1_T2_jT3_P12ihipStream_tbPNSt15iterator_traitsISL_E10value_typeEPNSR_ISM_E10value_typeEPSN_NS1_7vsmem_tEENKUlT_SL_SM_SN_E_clIS8_S8_S9_S9_EESK_S10_SL_SM_SN_EUlS10_E_NS1_11comp_targetILNS1_3genE5ELNS1_11target_archE942ELNS1_3gpuE9ELNS1_3repE0EEENS1_48merge_mergepath_partition_config_static_selectorELNS0_4arch9wavefront6targetE1EEEvSM_ ; -- Begin function _ZN7rocprim17ROCPRIM_400000_NS6detail17trampoline_kernelINS0_14default_configENS1_38merge_sort_block_merge_config_selectorIlNS0_10empty_typeEEEZZNS1_27merge_sort_block_merge_implIS3_PlPS5_mZN2at6native12_GLOBAL__N_124unique_dim_cuda_templateIhEESt5tupleIJNSA_6TensorESF_SF_EERKSF_lbbbEUlllE_EE10hipError_tT0_T1_T2_jT3_P12ihipStream_tbPNSt15iterator_traitsISL_E10value_typeEPNSR_ISM_E10value_typeEPSN_NS1_7vsmem_tEENKUlT_SL_SM_SN_E_clIS8_S8_S9_S9_EESK_S10_SL_SM_SN_EUlS10_E_NS1_11comp_targetILNS1_3genE5ELNS1_11target_archE942ELNS1_3gpuE9ELNS1_3repE0EEENS1_48merge_mergepath_partition_config_static_selectorELNS0_4arch9wavefront6targetE1EEEvSM_
	.p2align	8
	.type	_ZN7rocprim17ROCPRIM_400000_NS6detail17trampoline_kernelINS0_14default_configENS1_38merge_sort_block_merge_config_selectorIlNS0_10empty_typeEEEZZNS1_27merge_sort_block_merge_implIS3_PlPS5_mZN2at6native12_GLOBAL__N_124unique_dim_cuda_templateIhEESt5tupleIJNSA_6TensorESF_SF_EERKSF_lbbbEUlllE_EE10hipError_tT0_T1_T2_jT3_P12ihipStream_tbPNSt15iterator_traitsISL_E10value_typeEPNSR_ISM_E10value_typeEPSN_NS1_7vsmem_tEENKUlT_SL_SM_SN_E_clIS8_S8_S9_S9_EESK_S10_SL_SM_SN_EUlS10_E_NS1_11comp_targetILNS1_3genE5ELNS1_11target_archE942ELNS1_3gpuE9ELNS1_3repE0EEENS1_48merge_mergepath_partition_config_static_selectorELNS0_4arch9wavefront6targetE1EEEvSM_,@function
_ZN7rocprim17ROCPRIM_400000_NS6detail17trampoline_kernelINS0_14default_configENS1_38merge_sort_block_merge_config_selectorIlNS0_10empty_typeEEEZZNS1_27merge_sort_block_merge_implIS3_PlPS5_mZN2at6native12_GLOBAL__N_124unique_dim_cuda_templateIhEESt5tupleIJNSA_6TensorESF_SF_EERKSF_lbbbEUlllE_EE10hipError_tT0_T1_T2_jT3_P12ihipStream_tbPNSt15iterator_traitsISL_E10value_typeEPNSR_ISM_E10value_typeEPSN_NS1_7vsmem_tEENKUlT_SL_SM_SN_E_clIS8_S8_S9_S9_EESK_S10_SL_SM_SN_EUlS10_E_NS1_11comp_targetILNS1_3genE5ELNS1_11target_archE942ELNS1_3gpuE9ELNS1_3repE0EEENS1_48merge_mergepath_partition_config_static_selectorELNS0_4arch9wavefront6targetE1EEEvSM_: ; @_ZN7rocprim17ROCPRIM_400000_NS6detail17trampoline_kernelINS0_14default_configENS1_38merge_sort_block_merge_config_selectorIlNS0_10empty_typeEEEZZNS1_27merge_sort_block_merge_implIS3_PlPS5_mZN2at6native12_GLOBAL__N_124unique_dim_cuda_templateIhEESt5tupleIJNSA_6TensorESF_SF_EERKSF_lbbbEUlllE_EE10hipError_tT0_T1_T2_jT3_P12ihipStream_tbPNSt15iterator_traitsISL_E10value_typeEPNSR_ISM_E10value_typeEPSN_NS1_7vsmem_tEENKUlT_SL_SM_SN_E_clIS8_S8_S9_S9_EESK_S10_SL_SM_SN_EUlS10_E_NS1_11comp_targetILNS1_3genE5ELNS1_11target_archE942ELNS1_3gpuE9ELNS1_3repE0EEENS1_48merge_mergepath_partition_config_static_selectorELNS0_4arch9wavefront6targetE1EEEvSM_
; %bb.0:
	s_load_dword s3, s[0:1], 0x0
	v_lshl_or_b32 v0, s2, 7, v0
	s_waitcnt lgkmcnt(0)
	v_cmp_gt_u32_e32 vcc, s3, v0
	s_and_saveexec_b64 s[2:3], vcc
	s_cbranch_execz .LBB21_12
; %bb.1:
	s_load_dwordx4 s[12:15], s[0:1], 0x8
	s_load_dwordx8 s[4:11], s[0:1], 0x18
	v_mov_b32_e32 v5, 0
	v_mov_b32_e32 v7, v5
	s_waitcnt lgkmcnt(0)
	v_mov_b32_e32 v1, s12
	v_alignbit_b32 v1, s13, v1, 9
	v_and_b32_e32 v1, -2, v1
	v_add_u32_e32 v2, -1, v1
	v_sub_u32_e32 v1, 0, v1
	v_and_b32_e32 v4, v0, v1
	v_lshlrev_b64 v[8:9], 10, v[4:5]
	v_mov_b32_e32 v1, s15
	v_cmp_lt_u64_e32 vcc, s[14:15], v[8:9]
	v_mov_b32_e32 v4, s14
	v_and_b32_e32 v6, v2, v0
	v_cndmask_b32_e32 v3, v9, v1, vcc
	v_cndmask_b32_e32 v2, v8, v4, vcc
	v_lshl_add_u64 v[8:9], v[8:9], 0, s[12:13]
	v_cmp_lt_u64_e32 vcc, s[14:15], v[8:9]
	s_nop 1
	v_cndmask_b32_e32 v11, v9, v1, vcc
	v_cndmask_b32_e32 v10, v8, v4, vcc
	v_lshl_add_u64 v[8:9], v[10:11], 0, s[12:13]
	v_cmp_lt_u64_e32 vcc, s[14:15], v[8:9]
	s_nop 1
	v_cndmask_b32_e32 v14, v8, v4, vcc
	v_cndmask_b32_e32 v1, v9, v1, vcc
	v_sub_co_u32_e32 v8, vcc, v14, v2
	v_lshlrev_b64 v[4:5], 10, v[6:7]
	s_nop 0
	v_subb_co_u32_e32 v9, vcc, v1, v3, vcc
	v_cmp_lt_u64_e32 vcc, v[8:9], v[4:5]
	s_nop 1
	v_cndmask_b32_e32 v13, v5, v9, vcc
	v_cndmask_b32_e32 v12, v4, v8, vcc
	v_sub_co_u32_e32 v6, vcc, v10, v2
	s_nop 1
	v_subb_co_u32_e32 v7, vcc, v11, v3, vcc
	v_sub_co_u32_e32 v4, vcc, v10, v14
	s_nop 1
	v_subb_co_u32_e32 v5, vcc, v11, v1, vcc
	v_lshl_add_u64 v[4:5], v[12:13], 0, v[4:5]
	v_cmp_gt_u64_e32 vcc, v[4:5], v[12:13]
	s_nop 1
	v_cndmask_b32_e64 v5, v5, 0, vcc
	v_cndmask_b32_e64 v4, v4, 0, vcc
	v_cmp_lt_u64_e32 vcc, v[12:13], v[6:7]
	s_nop 1
	v_cndmask_b32_e32 v7, v7, v13, vcc
	v_cndmask_b32_e32 v6, v6, v12, vcc
	v_cmp_lt_u64_e32 vcc, v[4:5], v[6:7]
	s_and_saveexec_b64 s[2:3], vcc
	s_cbranch_execz .LBB21_11
; %bb.2:
	v_cmp_gt_i64_e64 s[0:1], s[6:7], 0
	v_lshl_add_u64 v[10:11], v[10:11], 3, s[4:5]
	v_lshl_add_u64 v[8:9], v[2:3], 3, s[4:5]
	v_cndmask_b32_e64 v1, 0, 1, s[0:1]
	v_lshl_add_u64 v[10:11], v[12:13], 3, v[10:11]
	s_mov_b64 s[4:5], 0
	v_cmp_ne_u32_e64 s[0:1], 1, v1
	s_branch .LBB21_5
.LBB21_3:                               ;   in Loop: Header=BB21_5 Depth=1
	s_or_b64 exec, exec, s[14:15]
.LBB21_4:                               ;   in Loop: Header=BB21_5 Depth=1
	v_lshl_add_u64 v[14:15], v[12:13], 0, 1
	v_cndmask_b32_e64 v7, v7, v13, s[12:13]
	v_cndmask_b32_e64 v6, v6, v12, s[12:13]
	;; [unrolled: 1-line block ×4, first 2 shown]
	v_cmp_ge_u64_e32 vcc, v[4:5], v[6:7]
	s_or_b64 s[4:5], vcc, s[4:5]
	s_andn2_b64 exec, exec, s[4:5]
	s_cbranch_execz .LBB21_10
.LBB21_5:                               ; =>This Loop Header: Depth=1
                                        ;     Child Loop BB21_8 Depth 2
	v_lshl_add_u64 v[12:13], v[6:7], 0, v[4:5]
	v_lshrrev_b64 v[12:13], 1, v[12:13]
	s_and_b64 vcc, exec, s[0:1]
	s_mov_b64 s[12:13], 0
	s_cbranch_vccnz .LBB21_4
; %bb.6:                                ;   in Loop: Header=BB21_5 Depth=1
	v_not_b32_e32 v15, v13
	v_not_b32_e32 v14, v12
	v_lshl_add_u64 v[14:15], v[14:15], 3, v[10:11]
	v_lshl_add_u64 v[16:17], v[12:13], 3, v[8:9]
	global_load_dwordx2 v[14:15], v[14:15], off
	v_mov_b64_e32 v[18:19], s[8:9]
	global_load_dwordx2 v[16:17], v[16:17], off
	s_mov_b64 s[14:15], 0
                                        ; implicit-def: $sgpr12_sgpr13
                                        ; implicit-def: $sgpr16_sgpr17
                                        ; implicit-def: $sgpr18_sgpr19
                                        ; implicit-def: $sgpr20_sgpr21
                                        ; implicit-def: $sgpr24_sgpr25
	s_waitcnt vmcnt(1)
	v_mul_lo_u32 v1, v14, s7
	v_mul_lo_u32 v20, v15, s6
	v_mad_u64_u32 v[14:15], s[22:23], v14, s6, v[18:19]
	s_waitcnt vmcnt(0)
	v_mul_lo_u32 v21, v16, s7
	v_mul_lo_u32 v22, v17, s6
	v_mad_u64_u32 v[16:17], s[22:23], v16, s6, v[18:19]
	v_add3_u32 v15, v20, v15, v1
	v_add3_u32 v17, v22, v17, v21
	s_mov_b64 s[22:23], s[6:7]
	s_branch .LBB21_8
.LBB21_7:                               ;   in Loop: Header=BB21_8 Depth=2
	s_or_b64 exec, exec, s[26:27]
	s_and_b64 s[26:27], exec, s[16:17]
	s_or_b64 s[14:15], s[26:27], s[14:15]
	s_andn2_b64 s[24:25], s[24:25], exec
	s_and_b64 s[26:27], s[18:19], exec
	s_or_b64 s[24:25], s[24:25], s[26:27]
	s_andn2_b64 s[12:13], s[12:13], exec
	s_and_b64 s[26:27], s[20:21], exec
	s_or_b64 s[12:13], s[12:13], s[26:27]
	s_andn2_b64 exec, exec, s[14:15]
	s_cbranch_execz .LBB21_3
.LBB21_8:                               ;   Parent Loop BB21_5 Depth=1
                                        ; =>  This Inner Loop Header: Depth=2
	global_load_ubyte v1, v[14:15], off
	global_load_ubyte v18, v[16:17], off
	s_andn2_b64 s[20:21], s[20:21], exec
	s_andn2_b64 s[18:19], s[18:19], exec
	s_or_b64 s[16:17], s[16:17], exec
	s_waitcnt vmcnt(0)
	v_cmp_le_u16_sdwa s[28:29], v1, v18 src0_sel:BYTE_0 src1_sel:BYTE_0
	v_cmp_lt_u16_sdwa s[26:27], v1, v18 src0_sel:BYTE_0 src1_sel:BYTE_0
	s_and_b64 s[28:29], s[28:29], s[24:25]
	s_or_b64 s[28:29], s[26:27], s[28:29]
	s_and_b64 s[26:27], s[28:29], exec
	v_cmp_eq_u16_sdwa s[30:31], v1, v18 src0_sel:BYTE_0 src1_sel:BYTE_0
	s_or_b64 s[20:21], s[20:21], s[26:27]
	s_and_saveexec_b64 s[26:27], s[30:31]
	s_cbranch_execz .LBB21_7
; %bb.9:                                ;   in Loop: Header=BB21_8 Depth=2
	s_add_u32 s22, s22, -1
	s_addc_u32 s23, s23, -1
	s_cmp_eq_u64 s[22:23], 0
	s_cselect_b64 s[24:25], -1, 0
	s_andn2_b64 s[18:19], s[18:19], exec
	s_and_b64 s[28:29], s[28:29], exec
	s_andn2_b64 s[16:17], s[16:17], exec
	s_and_b64 s[24:25], s[24:25], exec
	v_lshl_add_u64 v[14:15], v[14:15], 0, 1
	v_lshl_add_u64 v[16:17], v[16:17], 0, 1
	s_andn2_b64 s[20:21], s[20:21], exec
	s_or_b64 s[18:19], s[18:19], s[28:29]
	s_or_b64 s[16:17], s[16:17], s[24:25]
                                        ; implicit-def: $sgpr24_sgpr25
	s_branch .LBB21_7
.LBB21_10:
	s_or_b64 exec, exec, s[4:5]
.LBB21_11:
	s_or_b64 exec, exec, s[2:3]
	v_mov_b32_e32 v6, s10
	v_mov_b32_e32 v7, s11
	;; [unrolled: 1-line block ×3, first 2 shown]
	v_lshl_add_u64 v[2:3], v[4:5], 0, v[2:3]
	v_lshl_add_u64 v[0:1], v[0:1], 3, v[6:7]
	global_store_dwordx2 v[0:1], v[2:3], off
.LBB21_12:
	s_endpgm
	.section	.rodata,"a",@progbits
	.p2align	6, 0x0
	.amdhsa_kernel _ZN7rocprim17ROCPRIM_400000_NS6detail17trampoline_kernelINS0_14default_configENS1_38merge_sort_block_merge_config_selectorIlNS0_10empty_typeEEEZZNS1_27merge_sort_block_merge_implIS3_PlPS5_mZN2at6native12_GLOBAL__N_124unique_dim_cuda_templateIhEESt5tupleIJNSA_6TensorESF_SF_EERKSF_lbbbEUlllE_EE10hipError_tT0_T1_T2_jT3_P12ihipStream_tbPNSt15iterator_traitsISL_E10value_typeEPNSR_ISM_E10value_typeEPSN_NS1_7vsmem_tEENKUlT_SL_SM_SN_E_clIS8_S8_S9_S9_EESK_S10_SL_SM_SN_EUlS10_E_NS1_11comp_targetILNS1_3genE5ELNS1_11target_archE942ELNS1_3gpuE9ELNS1_3repE0EEENS1_48merge_mergepath_partition_config_static_selectorELNS0_4arch9wavefront6targetE1EEEvSM_
		.amdhsa_group_segment_fixed_size 0
		.amdhsa_private_segment_fixed_size 0
		.amdhsa_kernarg_size 56
		.amdhsa_user_sgpr_count 2
		.amdhsa_user_sgpr_dispatch_ptr 0
		.amdhsa_user_sgpr_queue_ptr 0
		.amdhsa_user_sgpr_kernarg_segment_ptr 1
		.amdhsa_user_sgpr_dispatch_id 0
		.amdhsa_user_sgpr_kernarg_preload_length 0
		.amdhsa_user_sgpr_kernarg_preload_offset 0
		.amdhsa_user_sgpr_private_segment_size 0
		.amdhsa_uses_dynamic_stack 0
		.amdhsa_enable_private_segment 0
		.amdhsa_system_sgpr_workgroup_id_x 1
		.amdhsa_system_sgpr_workgroup_id_y 0
		.amdhsa_system_sgpr_workgroup_id_z 0
		.amdhsa_system_sgpr_workgroup_info 0
		.amdhsa_system_vgpr_workitem_id 0
		.amdhsa_next_free_vgpr 23
		.amdhsa_next_free_sgpr 32
		.amdhsa_accum_offset 24
		.amdhsa_reserve_vcc 1
		.amdhsa_float_round_mode_32 0
		.amdhsa_float_round_mode_16_64 0
		.amdhsa_float_denorm_mode_32 3
		.amdhsa_float_denorm_mode_16_64 3
		.amdhsa_dx10_clamp 1
		.amdhsa_ieee_mode 1
		.amdhsa_fp16_overflow 0
		.amdhsa_tg_split 0
		.amdhsa_exception_fp_ieee_invalid_op 0
		.amdhsa_exception_fp_denorm_src 0
		.amdhsa_exception_fp_ieee_div_zero 0
		.amdhsa_exception_fp_ieee_overflow 0
		.amdhsa_exception_fp_ieee_underflow 0
		.amdhsa_exception_fp_ieee_inexact 0
		.amdhsa_exception_int_div_zero 0
	.end_amdhsa_kernel
	.section	.text._ZN7rocprim17ROCPRIM_400000_NS6detail17trampoline_kernelINS0_14default_configENS1_38merge_sort_block_merge_config_selectorIlNS0_10empty_typeEEEZZNS1_27merge_sort_block_merge_implIS3_PlPS5_mZN2at6native12_GLOBAL__N_124unique_dim_cuda_templateIhEESt5tupleIJNSA_6TensorESF_SF_EERKSF_lbbbEUlllE_EE10hipError_tT0_T1_T2_jT3_P12ihipStream_tbPNSt15iterator_traitsISL_E10value_typeEPNSR_ISM_E10value_typeEPSN_NS1_7vsmem_tEENKUlT_SL_SM_SN_E_clIS8_S8_S9_S9_EESK_S10_SL_SM_SN_EUlS10_E_NS1_11comp_targetILNS1_3genE5ELNS1_11target_archE942ELNS1_3gpuE9ELNS1_3repE0EEENS1_48merge_mergepath_partition_config_static_selectorELNS0_4arch9wavefront6targetE1EEEvSM_,"axG",@progbits,_ZN7rocprim17ROCPRIM_400000_NS6detail17trampoline_kernelINS0_14default_configENS1_38merge_sort_block_merge_config_selectorIlNS0_10empty_typeEEEZZNS1_27merge_sort_block_merge_implIS3_PlPS5_mZN2at6native12_GLOBAL__N_124unique_dim_cuda_templateIhEESt5tupleIJNSA_6TensorESF_SF_EERKSF_lbbbEUlllE_EE10hipError_tT0_T1_T2_jT3_P12ihipStream_tbPNSt15iterator_traitsISL_E10value_typeEPNSR_ISM_E10value_typeEPSN_NS1_7vsmem_tEENKUlT_SL_SM_SN_E_clIS8_S8_S9_S9_EESK_S10_SL_SM_SN_EUlS10_E_NS1_11comp_targetILNS1_3genE5ELNS1_11target_archE942ELNS1_3gpuE9ELNS1_3repE0EEENS1_48merge_mergepath_partition_config_static_selectorELNS0_4arch9wavefront6targetE1EEEvSM_,comdat
.Lfunc_end21:
	.size	_ZN7rocprim17ROCPRIM_400000_NS6detail17trampoline_kernelINS0_14default_configENS1_38merge_sort_block_merge_config_selectorIlNS0_10empty_typeEEEZZNS1_27merge_sort_block_merge_implIS3_PlPS5_mZN2at6native12_GLOBAL__N_124unique_dim_cuda_templateIhEESt5tupleIJNSA_6TensorESF_SF_EERKSF_lbbbEUlllE_EE10hipError_tT0_T1_T2_jT3_P12ihipStream_tbPNSt15iterator_traitsISL_E10value_typeEPNSR_ISM_E10value_typeEPSN_NS1_7vsmem_tEENKUlT_SL_SM_SN_E_clIS8_S8_S9_S9_EESK_S10_SL_SM_SN_EUlS10_E_NS1_11comp_targetILNS1_3genE5ELNS1_11target_archE942ELNS1_3gpuE9ELNS1_3repE0EEENS1_48merge_mergepath_partition_config_static_selectorELNS0_4arch9wavefront6targetE1EEEvSM_, .Lfunc_end21-_ZN7rocprim17ROCPRIM_400000_NS6detail17trampoline_kernelINS0_14default_configENS1_38merge_sort_block_merge_config_selectorIlNS0_10empty_typeEEEZZNS1_27merge_sort_block_merge_implIS3_PlPS5_mZN2at6native12_GLOBAL__N_124unique_dim_cuda_templateIhEESt5tupleIJNSA_6TensorESF_SF_EERKSF_lbbbEUlllE_EE10hipError_tT0_T1_T2_jT3_P12ihipStream_tbPNSt15iterator_traitsISL_E10value_typeEPNSR_ISM_E10value_typeEPSN_NS1_7vsmem_tEENKUlT_SL_SM_SN_E_clIS8_S8_S9_S9_EESK_S10_SL_SM_SN_EUlS10_E_NS1_11comp_targetILNS1_3genE5ELNS1_11target_archE942ELNS1_3gpuE9ELNS1_3repE0EEENS1_48merge_mergepath_partition_config_static_selectorELNS0_4arch9wavefront6targetE1EEEvSM_
                                        ; -- End function
	.section	.AMDGPU.csdata,"",@progbits
; Kernel info:
; codeLenInByte = 796
; NumSgprs: 38
; NumVgprs: 23
; NumAgprs: 0
; TotalNumVgprs: 23
; ScratchSize: 0
; MemoryBound: 0
; FloatMode: 240
; IeeeMode: 1
; LDSByteSize: 0 bytes/workgroup (compile time only)
; SGPRBlocks: 4
; VGPRBlocks: 2
; NumSGPRsForWavesPerEU: 38
; NumVGPRsForWavesPerEU: 23
; AccumOffset: 24
; Occupancy: 8
; WaveLimiterHint : 0
; COMPUTE_PGM_RSRC2:SCRATCH_EN: 0
; COMPUTE_PGM_RSRC2:USER_SGPR: 2
; COMPUTE_PGM_RSRC2:TRAP_HANDLER: 0
; COMPUTE_PGM_RSRC2:TGID_X_EN: 1
; COMPUTE_PGM_RSRC2:TGID_Y_EN: 0
; COMPUTE_PGM_RSRC2:TGID_Z_EN: 0
; COMPUTE_PGM_RSRC2:TIDIG_COMP_CNT: 0
; COMPUTE_PGM_RSRC3_GFX90A:ACCUM_OFFSET: 5
; COMPUTE_PGM_RSRC3_GFX90A:TG_SPLIT: 0
	.section	.text._ZN7rocprim17ROCPRIM_400000_NS6detail17trampoline_kernelINS0_14default_configENS1_38merge_sort_block_merge_config_selectorIlNS0_10empty_typeEEEZZNS1_27merge_sort_block_merge_implIS3_PlPS5_mZN2at6native12_GLOBAL__N_124unique_dim_cuda_templateIhEESt5tupleIJNSA_6TensorESF_SF_EERKSF_lbbbEUlllE_EE10hipError_tT0_T1_T2_jT3_P12ihipStream_tbPNSt15iterator_traitsISL_E10value_typeEPNSR_ISM_E10value_typeEPSN_NS1_7vsmem_tEENKUlT_SL_SM_SN_E_clIS8_S8_S9_S9_EESK_S10_SL_SM_SN_EUlS10_E_NS1_11comp_targetILNS1_3genE4ELNS1_11target_archE910ELNS1_3gpuE8ELNS1_3repE0EEENS1_48merge_mergepath_partition_config_static_selectorELNS0_4arch9wavefront6targetE1EEEvSM_,"axG",@progbits,_ZN7rocprim17ROCPRIM_400000_NS6detail17trampoline_kernelINS0_14default_configENS1_38merge_sort_block_merge_config_selectorIlNS0_10empty_typeEEEZZNS1_27merge_sort_block_merge_implIS3_PlPS5_mZN2at6native12_GLOBAL__N_124unique_dim_cuda_templateIhEESt5tupleIJNSA_6TensorESF_SF_EERKSF_lbbbEUlllE_EE10hipError_tT0_T1_T2_jT3_P12ihipStream_tbPNSt15iterator_traitsISL_E10value_typeEPNSR_ISM_E10value_typeEPSN_NS1_7vsmem_tEENKUlT_SL_SM_SN_E_clIS8_S8_S9_S9_EESK_S10_SL_SM_SN_EUlS10_E_NS1_11comp_targetILNS1_3genE4ELNS1_11target_archE910ELNS1_3gpuE8ELNS1_3repE0EEENS1_48merge_mergepath_partition_config_static_selectorELNS0_4arch9wavefront6targetE1EEEvSM_,comdat
	.globl	_ZN7rocprim17ROCPRIM_400000_NS6detail17trampoline_kernelINS0_14default_configENS1_38merge_sort_block_merge_config_selectorIlNS0_10empty_typeEEEZZNS1_27merge_sort_block_merge_implIS3_PlPS5_mZN2at6native12_GLOBAL__N_124unique_dim_cuda_templateIhEESt5tupleIJNSA_6TensorESF_SF_EERKSF_lbbbEUlllE_EE10hipError_tT0_T1_T2_jT3_P12ihipStream_tbPNSt15iterator_traitsISL_E10value_typeEPNSR_ISM_E10value_typeEPSN_NS1_7vsmem_tEENKUlT_SL_SM_SN_E_clIS8_S8_S9_S9_EESK_S10_SL_SM_SN_EUlS10_E_NS1_11comp_targetILNS1_3genE4ELNS1_11target_archE910ELNS1_3gpuE8ELNS1_3repE0EEENS1_48merge_mergepath_partition_config_static_selectorELNS0_4arch9wavefront6targetE1EEEvSM_ ; -- Begin function _ZN7rocprim17ROCPRIM_400000_NS6detail17trampoline_kernelINS0_14default_configENS1_38merge_sort_block_merge_config_selectorIlNS0_10empty_typeEEEZZNS1_27merge_sort_block_merge_implIS3_PlPS5_mZN2at6native12_GLOBAL__N_124unique_dim_cuda_templateIhEESt5tupleIJNSA_6TensorESF_SF_EERKSF_lbbbEUlllE_EE10hipError_tT0_T1_T2_jT3_P12ihipStream_tbPNSt15iterator_traitsISL_E10value_typeEPNSR_ISM_E10value_typeEPSN_NS1_7vsmem_tEENKUlT_SL_SM_SN_E_clIS8_S8_S9_S9_EESK_S10_SL_SM_SN_EUlS10_E_NS1_11comp_targetILNS1_3genE4ELNS1_11target_archE910ELNS1_3gpuE8ELNS1_3repE0EEENS1_48merge_mergepath_partition_config_static_selectorELNS0_4arch9wavefront6targetE1EEEvSM_
	.p2align	8
	.type	_ZN7rocprim17ROCPRIM_400000_NS6detail17trampoline_kernelINS0_14default_configENS1_38merge_sort_block_merge_config_selectorIlNS0_10empty_typeEEEZZNS1_27merge_sort_block_merge_implIS3_PlPS5_mZN2at6native12_GLOBAL__N_124unique_dim_cuda_templateIhEESt5tupleIJNSA_6TensorESF_SF_EERKSF_lbbbEUlllE_EE10hipError_tT0_T1_T2_jT3_P12ihipStream_tbPNSt15iterator_traitsISL_E10value_typeEPNSR_ISM_E10value_typeEPSN_NS1_7vsmem_tEENKUlT_SL_SM_SN_E_clIS8_S8_S9_S9_EESK_S10_SL_SM_SN_EUlS10_E_NS1_11comp_targetILNS1_3genE4ELNS1_11target_archE910ELNS1_3gpuE8ELNS1_3repE0EEENS1_48merge_mergepath_partition_config_static_selectorELNS0_4arch9wavefront6targetE1EEEvSM_,@function
_ZN7rocprim17ROCPRIM_400000_NS6detail17trampoline_kernelINS0_14default_configENS1_38merge_sort_block_merge_config_selectorIlNS0_10empty_typeEEEZZNS1_27merge_sort_block_merge_implIS3_PlPS5_mZN2at6native12_GLOBAL__N_124unique_dim_cuda_templateIhEESt5tupleIJNSA_6TensorESF_SF_EERKSF_lbbbEUlllE_EE10hipError_tT0_T1_T2_jT3_P12ihipStream_tbPNSt15iterator_traitsISL_E10value_typeEPNSR_ISM_E10value_typeEPSN_NS1_7vsmem_tEENKUlT_SL_SM_SN_E_clIS8_S8_S9_S9_EESK_S10_SL_SM_SN_EUlS10_E_NS1_11comp_targetILNS1_3genE4ELNS1_11target_archE910ELNS1_3gpuE8ELNS1_3repE0EEENS1_48merge_mergepath_partition_config_static_selectorELNS0_4arch9wavefront6targetE1EEEvSM_: ; @_ZN7rocprim17ROCPRIM_400000_NS6detail17trampoline_kernelINS0_14default_configENS1_38merge_sort_block_merge_config_selectorIlNS0_10empty_typeEEEZZNS1_27merge_sort_block_merge_implIS3_PlPS5_mZN2at6native12_GLOBAL__N_124unique_dim_cuda_templateIhEESt5tupleIJNSA_6TensorESF_SF_EERKSF_lbbbEUlllE_EE10hipError_tT0_T1_T2_jT3_P12ihipStream_tbPNSt15iterator_traitsISL_E10value_typeEPNSR_ISM_E10value_typeEPSN_NS1_7vsmem_tEENKUlT_SL_SM_SN_E_clIS8_S8_S9_S9_EESK_S10_SL_SM_SN_EUlS10_E_NS1_11comp_targetILNS1_3genE4ELNS1_11target_archE910ELNS1_3gpuE8ELNS1_3repE0EEENS1_48merge_mergepath_partition_config_static_selectorELNS0_4arch9wavefront6targetE1EEEvSM_
; %bb.0:
	.section	.rodata,"a",@progbits
	.p2align	6, 0x0
	.amdhsa_kernel _ZN7rocprim17ROCPRIM_400000_NS6detail17trampoline_kernelINS0_14default_configENS1_38merge_sort_block_merge_config_selectorIlNS0_10empty_typeEEEZZNS1_27merge_sort_block_merge_implIS3_PlPS5_mZN2at6native12_GLOBAL__N_124unique_dim_cuda_templateIhEESt5tupleIJNSA_6TensorESF_SF_EERKSF_lbbbEUlllE_EE10hipError_tT0_T1_T2_jT3_P12ihipStream_tbPNSt15iterator_traitsISL_E10value_typeEPNSR_ISM_E10value_typeEPSN_NS1_7vsmem_tEENKUlT_SL_SM_SN_E_clIS8_S8_S9_S9_EESK_S10_SL_SM_SN_EUlS10_E_NS1_11comp_targetILNS1_3genE4ELNS1_11target_archE910ELNS1_3gpuE8ELNS1_3repE0EEENS1_48merge_mergepath_partition_config_static_selectorELNS0_4arch9wavefront6targetE1EEEvSM_
		.amdhsa_group_segment_fixed_size 0
		.amdhsa_private_segment_fixed_size 0
		.amdhsa_kernarg_size 56
		.amdhsa_user_sgpr_count 2
		.amdhsa_user_sgpr_dispatch_ptr 0
		.amdhsa_user_sgpr_queue_ptr 0
		.amdhsa_user_sgpr_kernarg_segment_ptr 1
		.amdhsa_user_sgpr_dispatch_id 0
		.amdhsa_user_sgpr_kernarg_preload_length 0
		.amdhsa_user_sgpr_kernarg_preload_offset 0
		.amdhsa_user_sgpr_private_segment_size 0
		.amdhsa_uses_dynamic_stack 0
		.amdhsa_enable_private_segment 0
		.amdhsa_system_sgpr_workgroup_id_x 1
		.amdhsa_system_sgpr_workgroup_id_y 0
		.amdhsa_system_sgpr_workgroup_id_z 0
		.amdhsa_system_sgpr_workgroup_info 0
		.amdhsa_system_vgpr_workitem_id 0
		.amdhsa_next_free_vgpr 1
		.amdhsa_next_free_sgpr 0
		.amdhsa_accum_offset 4
		.amdhsa_reserve_vcc 0
		.amdhsa_float_round_mode_32 0
		.amdhsa_float_round_mode_16_64 0
		.amdhsa_float_denorm_mode_32 3
		.amdhsa_float_denorm_mode_16_64 3
		.amdhsa_dx10_clamp 1
		.amdhsa_ieee_mode 1
		.amdhsa_fp16_overflow 0
		.amdhsa_tg_split 0
		.amdhsa_exception_fp_ieee_invalid_op 0
		.amdhsa_exception_fp_denorm_src 0
		.amdhsa_exception_fp_ieee_div_zero 0
		.amdhsa_exception_fp_ieee_overflow 0
		.amdhsa_exception_fp_ieee_underflow 0
		.amdhsa_exception_fp_ieee_inexact 0
		.amdhsa_exception_int_div_zero 0
	.end_amdhsa_kernel
	.section	.text._ZN7rocprim17ROCPRIM_400000_NS6detail17trampoline_kernelINS0_14default_configENS1_38merge_sort_block_merge_config_selectorIlNS0_10empty_typeEEEZZNS1_27merge_sort_block_merge_implIS3_PlPS5_mZN2at6native12_GLOBAL__N_124unique_dim_cuda_templateIhEESt5tupleIJNSA_6TensorESF_SF_EERKSF_lbbbEUlllE_EE10hipError_tT0_T1_T2_jT3_P12ihipStream_tbPNSt15iterator_traitsISL_E10value_typeEPNSR_ISM_E10value_typeEPSN_NS1_7vsmem_tEENKUlT_SL_SM_SN_E_clIS8_S8_S9_S9_EESK_S10_SL_SM_SN_EUlS10_E_NS1_11comp_targetILNS1_3genE4ELNS1_11target_archE910ELNS1_3gpuE8ELNS1_3repE0EEENS1_48merge_mergepath_partition_config_static_selectorELNS0_4arch9wavefront6targetE1EEEvSM_,"axG",@progbits,_ZN7rocprim17ROCPRIM_400000_NS6detail17trampoline_kernelINS0_14default_configENS1_38merge_sort_block_merge_config_selectorIlNS0_10empty_typeEEEZZNS1_27merge_sort_block_merge_implIS3_PlPS5_mZN2at6native12_GLOBAL__N_124unique_dim_cuda_templateIhEESt5tupleIJNSA_6TensorESF_SF_EERKSF_lbbbEUlllE_EE10hipError_tT0_T1_T2_jT3_P12ihipStream_tbPNSt15iterator_traitsISL_E10value_typeEPNSR_ISM_E10value_typeEPSN_NS1_7vsmem_tEENKUlT_SL_SM_SN_E_clIS8_S8_S9_S9_EESK_S10_SL_SM_SN_EUlS10_E_NS1_11comp_targetILNS1_3genE4ELNS1_11target_archE910ELNS1_3gpuE8ELNS1_3repE0EEENS1_48merge_mergepath_partition_config_static_selectorELNS0_4arch9wavefront6targetE1EEEvSM_,comdat
.Lfunc_end22:
	.size	_ZN7rocprim17ROCPRIM_400000_NS6detail17trampoline_kernelINS0_14default_configENS1_38merge_sort_block_merge_config_selectorIlNS0_10empty_typeEEEZZNS1_27merge_sort_block_merge_implIS3_PlPS5_mZN2at6native12_GLOBAL__N_124unique_dim_cuda_templateIhEESt5tupleIJNSA_6TensorESF_SF_EERKSF_lbbbEUlllE_EE10hipError_tT0_T1_T2_jT3_P12ihipStream_tbPNSt15iterator_traitsISL_E10value_typeEPNSR_ISM_E10value_typeEPSN_NS1_7vsmem_tEENKUlT_SL_SM_SN_E_clIS8_S8_S9_S9_EESK_S10_SL_SM_SN_EUlS10_E_NS1_11comp_targetILNS1_3genE4ELNS1_11target_archE910ELNS1_3gpuE8ELNS1_3repE0EEENS1_48merge_mergepath_partition_config_static_selectorELNS0_4arch9wavefront6targetE1EEEvSM_, .Lfunc_end22-_ZN7rocprim17ROCPRIM_400000_NS6detail17trampoline_kernelINS0_14default_configENS1_38merge_sort_block_merge_config_selectorIlNS0_10empty_typeEEEZZNS1_27merge_sort_block_merge_implIS3_PlPS5_mZN2at6native12_GLOBAL__N_124unique_dim_cuda_templateIhEESt5tupleIJNSA_6TensorESF_SF_EERKSF_lbbbEUlllE_EE10hipError_tT0_T1_T2_jT3_P12ihipStream_tbPNSt15iterator_traitsISL_E10value_typeEPNSR_ISM_E10value_typeEPSN_NS1_7vsmem_tEENKUlT_SL_SM_SN_E_clIS8_S8_S9_S9_EESK_S10_SL_SM_SN_EUlS10_E_NS1_11comp_targetILNS1_3genE4ELNS1_11target_archE910ELNS1_3gpuE8ELNS1_3repE0EEENS1_48merge_mergepath_partition_config_static_selectorELNS0_4arch9wavefront6targetE1EEEvSM_
                                        ; -- End function
	.section	.AMDGPU.csdata,"",@progbits
; Kernel info:
; codeLenInByte = 0
; NumSgprs: 6
; NumVgprs: 0
; NumAgprs: 0
; TotalNumVgprs: 0
; ScratchSize: 0
; MemoryBound: 0
; FloatMode: 240
; IeeeMode: 1
; LDSByteSize: 0 bytes/workgroup (compile time only)
; SGPRBlocks: 0
; VGPRBlocks: 0
; NumSGPRsForWavesPerEU: 6
; NumVGPRsForWavesPerEU: 1
; AccumOffset: 4
; Occupancy: 8
; WaveLimiterHint : 0
; COMPUTE_PGM_RSRC2:SCRATCH_EN: 0
; COMPUTE_PGM_RSRC2:USER_SGPR: 2
; COMPUTE_PGM_RSRC2:TRAP_HANDLER: 0
; COMPUTE_PGM_RSRC2:TGID_X_EN: 1
; COMPUTE_PGM_RSRC2:TGID_Y_EN: 0
; COMPUTE_PGM_RSRC2:TGID_Z_EN: 0
; COMPUTE_PGM_RSRC2:TIDIG_COMP_CNT: 0
; COMPUTE_PGM_RSRC3_GFX90A:ACCUM_OFFSET: 0
; COMPUTE_PGM_RSRC3_GFX90A:TG_SPLIT: 0
	.section	.text._ZN7rocprim17ROCPRIM_400000_NS6detail17trampoline_kernelINS0_14default_configENS1_38merge_sort_block_merge_config_selectorIlNS0_10empty_typeEEEZZNS1_27merge_sort_block_merge_implIS3_PlPS5_mZN2at6native12_GLOBAL__N_124unique_dim_cuda_templateIhEESt5tupleIJNSA_6TensorESF_SF_EERKSF_lbbbEUlllE_EE10hipError_tT0_T1_T2_jT3_P12ihipStream_tbPNSt15iterator_traitsISL_E10value_typeEPNSR_ISM_E10value_typeEPSN_NS1_7vsmem_tEENKUlT_SL_SM_SN_E_clIS8_S8_S9_S9_EESK_S10_SL_SM_SN_EUlS10_E_NS1_11comp_targetILNS1_3genE3ELNS1_11target_archE908ELNS1_3gpuE7ELNS1_3repE0EEENS1_48merge_mergepath_partition_config_static_selectorELNS0_4arch9wavefront6targetE1EEEvSM_,"axG",@progbits,_ZN7rocprim17ROCPRIM_400000_NS6detail17trampoline_kernelINS0_14default_configENS1_38merge_sort_block_merge_config_selectorIlNS0_10empty_typeEEEZZNS1_27merge_sort_block_merge_implIS3_PlPS5_mZN2at6native12_GLOBAL__N_124unique_dim_cuda_templateIhEESt5tupleIJNSA_6TensorESF_SF_EERKSF_lbbbEUlllE_EE10hipError_tT0_T1_T2_jT3_P12ihipStream_tbPNSt15iterator_traitsISL_E10value_typeEPNSR_ISM_E10value_typeEPSN_NS1_7vsmem_tEENKUlT_SL_SM_SN_E_clIS8_S8_S9_S9_EESK_S10_SL_SM_SN_EUlS10_E_NS1_11comp_targetILNS1_3genE3ELNS1_11target_archE908ELNS1_3gpuE7ELNS1_3repE0EEENS1_48merge_mergepath_partition_config_static_selectorELNS0_4arch9wavefront6targetE1EEEvSM_,comdat
	.globl	_ZN7rocprim17ROCPRIM_400000_NS6detail17trampoline_kernelINS0_14default_configENS1_38merge_sort_block_merge_config_selectorIlNS0_10empty_typeEEEZZNS1_27merge_sort_block_merge_implIS3_PlPS5_mZN2at6native12_GLOBAL__N_124unique_dim_cuda_templateIhEESt5tupleIJNSA_6TensorESF_SF_EERKSF_lbbbEUlllE_EE10hipError_tT0_T1_T2_jT3_P12ihipStream_tbPNSt15iterator_traitsISL_E10value_typeEPNSR_ISM_E10value_typeEPSN_NS1_7vsmem_tEENKUlT_SL_SM_SN_E_clIS8_S8_S9_S9_EESK_S10_SL_SM_SN_EUlS10_E_NS1_11comp_targetILNS1_3genE3ELNS1_11target_archE908ELNS1_3gpuE7ELNS1_3repE0EEENS1_48merge_mergepath_partition_config_static_selectorELNS0_4arch9wavefront6targetE1EEEvSM_ ; -- Begin function _ZN7rocprim17ROCPRIM_400000_NS6detail17trampoline_kernelINS0_14default_configENS1_38merge_sort_block_merge_config_selectorIlNS0_10empty_typeEEEZZNS1_27merge_sort_block_merge_implIS3_PlPS5_mZN2at6native12_GLOBAL__N_124unique_dim_cuda_templateIhEESt5tupleIJNSA_6TensorESF_SF_EERKSF_lbbbEUlllE_EE10hipError_tT0_T1_T2_jT3_P12ihipStream_tbPNSt15iterator_traitsISL_E10value_typeEPNSR_ISM_E10value_typeEPSN_NS1_7vsmem_tEENKUlT_SL_SM_SN_E_clIS8_S8_S9_S9_EESK_S10_SL_SM_SN_EUlS10_E_NS1_11comp_targetILNS1_3genE3ELNS1_11target_archE908ELNS1_3gpuE7ELNS1_3repE0EEENS1_48merge_mergepath_partition_config_static_selectorELNS0_4arch9wavefront6targetE1EEEvSM_
	.p2align	8
	.type	_ZN7rocprim17ROCPRIM_400000_NS6detail17trampoline_kernelINS0_14default_configENS1_38merge_sort_block_merge_config_selectorIlNS0_10empty_typeEEEZZNS1_27merge_sort_block_merge_implIS3_PlPS5_mZN2at6native12_GLOBAL__N_124unique_dim_cuda_templateIhEESt5tupleIJNSA_6TensorESF_SF_EERKSF_lbbbEUlllE_EE10hipError_tT0_T1_T2_jT3_P12ihipStream_tbPNSt15iterator_traitsISL_E10value_typeEPNSR_ISM_E10value_typeEPSN_NS1_7vsmem_tEENKUlT_SL_SM_SN_E_clIS8_S8_S9_S9_EESK_S10_SL_SM_SN_EUlS10_E_NS1_11comp_targetILNS1_3genE3ELNS1_11target_archE908ELNS1_3gpuE7ELNS1_3repE0EEENS1_48merge_mergepath_partition_config_static_selectorELNS0_4arch9wavefront6targetE1EEEvSM_,@function
_ZN7rocprim17ROCPRIM_400000_NS6detail17trampoline_kernelINS0_14default_configENS1_38merge_sort_block_merge_config_selectorIlNS0_10empty_typeEEEZZNS1_27merge_sort_block_merge_implIS3_PlPS5_mZN2at6native12_GLOBAL__N_124unique_dim_cuda_templateIhEESt5tupleIJNSA_6TensorESF_SF_EERKSF_lbbbEUlllE_EE10hipError_tT0_T1_T2_jT3_P12ihipStream_tbPNSt15iterator_traitsISL_E10value_typeEPNSR_ISM_E10value_typeEPSN_NS1_7vsmem_tEENKUlT_SL_SM_SN_E_clIS8_S8_S9_S9_EESK_S10_SL_SM_SN_EUlS10_E_NS1_11comp_targetILNS1_3genE3ELNS1_11target_archE908ELNS1_3gpuE7ELNS1_3repE0EEENS1_48merge_mergepath_partition_config_static_selectorELNS0_4arch9wavefront6targetE1EEEvSM_: ; @_ZN7rocprim17ROCPRIM_400000_NS6detail17trampoline_kernelINS0_14default_configENS1_38merge_sort_block_merge_config_selectorIlNS0_10empty_typeEEEZZNS1_27merge_sort_block_merge_implIS3_PlPS5_mZN2at6native12_GLOBAL__N_124unique_dim_cuda_templateIhEESt5tupleIJNSA_6TensorESF_SF_EERKSF_lbbbEUlllE_EE10hipError_tT0_T1_T2_jT3_P12ihipStream_tbPNSt15iterator_traitsISL_E10value_typeEPNSR_ISM_E10value_typeEPSN_NS1_7vsmem_tEENKUlT_SL_SM_SN_E_clIS8_S8_S9_S9_EESK_S10_SL_SM_SN_EUlS10_E_NS1_11comp_targetILNS1_3genE3ELNS1_11target_archE908ELNS1_3gpuE7ELNS1_3repE0EEENS1_48merge_mergepath_partition_config_static_selectorELNS0_4arch9wavefront6targetE1EEEvSM_
; %bb.0:
	.section	.rodata,"a",@progbits
	.p2align	6, 0x0
	.amdhsa_kernel _ZN7rocprim17ROCPRIM_400000_NS6detail17trampoline_kernelINS0_14default_configENS1_38merge_sort_block_merge_config_selectorIlNS0_10empty_typeEEEZZNS1_27merge_sort_block_merge_implIS3_PlPS5_mZN2at6native12_GLOBAL__N_124unique_dim_cuda_templateIhEESt5tupleIJNSA_6TensorESF_SF_EERKSF_lbbbEUlllE_EE10hipError_tT0_T1_T2_jT3_P12ihipStream_tbPNSt15iterator_traitsISL_E10value_typeEPNSR_ISM_E10value_typeEPSN_NS1_7vsmem_tEENKUlT_SL_SM_SN_E_clIS8_S8_S9_S9_EESK_S10_SL_SM_SN_EUlS10_E_NS1_11comp_targetILNS1_3genE3ELNS1_11target_archE908ELNS1_3gpuE7ELNS1_3repE0EEENS1_48merge_mergepath_partition_config_static_selectorELNS0_4arch9wavefront6targetE1EEEvSM_
		.amdhsa_group_segment_fixed_size 0
		.amdhsa_private_segment_fixed_size 0
		.amdhsa_kernarg_size 56
		.amdhsa_user_sgpr_count 2
		.amdhsa_user_sgpr_dispatch_ptr 0
		.amdhsa_user_sgpr_queue_ptr 0
		.amdhsa_user_sgpr_kernarg_segment_ptr 1
		.amdhsa_user_sgpr_dispatch_id 0
		.amdhsa_user_sgpr_kernarg_preload_length 0
		.amdhsa_user_sgpr_kernarg_preload_offset 0
		.amdhsa_user_sgpr_private_segment_size 0
		.amdhsa_uses_dynamic_stack 0
		.amdhsa_enable_private_segment 0
		.amdhsa_system_sgpr_workgroup_id_x 1
		.amdhsa_system_sgpr_workgroup_id_y 0
		.amdhsa_system_sgpr_workgroup_id_z 0
		.amdhsa_system_sgpr_workgroup_info 0
		.amdhsa_system_vgpr_workitem_id 0
		.amdhsa_next_free_vgpr 1
		.amdhsa_next_free_sgpr 0
		.amdhsa_accum_offset 4
		.amdhsa_reserve_vcc 0
		.amdhsa_float_round_mode_32 0
		.amdhsa_float_round_mode_16_64 0
		.amdhsa_float_denorm_mode_32 3
		.amdhsa_float_denorm_mode_16_64 3
		.amdhsa_dx10_clamp 1
		.amdhsa_ieee_mode 1
		.amdhsa_fp16_overflow 0
		.amdhsa_tg_split 0
		.amdhsa_exception_fp_ieee_invalid_op 0
		.amdhsa_exception_fp_denorm_src 0
		.amdhsa_exception_fp_ieee_div_zero 0
		.amdhsa_exception_fp_ieee_overflow 0
		.amdhsa_exception_fp_ieee_underflow 0
		.amdhsa_exception_fp_ieee_inexact 0
		.amdhsa_exception_int_div_zero 0
	.end_amdhsa_kernel
	.section	.text._ZN7rocprim17ROCPRIM_400000_NS6detail17trampoline_kernelINS0_14default_configENS1_38merge_sort_block_merge_config_selectorIlNS0_10empty_typeEEEZZNS1_27merge_sort_block_merge_implIS3_PlPS5_mZN2at6native12_GLOBAL__N_124unique_dim_cuda_templateIhEESt5tupleIJNSA_6TensorESF_SF_EERKSF_lbbbEUlllE_EE10hipError_tT0_T1_T2_jT3_P12ihipStream_tbPNSt15iterator_traitsISL_E10value_typeEPNSR_ISM_E10value_typeEPSN_NS1_7vsmem_tEENKUlT_SL_SM_SN_E_clIS8_S8_S9_S9_EESK_S10_SL_SM_SN_EUlS10_E_NS1_11comp_targetILNS1_3genE3ELNS1_11target_archE908ELNS1_3gpuE7ELNS1_3repE0EEENS1_48merge_mergepath_partition_config_static_selectorELNS0_4arch9wavefront6targetE1EEEvSM_,"axG",@progbits,_ZN7rocprim17ROCPRIM_400000_NS6detail17trampoline_kernelINS0_14default_configENS1_38merge_sort_block_merge_config_selectorIlNS0_10empty_typeEEEZZNS1_27merge_sort_block_merge_implIS3_PlPS5_mZN2at6native12_GLOBAL__N_124unique_dim_cuda_templateIhEESt5tupleIJNSA_6TensorESF_SF_EERKSF_lbbbEUlllE_EE10hipError_tT0_T1_T2_jT3_P12ihipStream_tbPNSt15iterator_traitsISL_E10value_typeEPNSR_ISM_E10value_typeEPSN_NS1_7vsmem_tEENKUlT_SL_SM_SN_E_clIS8_S8_S9_S9_EESK_S10_SL_SM_SN_EUlS10_E_NS1_11comp_targetILNS1_3genE3ELNS1_11target_archE908ELNS1_3gpuE7ELNS1_3repE0EEENS1_48merge_mergepath_partition_config_static_selectorELNS0_4arch9wavefront6targetE1EEEvSM_,comdat
.Lfunc_end23:
	.size	_ZN7rocprim17ROCPRIM_400000_NS6detail17trampoline_kernelINS0_14default_configENS1_38merge_sort_block_merge_config_selectorIlNS0_10empty_typeEEEZZNS1_27merge_sort_block_merge_implIS3_PlPS5_mZN2at6native12_GLOBAL__N_124unique_dim_cuda_templateIhEESt5tupleIJNSA_6TensorESF_SF_EERKSF_lbbbEUlllE_EE10hipError_tT0_T1_T2_jT3_P12ihipStream_tbPNSt15iterator_traitsISL_E10value_typeEPNSR_ISM_E10value_typeEPSN_NS1_7vsmem_tEENKUlT_SL_SM_SN_E_clIS8_S8_S9_S9_EESK_S10_SL_SM_SN_EUlS10_E_NS1_11comp_targetILNS1_3genE3ELNS1_11target_archE908ELNS1_3gpuE7ELNS1_3repE0EEENS1_48merge_mergepath_partition_config_static_selectorELNS0_4arch9wavefront6targetE1EEEvSM_, .Lfunc_end23-_ZN7rocprim17ROCPRIM_400000_NS6detail17trampoline_kernelINS0_14default_configENS1_38merge_sort_block_merge_config_selectorIlNS0_10empty_typeEEEZZNS1_27merge_sort_block_merge_implIS3_PlPS5_mZN2at6native12_GLOBAL__N_124unique_dim_cuda_templateIhEESt5tupleIJNSA_6TensorESF_SF_EERKSF_lbbbEUlllE_EE10hipError_tT0_T1_T2_jT3_P12ihipStream_tbPNSt15iterator_traitsISL_E10value_typeEPNSR_ISM_E10value_typeEPSN_NS1_7vsmem_tEENKUlT_SL_SM_SN_E_clIS8_S8_S9_S9_EESK_S10_SL_SM_SN_EUlS10_E_NS1_11comp_targetILNS1_3genE3ELNS1_11target_archE908ELNS1_3gpuE7ELNS1_3repE0EEENS1_48merge_mergepath_partition_config_static_selectorELNS0_4arch9wavefront6targetE1EEEvSM_
                                        ; -- End function
	.section	.AMDGPU.csdata,"",@progbits
; Kernel info:
; codeLenInByte = 0
; NumSgprs: 6
; NumVgprs: 0
; NumAgprs: 0
; TotalNumVgprs: 0
; ScratchSize: 0
; MemoryBound: 0
; FloatMode: 240
; IeeeMode: 1
; LDSByteSize: 0 bytes/workgroup (compile time only)
; SGPRBlocks: 0
; VGPRBlocks: 0
; NumSGPRsForWavesPerEU: 6
; NumVGPRsForWavesPerEU: 1
; AccumOffset: 4
; Occupancy: 8
; WaveLimiterHint : 0
; COMPUTE_PGM_RSRC2:SCRATCH_EN: 0
; COMPUTE_PGM_RSRC2:USER_SGPR: 2
; COMPUTE_PGM_RSRC2:TRAP_HANDLER: 0
; COMPUTE_PGM_RSRC2:TGID_X_EN: 1
; COMPUTE_PGM_RSRC2:TGID_Y_EN: 0
; COMPUTE_PGM_RSRC2:TGID_Z_EN: 0
; COMPUTE_PGM_RSRC2:TIDIG_COMP_CNT: 0
; COMPUTE_PGM_RSRC3_GFX90A:ACCUM_OFFSET: 0
; COMPUTE_PGM_RSRC3_GFX90A:TG_SPLIT: 0
	.section	.text._ZN7rocprim17ROCPRIM_400000_NS6detail17trampoline_kernelINS0_14default_configENS1_38merge_sort_block_merge_config_selectorIlNS0_10empty_typeEEEZZNS1_27merge_sort_block_merge_implIS3_PlPS5_mZN2at6native12_GLOBAL__N_124unique_dim_cuda_templateIhEESt5tupleIJNSA_6TensorESF_SF_EERKSF_lbbbEUlllE_EE10hipError_tT0_T1_T2_jT3_P12ihipStream_tbPNSt15iterator_traitsISL_E10value_typeEPNSR_ISM_E10value_typeEPSN_NS1_7vsmem_tEENKUlT_SL_SM_SN_E_clIS8_S8_S9_S9_EESK_S10_SL_SM_SN_EUlS10_E_NS1_11comp_targetILNS1_3genE2ELNS1_11target_archE906ELNS1_3gpuE6ELNS1_3repE0EEENS1_48merge_mergepath_partition_config_static_selectorELNS0_4arch9wavefront6targetE1EEEvSM_,"axG",@progbits,_ZN7rocprim17ROCPRIM_400000_NS6detail17trampoline_kernelINS0_14default_configENS1_38merge_sort_block_merge_config_selectorIlNS0_10empty_typeEEEZZNS1_27merge_sort_block_merge_implIS3_PlPS5_mZN2at6native12_GLOBAL__N_124unique_dim_cuda_templateIhEESt5tupleIJNSA_6TensorESF_SF_EERKSF_lbbbEUlllE_EE10hipError_tT0_T1_T2_jT3_P12ihipStream_tbPNSt15iterator_traitsISL_E10value_typeEPNSR_ISM_E10value_typeEPSN_NS1_7vsmem_tEENKUlT_SL_SM_SN_E_clIS8_S8_S9_S9_EESK_S10_SL_SM_SN_EUlS10_E_NS1_11comp_targetILNS1_3genE2ELNS1_11target_archE906ELNS1_3gpuE6ELNS1_3repE0EEENS1_48merge_mergepath_partition_config_static_selectorELNS0_4arch9wavefront6targetE1EEEvSM_,comdat
	.globl	_ZN7rocprim17ROCPRIM_400000_NS6detail17trampoline_kernelINS0_14default_configENS1_38merge_sort_block_merge_config_selectorIlNS0_10empty_typeEEEZZNS1_27merge_sort_block_merge_implIS3_PlPS5_mZN2at6native12_GLOBAL__N_124unique_dim_cuda_templateIhEESt5tupleIJNSA_6TensorESF_SF_EERKSF_lbbbEUlllE_EE10hipError_tT0_T1_T2_jT3_P12ihipStream_tbPNSt15iterator_traitsISL_E10value_typeEPNSR_ISM_E10value_typeEPSN_NS1_7vsmem_tEENKUlT_SL_SM_SN_E_clIS8_S8_S9_S9_EESK_S10_SL_SM_SN_EUlS10_E_NS1_11comp_targetILNS1_3genE2ELNS1_11target_archE906ELNS1_3gpuE6ELNS1_3repE0EEENS1_48merge_mergepath_partition_config_static_selectorELNS0_4arch9wavefront6targetE1EEEvSM_ ; -- Begin function _ZN7rocprim17ROCPRIM_400000_NS6detail17trampoline_kernelINS0_14default_configENS1_38merge_sort_block_merge_config_selectorIlNS0_10empty_typeEEEZZNS1_27merge_sort_block_merge_implIS3_PlPS5_mZN2at6native12_GLOBAL__N_124unique_dim_cuda_templateIhEESt5tupleIJNSA_6TensorESF_SF_EERKSF_lbbbEUlllE_EE10hipError_tT0_T1_T2_jT3_P12ihipStream_tbPNSt15iterator_traitsISL_E10value_typeEPNSR_ISM_E10value_typeEPSN_NS1_7vsmem_tEENKUlT_SL_SM_SN_E_clIS8_S8_S9_S9_EESK_S10_SL_SM_SN_EUlS10_E_NS1_11comp_targetILNS1_3genE2ELNS1_11target_archE906ELNS1_3gpuE6ELNS1_3repE0EEENS1_48merge_mergepath_partition_config_static_selectorELNS0_4arch9wavefront6targetE1EEEvSM_
	.p2align	8
	.type	_ZN7rocprim17ROCPRIM_400000_NS6detail17trampoline_kernelINS0_14default_configENS1_38merge_sort_block_merge_config_selectorIlNS0_10empty_typeEEEZZNS1_27merge_sort_block_merge_implIS3_PlPS5_mZN2at6native12_GLOBAL__N_124unique_dim_cuda_templateIhEESt5tupleIJNSA_6TensorESF_SF_EERKSF_lbbbEUlllE_EE10hipError_tT0_T1_T2_jT3_P12ihipStream_tbPNSt15iterator_traitsISL_E10value_typeEPNSR_ISM_E10value_typeEPSN_NS1_7vsmem_tEENKUlT_SL_SM_SN_E_clIS8_S8_S9_S9_EESK_S10_SL_SM_SN_EUlS10_E_NS1_11comp_targetILNS1_3genE2ELNS1_11target_archE906ELNS1_3gpuE6ELNS1_3repE0EEENS1_48merge_mergepath_partition_config_static_selectorELNS0_4arch9wavefront6targetE1EEEvSM_,@function
_ZN7rocprim17ROCPRIM_400000_NS6detail17trampoline_kernelINS0_14default_configENS1_38merge_sort_block_merge_config_selectorIlNS0_10empty_typeEEEZZNS1_27merge_sort_block_merge_implIS3_PlPS5_mZN2at6native12_GLOBAL__N_124unique_dim_cuda_templateIhEESt5tupleIJNSA_6TensorESF_SF_EERKSF_lbbbEUlllE_EE10hipError_tT0_T1_T2_jT3_P12ihipStream_tbPNSt15iterator_traitsISL_E10value_typeEPNSR_ISM_E10value_typeEPSN_NS1_7vsmem_tEENKUlT_SL_SM_SN_E_clIS8_S8_S9_S9_EESK_S10_SL_SM_SN_EUlS10_E_NS1_11comp_targetILNS1_3genE2ELNS1_11target_archE906ELNS1_3gpuE6ELNS1_3repE0EEENS1_48merge_mergepath_partition_config_static_selectorELNS0_4arch9wavefront6targetE1EEEvSM_: ; @_ZN7rocprim17ROCPRIM_400000_NS6detail17trampoline_kernelINS0_14default_configENS1_38merge_sort_block_merge_config_selectorIlNS0_10empty_typeEEEZZNS1_27merge_sort_block_merge_implIS3_PlPS5_mZN2at6native12_GLOBAL__N_124unique_dim_cuda_templateIhEESt5tupleIJNSA_6TensorESF_SF_EERKSF_lbbbEUlllE_EE10hipError_tT0_T1_T2_jT3_P12ihipStream_tbPNSt15iterator_traitsISL_E10value_typeEPNSR_ISM_E10value_typeEPSN_NS1_7vsmem_tEENKUlT_SL_SM_SN_E_clIS8_S8_S9_S9_EESK_S10_SL_SM_SN_EUlS10_E_NS1_11comp_targetILNS1_3genE2ELNS1_11target_archE906ELNS1_3gpuE6ELNS1_3repE0EEENS1_48merge_mergepath_partition_config_static_selectorELNS0_4arch9wavefront6targetE1EEEvSM_
; %bb.0:
	.section	.rodata,"a",@progbits
	.p2align	6, 0x0
	.amdhsa_kernel _ZN7rocprim17ROCPRIM_400000_NS6detail17trampoline_kernelINS0_14default_configENS1_38merge_sort_block_merge_config_selectorIlNS0_10empty_typeEEEZZNS1_27merge_sort_block_merge_implIS3_PlPS5_mZN2at6native12_GLOBAL__N_124unique_dim_cuda_templateIhEESt5tupleIJNSA_6TensorESF_SF_EERKSF_lbbbEUlllE_EE10hipError_tT0_T1_T2_jT3_P12ihipStream_tbPNSt15iterator_traitsISL_E10value_typeEPNSR_ISM_E10value_typeEPSN_NS1_7vsmem_tEENKUlT_SL_SM_SN_E_clIS8_S8_S9_S9_EESK_S10_SL_SM_SN_EUlS10_E_NS1_11comp_targetILNS1_3genE2ELNS1_11target_archE906ELNS1_3gpuE6ELNS1_3repE0EEENS1_48merge_mergepath_partition_config_static_selectorELNS0_4arch9wavefront6targetE1EEEvSM_
		.amdhsa_group_segment_fixed_size 0
		.amdhsa_private_segment_fixed_size 0
		.amdhsa_kernarg_size 56
		.amdhsa_user_sgpr_count 2
		.amdhsa_user_sgpr_dispatch_ptr 0
		.amdhsa_user_sgpr_queue_ptr 0
		.amdhsa_user_sgpr_kernarg_segment_ptr 1
		.amdhsa_user_sgpr_dispatch_id 0
		.amdhsa_user_sgpr_kernarg_preload_length 0
		.amdhsa_user_sgpr_kernarg_preload_offset 0
		.amdhsa_user_sgpr_private_segment_size 0
		.amdhsa_uses_dynamic_stack 0
		.amdhsa_enable_private_segment 0
		.amdhsa_system_sgpr_workgroup_id_x 1
		.amdhsa_system_sgpr_workgroup_id_y 0
		.amdhsa_system_sgpr_workgroup_id_z 0
		.amdhsa_system_sgpr_workgroup_info 0
		.amdhsa_system_vgpr_workitem_id 0
		.amdhsa_next_free_vgpr 1
		.amdhsa_next_free_sgpr 0
		.amdhsa_accum_offset 4
		.amdhsa_reserve_vcc 0
		.amdhsa_float_round_mode_32 0
		.amdhsa_float_round_mode_16_64 0
		.amdhsa_float_denorm_mode_32 3
		.amdhsa_float_denorm_mode_16_64 3
		.amdhsa_dx10_clamp 1
		.amdhsa_ieee_mode 1
		.amdhsa_fp16_overflow 0
		.amdhsa_tg_split 0
		.amdhsa_exception_fp_ieee_invalid_op 0
		.amdhsa_exception_fp_denorm_src 0
		.amdhsa_exception_fp_ieee_div_zero 0
		.amdhsa_exception_fp_ieee_overflow 0
		.amdhsa_exception_fp_ieee_underflow 0
		.amdhsa_exception_fp_ieee_inexact 0
		.amdhsa_exception_int_div_zero 0
	.end_amdhsa_kernel
	.section	.text._ZN7rocprim17ROCPRIM_400000_NS6detail17trampoline_kernelINS0_14default_configENS1_38merge_sort_block_merge_config_selectorIlNS0_10empty_typeEEEZZNS1_27merge_sort_block_merge_implIS3_PlPS5_mZN2at6native12_GLOBAL__N_124unique_dim_cuda_templateIhEESt5tupleIJNSA_6TensorESF_SF_EERKSF_lbbbEUlllE_EE10hipError_tT0_T1_T2_jT3_P12ihipStream_tbPNSt15iterator_traitsISL_E10value_typeEPNSR_ISM_E10value_typeEPSN_NS1_7vsmem_tEENKUlT_SL_SM_SN_E_clIS8_S8_S9_S9_EESK_S10_SL_SM_SN_EUlS10_E_NS1_11comp_targetILNS1_3genE2ELNS1_11target_archE906ELNS1_3gpuE6ELNS1_3repE0EEENS1_48merge_mergepath_partition_config_static_selectorELNS0_4arch9wavefront6targetE1EEEvSM_,"axG",@progbits,_ZN7rocprim17ROCPRIM_400000_NS6detail17trampoline_kernelINS0_14default_configENS1_38merge_sort_block_merge_config_selectorIlNS0_10empty_typeEEEZZNS1_27merge_sort_block_merge_implIS3_PlPS5_mZN2at6native12_GLOBAL__N_124unique_dim_cuda_templateIhEESt5tupleIJNSA_6TensorESF_SF_EERKSF_lbbbEUlllE_EE10hipError_tT0_T1_T2_jT3_P12ihipStream_tbPNSt15iterator_traitsISL_E10value_typeEPNSR_ISM_E10value_typeEPSN_NS1_7vsmem_tEENKUlT_SL_SM_SN_E_clIS8_S8_S9_S9_EESK_S10_SL_SM_SN_EUlS10_E_NS1_11comp_targetILNS1_3genE2ELNS1_11target_archE906ELNS1_3gpuE6ELNS1_3repE0EEENS1_48merge_mergepath_partition_config_static_selectorELNS0_4arch9wavefront6targetE1EEEvSM_,comdat
.Lfunc_end24:
	.size	_ZN7rocprim17ROCPRIM_400000_NS6detail17trampoline_kernelINS0_14default_configENS1_38merge_sort_block_merge_config_selectorIlNS0_10empty_typeEEEZZNS1_27merge_sort_block_merge_implIS3_PlPS5_mZN2at6native12_GLOBAL__N_124unique_dim_cuda_templateIhEESt5tupleIJNSA_6TensorESF_SF_EERKSF_lbbbEUlllE_EE10hipError_tT0_T1_T2_jT3_P12ihipStream_tbPNSt15iterator_traitsISL_E10value_typeEPNSR_ISM_E10value_typeEPSN_NS1_7vsmem_tEENKUlT_SL_SM_SN_E_clIS8_S8_S9_S9_EESK_S10_SL_SM_SN_EUlS10_E_NS1_11comp_targetILNS1_3genE2ELNS1_11target_archE906ELNS1_3gpuE6ELNS1_3repE0EEENS1_48merge_mergepath_partition_config_static_selectorELNS0_4arch9wavefront6targetE1EEEvSM_, .Lfunc_end24-_ZN7rocprim17ROCPRIM_400000_NS6detail17trampoline_kernelINS0_14default_configENS1_38merge_sort_block_merge_config_selectorIlNS0_10empty_typeEEEZZNS1_27merge_sort_block_merge_implIS3_PlPS5_mZN2at6native12_GLOBAL__N_124unique_dim_cuda_templateIhEESt5tupleIJNSA_6TensorESF_SF_EERKSF_lbbbEUlllE_EE10hipError_tT0_T1_T2_jT3_P12ihipStream_tbPNSt15iterator_traitsISL_E10value_typeEPNSR_ISM_E10value_typeEPSN_NS1_7vsmem_tEENKUlT_SL_SM_SN_E_clIS8_S8_S9_S9_EESK_S10_SL_SM_SN_EUlS10_E_NS1_11comp_targetILNS1_3genE2ELNS1_11target_archE906ELNS1_3gpuE6ELNS1_3repE0EEENS1_48merge_mergepath_partition_config_static_selectorELNS0_4arch9wavefront6targetE1EEEvSM_
                                        ; -- End function
	.section	.AMDGPU.csdata,"",@progbits
; Kernel info:
; codeLenInByte = 0
; NumSgprs: 6
; NumVgprs: 0
; NumAgprs: 0
; TotalNumVgprs: 0
; ScratchSize: 0
; MemoryBound: 0
; FloatMode: 240
; IeeeMode: 1
; LDSByteSize: 0 bytes/workgroup (compile time only)
; SGPRBlocks: 0
; VGPRBlocks: 0
; NumSGPRsForWavesPerEU: 6
; NumVGPRsForWavesPerEU: 1
; AccumOffset: 4
; Occupancy: 8
; WaveLimiterHint : 0
; COMPUTE_PGM_RSRC2:SCRATCH_EN: 0
; COMPUTE_PGM_RSRC2:USER_SGPR: 2
; COMPUTE_PGM_RSRC2:TRAP_HANDLER: 0
; COMPUTE_PGM_RSRC2:TGID_X_EN: 1
; COMPUTE_PGM_RSRC2:TGID_Y_EN: 0
; COMPUTE_PGM_RSRC2:TGID_Z_EN: 0
; COMPUTE_PGM_RSRC2:TIDIG_COMP_CNT: 0
; COMPUTE_PGM_RSRC3_GFX90A:ACCUM_OFFSET: 0
; COMPUTE_PGM_RSRC3_GFX90A:TG_SPLIT: 0
	.section	.text._ZN7rocprim17ROCPRIM_400000_NS6detail17trampoline_kernelINS0_14default_configENS1_38merge_sort_block_merge_config_selectorIlNS0_10empty_typeEEEZZNS1_27merge_sort_block_merge_implIS3_PlPS5_mZN2at6native12_GLOBAL__N_124unique_dim_cuda_templateIhEESt5tupleIJNSA_6TensorESF_SF_EERKSF_lbbbEUlllE_EE10hipError_tT0_T1_T2_jT3_P12ihipStream_tbPNSt15iterator_traitsISL_E10value_typeEPNSR_ISM_E10value_typeEPSN_NS1_7vsmem_tEENKUlT_SL_SM_SN_E_clIS8_S8_S9_S9_EESK_S10_SL_SM_SN_EUlS10_E_NS1_11comp_targetILNS1_3genE9ELNS1_11target_archE1100ELNS1_3gpuE3ELNS1_3repE0EEENS1_48merge_mergepath_partition_config_static_selectorELNS0_4arch9wavefront6targetE1EEEvSM_,"axG",@progbits,_ZN7rocprim17ROCPRIM_400000_NS6detail17trampoline_kernelINS0_14default_configENS1_38merge_sort_block_merge_config_selectorIlNS0_10empty_typeEEEZZNS1_27merge_sort_block_merge_implIS3_PlPS5_mZN2at6native12_GLOBAL__N_124unique_dim_cuda_templateIhEESt5tupleIJNSA_6TensorESF_SF_EERKSF_lbbbEUlllE_EE10hipError_tT0_T1_T2_jT3_P12ihipStream_tbPNSt15iterator_traitsISL_E10value_typeEPNSR_ISM_E10value_typeEPSN_NS1_7vsmem_tEENKUlT_SL_SM_SN_E_clIS8_S8_S9_S9_EESK_S10_SL_SM_SN_EUlS10_E_NS1_11comp_targetILNS1_3genE9ELNS1_11target_archE1100ELNS1_3gpuE3ELNS1_3repE0EEENS1_48merge_mergepath_partition_config_static_selectorELNS0_4arch9wavefront6targetE1EEEvSM_,comdat
	.globl	_ZN7rocprim17ROCPRIM_400000_NS6detail17trampoline_kernelINS0_14default_configENS1_38merge_sort_block_merge_config_selectorIlNS0_10empty_typeEEEZZNS1_27merge_sort_block_merge_implIS3_PlPS5_mZN2at6native12_GLOBAL__N_124unique_dim_cuda_templateIhEESt5tupleIJNSA_6TensorESF_SF_EERKSF_lbbbEUlllE_EE10hipError_tT0_T1_T2_jT3_P12ihipStream_tbPNSt15iterator_traitsISL_E10value_typeEPNSR_ISM_E10value_typeEPSN_NS1_7vsmem_tEENKUlT_SL_SM_SN_E_clIS8_S8_S9_S9_EESK_S10_SL_SM_SN_EUlS10_E_NS1_11comp_targetILNS1_3genE9ELNS1_11target_archE1100ELNS1_3gpuE3ELNS1_3repE0EEENS1_48merge_mergepath_partition_config_static_selectorELNS0_4arch9wavefront6targetE1EEEvSM_ ; -- Begin function _ZN7rocprim17ROCPRIM_400000_NS6detail17trampoline_kernelINS0_14default_configENS1_38merge_sort_block_merge_config_selectorIlNS0_10empty_typeEEEZZNS1_27merge_sort_block_merge_implIS3_PlPS5_mZN2at6native12_GLOBAL__N_124unique_dim_cuda_templateIhEESt5tupleIJNSA_6TensorESF_SF_EERKSF_lbbbEUlllE_EE10hipError_tT0_T1_T2_jT3_P12ihipStream_tbPNSt15iterator_traitsISL_E10value_typeEPNSR_ISM_E10value_typeEPSN_NS1_7vsmem_tEENKUlT_SL_SM_SN_E_clIS8_S8_S9_S9_EESK_S10_SL_SM_SN_EUlS10_E_NS1_11comp_targetILNS1_3genE9ELNS1_11target_archE1100ELNS1_3gpuE3ELNS1_3repE0EEENS1_48merge_mergepath_partition_config_static_selectorELNS0_4arch9wavefront6targetE1EEEvSM_
	.p2align	8
	.type	_ZN7rocprim17ROCPRIM_400000_NS6detail17trampoline_kernelINS0_14default_configENS1_38merge_sort_block_merge_config_selectorIlNS0_10empty_typeEEEZZNS1_27merge_sort_block_merge_implIS3_PlPS5_mZN2at6native12_GLOBAL__N_124unique_dim_cuda_templateIhEESt5tupleIJNSA_6TensorESF_SF_EERKSF_lbbbEUlllE_EE10hipError_tT0_T1_T2_jT3_P12ihipStream_tbPNSt15iterator_traitsISL_E10value_typeEPNSR_ISM_E10value_typeEPSN_NS1_7vsmem_tEENKUlT_SL_SM_SN_E_clIS8_S8_S9_S9_EESK_S10_SL_SM_SN_EUlS10_E_NS1_11comp_targetILNS1_3genE9ELNS1_11target_archE1100ELNS1_3gpuE3ELNS1_3repE0EEENS1_48merge_mergepath_partition_config_static_selectorELNS0_4arch9wavefront6targetE1EEEvSM_,@function
_ZN7rocprim17ROCPRIM_400000_NS6detail17trampoline_kernelINS0_14default_configENS1_38merge_sort_block_merge_config_selectorIlNS0_10empty_typeEEEZZNS1_27merge_sort_block_merge_implIS3_PlPS5_mZN2at6native12_GLOBAL__N_124unique_dim_cuda_templateIhEESt5tupleIJNSA_6TensorESF_SF_EERKSF_lbbbEUlllE_EE10hipError_tT0_T1_T2_jT3_P12ihipStream_tbPNSt15iterator_traitsISL_E10value_typeEPNSR_ISM_E10value_typeEPSN_NS1_7vsmem_tEENKUlT_SL_SM_SN_E_clIS8_S8_S9_S9_EESK_S10_SL_SM_SN_EUlS10_E_NS1_11comp_targetILNS1_3genE9ELNS1_11target_archE1100ELNS1_3gpuE3ELNS1_3repE0EEENS1_48merge_mergepath_partition_config_static_selectorELNS0_4arch9wavefront6targetE1EEEvSM_: ; @_ZN7rocprim17ROCPRIM_400000_NS6detail17trampoline_kernelINS0_14default_configENS1_38merge_sort_block_merge_config_selectorIlNS0_10empty_typeEEEZZNS1_27merge_sort_block_merge_implIS3_PlPS5_mZN2at6native12_GLOBAL__N_124unique_dim_cuda_templateIhEESt5tupleIJNSA_6TensorESF_SF_EERKSF_lbbbEUlllE_EE10hipError_tT0_T1_T2_jT3_P12ihipStream_tbPNSt15iterator_traitsISL_E10value_typeEPNSR_ISM_E10value_typeEPSN_NS1_7vsmem_tEENKUlT_SL_SM_SN_E_clIS8_S8_S9_S9_EESK_S10_SL_SM_SN_EUlS10_E_NS1_11comp_targetILNS1_3genE9ELNS1_11target_archE1100ELNS1_3gpuE3ELNS1_3repE0EEENS1_48merge_mergepath_partition_config_static_selectorELNS0_4arch9wavefront6targetE1EEEvSM_
; %bb.0:
	.section	.rodata,"a",@progbits
	.p2align	6, 0x0
	.amdhsa_kernel _ZN7rocprim17ROCPRIM_400000_NS6detail17trampoline_kernelINS0_14default_configENS1_38merge_sort_block_merge_config_selectorIlNS0_10empty_typeEEEZZNS1_27merge_sort_block_merge_implIS3_PlPS5_mZN2at6native12_GLOBAL__N_124unique_dim_cuda_templateIhEESt5tupleIJNSA_6TensorESF_SF_EERKSF_lbbbEUlllE_EE10hipError_tT0_T1_T2_jT3_P12ihipStream_tbPNSt15iterator_traitsISL_E10value_typeEPNSR_ISM_E10value_typeEPSN_NS1_7vsmem_tEENKUlT_SL_SM_SN_E_clIS8_S8_S9_S9_EESK_S10_SL_SM_SN_EUlS10_E_NS1_11comp_targetILNS1_3genE9ELNS1_11target_archE1100ELNS1_3gpuE3ELNS1_3repE0EEENS1_48merge_mergepath_partition_config_static_selectorELNS0_4arch9wavefront6targetE1EEEvSM_
		.amdhsa_group_segment_fixed_size 0
		.amdhsa_private_segment_fixed_size 0
		.amdhsa_kernarg_size 56
		.amdhsa_user_sgpr_count 2
		.amdhsa_user_sgpr_dispatch_ptr 0
		.amdhsa_user_sgpr_queue_ptr 0
		.amdhsa_user_sgpr_kernarg_segment_ptr 1
		.amdhsa_user_sgpr_dispatch_id 0
		.amdhsa_user_sgpr_kernarg_preload_length 0
		.amdhsa_user_sgpr_kernarg_preload_offset 0
		.amdhsa_user_sgpr_private_segment_size 0
		.amdhsa_uses_dynamic_stack 0
		.amdhsa_enable_private_segment 0
		.amdhsa_system_sgpr_workgroup_id_x 1
		.amdhsa_system_sgpr_workgroup_id_y 0
		.amdhsa_system_sgpr_workgroup_id_z 0
		.amdhsa_system_sgpr_workgroup_info 0
		.amdhsa_system_vgpr_workitem_id 0
		.amdhsa_next_free_vgpr 1
		.amdhsa_next_free_sgpr 0
		.amdhsa_accum_offset 4
		.amdhsa_reserve_vcc 0
		.amdhsa_float_round_mode_32 0
		.amdhsa_float_round_mode_16_64 0
		.amdhsa_float_denorm_mode_32 3
		.amdhsa_float_denorm_mode_16_64 3
		.amdhsa_dx10_clamp 1
		.amdhsa_ieee_mode 1
		.amdhsa_fp16_overflow 0
		.amdhsa_tg_split 0
		.amdhsa_exception_fp_ieee_invalid_op 0
		.amdhsa_exception_fp_denorm_src 0
		.amdhsa_exception_fp_ieee_div_zero 0
		.amdhsa_exception_fp_ieee_overflow 0
		.amdhsa_exception_fp_ieee_underflow 0
		.amdhsa_exception_fp_ieee_inexact 0
		.amdhsa_exception_int_div_zero 0
	.end_amdhsa_kernel
	.section	.text._ZN7rocprim17ROCPRIM_400000_NS6detail17trampoline_kernelINS0_14default_configENS1_38merge_sort_block_merge_config_selectorIlNS0_10empty_typeEEEZZNS1_27merge_sort_block_merge_implIS3_PlPS5_mZN2at6native12_GLOBAL__N_124unique_dim_cuda_templateIhEESt5tupleIJNSA_6TensorESF_SF_EERKSF_lbbbEUlllE_EE10hipError_tT0_T1_T2_jT3_P12ihipStream_tbPNSt15iterator_traitsISL_E10value_typeEPNSR_ISM_E10value_typeEPSN_NS1_7vsmem_tEENKUlT_SL_SM_SN_E_clIS8_S8_S9_S9_EESK_S10_SL_SM_SN_EUlS10_E_NS1_11comp_targetILNS1_3genE9ELNS1_11target_archE1100ELNS1_3gpuE3ELNS1_3repE0EEENS1_48merge_mergepath_partition_config_static_selectorELNS0_4arch9wavefront6targetE1EEEvSM_,"axG",@progbits,_ZN7rocprim17ROCPRIM_400000_NS6detail17trampoline_kernelINS0_14default_configENS1_38merge_sort_block_merge_config_selectorIlNS0_10empty_typeEEEZZNS1_27merge_sort_block_merge_implIS3_PlPS5_mZN2at6native12_GLOBAL__N_124unique_dim_cuda_templateIhEESt5tupleIJNSA_6TensorESF_SF_EERKSF_lbbbEUlllE_EE10hipError_tT0_T1_T2_jT3_P12ihipStream_tbPNSt15iterator_traitsISL_E10value_typeEPNSR_ISM_E10value_typeEPSN_NS1_7vsmem_tEENKUlT_SL_SM_SN_E_clIS8_S8_S9_S9_EESK_S10_SL_SM_SN_EUlS10_E_NS1_11comp_targetILNS1_3genE9ELNS1_11target_archE1100ELNS1_3gpuE3ELNS1_3repE0EEENS1_48merge_mergepath_partition_config_static_selectorELNS0_4arch9wavefront6targetE1EEEvSM_,comdat
.Lfunc_end25:
	.size	_ZN7rocprim17ROCPRIM_400000_NS6detail17trampoline_kernelINS0_14default_configENS1_38merge_sort_block_merge_config_selectorIlNS0_10empty_typeEEEZZNS1_27merge_sort_block_merge_implIS3_PlPS5_mZN2at6native12_GLOBAL__N_124unique_dim_cuda_templateIhEESt5tupleIJNSA_6TensorESF_SF_EERKSF_lbbbEUlllE_EE10hipError_tT0_T1_T2_jT3_P12ihipStream_tbPNSt15iterator_traitsISL_E10value_typeEPNSR_ISM_E10value_typeEPSN_NS1_7vsmem_tEENKUlT_SL_SM_SN_E_clIS8_S8_S9_S9_EESK_S10_SL_SM_SN_EUlS10_E_NS1_11comp_targetILNS1_3genE9ELNS1_11target_archE1100ELNS1_3gpuE3ELNS1_3repE0EEENS1_48merge_mergepath_partition_config_static_selectorELNS0_4arch9wavefront6targetE1EEEvSM_, .Lfunc_end25-_ZN7rocprim17ROCPRIM_400000_NS6detail17trampoline_kernelINS0_14default_configENS1_38merge_sort_block_merge_config_selectorIlNS0_10empty_typeEEEZZNS1_27merge_sort_block_merge_implIS3_PlPS5_mZN2at6native12_GLOBAL__N_124unique_dim_cuda_templateIhEESt5tupleIJNSA_6TensorESF_SF_EERKSF_lbbbEUlllE_EE10hipError_tT0_T1_T2_jT3_P12ihipStream_tbPNSt15iterator_traitsISL_E10value_typeEPNSR_ISM_E10value_typeEPSN_NS1_7vsmem_tEENKUlT_SL_SM_SN_E_clIS8_S8_S9_S9_EESK_S10_SL_SM_SN_EUlS10_E_NS1_11comp_targetILNS1_3genE9ELNS1_11target_archE1100ELNS1_3gpuE3ELNS1_3repE0EEENS1_48merge_mergepath_partition_config_static_selectorELNS0_4arch9wavefront6targetE1EEEvSM_
                                        ; -- End function
	.section	.AMDGPU.csdata,"",@progbits
; Kernel info:
; codeLenInByte = 0
; NumSgprs: 6
; NumVgprs: 0
; NumAgprs: 0
; TotalNumVgprs: 0
; ScratchSize: 0
; MemoryBound: 0
; FloatMode: 240
; IeeeMode: 1
; LDSByteSize: 0 bytes/workgroup (compile time only)
; SGPRBlocks: 0
; VGPRBlocks: 0
; NumSGPRsForWavesPerEU: 6
; NumVGPRsForWavesPerEU: 1
; AccumOffset: 4
; Occupancy: 8
; WaveLimiterHint : 0
; COMPUTE_PGM_RSRC2:SCRATCH_EN: 0
; COMPUTE_PGM_RSRC2:USER_SGPR: 2
; COMPUTE_PGM_RSRC2:TRAP_HANDLER: 0
; COMPUTE_PGM_RSRC2:TGID_X_EN: 1
; COMPUTE_PGM_RSRC2:TGID_Y_EN: 0
; COMPUTE_PGM_RSRC2:TGID_Z_EN: 0
; COMPUTE_PGM_RSRC2:TIDIG_COMP_CNT: 0
; COMPUTE_PGM_RSRC3_GFX90A:ACCUM_OFFSET: 0
; COMPUTE_PGM_RSRC3_GFX90A:TG_SPLIT: 0
	.section	.text._ZN7rocprim17ROCPRIM_400000_NS6detail17trampoline_kernelINS0_14default_configENS1_38merge_sort_block_merge_config_selectorIlNS0_10empty_typeEEEZZNS1_27merge_sort_block_merge_implIS3_PlPS5_mZN2at6native12_GLOBAL__N_124unique_dim_cuda_templateIhEESt5tupleIJNSA_6TensorESF_SF_EERKSF_lbbbEUlllE_EE10hipError_tT0_T1_T2_jT3_P12ihipStream_tbPNSt15iterator_traitsISL_E10value_typeEPNSR_ISM_E10value_typeEPSN_NS1_7vsmem_tEENKUlT_SL_SM_SN_E_clIS8_S8_S9_S9_EESK_S10_SL_SM_SN_EUlS10_E_NS1_11comp_targetILNS1_3genE8ELNS1_11target_archE1030ELNS1_3gpuE2ELNS1_3repE0EEENS1_48merge_mergepath_partition_config_static_selectorELNS0_4arch9wavefront6targetE1EEEvSM_,"axG",@progbits,_ZN7rocprim17ROCPRIM_400000_NS6detail17trampoline_kernelINS0_14default_configENS1_38merge_sort_block_merge_config_selectorIlNS0_10empty_typeEEEZZNS1_27merge_sort_block_merge_implIS3_PlPS5_mZN2at6native12_GLOBAL__N_124unique_dim_cuda_templateIhEESt5tupleIJNSA_6TensorESF_SF_EERKSF_lbbbEUlllE_EE10hipError_tT0_T1_T2_jT3_P12ihipStream_tbPNSt15iterator_traitsISL_E10value_typeEPNSR_ISM_E10value_typeEPSN_NS1_7vsmem_tEENKUlT_SL_SM_SN_E_clIS8_S8_S9_S9_EESK_S10_SL_SM_SN_EUlS10_E_NS1_11comp_targetILNS1_3genE8ELNS1_11target_archE1030ELNS1_3gpuE2ELNS1_3repE0EEENS1_48merge_mergepath_partition_config_static_selectorELNS0_4arch9wavefront6targetE1EEEvSM_,comdat
	.globl	_ZN7rocprim17ROCPRIM_400000_NS6detail17trampoline_kernelINS0_14default_configENS1_38merge_sort_block_merge_config_selectorIlNS0_10empty_typeEEEZZNS1_27merge_sort_block_merge_implIS3_PlPS5_mZN2at6native12_GLOBAL__N_124unique_dim_cuda_templateIhEESt5tupleIJNSA_6TensorESF_SF_EERKSF_lbbbEUlllE_EE10hipError_tT0_T1_T2_jT3_P12ihipStream_tbPNSt15iterator_traitsISL_E10value_typeEPNSR_ISM_E10value_typeEPSN_NS1_7vsmem_tEENKUlT_SL_SM_SN_E_clIS8_S8_S9_S9_EESK_S10_SL_SM_SN_EUlS10_E_NS1_11comp_targetILNS1_3genE8ELNS1_11target_archE1030ELNS1_3gpuE2ELNS1_3repE0EEENS1_48merge_mergepath_partition_config_static_selectorELNS0_4arch9wavefront6targetE1EEEvSM_ ; -- Begin function _ZN7rocprim17ROCPRIM_400000_NS6detail17trampoline_kernelINS0_14default_configENS1_38merge_sort_block_merge_config_selectorIlNS0_10empty_typeEEEZZNS1_27merge_sort_block_merge_implIS3_PlPS5_mZN2at6native12_GLOBAL__N_124unique_dim_cuda_templateIhEESt5tupleIJNSA_6TensorESF_SF_EERKSF_lbbbEUlllE_EE10hipError_tT0_T1_T2_jT3_P12ihipStream_tbPNSt15iterator_traitsISL_E10value_typeEPNSR_ISM_E10value_typeEPSN_NS1_7vsmem_tEENKUlT_SL_SM_SN_E_clIS8_S8_S9_S9_EESK_S10_SL_SM_SN_EUlS10_E_NS1_11comp_targetILNS1_3genE8ELNS1_11target_archE1030ELNS1_3gpuE2ELNS1_3repE0EEENS1_48merge_mergepath_partition_config_static_selectorELNS0_4arch9wavefront6targetE1EEEvSM_
	.p2align	8
	.type	_ZN7rocprim17ROCPRIM_400000_NS6detail17trampoline_kernelINS0_14default_configENS1_38merge_sort_block_merge_config_selectorIlNS0_10empty_typeEEEZZNS1_27merge_sort_block_merge_implIS3_PlPS5_mZN2at6native12_GLOBAL__N_124unique_dim_cuda_templateIhEESt5tupleIJNSA_6TensorESF_SF_EERKSF_lbbbEUlllE_EE10hipError_tT0_T1_T2_jT3_P12ihipStream_tbPNSt15iterator_traitsISL_E10value_typeEPNSR_ISM_E10value_typeEPSN_NS1_7vsmem_tEENKUlT_SL_SM_SN_E_clIS8_S8_S9_S9_EESK_S10_SL_SM_SN_EUlS10_E_NS1_11comp_targetILNS1_3genE8ELNS1_11target_archE1030ELNS1_3gpuE2ELNS1_3repE0EEENS1_48merge_mergepath_partition_config_static_selectorELNS0_4arch9wavefront6targetE1EEEvSM_,@function
_ZN7rocprim17ROCPRIM_400000_NS6detail17trampoline_kernelINS0_14default_configENS1_38merge_sort_block_merge_config_selectorIlNS0_10empty_typeEEEZZNS1_27merge_sort_block_merge_implIS3_PlPS5_mZN2at6native12_GLOBAL__N_124unique_dim_cuda_templateIhEESt5tupleIJNSA_6TensorESF_SF_EERKSF_lbbbEUlllE_EE10hipError_tT0_T1_T2_jT3_P12ihipStream_tbPNSt15iterator_traitsISL_E10value_typeEPNSR_ISM_E10value_typeEPSN_NS1_7vsmem_tEENKUlT_SL_SM_SN_E_clIS8_S8_S9_S9_EESK_S10_SL_SM_SN_EUlS10_E_NS1_11comp_targetILNS1_3genE8ELNS1_11target_archE1030ELNS1_3gpuE2ELNS1_3repE0EEENS1_48merge_mergepath_partition_config_static_selectorELNS0_4arch9wavefront6targetE1EEEvSM_: ; @_ZN7rocprim17ROCPRIM_400000_NS6detail17trampoline_kernelINS0_14default_configENS1_38merge_sort_block_merge_config_selectorIlNS0_10empty_typeEEEZZNS1_27merge_sort_block_merge_implIS3_PlPS5_mZN2at6native12_GLOBAL__N_124unique_dim_cuda_templateIhEESt5tupleIJNSA_6TensorESF_SF_EERKSF_lbbbEUlllE_EE10hipError_tT0_T1_T2_jT3_P12ihipStream_tbPNSt15iterator_traitsISL_E10value_typeEPNSR_ISM_E10value_typeEPSN_NS1_7vsmem_tEENKUlT_SL_SM_SN_E_clIS8_S8_S9_S9_EESK_S10_SL_SM_SN_EUlS10_E_NS1_11comp_targetILNS1_3genE8ELNS1_11target_archE1030ELNS1_3gpuE2ELNS1_3repE0EEENS1_48merge_mergepath_partition_config_static_selectorELNS0_4arch9wavefront6targetE1EEEvSM_
; %bb.0:
	.section	.rodata,"a",@progbits
	.p2align	6, 0x0
	.amdhsa_kernel _ZN7rocprim17ROCPRIM_400000_NS6detail17trampoline_kernelINS0_14default_configENS1_38merge_sort_block_merge_config_selectorIlNS0_10empty_typeEEEZZNS1_27merge_sort_block_merge_implIS3_PlPS5_mZN2at6native12_GLOBAL__N_124unique_dim_cuda_templateIhEESt5tupleIJNSA_6TensorESF_SF_EERKSF_lbbbEUlllE_EE10hipError_tT0_T1_T2_jT3_P12ihipStream_tbPNSt15iterator_traitsISL_E10value_typeEPNSR_ISM_E10value_typeEPSN_NS1_7vsmem_tEENKUlT_SL_SM_SN_E_clIS8_S8_S9_S9_EESK_S10_SL_SM_SN_EUlS10_E_NS1_11comp_targetILNS1_3genE8ELNS1_11target_archE1030ELNS1_3gpuE2ELNS1_3repE0EEENS1_48merge_mergepath_partition_config_static_selectorELNS0_4arch9wavefront6targetE1EEEvSM_
		.amdhsa_group_segment_fixed_size 0
		.amdhsa_private_segment_fixed_size 0
		.amdhsa_kernarg_size 56
		.amdhsa_user_sgpr_count 2
		.amdhsa_user_sgpr_dispatch_ptr 0
		.amdhsa_user_sgpr_queue_ptr 0
		.amdhsa_user_sgpr_kernarg_segment_ptr 1
		.amdhsa_user_sgpr_dispatch_id 0
		.amdhsa_user_sgpr_kernarg_preload_length 0
		.amdhsa_user_sgpr_kernarg_preload_offset 0
		.amdhsa_user_sgpr_private_segment_size 0
		.amdhsa_uses_dynamic_stack 0
		.amdhsa_enable_private_segment 0
		.amdhsa_system_sgpr_workgroup_id_x 1
		.amdhsa_system_sgpr_workgroup_id_y 0
		.amdhsa_system_sgpr_workgroup_id_z 0
		.amdhsa_system_sgpr_workgroup_info 0
		.amdhsa_system_vgpr_workitem_id 0
		.amdhsa_next_free_vgpr 1
		.amdhsa_next_free_sgpr 0
		.amdhsa_accum_offset 4
		.amdhsa_reserve_vcc 0
		.amdhsa_float_round_mode_32 0
		.amdhsa_float_round_mode_16_64 0
		.amdhsa_float_denorm_mode_32 3
		.amdhsa_float_denorm_mode_16_64 3
		.amdhsa_dx10_clamp 1
		.amdhsa_ieee_mode 1
		.amdhsa_fp16_overflow 0
		.amdhsa_tg_split 0
		.amdhsa_exception_fp_ieee_invalid_op 0
		.amdhsa_exception_fp_denorm_src 0
		.amdhsa_exception_fp_ieee_div_zero 0
		.amdhsa_exception_fp_ieee_overflow 0
		.amdhsa_exception_fp_ieee_underflow 0
		.amdhsa_exception_fp_ieee_inexact 0
		.amdhsa_exception_int_div_zero 0
	.end_amdhsa_kernel
	.section	.text._ZN7rocprim17ROCPRIM_400000_NS6detail17trampoline_kernelINS0_14default_configENS1_38merge_sort_block_merge_config_selectorIlNS0_10empty_typeEEEZZNS1_27merge_sort_block_merge_implIS3_PlPS5_mZN2at6native12_GLOBAL__N_124unique_dim_cuda_templateIhEESt5tupleIJNSA_6TensorESF_SF_EERKSF_lbbbEUlllE_EE10hipError_tT0_T1_T2_jT3_P12ihipStream_tbPNSt15iterator_traitsISL_E10value_typeEPNSR_ISM_E10value_typeEPSN_NS1_7vsmem_tEENKUlT_SL_SM_SN_E_clIS8_S8_S9_S9_EESK_S10_SL_SM_SN_EUlS10_E_NS1_11comp_targetILNS1_3genE8ELNS1_11target_archE1030ELNS1_3gpuE2ELNS1_3repE0EEENS1_48merge_mergepath_partition_config_static_selectorELNS0_4arch9wavefront6targetE1EEEvSM_,"axG",@progbits,_ZN7rocprim17ROCPRIM_400000_NS6detail17trampoline_kernelINS0_14default_configENS1_38merge_sort_block_merge_config_selectorIlNS0_10empty_typeEEEZZNS1_27merge_sort_block_merge_implIS3_PlPS5_mZN2at6native12_GLOBAL__N_124unique_dim_cuda_templateIhEESt5tupleIJNSA_6TensorESF_SF_EERKSF_lbbbEUlllE_EE10hipError_tT0_T1_T2_jT3_P12ihipStream_tbPNSt15iterator_traitsISL_E10value_typeEPNSR_ISM_E10value_typeEPSN_NS1_7vsmem_tEENKUlT_SL_SM_SN_E_clIS8_S8_S9_S9_EESK_S10_SL_SM_SN_EUlS10_E_NS1_11comp_targetILNS1_3genE8ELNS1_11target_archE1030ELNS1_3gpuE2ELNS1_3repE0EEENS1_48merge_mergepath_partition_config_static_selectorELNS0_4arch9wavefront6targetE1EEEvSM_,comdat
.Lfunc_end26:
	.size	_ZN7rocprim17ROCPRIM_400000_NS6detail17trampoline_kernelINS0_14default_configENS1_38merge_sort_block_merge_config_selectorIlNS0_10empty_typeEEEZZNS1_27merge_sort_block_merge_implIS3_PlPS5_mZN2at6native12_GLOBAL__N_124unique_dim_cuda_templateIhEESt5tupleIJNSA_6TensorESF_SF_EERKSF_lbbbEUlllE_EE10hipError_tT0_T1_T2_jT3_P12ihipStream_tbPNSt15iterator_traitsISL_E10value_typeEPNSR_ISM_E10value_typeEPSN_NS1_7vsmem_tEENKUlT_SL_SM_SN_E_clIS8_S8_S9_S9_EESK_S10_SL_SM_SN_EUlS10_E_NS1_11comp_targetILNS1_3genE8ELNS1_11target_archE1030ELNS1_3gpuE2ELNS1_3repE0EEENS1_48merge_mergepath_partition_config_static_selectorELNS0_4arch9wavefront6targetE1EEEvSM_, .Lfunc_end26-_ZN7rocprim17ROCPRIM_400000_NS6detail17trampoline_kernelINS0_14default_configENS1_38merge_sort_block_merge_config_selectorIlNS0_10empty_typeEEEZZNS1_27merge_sort_block_merge_implIS3_PlPS5_mZN2at6native12_GLOBAL__N_124unique_dim_cuda_templateIhEESt5tupleIJNSA_6TensorESF_SF_EERKSF_lbbbEUlllE_EE10hipError_tT0_T1_T2_jT3_P12ihipStream_tbPNSt15iterator_traitsISL_E10value_typeEPNSR_ISM_E10value_typeEPSN_NS1_7vsmem_tEENKUlT_SL_SM_SN_E_clIS8_S8_S9_S9_EESK_S10_SL_SM_SN_EUlS10_E_NS1_11comp_targetILNS1_3genE8ELNS1_11target_archE1030ELNS1_3gpuE2ELNS1_3repE0EEENS1_48merge_mergepath_partition_config_static_selectorELNS0_4arch9wavefront6targetE1EEEvSM_
                                        ; -- End function
	.section	.AMDGPU.csdata,"",@progbits
; Kernel info:
; codeLenInByte = 0
; NumSgprs: 6
; NumVgprs: 0
; NumAgprs: 0
; TotalNumVgprs: 0
; ScratchSize: 0
; MemoryBound: 0
; FloatMode: 240
; IeeeMode: 1
; LDSByteSize: 0 bytes/workgroup (compile time only)
; SGPRBlocks: 0
; VGPRBlocks: 0
; NumSGPRsForWavesPerEU: 6
; NumVGPRsForWavesPerEU: 1
; AccumOffset: 4
; Occupancy: 8
; WaveLimiterHint : 0
; COMPUTE_PGM_RSRC2:SCRATCH_EN: 0
; COMPUTE_PGM_RSRC2:USER_SGPR: 2
; COMPUTE_PGM_RSRC2:TRAP_HANDLER: 0
; COMPUTE_PGM_RSRC2:TGID_X_EN: 1
; COMPUTE_PGM_RSRC2:TGID_Y_EN: 0
; COMPUTE_PGM_RSRC2:TGID_Z_EN: 0
; COMPUTE_PGM_RSRC2:TIDIG_COMP_CNT: 0
; COMPUTE_PGM_RSRC3_GFX90A:ACCUM_OFFSET: 0
; COMPUTE_PGM_RSRC3_GFX90A:TG_SPLIT: 0
	.section	.text._ZN7rocprim17ROCPRIM_400000_NS6detail17trampoline_kernelINS0_14default_configENS1_38merge_sort_block_merge_config_selectorIlNS0_10empty_typeEEEZZNS1_27merge_sort_block_merge_implIS3_PlPS5_mZN2at6native12_GLOBAL__N_124unique_dim_cuda_templateIhEESt5tupleIJNSA_6TensorESF_SF_EERKSF_lbbbEUlllE_EE10hipError_tT0_T1_T2_jT3_P12ihipStream_tbPNSt15iterator_traitsISL_E10value_typeEPNSR_ISM_E10value_typeEPSN_NS1_7vsmem_tEENKUlT_SL_SM_SN_E_clIS8_S8_S9_S9_EESK_S10_SL_SM_SN_EUlS10_E0_NS1_11comp_targetILNS1_3genE0ELNS1_11target_archE4294967295ELNS1_3gpuE0ELNS1_3repE0EEENS1_38merge_mergepath_config_static_selectorELNS0_4arch9wavefront6targetE1EEEvSM_,"axG",@progbits,_ZN7rocprim17ROCPRIM_400000_NS6detail17trampoline_kernelINS0_14default_configENS1_38merge_sort_block_merge_config_selectorIlNS0_10empty_typeEEEZZNS1_27merge_sort_block_merge_implIS3_PlPS5_mZN2at6native12_GLOBAL__N_124unique_dim_cuda_templateIhEESt5tupleIJNSA_6TensorESF_SF_EERKSF_lbbbEUlllE_EE10hipError_tT0_T1_T2_jT3_P12ihipStream_tbPNSt15iterator_traitsISL_E10value_typeEPNSR_ISM_E10value_typeEPSN_NS1_7vsmem_tEENKUlT_SL_SM_SN_E_clIS8_S8_S9_S9_EESK_S10_SL_SM_SN_EUlS10_E0_NS1_11comp_targetILNS1_3genE0ELNS1_11target_archE4294967295ELNS1_3gpuE0ELNS1_3repE0EEENS1_38merge_mergepath_config_static_selectorELNS0_4arch9wavefront6targetE1EEEvSM_,comdat
	.globl	_ZN7rocprim17ROCPRIM_400000_NS6detail17trampoline_kernelINS0_14default_configENS1_38merge_sort_block_merge_config_selectorIlNS0_10empty_typeEEEZZNS1_27merge_sort_block_merge_implIS3_PlPS5_mZN2at6native12_GLOBAL__N_124unique_dim_cuda_templateIhEESt5tupleIJNSA_6TensorESF_SF_EERKSF_lbbbEUlllE_EE10hipError_tT0_T1_T2_jT3_P12ihipStream_tbPNSt15iterator_traitsISL_E10value_typeEPNSR_ISM_E10value_typeEPSN_NS1_7vsmem_tEENKUlT_SL_SM_SN_E_clIS8_S8_S9_S9_EESK_S10_SL_SM_SN_EUlS10_E0_NS1_11comp_targetILNS1_3genE0ELNS1_11target_archE4294967295ELNS1_3gpuE0ELNS1_3repE0EEENS1_38merge_mergepath_config_static_selectorELNS0_4arch9wavefront6targetE1EEEvSM_ ; -- Begin function _ZN7rocprim17ROCPRIM_400000_NS6detail17trampoline_kernelINS0_14default_configENS1_38merge_sort_block_merge_config_selectorIlNS0_10empty_typeEEEZZNS1_27merge_sort_block_merge_implIS3_PlPS5_mZN2at6native12_GLOBAL__N_124unique_dim_cuda_templateIhEESt5tupleIJNSA_6TensorESF_SF_EERKSF_lbbbEUlllE_EE10hipError_tT0_T1_T2_jT3_P12ihipStream_tbPNSt15iterator_traitsISL_E10value_typeEPNSR_ISM_E10value_typeEPSN_NS1_7vsmem_tEENKUlT_SL_SM_SN_E_clIS8_S8_S9_S9_EESK_S10_SL_SM_SN_EUlS10_E0_NS1_11comp_targetILNS1_3genE0ELNS1_11target_archE4294967295ELNS1_3gpuE0ELNS1_3repE0EEENS1_38merge_mergepath_config_static_selectorELNS0_4arch9wavefront6targetE1EEEvSM_
	.p2align	8
	.type	_ZN7rocprim17ROCPRIM_400000_NS6detail17trampoline_kernelINS0_14default_configENS1_38merge_sort_block_merge_config_selectorIlNS0_10empty_typeEEEZZNS1_27merge_sort_block_merge_implIS3_PlPS5_mZN2at6native12_GLOBAL__N_124unique_dim_cuda_templateIhEESt5tupleIJNSA_6TensorESF_SF_EERKSF_lbbbEUlllE_EE10hipError_tT0_T1_T2_jT3_P12ihipStream_tbPNSt15iterator_traitsISL_E10value_typeEPNSR_ISM_E10value_typeEPSN_NS1_7vsmem_tEENKUlT_SL_SM_SN_E_clIS8_S8_S9_S9_EESK_S10_SL_SM_SN_EUlS10_E0_NS1_11comp_targetILNS1_3genE0ELNS1_11target_archE4294967295ELNS1_3gpuE0ELNS1_3repE0EEENS1_38merge_mergepath_config_static_selectorELNS0_4arch9wavefront6targetE1EEEvSM_,@function
_ZN7rocprim17ROCPRIM_400000_NS6detail17trampoline_kernelINS0_14default_configENS1_38merge_sort_block_merge_config_selectorIlNS0_10empty_typeEEEZZNS1_27merge_sort_block_merge_implIS3_PlPS5_mZN2at6native12_GLOBAL__N_124unique_dim_cuda_templateIhEESt5tupleIJNSA_6TensorESF_SF_EERKSF_lbbbEUlllE_EE10hipError_tT0_T1_T2_jT3_P12ihipStream_tbPNSt15iterator_traitsISL_E10value_typeEPNSR_ISM_E10value_typeEPSN_NS1_7vsmem_tEENKUlT_SL_SM_SN_E_clIS8_S8_S9_S9_EESK_S10_SL_SM_SN_EUlS10_E0_NS1_11comp_targetILNS1_3genE0ELNS1_11target_archE4294967295ELNS1_3gpuE0ELNS1_3repE0EEENS1_38merge_mergepath_config_static_selectorELNS0_4arch9wavefront6targetE1EEEvSM_: ; @_ZN7rocprim17ROCPRIM_400000_NS6detail17trampoline_kernelINS0_14default_configENS1_38merge_sort_block_merge_config_selectorIlNS0_10empty_typeEEEZZNS1_27merge_sort_block_merge_implIS3_PlPS5_mZN2at6native12_GLOBAL__N_124unique_dim_cuda_templateIhEESt5tupleIJNSA_6TensorESF_SF_EERKSF_lbbbEUlllE_EE10hipError_tT0_T1_T2_jT3_P12ihipStream_tbPNSt15iterator_traitsISL_E10value_typeEPNSR_ISM_E10value_typeEPSN_NS1_7vsmem_tEENKUlT_SL_SM_SN_E_clIS8_S8_S9_S9_EESK_S10_SL_SM_SN_EUlS10_E0_NS1_11comp_targetILNS1_3genE0ELNS1_11target_archE4294967295ELNS1_3gpuE0ELNS1_3repE0EEENS1_38merge_mergepath_config_static_selectorELNS0_4arch9wavefront6targetE1EEEvSM_
; %bb.0:
	.section	.rodata,"a",@progbits
	.p2align	6, 0x0
	.amdhsa_kernel _ZN7rocprim17ROCPRIM_400000_NS6detail17trampoline_kernelINS0_14default_configENS1_38merge_sort_block_merge_config_selectorIlNS0_10empty_typeEEEZZNS1_27merge_sort_block_merge_implIS3_PlPS5_mZN2at6native12_GLOBAL__N_124unique_dim_cuda_templateIhEESt5tupleIJNSA_6TensorESF_SF_EERKSF_lbbbEUlllE_EE10hipError_tT0_T1_T2_jT3_P12ihipStream_tbPNSt15iterator_traitsISL_E10value_typeEPNSR_ISM_E10value_typeEPSN_NS1_7vsmem_tEENKUlT_SL_SM_SN_E_clIS8_S8_S9_S9_EESK_S10_SL_SM_SN_EUlS10_E0_NS1_11comp_targetILNS1_3genE0ELNS1_11target_archE4294967295ELNS1_3gpuE0ELNS1_3repE0EEENS1_38merge_mergepath_config_static_selectorELNS0_4arch9wavefront6targetE1EEEvSM_
		.amdhsa_group_segment_fixed_size 0
		.amdhsa_private_segment_fixed_size 0
		.amdhsa_kernarg_size 88
		.amdhsa_user_sgpr_count 2
		.amdhsa_user_sgpr_dispatch_ptr 0
		.amdhsa_user_sgpr_queue_ptr 0
		.amdhsa_user_sgpr_kernarg_segment_ptr 1
		.amdhsa_user_sgpr_dispatch_id 0
		.amdhsa_user_sgpr_kernarg_preload_length 0
		.amdhsa_user_sgpr_kernarg_preload_offset 0
		.amdhsa_user_sgpr_private_segment_size 0
		.amdhsa_uses_dynamic_stack 0
		.amdhsa_enable_private_segment 0
		.amdhsa_system_sgpr_workgroup_id_x 1
		.amdhsa_system_sgpr_workgroup_id_y 0
		.amdhsa_system_sgpr_workgroup_id_z 0
		.amdhsa_system_sgpr_workgroup_info 0
		.amdhsa_system_vgpr_workitem_id 0
		.amdhsa_next_free_vgpr 1
		.amdhsa_next_free_sgpr 0
		.amdhsa_accum_offset 4
		.amdhsa_reserve_vcc 0
		.amdhsa_float_round_mode_32 0
		.amdhsa_float_round_mode_16_64 0
		.amdhsa_float_denorm_mode_32 3
		.amdhsa_float_denorm_mode_16_64 3
		.amdhsa_dx10_clamp 1
		.amdhsa_ieee_mode 1
		.amdhsa_fp16_overflow 0
		.amdhsa_tg_split 0
		.amdhsa_exception_fp_ieee_invalid_op 0
		.amdhsa_exception_fp_denorm_src 0
		.amdhsa_exception_fp_ieee_div_zero 0
		.amdhsa_exception_fp_ieee_overflow 0
		.amdhsa_exception_fp_ieee_underflow 0
		.amdhsa_exception_fp_ieee_inexact 0
		.amdhsa_exception_int_div_zero 0
	.end_amdhsa_kernel
	.section	.text._ZN7rocprim17ROCPRIM_400000_NS6detail17trampoline_kernelINS0_14default_configENS1_38merge_sort_block_merge_config_selectorIlNS0_10empty_typeEEEZZNS1_27merge_sort_block_merge_implIS3_PlPS5_mZN2at6native12_GLOBAL__N_124unique_dim_cuda_templateIhEESt5tupleIJNSA_6TensorESF_SF_EERKSF_lbbbEUlllE_EE10hipError_tT0_T1_T2_jT3_P12ihipStream_tbPNSt15iterator_traitsISL_E10value_typeEPNSR_ISM_E10value_typeEPSN_NS1_7vsmem_tEENKUlT_SL_SM_SN_E_clIS8_S8_S9_S9_EESK_S10_SL_SM_SN_EUlS10_E0_NS1_11comp_targetILNS1_3genE0ELNS1_11target_archE4294967295ELNS1_3gpuE0ELNS1_3repE0EEENS1_38merge_mergepath_config_static_selectorELNS0_4arch9wavefront6targetE1EEEvSM_,"axG",@progbits,_ZN7rocprim17ROCPRIM_400000_NS6detail17trampoline_kernelINS0_14default_configENS1_38merge_sort_block_merge_config_selectorIlNS0_10empty_typeEEEZZNS1_27merge_sort_block_merge_implIS3_PlPS5_mZN2at6native12_GLOBAL__N_124unique_dim_cuda_templateIhEESt5tupleIJNSA_6TensorESF_SF_EERKSF_lbbbEUlllE_EE10hipError_tT0_T1_T2_jT3_P12ihipStream_tbPNSt15iterator_traitsISL_E10value_typeEPNSR_ISM_E10value_typeEPSN_NS1_7vsmem_tEENKUlT_SL_SM_SN_E_clIS8_S8_S9_S9_EESK_S10_SL_SM_SN_EUlS10_E0_NS1_11comp_targetILNS1_3genE0ELNS1_11target_archE4294967295ELNS1_3gpuE0ELNS1_3repE0EEENS1_38merge_mergepath_config_static_selectorELNS0_4arch9wavefront6targetE1EEEvSM_,comdat
.Lfunc_end27:
	.size	_ZN7rocprim17ROCPRIM_400000_NS6detail17trampoline_kernelINS0_14default_configENS1_38merge_sort_block_merge_config_selectorIlNS0_10empty_typeEEEZZNS1_27merge_sort_block_merge_implIS3_PlPS5_mZN2at6native12_GLOBAL__N_124unique_dim_cuda_templateIhEESt5tupleIJNSA_6TensorESF_SF_EERKSF_lbbbEUlllE_EE10hipError_tT0_T1_T2_jT3_P12ihipStream_tbPNSt15iterator_traitsISL_E10value_typeEPNSR_ISM_E10value_typeEPSN_NS1_7vsmem_tEENKUlT_SL_SM_SN_E_clIS8_S8_S9_S9_EESK_S10_SL_SM_SN_EUlS10_E0_NS1_11comp_targetILNS1_3genE0ELNS1_11target_archE4294967295ELNS1_3gpuE0ELNS1_3repE0EEENS1_38merge_mergepath_config_static_selectorELNS0_4arch9wavefront6targetE1EEEvSM_, .Lfunc_end27-_ZN7rocprim17ROCPRIM_400000_NS6detail17trampoline_kernelINS0_14default_configENS1_38merge_sort_block_merge_config_selectorIlNS0_10empty_typeEEEZZNS1_27merge_sort_block_merge_implIS3_PlPS5_mZN2at6native12_GLOBAL__N_124unique_dim_cuda_templateIhEESt5tupleIJNSA_6TensorESF_SF_EERKSF_lbbbEUlllE_EE10hipError_tT0_T1_T2_jT3_P12ihipStream_tbPNSt15iterator_traitsISL_E10value_typeEPNSR_ISM_E10value_typeEPSN_NS1_7vsmem_tEENKUlT_SL_SM_SN_E_clIS8_S8_S9_S9_EESK_S10_SL_SM_SN_EUlS10_E0_NS1_11comp_targetILNS1_3genE0ELNS1_11target_archE4294967295ELNS1_3gpuE0ELNS1_3repE0EEENS1_38merge_mergepath_config_static_selectorELNS0_4arch9wavefront6targetE1EEEvSM_
                                        ; -- End function
	.section	.AMDGPU.csdata,"",@progbits
; Kernel info:
; codeLenInByte = 0
; NumSgprs: 6
; NumVgprs: 0
; NumAgprs: 0
; TotalNumVgprs: 0
; ScratchSize: 0
; MemoryBound: 0
; FloatMode: 240
; IeeeMode: 1
; LDSByteSize: 0 bytes/workgroup (compile time only)
; SGPRBlocks: 0
; VGPRBlocks: 0
; NumSGPRsForWavesPerEU: 6
; NumVGPRsForWavesPerEU: 1
; AccumOffset: 4
; Occupancy: 8
; WaveLimiterHint : 0
; COMPUTE_PGM_RSRC2:SCRATCH_EN: 0
; COMPUTE_PGM_RSRC2:USER_SGPR: 2
; COMPUTE_PGM_RSRC2:TRAP_HANDLER: 0
; COMPUTE_PGM_RSRC2:TGID_X_EN: 1
; COMPUTE_PGM_RSRC2:TGID_Y_EN: 0
; COMPUTE_PGM_RSRC2:TGID_Z_EN: 0
; COMPUTE_PGM_RSRC2:TIDIG_COMP_CNT: 0
; COMPUTE_PGM_RSRC3_GFX90A:ACCUM_OFFSET: 0
; COMPUTE_PGM_RSRC3_GFX90A:TG_SPLIT: 0
	.section	.text._ZN7rocprim17ROCPRIM_400000_NS6detail17trampoline_kernelINS0_14default_configENS1_38merge_sort_block_merge_config_selectorIlNS0_10empty_typeEEEZZNS1_27merge_sort_block_merge_implIS3_PlPS5_mZN2at6native12_GLOBAL__N_124unique_dim_cuda_templateIhEESt5tupleIJNSA_6TensorESF_SF_EERKSF_lbbbEUlllE_EE10hipError_tT0_T1_T2_jT3_P12ihipStream_tbPNSt15iterator_traitsISL_E10value_typeEPNSR_ISM_E10value_typeEPSN_NS1_7vsmem_tEENKUlT_SL_SM_SN_E_clIS8_S8_S9_S9_EESK_S10_SL_SM_SN_EUlS10_E0_NS1_11comp_targetILNS1_3genE10ELNS1_11target_archE1201ELNS1_3gpuE5ELNS1_3repE0EEENS1_38merge_mergepath_config_static_selectorELNS0_4arch9wavefront6targetE1EEEvSM_,"axG",@progbits,_ZN7rocprim17ROCPRIM_400000_NS6detail17trampoline_kernelINS0_14default_configENS1_38merge_sort_block_merge_config_selectorIlNS0_10empty_typeEEEZZNS1_27merge_sort_block_merge_implIS3_PlPS5_mZN2at6native12_GLOBAL__N_124unique_dim_cuda_templateIhEESt5tupleIJNSA_6TensorESF_SF_EERKSF_lbbbEUlllE_EE10hipError_tT0_T1_T2_jT3_P12ihipStream_tbPNSt15iterator_traitsISL_E10value_typeEPNSR_ISM_E10value_typeEPSN_NS1_7vsmem_tEENKUlT_SL_SM_SN_E_clIS8_S8_S9_S9_EESK_S10_SL_SM_SN_EUlS10_E0_NS1_11comp_targetILNS1_3genE10ELNS1_11target_archE1201ELNS1_3gpuE5ELNS1_3repE0EEENS1_38merge_mergepath_config_static_selectorELNS0_4arch9wavefront6targetE1EEEvSM_,comdat
	.globl	_ZN7rocprim17ROCPRIM_400000_NS6detail17trampoline_kernelINS0_14default_configENS1_38merge_sort_block_merge_config_selectorIlNS0_10empty_typeEEEZZNS1_27merge_sort_block_merge_implIS3_PlPS5_mZN2at6native12_GLOBAL__N_124unique_dim_cuda_templateIhEESt5tupleIJNSA_6TensorESF_SF_EERKSF_lbbbEUlllE_EE10hipError_tT0_T1_T2_jT3_P12ihipStream_tbPNSt15iterator_traitsISL_E10value_typeEPNSR_ISM_E10value_typeEPSN_NS1_7vsmem_tEENKUlT_SL_SM_SN_E_clIS8_S8_S9_S9_EESK_S10_SL_SM_SN_EUlS10_E0_NS1_11comp_targetILNS1_3genE10ELNS1_11target_archE1201ELNS1_3gpuE5ELNS1_3repE0EEENS1_38merge_mergepath_config_static_selectorELNS0_4arch9wavefront6targetE1EEEvSM_ ; -- Begin function _ZN7rocprim17ROCPRIM_400000_NS6detail17trampoline_kernelINS0_14default_configENS1_38merge_sort_block_merge_config_selectorIlNS0_10empty_typeEEEZZNS1_27merge_sort_block_merge_implIS3_PlPS5_mZN2at6native12_GLOBAL__N_124unique_dim_cuda_templateIhEESt5tupleIJNSA_6TensorESF_SF_EERKSF_lbbbEUlllE_EE10hipError_tT0_T1_T2_jT3_P12ihipStream_tbPNSt15iterator_traitsISL_E10value_typeEPNSR_ISM_E10value_typeEPSN_NS1_7vsmem_tEENKUlT_SL_SM_SN_E_clIS8_S8_S9_S9_EESK_S10_SL_SM_SN_EUlS10_E0_NS1_11comp_targetILNS1_3genE10ELNS1_11target_archE1201ELNS1_3gpuE5ELNS1_3repE0EEENS1_38merge_mergepath_config_static_selectorELNS0_4arch9wavefront6targetE1EEEvSM_
	.p2align	8
	.type	_ZN7rocprim17ROCPRIM_400000_NS6detail17trampoline_kernelINS0_14default_configENS1_38merge_sort_block_merge_config_selectorIlNS0_10empty_typeEEEZZNS1_27merge_sort_block_merge_implIS3_PlPS5_mZN2at6native12_GLOBAL__N_124unique_dim_cuda_templateIhEESt5tupleIJNSA_6TensorESF_SF_EERKSF_lbbbEUlllE_EE10hipError_tT0_T1_T2_jT3_P12ihipStream_tbPNSt15iterator_traitsISL_E10value_typeEPNSR_ISM_E10value_typeEPSN_NS1_7vsmem_tEENKUlT_SL_SM_SN_E_clIS8_S8_S9_S9_EESK_S10_SL_SM_SN_EUlS10_E0_NS1_11comp_targetILNS1_3genE10ELNS1_11target_archE1201ELNS1_3gpuE5ELNS1_3repE0EEENS1_38merge_mergepath_config_static_selectorELNS0_4arch9wavefront6targetE1EEEvSM_,@function
_ZN7rocprim17ROCPRIM_400000_NS6detail17trampoline_kernelINS0_14default_configENS1_38merge_sort_block_merge_config_selectorIlNS0_10empty_typeEEEZZNS1_27merge_sort_block_merge_implIS3_PlPS5_mZN2at6native12_GLOBAL__N_124unique_dim_cuda_templateIhEESt5tupleIJNSA_6TensorESF_SF_EERKSF_lbbbEUlllE_EE10hipError_tT0_T1_T2_jT3_P12ihipStream_tbPNSt15iterator_traitsISL_E10value_typeEPNSR_ISM_E10value_typeEPSN_NS1_7vsmem_tEENKUlT_SL_SM_SN_E_clIS8_S8_S9_S9_EESK_S10_SL_SM_SN_EUlS10_E0_NS1_11comp_targetILNS1_3genE10ELNS1_11target_archE1201ELNS1_3gpuE5ELNS1_3repE0EEENS1_38merge_mergepath_config_static_selectorELNS0_4arch9wavefront6targetE1EEEvSM_: ; @_ZN7rocprim17ROCPRIM_400000_NS6detail17trampoline_kernelINS0_14default_configENS1_38merge_sort_block_merge_config_selectorIlNS0_10empty_typeEEEZZNS1_27merge_sort_block_merge_implIS3_PlPS5_mZN2at6native12_GLOBAL__N_124unique_dim_cuda_templateIhEESt5tupleIJNSA_6TensorESF_SF_EERKSF_lbbbEUlllE_EE10hipError_tT0_T1_T2_jT3_P12ihipStream_tbPNSt15iterator_traitsISL_E10value_typeEPNSR_ISM_E10value_typeEPSN_NS1_7vsmem_tEENKUlT_SL_SM_SN_E_clIS8_S8_S9_S9_EESK_S10_SL_SM_SN_EUlS10_E0_NS1_11comp_targetILNS1_3genE10ELNS1_11target_archE1201ELNS1_3gpuE5ELNS1_3repE0EEENS1_38merge_mergepath_config_static_selectorELNS0_4arch9wavefront6targetE1EEEvSM_
; %bb.0:
	.section	.rodata,"a",@progbits
	.p2align	6, 0x0
	.amdhsa_kernel _ZN7rocprim17ROCPRIM_400000_NS6detail17trampoline_kernelINS0_14default_configENS1_38merge_sort_block_merge_config_selectorIlNS0_10empty_typeEEEZZNS1_27merge_sort_block_merge_implIS3_PlPS5_mZN2at6native12_GLOBAL__N_124unique_dim_cuda_templateIhEESt5tupleIJNSA_6TensorESF_SF_EERKSF_lbbbEUlllE_EE10hipError_tT0_T1_T2_jT3_P12ihipStream_tbPNSt15iterator_traitsISL_E10value_typeEPNSR_ISM_E10value_typeEPSN_NS1_7vsmem_tEENKUlT_SL_SM_SN_E_clIS8_S8_S9_S9_EESK_S10_SL_SM_SN_EUlS10_E0_NS1_11comp_targetILNS1_3genE10ELNS1_11target_archE1201ELNS1_3gpuE5ELNS1_3repE0EEENS1_38merge_mergepath_config_static_selectorELNS0_4arch9wavefront6targetE1EEEvSM_
		.amdhsa_group_segment_fixed_size 0
		.amdhsa_private_segment_fixed_size 0
		.amdhsa_kernarg_size 88
		.amdhsa_user_sgpr_count 2
		.amdhsa_user_sgpr_dispatch_ptr 0
		.amdhsa_user_sgpr_queue_ptr 0
		.amdhsa_user_sgpr_kernarg_segment_ptr 1
		.amdhsa_user_sgpr_dispatch_id 0
		.amdhsa_user_sgpr_kernarg_preload_length 0
		.amdhsa_user_sgpr_kernarg_preload_offset 0
		.amdhsa_user_sgpr_private_segment_size 0
		.amdhsa_uses_dynamic_stack 0
		.amdhsa_enable_private_segment 0
		.amdhsa_system_sgpr_workgroup_id_x 1
		.amdhsa_system_sgpr_workgroup_id_y 0
		.amdhsa_system_sgpr_workgroup_id_z 0
		.amdhsa_system_sgpr_workgroup_info 0
		.amdhsa_system_vgpr_workitem_id 0
		.amdhsa_next_free_vgpr 1
		.amdhsa_next_free_sgpr 0
		.amdhsa_accum_offset 4
		.amdhsa_reserve_vcc 0
		.amdhsa_float_round_mode_32 0
		.amdhsa_float_round_mode_16_64 0
		.amdhsa_float_denorm_mode_32 3
		.amdhsa_float_denorm_mode_16_64 3
		.amdhsa_dx10_clamp 1
		.amdhsa_ieee_mode 1
		.amdhsa_fp16_overflow 0
		.amdhsa_tg_split 0
		.amdhsa_exception_fp_ieee_invalid_op 0
		.amdhsa_exception_fp_denorm_src 0
		.amdhsa_exception_fp_ieee_div_zero 0
		.amdhsa_exception_fp_ieee_overflow 0
		.amdhsa_exception_fp_ieee_underflow 0
		.amdhsa_exception_fp_ieee_inexact 0
		.amdhsa_exception_int_div_zero 0
	.end_amdhsa_kernel
	.section	.text._ZN7rocprim17ROCPRIM_400000_NS6detail17trampoline_kernelINS0_14default_configENS1_38merge_sort_block_merge_config_selectorIlNS0_10empty_typeEEEZZNS1_27merge_sort_block_merge_implIS3_PlPS5_mZN2at6native12_GLOBAL__N_124unique_dim_cuda_templateIhEESt5tupleIJNSA_6TensorESF_SF_EERKSF_lbbbEUlllE_EE10hipError_tT0_T1_T2_jT3_P12ihipStream_tbPNSt15iterator_traitsISL_E10value_typeEPNSR_ISM_E10value_typeEPSN_NS1_7vsmem_tEENKUlT_SL_SM_SN_E_clIS8_S8_S9_S9_EESK_S10_SL_SM_SN_EUlS10_E0_NS1_11comp_targetILNS1_3genE10ELNS1_11target_archE1201ELNS1_3gpuE5ELNS1_3repE0EEENS1_38merge_mergepath_config_static_selectorELNS0_4arch9wavefront6targetE1EEEvSM_,"axG",@progbits,_ZN7rocprim17ROCPRIM_400000_NS6detail17trampoline_kernelINS0_14default_configENS1_38merge_sort_block_merge_config_selectorIlNS0_10empty_typeEEEZZNS1_27merge_sort_block_merge_implIS3_PlPS5_mZN2at6native12_GLOBAL__N_124unique_dim_cuda_templateIhEESt5tupleIJNSA_6TensorESF_SF_EERKSF_lbbbEUlllE_EE10hipError_tT0_T1_T2_jT3_P12ihipStream_tbPNSt15iterator_traitsISL_E10value_typeEPNSR_ISM_E10value_typeEPSN_NS1_7vsmem_tEENKUlT_SL_SM_SN_E_clIS8_S8_S9_S9_EESK_S10_SL_SM_SN_EUlS10_E0_NS1_11comp_targetILNS1_3genE10ELNS1_11target_archE1201ELNS1_3gpuE5ELNS1_3repE0EEENS1_38merge_mergepath_config_static_selectorELNS0_4arch9wavefront6targetE1EEEvSM_,comdat
.Lfunc_end28:
	.size	_ZN7rocprim17ROCPRIM_400000_NS6detail17trampoline_kernelINS0_14default_configENS1_38merge_sort_block_merge_config_selectorIlNS0_10empty_typeEEEZZNS1_27merge_sort_block_merge_implIS3_PlPS5_mZN2at6native12_GLOBAL__N_124unique_dim_cuda_templateIhEESt5tupleIJNSA_6TensorESF_SF_EERKSF_lbbbEUlllE_EE10hipError_tT0_T1_T2_jT3_P12ihipStream_tbPNSt15iterator_traitsISL_E10value_typeEPNSR_ISM_E10value_typeEPSN_NS1_7vsmem_tEENKUlT_SL_SM_SN_E_clIS8_S8_S9_S9_EESK_S10_SL_SM_SN_EUlS10_E0_NS1_11comp_targetILNS1_3genE10ELNS1_11target_archE1201ELNS1_3gpuE5ELNS1_3repE0EEENS1_38merge_mergepath_config_static_selectorELNS0_4arch9wavefront6targetE1EEEvSM_, .Lfunc_end28-_ZN7rocprim17ROCPRIM_400000_NS6detail17trampoline_kernelINS0_14default_configENS1_38merge_sort_block_merge_config_selectorIlNS0_10empty_typeEEEZZNS1_27merge_sort_block_merge_implIS3_PlPS5_mZN2at6native12_GLOBAL__N_124unique_dim_cuda_templateIhEESt5tupleIJNSA_6TensorESF_SF_EERKSF_lbbbEUlllE_EE10hipError_tT0_T1_T2_jT3_P12ihipStream_tbPNSt15iterator_traitsISL_E10value_typeEPNSR_ISM_E10value_typeEPSN_NS1_7vsmem_tEENKUlT_SL_SM_SN_E_clIS8_S8_S9_S9_EESK_S10_SL_SM_SN_EUlS10_E0_NS1_11comp_targetILNS1_3genE10ELNS1_11target_archE1201ELNS1_3gpuE5ELNS1_3repE0EEENS1_38merge_mergepath_config_static_selectorELNS0_4arch9wavefront6targetE1EEEvSM_
                                        ; -- End function
	.section	.AMDGPU.csdata,"",@progbits
; Kernel info:
; codeLenInByte = 0
; NumSgprs: 6
; NumVgprs: 0
; NumAgprs: 0
; TotalNumVgprs: 0
; ScratchSize: 0
; MemoryBound: 0
; FloatMode: 240
; IeeeMode: 1
; LDSByteSize: 0 bytes/workgroup (compile time only)
; SGPRBlocks: 0
; VGPRBlocks: 0
; NumSGPRsForWavesPerEU: 6
; NumVGPRsForWavesPerEU: 1
; AccumOffset: 4
; Occupancy: 8
; WaveLimiterHint : 0
; COMPUTE_PGM_RSRC2:SCRATCH_EN: 0
; COMPUTE_PGM_RSRC2:USER_SGPR: 2
; COMPUTE_PGM_RSRC2:TRAP_HANDLER: 0
; COMPUTE_PGM_RSRC2:TGID_X_EN: 1
; COMPUTE_PGM_RSRC2:TGID_Y_EN: 0
; COMPUTE_PGM_RSRC2:TGID_Z_EN: 0
; COMPUTE_PGM_RSRC2:TIDIG_COMP_CNT: 0
; COMPUTE_PGM_RSRC3_GFX90A:ACCUM_OFFSET: 0
; COMPUTE_PGM_RSRC3_GFX90A:TG_SPLIT: 0
	.section	.text._ZN7rocprim17ROCPRIM_400000_NS6detail17trampoline_kernelINS0_14default_configENS1_38merge_sort_block_merge_config_selectorIlNS0_10empty_typeEEEZZNS1_27merge_sort_block_merge_implIS3_PlPS5_mZN2at6native12_GLOBAL__N_124unique_dim_cuda_templateIhEESt5tupleIJNSA_6TensorESF_SF_EERKSF_lbbbEUlllE_EE10hipError_tT0_T1_T2_jT3_P12ihipStream_tbPNSt15iterator_traitsISL_E10value_typeEPNSR_ISM_E10value_typeEPSN_NS1_7vsmem_tEENKUlT_SL_SM_SN_E_clIS8_S8_S9_S9_EESK_S10_SL_SM_SN_EUlS10_E0_NS1_11comp_targetILNS1_3genE5ELNS1_11target_archE942ELNS1_3gpuE9ELNS1_3repE0EEENS1_38merge_mergepath_config_static_selectorELNS0_4arch9wavefront6targetE1EEEvSM_,"axG",@progbits,_ZN7rocprim17ROCPRIM_400000_NS6detail17trampoline_kernelINS0_14default_configENS1_38merge_sort_block_merge_config_selectorIlNS0_10empty_typeEEEZZNS1_27merge_sort_block_merge_implIS3_PlPS5_mZN2at6native12_GLOBAL__N_124unique_dim_cuda_templateIhEESt5tupleIJNSA_6TensorESF_SF_EERKSF_lbbbEUlllE_EE10hipError_tT0_T1_T2_jT3_P12ihipStream_tbPNSt15iterator_traitsISL_E10value_typeEPNSR_ISM_E10value_typeEPSN_NS1_7vsmem_tEENKUlT_SL_SM_SN_E_clIS8_S8_S9_S9_EESK_S10_SL_SM_SN_EUlS10_E0_NS1_11comp_targetILNS1_3genE5ELNS1_11target_archE942ELNS1_3gpuE9ELNS1_3repE0EEENS1_38merge_mergepath_config_static_selectorELNS0_4arch9wavefront6targetE1EEEvSM_,comdat
	.globl	_ZN7rocprim17ROCPRIM_400000_NS6detail17trampoline_kernelINS0_14default_configENS1_38merge_sort_block_merge_config_selectorIlNS0_10empty_typeEEEZZNS1_27merge_sort_block_merge_implIS3_PlPS5_mZN2at6native12_GLOBAL__N_124unique_dim_cuda_templateIhEESt5tupleIJNSA_6TensorESF_SF_EERKSF_lbbbEUlllE_EE10hipError_tT0_T1_T2_jT3_P12ihipStream_tbPNSt15iterator_traitsISL_E10value_typeEPNSR_ISM_E10value_typeEPSN_NS1_7vsmem_tEENKUlT_SL_SM_SN_E_clIS8_S8_S9_S9_EESK_S10_SL_SM_SN_EUlS10_E0_NS1_11comp_targetILNS1_3genE5ELNS1_11target_archE942ELNS1_3gpuE9ELNS1_3repE0EEENS1_38merge_mergepath_config_static_selectorELNS0_4arch9wavefront6targetE1EEEvSM_ ; -- Begin function _ZN7rocprim17ROCPRIM_400000_NS6detail17trampoline_kernelINS0_14default_configENS1_38merge_sort_block_merge_config_selectorIlNS0_10empty_typeEEEZZNS1_27merge_sort_block_merge_implIS3_PlPS5_mZN2at6native12_GLOBAL__N_124unique_dim_cuda_templateIhEESt5tupleIJNSA_6TensorESF_SF_EERKSF_lbbbEUlllE_EE10hipError_tT0_T1_T2_jT3_P12ihipStream_tbPNSt15iterator_traitsISL_E10value_typeEPNSR_ISM_E10value_typeEPSN_NS1_7vsmem_tEENKUlT_SL_SM_SN_E_clIS8_S8_S9_S9_EESK_S10_SL_SM_SN_EUlS10_E0_NS1_11comp_targetILNS1_3genE5ELNS1_11target_archE942ELNS1_3gpuE9ELNS1_3repE0EEENS1_38merge_mergepath_config_static_selectorELNS0_4arch9wavefront6targetE1EEEvSM_
	.p2align	8
	.type	_ZN7rocprim17ROCPRIM_400000_NS6detail17trampoline_kernelINS0_14default_configENS1_38merge_sort_block_merge_config_selectorIlNS0_10empty_typeEEEZZNS1_27merge_sort_block_merge_implIS3_PlPS5_mZN2at6native12_GLOBAL__N_124unique_dim_cuda_templateIhEESt5tupleIJNSA_6TensorESF_SF_EERKSF_lbbbEUlllE_EE10hipError_tT0_T1_T2_jT3_P12ihipStream_tbPNSt15iterator_traitsISL_E10value_typeEPNSR_ISM_E10value_typeEPSN_NS1_7vsmem_tEENKUlT_SL_SM_SN_E_clIS8_S8_S9_S9_EESK_S10_SL_SM_SN_EUlS10_E0_NS1_11comp_targetILNS1_3genE5ELNS1_11target_archE942ELNS1_3gpuE9ELNS1_3repE0EEENS1_38merge_mergepath_config_static_selectorELNS0_4arch9wavefront6targetE1EEEvSM_,@function
_ZN7rocprim17ROCPRIM_400000_NS6detail17trampoline_kernelINS0_14default_configENS1_38merge_sort_block_merge_config_selectorIlNS0_10empty_typeEEEZZNS1_27merge_sort_block_merge_implIS3_PlPS5_mZN2at6native12_GLOBAL__N_124unique_dim_cuda_templateIhEESt5tupleIJNSA_6TensorESF_SF_EERKSF_lbbbEUlllE_EE10hipError_tT0_T1_T2_jT3_P12ihipStream_tbPNSt15iterator_traitsISL_E10value_typeEPNSR_ISM_E10value_typeEPSN_NS1_7vsmem_tEENKUlT_SL_SM_SN_E_clIS8_S8_S9_S9_EESK_S10_SL_SM_SN_EUlS10_E0_NS1_11comp_targetILNS1_3genE5ELNS1_11target_archE942ELNS1_3gpuE9ELNS1_3repE0EEENS1_38merge_mergepath_config_static_selectorELNS0_4arch9wavefront6targetE1EEEvSM_: ; @_ZN7rocprim17ROCPRIM_400000_NS6detail17trampoline_kernelINS0_14default_configENS1_38merge_sort_block_merge_config_selectorIlNS0_10empty_typeEEEZZNS1_27merge_sort_block_merge_implIS3_PlPS5_mZN2at6native12_GLOBAL__N_124unique_dim_cuda_templateIhEESt5tupleIJNSA_6TensorESF_SF_EERKSF_lbbbEUlllE_EE10hipError_tT0_T1_T2_jT3_P12ihipStream_tbPNSt15iterator_traitsISL_E10value_typeEPNSR_ISM_E10value_typeEPSN_NS1_7vsmem_tEENKUlT_SL_SM_SN_E_clIS8_S8_S9_S9_EESK_S10_SL_SM_SN_EUlS10_E0_NS1_11comp_targetILNS1_3genE5ELNS1_11target_archE942ELNS1_3gpuE9ELNS1_3repE0EEENS1_38merge_mergepath_config_static_selectorELNS0_4arch9wavefront6targetE1EEEvSM_
; %bb.0:
	s_load_dwordx2 s[24:25], s[0:1], 0x58
	s_load_dword s5, s[0:1], 0x38
	s_add_u32 s22, s0, 0x58
	s_addc_u32 s23, s1, 0
	s_waitcnt lgkmcnt(0)
	s_mul_i32 s4, s25, s4
	s_add_i32 s3, s4, s3
	s_mul_i32 s3, s3, s24
	s_add_i32 s6, s3, s2
	s_cmp_ge_u32 s6, s5
	s_cbranch_scc1 .LBB29_136
; %bb.1:
	s_load_dwordx2 s[4:5], s[0:1], 0x50
	s_load_dwordx4 s[12:15], s[0:1], 0x8
	s_load_dwordx4 s[8:11], s[0:1], 0x28
	s_mov_b32 s7, 0
	s_lshl_b64 s[16:17], s[6:7], 3
	s_waitcnt lgkmcnt(0)
	s_add_u32 s4, s4, s16
	s_addc_u32 s5, s5, s17
	v_mov_b32_e32 v1, s10
	v_alignbit_b32 v1, s11, v1, 9
	v_and_b32_e32 v1, -2, v1
	v_sub_u32_e32 v1, 0, v1
	s_load_dwordx4 s[16:19], s[4:5], 0x0
	v_and_b32_e32 v2, s6, v1
	v_mov_b32_e32 v3, 0
	v_lshlrev_b64 v[6:7], 10, v[2:3]
	s_lshl_b64 s[20:21], s[6:7], 10
	v_mov_b32_e32 v5, s21
	v_sub_co_u32_e32 v4, vcc, s20, v6
	v_lshlrev_b64 v[2:3], 11, v[2:3]
	s_nop 0
	v_subb_co_u32_e32 v5, vcc, v5, v7, vcc
	v_lshl_add_u64 v[8:9], v[2:3], 0, s[10:11]
	v_lshl_add_u64 v[2:3], v[8:9], 0, v[4:5]
	s_waitcnt lgkmcnt(0)
	v_mov_b32_e32 v5, s19
	v_subrev_co_u32_e32 v4, vcc, s18, v2
	s_mov_b64 s[4:5], 0x400
	s_nop 0
	v_subb_co_u32_e32 v5, vcc, v3, v5, vcc
	v_or_b32_e32 v1, s6, v1
	v_lshl_add_u64 v[10:11], v[4:5], 0, s[4:5]
	v_cmp_ne_u32_e32 vcc, -1, v1
	v_cmp_lt_u64_e64 s[4:5], s[8:9], v[10:11]
	s_cbranch_vccz .LBB29_3
; %bb.2:
	v_mov_b32_e32 v1, s8
	v_mov_b64_e32 v[4:5], s[18:19]
	v_cndmask_b32_e64 v6, v10, v1, s[4:5]
	s_branch .LBB29_4
.LBB29_3:
	v_sub_co_u32_e32 v6, vcc, v8, v6
	v_mov_b32_e32 v1, s8
	s_nop 0
	v_subb_co_u32_e32 v7, vcc, v9, v7, vcc
	v_cmp_lt_u64_e32 vcc, s[8:9], v[6:7]
	s_nop 1
	v_cndmask_b32_e32 v4, v6, v1, vcc
	v_lshl_add_u64 v[6:7], v[6:7], 0, s[10:11]
	v_cmp_lt_u64_e32 vcc, s[8:9], v[6:7]
	s_nop 1
	v_cndmask_b32_e32 v6, v6, v1, vcc
.LBB29_4:
	s_lshr_b64 s[18:19], s[8:9], 10
	s_cmp_lg_u64 s[18:19], s[6:7]
	s_cselect_b64 s[10:11], -1, 0
	s_lshl_b64 s[4:5], s[16:17], 3
	s_add_u32 s4, s12, s4
	s_addc_u32 s5, s13, s5
	s_cmp_lt_u32 s2, s24
	v_mov_b32_e32 v19, 0
	s_cselect_b32 s2, 12, 18
	global_load_dword v5, v19, s[22:23] offset:14
	s_add_u32 s2, s22, s2
	s_addc_u32 s3, s23, 0
	global_load_ushort v7, v19, s[2:3]
	v_mov_b32_e32 v8, s17
	v_subrev_co_u32_e32 v2, vcc, s16, v2
	v_mov_b32_e32 v9, s9
	s_nop 0
	v_subb_co_u32_e32 v3, vcc, v3, v8, vcc
	v_mov_b32_e32 v10, s8
	v_cmp_lt_u64_e32 vcc, s[8:9], v[2:3]
	v_subrev_u32_e32 v1, s16, v4
	s_cmp_eq_u64 s[18:19], s[6:7]
	v_cndmask_b32_e32 v3, v3, v9, vcc
	v_cndmask_b32_e32 v2, v2, v10, vcc
	v_sub_u32_e32 v25, v6, v2
	v_lshlrev_b64 v[2:3], 3, v[2:3]
	v_lshl_add_u64 v[20:21], s[12:13], 0, v[2:3]
	v_lshlrev_b32_e32 v18, 3, v0
	s_waitcnt vmcnt(1)
	v_lshrrev_b32_e32 v2, 16, v5
	v_and_b32_e32 v3, 0xffff, v5
	v_mul_lo_u32 v2, v3, v2
	s_waitcnt vmcnt(0)
	v_mul_lo_u32 v26, v2, v7
	s_cbranch_scc1 .LBB29_6
; %bb.5:
	v_sub_u32_e32 v4, v0, v1
	v_mov_b32_e32 v5, v19
	v_add_u32_e32 v6, v26, v0
	v_lshl_add_u64 v[2:3], s[4:5], 0, v[18:19]
	v_lshl_add_u64 v[4:5], v[4:5], 3, v[20:21]
	v_cmp_lt_u32_e32 vcc, v0, v1
	v_mov_b32_e32 v7, v19
	v_sub_u32_e32 v8, v6, v1
	v_mov_b32_e32 v9, v19
	v_cndmask_b32_e32 v3, v5, v3, vcc
	v_cndmask_b32_e32 v2, v4, v2, vcc
	v_lshl_add_u64 v[4:5], v[6:7], 3, s[4:5]
	v_lshl_add_u64 v[8:9], v[8:9], 3, v[20:21]
	v_cmp_lt_u32_e32 vcc, v6, v1
	v_mov_b32_e32 v11, v19
	v_mov_b32_e32 v13, v19
	v_cndmask_b32_e32 v4, v8, v4, vcc
	v_add_u32_e32 v8, v6, v26
	v_cndmask_b32_e32 v5, v9, v5, vcc
	v_mov_b32_e32 v9, v19
	v_sub_u32_e32 v10, v8, v1
	v_lshl_add_u64 v[6:7], v[8:9], 3, s[4:5]
	v_lshl_add_u64 v[10:11], v[10:11], 3, v[20:21]
	v_cmp_lt_u32_e32 vcc, v8, v1
	v_mov_b32_e32 v15, v19
	v_mov_b32_e32 v17, v19
	v_cndmask_b32_e32 v6, v10, v6, vcc
	v_add_u32_e32 v10, v8, v26
	v_cndmask_b32_e32 v7, v11, v7, vcc
	v_mov_b32_e32 v11, v19
	v_sub_u32_e32 v12, v10, v1
	;; [unrolled: 10-line block ×3, first 2 shown]
	v_lshl_add_u64 v[10:11], v[12:13], 3, s[4:5]
	v_lshl_add_u64 v[14:15], v[14:15], 3, v[20:21]
	v_cmp_lt_u32_e32 vcc, v12, v1
	global_load_dwordx2 v[2:3], v[2:3], off
	v_add_u32_e32 v24, v1, v25
	v_cndmask_b32_e32 v10, v14, v10, vcc
	v_add_u32_e32 v14, v12, v26
	v_cndmask_b32_e32 v11, v15, v11, vcc
	v_mov_b32_e32 v15, v19
	v_sub_u32_e32 v16, v14, v1
	v_lshl_add_u64 v[12:13], v[14:15], 3, s[4:5]
	v_lshl_add_u64 v[16:17], v[16:17], 3, v[20:21]
	v_cmp_lt_u32_e32 vcc, v14, v1
	global_load_dwordx2 v[4:5], v[4:5], off
	s_nop 0
	v_cndmask_b32_e32 v13, v17, v13, vcc
	v_cndmask_b32_e32 v12, v16, v12, vcc
	v_add_u32_e32 v16, v14, v26
	v_mov_b32_e32 v17, v19
	v_lshl_add_u64 v[14:15], v[16:17], 3, s[4:5]
	v_sub_u32_e32 v22, v16, v1
	v_cmp_lt_u32_e32 vcc, v16, v1
	v_add_u32_e32 v16, v16, v26
	v_lshl_add_u64 v[22:23], v[22:23], 3, v[20:21]
	v_sub_u32_e32 v28, v16, v1
	v_cndmask_b32_e32 v15, v23, v15, vcc
	v_cndmask_b32_e32 v14, v22, v14, vcc
	v_lshl_add_u64 v[22:23], v[16:17], 3, s[4:5]
	v_lshl_add_u64 v[28:29], v[28:29], 3, v[20:21]
	v_cmp_lt_u32_e32 vcc, v16, v1
	global_load_dwordx2 v[6:7], v[6:7], off
	s_nop 0
	v_cndmask_b32_e32 v17, v29, v23, vcc
	v_cndmask_b32_e32 v16, v28, v22, vcc
	global_load_dwordx2 v[8:9], v[8:9], off
	s_nop 0
	global_load_dwordx2 v[10:11], v[10:11], off
	s_nop 0
	;; [unrolled: 2-line block ×4, first 2 shown]
	global_load_dwordx2 v[16:17], v[16:17], off
	s_cbranch_execz .LBB29_7
	s_branch .LBB29_24
.LBB29_6:
                                        ; implicit-def: $vgpr2_vgpr3_vgpr4_vgpr5_vgpr6_vgpr7_vgpr8_vgpr9_vgpr10_vgpr11_vgpr12_vgpr13_vgpr14_vgpr15_vgpr16_vgpr17
                                        ; implicit-def: $vgpr24
.LBB29_7:
	v_add_u32_e32 v24, v1, v25
	v_cmp_lt_u32_e32 vcc, v0, v24
                                        ; implicit-def: $vgpr2_vgpr3_vgpr4_vgpr5_vgpr6_vgpr7_vgpr8_vgpr9_vgpr10_vgpr11_vgpr12_vgpr13_vgpr14_vgpr15_vgpr16_vgpr17
	s_and_saveexec_b64 s[2:3], vcc
	s_cbranch_execz .LBB29_9
; %bb.8:
	v_mov_b32_e32 v19, 0
	s_waitcnt vmcnt(6)
	v_sub_u32_e32 v4, v0, v1
	v_mov_b32_e32 v5, v19
	v_lshl_add_u64 v[2:3], s[4:5], 0, v[18:19]
	v_lshl_add_u64 v[4:5], v[4:5], 3, v[20:21]
	v_cmp_lt_u32_e32 vcc, v0, v1
	s_nop 1
	v_cndmask_b32_e32 v3, v5, v3, vcc
	v_cndmask_b32_e32 v2, v4, v2, vcc
	global_load_dwordx2 v[2:3], v[2:3], off
.LBB29_9:
	s_or_b64 exec, exec, s[2:3]
	v_add_u32_e32 v22, v26, v0
	v_cmp_lt_u32_e32 vcc, v22, v24
	s_and_saveexec_b64 s[2:3], vcc
	s_cbranch_execz .LBB29_11
; %bb.10:
	v_mov_b32_e32 v23, 0
	v_sub_u32_e32 v28, v22, v1
	v_mov_b32_e32 v29, v23
	s_waitcnt vmcnt(6)
	v_lshl_add_u64 v[4:5], v[22:23], 3, s[4:5]
	v_lshl_add_u64 v[28:29], v[28:29], 3, v[20:21]
	v_cmp_lt_u32_e32 vcc, v22, v1
	s_nop 1
	v_cndmask_b32_e32 v5, v29, v5, vcc
	v_cndmask_b32_e32 v4, v28, v4, vcc
	global_load_dwordx2 v[4:5], v[4:5], off
.LBB29_11:
	s_or_b64 exec, exec, s[2:3]
	v_add_u32_e32 v22, v22, v26
	v_cmp_lt_u32_e32 vcc, v22, v24
	s_and_saveexec_b64 s[2:3], vcc
	s_cbranch_execz .LBB29_13
; %bb.12:
	v_mov_b32_e32 v23, 0
	v_sub_u32_e32 v28, v22, v1
	v_mov_b32_e32 v29, v23
	s_waitcnt vmcnt(5)
	v_lshl_add_u64 v[6:7], v[22:23], 3, s[4:5]
	v_lshl_add_u64 v[28:29], v[28:29], 3, v[20:21]
	v_cmp_lt_u32_e32 vcc, v22, v1
	s_nop 1
	v_cndmask_b32_e32 v7, v29, v7, vcc
	v_cndmask_b32_e32 v6, v28, v6, vcc
	global_load_dwordx2 v[6:7], v[6:7], off
.LBB29_13:
	;; [unrolled: 18-line block ×6, first 2 shown]
	s_or_b64 exec, exec, s[2:3]
	v_add_u32_e32 v22, v22, v26
	v_cmp_lt_u32_e32 vcc, v22, v24
	s_and_saveexec_b64 s[2:3], vcc
	s_cbranch_execz .LBB29_23
; %bb.22:
	v_mov_b32_e32 v23, 0
	s_waitcnt vmcnt(0)
	v_lshl_add_u64 v[16:17], v[22:23], 3, s[4:5]
	v_cmp_lt_u32_e32 vcc, v22, v1
	v_sub_u32_e32 v22, v22, v1
	v_lshl_add_u64 v[20:21], v[22:23], 3, v[20:21]
	v_cndmask_b32_e32 v17, v21, v17, vcc
	v_cndmask_b32_e32 v16, v20, v16, vcc
	global_load_dwordx2 v[16:17], v[16:17], off
.LBB29_23:
	s_or_b64 exec, exec, s[2:3]
.LBB29_24:
	s_load_dwordx4 s[4:7], s[0:1], 0x40
	v_min_u32_e32 v19, v24, v18
	v_sub_u32_e64 v25, v19, v25 clamp
	v_min_u32_e32 v26, v19, v1
	v_cmp_lt_u32_e32 vcc, v25, v26
	s_waitcnt vmcnt(0)
	ds_write2st64_b64 v18, v[2:3], v[4:5] offset1:2
	ds_write2st64_b64 v18, v[6:7], v[8:9] offset0:4 offset1:6
	ds_write2st64_b64 v18, v[10:11], v[12:13] offset0:8 offset1:10
	;; [unrolled: 1-line block ×3, first 2 shown]
	s_waitcnt lgkmcnt(0)
	s_barrier
	s_and_saveexec_b64 s[2:3], vcc
	s_cbranch_execz .LBB29_34
; %bb.25:
	v_lshlrev_b32_e32 v20, 3, v19
	v_cmp_gt_i64_e64 s[0:1], s[4:5], 0
	v_lshl_add_u32 v27, v1, 3, v20
	s_mov_b64 s[12:13], 0
	v_cndmask_b32_e64 v20, 0, 1, s[0:1]
	v_cmp_ne_u32_e64 s[0:1], 1, v20
	s_branch .LBB29_28
.LBB29_26:                              ;   in Loop: Header=BB29_28 Depth=1
	s_or_b64 exec, exec, s[18:19]
.LBB29_27:                              ;   in Loop: Header=BB29_28 Depth=1
	v_add_u32_e32 v20, 1, v28
	v_cndmask_b32_e64 v26, v26, v28, s[16:17]
	v_cndmask_b32_e64 v25, v20, v25, s[16:17]
	v_cmp_ge_u32_e32 vcc, v25, v26
	s_or_b64 s[12:13], vcc, s[12:13]
	s_andn2_b64 exec, exec, s[12:13]
	s_cbranch_execz .LBB29_33
.LBB29_28:                              ; =>This Loop Header: Depth=1
                                        ;     Child Loop BB29_31 Depth 2
	v_add_u32_e32 v20, v26, v25
	v_lshrrev_b32_e32 v28, 1, v20
	s_and_b64 vcc, exec, s[0:1]
	s_mov_b64 s[16:17], 0
	s_cbranch_vccnz .LBB29_27
; %bb.29:                               ;   in Loop: Header=BB29_28 Depth=1
	v_not_b32_e32 v20, v28
	v_lshl_add_u32 v20, v20, 3, v27
	ds_read_b64 v[20:21], v20
	v_lshlrev_b32_e32 v29, 3, v28
	ds_read_b64 v[30:31], v29
	v_mov_b64_e32 v[22:23], s[6:7]
	s_mov_b64 s[18:19], 0
	s_waitcnt lgkmcnt(1)
	v_mul_lo_u32 v29, v20, s5
	v_mul_lo_u32 v32, v21, s4
	v_mad_u64_u32 v[20:21], s[16:17], v20, s4, v[22:23]
	v_add3_u32 v21, v32, v21, v29
	s_waitcnt lgkmcnt(0)
	v_mul_lo_u32 v29, v30, s5
	v_mul_lo_u32 v31, v31, s4
	v_mad_u64_u32 v[22:23], s[16:17], v30, s4, v[22:23]
	v_add3_u32 v23, v31, v23, v29
	s_mov_b64 s[26:27], s[4:5]
                                        ; implicit-def: $sgpr16_sgpr17
                                        ; implicit-def: $sgpr22_sgpr23
                                        ; implicit-def: $sgpr24_sgpr25
                                        ; implicit-def: $sgpr28_sgpr29
                                        ; implicit-def: $sgpr30_sgpr31
	s_branch .LBB29_31
.LBB29_30:                              ;   in Loop: Header=BB29_31 Depth=2
	s_or_b64 exec, exec, s[34:35]
	s_and_b64 s[34:35], exec, s[22:23]
	s_or_b64 s[18:19], s[34:35], s[18:19]
	s_andn2_b64 s[30:31], s[30:31], exec
	s_and_b64 s[34:35], s[24:25], exec
	s_or_b64 s[30:31], s[30:31], s[34:35]
	s_andn2_b64 s[16:17], s[16:17], exec
	s_and_b64 s[34:35], s[28:29], exec
	s_or_b64 s[16:17], s[16:17], s[34:35]
	s_andn2_b64 exec, exec, s[18:19]
	s_cbranch_execz .LBB29_26
.LBB29_31:                              ;   Parent Loop BB29_28 Depth=1
                                        ; =>  This Inner Loop Header: Depth=2
	global_load_ubyte v29, v[20:21], off
	global_load_ubyte v30, v[22:23], off
	s_andn2_b64 s[28:29], s[28:29], exec
	s_andn2_b64 s[24:25], s[24:25], exec
	s_or_b64 s[22:23], s[22:23], exec
	s_waitcnt vmcnt(0)
	v_cmp_le_u16_sdwa s[36:37], v29, v30 src0_sel:BYTE_0 src1_sel:BYTE_0
	v_cmp_lt_u16_sdwa s[34:35], v29, v30 src0_sel:BYTE_0 src1_sel:BYTE_0
	s_and_b64 s[36:37], s[36:37], s[30:31]
	s_or_b64 s[36:37], s[34:35], s[36:37]
	s_and_b64 s[34:35], s[36:37], exec
	v_cmp_eq_u16_sdwa s[38:39], v29, v30 src0_sel:BYTE_0 src1_sel:BYTE_0
	s_or_b64 s[28:29], s[28:29], s[34:35]
	s_and_saveexec_b64 s[34:35], s[38:39]
	s_cbranch_execz .LBB29_30
; %bb.32:                               ;   in Loop: Header=BB29_31 Depth=2
	s_add_u32 s26, s26, -1
	s_addc_u32 s27, s27, -1
	s_cmp_eq_u64 s[26:27], 0
	s_cselect_b64 s[30:31], -1, 0
	s_andn2_b64 s[24:25], s[24:25], exec
	s_and_b64 s[36:37], s[36:37], exec
	s_andn2_b64 s[22:23], s[22:23], exec
	s_and_b64 s[30:31], s[30:31], exec
	v_lshl_add_u64 v[20:21], v[20:21], 0, 1
	v_lshl_add_u64 v[22:23], v[22:23], 0, 1
	s_andn2_b64 s[28:29], s[28:29], exec
	s_or_b64 s[24:25], s[24:25], s[36:37]
	s_or_b64 s[22:23], s[22:23], s[30:31]
                                        ; implicit-def: $sgpr30_sgpr31
	s_branch .LBB29_30
.LBB29_33:
	s_or_b64 exec, exec, s[12:13]
.LBB29_34:
	s_or_b64 exec, exec, s[2:3]
	v_sub_u32_e32 v19, v19, v25
	v_add_u32_e32 v21, v19, v1
	v_cmp_le_u32_e32 vcc, v25, v1
	v_cmp_le_u32_e64 s[0:1], v21, v24
	s_or_b64 s[0:1], vcc, s[0:1]
	s_and_saveexec_b64 s[2:3], s[0:1]
	s_cbranch_execz .LBB29_122
; %bb.35:
	v_cmp_ge_u32_e32 vcc, v25, v1
	v_cmp_lt_u32_e64 s[0:1], v25, v1
                                        ; implicit-def: $vgpr2_vgpr3
	s_and_saveexec_b64 s[12:13], s[0:1]
	s_cbranch_execz .LBB29_37
; %bb.36:
	v_lshlrev_b32_e32 v2, 3, v25
	ds_read_b64 v[2:3], v2
.LBB29_37:
	s_or_b64 exec, exec, s[12:13]
	v_cmp_ge_u32_e64 s[12:13], v21, v24
	v_cmp_lt_u32_e64 s[0:1], v21, v24
                                        ; implicit-def: $vgpr14_vgpr15
	s_and_saveexec_b64 s[16:17], s[0:1]
	s_cbranch_execz .LBB29_39
; %bb.38:
	v_lshlrev_b32_e32 v4, 3, v21
	ds_read_b64 v[14:15], v4
.LBB29_39:
	s_or_b64 exec, exec, s[16:17]
	s_or_b64 s[16:17], vcc, s[12:13]
	s_mov_b64 s[18:19], 0
	v_cmp_gt_i64_e64 s[0:1], s[4:5], 0
	s_xor_b64 s[22:23], s[16:17], -1
	s_and_saveexec_b64 s[16:17], s[22:23]
	s_cbranch_execz .LBB29_47
; %bb.40:
	s_andn2_b64 vcc, exec, s[0:1]
	s_cbranch_vccnz .LBB29_46
; %bb.41:
	v_mov_b64_e32 v[6:7], s[6:7]
	s_waitcnt lgkmcnt(0)
	v_mad_u64_u32 v[4:5], s[18:19], v14, s4, v[6:7]
	v_mul_lo_u32 v8, v14, s5
	v_mul_lo_u32 v9, v15, s4
	v_add3_u32 v5, v9, v5, v8
	v_mad_u64_u32 v[6:7], s[18:19], v2, s4, v[6:7]
	v_mul_lo_u32 v8, v2, s5
	v_mul_lo_u32 v9, v3, s4
	v_add3_u32 v7, v9, v7, v8
	s_mov_b64 s[22:23], 0
	s_mov_b64 s[28:29], s[4:5]
                                        ; implicit-def: $sgpr18_sgpr19
                                        ; implicit-def: $sgpr24_sgpr25
                                        ; implicit-def: $sgpr26_sgpr27
                                        ; implicit-def: $sgpr30_sgpr31
                                        ; implicit-def: $sgpr34_sgpr35
	s_branch .LBB29_43
.LBB29_42:                              ;   in Loop: Header=BB29_43 Depth=1
	s_or_b64 exec, exec, s[36:37]
	s_and_b64 s[36:37], exec, s[24:25]
	s_or_b64 s[22:23], s[36:37], s[22:23]
	s_andn2_b64 s[34:35], s[34:35], exec
	s_and_b64 s[36:37], s[26:27], exec
	s_or_b64 s[34:35], s[34:35], s[36:37]
	s_andn2_b64 s[18:19], s[18:19], exec
	s_and_b64 s[36:37], s[30:31], exec
	s_or_b64 s[18:19], s[18:19], s[36:37]
	s_andn2_b64 exec, exec, s[22:23]
	s_cbranch_execz .LBB29_45
.LBB29_43:                              ; =>This Inner Loop Header: Depth=1
	global_load_ubyte v8, v[4:5], off
	global_load_ubyte v9, v[6:7], off
	s_andn2_b64 s[30:31], s[30:31], exec
	s_andn2_b64 s[26:27], s[26:27], exec
	s_or_b64 s[24:25], s[24:25], exec
	s_waitcnt vmcnt(0)
	v_cmp_le_u16_sdwa s[38:39], v8, v9 src0_sel:BYTE_0 src1_sel:BYTE_0
	v_cmp_lt_u16_sdwa s[36:37], v8, v9 src0_sel:BYTE_0 src1_sel:BYTE_0
	s_and_b64 s[38:39], s[38:39], s[34:35]
	s_or_b64 s[38:39], s[36:37], s[38:39]
	s_and_b64 s[36:37], s[38:39], exec
	v_cmp_eq_u16_sdwa s[40:41], v8, v9 src0_sel:BYTE_0 src1_sel:BYTE_0
	s_or_b64 s[30:31], s[30:31], s[36:37]
	s_and_saveexec_b64 s[36:37], s[40:41]
	s_cbranch_execz .LBB29_42
; %bb.44:                               ;   in Loop: Header=BB29_43 Depth=1
	s_add_u32 s28, s28, -1
	s_addc_u32 s29, s29, -1
	s_cmp_eq_u64 s[28:29], 0
	s_cselect_b64 s[34:35], -1, 0
	s_andn2_b64 s[26:27], s[26:27], exec
	s_and_b64 s[38:39], s[38:39], exec
	s_andn2_b64 s[24:25], s[24:25], exec
	s_and_b64 s[34:35], s[34:35], exec
	v_lshl_add_u64 v[4:5], v[4:5], 0, 1
	v_lshl_add_u64 v[6:7], v[6:7], 0, 1
	s_andn2_b64 s[30:31], s[30:31], exec
	s_or_b64 s[26:27], s[26:27], s[38:39]
	s_or_b64 s[24:25], s[24:25], s[34:35]
                                        ; implicit-def: $sgpr34_sgpr35
	s_branch .LBB29_42
.LBB29_45:
	s_or_b64 exec, exec, s[22:23]
.LBB29_46:
	s_xor_b64 s[18:19], s[18:19], -1
	s_andn2_b64 s[12:13], s[12:13], exec
	s_and_b64 s[18:19], s[18:19], exec
	s_or_b64 s[12:13], s[12:13], s[18:19]
.LBB29_47:
	s_or_b64 exec, exec, s[16:17]
	v_cndmask_b32_e64 v4, v21, v25, s[12:13]
	v_cndmask_b32_e64 v5, v24, v1, s[12:13]
	v_add_u32_e32 v6, 1, v4
	v_add_u32_e32 v4, -1, v5
	v_min_u32_e32 v4, v6, v4
	v_lshlrev_b32_e32 v4, 3, v4
	ds_read_b64 v[4:5], v4
	v_cndmask_b32_e64 v8, v6, v21, s[12:13]
	v_cndmask_b32_e64 v9, v25, v6, s[12:13]
	v_cmp_lt_u32_e32 vcc, v8, v24
	s_mov_b64 s[18:19], -1
	s_waitcnt lgkmcnt(0)
	v_cndmask_b32_e64 v16, v5, v15, s[12:13]
	v_cndmask_b32_e64 v17, v4, v14, s[12:13]
	;; [unrolled: 1-line block ×4, first 2 shown]
	s_mov_b64 s[16:17], -1
	s_and_saveexec_b64 s[22:23], vcc
	s_cbranch_execz .LBB29_57
; %bb.48:
	v_cmp_lt_u32_e32 vcc, v9, v1
	s_mov_b64 s[24:25], 0
	s_and_saveexec_b64 s[16:17], vcc
	s_cbranch_execz .LBB29_56
; %bb.49:
	s_andn2_b64 vcc, exec, s[0:1]
	s_cbranch_vccnz .LBB29_55
; %bb.50:
	v_mov_b64_e32 v[6:7], s[6:7]
	v_mad_u64_u32 v[4:5], s[24:25], v17, s4, v[6:7]
	v_mul_lo_u32 v10, v17, s5
	v_mul_lo_u32 v11, v16, s4
	v_add3_u32 v5, v11, v5, v10
	v_mad_u64_u32 v[6:7], s[24:25], v20, s4, v[6:7]
	v_mul_lo_u32 v10, v20, s5
	v_mul_lo_u32 v11, v19, s4
	v_add3_u32 v7, v11, v7, v10
	s_mov_b64 s[26:27], 0
	s_mov_b64 s[34:35], s[4:5]
                                        ; implicit-def: $sgpr24_sgpr25
                                        ; implicit-def: $sgpr28_sgpr29
                                        ; implicit-def: $sgpr30_sgpr31
                                        ; implicit-def: $sgpr36_sgpr37
                                        ; implicit-def: $sgpr38_sgpr39
	s_branch .LBB29_52
.LBB29_51:                              ;   in Loop: Header=BB29_52 Depth=1
	s_or_b64 exec, exec, s[40:41]
	s_and_b64 s[40:41], exec, s[28:29]
	s_or_b64 s[26:27], s[40:41], s[26:27]
	s_andn2_b64 s[38:39], s[38:39], exec
	s_and_b64 s[40:41], s[30:31], exec
	s_or_b64 s[38:39], s[38:39], s[40:41]
	s_andn2_b64 s[24:25], s[24:25], exec
	s_and_b64 s[40:41], s[36:37], exec
	s_or_b64 s[24:25], s[24:25], s[40:41]
	s_andn2_b64 exec, exec, s[26:27]
	s_cbranch_execz .LBB29_54
.LBB29_52:                              ; =>This Inner Loop Header: Depth=1
	global_load_ubyte v10, v[4:5], off
	global_load_ubyte v11, v[6:7], off
	s_andn2_b64 s[36:37], s[36:37], exec
	s_andn2_b64 s[30:31], s[30:31], exec
	s_or_b64 s[28:29], s[28:29], exec
	s_waitcnt vmcnt(0)
	v_cmp_le_u16_sdwa s[42:43], v10, v11 src0_sel:BYTE_0 src1_sel:BYTE_0
	v_cmp_lt_u16_sdwa s[40:41], v10, v11 src0_sel:BYTE_0 src1_sel:BYTE_0
	s_and_b64 s[42:43], s[42:43], s[38:39]
	s_or_b64 s[42:43], s[40:41], s[42:43]
	s_and_b64 s[40:41], s[42:43], exec
	v_cmp_eq_u16_sdwa s[44:45], v10, v11 src0_sel:BYTE_0 src1_sel:BYTE_0
	s_or_b64 s[36:37], s[36:37], s[40:41]
	s_and_saveexec_b64 s[40:41], s[44:45]
	s_cbranch_execz .LBB29_51
; %bb.53:                               ;   in Loop: Header=BB29_52 Depth=1
	s_add_u32 s34, s34, -1
	s_addc_u32 s35, s35, -1
	s_cmp_eq_u64 s[34:35], 0
	s_cselect_b64 s[38:39], -1, 0
	s_andn2_b64 s[30:31], s[30:31], exec
	s_and_b64 s[42:43], s[42:43], exec
	s_andn2_b64 s[28:29], s[28:29], exec
	s_and_b64 s[38:39], s[38:39], exec
	v_lshl_add_u64 v[4:5], v[4:5], 0, 1
	v_lshl_add_u64 v[6:7], v[6:7], 0, 1
	s_andn2_b64 s[36:37], s[36:37], exec
	s_or_b64 s[30:31], s[30:31], s[42:43]
	s_or_b64 s[28:29], s[28:29], s[38:39]
                                        ; implicit-def: $sgpr38_sgpr39
	s_branch .LBB29_51
.LBB29_54:
	s_or_b64 exec, exec, s[26:27]
.LBB29_55:
	s_xor_b64 s[24:25], s[24:25], -1
	s_and_b64 s[24:25], s[24:25], exec
.LBB29_56:
	s_or_b64 exec, exec, s[16:17]
	s_orn2_b64 s[16:17], s[24:25], exec
.LBB29_57:
	s_or_b64 exec, exec, s[22:23]
	v_cndmask_b32_e64 v4, v8, v9, s[16:17]
	v_cndmask_b32_e64 v5, v24, v1, s[16:17]
	v_add_u32_e32 v6, 1, v4
	v_add_u32_e32 v4, -1, v5
	v_min_u32_e32 v4, v6, v4
	v_lshlrev_b32_e32 v4, 3, v4
	ds_read_b64 v[4:5], v4
	v_cndmask_b32_e64 v10, v6, v8, s[16:17]
	v_cndmask_b32_e64 v11, v9, v6, s[16:17]
	v_cmp_lt_u32_e32 vcc, v10, v24
	s_waitcnt lgkmcnt(0)
	v_cndmask_b32_e64 v21, v5, v16, s[16:17]
	v_cndmask_b32_e64 v22, v4, v17, s[16:17]
	;; [unrolled: 1-line block ×4, first 2 shown]
	s_and_saveexec_b64 s[22:23], vcc
	s_cbranch_execz .LBB29_67
; %bb.58:
	v_cmp_lt_u32_e32 vcc, v11, v1
	s_mov_b64 s[24:25], 0
	s_and_saveexec_b64 s[18:19], vcc
	s_cbranch_execz .LBB29_66
; %bb.59:
	s_andn2_b64 vcc, exec, s[0:1]
	s_cbranch_vccnz .LBB29_65
; %bb.60:
	v_mov_b64_e32 v[6:7], s[6:7]
	v_mad_u64_u32 v[4:5], s[24:25], v22, s4, v[6:7]
	v_mul_lo_u32 v8, v22, s5
	v_mul_lo_u32 v9, v21, s4
	v_add3_u32 v5, v9, v5, v8
	v_mad_u64_u32 v[6:7], s[24:25], v25, s4, v[6:7]
	v_mul_lo_u32 v8, v25, s5
	v_mul_lo_u32 v9, v23, s4
	v_add3_u32 v7, v9, v7, v8
	s_mov_b64 s[26:27], 0
	s_mov_b64 s[34:35], s[4:5]
                                        ; implicit-def: $sgpr24_sgpr25
                                        ; implicit-def: $sgpr28_sgpr29
                                        ; implicit-def: $sgpr30_sgpr31
                                        ; implicit-def: $sgpr36_sgpr37
                                        ; implicit-def: $sgpr38_sgpr39
	s_branch .LBB29_62
.LBB29_61:                              ;   in Loop: Header=BB29_62 Depth=1
	s_or_b64 exec, exec, s[40:41]
	s_and_b64 s[40:41], exec, s[28:29]
	s_or_b64 s[26:27], s[40:41], s[26:27]
	s_andn2_b64 s[38:39], s[38:39], exec
	s_and_b64 s[40:41], s[30:31], exec
	s_or_b64 s[38:39], s[38:39], s[40:41]
	s_andn2_b64 s[24:25], s[24:25], exec
	s_and_b64 s[40:41], s[36:37], exec
	s_or_b64 s[24:25], s[24:25], s[40:41]
	s_andn2_b64 exec, exec, s[26:27]
	s_cbranch_execz .LBB29_64
.LBB29_62:                              ; =>This Inner Loop Header: Depth=1
	global_load_ubyte v8, v[4:5], off
	global_load_ubyte v9, v[6:7], off
	s_andn2_b64 s[36:37], s[36:37], exec
	s_andn2_b64 s[30:31], s[30:31], exec
	s_or_b64 s[28:29], s[28:29], exec
	s_waitcnt vmcnt(0)
	v_cmp_le_u16_sdwa s[42:43], v8, v9 src0_sel:BYTE_0 src1_sel:BYTE_0
	v_cmp_lt_u16_sdwa s[40:41], v8, v9 src0_sel:BYTE_0 src1_sel:BYTE_0
	s_and_b64 s[42:43], s[42:43], s[38:39]
	s_or_b64 s[42:43], s[40:41], s[42:43]
	s_and_b64 s[40:41], s[42:43], exec
	v_cmp_eq_u16_sdwa s[44:45], v8, v9 src0_sel:BYTE_0 src1_sel:BYTE_0
	s_or_b64 s[36:37], s[36:37], s[40:41]
	s_and_saveexec_b64 s[40:41], s[44:45]
	s_cbranch_execz .LBB29_61
; %bb.63:                               ;   in Loop: Header=BB29_62 Depth=1
	s_add_u32 s34, s34, -1
	s_addc_u32 s35, s35, -1
	s_cmp_eq_u64 s[34:35], 0
	s_cselect_b64 s[38:39], -1, 0
	s_andn2_b64 s[30:31], s[30:31], exec
	s_and_b64 s[42:43], s[42:43], exec
	s_andn2_b64 s[28:29], s[28:29], exec
	s_and_b64 s[38:39], s[38:39], exec
	v_lshl_add_u64 v[4:5], v[4:5], 0, 1
	v_lshl_add_u64 v[6:7], v[6:7], 0, 1
	s_andn2_b64 s[36:37], s[36:37], exec
	s_or_b64 s[30:31], s[30:31], s[42:43]
	s_or_b64 s[28:29], s[28:29], s[38:39]
                                        ; implicit-def: $sgpr38_sgpr39
	s_branch .LBB29_61
.LBB29_64:
	s_or_b64 exec, exec, s[26:27]
.LBB29_65:
	s_xor_b64 s[24:25], s[24:25], -1
	s_and_b64 s[24:25], s[24:25], exec
.LBB29_66:
	s_or_b64 exec, exec, s[18:19]
	s_orn2_b64 s[18:19], s[24:25], exec
.LBB29_67:
	s_or_b64 exec, exec, s[22:23]
	v_cndmask_b32_e64 v4, v10, v11, s[18:19]
	v_cndmask_b32_e64 v5, v24, v1, s[18:19]
	v_add_u32_e32 v6, 1, v4
	v_add_u32_e32 v4, -1, v5
	v_min_u32_e32 v4, v6, v4
	v_lshlrev_b32_e32 v4, 3, v4
	ds_read_b64 v[4:5], v4
	v_cndmask_b32_e64 v12, v6, v10, s[18:19]
	v_cndmask_b32_e64 v13, v11, v6, s[18:19]
	v_cmp_lt_u32_e32 vcc, v12, v24
	s_mov_b64 s[24:25], -1
	s_waitcnt lgkmcnt(0)
	v_cndmask_b32_e64 v8, v5, v21, s[18:19]
	v_cndmask_b32_e64 v26, v4, v22, s[18:19]
	;; [unrolled: 1-line block ×4, first 2 shown]
	s_mov_b64 s[22:23], -1
	s_and_saveexec_b64 s[26:27], vcc
	s_cbranch_execz .LBB29_78
; %bb.68:
	v_cmp_lt_u32_e32 vcc, v13, v1
	s_mov_b64 s[28:29], 0
	s_and_saveexec_b64 s[22:23], vcc
	s_cbranch_execz .LBB29_77
; %bb.69:
	s_andn2_b64 vcc, exec, s[0:1]
	s_cbranch_vccnz .LBB29_75
; %bb.70:
	v_mov_b64_e32 v[6:7], s[6:7]
	v_mad_u64_u32 v[4:5], s[28:29], v26, s4, v[6:7]
	v_mul_lo_u32 v10, v26, s5
	v_mul_lo_u32 v11, v8, s4
	v_add3_u32 v5, v11, v5, v10
	v_mad_u64_u32 v[6:7], s[28:29], v27, s4, v[6:7]
	v_mul_lo_u32 v10, v27, s5
	v_mul_lo_u32 v11, v9, s4
	v_add3_u32 v7, v11, v7, v10
	s_mov_b64 s[28:29], 0
	s_mov_b64 s[38:39], s[4:5]
                                        ; implicit-def: $sgpr30_sgpr31
                                        ; implicit-def: $sgpr34_sgpr35
                                        ; implicit-def: $sgpr40_sgpr41
                                        ; implicit-def: $sgpr36_sgpr37
                                        ; implicit-def: $sgpr42_sgpr43
	s_branch .LBB29_72
.LBB29_71:                              ;   in Loop: Header=BB29_72 Depth=1
	s_or_b64 exec, exec, s[44:45]
	s_and_b64 s[44:45], exec, s[34:35]
	s_or_b64 s[28:29], s[44:45], s[28:29]
	s_andn2_b64 s[42:43], s[42:43], exec
	s_and_b64 s[44:45], s[36:37], exec
	s_or_b64 s[42:43], s[42:43], s[44:45]
	s_andn2_b64 s[30:31], s[30:31], exec
	s_and_b64 s[44:45], s[40:41], exec
	s_or_b64 s[30:31], s[30:31], s[44:45]
	s_andn2_b64 exec, exec, s[28:29]
	s_cbranch_execz .LBB29_74
.LBB29_72:                              ; =>This Inner Loop Header: Depth=1
	global_load_ubyte v10, v[4:5], off
	global_load_ubyte v11, v[6:7], off
	s_andn2_b64 s[40:41], s[40:41], exec
	s_andn2_b64 s[36:37], s[36:37], exec
	s_or_b64 s[34:35], s[34:35], exec
	s_waitcnt vmcnt(0)
	v_cmp_le_u16_sdwa s[46:47], v10, v11 src0_sel:BYTE_0 src1_sel:BYTE_0
	v_cmp_lt_u16_sdwa s[44:45], v10, v11 src0_sel:BYTE_0 src1_sel:BYTE_0
	s_and_b64 s[46:47], s[46:47], s[42:43]
	s_or_b64 s[46:47], s[44:45], s[46:47]
	s_and_b64 s[44:45], s[46:47], exec
	v_cmp_eq_u16_sdwa s[48:49], v10, v11 src0_sel:BYTE_0 src1_sel:BYTE_0
	s_or_b64 s[40:41], s[40:41], s[44:45]
	s_and_saveexec_b64 s[44:45], s[48:49]
	s_cbranch_execz .LBB29_71
; %bb.73:                               ;   in Loop: Header=BB29_72 Depth=1
	s_add_u32 s38, s38, -1
	s_addc_u32 s39, s39, -1
	s_cmp_eq_u64 s[38:39], 0
	s_cselect_b64 s[42:43], -1, 0
	s_andn2_b64 s[36:37], s[36:37], exec
	s_and_b64 s[46:47], s[46:47], exec
	s_andn2_b64 s[34:35], s[34:35], exec
	s_and_b64 s[42:43], s[42:43], exec
	v_lshl_add_u64 v[4:5], v[4:5], 0, 1
	v_lshl_add_u64 v[6:7], v[6:7], 0, 1
	s_or_b64 s[36:37], s[36:37], s[46:47]
	s_andn2_b64 s[40:41], s[40:41], exec
	s_or_b64 s[34:35], s[34:35], s[42:43]
                                        ; implicit-def: $sgpr42_sgpr43
	s_branch .LBB29_71
.LBB29_74:
	s_or_b64 exec, exec, s[28:29]
	s_xor_b64 s[28:29], s[30:31], -1
	s_branch .LBB29_76
.LBB29_75:
	s_mov_b64 s[28:29], -1
.LBB29_76:
	s_and_b64 s[28:29], s[28:29], exec
.LBB29_77:
	s_or_b64 exec, exec, s[22:23]
	s_orn2_b64 s[22:23], s[28:29], exec
.LBB29_78:
	s_or_b64 exec, exec, s[26:27]
	v_cndmask_b32_e64 v4, v12, v13, s[22:23]
	v_cndmask_b32_e64 v5, v24, v1, s[22:23]
	v_add_u32_e32 v6, 1, v4
	v_add_u32_e32 v4, -1, v5
	v_min_u32_e32 v4, v6, v4
	v_lshlrev_b32_e32 v4, 3, v4
	ds_read_b64 v[4:5], v4
	v_cndmask_b32_e64 v32, v6, v12, s[22:23]
	v_cndmask_b32_e64 v33, v13, v6, s[22:23]
	v_cmp_lt_u32_e32 vcc, v32, v24
	s_waitcnt lgkmcnt(0)
	v_cndmask_b32_e64 v10, v5, v8, s[22:23]
	v_cndmask_b32_e64 v28, v4, v26, s[22:23]
	;; [unrolled: 1-line block ×4, first 2 shown]
	s_and_saveexec_b64 s[26:27], vcc
	s_cbranch_execz .LBB29_89
; %bb.79:
	v_cmp_lt_u32_e32 vcc, v33, v1
	s_mov_b64 s[28:29], 0
	s_and_saveexec_b64 s[24:25], vcc
	s_cbranch_execz .LBB29_88
; %bb.80:
	s_andn2_b64 vcc, exec, s[0:1]
	s_cbranch_vccnz .LBB29_86
; %bb.81:
	v_mov_b64_e32 v[6:7], s[6:7]
	v_mad_u64_u32 v[4:5], s[28:29], v28, s4, v[6:7]
	v_mul_lo_u32 v12, v28, s5
	v_mul_lo_u32 v13, v10, s4
	v_add3_u32 v5, v13, v5, v12
	v_mad_u64_u32 v[6:7], s[28:29], v29, s4, v[6:7]
	v_mul_lo_u32 v12, v29, s5
	v_mul_lo_u32 v13, v11, s4
	v_add3_u32 v7, v13, v7, v12
	s_mov_b64 s[28:29], 0
	s_mov_b64 s[38:39], s[4:5]
                                        ; implicit-def: $sgpr30_sgpr31
                                        ; implicit-def: $sgpr34_sgpr35
                                        ; implicit-def: $sgpr40_sgpr41
                                        ; implicit-def: $sgpr36_sgpr37
                                        ; implicit-def: $sgpr42_sgpr43
	s_branch .LBB29_83
.LBB29_82:                              ;   in Loop: Header=BB29_83 Depth=1
	s_or_b64 exec, exec, s[44:45]
	s_and_b64 s[44:45], exec, s[34:35]
	s_or_b64 s[28:29], s[44:45], s[28:29]
	s_andn2_b64 s[42:43], s[42:43], exec
	s_and_b64 s[44:45], s[36:37], exec
	s_or_b64 s[42:43], s[42:43], s[44:45]
	s_andn2_b64 s[30:31], s[30:31], exec
	s_and_b64 s[44:45], s[40:41], exec
	s_or_b64 s[30:31], s[30:31], s[44:45]
	s_andn2_b64 exec, exec, s[28:29]
	s_cbranch_execz .LBB29_85
.LBB29_83:                              ; =>This Inner Loop Header: Depth=1
	global_load_ubyte v12, v[4:5], off
	global_load_ubyte v13, v[6:7], off
	s_andn2_b64 s[40:41], s[40:41], exec
	s_andn2_b64 s[36:37], s[36:37], exec
	s_or_b64 s[34:35], s[34:35], exec
	s_waitcnt vmcnt(0)
	v_cmp_le_u16_sdwa s[46:47], v12, v13 src0_sel:BYTE_0 src1_sel:BYTE_0
	v_cmp_lt_u16_sdwa s[44:45], v12, v13 src0_sel:BYTE_0 src1_sel:BYTE_0
	s_and_b64 s[46:47], s[46:47], s[42:43]
	s_or_b64 s[46:47], s[44:45], s[46:47]
	s_and_b64 s[44:45], s[46:47], exec
	v_cmp_eq_u16_sdwa s[48:49], v12, v13 src0_sel:BYTE_0 src1_sel:BYTE_0
	s_or_b64 s[40:41], s[40:41], s[44:45]
	s_and_saveexec_b64 s[44:45], s[48:49]
	s_cbranch_execz .LBB29_82
; %bb.84:                               ;   in Loop: Header=BB29_83 Depth=1
	s_add_u32 s38, s38, -1
	s_addc_u32 s39, s39, -1
	s_cmp_eq_u64 s[38:39], 0
	s_cselect_b64 s[42:43], -1, 0
	s_andn2_b64 s[36:37], s[36:37], exec
	s_and_b64 s[46:47], s[46:47], exec
	s_andn2_b64 s[34:35], s[34:35], exec
	s_and_b64 s[42:43], s[42:43], exec
	v_lshl_add_u64 v[4:5], v[4:5], 0, 1
	v_lshl_add_u64 v[6:7], v[6:7], 0, 1
	s_or_b64 s[36:37], s[36:37], s[46:47]
	s_andn2_b64 s[40:41], s[40:41], exec
	s_or_b64 s[34:35], s[34:35], s[42:43]
                                        ; implicit-def: $sgpr42_sgpr43
	s_branch .LBB29_82
.LBB29_85:
	s_or_b64 exec, exec, s[28:29]
	s_xor_b64 s[28:29], s[30:31], -1
	s_branch .LBB29_87
.LBB29_86:
	s_mov_b64 s[28:29], -1
.LBB29_87:
	s_and_b64 s[28:29], s[28:29], exec
.LBB29_88:
	s_or_b64 exec, exec, s[24:25]
	s_orn2_b64 s[24:25], s[28:29], exec
.LBB29_89:
	s_or_b64 exec, exec, s[26:27]
	v_cndmask_b32_e64 v4, v32, v33, s[24:25]
	v_cndmask_b32_e64 v5, v24, v1, s[24:25]
	v_add_u32_e32 v6, 1, v4
	v_add_u32_e32 v4, -1, v5
	v_min_u32_e32 v4, v6, v4
	v_lshlrev_b32_e32 v4, 3, v4
	ds_read_b64 v[4:5], v4
	v_cndmask_b32_e64 v34, v6, v32, s[24:25]
	v_cndmask_b32_e64 v38, v33, v6, s[24:25]
	v_cmp_lt_u32_e32 vcc, v34, v24
	s_mov_b64 s[26:27], -1
	s_waitcnt lgkmcnt(0)
	v_cndmask_b32_e64 v12, v5, v10, s[24:25]
	v_cndmask_b32_e64 v30, v4, v28, s[24:25]
	;; [unrolled: 1-line block ×4, first 2 shown]
	s_mov_b64 s[28:29], -1
	s_and_saveexec_b64 s[30:31], vcc
	s_cbranch_execz .LBB29_100
; %bb.90:
	v_cmp_lt_u32_e32 vcc, v38, v1
	s_mov_b64 s[34:35], 0
	s_and_saveexec_b64 s[28:29], vcc
	s_cbranch_execz .LBB29_99
; %bb.91:
	s_andn2_b64 vcc, exec, s[0:1]
	s_cbranch_vccnz .LBB29_97
; %bb.92:
	v_mov_b64_e32 v[6:7], s[6:7]
	v_mad_u64_u32 v[4:5], s[34:35], v30, s4, v[6:7]
	v_mul_lo_u32 v32, v30, s5
	v_mul_lo_u32 v33, v12, s4
	v_add3_u32 v5, v33, v5, v32
	v_mad_u64_u32 v[6:7], s[34:35], v31, s4, v[6:7]
	v_mul_lo_u32 v32, v31, s5
	v_mul_lo_u32 v33, v13, s4
	v_add3_u32 v7, v33, v7, v32
	s_mov_b64 s[34:35], 0
	s_mov_b64 s[42:43], s[4:5]
                                        ; implicit-def: $sgpr36_sgpr37
                                        ; implicit-def: $sgpr38_sgpr39
                                        ; implicit-def: $sgpr44_sgpr45
                                        ; implicit-def: $sgpr40_sgpr41
                                        ; implicit-def: $sgpr46_sgpr47
	s_branch .LBB29_94
.LBB29_93:                              ;   in Loop: Header=BB29_94 Depth=1
	s_or_b64 exec, exec, s[48:49]
	s_and_b64 s[48:49], exec, s[38:39]
	s_or_b64 s[34:35], s[48:49], s[34:35]
	s_andn2_b64 s[46:47], s[46:47], exec
	s_and_b64 s[48:49], s[40:41], exec
	s_or_b64 s[46:47], s[46:47], s[48:49]
	s_andn2_b64 s[36:37], s[36:37], exec
	s_and_b64 s[48:49], s[44:45], exec
	s_or_b64 s[36:37], s[36:37], s[48:49]
	s_andn2_b64 exec, exec, s[34:35]
	s_cbranch_execz .LBB29_96
.LBB29_94:                              ; =>This Inner Loop Header: Depth=1
	global_load_ubyte v32, v[4:5], off
	global_load_ubyte v33, v[6:7], off
	s_andn2_b64 s[44:45], s[44:45], exec
	s_andn2_b64 s[40:41], s[40:41], exec
	s_or_b64 s[38:39], s[38:39], exec
	s_waitcnt vmcnt(0)
	v_cmp_le_u16_sdwa s[50:51], v32, v33 src0_sel:BYTE_0 src1_sel:BYTE_0
	v_cmp_lt_u16_sdwa s[48:49], v32, v33 src0_sel:BYTE_0 src1_sel:BYTE_0
	s_and_b64 s[50:51], s[50:51], s[46:47]
	s_or_b64 s[50:51], s[48:49], s[50:51]
	s_and_b64 s[48:49], s[50:51], exec
	v_cmp_eq_u16_sdwa s[52:53], v32, v33 src0_sel:BYTE_0 src1_sel:BYTE_0
	s_or_b64 s[44:45], s[44:45], s[48:49]
	s_and_saveexec_b64 s[48:49], s[52:53]
	s_cbranch_execz .LBB29_93
; %bb.95:                               ;   in Loop: Header=BB29_94 Depth=1
	s_add_u32 s42, s42, -1
	s_addc_u32 s43, s43, -1
	s_cmp_eq_u64 s[42:43], 0
	s_cselect_b64 s[46:47], -1, 0
	s_andn2_b64 s[40:41], s[40:41], exec
	s_and_b64 s[50:51], s[50:51], exec
	s_andn2_b64 s[38:39], s[38:39], exec
	s_and_b64 s[46:47], s[46:47], exec
	v_lshl_add_u64 v[4:5], v[4:5], 0, 1
	v_lshl_add_u64 v[6:7], v[6:7], 0, 1
	s_or_b64 s[40:41], s[40:41], s[50:51]
	s_andn2_b64 s[44:45], s[44:45], exec
	s_or_b64 s[38:39], s[38:39], s[46:47]
                                        ; implicit-def: $sgpr46_sgpr47
	s_branch .LBB29_93
.LBB29_96:
	s_or_b64 exec, exec, s[34:35]
	s_xor_b64 s[34:35], s[36:37], -1
	s_branch .LBB29_98
.LBB29_97:
	s_mov_b64 s[34:35], -1
.LBB29_98:
	s_and_b64 s[34:35], s[34:35], exec
.LBB29_99:
	s_or_b64 exec, exec, s[28:29]
	s_orn2_b64 s[28:29], s[34:35], exec
.LBB29_100:
	s_or_b64 exec, exec, s[30:31]
	v_cndmask_b32_e64 v4, v34, v38, s[28:29]
	v_cndmask_b32_e64 v5, v24, v1, s[28:29]
	v_add_u32_e32 v6, 1, v4
	v_add_u32_e32 v4, -1, v5
	v_min_u32_e32 v4, v6, v4
	v_lshlrev_b32_e32 v4, 3, v4
	ds_read_b64 v[4:5], v4
	v_cndmask_b32_e64 v35, v6, v34, s[28:29]
	v_cndmask_b32_e64 v34, v38, v6, s[28:29]
	v_cmp_lt_u32_e32 vcc, v35, v24
	s_waitcnt lgkmcnt(0)
	v_cndmask_b32_e64 v32, v5, v12, s[28:29]
	v_cndmask_b32_e64 v33, v4, v30, s[28:29]
	v_cndmask_b32_e64 v36, v13, v5, s[28:29]
	v_cndmask_b32_e64 v37, v31, v4, s[28:29]
	s_and_saveexec_b64 s[30:31], vcc
	s_cbranch_execz .LBB29_111
; %bb.101:
	v_cmp_lt_u32_e32 vcc, v34, v1
	s_mov_b64 s[34:35], 0
	s_and_saveexec_b64 s[26:27], vcc
	s_cbranch_execz .LBB29_110
; %bb.102:
	s_andn2_b64 vcc, exec, s[0:1]
	s_cbranch_vccnz .LBB29_108
; %bb.103:
	v_mov_b64_e32 v[6:7], s[6:7]
	v_mad_u64_u32 v[4:5], s[34:35], v33, s4, v[6:7]
	v_mul_lo_u32 v38, v33, s5
	v_mul_lo_u32 v39, v32, s4
	v_add3_u32 v5, v39, v5, v38
	v_mad_u64_u32 v[6:7], s[34:35], v37, s4, v[6:7]
	v_mul_lo_u32 v38, v37, s5
	v_mul_lo_u32 v39, v36, s4
	v_add3_u32 v7, v39, v7, v38
	s_mov_b64 s[34:35], 0
	s_mov_b64 s[42:43], s[4:5]
                                        ; implicit-def: $sgpr36_sgpr37
                                        ; implicit-def: $sgpr38_sgpr39
                                        ; implicit-def: $sgpr44_sgpr45
                                        ; implicit-def: $sgpr40_sgpr41
                                        ; implicit-def: $sgpr46_sgpr47
	s_branch .LBB29_105
.LBB29_104:                             ;   in Loop: Header=BB29_105 Depth=1
	s_or_b64 exec, exec, s[48:49]
	s_and_b64 s[48:49], exec, s[38:39]
	s_or_b64 s[34:35], s[48:49], s[34:35]
	s_andn2_b64 s[46:47], s[46:47], exec
	s_and_b64 s[48:49], s[40:41], exec
	s_or_b64 s[46:47], s[46:47], s[48:49]
	s_andn2_b64 s[36:37], s[36:37], exec
	s_and_b64 s[48:49], s[44:45], exec
	s_or_b64 s[36:37], s[36:37], s[48:49]
	s_andn2_b64 exec, exec, s[34:35]
	s_cbranch_execz .LBB29_107
.LBB29_105:                             ; =>This Inner Loop Header: Depth=1
	global_load_ubyte v38, v[4:5], off
	global_load_ubyte v39, v[6:7], off
	s_andn2_b64 s[44:45], s[44:45], exec
	s_andn2_b64 s[40:41], s[40:41], exec
	s_or_b64 s[38:39], s[38:39], exec
	s_waitcnt vmcnt(0)
	v_cmp_le_u16_sdwa s[50:51], v38, v39 src0_sel:BYTE_0 src1_sel:BYTE_0
	v_cmp_lt_u16_sdwa s[48:49], v38, v39 src0_sel:BYTE_0 src1_sel:BYTE_0
	s_and_b64 s[50:51], s[50:51], s[46:47]
	s_or_b64 s[50:51], s[48:49], s[50:51]
	s_and_b64 s[48:49], s[50:51], exec
	v_cmp_eq_u16_sdwa s[52:53], v38, v39 src0_sel:BYTE_0 src1_sel:BYTE_0
	s_or_b64 s[44:45], s[44:45], s[48:49]
	s_and_saveexec_b64 s[48:49], s[52:53]
	s_cbranch_execz .LBB29_104
; %bb.106:                              ;   in Loop: Header=BB29_105 Depth=1
	s_add_u32 s42, s42, -1
	s_addc_u32 s43, s43, -1
	s_cmp_eq_u64 s[42:43], 0
	s_cselect_b64 s[46:47], -1, 0
	s_andn2_b64 s[40:41], s[40:41], exec
	s_and_b64 s[50:51], s[50:51], exec
	s_andn2_b64 s[38:39], s[38:39], exec
	s_and_b64 s[46:47], s[46:47], exec
	v_lshl_add_u64 v[4:5], v[4:5], 0, 1
	v_lshl_add_u64 v[6:7], v[6:7], 0, 1
	s_or_b64 s[40:41], s[40:41], s[50:51]
	s_andn2_b64 s[44:45], s[44:45], exec
	s_or_b64 s[38:39], s[38:39], s[46:47]
                                        ; implicit-def: $sgpr46_sgpr47
	s_branch .LBB29_104
.LBB29_107:
	s_or_b64 exec, exec, s[34:35]
	s_xor_b64 s[34:35], s[36:37], -1
	s_branch .LBB29_109
.LBB29_108:
	s_mov_b64 s[34:35], -1
.LBB29_109:
	s_and_b64 s[34:35], s[34:35], exec
.LBB29_110:
	s_or_b64 exec, exec, s[26:27]
	s_orn2_b64 s[26:27], s[34:35], exec
.LBB29_111:
	s_or_b64 exec, exec, s[30:31]
	v_cndmask_b32_e64 v5, v16, v19, s[16:17]
	v_cndmask_b32_e64 v4, v17, v20, s[16:17]
	;; [unrolled: 1-line block ×4, first 2 shown]
	v_add_u32_e32 v19, 1, v16
	v_add_u32_e32 v16, -1, v17
	v_min_u32_e32 v16, v19, v16
	v_lshlrev_b32_e32 v16, 3, v16
	v_cndmask_b32_e64 v7, v21, v23, s[18:19]
	ds_read_b64 v[20:21], v16
	v_cndmask_b32_e64 v6, v22, v25, s[18:19]
	v_cndmask_b32_e64 v22, v19, v35, s[26:27]
	;; [unrolled: 1-line block ×12, first 2 shown]
	s_waitcnt lgkmcnt(0)
	v_cndmask_b32_e64 v17, v36, v21, s[26:27]
	v_cndmask_b32_e64 v16, v37, v20, s[26:27]
	v_cmp_lt_u32_e32 vcc, v22, v24
	s_and_saveexec_b64 s[12:13], vcc
	s_cbranch_execz .LBB29_121
; %bb.112:
	v_cndmask_b32_e64 v19, v34, v19, s[26:27]
	v_cndmask_b32_e64 v21, v21, v32, s[26:27]
	;; [unrolled: 1-line block ×3, first 2 shown]
	v_cmp_lt_u32_e32 vcc, v19, v1
	s_and_saveexec_b64 s[16:17], vcc
	s_cbranch_execz .LBB29_120
; %bb.113:
	s_andn2_b64 vcc, exec, s[0:1]
	s_cbranch_vccnz .LBB29_119
; %bb.114:
	v_mov_b64_e32 v[24:25], s[6:7]
	v_mad_u64_u32 v[22:23], s[0:1], v20, s4, v[24:25]
	v_mul_lo_u32 v1, v20, s5
	v_mul_lo_u32 v19, v21, s4
	v_add3_u32 v23, v19, v23, v1
	v_mad_u64_u32 v[24:25], s[0:1], v16, s4, v[24:25]
	v_mul_lo_u32 v1, v16, s5
	v_mul_lo_u32 v19, v17, s4
	v_add3_u32 v25, v19, v25, v1
	s_mov_b64 s[0:1], 0
                                        ; implicit-def: $sgpr6_sgpr7
                                        ; implicit-def: $sgpr18_sgpr19
                                        ; implicit-def: $sgpr24_sgpr25
                                        ; implicit-def: $sgpr22_sgpr23
                                        ; implicit-def: $sgpr26_sgpr27
	s_branch .LBB29_116
.LBB29_115:                             ;   in Loop: Header=BB29_116 Depth=1
	s_or_b64 exec, exec, s[28:29]
	s_and_b64 s[28:29], exec, s[18:19]
	s_or_b64 s[0:1], s[28:29], s[0:1]
	s_andn2_b64 s[26:27], s[26:27], exec
	s_and_b64 s[28:29], s[22:23], exec
	s_or_b64 s[26:27], s[26:27], s[28:29]
	s_andn2_b64 s[6:7], s[6:7], exec
	s_and_b64 s[28:29], s[24:25], exec
	s_or_b64 s[6:7], s[6:7], s[28:29]
	s_andn2_b64 exec, exec, s[0:1]
	s_cbranch_execz .LBB29_118
.LBB29_116:                             ; =>This Inner Loop Header: Depth=1
	global_load_ubyte v1, v[22:23], off
	global_load_ubyte v19, v[24:25], off
	s_andn2_b64 s[24:25], s[24:25], exec
	s_andn2_b64 s[22:23], s[22:23], exec
	s_or_b64 s[18:19], s[18:19], exec
	s_waitcnt vmcnt(0)
	v_cmp_le_u16_sdwa s[30:31], v1, v19 src0_sel:BYTE_0 src1_sel:BYTE_0
	v_cmp_lt_u16_sdwa s[28:29], v1, v19 src0_sel:BYTE_0 src1_sel:BYTE_0
	s_and_b64 s[30:31], s[30:31], s[26:27]
	s_or_b64 s[30:31], s[28:29], s[30:31]
	s_and_b64 s[28:29], s[30:31], exec
	v_cmp_eq_u16_sdwa s[34:35], v1, v19 src0_sel:BYTE_0 src1_sel:BYTE_0
	s_or_b64 s[24:25], s[24:25], s[28:29]
	s_and_saveexec_b64 s[28:29], s[34:35]
	s_cbranch_execz .LBB29_115
; %bb.117:                              ;   in Loop: Header=BB29_116 Depth=1
	s_add_u32 s4, s4, -1
	s_addc_u32 s5, s5, -1
	s_cmp_eq_u64 s[4:5], 0
	s_cselect_b64 s[26:27], -1, 0
	s_andn2_b64 s[22:23], s[22:23], exec
	s_and_b64 s[30:31], s[30:31], exec
	s_andn2_b64 s[18:19], s[18:19], exec
	s_and_b64 s[26:27], s[26:27], exec
	v_lshl_add_u64 v[22:23], v[22:23], 0, 1
	v_lshl_add_u64 v[24:25], v[24:25], 0, 1
	s_or_b64 s[22:23], s[22:23], s[30:31]
	s_andn2_b64 s[24:25], s[24:25], exec
	s_or_b64 s[18:19], s[18:19], s[26:27]
                                        ; implicit-def: $sgpr26_sgpr27
	s_branch .LBB29_115
.LBB29_118:
	s_or_b64 exec, exec, s[0:1]
	v_cndmask_b32_e64 v17, v17, v21, s[6:7]
	v_cndmask_b32_e64 v16, v16, v20, s[6:7]
.LBB29_119:
	v_mov_b64_e32 v[20:21], v[16:17]
.LBB29_120:
	s_or_b64 exec, exec, s[16:17]
	v_mov_b64_e32 v[16:17], v[20:21]
.LBB29_121:
	s_or_b64 exec, exec, s[12:13]
.LBB29_122:
	s_or_b64 exec, exec, s[2:3]
	v_lshrrev_b32_e32 v1, 2, v0
	v_lshlrev_b32_e32 v19, 3, v18
	v_lshl_add_u32 v19, v1, 3, v19
	v_and_b32_e32 v1, 24, v1
	v_or_b32_e32 v25, 0x80, v0
	v_add_u32_e32 v26, v18, v1
	v_lshrrev_b32_e32 v1, 2, v25
	v_and_b32_e32 v1, 56, v1
	v_or_b32_e32 v24, 0x100, v0
	s_barrier
	s_barrier
	ds_write2_b64 v19, v[2:3], v[4:5] offset1:1
	ds_write2_b64 v19, v[6:7], v[8:9] offset0:2 offset1:3
	ds_write2_b64 v19, v[10:11], v[12:13] offset0:4 offset1:5
	;; [unrolled: 1-line block ×3, first 2 shown]
	v_add_u32_e32 v6, v18, v1
	v_lshrrev_b32_e32 v1, 2, v24
	v_and_b32_e32 v1, 0x58, v1
	v_or_b32_e32 v23, 0x180, v0
	v_add_u32_e32 v7, v18, v1
	v_lshrrev_b32_e32 v1, 2, v23
	v_and_b32_e32 v1, 0x78, v1
	v_or_b32_e32 v22, 0x200, v0
	;; [unrolled: 4-line block ×4, first 2 shown]
	v_add_u32_e32 v27, v18, v1
	v_lshrrev_b32_e32 v1, 2, v20
	v_and_b32_e32 v1, 0xd8, v1
	s_lshl_b64 s[0:1], s[20:21], 3
	v_add_u32_e32 v28, v18, v1
	v_or_b32_e32 v1, 0x380, v0
	s_add_u32 s0, s14, s0
	v_lshrrev_b32_e32 v2, 2, v1
	s_addc_u32 s1, s15, s1
	v_and_b32_e32 v2, 0xf8, v2
	v_mov_b32_e32 v19, 0
	v_add_u32_e32 v29, v18, v2
	v_lshl_add_u64 v[2:3], s[0:1], 0, v[18:19]
	s_and_b64 vcc, exec, s[10:11]
	s_waitcnt lgkmcnt(0)
	s_cbranch_vccz .LBB29_124
; %bb.123:
	s_barrier
	ds_read_b64 v[10:11], v26
	ds_read_b64 v[12:13], v6 offset:1024
	ds_read_b64 v[14:15], v7 offset:2048
	;; [unrolled: 1-line block ×7, first 2 shown]
	s_waitcnt lgkmcnt(7)
	global_store_dwordx2 v[2:3], v[10:11], off
	s_waitcnt lgkmcnt(6)
	global_store_dwordx2 v[2:3], v[12:13], off offset:1024
	s_waitcnt lgkmcnt(5)
	global_store_dwordx2 v[2:3], v[14:15], off offset:2048
	;; [unrolled: 2-line block ×3, first 2 shown]
	v_add_co_u32_e32 v10, vcc, 0x1000, v2
	s_nop 1
	v_addc_co_u32_e32 v11, vcc, 0, v3, vcc
	s_waitcnt lgkmcnt(3)
	global_store_dwordx2 v[10:11], v[18:19], off
	s_waitcnt lgkmcnt(2)
	global_store_dwordx2 v[10:11], v[30:31], off offset:1024
	s_waitcnt lgkmcnt(1)
	global_store_dwordx2 v[10:11], v[32:33], off offset:2048
	s_mov_b64 s[0:1], -1
	s_cbranch_execz .LBB29_125
	s_branch .LBB29_134
.LBB29_124:
	s_mov_b64 s[0:1], 0
                                        ; implicit-def: $vgpr4_vgpr5
.LBB29_125:
	s_barrier
	s_waitcnt lgkmcnt(0)
	ds_read_b64 v[16:17], v6 offset:1024
	ds_read_b64 v[14:15], v7 offset:2048
	;; [unrolled: 1-line block ×7, first 2 shown]
	s_sub_i32 s2, s8, s20
	v_cmp_gt_u32_e32 vcc, s2, v0
	s_and_saveexec_b64 s[0:1], vcc
	s_cbranch_execnz .LBB29_137
; %bb.126:
	s_or_b64 exec, exec, s[0:1]
	v_cmp_gt_u32_e32 vcc, s2, v25
	s_and_saveexec_b64 s[0:1], vcc
	s_cbranch_execnz .LBB29_138
.LBB29_127:
	s_or_b64 exec, exec, s[0:1]
	v_cmp_gt_u32_e32 vcc, s2, v24
	s_and_saveexec_b64 s[0:1], vcc
	s_cbranch_execnz .LBB29_139
.LBB29_128:
	s_or_b64 exec, exec, s[0:1]
	v_cmp_gt_u32_e32 vcc, s2, v23
	s_and_saveexec_b64 s[0:1], vcc
	s_cbranch_execnz .LBB29_140
.LBB29_129:
	s_or_b64 exec, exec, s[0:1]
	v_cmp_gt_u32_e32 vcc, s2, v22
	s_and_saveexec_b64 s[0:1], vcc
	s_cbranch_execnz .LBB29_141
.LBB29_130:
	s_or_b64 exec, exec, s[0:1]
	v_cmp_gt_u32_e32 vcc, s2, v21
	s_and_saveexec_b64 s[0:1], vcc
	s_cbranch_execnz .LBB29_142
.LBB29_131:
	s_or_b64 exec, exec, s[0:1]
	v_cmp_gt_u32_e32 vcc, s2, v20
	s_and_saveexec_b64 s[0:1], vcc
	s_cbranch_execz .LBB29_133
.LBB29_132:
	s_waitcnt lgkmcnt(2)
	v_add_co_u32_e32 v8, vcc, 0x1000, v2
	s_nop 1
	v_addc_co_u32_e32 v9, vcc, 0, v3, vcc
	s_waitcnt lgkmcnt(1)
	global_store_dwordx2 v[8:9], v[6:7], off offset:2048
.LBB29_133:
	s_or_b64 exec, exec, s[0:1]
	v_cmp_gt_u32_e64 s[0:1], s2, v1
.LBB29_134:
	s_and_saveexec_b64 s[2:3], s[0:1]
	s_cbranch_execz .LBB29_136
; %bb.135:
	v_add_co_u32_e32 v0, vcc, 0x1000, v2
	s_nop 1
	v_addc_co_u32_e32 v1, vcc, 0, v3, vcc
	s_waitcnt lgkmcnt(0)
	global_store_dwordx2 v[0:1], v[4:5], off offset:3072
.LBB29_136:
	s_endpgm
.LBB29_137:
	ds_read_b64 v[18:19], v26
	s_waitcnt lgkmcnt(0)
	global_store_dwordx2 v[2:3], v[18:19], off
	s_or_b64 exec, exec, s[0:1]
	v_cmp_gt_u32_e32 vcc, s2, v25
	s_and_saveexec_b64 s[0:1], vcc
	s_cbranch_execz .LBB29_127
.LBB29_138:
	s_waitcnt lgkmcnt(6)
	global_store_dwordx2 v[2:3], v[16:17], off offset:1024
	s_or_b64 exec, exec, s[0:1]
	v_cmp_gt_u32_e32 vcc, s2, v24
	s_and_saveexec_b64 s[0:1], vcc
	s_cbranch_execz .LBB29_128
.LBB29_139:
	s_waitcnt lgkmcnt(5)
	global_store_dwordx2 v[2:3], v[14:15], off offset:2048
	s_or_b64 exec, exec, s[0:1]
	v_cmp_gt_u32_e32 vcc, s2, v23
	s_and_saveexec_b64 s[0:1], vcc
	s_cbranch_execz .LBB29_129
.LBB29_140:
	s_waitcnt lgkmcnt(4)
	global_store_dwordx2 v[2:3], v[12:13], off offset:3072
	s_or_b64 exec, exec, s[0:1]
	v_cmp_gt_u32_e32 vcc, s2, v22
	s_and_saveexec_b64 s[0:1], vcc
	s_cbranch_execz .LBB29_130
.LBB29_141:
	s_waitcnt lgkmcnt(4)
	v_add_co_u32_e32 v12, vcc, 0x1000, v2
	s_nop 1
	v_addc_co_u32_e32 v13, vcc, 0, v3, vcc
	s_waitcnt lgkmcnt(3)
	global_store_dwordx2 v[12:13], v[10:11], off
	s_or_b64 exec, exec, s[0:1]
	v_cmp_gt_u32_e32 vcc, s2, v21
	s_and_saveexec_b64 s[0:1], vcc
	s_cbranch_execz .LBB29_131
.LBB29_142:
	s_waitcnt lgkmcnt(3)
	v_add_co_u32_e32 v10, vcc, 0x1000, v2
	s_nop 1
	v_addc_co_u32_e32 v11, vcc, 0, v3, vcc
	s_waitcnt lgkmcnt(2)
	global_store_dwordx2 v[10:11], v[8:9], off offset:1024
	s_or_b64 exec, exec, s[0:1]
	v_cmp_gt_u32_e32 vcc, s2, v20
	s_and_saveexec_b64 s[0:1], vcc
	s_cbranch_execnz .LBB29_132
	s_branch .LBB29_133
	.section	.rodata,"a",@progbits
	.p2align	6, 0x0
	.amdhsa_kernel _ZN7rocprim17ROCPRIM_400000_NS6detail17trampoline_kernelINS0_14default_configENS1_38merge_sort_block_merge_config_selectorIlNS0_10empty_typeEEEZZNS1_27merge_sort_block_merge_implIS3_PlPS5_mZN2at6native12_GLOBAL__N_124unique_dim_cuda_templateIhEESt5tupleIJNSA_6TensorESF_SF_EERKSF_lbbbEUlllE_EE10hipError_tT0_T1_T2_jT3_P12ihipStream_tbPNSt15iterator_traitsISL_E10value_typeEPNSR_ISM_E10value_typeEPSN_NS1_7vsmem_tEENKUlT_SL_SM_SN_E_clIS8_S8_S9_S9_EESK_S10_SL_SM_SN_EUlS10_E0_NS1_11comp_targetILNS1_3genE5ELNS1_11target_archE942ELNS1_3gpuE9ELNS1_3repE0EEENS1_38merge_mergepath_config_static_selectorELNS0_4arch9wavefront6targetE1EEEvSM_
		.amdhsa_group_segment_fixed_size 8448
		.amdhsa_private_segment_fixed_size 0
		.amdhsa_kernarg_size 344
		.amdhsa_user_sgpr_count 2
		.amdhsa_user_sgpr_dispatch_ptr 0
		.amdhsa_user_sgpr_queue_ptr 0
		.amdhsa_user_sgpr_kernarg_segment_ptr 1
		.amdhsa_user_sgpr_dispatch_id 0
		.amdhsa_user_sgpr_kernarg_preload_length 0
		.amdhsa_user_sgpr_kernarg_preload_offset 0
		.amdhsa_user_sgpr_private_segment_size 0
		.amdhsa_uses_dynamic_stack 0
		.amdhsa_enable_private_segment 0
		.amdhsa_system_sgpr_workgroup_id_x 1
		.amdhsa_system_sgpr_workgroup_id_y 1
		.amdhsa_system_sgpr_workgroup_id_z 1
		.amdhsa_system_sgpr_workgroup_info 0
		.amdhsa_system_vgpr_workitem_id 0
		.amdhsa_next_free_vgpr 40
		.amdhsa_next_free_sgpr 54
		.amdhsa_accum_offset 40
		.amdhsa_reserve_vcc 1
		.amdhsa_float_round_mode_32 0
		.amdhsa_float_round_mode_16_64 0
		.amdhsa_float_denorm_mode_32 3
		.amdhsa_float_denorm_mode_16_64 3
		.amdhsa_dx10_clamp 1
		.amdhsa_ieee_mode 1
		.amdhsa_fp16_overflow 0
		.amdhsa_tg_split 0
		.amdhsa_exception_fp_ieee_invalid_op 0
		.amdhsa_exception_fp_denorm_src 0
		.amdhsa_exception_fp_ieee_div_zero 0
		.amdhsa_exception_fp_ieee_overflow 0
		.amdhsa_exception_fp_ieee_underflow 0
		.amdhsa_exception_fp_ieee_inexact 0
		.amdhsa_exception_int_div_zero 0
	.end_amdhsa_kernel
	.section	.text._ZN7rocprim17ROCPRIM_400000_NS6detail17trampoline_kernelINS0_14default_configENS1_38merge_sort_block_merge_config_selectorIlNS0_10empty_typeEEEZZNS1_27merge_sort_block_merge_implIS3_PlPS5_mZN2at6native12_GLOBAL__N_124unique_dim_cuda_templateIhEESt5tupleIJNSA_6TensorESF_SF_EERKSF_lbbbEUlllE_EE10hipError_tT0_T1_T2_jT3_P12ihipStream_tbPNSt15iterator_traitsISL_E10value_typeEPNSR_ISM_E10value_typeEPSN_NS1_7vsmem_tEENKUlT_SL_SM_SN_E_clIS8_S8_S9_S9_EESK_S10_SL_SM_SN_EUlS10_E0_NS1_11comp_targetILNS1_3genE5ELNS1_11target_archE942ELNS1_3gpuE9ELNS1_3repE0EEENS1_38merge_mergepath_config_static_selectorELNS0_4arch9wavefront6targetE1EEEvSM_,"axG",@progbits,_ZN7rocprim17ROCPRIM_400000_NS6detail17trampoline_kernelINS0_14default_configENS1_38merge_sort_block_merge_config_selectorIlNS0_10empty_typeEEEZZNS1_27merge_sort_block_merge_implIS3_PlPS5_mZN2at6native12_GLOBAL__N_124unique_dim_cuda_templateIhEESt5tupleIJNSA_6TensorESF_SF_EERKSF_lbbbEUlllE_EE10hipError_tT0_T1_T2_jT3_P12ihipStream_tbPNSt15iterator_traitsISL_E10value_typeEPNSR_ISM_E10value_typeEPSN_NS1_7vsmem_tEENKUlT_SL_SM_SN_E_clIS8_S8_S9_S9_EESK_S10_SL_SM_SN_EUlS10_E0_NS1_11comp_targetILNS1_3genE5ELNS1_11target_archE942ELNS1_3gpuE9ELNS1_3repE0EEENS1_38merge_mergepath_config_static_selectorELNS0_4arch9wavefront6targetE1EEEvSM_,comdat
.Lfunc_end29:
	.size	_ZN7rocprim17ROCPRIM_400000_NS6detail17trampoline_kernelINS0_14default_configENS1_38merge_sort_block_merge_config_selectorIlNS0_10empty_typeEEEZZNS1_27merge_sort_block_merge_implIS3_PlPS5_mZN2at6native12_GLOBAL__N_124unique_dim_cuda_templateIhEESt5tupleIJNSA_6TensorESF_SF_EERKSF_lbbbEUlllE_EE10hipError_tT0_T1_T2_jT3_P12ihipStream_tbPNSt15iterator_traitsISL_E10value_typeEPNSR_ISM_E10value_typeEPSN_NS1_7vsmem_tEENKUlT_SL_SM_SN_E_clIS8_S8_S9_S9_EESK_S10_SL_SM_SN_EUlS10_E0_NS1_11comp_targetILNS1_3genE5ELNS1_11target_archE942ELNS1_3gpuE9ELNS1_3repE0EEENS1_38merge_mergepath_config_static_selectorELNS0_4arch9wavefront6targetE1EEEvSM_, .Lfunc_end29-_ZN7rocprim17ROCPRIM_400000_NS6detail17trampoline_kernelINS0_14default_configENS1_38merge_sort_block_merge_config_selectorIlNS0_10empty_typeEEEZZNS1_27merge_sort_block_merge_implIS3_PlPS5_mZN2at6native12_GLOBAL__N_124unique_dim_cuda_templateIhEESt5tupleIJNSA_6TensorESF_SF_EERKSF_lbbbEUlllE_EE10hipError_tT0_T1_T2_jT3_P12ihipStream_tbPNSt15iterator_traitsISL_E10value_typeEPNSR_ISM_E10value_typeEPSN_NS1_7vsmem_tEENKUlT_SL_SM_SN_E_clIS8_S8_S9_S9_EESK_S10_SL_SM_SN_EUlS10_E0_NS1_11comp_targetILNS1_3genE5ELNS1_11target_archE942ELNS1_3gpuE9ELNS1_3repE0EEENS1_38merge_mergepath_config_static_selectorELNS0_4arch9wavefront6targetE1EEEvSM_
                                        ; -- End function
	.section	.AMDGPU.csdata,"",@progbits
; Kernel info:
; codeLenInByte = 6504
; NumSgprs: 60
; NumVgprs: 40
; NumAgprs: 0
; TotalNumVgprs: 40
; ScratchSize: 0
; MemoryBound: 0
; FloatMode: 240
; IeeeMode: 1
; LDSByteSize: 8448 bytes/workgroup (compile time only)
; SGPRBlocks: 7
; VGPRBlocks: 4
; NumSGPRsForWavesPerEU: 60
; NumVGPRsForWavesPerEU: 40
; AccumOffset: 40
; Occupancy: 4
; WaveLimiterHint : 1
; COMPUTE_PGM_RSRC2:SCRATCH_EN: 0
; COMPUTE_PGM_RSRC2:USER_SGPR: 2
; COMPUTE_PGM_RSRC2:TRAP_HANDLER: 0
; COMPUTE_PGM_RSRC2:TGID_X_EN: 1
; COMPUTE_PGM_RSRC2:TGID_Y_EN: 1
; COMPUTE_PGM_RSRC2:TGID_Z_EN: 1
; COMPUTE_PGM_RSRC2:TIDIG_COMP_CNT: 0
; COMPUTE_PGM_RSRC3_GFX90A:ACCUM_OFFSET: 9
; COMPUTE_PGM_RSRC3_GFX90A:TG_SPLIT: 0
	.section	.text._ZN7rocprim17ROCPRIM_400000_NS6detail17trampoline_kernelINS0_14default_configENS1_38merge_sort_block_merge_config_selectorIlNS0_10empty_typeEEEZZNS1_27merge_sort_block_merge_implIS3_PlPS5_mZN2at6native12_GLOBAL__N_124unique_dim_cuda_templateIhEESt5tupleIJNSA_6TensorESF_SF_EERKSF_lbbbEUlllE_EE10hipError_tT0_T1_T2_jT3_P12ihipStream_tbPNSt15iterator_traitsISL_E10value_typeEPNSR_ISM_E10value_typeEPSN_NS1_7vsmem_tEENKUlT_SL_SM_SN_E_clIS8_S8_S9_S9_EESK_S10_SL_SM_SN_EUlS10_E0_NS1_11comp_targetILNS1_3genE4ELNS1_11target_archE910ELNS1_3gpuE8ELNS1_3repE0EEENS1_38merge_mergepath_config_static_selectorELNS0_4arch9wavefront6targetE1EEEvSM_,"axG",@progbits,_ZN7rocprim17ROCPRIM_400000_NS6detail17trampoline_kernelINS0_14default_configENS1_38merge_sort_block_merge_config_selectorIlNS0_10empty_typeEEEZZNS1_27merge_sort_block_merge_implIS3_PlPS5_mZN2at6native12_GLOBAL__N_124unique_dim_cuda_templateIhEESt5tupleIJNSA_6TensorESF_SF_EERKSF_lbbbEUlllE_EE10hipError_tT0_T1_T2_jT3_P12ihipStream_tbPNSt15iterator_traitsISL_E10value_typeEPNSR_ISM_E10value_typeEPSN_NS1_7vsmem_tEENKUlT_SL_SM_SN_E_clIS8_S8_S9_S9_EESK_S10_SL_SM_SN_EUlS10_E0_NS1_11comp_targetILNS1_3genE4ELNS1_11target_archE910ELNS1_3gpuE8ELNS1_3repE0EEENS1_38merge_mergepath_config_static_selectorELNS0_4arch9wavefront6targetE1EEEvSM_,comdat
	.globl	_ZN7rocprim17ROCPRIM_400000_NS6detail17trampoline_kernelINS0_14default_configENS1_38merge_sort_block_merge_config_selectorIlNS0_10empty_typeEEEZZNS1_27merge_sort_block_merge_implIS3_PlPS5_mZN2at6native12_GLOBAL__N_124unique_dim_cuda_templateIhEESt5tupleIJNSA_6TensorESF_SF_EERKSF_lbbbEUlllE_EE10hipError_tT0_T1_T2_jT3_P12ihipStream_tbPNSt15iterator_traitsISL_E10value_typeEPNSR_ISM_E10value_typeEPSN_NS1_7vsmem_tEENKUlT_SL_SM_SN_E_clIS8_S8_S9_S9_EESK_S10_SL_SM_SN_EUlS10_E0_NS1_11comp_targetILNS1_3genE4ELNS1_11target_archE910ELNS1_3gpuE8ELNS1_3repE0EEENS1_38merge_mergepath_config_static_selectorELNS0_4arch9wavefront6targetE1EEEvSM_ ; -- Begin function _ZN7rocprim17ROCPRIM_400000_NS6detail17trampoline_kernelINS0_14default_configENS1_38merge_sort_block_merge_config_selectorIlNS0_10empty_typeEEEZZNS1_27merge_sort_block_merge_implIS3_PlPS5_mZN2at6native12_GLOBAL__N_124unique_dim_cuda_templateIhEESt5tupleIJNSA_6TensorESF_SF_EERKSF_lbbbEUlllE_EE10hipError_tT0_T1_T2_jT3_P12ihipStream_tbPNSt15iterator_traitsISL_E10value_typeEPNSR_ISM_E10value_typeEPSN_NS1_7vsmem_tEENKUlT_SL_SM_SN_E_clIS8_S8_S9_S9_EESK_S10_SL_SM_SN_EUlS10_E0_NS1_11comp_targetILNS1_3genE4ELNS1_11target_archE910ELNS1_3gpuE8ELNS1_3repE0EEENS1_38merge_mergepath_config_static_selectorELNS0_4arch9wavefront6targetE1EEEvSM_
	.p2align	8
	.type	_ZN7rocprim17ROCPRIM_400000_NS6detail17trampoline_kernelINS0_14default_configENS1_38merge_sort_block_merge_config_selectorIlNS0_10empty_typeEEEZZNS1_27merge_sort_block_merge_implIS3_PlPS5_mZN2at6native12_GLOBAL__N_124unique_dim_cuda_templateIhEESt5tupleIJNSA_6TensorESF_SF_EERKSF_lbbbEUlllE_EE10hipError_tT0_T1_T2_jT3_P12ihipStream_tbPNSt15iterator_traitsISL_E10value_typeEPNSR_ISM_E10value_typeEPSN_NS1_7vsmem_tEENKUlT_SL_SM_SN_E_clIS8_S8_S9_S9_EESK_S10_SL_SM_SN_EUlS10_E0_NS1_11comp_targetILNS1_3genE4ELNS1_11target_archE910ELNS1_3gpuE8ELNS1_3repE0EEENS1_38merge_mergepath_config_static_selectorELNS0_4arch9wavefront6targetE1EEEvSM_,@function
_ZN7rocprim17ROCPRIM_400000_NS6detail17trampoline_kernelINS0_14default_configENS1_38merge_sort_block_merge_config_selectorIlNS0_10empty_typeEEEZZNS1_27merge_sort_block_merge_implIS3_PlPS5_mZN2at6native12_GLOBAL__N_124unique_dim_cuda_templateIhEESt5tupleIJNSA_6TensorESF_SF_EERKSF_lbbbEUlllE_EE10hipError_tT0_T1_T2_jT3_P12ihipStream_tbPNSt15iterator_traitsISL_E10value_typeEPNSR_ISM_E10value_typeEPSN_NS1_7vsmem_tEENKUlT_SL_SM_SN_E_clIS8_S8_S9_S9_EESK_S10_SL_SM_SN_EUlS10_E0_NS1_11comp_targetILNS1_3genE4ELNS1_11target_archE910ELNS1_3gpuE8ELNS1_3repE0EEENS1_38merge_mergepath_config_static_selectorELNS0_4arch9wavefront6targetE1EEEvSM_: ; @_ZN7rocprim17ROCPRIM_400000_NS6detail17trampoline_kernelINS0_14default_configENS1_38merge_sort_block_merge_config_selectorIlNS0_10empty_typeEEEZZNS1_27merge_sort_block_merge_implIS3_PlPS5_mZN2at6native12_GLOBAL__N_124unique_dim_cuda_templateIhEESt5tupleIJNSA_6TensorESF_SF_EERKSF_lbbbEUlllE_EE10hipError_tT0_T1_T2_jT3_P12ihipStream_tbPNSt15iterator_traitsISL_E10value_typeEPNSR_ISM_E10value_typeEPSN_NS1_7vsmem_tEENKUlT_SL_SM_SN_E_clIS8_S8_S9_S9_EESK_S10_SL_SM_SN_EUlS10_E0_NS1_11comp_targetILNS1_3genE4ELNS1_11target_archE910ELNS1_3gpuE8ELNS1_3repE0EEENS1_38merge_mergepath_config_static_selectorELNS0_4arch9wavefront6targetE1EEEvSM_
; %bb.0:
	.section	.rodata,"a",@progbits
	.p2align	6, 0x0
	.amdhsa_kernel _ZN7rocprim17ROCPRIM_400000_NS6detail17trampoline_kernelINS0_14default_configENS1_38merge_sort_block_merge_config_selectorIlNS0_10empty_typeEEEZZNS1_27merge_sort_block_merge_implIS3_PlPS5_mZN2at6native12_GLOBAL__N_124unique_dim_cuda_templateIhEESt5tupleIJNSA_6TensorESF_SF_EERKSF_lbbbEUlllE_EE10hipError_tT0_T1_T2_jT3_P12ihipStream_tbPNSt15iterator_traitsISL_E10value_typeEPNSR_ISM_E10value_typeEPSN_NS1_7vsmem_tEENKUlT_SL_SM_SN_E_clIS8_S8_S9_S9_EESK_S10_SL_SM_SN_EUlS10_E0_NS1_11comp_targetILNS1_3genE4ELNS1_11target_archE910ELNS1_3gpuE8ELNS1_3repE0EEENS1_38merge_mergepath_config_static_selectorELNS0_4arch9wavefront6targetE1EEEvSM_
		.amdhsa_group_segment_fixed_size 0
		.amdhsa_private_segment_fixed_size 0
		.amdhsa_kernarg_size 88
		.amdhsa_user_sgpr_count 2
		.amdhsa_user_sgpr_dispatch_ptr 0
		.amdhsa_user_sgpr_queue_ptr 0
		.amdhsa_user_sgpr_kernarg_segment_ptr 1
		.amdhsa_user_sgpr_dispatch_id 0
		.amdhsa_user_sgpr_kernarg_preload_length 0
		.amdhsa_user_sgpr_kernarg_preload_offset 0
		.amdhsa_user_sgpr_private_segment_size 0
		.amdhsa_uses_dynamic_stack 0
		.amdhsa_enable_private_segment 0
		.amdhsa_system_sgpr_workgroup_id_x 1
		.amdhsa_system_sgpr_workgroup_id_y 0
		.amdhsa_system_sgpr_workgroup_id_z 0
		.amdhsa_system_sgpr_workgroup_info 0
		.amdhsa_system_vgpr_workitem_id 0
		.amdhsa_next_free_vgpr 1
		.amdhsa_next_free_sgpr 0
		.amdhsa_accum_offset 4
		.amdhsa_reserve_vcc 0
		.amdhsa_float_round_mode_32 0
		.amdhsa_float_round_mode_16_64 0
		.amdhsa_float_denorm_mode_32 3
		.amdhsa_float_denorm_mode_16_64 3
		.amdhsa_dx10_clamp 1
		.amdhsa_ieee_mode 1
		.amdhsa_fp16_overflow 0
		.amdhsa_tg_split 0
		.amdhsa_exception_fp_ieee_invalid_op 0
		.amdhsa_exception_fp_denorm_src 0
		.amdhsa_exception_fp_ieee_div_zero 0
		.amdhsa_exception_fp_ieee_overflow 0
		.amdhsa_exception_fp_ieee_underflow 0
		.amdhsa_exception_fp_ieee_inexact 0
		.amdhsa_exception_int_div_zero 0
	.end_amdhsa_kernel
	.section	.text._ZN7rocprim17ROCPRIM_400000_NS6detail17trampoline_kernelINS0_14default_configENS1_38merge_sort_block_merge_config_selectorIlNS0_10empty_typeEEEZZNS1_27merge_sort_block_merge_implIS3_PlPS5_mZN2at6native12_GLOBAL__N_124unique_dim_cuda_templateIhEESt5tupleIJNSA_6TensorESF_SF_EERKSF_lbbbEUlllE_EE10hipError_tT0_T1_T2_jT3_P12ihipStream_tbPNSt15iterator_traitsISL_E10value_typeEPNSR_ISM_E10value_typeEPSN_NS1_7vsmem_tEENKUlT_SL_SM_SN_E_clIS8_S8_S9_S9_EESK_S10_SL_SM_SN_EUlS10_E0_NS1_11comp_targetILNS1_3genE4ELNS1_11target_archE910ELNS1_3gpuE8ELNS1_3repE0EEENS1_38merge_mergepath_config_static_selectorELNS0_4arch9wavefront6targetE1EEEvSM_,"axG",@progbits,_ZN7rocprim17ROCPRIM_400000_NS6detail17trampoline_kernelINS0_14default_configENS1_38merge_sort_block_merge_config_selectorIlNS0_10empty_typeEEEZZNS1_27merge_sort_block_merge_implIS3_PlPS5_mZN2at6native12_GLOBAL__N_124unique_dim_cuda_templateIhEESt5tupleIJNSA_6TensorESF_SF_EERKSF_lbbbEUlllE_EE10hipError_tT0_T1_T2_jT3_P12ihipStream_tbPNSt15iterator_traitsISL_E10value_typeEPNSR_ISM_E10value_typeEPSN_NS1_7vsmem_tEENKUlT_SL_SM_SN_E_clIS8_S8_S9_S9_EESK_S10_SL_SM_SN_EUlS10_E0_NS1_11comp_targetILNS1_3genE4ELNS1_11target_archE910ELNS1_3gpuE8ELNS1_3repE0EEENS1_38merge_mergepath_config_static_selectorELNS0_4arch9wavefront6targetE1EEEvSM_,comdat
.Lfunc_end30:
	.size	_ZN7rocprim17ROCPRIM_400000_NS6detail17trampoline_kernelINS0_14default_configENS1_38merge_sort_block_merge_config_selectorIlNS0_10empty_typeEEEZZNS1_27merge_sort_block_merge_implIS3_PlPS5_mZN2at6native12_GLOBAL__N_124unique_dim_cuda_templateIhEESt5tupleIJNSA_6TensorESF_SF_EERKSF_lbbbEUlllE_EE10hipError_tT0_T1_T2_jT3_P12ihipStream_tbPNSt15iterator_traitsISL_E10value_typeEPNSR_ISM_E10value_typeEPSN_NS1_7vsmem_tEENKUlT_SL_SM_SN_E_clIS8_S8_S9_S9_EESK_S10_SL_SM_SN_EUlS10_E0_NS1_11comp_targetILNS1_3genE4ELNS1_11target_archE910ELNS1_3gpuE8ELNS1_3repE0EEENS1_38merge_mergepath_config_static_selectorELNS0_4arch9wavefront6targetE1EEEvSM_, .Lfunc_end30-_ZN7rocprim17ROCPRIM_400000_NS6detail17trampoline_kernelINS0_14default_configENS1_38merge_sort_block_merge_config_selectorIlNS0_10empty_typeEEEZZNS1_27merge_sort_block_merge_implIS3_PlPS5_mZN2at6native12_GLOBAL__N_124unique_dim_cuda_templateIhEESt5tupleIJNSA_6TensorESF_SF_EERKSF_lbbbEUlllE_EE10hipError_tT0_T1_T2_jT3_P12ihipStream_tbPNSt15iterator_traitsISL_E10value_typeEPNSR_ISM_E10value_typeEPSN_NS1_7vsmem_tEENKUlT_SL_SM_SN_E_clIS8_S8_S9_S9_EESK_S10_SL_SM_SN_EUlS10_E0_NS1_11comp_targetILNS1_3genE4ELNS1_11target_archE910ELNS1_3gpuE8ELNS1_3repE0EEENS1_38merge_mergepath_config_static_selectorELNS0_4arch9wavefront6targetE1EEEvSM_
                                        ; -- End function
	.section	.AMDGPU.csdata,"",@progbits
; Kernel info:
; codeLenInByte = 0
; NumSgprs: 6
; NumVgprs: 0
; NumAgprs: 0
; TotalNumVgprs: 0
; ScratchSize: 0
; MemoryBound: 0
; FloatMode: 240
; IeeeMode: 1
; LDSByteSize: 0 bytes/workgroup (compile time only)
; SGPRBlocks: 0
; VGPRBlocks: 0
; NumSGPRsForWavesPerEU: 6
; NumVGPRsForWavesPerEU: 1
; AccumOffset: 4
; Occupancy: 8
; WaveLimiterHint : 0
; COMPUTE_PGM_RSRC2:SCRATCH_EN: 0
; COMPUTE_PGM_RSRC2:USER_SGPR: 2
; COMPUTE_PGM_RSRC2:TRAP_HANDLER: 0
; COMPUTE_PGM_RSRC2:TGID_X_EN: 1
; COMPUTE_PGM_RSRC2:TGID_Y_EN: 0
; COMPUTE_PGM_RSRC2:TGID_Z_EN: 0
; COMPUTE_PGM_RSRC2:TIDIG_COMP_CNT: 0
; COMPUTE_PGM_RSRC3_GFX90A:ACCUM_OFFSET: 0
; COMPUTE_PGM_RSRC3_GFX90A:TG_SPLIT: 0
	.section	.text._ZN7rocprim17ROCPRIM_400000_NS6detail17trampoline_kernelINS0_14default_configENS1_38merge_sort_block_merge_config_selectorIlNS0_10empty_typeEEEZZNS1_27merge_sort_block_merge_implIS3_PlPS5_mZN2at6native12_GLOBAL__N_124unique_dim_cuda_templateIhEESt5tupleIJNSA_6TensorESF_SF_EERKSF_lbbbEUlllE_EE10hipError_tT0_T1_T2_jT3_P12ihipStream_tbPNSt15iterator_traitsISL_E10value_typeEPNSR_ISM_E10value_typeEPSN_NS1_7vsmem_tEENKUlT_SL_SM_SN_E_clIS8_S8_S9_S9_EESK_S10_SL_SM_SN_EUlS10_E0_NS1_11comp_targetILNS1_3genE3ELNS1_11target_archE908ELNS1_3gpuE7ELNS1_3repE0EEENS1_38merge_mergepath_config_static_selectorELNS0_4arch9wavefront6targetE1EEEvSM_,"axG",@progbits,_ZN7rocprim17ROCPRIM_400000_NS6detail17trampoline_kernelINS0_14default_configENS1_38merge_sort_block_merge_config_selectorIlNS0_10empty_typeEEEZZNS1_27merge_sort_block_merge_implIS3_PlPS5_mZN2at6native12_GLOBAL__N_124unique_dim_cuda_templateIhEESt5tupleIJNSA_6TensorESF_SF_EERKSF_lbbbEUlllE_EE10hipError_tT0_T1_T2_jT3_P12ihipStream_tbPNSt15iterator_traitsISL_E10value_typeEPNSR_ISM_E10value_typeEPSN_NS1_7vsmem_tEENKUlT_SL_SM_SN_E_clIS8_S8_S9_S9_EESK_S10_SL_SM_SN_EUlS10_E0_NS1_11comp_targetILNS1_3genE3ELNS1_11target_archE908ELNS1_3gpuE7ELNS1_3repE0EEENS1_38merge_mergepath_config_static_selectorELNS0_4arch9wavefront6targetE1EEEvSM_,comdat
	.globl	_ZN7rocprim17ROCPRIM_400000_NS6detail17trampoline_kernelINS0_14default_configENS1_38merge_sort_block_merge_config_selectorIlNS0_10empty_typeEEEZZNS1_27merge_sort_block_merge_implIS3_PlPS5_mZN2at6native12_GLOBAL__N_124unique_dim_cuda_templateIhEESt5tupleIJNSA_6TensorESF_SF_EERKSF_lbbbEUlllE_EE10hipError_tT0_T1_T2_jT3_P12ihipStream_tbPNSt15iterator_traitsISL_E10value_typeEPNSR_ISM_E10value_typeEPSN_NS1_7vsmem_tEENKUlT_SL_SM_SN_E_clIS8_S8_S9_S9_EESK_S10_SL_SM_SN_EUlS10_E0_NS1_11comp_targetILNS1_3genE3ELNS1_11target_archE908ELNS1_3gpuE7ELNS1_3repE0EEENS1_38merge_mergepath_config_static_selectorELNS0_4arch9wavefront6targetE1EEEvSM_ ; -- Begin function _ZN7rocprim17ROCPRIM_400000_NS6detail17trampoline_kernelINS0_14default_configENS1_38merge_sort_block_merge_config_selectorIlNS0_10empty_typeEEEZZNS1_27merge_sort_block_merge_implIS3_PlPS5_mZN2at6native12_GLOBAL__N_124unique_dim_cuda_templateIhEESt5tupleIJNSA_6TensorESF_SF_EERKSF_lbbbEUlllE_EE10hipError_tT0_T1_T2_jT3_P12ihipStream_tbPNSt15iterator_traitsISL_E10value_typeEPNSR_ISM_E10value_typeEPSN_NS1_7vsmem_tEENKUlT_SL_SM_SN_E_clIS8_S8_S9_S9_EESK_S10_SL_SM_SN_EUlS10_E0_NS1_11comp_targetILNS1_3genE3ELNS1_11target_archE908ELNS1_3gpuE7ELNS1_3repE0EEENS1_38merge_mergepath_config_static_selectorELNS0_4arch9wavefront6targetE1EEEvSM_
	.p2align	8
	.type	_ZN7rocprim17ROCPRIM_400000_NS6detail17trampoline_kernelINS0_14default_configENS1_38merge_sort_block_merge_config_selectorIlNS0_10empty_typeEEEZZNS1_27merge_sort_block_merge_implIS3_PlPS5_mZN2at6native12_GLOBAL__N_124unique_dim_cuda_templateIhEESt5tupleIJNSA_6TensorESF_SF_EERKSF_lbbbEUlllE_EE10hipError_tT0_T1_T2_jT3_P12ihipStream_tbPNSt15iterator_traitsISL_E10value_typeEPNSR_ISM_E10value_typeEPSN_NS1_7vsmem_tEENKUlT_SL_SM_SN_E_clIS8_S8_S9_S9_EESK_S10_SL_SM_SN_EUlS10_E0_NS1_11comp_targetILNS1_3genE3ELNS1_11target_archE908ELNS1_3gpuE7ELNS1_3repE0EEENS1_38merge_mergepath_config_static_selectorELNS0_4arch9wavefront6targetE1EEEvSM_,@function
_ZN7rocprim17ROCPRIM_400000_NS6detail17trampoline_kernelINS0_14default_configENS1_38merge_sort_block_merge_config_selectorIlNS0_10empty_typeEEEZZNS1_27merge_sort_block_merge_implIS3_PlPS5_mZN2at6native12_GLOBAL__N_124unique_dim_cuda_templateIhEESt5tupleIJNSA_6TensorESF_SF_EERKSF_lbbbEUlllE_EE10hipError_tT0_T1_T2_jT3_P12ihipStream_tbPNSt15iterator_traitsISL_E10value_typeEPNSR_ISM_E10value_typeEPSN_NS1_7vsmem_tEENKUlT_SL_SM_SN_E_clIS8_S8_S9_S9_EESK_S10_SL_SM_SN_EUlS10_E0_NS1_11comp_targetILNS1_3genE3ELNS1_11target_archE908ELNS1_3gpuE7ELNS1_3repE0EEENS1_38merge_mergepath_config_static_selectorELNS0_4arch9wavefront6targetE1EEEvSM_: ; @_ZN7rocprim17ROCPRIM_400000_NS6detail17trampoline_kernelINS0_14default_configENS1_38merge_sort_block_merge_config_selectorIlNS0_10empty_typeEEEZZNS1_27merge_sort_block_merge_implIS3_PlPS5_mZN2at6native12_GLOBAL__N_124unique_dim_cuda_templateIhEESt5tupleIJNSA_6TensorESF_SF_EERKSF_lbbbEUlllE_EE10hipError_tT0_T1_T2_jT3_P12ihipStream_tbPNSt15iterator_traitsISL_E10value_typeEPNSR_ISM_E10value_typeEPSN_NS1_7vsmem_tEENKUlT_SL_SM_SN_E_clIS8_S8_S9_S9_EESK_S10_SL_SM_SN_EUlS10_E0_NS1_11comp_targetILNS1_3genE3ELNS1_11target_archE908ELNS1_3gpuE7ELNS1_3repE0EEENS1_38merge_mergepath_config_static_selectorELNS0_4arch9wavefront6targetE1EEEvSM_
; %bb.0:
	.section	.rodata,"a",@progbits
	.p2align	6, 0x0
	.amdhsa_kernel _ZN7rocprim17ROCPRIM_400000_NS6detail17trampoline_kernelINS0_14default_configENS1_38merge_sort_block_merge_config_selectorIlNS0_10empty_typeEEEZZNS1_27merge_sort_block_merge_implIS3_PlPS5_mZN2at6native12_GLOBAL__N_124unique_dim_cuda_templateIhEESt5tupleIJNSA_6TensorESF_SF_EERKSF_lbbbEUlllE_EE10hipError_tT0_T1_T2_jT3_P12ihipStream_tbPNSt15iterator_traitsISL_E10value_typeEPNSR_ISM_E10value_typeEPSN_NS1_7vsmem_tEENKUlT_SL_SM_SN_E_clIS8_S8_S9_S9_EESK_S10_SL_SM_SN_EUlS10_E0_NS1_11comp_targetILNS1_3genE3ELNS1_11target_archE908ELNS1_3gpuE7ELNS1_3repE0EEENS1_38merge_mergepath_config_static_selectorELNS0_4arch9wavefront6targetE1EEEvSM_
		.amdhsa_group_segment_fixed_size 0
		.amdhsa_private_segment_fixed_size 0
		.amdhsa_kernarg_size 88
		.amdhsa_user_sgpr_count 2
		.amdhsa_user_sgpr_dispatch_ptr 0
		.amdhsa_user_sgpr_queue_ptr 0
		.amdhsa_user_sgpr_kernarg_segment_ptr 1
		.amdhsa_user_sgpr_dispatch_id 0
		.amdhsa_user_sgpr_kernarg_preload_length 0
		.amdhsa_user_sgpr_kernarg_preload_offset 0
		.amdhsa_user_sgpr_private_segment_size 0
		.amdhsa_uses_dynamic_stack 0
		.amdhsa_enable_private_segment 0
		.amdhsa_system_sgpr_workgroup_id_x 1
		.amdhsa_system_sgpr_workgroup_id_y 0
		.amdhsa_system_sgpr_workgroup_id_z 0
		.amdhsa_system_sgpr_workgroup_info 0
		.amdhsa_system_vgpr_workitem_id 0
		.amdhsa_next_free_vgpr 1
		.amdhsa_next_free_sgpr 0
		.amdhsa_accum_offset 4
		.amdhsa_reserve_vcc 0
		.amdhsa_float_round_mode_32 0
		.amdhsa_float_round_mode_16_64 0
		.amdhsa_float_denorm_mode_32 3
		.amdhsa_float_denorm_mode_16_64 3
		.amdhsa_dx10_clamp 1
		.amdhsa_ieee_mode 1
		.amdhsa_fp16_overflow 0
		.amdhsa_tg_split 0
		.amdhsa_exception_fp_ieee_invalid_op 0
		.amdhsa_exception_fp_denorm_src 0
		.amdhsa_exception_fp_ieee_div_zero 0
		.amdhsa_exception_fp_ieee_overflow 0
		.amdhsa_exception_fp_ieee_underflow 0
		.amdhsa_exception_fp_ieee_inexact 0
		.amdhsa_exception_int_div_zero 0
	.end_amdhsa_kernel
	.section	.text._ZN7rocprim17ROCPRIM_400000_NS6detail17trampoline_kernelINS0_14default_configENS1_38merge_sort_block_merge_config_selectorIlNS0_10empty_typeEEEZZNS1_27merge_sort_block_merge_implIS3_PlPS5_mZN2at6native12_GLOBAL__N_124unique_dim_cuda_templateIhEESt5tupleIJNSA_6TensorESF_SF_EERKSF_lbbbEUlllE_EE10hipError_tT0_T1_T2_jT3_P12ihipStream_tbPNSt15iterator_traitsISL_E10value_typeEPNSR_ISM_E10value_typeEPSN_NS1_7vsmem_tEENKUlT_SL_SM_SN_E_clIS8_S8_S9_S9_EESK_S10_SL_SM_SN_EUlS10_E0_NS1_11comp_targetILNS1_3genE3ELNS1_11target_archE908ELNS1_3gpuE7ELNS1_3repE0EEENS1_38merge_mergepath_config_static_selectorELNS0_4arch9wavefront6targetE1EEEvSM_,"axG",@progbits,_ZN7rocprim17ROCPRIM_400000_NS6detail17trampoline_kernelINS0_14default_configENS1_38merge_sort_block_merge_config_selectorIlNS0_10empty_typeEEEZZNS1_27merge_sort_block_merge_implIS3_PlPS5_mZN2at6native12_GLOBAL__N_124unique_dim_cuda_templateIhEESt5tupleIJNSA_6TensorESF_SF_EERKSF_lbbbEUlllE_EE10hipError_tT0_T1_T2_jT3_P12ihipStream_tbPNSt15iterator_traitsISL_E10value_typeEPNSR_ISM_E10value_typeEPSN_NS1_7vsmem_tEENKUlT_SL_SM_SN_E_clIS8_S8_S9_S9_EESK_S10_SL_SM_SN_EUlS10_E0_NS1_11comp_targetILNS1_3genE3ELNS1_11target_archE908ELNS1_3gpuE7ELNS1_3repE0EEENS1_38merge_mergepath_config_static_selectorELNS0_4arch9wavefront6targetE1EEEvSM_,comdat
.Lfunc_end31:
	.size	_ZN7rocprim17ROCPRIM_400000_NS6detail17trampoline_kernelINS0_14default_configENS1_38merge_sort_block_merge_config_selectorIlNS0_10empty_typeEEEZZNS1_27merge_sort_block_merge_implIS3_PlPS5_mZN2at6native12_GLOBAL__N_124unique_dim_cuda_templateIhEESt5tupleIJNSA_6TensorESF_SF_EERKSF_lbbbEUlllE_EE10hipError_tT0_T1_T2_jT3_P12ihipStream_tbPNSt15iterator_traitsISL_E10value_typeEPNSR_ISM_E10value_typeEPSN_NS1_7vsmem_tEENKUlT_SL_SM_SN_E_clIS8_S8_S9_S9_EESK_S10_SL_SM_SN_EUlS10_E0_NS1_11comp_targetILNS1_3genE3ELNS1_11target_archE908ELNS1_3gpuE7ELNS1_3repE0EEENS1_38merge_mergepath_config_static_selectorELNS0_4arch9wavefront6targetE1EEEvSM_, .Lfunc_end31-_ZN7rocprim17ROCPRIM_400000_NS6detail17trampoline_kernelINS0_14default_configENS1_38merge_sort_block_merge_config_selectorIlNS0_10empty_typeEEEZZNS1_27merge_sort_block_merge_implIS3_PlPS5_mZN2at6native12_GLOBAL__N_124unique_dim_cuda_templateIhEESt5tupleIJNSA_6TensorESF_SF_EERKSF_lbbbEUlllE_EE10hipError_tT0_T1_T2_jT3_P12ihipStream_tbPNSt15iterator_traitsISL_E10value_typeEPNSR_ISM_E10value_typeEPSN_NS1_7vsmem_tEENKUlT_SL_SM_SN_E_clIS8_S8_S9_S9_EESK_S10_SL_SM_SN_EUlS10_E0_NS1_11comp_targetILNS1_3genE3ELNS1_11target_archE908ELNS1_3gpuE7ELNS1_3repE0EEENS1_38merge_mergepath_config_static_selectorELNS0_4arch9wavefront6targetE1EEEvSM_
                                        ; -- End function
	.section	.AMDGPU.csdata,"",@progbits
; Kernel info:
; codeLenInByte = 0
; NumSgprs: 6
; NumVgprs: 0
; NumAgprs: 0
; TotalNumVgprs: 0
; ScratchSize: 0
; MemoryBound: 0
; FloatMode: 240
; IeeeMode: 1
; LDSByteSize: 0 bytes/workgroup (compile time only)
; SGPRBlocks: 0
; VGPRBlocks: 0
; NumSGPRsForWavesPerEU: 6
; NumVGPRsForWavesPerEU: 1
; AccumOffset: 4
; Occupancy: 8
; WaveLimiterHint : 0
; COMPUTE_PGM_RSRC2:SCRATCH_EN: 0
; COMPUTE_PGM_RSRC2:USER_SGPR: 2
; COMPUTE_PGM_RSRC2:TRAP_HANDLER: 0
; COMPUTE_PGM_RSRC2:TGID_X_EN: 1
; COMPUTE_PGM_RSRC2:TGID_Y_EN: 0
; COMPUTE_PGM_RSRC2:TGID_Z_EN: 0
; COMPUTE_PGM_RSRC2:TIDIG_COMP_CNT: 0
; COMPUTE_PGM_RSRC3_GFX90A:ACCUM_OFFSET: 0
; COMPUTE_PGM_RSRC3_GFX90A:TG_SPLIT: 0
	.section	.text._ZN7rocprim17ROCPRIM_400000_NS6detail17trampoline_kernelINS0_14default_configENS1_38merge_sort_block_merge_config_selectorIlNS0_10empty_typeEEEZZNS1_27merge_sort_block_merge_implIS3_PlPS5_mZN2at6native12_GLOBAL__N_124unique_dim_cuda_templateIhEESt5tupleIJNSA_6TensorESF_SF_EERKSF_lbbbEUlllE_EE10hipError_tT0_T1_T2_jT3_P12ihipStream_tbPNSt15iterator_traitsISL_E10value_typeEPNSR_ISM_E10value_typeEPSN_NS1_7vsmem_tEENKUlT_SL_SM_SN_E_clIS8_S8_S9_S9_EESK_S10_SL_SM_SN_EUlS10_E0_NS1_11comp_targetILNS1_3genE2ELNS1_11target_archE906ELNS1_3gpuE6ELNS1_3repE0EEENS1_38merge_mergepath_config_static_selectorELNS0_4arch9wavefront6targetE1EEEvSM_,"axG",@progbits,_ZN7rocprim17ROCPRIM_400000_NS6detail17trampoline_kernelINS0_14default_configENS1_38merge_sort_block_merge_config_selectorIlNS0_10empty_typeEEEZZNS1_27merge_sort_block_merge_implIS3_PlPS5_mZN2at6native12_GLOBAL__N_124unique_dim_cuda_templateIhEESt5tupleIJNSA_6TensorESF_SF_EERKSF_lbbbEUlllE_EE10hipError_tT0_T1_T2_jT3_P12ihipStream_tbPNSt15iterator_traitsISL_E10value_typeEPNSR_ISM_E10value_typeEPSN_NS1_7vsmem_tEENKUlT_SL_SM_SN_E_clIS8_S8_S9_S9_EESK_S10_SL_SM_SN_EUlS10_E0_NS1_11comp_targetILNS1_3genE2ELNS1_11target_archE906ELNS1_3gpuE6ELNS1_3repE0EEENS1_38merge_mergepath_config_static_selectorELNS0_4arch9wavefront6targetE1EEEvSM_,comdat
	.globl	_ZN7rocprim17ROCPRIM_400000_NS6detail17trampoline_kernelINS0_14default_configENS1_38merge_sort_block_merge_config_selectorIlNS0_10empty_typeEEEZZNS1_27merge_sort_block_merge_implIS3_PlPS5_mZN2at6native12_GLOBAL__N_124unique_dim_cuda_templateIhEESt5tupleIJNSA_6TensorESF_SF_EERKSF_lbbbEUlllE_EE10hipError_tT0_T1_T2_jT3_P12ihipStream_tbPNSt15iterator_traitsISL_E10value_typeEPNSR_ISM_E10value_typeEPSN_NS1_7vsmem_tEENKUlT_SL_SM_SN_E_clIS8_S8_S9_S9_EESK_S10_SL_SM_SN_EUlS10_E0_NS1_11comp_targetILNS1_3genE2ELNS1_11target_archE906ELNS1_3gpuE6ELNS1_3repE0EEENS1_38merge_mergepath_config_static_selectorELNS0_4arch9wavefront6targetE1EEEvSM_ ; -- Begin function _ZN7rocprim17ROCPRIM_400000_NS6detail17trampoline_kernelINS0_14default_configENS1_38merge_sort_block_merge_config_selectorIlNS0_10empty_typeEEEZZNS1_27merge_sort_block_merge_implIS3_PlPS5_mZN2at6native12_GLOBAL__N_124unique_dim_cuda_templateIhEESt5tupleIJNSA_6TensorESF_SF_EERKSF_lbbbEUlllE_EE10hipError_tT0_T1_T2_jT3_P12ihipStream_tbPNSt15iterator_traitsISL_E10value_typeEPNSR_ISM_E10value_typeEPSN_NS1_7vsmem_tEENKUlT_SL_SM_SN_E_clIS8_S8_S9_S9_EESK_S10_SL_SM_SN_EUlS10_E0_NS1_11comp_targetILNS1_3genE2ELNS1_11target_archE906ELNS1_3gpuE6ELNS1_3repE0EEENS1_38merge_mergepath_config_static_selectorELNS0_4arch9wavefront6targetE1EEEvSM_
	.p2align	8
	.type	_ZN7rocprim17ROCPRIM_400000_NS6detail17trampoline_kernelINS0_14default_configENS1_38merge_sort_block_merge_config_selectorIlNS0_10empty_typeEEEZZNS1_27merge_sort_block_merge_implIS3_PlPS5_mZN2at6native12_GLOBAL__N_124unique_dim_cuda_templateIhEESt5tupleIJNSA_6TensorESF_SF_EERKSF_lbbbEUlllE_EE10hipError_tT0_T1_T2_jT3_P12ihipStream_tbPNSt15iterator_traitsISL_E10value_typeEPNSR_ISM_E10value_typeEPSN_NS1_7vsmem_tEENKUlT_SL_SM_SN_E_clIS8_S8_S9_S9_EESK_S10_SL_SM_SN_EUlS10_E0_NS1_11comp_targetILNS1_3genE2ELNS1_11target_archE906ELNS1_3gpuE6ELNS1_3repE0EEENS1_38merge_mergepath_config_static_selectorELNS0_4arch9wavefront6targetE1EEEvSM_,@function
_ZN7rocprim17ROCPRIM_400000_NS6detail17trampoline_kernelINS0_14default_configENS1_38merge_sort_block_merge_config_selectorIlNS0_10empty_typeEEEZZNS1_27merge_sort_block_merge_implIS3_PlPS5_mZN2at6native12_GLOBAL__N_124unique_dim_cuda_templateIhEESt5tupleIJNSA_6TensorESF_SF_EERKSF_lbbbEUlllE_EE10hipError_tT0_T1_T2_jT3_P12ihipStream_tbPNSt15iterator_traitsISL_E10value_typeEPNSR_ISM_E10value_typeEPSN_NS1_7vsmem_tEENKUlT_SL_SM_SN_E_clIS8_S8_S9_S9_EESK_S10_SL_SM_SN_EUlS10_E0_NS1_11comp_targetILNS1_3genE2ELNS1_11target_archE906ELNS1_3gpuE6ELNS1_3repE0EEENS1_38merge_mergepath_config_static_selectorELNS0_4arch9wavefront6targetE1EEEvSM_: ; @_ZN7rocprim17ROCPRIM_400000_NS6detail17trampoline_kernelINS0_14default_configENS1_38merge_sort_block_merge_config_selectorIlNS0_10empty_typeEEEZZNS1_27merge_sort_block_merge_implIS3_PlPS5_mZN2at6native12_GLOBAL__N_124unique_dim_cuda_templateIhEESt5tupleIJNSA_6TensorESF_SF_EERKSF_lbbbEUlllE_EE10hipError_tT0_T1_T2_jT3_P12ihipStream_tbPNSt15iterator_traitsISL_E10value_typeEPNSR_ISM_E10value_typeEPSN_NS1_7vsmem_tEENKUlT_SL_SM_SN_E_clIS8_S8_S9_S9_EESK_S10_SL_SM_SN_EUlS10_E0_NS1_11comp_targetILNS1_3genE2ELNS1_11target_archE906ELNS1_3gpuE6ELNS1_3repE0EEENS1_38merge_mergepath_config_static_selectorELNS0_4arch9wavefront6targetE1EEEvSM_
; %bb.0:
	.section	.rodata,"a",@progbits
	.p2align	6, 0x0
	.amdhsa_kernel _ZN7rocprim17ROCPRIM_400000_NS6detail17trampoline_kernelINS0_14default_configENS1_38merge_sort_block_merge_config_selectorIlNS0_10empty_typeEEEZZNS1_27merge_sort_block_merge_implIS3_PlPS5_mZN2at6native12_GLOBAL__N_124unique_dim_cuda_templateIhEESt5tupleIJNSA_6TensorESF_SF_EERKSF_lbbbEUlllE_EE10hipError_tT0_T1_T2_jT3_P12ihipStream_tbPNSt15iterator_traitsISL_E10value_typeEPNSR_ISM_E10value_typeEPSN_NS1_7vsmem_tEENKUlT_SL_SM_SN_E_clIS8_S8_S9_S9_EESK_S10_SL_SM_SN_EUlS10_E0_NS1_11comp_targetILNS1_3genE2ELNS1_11target_archE906ELNS1_3gpuE6ELNS1_3repE0EEENS1_38merge_mergepath_config_static_selectorELNS0_4arch9wavefront6targetE1EEEvSM_
		.amdhsa_group_segment_fixed_size 0
		.amdhsa_private_segment_fixed_size 0
		.amdhsa_kernarg_size 88
		.amdhsa_user_sgpr_count 2
		.amdhsa_user_sgpr_dispatch_ptr 0
		.amdhsa_user_sgpr_queue_ptr 0
		.amdhsa_user_sgpr_kernarg_segment_ptr 1
		.amdhsa_user_sgpr_dispatch_id 0
		.amdhsa_user_sgpr_kernarg_preload_length 0
		.amdhsa_user_sgpr_kernarg_preload_offset 0
		.amdhsa_user_sgpr_private_segment_size 0
		.amdhsa_uses_dynamic_stack 0
		.amdhsa_enable_private_segment 0
		.amdhsa_system_sgpr_workgroup_id_x 1
		.amdhsa_system_sgpr_workgroup_id_y 0
		.amdhsa_system_sgpr_workgroup_id_z 0
		.amdhsa_system_sgpr_workgroup_info 0
		.amdhsa_system_vgpr_workitem_id 0
		.amdhsa_next_free_vgpr 1
		.amdhsa_next_free_sgpr 0
		.amdhsa_accum_offset 4
		.amdhsa_reserve_vcc 0
		.amdhsa_float_round_mode_32 0
		.amdhsa_float_round_mode_16_64 0
		.amdhsa_float_denorm_mode_32 3
		.amdhsa_float_denorm_mode_16_64 3
		.amdhsa_dx10_clamp 1
		.amdhsa_ieee_mode 1
		.amdhsa_fp16_overflow 0
		.amdhsa_tg_split 0
		.amdhsa_exception_fp_ieee_invalid_op 0
		.amdhsa_exception_fp_denorm_src 0
		.amdhsa_exception_fp_ieee_div_zero 0
		.amdhsa_exception_fp_ieee_overflow 0
		.amdhsa_exception_fp_ieee_underflow 0
		.amdhsa_exception_fp_ieee_inexact 0
		.amdhsa_exception_int_div_zero 0
	.end_amdhsa_kernel
	.section	.text._ZN7rocprim17ROCPRIM_400000_NS6detail17trampoline_kernelINS0_14default_configENS1_38merge_sort_block_merge_config_selectorIlNS0_10empty_typeEEEZZNS1_27merge_sort_block_merge_implIS3_PlPS5_mZN2at6native12_GLOBAL__N_124unique_dim_cuda_templateIhEESt5tupleIJNSA_6TensorESF_SF_EERKSF_lbbbEUlllE_EE10hipError_tT0_T1_T2_jT3_P12ihipStream_tbPNSt15iterator_traitsISL_E10value_typeEPNSR_ISM_E10value_typeEPSN_NS1_7vsmem_tEENKUlT_SL_SM_SN_E_clIS8_S8_S9_S9_EESK_S10_SL_SM_SN_EUlS10_E0_NS1_11comp_targetILNS1_3genE2ELNS1_11target_archE906ELNS1_3gpuE6ELNS1_3repE0EEENS1_38merge_mergepath_config_static_selectorELNS0_4arch9wavefront6targetE1EEEvSM_,"axG",@progbits,_ZN7rocprim17ROCPRIM_400000_NS6detail17trampoline_kernelINS0_14default_configENS1_38merge_sort_block_merge_config_selectorIlNS0_10empty_typeEEEZZNS1_27merge_sort_block_merge_implIS3_PlPS5_mZN2at6native12_GLOBAL__N_124unique_dim_cuda_templateIhEESt5tupleIJNSA_6TensorESF_SF_EERKSF_lbbbEUlllE_EE10hipError_tT0_T1_T2_jT3_P12ihipStream_tbPNSt15iterator_traitsISL_E10value_typeEPNSR_ISM_E10value_typeEPSN_NS1_7vsmem_tEENKUlT_SL_SM_SN_E_clIS8_S8_S9_S9_EESK_S10_SL_SM_SN_EUlS10_E0_NS1_11comp_targetILNS1_3genE2ELNS1_11target_archE906ELNS1_3gpuE6ELNS1_3repE0EEENS1_38merge_mergepath_config_static_selectorELNS0_4arch9wavefront6targetE1EEEvSM_,comdat
.Lfunc_end32:
	.size	_ZN7rocprim17ROCPRIM_400000_NS6detail17trampoline_kernelINS0_14default_configENS1_38merge_sort_block_merge_config_selectorIlNS0_10empty_typeEEEZZNS1_27merge_sort_block_merge_implIS3_PlPS5_mZN2at6native12_GLOBAL__N_124unique_dim_cuda_templateIhEESt5tupleIJNSA_6TensorESF_SF_EERKSF_lbbbEUlllE_EE10hipError_tT0_T1_T2_jT3_P12ihipStream_tbPNSt15iterator_traitsISL_E10value_typeEPNSR_ISM_E10value_typeEPSN_NS1_7vsmem_tEENKUlT_SL_SM_SN_E_clIS8_S8_S9_S9_EESK_S10_SL_SM_SN_EUlS10_E0_NS1_11comp_targetILNS1_3genE2ELNS1_11target_archE906ELNS1_3gpuE6ELNS1_3repE0EEENS1_38merge_mergepath_config_static_selectorELNS0_4arch9wavefront6targetE1EEEvSM_, .Lfunc_end32-_ZN7rocprim17ROCPRIM_400000_NS6detail17trampoline_kernelINS0_14default_configENS1_38merge_sort_block_merge_config_selectorIlNS0_10empty_typeEEEZZNS1_27merge_sort_block_merge_implIS3_PlPS5_mZN2at6native12_GLOBAL__N_124unique_dim_cuda_templateIhEESt5tupleIJNSA_6TensorESF_SF_EERKSF_lbbbEUlllE_EE10hipError_tT0_T1_T2_jT3_P12ihipStream_tbPNSt15iterator_traitsISL_E10value_typeEPNSR_ISM_E10value_typeEPSN_NS1_7vsmem_tEENKUlT_SL_SM_SN_E_clIS8_S8_S9_S9_EESK_S10_SL_SM_SN_EUlS10_E0_NS1_11comp_targetILNS1_3genE2ELNS1_11target_archE906ELNS1_3gpuE6ELNS1_3repE0EEENS1_38merge_mergepath_config_static_selectorELNS0_4arch9wavefront6targetE1EEEvSM_
                                        ; -- End function
	.section	.AMDGPU.csdata,"",@progbits
; Kernel info:
; codeLenInByte = 0
; NumSgprs: 6
; NumVgprs: 0
; NumAgprs: 0
; TotalNumVgprs: 0
; ScratchSize: 0
; MemoryBound: 0
; FloatMode: 240
; IeeeMode: 1
; LDSByteSize: 0 bytes/workgroup (compile time only)
; SGPRBlocks: 0
; VGPRBlocks: 0
; NumSGPRsForWavesPerEU: 6
; NumVGPRsForWavesPerEU: 1
; AccumOffset: 4
; Occupancy: 8
; WaveLimiterHint : 0
; COMPUTE_PGM_RSRC2:SCRATCH_EN: 0
; COMPUTE_PGM_RSRC2:USER_SGPR: 2
; COMPUTE_PGM_RSRC2:TRAP_HANDLER: 0
; COMPUTE_PGM_RSRC2:TGID_X_EN: 1
; COMPUTE_PGM_RSRC2:TGID_Y_EN: 0
; COMPUTE_PGM_RSRC2:TGID_Z_EN: 0
; COMPUTE_PGM_RSRC2:TIDIG_COMP_CNT: 0
; COMPUTE_PGM_RSRC3_GFX90A:ACCUM_OFFSET: 0
; COMPUTE_PGM_RSRC3_GFX90A:TG_SPLIT: 0
	.section	.text._ZN7rocprim17ROCPRIM_400000_NS6detail17trampoline_kernelINS0_14default_configENS1_38merge_sort_block_merge_config_selectorIlNS0_10empty_typeEEEZZNS1_27merge_sort_block_merge_implIS3_PlPS5_mZN2at6native12_GLOBAL__N_124unique_dim_cuda_templateIhEESt5tupleIJNSA_6TensorESF_SF_EERKSF_lbbbEUlllE_EE10hipError_tT0_T1_T2_jT3_P12ihipStream_tbPNSt15iterator_traitsISL_E10value_typeEPNSR_ISM_E10value_typeEPSN_NS1_7vsmem_tEENKUlT_SL_SM_SN_E_clIS8_S8_S9_S9_EESK_S10_SL_SM_SN_EUlS10_E0_NS1_11comp_targetILNS1_3genE9ELNS1_11target_archE1100ELNS1_3gpuE3ELNS1_3repE0EEENS1_38merge_mergepath_config_static_selectorELNS0_4arch9wavefront6targetE1EEEvSM_,"axG",@progbits,_ZN7rocprim17ROCPRIM_400000_NS6detail17trampoline_kernelINS0_14default_configENS1_38merge_sort_block_merge_config_selectorIlNS0_10empty_typeEEEZZNS1_27merge_sort_block_merge_implIS3_PlPS5_mZN2at6native12_GLOBAL__N_124unique_dim_cuda_templateIhEESt5tupleIJNSA_6TensorESF_SF_EERKSF_lbbbEUlllE_EE10hipError_tT0_T1_T2_jT3_P12ihipStream_tbPNSt15iterator_traitsISL_E10value_typeEPNSR_ISM_E10value_typeEPSN_NS1_7vsmem_tEENKUlT_SL_SM_SN_E_clIS8_S8_S9_S9_EESK_S10_SL_SM_SN_EUlS10_E0_NS1_11comp_targetILNS1_3genE9ELNS1_11target_archE1100ELNS1_3gpuE3ELNS1_3repE0EEENS1_38merge_mergepath_config_static_selectorELNS0_4arch9wavefront6targetE1EEEvSM_,comdat
	.globl	_ZN7rocprim17ROCPRIM_400000_NS6detail17trampoline_kernelINS0_14default_configENS1_38merge_sort_block_merge_config_selectorIlNS0_10empty_typeEEEZZNS1_27merge_sort_block_merge_implIS3_PlPS5_mZN2at6native12_GLOBAL__N_124unique_dim_cuda_templateIhEESt5tupleIJNSA_6TensorESF_SF_EERKSF_lbbbEUlllE_EE10hipError_tT0_T1_T2_jT3_P12ihipStream_tbPNSt15iterator_traitsISL_E10value_typeEPNSR_ISM_E10value_typeEPSN_NS1_7vsmem_tEENKUlT_SL_SM_SN_E_clIS8_S8_S9_S9_EESK_S10_SL_SM_SN_EUlS10_E0_NS1_11comp_targetILNS1_3genE9ELNS1_11target_archE1100ELNS1_3gpuE3ELNS1_3repE0EEENS1_38merge_mergepath_config_static_selectorELNS0_4arch9wavefront6targetE1EEEvSM_ ; -- Begin function _ZN7rocprim17ROCPRIM_400000_NS6detail17trampoline_kernelINS0_14default_configENS1_38merge_sort_block_merge_config_selectorIlNS0_10empty_typeEEEZZNS1_27merge_sort_block_merge_implIS3_PlPS5_mZN2at6native12_GLOBAL__N_124unique_dim_cuda_templateIhEESt5tupleIJNSA_6TensorESF_SF_EERKSF_lbbbEUlllE_EE10hipError_tT0_T1_T2_jT3_P12ihipStream_tbPNSt15iterator_traitsISL_E10value_typeEPNSR_ISM_E10value_typeEPSN_NS1_7vsmem_tEENKUlT_SL_SM_SN_E_clIS8_S8_S9_S9_EESK_S10_SL_SM_SN_EUlS10_E0_NS1_11comp_targetILNS1_3genE9ELNS1_11target_archE1100ELNS1_3gpuE3ELNS1_3repE0EEENS1_38merge_mergepath_config_static_selectorELNS0_4arch9wavefront6targetE1EEEvSM_
	.p2align	8
	.type	_ZN7rocprim17ROCPRIM_400000_NS6detail17trampoline_kernelINS0_14default_configENS1_38merge_sort_block_merge_config_selectorIlNS0_10empty_typeEEEZZNS1_27merge_sort_block_merge_implIS3_PlPS5_mZN2at6native12_GLOBAL__N_124unique_dim_cuda_templateIhEESt5tupleIJNSA_6TensorESF_SF_EERKSF_lbbbEUlllE_EE10hipError_tT0_T1_T2_jT3_P12ihipStream_tbPNSt15iterator_traitsISL_E10value_typeEPNSR_ISM_E10value_typeEPSN_NS1_7vsmem_tEENKUlT_SL_SM_SN_E_clIS8_S8_S9_S9_EESK_S10_SL_SM_SN_EUlS10_E0_NS1_11comp_targetILNS1_3genE9ELNS1_11target_archE1100ELNS1_3gpuE3ELNS1_3repE0EEENS1_38merge_mergepath_config_static_selectorELNS0_4arch9wavefront6targetE1EEEvSM_,@function
_ZN7rocprim17ROCPRIM_400000_NS6detail17trampoline_kernelINS0_14default_configENS1_38merge_sort_block_merge_config_selectorIlNS0_10empty_typeEEEZZNS1_27merge_sort_block_merge_implIS3_PlPS5_mZN2at6native12_GLOBAL__N_124unique_dim_cuda_templateIhEESt5tupleIJNSA_6TensorESF_SF_EERKSF_lbbbEUlllE_EE10hipError_tT0_T1_T2_jT3_P12ihipStream_tbPNSt15iterator_traitsISL_E10value_typeEPNSR_ISM_E10value_typeEPSN_NS1_7vsmem_tEENKUlT_SL_SM_SN_E_clIS8_S8_S9_S9_EESK_S10_SL_SM_SN_EUlS10_E0_NS1_11comp_targetILNS1_3genE9ELNS1_11target_archE1100ELNS1_3gpuE3ELNS1_3repE0EEENS1_38merge_mergepath_config_static_selectorELNS0_4arch9wavefront6targetE1EEEvSM_: ; @_ZN7rocprim17ROCPRIM_400000_NS6detail17trampoline_kernelINS0_14default_configENS1_38merge_sort_block_merge_config_selectorIlNS0_10empty_typeEEEZZNS1_27merge_sort_block_merge_implIS3_PlPS5_mZN2at6native12_GLOBAL__N_124unique_dim_cuda_templateIhEESt5tupleIJNSA_6TensorESF_SF_EERKSF_lbbbEUlllE_EE10hipError_tT0_T1_T2_jT3_P12ihipStream_tbPNSt15iterator_traitsISL_E10value_typeEPNSR_ISM_E10value_typeEPSN_NS1_7vsmem_tEENKUlT_SL_SM_SN_E_clIS8_S8_S9_S9_EESK_S10_SL_SM_SN_EUlS10_E0_NS1_11comp_targetILNS1_3genE9ELNS1_11target_archE1100ELNS1_3gpuE3ELNS1_3repE0EEENS1_38merge_mergepath_config_static_selectorELNS0_4arch9wavefront6targetE1EEEvSM_
; %bb.0:
	.section	.rodata,"a",@progbits
	.p2align	6, 0x0
	.amdhsa_kernel _ZN7rocprim17ROCPRIM_400000_NS6detail17trampoline_kernelINS0_14default_configENS1_38merge_sort_block_merge_config_selectorIlNS0_10empty_typeEEEZZNS1_27merge_sort_block_merge_implIS3_PlPS5_mZN2at6native12_GLOBAL__N_124unique_dim_cuda_templateIhEESt5tupleIJNSA_6TensorESF_SF_EERKSF_lbbbEUlllE_EE10hipError_tT0_T1_T2_jT3_P12ihipStream_tbPNSt15iterator_traitsISL_E10value_typeEPNSR_ISM_E10value_typeEPSN_NS1_7vsmem_tEENKUlT_SL_SM_SN_E_clIS8_S8_S9_S9_EESK_S10_SL_SM_SN_EUlS10_E0_NS1_11comp_targetILNS1_3genE9ELNS1_11target_archE1100ELNS1_3gpuE3ELNS1_3repE0EEENS1_38merge_mergepath_config_static_selectorELNS0_4arch9wavefront6targetE1EEEvSM_
		.amdhsa_group_segment_fixed_size 0
		.amdhsa_private_segment_fixed_size 0
		.amdhsa_kernarg_size 88
		.amdhsa_user_sgpr_count 2
		.amdhsa_user_sgpr_dispatch_ptr 0
		.amdhsa_user_sgpr_queue_ptr 0
		.amdhsa_user_sgpr_kernarg_segment_ptr 1
		.amdhsa_user_sgpr_dispatch_id 0
		.amdhsa_user_sgpr_kernarg_preload_length 0
		.amdhsa_user_sgpr_kernarg_preload_offset 0
		.amdhsa_user_sgpr_private_segment_size 0
		.amdhsa_uses_dynamic_stack 0
		.amdhsa_enable_private_segment 0
		.amdhsa_system_sgpr_workgroup_id_x 1
		.amdhsa_system_sgpr_workgroup_id_y 0
		.amdhsa_system_sgpr_workgroup_id_z 0
		.amdhsa_system_sgpr_workgroup_info 0
		.amdhsa_system_vgpr_workitem_id 0
		.amdhsa_next_free_vgpr 1
		.amdhsa_next_free_sgpr 0
		.amdhsa_accum_offset 4
		.amdhsa_reserve_vcc 0
		.amdhsa_float_round_mode_32 0
		.amdhsa_float_round_mode_16_64 0
		.amdhsa_float_denorm_mode_32 3
		.amdhsa_float_denorm_mode_16_64 3
		.amdhsa_dx10_clamp 1
		.amdhsa_ieee_mode 1
		.amdhsa_fp16_overflow 0
		.amdhsa_tg_split 0
		.amdhsa_exception_fp_ieee_invalid_op 0
		.amdhsa_exception_fp_denorm_src 0
		.amdhsa_exception_fp_ieee_div_zero 0
		.amdhsa_exception_fp_ieee_overflow 0
		.amdhsa_exception_fp_ieee_underflow 0
		.amdhsa_exception_fp_ieee_inexact 0
		.amdhsa_exception_int_div_zero 0
	.end_amdhsa_kernel
	.section	.text._ZN7rocprim17ROCPRIM_400000_NS6detail17trampoline_kernelINS0_14default_configENS1_38merge_sort_block_merge_config_selectorIlNS0_10empty_typeEEEZZNS1_27merge_sort_block_merge_implIS3_PlPS5_mZN2at6native12_GLOBAL__N_124unique_dim_cuda_templateIhEESt5tupleIJNSA_6TensorESF_SF_EERKSF_lbbbEUlllE_EE10hipError_tT0_T1_T2_jT3_P12ihipStream_tbPNSt15iterator_traitsISL_E10value_typeEPNSR_ISM_E10value_typeEPSN_NS1_7vsmem_tEENKUlT_SL_SM_SN_E_clIS8_S8_S9_S9_EESK_S10_SL_SM_SN_EUlS10_E0_NS1_11comp_targetILNS1_3genE9ELNS1_11target_archE1100ELNS1_3gpuE3ELNS1_3repE0EEENS1_38merge_mergepath_config_static_selectorELNS0_4arch9wavefront6targetE1EEEvSM_,"axG",@progbits,_ZN7rocprim17ROCPRIM_400000_NS6detail17trampoline_kernelINS0_14default_configENS1_38merge_sort_block_merge_config_selectorIlNS0_10empty_typeEEEZZNS1_27merge_sort_block_merge_implIS3_PlPS5_mZN2at6native12_GLOBAL__N_124unique_dim_cuda_templateIhEESt5tupleIJNSA_6TensorESF_SF_EERKSF_lbbbEUlllE_EE10hipError_tT0_T1_T2_jT3_P12ihipStream_tbPNSt15iterator_traitsISL_E10value_typeEPNSR_ISM_E10value_typeEPSN_NS1_7vsmem_tEENKUlT_SL_SM_SN_E_clIS8_S8_S9_S9_EESK_S10_SL_SM_SN_EUlS10_E0_NS1_11comp_targetILNS1_3genE9ELNS1_11target_archE1100ELNS1_3gpuE3ELNS1_3repE0EEENS1_38merge_mergepath_config_static_selectorELNS0_4arch9wavefront6targetE1EEEvSM_,comdat
.Lfunc_end33:
	.size	_ZN7rocprim17ROCPRIM_400000_NS6detail17trampoline_kernelINS0_14default_configENS1_38merge_sort_block_merge_config_selectorIlNS0_10empty_typeEEEZZNS1_27merge_sort_block_merge_implIS3_PlPS5_mZN2at6native12_GLOBAL__N_124unique_dim_cuda_templateIhEESt5tupleIJNSA_6TensorESF_SF_EERKSF_lbbbEUlllE_EE10hipError_tT0_T1_T2_jT3_P12ihipStream_tbPNSt15iterator_traitsISL_E10value_typeEPNSR_ISM_E10value_typeEPSN_NS1_7vsmem_tEENKUlT_SL_SM_SN_E_clIS8_S8_S9_S9_EESK_S10_SL_SM_SN_EUlS10_E0_NS1_11comp_targetILNS1_3genE9ELNS1_11target_archE1100ELNS1_3gpuE3ELNS1_3repE0EEENS1_38merge_mergepath_config_static_selectorELNS0_4arch9wavefront6targetE1EEEvSM_, .Lfunc_end33-_ZN7rocprim17ROCPRIM_400000_NS6detail17trampoline_kernelINS0_14default_configENS1_38merge_sort_block_merge_config_selectorIlNS0_10empty_typeEEEZZNS1_27merge_sort_block_merge_implIS3_PlPS5_mZN2at6native12_GLOBAL__N_124unique_dim_cuda_templateIhEESt5tupleIJNSA_6TensorESF_SF_EERKSF_lbbbEUlllE_EE10hipError_tT0_T1_T2_jT3_P12ihipStream_tbPNSt15iterator_traitsISL_E10value_typeEPNSR_ISM_E10value_typeEPSN_NS1_7vsmem_tEENKUlT_SL_SM_SN_E_clIS8_S8_S9_S9_EESK_S10_SL_SM_SN_EUlS10_E0_NS1_11comp_targetILNS1_3genE9ELNS1_11target_archE1100ELNS1_3gpuE3ELNS1_3repE0EEENS1_38merge_mergepath_config_static_selectorELNS0_4arch9wavefront6targetE1EEEvSM_
                                        ; -- End function
	.section	.AMDGPU.csdata,"",@progbits
; Kernel info:
; codeLenInByte = 0
; NumSgprs: 6
; NumVgprs: 0
; NumAgprs: 0
; TotalNumVgprs: 0
; ScratchSize: 0
; MemoryBound: 0
; FloatMode: 240
; IeeeMode: 1
; LDSByteSize: 0 bytes/workgroup (compile time only)
; SGPRBlocks: 0
; VGPRBlocks: 0
; NumSGPRsForWavesPerEU: 6
; NumVGPRsForWavesPerEU: 1
; AccumOffset: 4
; Occupancy: 8
; WaveLimiterHint : 0
; COMPUTE_PGM_RSRC2:SCRATCH_EN: 0
; COMPUTE_PGM_RSRC2:USER_SGPR: 2
; COMPUTE_PGM_RSRC2:TRAP_HANDLER: 0
; COMPUTE_PGM_RSRC2:TGID_X_EN: 1
; COMPUTE_PGM_RSRC2:TGID_Y_EN: 0
; COMPUTE_PGM_RSRC2:TGID_Z_EN: 0
; COMPUTE_PGM_RSRC2:TIDIG_COMP_CNT: 0
; COMPUTE_PGM_RSRC3_GFX90A:ACCUM_OFFSET: 0
; COMPUTE_PGM_RSRC3_GFX90A:TG_SPLIT: 0
	.section	.text._ZN7rocprim17ROCPRIM_400000_NS6detail17trampoline_kernelINS0_14default_configENS1_38merge_sort_block_merge_config_selectorIlNS0_10empty_typeEEEZZNS1_27merge_sort_block_merge_implIS3_PlPS5_mZN2at6native12_GLOBAL__N_124unique_dim_cuda_templateIhEESt5tupleIJNSA_6TensorESF_SF_EERKSF_lbbbEUlllE_EE10hipError_tT0_T1_T2_jT3_P12ihipStream_tbPNSt15iterator_traitsISL_E10value_typeEPNSR_ISM_E10value_typeEPSN_NS1_7vsmem_tEENKUlT_SL_SM_SN_E_clIS8_S8_S9_S9_EESK_S10_SL_SM_SN_EUlS10_E0_NS1_11comp_targetILNS1_3genE8ELNS1_11target_archE1030ELNS1_3gpuE2ELNS1_3repE0EEENS1_38merge_mergepath_config_static_selectorELNS0_4arch9wavefront6targetE1EEEvSM_,"axG",@progbits,_ZN7rocprim17ROCPRIM_400000_NS6detail17trampoline_kernelINS0_14default_configENS1_38merge_sort_block_merge_config_selectorIlNS0_10empty_typeEEEZZNS1_27merge_sort_block_merge_implIS3_PlPS5_mZN2at6native12_GLOBAL__N_124unique_dim_cuda_templateIhEESt5tupleIJNSA_6TensorESF_SF_EERKSF_lbbbEUlllE_EE10hipError_tT0_T1_T2_jT3_P12ihipStream_tbPNSt15iterator_traitsISL_E10value_typeEPNSR_ISM_E10value_typeEPSN_NS1_7vsmem_tEENKUlT_SL_SM_SN_E_clIS8_S8_S9_S9_EESK_S10_SL_SM_SN_EUlS10_E0_NS1_11comp_targetILNS1_3genE8ELNS1_11target_archE1030ELNS1_3gpuE2ELNS1_3repE0EEENS1_38merge_mergepath_config_static_selectorELNS0_4arch9wavefront6targetE1EEEvSM_,comdat
	.globl	_ZN7rocprim17ROCPRIM_400000_NS6detail17trampoline_kernelINS0_14default_configENS1_38merge_sort_block_merge_config_selectorIlNS0_10empty_typeEEEZZNS1_27merge_sort_block_merge_implIS3_PlPS5_mZN2at6native12_GLOBAL__N_124unique_dim_cuda_templateIhEESt5tupleIJNSA_6TensorESF_SF_EERKSF_lbbbEUlllE_EE10hipError_tT0_T1_T2_jT3_P12ihipStream_tbPNSt15iterator_traitsISL_E10value_typeEPNSR_ISM_E10value_typeEPSN_NS1_7vsmem_tEENKUlT_SL_SM_SN_E_clIS8_S8_S9_S9_EESK_S10_SL_SM_SN_EUlS10_E0_NS1_11comp_targetILNS1_3genE8ELNS1_11target_archE1030ELNS1_3gpuE2ELNS1_3repE0EEENS1_38merge_mergepath_config_static_selectorELNS0_4arch9wavefront6targetE1EEEvSM_ ; -- Begin function _ZN7rocprim17ROCPRIM_400000_NS6detail17trampoline_kernelINS0_14default_configENS1_38merge_sort_block_merge_config_selectorIlNS0_10empty_typeEEEZZNS1_27merge_sort_block_merge_implIS3_PlPS5_mZN2at6native12_GLOBAL__N_124unique_dim_cuda_templateIhEESt5tupleIJNSA_6TensorESF_SF_EERKSF_lbbbEUlllE_EE10hipError_tT0_T1_T2_jT3_P12ihipStream_tbPNSt15iterator_traitsISL_E10value_typeEPNSR_ISM_E10value_typeEPSN_NS1_7vsmem_tEENKUlT_SL_SM_SN_E_clIS8_S8_S9_S9_EESK_S10_SL_SM_SN_EUlS10_E0_NS1_11comp_targetILNS1_3genE8ELNS1_11target_archE1030ELNS1_3gpuE2ELNS1_3repE0EEENS1_38merge_mergepath_config_static_selectorELNS0_4arch9wavefront6targetE1EEEvSM_
	.p2align	8
	.type	_ZN7rocprim17ROCPRIM_400000_NS6detail17trampoline_kernelINS0_14default_configENS1_38merge_sort_block_merge_config_selectorIlNS0_10empty_typeEEEZZNS1_27merge_sort_block_merge_implIS3_PlPS5_mZN2at6native12_GLOBAL__N_124unique_dim_cuda_templateIhEESt5tupleIJNSA_6TensorESF_SF_EERKSF_lbbbEUlllE_EE10hipError_tT0_T1_T2_jT3_P12ihipStream_tbPNSt15iterator_traitsISL_E10value_typeEPNSR_ISM_E10value_typeEPSN_NS1_7vsmem_tEENKUlT_SL_SM_SN_E_clIS8_S8_S9_S9_EESK_S10_SL_SM_SN_EUlS10_E0_NS1_11comp_targetILNS1_3genE8ELNS1_11target_archE1030ELNS1_3gpuE2ELNS1_3repE0EEENS1_38merge_mergepath_config_static_selectorELNS0_4arch9wavefront6targetE1EEEvSM_,@function
_ZN7rocprim17ROCPRIM_400000_NS6detail17trampoline_kernelINS0_14default_configENS1_38merge_sort_block_merge_config_selectorIlNS0_10empty_typeEEEZZNS1_27merge_sort_block_merge_implIS3_PlPS5_mZN2at6native12_GLOBAL__N_124unique_dim_cuda_templateIhEESt5tupleIJNSA_6TensorESF_SF_EERKSF_lbbbEUlllE_EE10hipError_tT0_T1_T2_jT3_P12ihipStream_tbPNSt15iterator_traitsISL_E10value_typeEPNSR_ISM_E10value_typeEPSN_NS1_7vsmem_tEENKUlT_SL_SM_SN_E_clIS8_S8_S9_S9_EESK_S10_SL_SM_SN_EUlS10_E0_NS1_11comp_targetILNS1_3genE8ELNS1_11target_archE1030ELNS1_3gpuE2ELNS1_3repE0EEENS1_38merge_mergepath_config_static_selectorELNS0_4arch9wavefront6targetE1EEEvSM_: ; @_ZN7rocprim17ROCPRIM_400000_NS6detail17trampoline_kernelINS0_14default_configENS1_38merge_sort_block_merge_config_selectorIlNS0_10empty_typeEEEZZNS1_27merge_sort_block_merge_implIS3_PlPS5_mZN2at6native12_GLOBAL__N_124unique_dim_cuda_templateIhEESt5tupleIJNSA_6TensorESF_SF_EERKSF_lbbbEUlllE_EE10hipError_tT0_T1_T2_jT3_P12ihipStream_tbPNSt15iterator_traitsISL_E10value_typeEPNSR_ISM_E10value_typeEPSN_NS1_7vsmem_tEENKUlT_SL_SM_SN_E_clIS8_S8_S9_S9_EESK_S10_SL_SM_SN_EUlS10_E0_NS1_11comp_targetILNS1_3genE8ELNS1_11target_archE1030ELNS1_3gpuE2ELNS1_3repE0EEENS1_38merge_mergepath_config_static_selectorELNS0_4arch9wavefront6targetE1EEEvSM_
; %bb.0:
	.section	.rodata,"a",@progbits
	.p2align	6, 0x0
	.amdhsa_kernel _ZN7rocprim17ROCPRIM_400000_NS6detail17trampoline_kernelINS0_14default_configENS1_38merge_sort_block_merge_config_selectorIlNS0_10empty_typeEEEZZNS1_27merge_sort_block_merge_implIS3_PlPS5_mZN2at6native12_GLOBAL__N_124unique_dim_cuda_templateIhEESt5tupleIJNSA_6TensorESF_SF_EERKSF_lbbbEUlllE_EE10hipError_tT0_T1_T2_jT3_P12ihipStream_tbPNSt15iterator_traitsISL_E10value_typeEPNSR_ISM_E10value_typeEPSN_NS1_7vsmem_tEENKUlT_SL_SM_SN_E_clIS8_S8_S9_S9_EESK_S10_SL_SM_SN_EUlS10_E0_NS1_11comp_targetILNS1_3genE8ELNS1_11target_archE1030ELNS1_3gpuE2ELNS1_3repE0EEENS1_38merge_mergepath_config_static_selectorELNS0_4arch9wavefront6targetE1EEEvSM_
		.amdhsa_group_segment_fixed_size 0
		.amdhsa_private_segment_fixed_size 0
		.amdhsa_kernarg_size 88
		.amdhsa_user_sgpr_count 2
		.amdhsa_user_sgpr_dispatch_ptr 0
		.amdhsa_user_sgpr_queue_ptr 0
		.amdhsa_user_sgpr_kernarg_segment_ptr 1
		.amdhsa_user_sgpr_dispatch_id 0
		.amdhsa_user_sgpr_kernarg_preload_length 0
		.amdhsa_user_sgpr_kernarg_preload_offset 0
		.amdhsa_user_sgpr_private_segment_size 0
		.amdhsa_uses_dynamic_stack 0
		.amdhsa_enable_private_segment 0
		.amdhsa_system_sgpr_workgroup_id_x 1
		.amdhsa_system_sgpr_workgroup_id_y 0
		.amdhsa_system_sgpr_workgroup_id_z 0
		.amdhsa_system_sgpr_workgroup_info 0
		.amdhsa_system_vgpr_workitem_id 0
		.amdhsa_next_free_vgpr 1
		.amdhsa_next_free_sgpr 0
		.amdhsa_accum_offset 4
		.amdhsa_reserve_vcc 0
		.amdhsa_float_round_mode_32 0
		.amdhsa_float_round_mode_16_64 0
		.amdhsa_float_denorm_mode_32 3
		.amdhsa_float_denorm_mode_16_64 3
		.amdhsa_dx10_clamp 1
		.amdhsa_ieee_mode 1
		.amdhsa_fp16_overflow 0
		.amdhsa_tg_split 0
		.amdhsa_exception_fp_ieee_invalid_op 0
		.amdhsa_exception_fp_denorm_src 0
		.amdhsa_exception_fp_ieee_div_zero 0
		.amdhsa_exception_fp_ieee_overflow 0
		.amdhsa_exception_fp_ieee_underflow 0
		.amdhsa_exception_fp_ieee_inexact 0
		.amdhsa_exception_int_div_zero 0
	.end_amdhsa_kernel
	.section	.text._ZN7rocprim17ROCPRIM_400000_NS6detail17trampoline_kernelINS0_14default_configENS1_38merge_sort_block_merge_config_selectorIlNS0_10empty_typeEEEZZNS1_27merge_sort_block_merge_implIS3_PlPS5_mZN2at6native12_GLOBAL__N_124unique_dim_cuda_templateIhEESt5tupleIJNSA_6TensorESF_SF_EERKSF_lbbbEUlllE_EE10hipError_tT0_T1_T2_jT3_P12ihipStream_tbPNSt15iterator_traitsISL_E10value_typeEPNSR_ISM_E10value_typeEPSN_NS1_7vsmem_tEENKUlT_SL_SM_SN_E_clIS8_S8_S9_S9_EESK_S10_SL_SM_SN_EUlS10_E0_NS1_11comp_targetILNS1_3genE8ELNS1_11target_archE1030ELNS1_3gpuE2ELNS1_3repE0EEENS1_38merge_mergepath_config_static_selectorELNS0_4arch9wavefront6targetE1EEEvSM_,"axG",@progbits,_ZN7rocprim17ROCPRIM_400000_NS6detail17trampoline_kernelINS0_14default_configENS1_38merge_sort_block_merge_config_selectorIlNS0_10empty_typeEEEZZNS1_27merge_sort_block_merge_implIS3_PlPS5_mZN2at6native12_GLOBAL__N_124unique_dim_cuda_templateIhEESt5tupleIJNSA_6TensorESF_SF_EERKSF_lbbbEUlllE_EE10hipError_tT0_T1_T2_jT3_P12ihipStream_tbPNSt15iterator_traitsISL_E10value_typeEPNSR_ISM_E10value_typeEPSN_NS1_7vsmem_tEENKUlT_SL_SM_SN_E_clIS8_S8_S9_S9_EESK_S10_SL_SM_SN_EUlS10_E0_NS1_11comp_targetILNS1_3genE8ELNS1_11target_archE1030ELNS1_3gpuE2ELNS1_3repE0EEENS1_38merge_mergepath_config_static_selectorELNS0_4arch9wavefront6targetE1EEEvSM_,comdat
.Lfunc_end34:
	.size	_ZN7rocprim17ROCPRIM_400000_NS6detail17trampoline_kernelINS0_14default_configENS1_38merge_sort_block_merge_config_selectorIlNS0_10empty_typeEEEZZNS1_27merge_sort_block_merge_implIS3_PlPS5_mZN2at6native12_GLOBAL__N_124unique_dim_cuda_templateIhEESt5tupleIJNSA_6TensorESF_SF_EERKSF_lbbbEUlllE_EE10hipError_tT0_T1_T2_jT3_P12ihipStream_tbPNSt15iterator_traitsISL_E10value_typeEPNSR_ISM_E10value_typeEPSN_NS1_7vsmem_tEENKUlT_SL_SM_SN_E_clIS8_S8_S9_S9_EESK_S10_SL_SM_SN_EUlS10_E0_NS1_11comp_targetILNS1_3genE8ELNS1_11target_archE1030ELNS1_3gpuE2ELNS1_3repE0EEENS1_38merge_mergepath_config_static_selectorELNS0_4arch9wavefront6targetE1EEEvSM_, .Lfunc_end34-_ZN7rocprim17ROCPRIM_400000_NS6detail17trampoline_kernelINS0_14default_configENS1_38merge_sort_block_merge_config_selectorIlNS0_10empty_typeEEEZZNS1_27merge_sort_block_merge_implIS3_PlPS5_mZN2at6native12_GLOBAL__N_124unique_dim_cuda_templateIhEESt5tupleIJNSA_6TensorESF_SF_EERKSF_lbbbEUlllE_EE10hipError_tT0_T1_T2_jT3_P12ihipStream_tbPNSt15iterator_traitsISL_E10value_typeEPNSR_ISM_E10value_typeEPSN_NS1_7vsmem_tEENKUlT_SL_SM_SN_E_clIS8_S8_S9_S9_EESK_S10_SL_SM_SN_EUlS10_E0_NS1_11comp_targetILNS1_3genE8ELNS1_11target_archE1030ELNS1_3gpuE2ELNS1_3repE0EEENS1_38merge_mergepath_config_static_selectorELNS0_4arch9wavefront6targetE1EEEvSM_
                                        ; -- End function
	.section	.AMDGPU.csdata,"",@progbits
; Kernel info:
; codeLenInByte = 0
; NumSgprs: 6
; NumVgprs: 0
; NumAgprs: 0
; TotalNumVgprs: 0
; ScratchSize: 0
; MemoryBound: 0
; FloatMode: 240
; IeeeMode: 1
; LDSByteSize: 0 bytes/workgroup (compile time only)
; SGPRBlocks: 0
; VGPRBlocks: 0
; NumSGPRsForWavesPerEU: 6
; NumVGPRsForWavesPerEU: 1
; AccumOffset: 4
; Occupancy: 8
; WaveLimiterHint : 0
; COMPUTE_PGM_RSRC2:SCRATCH_EN: 0
; COMPUTE_PGM_RSRC2:USER_SGPR: 2
; COMPUTE_PGM_RSRC2:TRAP_HANDLER: 0
; COMPUTE_PGM_RSRC2:TGID_X_EN: 1
; COMPUTE_PGM_RSRC2:TGID_Y_EN: 0
; COMPUTE_PGM_RSRC2:TGID_Z_EN: 0
; COMPUTE_PGM_RSRC2:TIDIG_COMP_CNT: 0
; COMPUTE_PGM_RSRC3_GFX90A:ACCUM_OFFSET: 0
; COMPUTE_PGM_RSRC3_GFX90A:TG_SPLIT: 0
	.section	.text._ZN7rocprim17ROCPRIM_400000_NS6detail17trampoline_kernelINS0_14default_configENS1_38merge_sort_block_merge_config_selectorIlNS0_10empty_typeEEEZZNS1_27merge_sort_block_merge_implIS3_PlPS5_mZN2at6native12_GLOBAL__N_124unique_dim_cuda_templateIhEESt5tupleIJNSA_6TensorESF_SF_EERKSF_lbbbEUlllE_EE10hipError_tT0_T1_T2_jT3_P12ihipStream_tbPNSt15iterator_traitsISL_E10value_typeEPNSR_ISM_E10value_typeEPSN_NS1_7vsmem_tEENKUlT_SL_SM_SN_E_clIS8_S8_S9_S9_EESK_S10_SL_SM_SN_EUlS10_E1_NS1_11comp_targetILNS1_3genE0ELNS1_11target_archE4294967295ELNS1_3gpuE0ELNS1_3repE0EEENS1_36merge_oddeven_config_static_selectorELNS0_4arch9wavefront6targetE1EEEvSM_,"axG",@progbits,_ZN7rocprim17ROCPRIM_400000_NS6detail17trampoline_kernelINS0_14default_configENS1_38merge_sort_block_merge_config_selectorIlNS0_10empty_typeEEEZZNS1_27merge_sort_block_merge_implIS3_PlPS5_mZN2at6native12_GLOBAL__N_124unique_dim_cuda_templateIhEESt5tupleIJNSA_6TensorESF_SF_EERKSF_lbbbEUlllE_EE10hipError_tT0_T1_T2_jT3_P12ihipStream_tbPNSt15iterator_traitsISL_E10value_typeEPNSR_ISM_E10value_typeEPSN_NS1_7vsmem_tEENKUlT_SL_SM_SN_E_clIS8_S8_S9_S9_EESK_S10_SL_SM_SN_EUlS10_E1_NS1_11comp_targetILNS1_3genE0ELNS1_11target_archE4294967295ELNS1_3gpuE0ELNS1_3repE0EEENS1_36merge_oddeven_config_static_selectorELNS0_4arch9wavefront6targetE1EEEvSM_,comdat
	.globl	_ZN7rocprim17ROCPRIM_400000_NS6detail17trampoline_kernelINS0_14default_configENS1_38merge_sort_block_merge_config_selectorIlNS0_10empty_typeEEEZZNS1_27merge_sort_block_merge_implIS3_PlPS5_mZN2at6native12_GLOBAL__N_124unique_dim_cuda_templateIhEESt5tupleIJNSA_6TensorESF_SF_EERKSF_lbbbEUlllE_EE10hipError_tT0_T1_T2_jT3_P12ihipStream_tbPNSt15iterator_traitsISL_E10value_typeEPNSR_ISM_E10value_typeEPSN_NS1_7vsmem_tEENKUlT_SL_SM_SN_E_clIS8_S8_S9_S9_EESK_S10_SL_SM_SN_EUlS10_E1_NS1_11comp_targetILNS1_3genE0ELNS1_11target_archE4294967295ELNS1_3gpuE0ELNS1_3repE0EEENS1_36merge_oddeven_config_static_selectorELNS0_4arch9wavefront6targetE1EEEvSM_ ; -- Begin function _ZN7rocprim17ROCPRIM_400000_NS6detail17trampoline_kernelINS0_14default_configENS1_38merge_sort_block_merge_config_selectorIlNS0_10empty_typeEEEZZNS1_27merge_sort_block_merge_implIS3_PlPS5_mZN2at6native12_GLOBAL__N_124unique_dim_cuda_templateIhEESt5tupleIJNSA_6TensorESF_SF_EERKSF_lbbbEUlllE_EE10hipError_tT0_T1_T2_jT3_P12ihipStream_tbPNSt15iterator_traitsISL_E10value_typeEPNSR_ISM_E10value_typeEPSN_NS1_7vsmem_tEENKUlT_SL_SM_SN_E_clIS8_S8_S9_S9_EESK_S10_SL_SM_SN_EUlS10_E1_NS1_11comp_targetILNS1_3genE0ELNS1_11target_archE4294967295ELNS1_3gpuE0ELNS1_3repE0EEENS1_36merge_oddeven_config_static_selectorELNS0_4arch9wavefront6targetE1EEEvSM_
	.p2align	8
	.type	_ZN7rocprim17ROCPRIM_400000_NS6detail17trampoline_kernelINS0_14default_configENS1_38merge_sort_block_merge_config_selectorIlNS0_10empty_typeEEEZZNS1_27merge_sort_block_merge_implIS3_PlPS5_mZN2at6native12_GLOBAL__N_124unique_dim_cuda_templateIhEESt5tupleIJNSA_6TensorESF_SF_EERKSF_lbbbEUlllE_EE10hipError_tT0_T1_T2_jT3_P12ihipStream_tbPNSt15iterator_traitsISL_E10value_typeEPNSR_ISM_E10value_typeEPSN_NS1_7vsmem_tEENKUlT_SL_SM_SN_E_clIS8_S8_S9_S9_EESK_S10_SL_SM_SN_EUlS10_E1_NS1_11comp_targetILNS1_3genE0ELNS1_11target_archE4294967295ELNS1_3gpuE0ELNS1_3repE0EEENS1_36merge_oddeven_config_static_selectorELNS0_4arch9wavefront6targetE1EEEvSM_,@function
_ZN7rocprim17ROCPRIM_400000_NS6detail17trampoline_kernelINS0_14default_configENS1_38merge_sort_block_merge_config_selectorIlNS0_10empty_typeEEEZZNS1_27merge_sort_block_merge_implIS3_PlPS5_mZN2at6native12_GLOBAL__N_124unique_dim_cuda_templateIhEESt5tupleIJNSA_6TensorESF_SF_EERKSF_lbbbEUlllE_EE10hipError_tT0_T1_T2_jT3_P12ihipStream_tbPNSt15iterator_traitsISL_E10value_typeEPNSR_ISM_E10value_typeEPSN_NS1_7vsmem_tEENKUlT_SL_SM_SN_E_clIS8_S8_S9_S9_EESK_S10_SL_SM_SN_EUlS10_E1_NS1_11comp_targetILNS1_3genE0ELNS1_11target_archE4294967295ELNS1_3gpuE0ELNS1_3repE0EEENS1_36merge_oddeven_config_static_selectorELNS0_4arch9wavefront6targetE1EEEvSM_: ; @_ZN7rocprim17ROCPRIM_400000_NS6detail17trampoline_kernelINS0_14default_configENS1_38merge_sort_block_merge_config_selectorIlNS0_10empty_typeEEEZZNS1_27merge_sort_block_merge_implIS3_PlPS5_mZN2at6native12_GLOBAL__N_124unique_dim_cuda_templateIhEESt5tupleIJNSA_6TensorESF_SF_EERKSF_lbbbEUlllE_EE10hipError_tT0_T1_T2_jT3_P12ihipStream_tbPNSt15iterator_traitsISL_E10value_typeEPNSR_ISM_E10value_typeEPSN_NS1_7vsmem_tEENKUlT_SL_SM_SN_E_clIS8_S8_S9_S9_EESK_S10_SL_SM_SN_EUlS10_E1_NS1_11comp_targetILNS1_3genE0ELNS1_11target_archE4294967295ELNS1_3gpuE0ELNS1_3repE0EEENS1_36merge_oddeven_config_static_selectorELNS0_4arch9wavefront6targetE1EEEvSM_
; %bb.0:
	.section	.rodata,"a",@progbits
	.p2align	6, 0x0
	.amdhsa_kernel _ZN7rocprim17ROCPRIM_400000_NS6detail17trampoline_kernelINS0_14default_configENS1_38merge_sort_block_merge_config_selectorIlNS0_10empty_typeEEEZZNS1_27merge_sort_block_merge_implIS3_PlPS5_mZN2at6native12_GLOBAL__N_124unique_dim_cuda_templateIhEESt5tupleIJNSA_6TensorESF_SF_EERKSF_lbbbEUlllE_EE10hipError_tT0_T1_T2_jT3_P12ihipStream_tbPNSt15iterator_traitsISL_E10value_typeEPNSR_ISM_E10value_typeEPSN_NS1_7vsmem_tEENKUlT_SL_SM_SN_E_clIS8_S8_S9_S9_EESK_S10_SL_SM_SN_EUlS10_E1_NS1_11comp_targetILNS1_3genE0ELNS1_11target_archE4294967295ELNS1_3gpuE0ELNS1_3repE0EEENS1_36merge_oddeven_config_static_selectorELNS0_4arch9wavefront6targetE1EEEvSM_
		.amdhsa_group_segment_fixed_size 0
		.amdhsa_private_segment_fixed_size 0
		.amdhsa_kernarg_size 64
		.amdhsa_user_sgpr_count 2
		.amdhsa_user_sgpr_dispatch_ptr 0
		.amdhsa_user_sgpr_queue_ptr 0
		.amdhsa_user_sgpr_kernarg_segment_ptr 1
		.amdhsa_user_sgpr_dispatch_id 0
		.amdhsa_user_sgpr_kernarg_preload_length 0
		.amdhsa_user_sgpr_kernarg_preload_offset 0
		.amdhsa_user_sgpr_private_segment_size 0
		.amdhsa_uses_dynamic_stack 0
		.amdhsa_enable_private_segment 0
		.amdhsa_system_sgpr_workgroup_id_x 1
		.amdhsa_system_sgpr_workgroup_id_y 0
		.amdhsa_system_sgpr_workgroup_id_z 0
		.amdhsa_system_sgpr_workgroup_info 0
		.amdhsa_system_vgpr_workitem_id 0
		.amdhsa_next_free_vgpr 1
		.amdhsa_next_free_sgpr 0
		.amdhsa_accum_offset 4
		.amdhsa_reserve_vcc 0
		.amdhsa_float_round_mode_32 0
		.amdhsa_float_round_mode_16_64 0
		.amdhsa_float_denorm_mode_32 3
		.amdhsa_float_denorm_mode_16_64 3
		.amdhsa_dx10_clamp 1
		.amdhsa_ieee_mode 1
		.amdhsa_fp16_overflow 0
		.amdhsa_tg_split 0
		.amdhsa_exception_fp_ieee_invalid_op 0
		.amdhsa_exception_fp_denorm_src 0
		.amdhsa_exception_fp_ieee_div_zero 0
		.amdhsa_exception_fp_ieee_overflow 0
		.amdhsa_exception_fp_ieee_underflow 0
		.amdhsa_exception_fp_ieee_inexact 0
		.amdhsa_exception_int_div_zero 0
	.end_amdhsa_kernel
	.section	.text._ZN7rocprim17ROCPRIM_400000_NS6detail17trampoline_kernelINS0_14default_configENS1_38merge_sort_block_merge_config_selectorIlNS0_10empty_typeEEEZZNS1_27merge_sort_block_merge_implIS3_PlPS5_mZN2at6native12_GLOBAL__N_124unique_dim_cuda_templateIhEESt5tupleIJNSA_6TensorESF_SF_EERKSF_lbbbEUlllE_EE10hipError_tT0_T1_T2_jT3_P12ihipStream_tbPNSt15iterator_traitsISL_E10value_typeEPNSR_ISM_E10value_typeEPSN_NS1_7vsmem_tEENKUlT_SL_SM_SN_E_clIS8_S8_S9_S9_EESK_S10_SL_SM_SN_EUlS10_E1_NS1_11comp_targetILNS1_3genE0ELNS1_11target_archE4294967295ELNS1_3gpuE0ELNS1_3repE0EEENS1_36merge_oddeven_config_static_selectorELNS0_4arch9wavefront6targetE1EEEvSM_,"axG",@progbits,_ZN7rocprim17ROCPRIM_400000_NS6detail17trampoline_kernelINS0_14default_configENS1_38merge_sort_block_merge_config_selectorIlNS0_10empty_typeEEEZZNS1_27merge_sort_block_merge_implIS3_PlPS5_mZN2at6native12_GLOBAL__N_124unique_dim_cuda_templateIhEESt5tupleIJNSA_6TensorESF_SF_EERKSF_lbbbEUlllE_EE10hipError_tT0_T1_T2_jT3_P12ihipStream_tbPNSt15iterator_traitsISL_E10value_typeEPNSR_ISM_E10value_typeEPSN_NS1_7vsmem_tEENKUlT_SL_SM_SN_E_clIS8_S8_S9_S9_EESK_S10_SL_SM_SN_EUlS10_E1_NS1_11comp_targetILNS1_3genE0ELNS1_11target_archE4294967295ELNS1_3gpuE0ELNS1_3repE0EEENS1_36merge_oddeven_config_static_selectorELNS0_4arch9wavefront6targetE1EEEvSM_,comdat
.Lfunc_end35:
	.size	_ZN7rocprim17ROCPRIM_400000_NS6detail17trampoline_kernelINS0_14default_configENS1_38merge_sort_block_merge_config_selectorIlNS0_10empty_typeEEEZZNS1_27merge_sort_block_merge_implIS3_PlPS5_mZN2at6native12_GLOBAL__N_124unique_dim_cuda_templateIhEESt5tupleIJNSA_6TensorESF_SF_EERKSF_lbbbEUlllE_EE10hipError_tT0_T1_T2_jT3_P12ihipStream_tbPNSt15iterator_traitsISL_E10value_typeEPNSR_ISM_E10value_typeEPSN_NS1_7vsmem_tEENKUlT_SL_SM_SN_E_clIS8_S8_S9_S9_EESK_S10_SL_SM_SN_EUlS10_E1_NS1_11comp_targetILNS1_3genE0ELNS1_11target_archE4294967295ELNS1_3gpuE0ELNS1_3repE0EEENS1_36merge_oddeven_config_static_selectorELNS0_4arch9wavefront6targetE1EEEvSM_, .Lfunc_end35-_ZN7rocprim17ROCPRIM_400000_NS6detail17trampoline_kernelINS0_14default_configENS1_38merge_sort_block_merge_config_selectorIlNS0_10empty_typeEEEZZNS1_27merge_sort_block_merge_implIS3_PlPS5_mZN2at6native12_GLOBAL__N_124unique_dim_cuda_templateIhEESt5tupleIJNSA_6TensorESF_SF_EERKSF_lbbbEUlllE_EE10hipError_tT0_T1_T2_jT3_P12ihipStream_tbPNSt15iterator_traitsISL_E10value_typeEPNSR_ISM_E10value_typeEPSN_NS1_7vsmem_tEENKUlT_SL_SM_SN_E_clIS8_S8_S9_S9_EESK_S10_SL_SM_SN_EUlS10_E1_NS1_11comp_targetILNS1_3genE0ELNS1_11target_archE4294967295ELNS1_3gpuE0ELNS1_3repE0EEENS1_36merge_oddeven_config_static_selectorELNS0_4arch9wavefront6targetE1EEEvSM_
                                        ; -- End function
	.section	.AMDGPU.csdata,"",@progbits
; Kernel info:
; codeLenInByte = 0
; NumSgprs: 6
; NumVgprs: 0
; NumAgprs: 0
; TotalNumVgprs: 0
; ScratchSize: 0
; MemoryBound: 0
; FloatMode: 240
; IeeeMode: 1
; LDSByteSize: 0 bytes/workgroup (compile time only)
; SGPRBlocks: 0
; VGPRBlocks: 0
; NumSGPRsForWavesPerEU: 6
; NumVGPRsForWavesPerEU: 1
; AccumOffset: 4
; Occupancy: 8
; WaveLimiterHint : 0
; COMPUTE_PGM_RSRC2:SCRATCH_EN: 0
; COMPUTE_PGM_RSRC2:USER_SGPR: 2
; COMPUTE_PGM_RSRC2:TRAP_HANDLER: 0
; COMPUTE_PGM_RSRC2:TGID_X_EN: 1
; COMPUTE_PGM_RSRC2:TGID_Y_EN: 0
; COMPUTE_PGM_RSRC2:TGID_Z_EN: 0
; COMPUTE_PGM_RSRC2:TIDIG_COMP_CNT: 0
; COMPUTE_PGM_RSRC3_GFX90A:ACCUM_OFFSET: 0
; COMPUTE_PGM_RSRC3_GFX90A:TG_SPLIT: 0
	.section	.text._ZN7rocprim17ROCPRIM_400000_NS6detail17trampoline_kernelINS0_14default_configENS1_38merge_sort_block_merge_config_selectorIlNS0_10empty_typeEEEZZNS1_27merge_sort_block_merge_implIS3_PlPS5_mZN2at6native12_GLOBAL__N_124unique_dim_cuda_templateIhEESt5tupleIJNSA_6TensorESF_SF_EERKSF_lbbbEUlllE_EE10hipError_tT0_T1_T2_jT3_P12ihipStream_tbPNSt15iterator_traitsISL_E10value_typeEPNSR_ISM_E10value_typeEPSN_NS1_7vsmem_tEENKUlT_SL_SM_SN_E_clIS8_S8_S9_S9_EESK_S10_SL_SM_SN_EUlS10_E1_NS1_11comp_targetILNS1_3genE10ELNS1_11target_archE1201ELNS1_3gpuE5ELNS1_3repE0EEENS1_36merge_oddeven_config_static_selectorELNS0_4arch9wavefront6targetE1EEEvSM_,"axG",@progbits,_ZN7rocprim17ROCPRIM_400000_NS6detail17trampoline_kernelINS0_14default_configENS1_38merge_sort_block_merge_config_selectorIlNS0_10empty_typeEEEZZNS1_27merge_sort_block_merge_implIS3_PlPS5_mZN2at6native12_GLOBAL__N_124unique_dim_cuda_templateIhEESt5tupleIJNSA_6TensorESF_SF_EERKSF_lbbbEUlllE_EE10hipError_tT0_T1_T2_jT3_P12ihipStream_tbPNSt15iterator_traitsISL_E10value_typeEPNSR_ISM_E10value_typeEPSN_NS1_7vsmem_tEENKUlT_SL_SM_SN_E_clIS8_S8_S9_S9_EESK_S10_SL_SM_SN_EUlS10_E1_NS1_11comp_targetILNS1_3genE10ELNS1_11target_archE1201ELNS1_3gpuE5ELNS1_3repE0EEENS1_36merge_oddeven_config_static_selectorELNS0_4arch9wavefront6targetE1EEEvSM_,comdat
	.globl	_ZN7rocprim17ROCPRIM_400000_NS6detail17trampoline_kernelINS0_14default_configENS1_38merge_sort_block_merge_config_selectorIlNS0_10empty_typeEEEZZNS1_27merge_sort_block_merge_implIS3_PlPS5_mZN2at6native12_GLOBAL__N_124unique_dim_cuda_templateIhEESt5tupleIJNSA_6TensorESF_SF_EERKSF_lbbbEUlllE_EE10hipError_tT0_T1_T2_jT3_P12ihipStream_tbPNSt15iterator_traitsISL_E10value_typeEPNSR_ISM_E10value_typeEPSN_NS1_7vsmem_tEENKUlT_SL_SM_SN_E_clIS8_S8_S9_S9_EESK_S10_SL_SM_SN_EUlS10_E1_NS1_11comp_targetILNS1_3genE10ELNS1_11target_archE1201ELNS1_3gpuE5ELNS1_3repE0EEENS1_36merge_oddeven_config_static_selectorELNS0_4arch9wavefront6targetE1EEEvSM_ ; -- Begin function _ZN7rocprim17ROCPRIM_400000_NS6detail17trampoline_kernelINS0_14default_configENS1_38merge_sort_block_merge_config_selectorIlNS0_10empty_typeEEEZZNS1_27merge_sort_block_merge_implIS3_PlPS5_mZN2at6native12_GLOBAL__N_124unique_dim_cuda_templateIhEESt5tupleIJNSA_6TensorESF_SF_EERKSF_lbbbEUlllE_EE10hipError_tT0_T1_T2_jT3_P12ihipStream_tbPNSt15iterator_traitsISL_E10value_typeEPNSR_ISM_E10value_typeEPSN_NS1_7vsmem_tEENKUlT_SL_SM_SN_E_clIS8_S8_S9_S9_EESK_S10_SL_SM_SN_EUlS10_E1_NS1_11comp_targetILNS1_3genE10ELNS1_11target_archE1201ELNS1_3gpuE5ELNS1_3repE0EEENS1_36merge_oddeven_config_static_selectorELNS0_4arch9wavefront6targetE1EEEvSM_
	.p2align	8
	.type	_ZN7rocprim17ROCPRIM_400000_NS6detail17trampoline_kernelINS0_14default_configENS1_38merge_sort_block_merge_config_selectorIlNS0_10empty_typeEEEZZNS1_27merge_sort_block_merge_implIS3_PlPS5_mZN2at6native12_GLOBAL__N_124unique_dim_cuda_templateIhEESt5tupleIJNSA_6TensorESF_SF_EERKSF_lbbbEUlllE_EE10hipError_tT0_T1_T2_jT3_P12ihipStream_tbPNSt15iterator_traitsISL_E10value_typeEPNSR_ISM_E10value_typeEPSN_NS1_7vsmem_tEENKUlT_SL_SM_SN_E_clIS8_S8_S9_S9_EESK_S10_SL_SM_SN_EUlS10_E1_NS1_11comp_targetILNS1_3genE10ELNS1_11target_archE1201ELNS1_3gpuE5ELNS1_3repE0EEENS1_36merge_oddeven_config_static_selectorELNS0_4arch9wavefront6targetE1EEEvSM_,@function
_ZN7rocprim17ROCPRIM_400000_NS6detail17trampoline_kernelINS0_14default_configENS1_38merge_sort_block_merge_config_selectorIlNS0_10empty_typeEEEZZNS1_27merge_sort_block_merge_implIS3_PlPS5_mZN2at6native12_GLOBAL__N_124unique_dim_cuda_templateIhEESt5tupleIJNSA_6TensorESF_SF_EERKSF_lbbbEUlllE_EE10hipError_tT0_T1_T2_jT3_P12ihipStream_tbPNSt15iterator_traitsISL_E10value_typeEPNSR_ISM_E10value_typeEPSN_NS1_7vsmem_tEENKUlT_SL_SM_SN_E_clIS8_S8_S9_S9_EESK_S10_SL_SM_SN_EUlS10_E1_NS1_11comp_targetILNS1_3genE10ELNS1_11target_archE1201ELNS1_3gpuE5ELNS1_3repE0EEENS1_36merge_oddeven_config_static_selectorELNS0_4arch9wavefront6targetE1EEEvSM_: ; @_ZN7rocprim17ROCPRIM_400000_NS6detail17trampoline_kernelINS0_14default_configENS1_38merge_sort_block_merge_config_selectorIlNS0_10empty_typeEEEZZNS1_27merge_sort_block_merge_implIS3_PlPS5_mZN2at6native12_GLOBAL__N_124unique_dim_cuda_templateIhEESt5tupleIJNSA_6TensorESF_SF_EERKSF_lbbbEUlllE_EE10hipError_tT0_T1_T2_jT3_P12ihipStream_tbPNSt15iterator_traitsISL_E10value_typeEPNSR_ISM_E10value_typeEPSN_NS1_7vsmem_tEENKUlT_SL_SM_SN_E_clIS8_S8_S9_S9_EESK_S10_SL_SM_SN_EUlS10_E1_NS1_11comp_targetILNS1_3genE10ELNS1_11target_archE1201ELNS1_3gpuE5ELNS1_3repE0EEENS1_36merge_oddeven_config_static_selectorELNS0_4arch9wavefront6targetE1EEEvSM_
; %bb.0:
	.section	.rodata,"a",@progbits
	.p2align	6, 0x0
	.amdhsa_kernel _ZN7rocprim17ROCPRIM_400000_NS6detail17trampoline_kernelINS0_14default_configENS1_38merge_sort_block_merge_config_selectorIlNS0_10empty_typeEEEZZNS1_27merge_sort_block_merge_implIS3_PlPS5_mZN2at6native12_GLOBAL__N_124unique_dim_cuda_templateIhEESt5tupleIJNSA_6TensorESF_SF_EERKSF_lbbbEUlllE_EE10hipError_tT0_T1_T2_jT3_P12ihipStream_tbPNSt15iterator_traitsISL_E10value_typeEPNSR_ISM_E10value_typeEPSN_NS1_7vsmem_tEENKUlT_SL_SM_SN_E_clIS8_S8_S9_S9_EESK_S10_SL_SM_SN_EUlS10_E1_NS1_11comp_targetILNS1_3genE10ELNS1_11target_archE1201ELNS1_3gpuE5ELNS1_3repE0EEENS1_36merge_oddeven_config_static_selectorELNS0_4arch9wavefront6targetE1EEEvSM_
		.amdhsa_group_segment_fixed_size 0
		.amdhsa_private_segment_fixed_size 0
		.amdhsa_kernarg_size 64
		.amdhsa_user_sgpr_count 2
		.amdhsa_user_sgpr_dispatch_ptr 0
		.amdhsa_user_sgpr_queue_ptr 0
		.amdhsa_user_sgpr_kernarg_segment_ptr 1
		.amdhsa_user_sgpr_dispatch_id 0
		.amdhsa_user_sgpr_kernarg_preload_length 0
		.amdhsa_user_sgpr_kernarg_preload_offset 0
		.amdhsa_user_sgpr_private_segment_size 0
		.amdhsa_uses_dynamic_stack 0
		.amdhsa_enable_private_segment 0
		.amdhsa_system_sgpr_workgroup_id_x 1
		.amdhsa_system_sgpr_workgroup_id_y 0
		.amdhsa_system_sgpr_workgroup_id_z 0
		.amdhsa_system_sgpr_workgroup_info 0
		.amdhsa_system_vgpr_workitem_id 0
		.amdhsa_next_free_vgpr 1
		.amdhsa_next_free_sgpr 0
		.amdhsa_accum_offset 4
		.amdhsa_reserve_vcc 0
		.amdhsa_float_round_mode_32 0
		.amdhsa_float_round_mode_16_64 0
		.amdhsa_float_denorm_mode_32 3
		.amdhsa_float_denorm_mode_16_64 3
		.amdhsa_dx10_clamp 1
		.amdhsa_ieee_mode 1
		.amdhsa_fp16_overflow 0
		.amdhsa_tg_split 0
		.amdhsa_exception_fp_ieee_invalid_op 0
		.amdhsa_exception_fp_denorm_src 0
		.amdhsa_exception_fp_ieee_div_zero 0
		.amdhsa_exception_fp_ieee_overflow 0
		.amdhsa_exception_fp_ieee_underflow 0
		.amdhsa_exception_fp_ieee_inexact 0
		.amdhsa_exception_int_div_zero 0
	.end_amdhsa_kernel
	.section	.text._ZN7rocprim17ROCPRIM_400000_NS6detail17trampoline_kernelINS0_14default_configENS1_38merge_sort_block_merge_config_selectorIlNS0_10empty_typeEEEZZNS1_27merge_sort_block_merge_implIS3_PlPS5_mZN2at6native12_GLOBAL__N_124unique_dim_cuda_templateIhEESt5tupleIJNSA_6TensorESF_SF_EERKSF_lbbbEUlllE_EE10hipError_tT0_T1_T2_jT3_P12ihipStream_tbPNSt15iterator_traitsISL_E10value_typeEPNSR_ISM_E10value_typeEPSN_NS1_7vsmem_tEENKUlT_SL_SM_SN_E_clIS8_S8_S9_S9_EESK_S10_SL_SM_SN_EUlS10_E1_NS1_11comp_targetILNS1_3genE10ELNS1_11target_archE1201ELNS1_3gpuE5ELNS1_3repE0EEENS1_36merge_oddeven_config_static_selectorELNS0_4arch9wavefront6targetE1EEEvSM_,"axG",@progbits,_ZN7rocprim17ROCPRIM_400000_NS6detail17trampoline_kernelINS0_14default_configENS1_38merge_sort_block_merge_config_selectorIlNS0_10empty_typeEEEZZNS1_27merge_sort_block_merge_implIS3_PlPS5_mZN2at6native12_GLOBAL__N_124unique_dim_cuda_templateIhEESt5tupleIJNSA_6TensorESF_SF_EERKSF_lbbbEUlllE_EE10hipError_tT0_T1_T2_jT3_P12ihipStream_tbPNSt15iterator_traitsISL_E10value_typeEPNSR_ISM_E10value_typeEPSN_NS1_7vsmem_tEENKUlT_SL_SM_SN_E_clIS8_S8_S9_S9_EESK_S10_SL_SM_SN_EUlS10_E1_NS1_11comp_targetILNS1_3genE10ELNS1_11target_archE1201ELNS1_3gpuE5ELNS1_3repE0EEENS1_36merge_oddeven_config_static_selectorELNS0_4arch9wavefront6targetE1EEEvSM_,comdat
.Lfunc_end36:
	.size	_ZN7rocprim17ROCPRIM_400000_NS6detail17trampoline_kernelINS0_14default_configENS1_38merge_sort_block_merge_config_selectorIlNS0_10empty_typeEEEZZNS1_27merge_sort_block_merge_implIS3_PlPS5_mZN2at6native12_GLOBAL__N_124unique_dim_cuda_templateIhEESt5tupleIJNSA_6TensorESF_SF_EERKSF_lbbbEUlllE_EE10hipError_tT0_T1_T2_jT3_P12ihipStream_tbPNSt15iterator_traitsISL_E10value_typeEPNSR_ISM_E10value_typeEPSN_NS1_7vsmem_tEENKUlT_SL_SM_SN_E_clIS8_S8_S9_S9_EESK_S10_SL_SM_SN_EUlS10_E1_NS1_11comp_targetILNS1_3genE10ELNS1_11target_archE1201ELNS1_3gpuE5ELNS1_3repE0EEENS1_36merge_oddeven_config_static_selectorELNS0_4arch9wavefront6targetE1EEEvSM_, .Lfunc_end36-_ZN7rocprim17ROCPRIM_400000_NS6detail17trampoline_kernelINS0_14default_configENS1_38merge_sort_block_merge_config_selectorIlNS0_10empty_typeEEEZZNS1_27merge_sort_block_merge_implIS3_PlPS5_mZN2at6native12_GLOBAL__N_124unique_dim_cuda_templateIhEESt5tupleIJNSA_6TensorESF_SF_EERKSF_lbbbEUlllE_EE10hipError_tT0_T1_T2_jT3_P12ihipStream_tbPNSt15iterator_traitsISL_E10value_typeEPNSR_ISM_E10value_typeEPSN_NS1_7vsmem_tEENKUlT_SL_SM_SN_E_clIS8_S8_S9_S9_EESK_S10_SL_SM_SN_EUlS10_E1_NS1_11comp_targetILNS1_3genE10ELNS1_11target_archE1201ELNS1_3gpuE5ELNS1_3repE0EEENS1_36merge_oddeven_config_static_selectorELNS0_4arch9wavefront6targetE1EEEvSM_
                                        ; -- End function
	.section	.AMDGPU.csdata,"",@progbits
; Kernel info:
; codeLenInByte = 0
; NumSgprs: 6
; NumVgprs: 0
; NumAgprs: 0
; TotalNumVgprs: 0
; ScratchSize: 0
; MemoryBound: 0
; FloatMode: 240
; IeeeMode: 1
; LDSByteSize: 0 bytes/workgroup (compile time only)
; SGPRBlocks: 0
; VGPRBlocks: 0
; NumSGPRsForWavesPerEU: 6
; NumVGPRsForWavesPerEU: 1
; AccumOffset: 4
; Occupancy: 8
; WaveLimiterHint : 0
; COMPUTE_PGM_RSRC2:SCRATCH_EN: 0
; COMPUTE_PGM_RSRC2:USER_SGPR: 2
; COMPUTE_PGM_RSRC2:TRAP_HANDLER: 0
; COMPUTE_PGM_RSRC2:TGID_X_EN: 1
; COMPUTE_PGM_RSRC2:TGID_Y_EN: 0
; COMPUTE_PGM_RSRC2:TGID_Z_EN: 0
; COMPUTE_PGM_RSRC2:TIDIG_COMP_CNT: 0
; COMPUTE_PGM_RSRC3_GFX90A:ACCUM_OFFSET: 0
; COMPUTE_PGM_RSRC3_GFX90A:TG_SPLIT: 0
	.section	.text._ZN7rocprim17ROCPRIM_400000_NS6detail17trampoline_kernelINS0_14default_configENS1_38merge_sort_block_merge_config_selectorIlNS0_10empty_typeEEEZZNS1_27merge_sort_block_merge_implIS3_PlPS5_mZN2at6native12_GLOBAL__N_124unique_dim_cuda_templateIhEESt5tupleIJNSA_6TensorESF_SF_EERKSF_lbbbEUlllE_EE10hipError_tT0_T1_T2_jT3_P12ihipStream_tbPNSt15iterator_traitsISL_E10value_typeEPNSR_ISM_E10value_typeEPSN_NS1_7vsmem_tEENKUlT_SL_SM_SN_E_clIS8_S8_S9_S9_EESK_S10_SL_SM_SN_EUlS10_E1_NS1_11comp_targetILNS1_3genE5ELNS1_11target_archE942ELNS1_3gpuE9ELNS1_3repE0EEENS1_36merge_oddeven_config_static_selectorELNS0_4arch9wavefront6targetE1EEEvSM_,"axG",@progbits,_ZN7rocprim17ROCPRIM_400000_NS6detail17trampoline_kernelINS0_14default_configENS1_38merge_sort_block_merge_config_selectorIlNS0_10empty_typeEEEZZNS1_27merge_sort_block_merge_implIS3_PlPS5_mZN2at6native12_GLOBAL__N_124unique_dim_cuda_templateIhEESt5tupleIJNSA_6TensorESF_SF_EERKSF_lbbbEUlllE_EE10hipError_tT0_T1_T2_jT3_P12ihipStream_tbPNSt15iterator_traitsISL_E10value_typeEPNSR_ISM_E10value_typeEPSN_NS1_7vsmem_tEENKUlT_SL_SM_SN_E_clIS8_S8_S9_S9_EESK_S10_SL_SM_SN_EUlS10_E1_NS1_11comp_targetILNS1_3genE5ELNS1_11target_archE942ELNS1_3gpuE9ELNS1_3repE0EEENS1_36merge_oddeven_config_static_selectorELNS0_4arch9wavefront6targetE1EEEvSM_,comdat
	.globl	_ZN7rocprim17ROCPRIM_400000_NS6detail17trampoline_kernelINS0_14default_configENS1_38merge_sort_block_merge_config_selectorIlNS0_10empty_typeEEEZZNS1_27merge_sort_block_merge_implIS3_PlPS5_mZN2at6native12_GLOBAL__N_124unique_dim_cuda_templateIhEESt5tupleIJNSA_6TensorESF_SF_EERKSF_lbbbEUlllE_EE10hipError_tT0_T1_T2_jT3_P12ihipStream_tbPNSt15iterator_traitsISL_E10value_typeEPNSR_ISM_E10value_typeEPSN_NS1_7vsmem_tEENKUlT_SL_SM_SN_E_clIS8_S8_S9_S9_EESK_S10_SL_SM_SN_EUlS10_E1_NS1_11comp_targetILNS1_3genE5ELNS1_11target_archE942ELNS1_3gpuE9ELNS1_3repE0EEENS1_36merge_oddeven_config_static_selectorELNS0_4arch9wavefront6targetE1EEEvSM_ ; -- Begin function _ZN7rocprim17ROCPRIM_400000_NS6detail17trampoline_kernelINS0_14default_configENS1_38merge_sort_block_merge_config_selectorIlNS0_10empty_typeEEEZZNS1_27merge_sort_block_merge_implIS3_PlPS5_mZN2at6native12_GLOBAL__N_124unique_dim_cuda_templateIhEESt5tupleIJNSA_6TensorESF_SF_EERKSF_lbbbEUlllE_EE10hipError_tT0_T1_T2_jT3_P12ihipStream_tbPNSt15iterator_traitsISL_E10value_typeEPNSR_ISM_E10value_typeEPSN_NS1_7vsmem_tEENKUlT_SL_SM_SN_E_clIS8_S8_S9_S9_EESK_S10_SL_SM_SN_EUlS10_E1_NS1_11comp_targetILNS1_3genE5ELNS1_11target_archE942ELNS1_3gpuE9ELNS1_3repE0EEENS1_36merge_oddeven_config_static_selectorELNS0_4arch9wavefront6targetE1EEEvSM_
	.p2align	8
	.type	_ZN7rocprim17ROCPRIM_400000_NS6detail17trampoline_kernelINS0_14default_configENS1_38merge_sort_block_merge_config_selectorIlNS0_10empty_typeEEEZZNS1_27merge_sort_block_merge_implIS3_PlPS5_mZN2at6native12_GLOBAL__N_124unique_dim_cuda_templateIhEESt5tupleIJNSA_6TensorESF_SF_EERKSF_lbbbEUlllE_EE10hipError_tT0_T1_T2_jT3_P12ihipStream_tbPNSt15iterator_traitsISL_E10value_typeEPNSR_ISM_E10value_typeEPSN_NS1_7vsmem_tEENKUlT_SL_SM_SN_E_clIS8_S8_S9_S9_EESK_S10_SL_SM_SN_EUlS10_E1_NS1_11comp_targetILNS1_3genE5ELNS1_11target_archE942ELNS1_3gpuE9ELNS1_3repE0EEENS1_36merge_oddeven_config_static_selectorELNS0_4arch9wavefront6targetE1EEEvSM_,@function
_ZN7rocprim17ROCPRIM_400000_NS6detail17trampoline_kernelINS0_14default_configENS1_38merge_sort_block_merge_config_selectorIlNS0_10empty_typeEEEZZNS1_27merge_sort_block_merge_implIS3_PlPS5_mZN2at6native12_GLOBAL__N_124unique_dim_cuda_templateIhEESt5tupleIJNSA_6TensorESF_SF_EERKSF_lbbbEUlllE_EE10hipError_tT0_T1_T2_jT3_P12ihipStream_tbPNSt15iterator_traitsISL_E10value_typeEPNSR_ISM_E10value_typeEPSN_NS1_7vsmem_tEENKUlT_SL_SM_SN_E_clIS8_S8_S9_S9_EESK_S10_SL_SM_SN_EUlS10_E1_NS1_11comp_targetILNS1_3genE5ELNS1_11target_archE942ELNS1_3gpuE9ELNS1_3repE0EEENS1_36merge_oddeven_config_static_selectorELNS0_4arch9wavefront6targetE1EEEvSM_: ; @_ZN7rocprim17ROCPRIM_400000_NS6detail17trampoline_kernelINS0_14default_configENS1_38merge_sort_block_merge_config_selectorIlNS0_10empty_typeEEEZZNS1_27merge_sort_block_merge_implIS3_PlPS5_mZN2at6native12_GLOBAL__N_124unique_dim_cuda_templateIhEESt5tupleIJNSA_6TensorESF_SF_EERKSF_lbbbEUlllE_EE10hipError_tT0_T1_T2_jT3_P12ihipStream_tbPNSt15iterator_traitsISL_E10value_typeEPNSR_ISM_E10value_typeEPSN_NS1_7vsmem_tEENKUlT_SL_SM_SN_E_clIS8_S8_S9_S9_EESK_S10_SL_SM_SN_EUlS10_E1_NS1_11comp_targetILNS1_3genE5ELNS1_11target_archE942ELNS1_3gpuE9ELNS1_3repE0EEENS1_36merge_oddeven_config_static_selectorELNS0_4arch9wavefront6targetE1EEEvSM_
; %bb.0:
	s_load_dword s22, s[0:1], 0x20
	s_waitcnt lgkmcnt(0)
	s_lshr_b32 s3, s22, 8
	s_cmp_lg_u32 s2, s3
	s_cselect_b64 s[12:13], -1, 0
	s_cmp_eq_u32 s2, s3
	s_cselect_b64 s[18:19], -1, 0
	s_lshl_b32 s20, s2, 8
	s_sub_i32 s3, s22, s20
	v_cmp_gt_u32_e64 s[4:5], s3, v0
	s_or_b64 s[6:7], s[12:13], s[4:5]
	s_and_saveexec_b64 s[8:9], s[6:7]
	s_cbranch_execz .LBB37_54
; %bb.1:
	s_load_dwordx4 s[8:11], s[0:1], 0x0
	s_load_dword s23, s[0:1], 0x28
	s_mov_b32 s21, 0
	s_lshl_b64 s[6:7], s[20:21], 3
	v_lshlrev_b32_e32 v1, 3, v0
	s_waitcnt lgkmcnt(0)
	s_add_u32 s6, s8, s6
	s_addc_u32 s7, s9, s7
	global_load_dwordx2 v[2:3], v1, s[6:7]
	s_lshr_b32 s3, s23, 8
	s_sub_i32 s6, 0, s3
	s_and_b32 s2, s2, s6
	s_and_b32 s3, s2, s3
	s_cmp_lg_u32 s3, 0
	s_cselect_b64 s[6:7], -1, 0
	s_lshl_b32 s21, s2, 8
	s_sub_i32 s2, 0, s23
	s_cmp_eq_u32 s3, 0
	s_cselect_b32 s33, s23, s2
	s_add_i32 s33, s33, s21
	s_cmp_lt_u32 s33, s22
	s_cbranch_scc1 .LBB37_3
; %bb.2:
	v_add_u32_e32 v4, s20, v0
	v_cmp_gt_u32_e32 vcc, s22, v4
	s_or_b64 s[12:13], vcc, s[12:13]
	s_and_b64 s[16:17], s[12:13], exec
	s_cbranch_execz .LBB37_4
	s_branch .LBB37_52
.LBB37_3:
	s_mov_b64 s[16:17], 0
                                        ; implicit-def: $vgpr4
.LBB37_4:
	s_load_dwordx4 s[12:15], s[0:1], 0x30
	s_min_u32 s40, s33, s22
	s_add_i32 s0, s40, s23
	s_min_u32 s41, s0, s22
	s_min_u32 s0, s21, s40
	v_add_u32_e32 v0, s20, v0
	s_add_i32 s21, s21, s40
	v_subrev_u32_e32 v0, s21, v0
	v_add_u32_e32 v14, s0, v0
	s_and_b64 vcc, exec, s[18:19]
	s_cbranch_vccz .LBB37_26
; %bb.5:
                                        ; implicit-def: $vgpr4
	s_and_saveexec_b64 s[18:19], s[4:5]
	s_cbranch_execz .LBB37_29
; %bb.6:
	s_cmp_ge_u32 s33, s41
	v_mov_b32_e32 v15, s40
	s_cbranch_scc1 .LBB37_28
; %bb.7:
	s_waitcnt lgkmcnt(0)
	v_mov_b64_e32 v[0:1], s[14:15]
	s_waitcnt vmcnt(0)
	v_mad_u64_u32 v[4:5], s[0:1], v2, s12, v[0:1]
	v_mul_lo_u32 v6, v2, s13
	v_mul_lo_u32 v7, v3, s12
	v_add3_u32 v5, v7, v5, v6
	v_cndmask_b32_e64 v6, 0, 1, s[6:7]
	v_cmp_gt_i64_e64 s[2:3], s[12:13], 0
	v_cmp_ne_u32_e64 s[0:1], 1, v6
	s_mov_b64 s[4:5], 0
	v_cndmask_b32_e64 v6, 0, 1, s[2:3]
	v_mov_b32_e32 v16, s41
	v_mov_b32_e32 v15, s40
	;; [unrolled: 1-line block ×3, first 2 shown]
	v_cmp_ne_u32_e64 s[2:3], 1, v6
	s_branch .LBB37_10
.LBB37_8:                               ;   in Loop: Header=BB37_10 Depth=1
	s_or_b64 exec, exec, s[22:23]
.LBB37_9:                               ;   in Loop: Header=BB37_10 Depth=1
	s_waitcnt vmcnt(0)
	v_add_u32_e32 v8, 1, v6
	v_cndmask_b32_e64 v16, v6, v16, s[20:21]
	v_cndmask_b32_e64 v15, v15, v8, s[20:21]
	v_cmp_ge_u32_e32 vcc, v15, v16
	s_or_b64 s[4:5], vcc, s[4:5]
	s_andn2_b64 exec, exec, s[4:5]
	s_cbranch_execz .LBB37_27
.LBB37_10:                              ; =>This Loop Header: Depth=1
                                        ;     Child Loop BB37_14 Depth 2
                                        ;     Child Loop BB37_23 Depth 2
	v_add_u32_e32 v6, v15, v16
	v_lshrrev_b32_e32 v6, 1, v6
	v_lshl_add_u64 v[8:9], v[6:7], 3, s[8:9]
	global_load_dwordx2 v[8:9], v[8:9], off
	s_and_b64 vcc, exec, s[0:1]
	s_mov_b64 s[22:23], -1
                                        ; implicit-def: $sgpr20_sgpr21
	s_cbranch_vccnz .LBB37_19
; %bb.11:                               ;   in Loop: Header=BB37_10 Depth=1
	s_and_b64 vcc, exec, s[2:3]
	s_cbranch_vccnz .LBB37_17
; %bb.12:                               ;   in Loop: Header=BB37_10 Depth=1
	s_waitcnt vmcnt(0)
	v_mad_u64_u32 v[10:11], s[20:21], v8, s12, v[0:1]
	v_mul_lo_u32 v12, v8, s13
	v_mul_lo_u32 v13, v9, s12
	v_add3_u32 v11, v13, v11, v12
	s_mov_b64 s[22:23], 0
	s_mov_b64 s[28:29], s[12:13]
	v_mov_b64_e32 v[12:13], v[4:5]
                                        ; implicit-def: $sgpr20_sgpr21
                                        ; implicit-def: $sgpr24_sgpr25
                                        ; implicit-def: $sgpr26_sgpr27
                                        ; implicit-def: $sgpr30_sgpr31
                                        ; implicit-def: $sgpr34_sgpr35
	s_branch .LBB37_14
.LBB37_13:                              ;   in Loop: Header=BB37_14 Depth=2
	s_or_b64 exec, exec, s[36:37]
	s_and_b64 s[36:37], exec, s[24:25]
	s_or_b64 s[22:23], s[36:37], s[22:23]
	s_andn2_b64 s[34:35], s[34:35], exec
	s_and_b64 s[36:37], s[26:27], exec
	s_or_b64 s[34:35], s[34:35], s[36:37]
	s_andn2_b64 s[20:21], s[20:21], exec
	s_and_b64 s[36:37], s[30:31], exec
	s_or_b64 s[20:21], s[20:21], s[36:37]
	s_andn2_b64 exec, exec, s[22:23]
	s_cbranch_execz .LBB37_16
.LBB37_14:                              ;   Parent Loop BB37_10 Depth=1
                                        ; =>  This Inner Loop Header: Depth=2
	global_load_ubyte v17, v[12:13], off
	global_load_ubyte v18, v[10:11], off
	s_andn2_b64 s[30:31], s[30:31], exec
	s_andn2_b64 s[26:27], s[26:27], exec
	s_or_b64 s[24:25], s[24:25], exec
	s_waitcnt vmcnt(0)
	v_cmp_le_u16_sdwa s[38:39], v17, v18 src0_sel:BYTE_0 src1_sel:BYTE_0
	v_cmp_lt_u16_sdwa s[36:37], v17, v18 src0_sel:BYTE_0 src1_sel:BYTE_0
	s_and_b64 s[38:39], s[38:39], s[34:35]
	s_or_b64 s[38:39], s[36:37], s[38:39]
	s_and_b64 s[36:37], s[38:39], exec
	v_cmp_eq_u16_sdwa s[42:43], v17, v18 src0_sel:BYTE_0 src1_sel:BYTE_0
	s_or_b64 s[30:31], s[30:31], s[36:37]
	s_and_saveexec_b64 s[36:37], s[42:43]
	s_cbranch_execz .LBB37_13
; %bb.15:                               ;   in Loop: Header=BB37_14 Depth=2
	s_add_u32 s28, s28, -1
	s_addc_u32 s29, s29, -1
	s_cmp_eq_u64 s[28:29], 0
	s_cselect_b64 s[34:35], -1, 0
	s_andn2_b64 s[26:27], s[26:27], exec
	s_and_b64 s[38:39], s[38:39], exec
	s_andn2_b64 s[24:25], s[24:25], exec
	s_and_b64 s[34:35], s[34:35], exec
	v_lshl_add_u64 v[12:13], v[12:13], 0, 1
	v_lshl_add_u64 v[10:11], v[10:11], 0, 1
	s_andn2_b64 s[30:31], s[30:31], exec
	s_or_b64 s[26:27], s[26:27], s[38:39]
	s_or_b64 s[24:25], s[24:25], s[34:35]
                                        ; implicit-def: $sgpr34_sgpr35
	s_branch .LBB37_13
.LBB37_16:                              ;   in Loop: Header=BB37_10 Depth=1
	s_or_b64 exec, exec, s[22:23]
	s_branch .LBB37_18
.LBB37_17:                              ;   in Loop: Header=BB37_10 Depth=1
	s_mov_b64 s[20:21], 0
.LBB37_18:                              ;   in Loop: Header=BB37_10 Depth=1
	s_xor_b64 s[20:21], s[20:21], -1
	s_mov_b64 s[22:23], 0
.LBB37_19:                              ;   in Loop: Header=BB37_10 Depth=1
	s_and_b64 vcc, exec, s[22:23]
	s_cbranch_vccz .LBB37_9
; %bb.20:                               ;   in Loop: Header=BB37_10 Depth=1
	s_and_b64 vcc, exec, s[2:3]
	s_cbranch_vccnz .LBB37_25
; %bb.21:                               ;   in Loop: Header=BB37_10 Depth=1
	s_waitcnt vmcnt(0)
	v_mad_u64_u32 v[10:11], s[20:21], v8, s12, v[0:1]
	v_mul_lo_u32 v8, v8, s13
	v_mul_lo_u32 v9, v9, s12
	v_add3_u32 v11, v9, v11, v8
	s_mov_b64 s[22:23], 0
	s_mov_b64 s[28:29], s[12:13]
	v_mov_b64_e32 v[8:9], v[4:5]
                                        ; implicit-def: $sgpr20_sgpr21
                                        ; implicit-def: $sgpr24_sgpr25
                                        ; implicit-def: $sgpr26_sgpr27
                                        ; implicit-def: $sgpr30_sgpr31
                                        ; implicit-def: $sgpr34_sgpr35
	s_branch .LBB37_23
.LBB37_22:                              ;   in Loop: Header=BB37_23 Depth=2
	s_or_b64 exec, exec, s[36:37]
	s_and_b64 s[36:37], exec, s[24:25]
	s_or_b64 s[22:23], s[36:37], s[22:23]
	s_andn2_b64 s[34:35], s[34:35], exec
	s_and_b64 s[36:37], s[26:27], exec
	s_or_b64 s[34:35], s[34:35], s[36:37]
	s_andn2_b64 s[20:21], s[20:21], exec
	s_and_b64 s[36:37], s[30:31], exec
	s_or_b64 s[20:21], s[20:21], s[36:37]
	s_andn2_b64 exec, exec, s[22:23]
	s_cbranch_execz .LBB37_8
.LBB37_23:                              ;   Parent Loop BB37_10 Depth=1
                                        ; =>  This Inner Loop Header: Depth=2
	global_load_ubyte v12, v[10:11], off
	global_load_ubyte v13, v[8:9], off
	s_andn2_b64 s[30:31], s[30:31], exec
	s_andn2_b64 s[26:27], s[26:27], exec
	s_or_b64 s[24:25], s[24:25], exec
	s_waitcnt vmcnt(0)
	v_cmp_le_u16_sdwa s[38:39], v12, v13 src0_sel:BYTE_0 src1_sel:BYTE_0
	v_cmp_lt_u16_sdwa s[36:37], v12, v13 src0_sel:BYTE_0 src1_sel:BYTE_0
	s_and_b64 s[38:39], s[38:39], s[34:35]
	s_or_b64 s[38:39], s[36:37], s[38:39]
	s_and_b64 s[36:37], s[38:39], exec
	v_cmp_eq_u16_sdwa s[42:43], v12, v13 src0_sel:BYTE_0 src1_sel:BYTE_0
	s_or_b64 s[30:31], s[30:31], s[36:37]
	s_and_saveexec_b64 s[36:37], s[42:43]
	s_cbranch_execz .LBB37_22
; %bb.24:                               ;   in Loop: Header=BB37_23 Depth=2
	s_add_u32 s28, s28, -1
	s_addc_u32 s29, s29, -1
	s_cmp_eq_u64 s[28:29], 0
	s_cselect_b64 s[34:35], -1, 0
	s_andn2_b64 s[26:27], s[26:27], exec
	s_and_b64 s[38:39], s[38:39], exec
	s_andn2_b64 s[24:25], s[24:25], exec
	s_and_b64 s[34:35], s[34:35], exec
	v_lshl_add_u64 v[10:11], v[10:11], 0, 1
	v_lshl_add_u64 v[8:9], v[8:9], 0, 1
	s_andn2_b64 s[30:31], s[30:31], exec
	s_or_b64 s[26:27], s[26:27], s[38:39]
	s_or_b64 s[24:25], s[24:25], s[34:35]
                                        ; implicit-def: $sgpr34_sgpr35
	s_branch .LBB37_22
.LBB37_25:                              ;   in Loop: Header=BB37_10 Depth=1
	s_mov_b64 s[20:21], 0
	s_branch .LBB37_9
.LBB37_26:
                                        ; implicit-def: $vgpr4
	s_cbranch_execnz .LBB37_30
	s_branch .LBB37_52
.LBB37_27:
	s_or_b64 exec, exec, s[4:5]
.LBB37_28:
	v_add_u32_e32 v4, v15, v14
	s_or_b64 s[16:17], s[16:17], exec
.LBB37_29:
	s_or_b64 exec, exec, s[18:19]
	s_branch .LBB37_52
.LBB37_30:
	s_cmp_ge_u32 s33, s41
	v_mov_b32_e32 v15, s40
	s_cbranch_scc1 .LBB37_51
; %bb.31:
	s_waitcnt lgkmcnt(0)
	v_mov_b64_e32 v[0:1], s[14:15]
	s_waitcnt vmcnt(0)
	v_mad_u64_u32 v[4:5], s[0:1], v2, s12, v[0:1]
	v_mul_lo_u32 v6, v2, s13
	v_mul_lo_u32 v7, v3, s12
	v_add3_u32 v5, v7, v5, v6
	v_cndmask_b32_e64 v6, 0, 1, s[6:7]
	v_cmp_gt_i64_e64 s[2:3], s[12:13], 0
	v_cmp_ne_u32_e64 s[0:1], 1, v6
	s_mov_b64 s[4:5], 0
	v_cndmask_b32_e64 v6, 0, 1, s[2:3]
	v_mov_b32_e32 v16, s41
	v_mov_b32_e32 v15, s40
	;; [unrolled: 1-line block ×3, first 2 shown]
	v_cmp_ne_u32_e64 s[2:3], 1, v6
	s_branch .LBB37_34
.LBB37_32:                              ;   in Loop: Header=BB37_34 Depth=1
	s_or_b64 exec, exec, s[14:15]
.LBB37_33:                              ;   in Loop: Header=BB37_34 Depth=1
	s_waitcnt vmcnt(0)
	v_add_u32_e32 v8, 1, v6
	v_cndmask_b32_e64 v16, v6, v16, s[6:7]
	v_cndmask_b32_e64 v15, v15, v8, s[6:7]
	v_cmp_ge_u32_e32 vcc, v15, v16
	s_or_b64 s[4:5], vcc, s[4:5]
	s_andn2_b64 exec, exec, s[4:5]
	s_cbranch_execz .LBB37_50
.LBB37_34:                              ; =>This Loop Header: Depth=1
                                        ;     Child Loop BB37_38 Depth 2
                                        ;     Child Loop BB37_47 Depth 2
	v_add_u32_e32 v6, v15, v16
	v_lshrrev_b32_e32 v6, 1, v6
	v_lshl_add_u64 v[8:9], v[6:7], 3, s[8:9]
	global_load_dwordx2 v[8:9], v[8:9], off
	s_and_b64 vcc, exec, s[0:1]
	s_mov_b64 s[14:15], -1
                                        ; implicit-def: $sgpr6_sgpr7
	s_cbranch_vccnz .LBB37_43
; %bb.35:                               ;   in Loop: Header=BB37_34 Depth=1
	s_and_b64 vcc, exec, s[2:3]
	s_cbranch_vccnz .LBB37_41
; %bb.36:                               ;   in Loop: Header=BB37_34 Depth=1
	s_waitcnt vmcnt(0)
	v_mad_u64_u32 v[10:11], s[6:7], v8, s12, v[0:1]
	v_mul_lo_u32 v12, v8, s13
	v_mul_lo_u32 v13, v9, s12
	v_add3_u32 v11, v13, v11, v12
	s_mov_b64 s[14:15], 0
	s_mov_b64 s[20:21], s[12:13]
	v_mov_b64_e32 v[12:13], v[4:5]
                                        ; implicit-def: $sgpr6_sgpr7
                                        ; implicit-def: $sgpr16_sgpr17
                                        ; implicit-def: $sgpr18_sgpr19
                                        ; implicit-def: $sgpr22_sgpr23
                                        ; implicit-def: $sgpr24_sgpr25
	s_branch .LBB37_38
.LBB37_37:                              ;   in Loop: Header=BB37_38 Depth=2
	s_or_b64 exec, exec, s[26:27]
	s_and_b64 s[26:27], exec, s[16:17]
	s_or_b64 s[14:15], s[26:27], s[14:15]
	s_andn2_b64 s[24:25], s[24:25], exec
	s_and_b64 s[26:27], s[18:19], exec
	s_or_b64 s[24:25], s[24:25], s[26:27]
	s_andn2_b64 s[6:7], s[6:7], exec
	s_and_b64 s[26:27], s[22:23], exec
	s_or_b64 s[6:7], s[6:7], s[26:27]
	s_andn2_b64 exec, exec, s[14:15]
	s_cbranch_execz .LBB37_40
.LBB37_38:                              ;   Parent Loop BB37_34 Depth=1
                                        ; =>  This Inner Loop Header: Depth=2
	global_load_ubyte v17, v[12:13], off
	global_load_ubyte v18, v[10:11], off
	s_andn2_b64 s[22:23], s[22:23], exec
	s_andn2_b64 s[18:19], s[18:19], exec
	s_or_b64 s[16:17], s[16:17], exec
	s_waitcnt vmcnt(0)
	v_cmp_le_u16_sdwa s[28:29], v17, v18 src0_sel:BYTE_0 src1_sel:BYTE_0
	v_cmp_lt_u16_sdwa s[26:27], v17, v18 src0_sel:BYTE_0 src1_sel:BYTE_0
	s_and_b64 s[28:29], s[28:29], s[24:25]
	s_or_b64 s[28:29], s[26:27], s[28:29]
	s_and_b64 s[26:27], s[28:29], exec
	v_cmp_eq_u16_sdwa s[30:31], v17, v18 src0_sel:BYTE_0 src1_sel:BYTE_0
	s_or_b64 s[22:23], s[22:23], s[26:27]
	s_and_saveexec_b64 s[26:27], s[30:31]
	s_cbranch_execz .LBB37_37
; %bb.39:                               ;   in Loop: Header=BB37_38 Depth=2
	s_add_u32 s20, s20, -1
	s_addc_u32 s21, s21, -1
	s_cmp_eq_u64 s[20:21], 0
	s_cselect_b64 s[24:25], -1, 0
	s_andn2_b64 s[18:19], s[18:19], exec
	s_and_b64 s[28:29], s[28:29], exec
	s_andn2_b64 s[16:17], s[16:17], exec
	s_and_b64 s[24:25], s[24:25], exec
	v_lshl_add_u64 v[12:13], v[12:13], 0, 1
	v_lshl_add_u64 v[10:11], v[10:11], 0, 1
	s_andn2_b64 s[22:23], s[22:23], exec
	s_or_b64 s[18:19], s[18:19], s[28:29]
	s_or_b64 s[16:17], s[16:17], s[24:25]
                                        ; implicit-def: $sgpr24_sgpr25
	s_branch .LBB37_37
.LBB37_40:                              ;   in Loop: Header=BB37_34 Depth=1
	s_or_b64 exec, exec, s[14:15]
	s_branch .LBB37_42
.LBB37_41:                              ;   in Loop: Header=BB37_34 Depth=1
	s_mov_b64 s[6:7], 0
.LBB37_42:                              ;   in Loop: Header=BB37_34 Depth=1
	s_xor_b64 s[6:7], s[6:7], -1
	s_mov_b64 s[14:15], 0
.LBB37_43:                              ;   in Loop: Header=BB37_34 Depth=1
	s_and_b64 vcc, exec, s[14:15]
	s_cbranch_vccz .LBB37_33
; %bb.44:                               ;   in Loop: Header=BB37_34 Depth=1
	s_and_b64 vcc, exec, s[2:3]
	s_cbranch_vccnz .LBB37_49
; %bb.45:                               ;   in Loop: Header=BB37_34 Depth=1
	s_waitcnt vmcnt(0)
	v_mad_u64_u32 v[10:11], s[6:7], v8, s12, v[0:1]
	v_mul_lo_u32 v8, v8, s13
	v_mul_lo_u32 v9, v9, s12
	v_add3_u32 v11, v9, v11, v8
	s_mov_b64 s[14:15], 0
	s_mov_b64 s[20:21], s[12:13]
	v_mov_b64_e32 v[8:9], v[4:5]
                                        ; implicit-def: $sgpr6_sgpr7
                                        ; implicit-def: $sgpr16_sgpr17
                                        ; implicit-def: $sgpr18_sgpr19
                                        ; implicit-def: $sgpr22_sgpr23
                                        ; implicit-def: $sgpr24_sgpr25
	s_branch .LBB37_47
.LBB37_46:                              ;   in Loop: Header=BB37_47 Depth=2
	s_or_b64 exec, exec, s[26:27]
	s_and_b64 s[26:27], exec, s[16:17]
	s_or_b64 s[14:15], s[26:27], s[14:15]
	s_andn2_b64 s[24:25], s[24:25], exec
	s_and_b64 s[26:27], s[18:19], exec
	s_or_b64 s[24:25], s[24:25], s[26:27]
	s_andn2_b64 s[6:7], s[6:7], exec
	s_and_b64 s[26:27], s[22:23], exec
	s_or_b64 s[6:7], s[6:7], s[26:27]
	s_andn2_b64 exec, exec, s[14:15]
	s_cbranch_execz .LBB37_32
.LBB37_47:                              ;   Parent Loop BB37_34 Depth=1
                                        ; =>  This Inner Loop Header: Depth=2
	global_load_ubyte v12, v[10:11], off
	global_load_ubyte v13, v[8:9], off
	s_andn2_b64 s[22:23], s[22:23], exec
	s_andn2_b64 s[18:19], s[18:19], exec
	s_or_b64 s[16:17], s[16:17], exec
	s_waitcnt vmcnt(0)
	v_cmp_le_u16_sdwa s[28:29], v12, v13 src0_sel:BYTE_0 src1_sel:BYTE_0
	v_cmp_lt_u16_sdwa s[26:27], v12, v13 src0_sel:BYTE_0 src1_sel:BYTE_0
	s_and_b64 s[28:29], s[28:29], s[24:25]
	s_or_b64 s[28:29], s[26:27], s[28:29]
	s_and_b64 s[26:27], s[28:29], exec
	v_cmp_eq_u16_sdwa s[30:31], v12, v13 src0_sel:BYTE_0 src1_sel:BYTE_0
	s_or_b64 s[22:23], s[22:23], s[26:27]
	s_and_saveexec_b64 s[26:27], s[30:31]
	s_cbranch_execz .LBB37_46
; %bb.48:                               ;   in Loop: Header=BB37_47 Depth=2
	s_add_u32 s20, s20, -1
	s_addc_u32 s21, s21, -1
	s_cmp_eq_u64 s[20:21], 0
	s_cselect_b64 s[24:25], -1, 0
	s_andn2_b64 s[18:19], s[18:19], exec
	s_and_b64 s[28:29], s[28:29], exec
	s_andn2_b64 s[16:17], s[16:17], exec
	s_and_b64 s[24:25], s[24:25], exec
	v_lshl_add_u64 v[10:11], v[10:11], 0, 1
	v_lshl_add_u64 v[8:9], v[8:9], 0, 1
	s_andn2_b64 s[22:23], s[22:23], exec
	s_or_b64 s[18:19], s[18:19], s[28:29]
	s_or_b64 s[16:17], s[16:17], s[24:25]
                                        ; implicit-def: $sgpr24_sgpr25
	s_branch .LBB37_46
.LBB37_49:                              ;   in Loop: Header=BB37_34 Depth=1
	s_mov_b64 s[6:7], 0
	s_branch .LBB37_33
.LBB37_50:
	s_or_b64 exec, exec, s[4:5]
.LBB37_51:
	v_add_u32_e32 v4, v15, v14
	s_mov_b64 s[16:17], -1
.LBB37_52:
	s_and_b64 exec, exec, s[16:17]
	s_cbranch_execz .LBB37_54
; %bb.53:
	v_mov_b32_e32 v0, s10
	v_mov_b32_e32 v1, s11
	;; [unrolled: 1-line block ×3, first 2 shown]
	v_lshl_add_u64 v[0:1], v[4:5], 3, v[0:1]
	s_waitcnt vmcnt(0)
	global_store_dwordx2 v[0:1], v[2:3], off
.LBB37_54:
	s_endpgm
	.section	.rodata,"a",@progbits
	.p2align	6, 0x0
	.amdhsa_kernel _ZN7rocprim17ROCPRIM_400000_NS6detail17trampoline_kernelINS0_14default_configENS1_38merge_sort_block_merge_config_selectorIlNS0_10empty_typeEEEZZNS1_27merge_sort_block_merge_implIS3_PlPS5_mZN2at6native12_GLOBAL__N_124unique_dim_cuda_templateIhEESt5tupleIJNSA_6TensorESF_SF_EERKSF_lbbbEUlllE_EE10hipError_tT0_T1_T2_jT3_P12ihipStream_tbPNSt15iterator_traitsISL_E10value_typeEPNSR_ISM_E10value_typeEPSN_NS1_7vsmem_tEENKUlT_SL_SM_SN_E_clIS8_S8_S9_S9_EESK_S10_SL_SM_SN_EUlS10_E1_NS1_11comp_targetILNS1_3genE5ELNS1_11target_archE942ELNS1_3gpuE9ELNS1_3repE0EEENS1_36merge_oddeven_config_static_selectorELNS0_4arch9wavefront6targetE1EEEvSM_
		.amdhsa_group_segment_fixed_size 0
		.amdhsa_private_segment_fixed_size 0
		.amdhsa_kernarg_size 64
		.amdhsa_user_sgpr_count 2
		.amdhsa_user_sgpr_dispatch_ptr 0
		.amdhsa_user_sgpr_queue_ptr 0
		.amdhsa_user_sgpr_kernarg_segment_ptr 1
		.amdhsa_user_sgpr_dispatch_id 0
		.amdhsa_user_sgpr_kernarg_preload_length 0
		.amdhsa_user_sgpr_kernarg_preload_offset 0
		.amdhsa_user_sgpr_private_segment_size 0
		.amdhsa_uses_dynamic_stack 0
		.amdhsa_enable_private_segment 0
		.amdhsa_system_sgpr_workgroup_id_x 1
		.amdhsa_system_sgpr_workgroup_id_y 0
		.amdhsa_system_sgpr_workgroup_id_z 0
		.amdhsa_system_sgpr_workgroup_info 0
		.amdhsa_system_vgpr_workitem_id 0
		.amdhsa_next_free_vgpr 19
		.amdhsa_next_free_sgpr 44
		.amdhsa_accum_offset 20
		.amdhsa_reserve_vcc 1
		.amdhsa_float_round_mode_32 0
		.amdhsa_float_round_mode_16_64 0
		.amdhsa_float_denorm_mode_32 3
		.amdhsa_float_denorm_mode_16_64 3
		.amdhsa_dx10_clamp 1
		.amdhsa_ieee_mode 1
		.amdhsa_fp16_overflow 0
		.amdhsa_tg_split 0
		.amdhsa_exception_fp_ieee_invalid_op 0
		.amdhsa_exception_fp_denorm_src 0
		.amdhsa_exception_fp_ieee_div_zero 0
		.amdhsa_exception_fp_ieee_overflow 0
		.amdhsa_exception_fp_ieee_underflow 0
		.amdhsa_exception_fp_ieee_inexact 0
		.amdhsa_exception_int_div_zero 0
	.end_amdhsa_kernel
	.section	.text._ZN7rocprim17ROCPRIM_400000_NS6detail17trampoline_kernelINS0_14default_configENS1_38merge_sort_block_merge_config_selectorIlNS0_10empty_typeEEEZZNS1_27merge_sort_block_merge_implIS3_PlPS5_mZN2at6native12_GLOBAL__N_124unique_dim_cuda_templateIhEESt5tupleIJNSA_6TensorESF_SF_EERKSF_lbbbEUlllE_EE10hipError_tT0_T1_T2_jT3_P12ihipStream_tbPNSt15iterator_traitsISL_E10value_typeEPNSR_ISM_E10value_typeEPSN_NS1_7vsmem_tEENKUlT_SL_SM_SN_E_clIS8_S8_S9_S9_EESK_S10_SL_SM_SN_EUlS10_E1_NS1_11comp_targetILNS1_3genE5ELNS1_11target_archE942ELNS1_3gpuE9ELNS1_3repE0EEENS1_36merge_oddeven_config_static_selectorELNS0_4arch9wavefront6targetE1EEEvSM_,"axG",@progbits,_ZN7rocprim17ROCPRIM_400000_NS6detail17trampoline_kernelINS0_14default_configENS1_38merge_sort_block_merge_config_selectorIlNS0_10empty_typeEEEZZNS1_27merge_sort_block_merge_implIS3_PlPS5_mZN2at6native12_GLOBAL__N_124unique_dim_cuda_templateIhEESt5tupleIJNSA_6TensorESF_SF_EERKSF_lbbbEUlllE_EE10hipError_tT0_T1_T2_jT3_P12ihipStream_tbPNSt15iterator_traitsISL_E10value_typeEPNSR_ISM_E10value_typeEPSN_NS1_7vsmem_tEENKUlT_SL_SM_SN_E_clIS8_S8_S9_S9_EESK_S10_SL_SM_SN_EUlS10_E1_NS1_11comp_targetILNS1_3genE5ELNS1_11target_archE942ELNS1_3gpuE9ELNS1_3repE0EEENS1_36merge_oddeven_config_static_selectorELNS0_4arch9wavefront6targetE1EEEvSM_,comdat
.Lfunc_end37:
	.size	_ZN7rocprim17ROCPRIM_400000_NS6detail17trampoline_kernelINS0_14default_configENS1_38merge_sort_block_merge_config_selectorIlNS0_10empty_typeEEEZZNS1_27merge_sort_block_merge_implIS3_PlPS5_mZN2at6native12_GLOBAL__N_124unique_dim_cuda_templateIhEESt5tupleIJNSA_6TensorESF_SF_EERKSF_lbbbEUlllE_EE10hipError_tT0_T1_T2_jT3_P12ihipStream_tbPNSt15iterator_traitsISL_E10value_typeEPNSR_ISM_E10value_typeEPSN_NS1_7vsmem_tEENKUlT_SL_SM_SN_E_clIS8_S8_S9_S9_EESK_S10_SL_SM_SN_EUlS10_E1_NS1_11comp_targetILNS1_3genE5ELNS1_11target_archE942ELNS1_3gpuE9ELNS1_3repE0EEENS1_36merge_oddeven_config_static_selectorELNS0_4arch9wavefront6targetE1EEEvSM_, .Lfunc_end37-_ZN7rocprim17ROCPRIM_400000_NS6detail17trampoline_kernelINS0_14default_configENS1_38merge_sort_block_merge_config_selectorIlNS0_10empty_typeEEEZZNS1_27merge_sort_block_merge_implIS3_PlPS5_mZN2at6native12_GLOBAL__N_124unique_dim_cuda_templateIhEESt5tupleIJNSA_6TensorESF_SF_EERKSF_lbbbEUlllE_EE10hipError_tT0_T1_T2_jT3_P12ihipStream_tbPNSt15iterator_traitsISL_E10value_typeEPNSR_ISM_E10value_typeEPSN_NS1_7vsmem_tEENKUlT_SL_SM_SN_E_clIS8_S8_S9_S9_EESK_S10_SL_SM_SN_EUlS10_E1_NS1_11comp_targetILNS1_3genE5ELNS1_11target_archE942ELNS1_3gpuE9ELNS1_3repE0EEENS1_36merge_oddeven_config_static_selectorELNS0_4arch9wavefront6targetE1EEEvSM_
                                        ; -- End function
	.section	.AMDGPU.csdata,"",@progbits
; Kernel info:
; codeLenInByte = 1784
; NumSgprs: 50
; NumVgprs: 19
; NumAgprs: 0
; TotalNumVgprs: 19
; ScratchSize: 0
; MemoryBound: 0
; FloatMode: 240
; IeeeMode: 1
; LDSByteSize: 0 bytes/workgroup (compile time only)
; SGPRBlocks: 6
; VGPRBlocks: 2
; NumSGPRsForWavesPerEU: 50
; NumVGPRsForWavesPerEU: 19
; AccumOffset: 20
; Occupancy: 8
; WaveLimiterHint : 0
; COMPUTE_PGM_RSRC2:SCRATCH_EN: 0
; COMPUTE_PGM_RSRC2:USER_SGPR: 2
; COMPUTE_PGM_RSRC2:TRAP_HANDLER: 0
; COMPUTE_PGM_RSRC2:TGID_X_EN: 1
; COMPUTE_PGM_RSRC2:TGID_Y_EN: 0
; COMPUTE_PGM_RSRC2:TGID_Z_EN: 0
; COMPUTE_PGM_RSRC2:TIDIG_COMP_CNT: 0
; COMPUTE_PGM_RSRC3_GFX90A:ACCUM_OFFSET: 4
; COMPUTE_PGM_RSRC3_GFX90A:TG_SPLIT: 0
	.section	.text._ZN7rocprim17ROCPRIM_400000_NS6detail17trampoline_kernelINS0_14default_configENS1_38merge_sort_block_merge_config_selectorIlNS0_10empty_typeEEEZZNS1_27merge_sort_block_merge_implIS3_PlPS5_mZN2at6native12_GLOBAL__N_124unique_dim_cuda_templateIhEESt5tupleIJNSA_6TensorESF_SF_EERKSF_lbbbEUlllE_EE10hipError_tT0_T1_T2_jT3_P12ihipStream_tbPNSt15iterator_traitsISL_E10value_typeEPNSR_ISM_E10value_typeEPSN_NS1_7vsmem_tEENKUlT_SL_SM_SN_E_clIS8_S8_S9_S9_EESK_S10_SL_SM_SN_EUlS10_E1_NS1_11comp_targetILNS1_3genE4ELNS1_11target_archE910ELNS1_3gpuE8ELNS1_3repE0EEENS1_36merge_oddeven_config_static_selectorELNS0_4arch9wavefront6targetE1EEEvSM_,"axG",@progbits,_ZN7rocprim17ROCPRIM_400000_NS6detail17trampoline_kernelINS0_14default_configENS1_38merge_sort_block_merge_config_selectorIlNS0_10empty_typeEEEZZNS1_27merge_sort_block_merge_implIS3_PlPS5_mZN2at6native12_GLOBAL__N_124unique_dim_cuda_templateIhEESt5tupleIJNSA_6TensorESF_SF_EERKSF_lbbbEUlllE_EE10hipError_tT0_T1_T2_jT3_P12ihipStream_tbPNSt15iterator_traitsISL_E10value_typeEPNSR_ISM_E10value_typeEPSN_NS1_7vsmem_tEENKUlT_SL_SM_SN_E_clIS8_S8_S9_S9_EESK_S10_SL_SM_SN_EUlS10_E1_NS1_11comp_targetILNS1_3genE4ELNS1_11target_archE910ELNS1_3gpuE8ELNS1_3repE0EEENS1_36merge_oddeven_config_static_selectorELNS0_4arch9wavefront6targetE1EEEvSM_,comdat
	.globl	_ZN7rocprim17ROCPRIM_400000_NS6detail17trampoline_kernelINS0_14default_configENS1_38merge_sort_block_merge_config_selectorIlNS0_10empty_typeEEEZZNS1_27merge_sort_block_merge_implIS3_PlPS5_mZN2at6native12_GLOBAL__N_124unique_dim_cuda_templateIhEESt5tupleIJNSA_6TensorESF_SF_EERKSF_lbbbEUlllE_EE10hipError_tT0_T1_T2_jT3_P12ihipStream_tbPNSt15iterator_traitsISL_E10value_typeEPNSR_ISM_E10value_typeEPSN_NS1_7vsmem_tEENKUlT_SL_SM_SN_E_clIS8_S8_S9_S9_EESK_S10_SL_SM_SN_EUlS10_E1_NS1_11comp_targetILNS1_3genE4ELNS1_11target_archE910ELNS1_3gpuE8ELNS1_3repE0EEENS1_36merge_oddeven_config_static_selectorELNS0_4arch9wavefront6targetE1EEEvSM_ ; -- Begin function _ZN7rocprim17ROCPRIM_400000_NS6detail17trampoline_kernelINS0_14default_configENS1_38merge_sort_block_merge_config_selectorIlNS0_10empty_typeEEEZZNS1_27merge_sort_block_merge_implIS3_PlPS5_mZN2at6native12_GLOBAL__N_124unique_dim_cuda_templateIhEESt5tupleIJNSA_6TensorESF_SF_EERKSF_lbbbEUlllE_EE10hipError_tT0_T1_T2_jT3_P12ihipStream_tbPNSt15iterator_traitsISL_E10value_typeEPNSR_ISM_E10value_typeEPSN_NS1_7vsmem_tEENKUlT_SL_SM_SN_E_clIS8_S8_S9_S9_EESK_S10_SL_SM_SN_EUlS10_E1_NS1_11comp_targetILNS1_3genE4ELNS1_11target_archE910ELNS1_3gpuE8ELNS1_3repE0EEENS1_36merge_oddeven_config_static_selectorELNS0_4arch9wavefront6targetE1EEEvSM_
	.p2align	8
	.type	_ZN7rocprim17ROCPRIM_400000_NS6detail17trampoline_kernelINS0_14default_configENS1_38merge_sort_block_merge_config_selectorIlNS0_10empty_typeEEEZZNS1_27merge_sort_block_merge_implIS3_PlPS5_mZN2at6native12_GLOBAL__N_124unique_dim_cuda_templateIhEESt5tupleIJNSA_6TensorESF_SF_EERKSF_lbbbEUlllE_EE10hipError_tT0_T1_T2_jT3_P12ihipStream_tbPNSt15iterator_traitsISL_E10value_typeEPNSR_ISM_E10value_typeEPSN_NS1_7vsmem_tEENKUlT_SL_SM_SN_E_clIS8_S8_S9_S9_EESK_S10_SL_SM_SN_EUlS10_E1_NS1_11comp_targetILNS1_3genE4ELNS1_11target_archE910ELNS1_3gpuE8ELNS1_3repE0EEENS1_36merge_oddeven_config_static_selectorELNS0_4arch9wavefront6targetE1EEEvSM_,@function
_ZN7rocprim17ROCPRIM_400000_NS6detail17trampoline_kernelINS0_14default_configENS1_38merge_sort_block_merge_config_selectorIlNS0_10empty_typeEEEZZNS1_27merge_sort_block_merge_implIS3_PlPS5_mZN2at6native12_GLOBAL__N_124unique_dim_cuda_templateIhEESt5tupleIJNSA_6TensorESF_SF_EERKSF_lbbbEUlllE_EE10hipError_tT0_T1_T2_jT3_P12ihipStream_tbPNSt15iterator_traitsISL_E10value_typeEPNSR_ISM_E10value_typeEPSN_NS1_7vsmem_tEENKUlT_SL_SM_SN_E_clIS8_S8_S9_S9_EESK_S10_SL_SM_SN_EUlS10_E1_NS1_11comp_targetILNS1_3genE4ELNS1_11target_archE910ELNS1_3gpuE8ELNS1_3repE0EEENS1_36merge_oddeven_config_static_selectorELNS0_4arch9wavefront6targetE1EEEvSM_: ; @_ZN7rocprim17ROCPRIM_400000_NS6detail17trampoline_kernelINS0_14default_configENS1_38merge_sort_block_merge_config_selectorIlNS0_10empty_typeEEEZZNS1_27merge_sort_block_merge_implIS3_PlPS5_mZN2at6native12_GLOBAL__N_124unique_dim_cuda_templateIhEESt5tupleIJNSA_6TensorESF_SF_EERKSF_lbbbEUlllE_EE10hipError_tT0_T1_T2_jT3_P12ihipStream_tbPNSt15iterator_traitsISL_E10value_typeEPNSR_ISM_E10value_typeEPSN_NS1_7vsmem_tEENKUlT_SL_SM_SN_E_clIS8_S8_S9_S9_EESK_S10_SL_SM_SN_EUlS10_E1_NS1_11comp_targetILNS1_3genE4ELNS1_11target_archE910ELNS1_3gpuE8ELNS1_3repE0EEENS1_36merge_oddeven_config_static_selectorELNS0_4arch9wavefront6targetE1EEEvSM_
; %bb.0:
	.section	.rodata,"a",@progbits
	.p2align	6, 0x0
	.amdhsa_kernel _ZN7rocprim17ROCPRIM_400000_NS6detail17trampoline_kernelINS0_14default_configENS1_38merge_sort_block_merge_config_selectorIlNS0_10empty_typeEEEZZNS1_27merge_sort_block_merge_implIS3_PlPS5_mZN2at6native12_GLOBAL__N_124unique_dim_cuda_templateIhEESt5tupleIJNSA_6TensorESF_SF_EERKSF_lbbbEUlllE_EE10hipError_tT0_T1_T2_jT3_P12ihipStream_tbPNSt15iterator_traitsISL_E10value_typeEPNSR_ISM_E10value_typeEPSN_NS1_7vsmem_tEENKUlT_SL_SM_SN_E_clIS8_S8_S9_S9_EESK_S10_SL_SM_SN_EUlS10_E1_NS1_11comp_targetILNS1_3genE4ELNS1_11target_archE910ELNS1_3gpuE8ELNS1_3repE0EEENS1_36merge_oddeven_config_static_selectorELNS0_4arch9wavefront6targetE1EEEvSM_
		.amdhsa_group_segment_fixed_size 0
		.amdhsa_private_segment_fixed_size 0
		.amdhsa_kernarg_size 64
		.amdhsa_user_sgpr_count 2
		.amdhsa_user_sgpr_dispatch_ptr 0
		.amdhsa_user_sgpr_queue_ptr 0
		.amdhsa_user_sgpr_kernarg_segment_ptr 1
		.amdhsa_user_sgpr_dispatch_id 0
		.amdhsa_user_sgpr_kernarg_preload_length 0
		.amdhsa_user_sgpr_kernarg_preload_offset 0
		.amdhsa_user_sgpr_private_segment_size 0
		.amdhsa_uses_dynamic_stack 0
		.amdhsa_enable_private_segment 0
		.amdhsa_system_sgpr_workgroup_id_x 1
		.amdhsa_system_sgpr_workgroup_id_y 0
		.amdhsa_system_sgpr_workgroup_id_z 0
		.amdhsa_system_sgpr_workgroup_info 0
		.amdhsa_system_vgpr_workitem_id 0
		.amdhsa_next_free_vgpr 1
		.amdhsa_next_free_sgpr 0
		.amdhsa_accum_offset 4
		.amdhsa_reserve_vcc 0
		.amdhsa_float_round_mode_32 0
		.amdhsa_float_round_mode_16_64 0
		.amdhsa_float_denorm_mode_32 3
		.amdhsa_float_denorm_mode_16_64 3
		.amdhsa_dx10_clamp 1
		.amdhsa_ieee_mode 1
		.amdhsa_fp16_overflow 0
		.amdhsa_tg_split 0
		.amdhsa_exception_fp_ieee_invalid_op 0
		.amdhsa_exception_fp_denorm_src 0
		.amdhsa_exception_fp_ieee_div_zero 0
		.amdhsa_exception_fp_ieee_overflow 0
		.amdhsa_exception_fp_ieee_underflow 0
		.amdhsa_exception_fp_ieee_inexact 0
		.amdhsa_exception_int_div_zero 0
	.end_amdhsa_kernel
	.section	.text._ZN7rocprim17ROCPRIM_400000_NS6detail17trampoline_kernelINS0_14default_configENS1_38merge_sort_block_merge_config_selectorIlNS0_10empty_typeEEEZZNS1_27merge_sort_block_merge_implIS3_PlPS5_mZN2at6native12_GLOBAL__N_124unique_dim_cuda_templateIhEESt5tupleIJNSA_6TensorESF_SF_EERKSF_lbbbEUlllE_EE10hipError_tT0_T1_T2_jT3_P12ihipStream_tbPNSt15iterator_traitsISL_E10value_typeEPNSR_ISM_E10value_typeEPSN_NS1_7vsmem_tEENKUlT_SL_SM_SN_E_clIS8_S8_S9_S9_EESK_S10_SL_SM_SN_EUlS10_E1_NS1_11comp_targetILNS1_3genE4ELNS1_11target_archE910ELNS1_3gpuE8ELNS1_3repE0EEENS1_36merge_oddeven_config_static_selectorELNS0_4arch9wavefront6targetE1EEEvSM_,"axG",@progbits,_ZN7rocprim17ROCPRIM_400000_NS6detail17trampoline_kernelINS0_14default_configENS1_38merge_sort_block_merge_config_selectorIlNS0_10empty_typeEEEZZNS1_27merge_sort_block_merge_implIS3_PlPS5_mZN2at6native12_GLOBAL__N_124unique_dim_cuda_templateIhEESt5tupleIJNSA_6TensorESF_SF_EERKSF_lbbbEUlllE_EE10hipError_tT0_T1_T2_jT3_P12ihipStream_tbPNSt15iterator_traitsISL_E10value_typeEPNSR_ISM_E10value_typeEPSN_NS1_7vsmem_tEENKUlT_SL_SM_SN_E_clIS8_S8_S9_S9_EESK_S10_SL_SM_SN_EUlS10_E1_NS1_11comp_targetILNS1_3genE4ELNS1_11target_archE910ELNS1_3gpuE8ELNS1_3repE0EEENS1_36merge_oddeven_config_static_selectorELNS0_4arch9wavefront6targetE1EEEvSM_,comdat
.Lfunc_end38:
	.size	_ZN7rocprim17ROCPRIM_400000_NS6detail17trampoline_kernelINS0_14default_configENS1_38merge_sort_block_merge_config_selectorIlNS0_10empty_typeEEEZZNS1_27merge_sort_block_merge_implIS3_PlPS5_mZN2at6native12_GLOBAL__N_124unique_dim_cuda_templateIhEESt5tupleIJNSA_6TensorESF_SF_EERKSF_lbbbEUlllE_EE10hipError_tT0_T1_T2_jT3_P12ihipStream_tbPNSt15iterator_traitsISL_E10value_typeEPNSR_ISM_E10value_typeEPSN_NS1_7vsmem_tEENKUlT_SL_SM_SN_E_clIS8_S8_S9_S9_EESK_S10_SL_SM_SN_EUlS10_E1_NS1_11comp_targetILNS1_3genE4ELNS1_11target_archE910ELNS1_3gpuE8ELNS1_3repE0EEENS1_36merge_oddeven_config_static_selectorELNS0_4arch9wavefront6targetE1EEEvSM_, .Lfunc_end38-_ZN7rocprim17ROCPRIM_400000_NS6detail17trampoline_kernelINS0_14default_configENS1_38merge_sort_block_merge_config_selectorIlNS0_10empty_typeEEEZZNS1_27merge_sort_block_merge_implIS3_PlPS5_mZN2at6native12_GLOBAL__N_124unique_dim_cuda_templateIhEESt5tupleIJNSA_6TensorESF_SF_EERKSF_lbbbEUlllE_EE10hipError_tT0_T1_T2_jT3_P12ihipStream_tbPNSt15iterator_traitsISL_E10value_typeEPNSR_ISM_E10value_typeEPSN_NS1_7vsmem_tEENKUlT_SL_SM_SN_E_clIS8_S8_S9_S9_EESK_S10_SL_SM_SN_EUlS10_E1_NS1_11comp_targetILNS1_3genE4ELNS1_11target_archE910ELNS1_3gpuE8ELNS1_3repE0EEENS1_36merge_oddeven_config_static_selectorELNS0_4arch9wavefront6targetE1EEEvSM_
                                        ; -- End function
	.section	.AMDGPU.csdata,"",@progbits
; Kernel info:
; codeLenInByte = 0
; NumSgprs: 6
; NumVgprs: 0
; NumAgprs: 0
; TotalNumVgprs: 0
; ScratchSize: 0
; MemoryBound: 0
; FloatMode: 240
; IeeeMode: 1
; LDSByteSize: 0 bytes/workgroup (compile time only)
; SGPRBlocks: 0
; VGPRBlocks: 0
; NumSGPRsForWavesPerEU: 6
; NumVGPRsForWavesPerEU: 1
; AccumOffset: 4
; Occupancy: 8
; WaveLimiterHint : 0
; COMPUTE_PGM_RSRC2:SCRATCH_EN: 0
; COMPUTE_PGM_RSRC2:USER_SGPR: 2
; COMPUTE_PGM_RSRC2:TRAP_HANDLER: 0
; COMPUTE_PGM_RSRC2:TGID_X_EN: 1
; COMPUTE_PGM_RSRC2:TGID_Y_EN: 0
; COMPUTE_PGM_RSRC2:TGID_Z_EN: 0
; COMPUTE_PGM_RSRC2:TIDIG_COMP_CNT: 0
; COMPUTE_PGM_RSRC3_GFX90A:ACCUM_OFFSET: 0
; COMPUTE_PGM_RSRC3_GFX90A:TG_SPLIT: 0
	.section	.text._ZN7rocprim17ROCPRIM_400000_NS6detail17trampoline_kernelINS0_14default_configENS1_38merge_sort_block_merge_config_selectorIlNS0_10empty_typeEEEZZNS1_27merge_sort_block_merge_implIS3_PlPS5_mZN2at6native12_GLOBAL__N_124unique_dim_cuda_templateIhEESt5tupleIJNSA_6TensorESF_SF_EERKSF_lbbbEUlllE_EE10hipError_tT0_T1_T2_jT3_P12ihipStream_tbPNSt15iterator_traitsISL_E10value_typeEPNSR_ISM_E10value_typeEPSN_NS1_7vsmem_tEENKUlT_SL_SM_SN_E_clIS8_S8_S9_S9_EESK_S10_SL_SM_SN_EUlS10_E1_NS1_11comp_targetILNS1_3genE3ELNS1_11target_archE908ELNS1_3gpuE7ELNS1_3repE0EEENS1_36merge_oddeven_config_static_selectorELNS0_4arch9wavefront6targetE1EEEvSM_,"axG",@progbits,_ZN7rocprim17ROCPRIM_400000_NS6detail17trampoline_kernelINS0_14default_configENS1_38merge_sort_block_merge_config_selectorIlNS0_10empty_typeEEEZZNS1_27merge_sort_block_merge_implIS3_PlPS5_mZN2at6native12_GLOBAL__N_124unique_dim_cuda_templateIhEESt5tupleIJNSA_6TensorESF_SF_EERKSF_lbbbEUlllE_EE10hipError_tT0_T1_T2_jT3_P12ihipStream_tbPNSt15iterator_traitsISL_E10value_typeEPNSR_ISM_E10value_typeEPSN_NS1_7vsmem_tEENKUlT_SL_SM_SN_E_clIS8_S8_S9_S9_EESK_S10_SL_SM_SN_EUlS10_E1_NS1_11comp_targetILNS1_3genE3ELNS1_11target_archE908ELNS1_3gpuE7ELNS1_3repE0EEENS1_36merge_oddeven_config_static_selectorELNS0_4arch9wavefront6targetE1EEEvSM_,comdat
	.globl	_ZN7rocprim17ROCPRIM_400000_NS6detail17trampoline_kernelINS0_14default_configENS1_38merge_sort_block_merge_config_selectorIlNS0_10empty_typeEEEZZNS1_27merge_sort_block_merge_implIS3_PlPS5_mZN2at6native12_GLOBAL__N_124unique_dim_cuda_templateIhEESt5tupleIJNSA_6TensorESF_SF_EERKSF_lbbbEUlllE_EE10hipError_tT0_T1_T2_jT3_P12ihipStream_tbPNSt15iterator_traitsISL_E10value_typeEPNSR_ISM_E10value_typeEPSN_NS1_7vsmem_tEENKUlT_SL_SM_SN_E_clIS8_S8_S9_S9_EESK_S10_SL_SM_SN_EUlS10_E1_NS1_11comp_targetILNS1_3genE3ELNS1_11target_archE908ELNS1_3gpuE7ELNS1_3repE0EEENS1_36merge_oddeven_config_static_selectorELNS0_4arch9wavefront6targetE1EEEvSM_ ; -- Begin function _ZN7rocprim17ROCPRIM_400000_NS6detail17trampoline_kernelINS0_14default_configENS1_38merge_sort_block_merge_config_selectorIlNS0_10empty_typeEEEZZNS1_27merge_sort_block_merge_implIS3_PlPS5_mZN2at6native12_GLOBAL__N_124unique_dim_cuda_templateIhEESt5tupleIJNSA_6TensorESF_SF_EERKSF_lbbbEUlllE_EE10hipError_tT0_T1_T2_jT3_P12ihipStream_tbPNSt15iterator_traitsISL_E10value_typeEPNSR_ISM_E10value_typeEPSN_NS1_7vsmem_tEENKUlT_SL_SM_SN_E_clIS8_S8_S9_S9_EESK_S10_SL_SM_SN_EUlS10_E1_NS1_11comp_targetILNS1_3genE3ELNS1_11target_archE908ELNS1_3gpuE7ELNS1_3repE0EEENS1_36merge_oddeven_config_static_selectorELNS0_4arch9wavefront6targetE1EEEvSM_
	.p2align	8
	.type	_ZN7rocprim17ROCPRIM_400000_NS6detail17trampoline_kernelINS0_14default_configENS1_38merge_sort_block_merge_config_selectorIlNS0_10empty_typeEEEZZNS1_27merge_sort_block_merge_implIS3_PlPS5_mZN2at6native12_GLOBAL__N_124unique_dim_cuda_templateIhEESt5tupleIJNSA_6TensorESF_SF_EERKSF_lbbbEUlllE_EE10hipError_tT0_T1_T2_jT3_P12ihipStream_tbPNSt15iterator_traitsISL_E10value_typeEPNSR_ISM_E10value_typeEPSN_NS1_7vsmem_tEENKUlT_SL_SM_SN_E_clIS8_S8_S9_S9_EESK_S10_SL_SM_SN_EUlS10_E1_NS1_11comp_targetILNS1_3genE3ELNS1_11target_archE908ELNS1_3gpuE7ELNS1_3repE0EEENS1_36merge_oddeven_config_static_selectorELNS0_4arch9wavefront6targetE1EEEvSM_,@function
_ZN7rocprim17ROCPRIM_400000_NS6detail17trampoline_kernelINS0_14default_configENS1_38merge_sort_block_merge_config_selectorIlNS0_10empty_typeEEEZZNS1_27merge_sort_block_merge_implIS3_PlPS5_mZN2at6native12_GLOBAL__N_124unique_dim_cuda_templateIhEESt5tupleIJNSA_6TensorESF_SF_EERKSF_lbbbEUlllE_EE10hipError_tT0_T1_T2_jT3_P12ihipStream_tbPNSt15iterator_traitsISL_E10value_typeEPNSR_ISM_E10value_typeEPSN_NS1_7vsmem_tEENKUlT_SL_SM_SN_E_clIS8_S8_S9_S9_EESK_S10_SL_SM_SN_EUlS10_E1_NS1_11comp_targetILNS1_3genE3ELNS1_11target_archE908ELNS1_3gpuE7ELNS1_3repE0EEENS1_36merge_oddeven_config_static_selectorELNS0_4arch9wavefront6targetE1EEEvSM_: ; @_ZN7rocprim17ROCPRIM_400000_NS6detail17trampoline_kernelINS0_14default_configENS1_38merge_sort_block_merge_config_selectorIlNS0_10empty_typeEEEZZNS1_27merge_sort_block_merge_implIS3_PlPS5_mZN2at6native12_GLOBAL__N_124unique_dim_cuda_templateIhEESt5tupleIJNSA_6TensorESF_SF_EERKSF_lbbbEUlllE_EE10hipError_tT0_T1_T2_jT3_P12ihipStream_tbPNSt15iterator_traitsISL_E10value_typeEPNSR_ISM_E10value_typeEPSN_NS1_7vsmem_tEENKUlT_SL_SM_SN_E_clIS8_S8_S9_S9_EESK_S10_SL_SM_SN_EUlS10_E1_NS1_11comp_targetILNS1_3genE3ELNS1_11target_archE908ELNS1_3gpuE7ELNS1_3repE0EEENS1_36merge_oddeven_config_static_selectorELNS0_4arch9wavefront6targetE1EEEvSM_
; %bb.0:
	.section	.rodata,"a",@progbits
	.p2align	6, 0x0
	.amdhsa_kernel _ZN7rocprim17ROCPRIM_400000_NS6detail17trampoline_kernelINS0_14default_configENS1_38merge_sort_block_merge_config_selectorIlNS0_10empty_typeEEEZZNS1_27merge_sort_block_merge_implIS3_PlPS5_mZN2at6native12_GLOBAL__N_124unique_dim_cuda_templateIhEESt5tupleIJNSA_6TensorESF_SF_EERKSF_lbbbEUlllE_EE10hipError_tT0_T1_T2_jT3_P12ihipStream_tbPNSt15iterator_traitsISL_E10value_typeEPNSR_ISM_E10value_typeEPSN_NS1_7vsmem_tEENKUlT_SL_SM_SN_E_clIS8_S8_S9_S9_EESK_S10_SL_SM_SN_EUlS10_E1_NS1_11comp_targetILNS1_3genE3ELNS1_11target_archE908ELNS1_3gpuE7ELNS1_3repE0EEENS1_36merge_oddeven_config_static_selectorELNS0_4arch9wavefront6targetE1EEEvSM_
		.amdhsa_group_segment_fixed_size 0
		.amdhsa_private_segment_fixed_size 0
		.amdhsa_kernarg_size 64
		.amdhsa_user_sgpr_count 2
		.amdhsa_user_sgpr_dispatch_ptr 0
		.amdhsa_user_sgpr_queue_ptr 0
		.amdhsa_user_sgpr_kernarg_segment_ptr 1
		.amdhsa_user_sgpr_dispatch_id 0
		.amdhsa_user_sgpr_kernarg_preload_length 0
		.amdhsa_user_sgpr_kernarg_preload_offset 0
		.amdhsa_user_sgpr_private_segment_size 0
		.amdhsa_uses_dynamic_stack 0
		.amdhsa_enable_private_segment 0
		.amdhsa_system_sgpr_workgroup_id_x 1
		.amdhsa_system_sgpr_workgroup_id_y 0
		.amdhsa_system_sgpr_workgroup_id_z 0
		.amdhsa_system_sgpr_workgroup_info 0
		.amdhsa_system_vgpr_workitem_id 0
		.amdhsa_next_free_vgpr 1
		.amdhsa_next_free_sgpr 0
		.amdhsa_accum_offset 4
		.amdhsa_reserve_vcc 0
		.amdhsa_float_round_mode_32 0
		.amdhsa_float_round_mode_16_64 0
		.amdhsa_float_denorm_mode_32 3
		.amdhsa_float_denorm_mode_16_64 3
		.amdhsa_dx10_clamp 1
		.amdhsa_ieee_mode 1
		.amdhsa_fp16_overflow 0
		.amdhsa_tg_split 0
		.amdhsa_exception_fp_ieee_invalid_op 0
		.amdhsa_exception_fp_denorm_src 0
		.amdhsa_exception_fp_ieee_div_zero 0
		.amdhsa_exception_fp_ieee_overflow 0
		.amdhsa_exception_fp_ieee_underflow 0
		.amdhsa_exception_fp_ieee_inexact 0
		.amdhsa_exception_int_div_zero 0
	.end_amdhsa_kernel
	.section	.text._ZN7rocprim17ROCPRIM_400000_NS6detail17trampoline_kernelINS0_14default_configENS1_38merge_sort_block_merge_config_selectorIlNS0_10empty_typeEEEZZNS1_27merge_sort_block_merge_implIS3_PlPS5_mZN2at6native12_GLOBAL__N_124unique_dim_cuda_templateIhEESt5tupleIJNSA_6TensorESF_SF_EERKSF_lbbbEUlllE_EE10hipError_tT0_T1_T2_jT3_P12ihipStream_tbPNSt15iterator_traitsISL_E10value_typeEPNSR_ISM_E10value_typeEPSN_NS1_7vsmem_tEENKUlT_SL_SM_SN_E_clIS8_S8_S9_S9_EESK_S10_SL_SM_SN_EUlS10_E1_NS1_11comp_targetILNS1_3genE3ELNS1_11target_archE908ELNS1_3gpuE7ELNS1_3repE0EEENS1_36merge_oddeven_config_static_selectorELNS0_4arch9wavefront6targetE1EEEvSM_,"axG",@progbits,_ZN7rocprim17ROCPRIM_400000_NS6detail17trampoline_kernelINS0_14default_configENS1_38merge_sort_block_merge_config_selectorIlNS0_10empty_typeEEEZZNS1_27merge_sort_block_merge_implIS3_PlPS5_mZN2at6native12_GLOBAL__N_124unique_dim_cuda_templateIhEESt5tupleIJNSA_6TensorESF_SF_EERKSF_lbbbEUlllE_EE10hipError_tT0_T1_T2_jT3_P12ihipStream_tbPNSt15iterator_traitsISL_E10value_typeEPNSR_ISM_E10value_typeEPSN_NS1_7vsmem_tEENKUlT_SL_SM_SN_E_clIS8_S8_S9_S9_EESK_S10_SL_SM_SN_EUlS10_E1_NS1_11comp_targetILNS1_3genE3ELNS1_11target_archE908ELNS1_3gpuE7ELNS1_3repE0EEENS1_36merge_oddeven_config_static_selectorELNS0_4arch9wavefront6targetE1EEEvSM_,comdat
.Lfunc_end39:
	.size	_ZN7rocprim17ROCPRIM_400000_NS6detail17trampoline_kernelINS0_14default_configENS1_38merge_sort_block_merge_config_selectorIlNS0_10empty_typeEEEZZNS1_27merge_sort_block_merge_implIS3_PlPS5_mZN2at6native12_GLOBAL__N_124unique_dim_cuda_templateIhEESt5tupleIJNSA_6TensorESF_SF_EERKSF_lbbbEUlllE_EE10hipError_tT0_T1_T2_jT3_P12ihipStream_tbPNSt15iterator_traitsISL_E10value_typeEPNSR_ISM_E10value_typeEPSN_NS1_7vsmem_tEENKUlT_SL_SM_SN_E_clIS8_S8_S9_S9_EESK_S10_SL_SM_SN_EUlS10_E1_NS1_11comp_targetILNS1_3genE3ELNS1_11target_archE908ELNS1_3gpuE7ELNS1_3repE0EEENS1_36merge_oddeven_config_static_selectorELNS0_4arch9wavefront6targetE1EEEvSM_, .Lfunc_end39-_ZN7rocprim17ROCPRIM_400000_NS6detail17trampoline_kernelINS0_14default_configENS1_38merge_sort_block_merge_config_selectorIlNS0_10empty_typeEEEZZNS1_27merge_sort_block_merge_implIS3_PlPS5_mZN2at6native12_GLOBAL__N_124unique_dim_cuda_templateIhEESt5tupleIJNSA_6TensorESF_SF_EERKSF_lbbbEUlllE_EE10hipError_tT0_T1_T2_jT3_P12ihipStream_tbPNSt15iterator_traitsISL_E10value_typeEPNSR_ISM_E10value_typeEPSN_NS1_7vsmem_tEENKUlT_SL_SM_SN_E_clIS8_S8_S9_S9_EESK_S10_SL_SM_SN_EUlS10_E1_NS1_11comp_targetILNS1_3genE3ELNS1_11target_archE908ELNS1_3gpuE7ELNS1_3repE0EEENS1_36merge_oddeven_config_static_selectorELNS0_4arch9wavefront6targetE1EEEvSM_
                                        ; -- End function
	.section	.AMDGPU.csdata,"",@progbits
; Kernel info:
; codeLenInByte = 0
; NumSgprs: 6
; NumVgprs: 0
; NumAgprs: 0
; TotalNumVgprs: 0
; ScratchSize: 0
; MemoryBound: 0
; FloatMode: 240
; IeeeMode: 1
; LDSByteSize: 0 bytes/workgroup (compile time only)
; SGPRBlocks: 0
; VGPRBlocks: 0
; NumSGPRsForWavesPerEU: 6
; NumVGPRsForWavesPerEU: 1
; AccumOffset: 4
; Occupancy: 8
; WaveLimiterHint : 0
; COMPUTE_PGM_RSRC2:SCRATCH_EN: 0
; COMPUTE_PGM_RSRC2:USER_SGPR: 2
; COMPUTE_PGM_RSRC2:TRAP_HANDLER: 0
; COMPUTE_PGM_RSRC2:TGID_X_EN: 1
; COMPUTE_PGM_RSRC2:TGID_Y_EN: 0
; COMPUTE_PGM_RSRC2:TGID_Z_EN: 0
; COMPUTE_PGM_RSRC2:TIDIG_COMP_CNT: 0
; COMPUTE_PGM_RSRC3_GFX90A:ACCUM_OFFSET: 0
; COMPUTE_PGM_RSRC3_GFX90A:TG_SPLIT: 0
	.section	.text._ZN7rocprim17ROCPRIM_400000_NS6detail17trampoline_kernelINS0_14default_configENS1_38merge_sort_block_merge_config_selectorIlNS0_10empty_typeEEEZZNS1_27merge_sort_block_merge_implIS3_PlPS5_mZN2at6native12_GLOBAL__N_124unique_dim_cuda_templateIhEESt5tupleIJNSA_6TensorESF_SF_EERKSF_lbbbEUlllE_EE10hipError_tT0_T1_T2_jT3_P12ihipStream_tbPNSt15iterator_traitsISL_E10value_typeEPNSR_ISM_E10value_typeEPSN_NS1_7vsmem_tEENKUlT_SL_SM_SN_E_clIS8_S8_S9_S9_EESK_S10_SL_SM_SN_EUlS10_E1_NS1_11comp_targetILNS1_3genE2ELNS1_11target_archE906ELNS1_3gpuE6ELNS1_3repE0EEENS1_36merge_oddeven_config_static_selectorELNS0_4arch9wavefront6targetE1EEEvSM_,"axG",@progbits,_ZN7rocprim17ROCPRIM_400000_NS6detail17trampoline_kernelINS0_14default_configENS1_38merge_sort_block_merge_config_selectorIlNS0_10empty_typeEEEZZNS1_27merge_sort_block_merge_implIS3_PlPS5_mZN2at6native12_GLOBAL__N_124unique_dim_cuda_templateIhEESt5tupleIJNSA_6TensorESF_SF_EERKSF_lbbbEUlllE_EE10hipError_tT0_T1_T2_jT3_P12ihipStream_tbPNSt15iterator_traitsISL_E10value_typeEPNSR_ISM_E10value_typeEPSN_NS1_7vsmem_tEENKUlT_SL_SM_SN_E_clIS8_S8_S9_S9_EESK_S10_SL_SM_SN_EUlS10_E1_NS1_11comp_targetILNS1_3genE2ELNS1_11target_archE906ELNS1_3gpuE6ELNS1_3repE0EEENS1_36merge_oddeven_config_static_selectorELNS0_4arch9wavefront6targetE1EEEvSM_,comdat
	.globl	_ZN7rocprim17ROCPRIM_400000_NS6detail17trampoline_kernelINS0_14default_configENS1_38merge_sort_block_merge_config_selectorIlNS0_10empty_typeEEEZZNS1_27merge_sort_block_merge_implIS3_PlPS5_mZN2at6native12_GLOBAL__N_124unique_dim_cuda_templateIhEESt5tupleIJNSA_6TensorESF_SF_EERKSF_lbbbEUlllE_EE10hipError_tT0_T1_T2_jT3_P12ihipStream_tbPNSt15iterator_traitsISL_E10value_typeEPNSR_ISM_E10value_typeEPSN_NS1_7vsmem_tEENKUlT_SL_SM_SN_E_clIS8_S8_S9_S9_EESK_S10_SL_SM_SN_EUlS10_E1_NS1_11comp_targetILNS1_3genE2ELNS1_11target_archE906ELNS1_3gpuE6ELNS1_3repE0EEENS1_36merge_oddeven_config_static_selectorELNS0_4arch9wavefront6targetE1EEEvSM_ ; -- Begin function _ZN7rocprim17ROCPRIM_400000_NS6detail17trampoline_kernelINS0_14default_configENS1_38merge_sort_block_merge_config_selectorIlNS0_10empty_typeEEEZZNS1_27merge_sort_block_merge_implIS3_PlPS5_mZN2at6native12_GLOBAL__N_124unique_dim_cuda_templateIhEESt5tupleIJNSA_6TensorESF_SF_EERKSF_lbbbEUlllE_EE10hipError_tT0_T1_T2_jT3_P12ihipStream_tbPNSt15iterator_traitsISL_E10value_typeEPNSR_ISM_E10value_typeEPSN_NS1_7vsmem_tEENKUlT_SL_SM_SN_E_clIS8_S8_S9_S9_EESK_S10_SL_SM_SN_EUlS10_E1_NS1_11comp_targetILNS1_3genE2ELNS1_11target_archE906ELNS1_3gpuE6ELNS1_3repE0EEENS1_36merge_oddeven_config_static_selectorELNS0_4arch9wavefront6targetE1EEEvSM_
	.p2align	8
	.type	_ZN7rocprim17ROCPRIM_400000_NS6detail17trampoline_kernelINS0_14default_configENS1_38merge_sort_block_merge_config_selectorIlNS0_10empty_typeEEEZZNS1_27merge_sort_block_merge_implIS3_PlPS5_mZN2at6native12_GLOBAL__N_124unique_dim_cuda_templateIhEESt5tupleIJNSA_6TensorESF_SF_EERKSF_lbbbEUlllE_EE10hipError_tT0_T1_T2_jT3_P12ihipStream_tbPNSt15iterator_traitsISL_E10value_typeEPNSR_ISM_E10value_typeEPSN_NS1_7vsmem_tEENKUlT_SL_SM_SN_E_clIS8_S8_S9_S9_EESK_S10_SL_SM_SN_EUlS10_E1_NS1_11comp_targetILNS1_3genE2ELNS1_11target_archE906ELNS1_3gpuE6ELNS1_3repE0EEENS1_36merge_oddeven_config_static_selectorELNS0_4arch9wavefront6targetE1EEEvSM_,@function
_ZN7rocprim17ROCPRIM_400000_NS6detail17trampoline_kernelINS0_14default_configENS1_38merge_sort_block_merge_config_selectorIlNS0_10empty_typeEEEZZNS1_27merge_sort_block_merge_implIS3_PlPS5_mZN2at6native12_GLOBAL__N_124unique_dim_cuda_templateIhEESt5tupleIJNSA_6TensorESF_SF_EERKSF_lbbbEUlllE_EE10hipError_tT0_T1_T2_jT3_P12ihipStream_tbPNSt15iterator_traitsISL_E10value_typeEPNSR_ISM_E10value_typeEPSN_NS1_7vsmem_tEENKUlT_SL_SM_SN_E_clIS8_S8_S9_S9_EESK_S10_SL_SM_SN_EUlS10_E1_NS1_11comp_targetILNS1_3genE2ELNS1_11target_archE906ELNS1_3gpuE6ELNS1_3repE0EEENS1_36merge_oddeven_config_static_selectorELNS0_4arch9wavefront6targetE1EEEvSM_: ; @_ZN7rocprim17ROCPRIM_400000_NS6detail17trampoline_kernelINS0_14default_configENS1_38merge_sort_block_merge_config_selectorIlNS0_10empty_typeEEEZZNS1_27merge_sort_block_merge_implIS3_PlPS5_mZN2at6native12_GLOBAL__N_124unique_dim_cuda_templateIhEESt5tupleIJNSA_6TensorESF_SF_EERKSF_lbbbEUlllE_EE10hipError_tT0_T1_T2_jT3_P12ihipStream_tbPNSt15iterator_traitsISL_E10value_typeEPNSR_ISM_E10value_typeEPSN_NS1_7vsmem_tEENKUlT_SL_SM_SN_E_clIS8_S8_S9_S9_EESK_S10_SL_SM_SN_EUlS10_E1_NS1_11comp_targetILNS1_3genE2ELNS1_11target_archE906ELNS1_3gpuE6ELNS1_3repE0EEENS1_36merge_oddeven_config_static_selectorELNS0_4arch9wavefront6targetE1EEEvSM_
; %bb.0:
	.section	.rodata,"a",@progbits
	.p2align	6, 0x0
	.amdhsa_kernel _ZN7rocprim17ROCPRIM_400000_NS6detail17trampoline_kernelINS0_14default_configENS1_38merge_sort_block_merge_config_selectorIlNS0_10empty_typeEEEZZNS1_27merge_sort_block_merge_implIS3_PlPS5_mZN2at6native12_GLOBAL__N_124unique_dim_cuda_templateIhEESt5tupleIJNSA_6TensorESF_SF_EERKSF_lbbbEUlllE_EE10hipError_tT0_T1_T2_jT3_P12ihipStream_tbPNSt15iterator_traitsISL_E10value_typeEPNSR_ISM_E10value_typeEPSN_NS1_7vsmem_tEENKUlT_SL_SM_SN_E_clIS8_S8_S9_S9_EESK_S10_SL_SM_SN_EUlS10_E1_NS1_11comp_targetILNS1_3genE2ELNS1_11target_archE906ELNS1_3gpuE6ELNS1_3repE0EEENS1_36merge_oddeven_config_static_selectorELNS0_4arch9wavefront6targetE1EEEvSM_
		.amdhsa_group_segment_fixed_size 0
		.amdhsa_private_segment_fixed_size 0
		.amdhsa_kernarg_size 64
		.amdhsa_user_sgpr_count 2
		.amdhsa_user_sgpr_dispatch_ptr 0
		.amdhsa_user_sgpr_queue_ptr 0
		.amdhsa_user_sgpr_kernarg_segment_ptr 1
		.amdhsa_user_sgpr_dispatch_id 0
		.amdhsa_user_sgpr_kernarg_preload_length 0
		.amdhsa_user_sgpr_kernarg_preload_offset 0
		.amdhsa_user_sgpr_private_segment_size 0
		.amdhsa_uses_dynamic_stack 0
		.amdhsa_enable_private_segment 0
		.amdhsa_system_sgpr_workgroup_id_x 1
		.amdhsa_system_sgpr_workgroup_id_y 0
		.amdhsa_system_sgpr_workgroup_id_z 0
		.amdhsa_system_sgpr_workgroup_info 0
		.amdhsa_system_vgpr_workitem_id 0
		.amdhsa_next_free_vgpr 1
		.amdhsa_next_free_sgpr 0
		.amdhsa_accum_offset 4
		.amdhsa_reserve_vcc 0
		.amdhsa_float_round_mode_32 0
		.amdhsa_float_round_mode_16_64 0
		.amdhsa_float_denorm_mode_32 3
		.amdhsa_float_denorm_mode_16_64 3
		.amdhsa_dx10_clamp 1
		.amdhsa_ieee_mode 1
		.amdhsa_fp16_overflow 0
		.amdhsa_tg_split 0
		.amdhsa_exception_fp_ieee_invalid_op 0
		.amdhsa_exception_fp_denorm_src 0
		.amdhsa_exception_fp_ieee_div_zero 0
		.amdhsa_exception_fp_ieee_overflow 0
		.amdhsa_exception_fp_ieee_underflow 0
		.amdhsa_exception_fp_ieee_inexact 0
		.amdhsa_exception_int_div_zero 0
	.end_amdhsa_kernel
	.section	.text._ZN7rocprim17ROCPRIM_400000_NS6detail17trampoline_kernelINS0_14default_configENS1_38merge_sort_block_merge_config_selectorIlNS0_10empty_typeEEEZZNS1_27merge_sort_block_merge_implIS3_PlPS5_mZN2at6native12_GLOBAL__N_124unique_dim_cuda_templateIhEESt5tupleIJNSA_6TensorESF_SF_EERKSF_lbbbEUlllE_EE10hipError_tT0_T1_T2_jT3_P12ihipStream_tbPNSt15iterator_traitsISL_E10value_typeEPNSR_ISM_E10value_typeEPSN_NS1_7vsmem_tEENKUlT_SL_SM_SN_E_clIS8_S8_S9_S9_EESK_S10_SL_SM_SN_EUlS10_E1_NS1_11comp_targetILNS1_3genE2ELNS1_11target_archE906ELNS1_3gpuE6ELNS1_3repE0EEENS1_36merge_oddeven_config_static_selectorELNS0_4arch9wavefront6targetE1EEEvSM_,"axG",@progbits,_ZN7rocprim17ROCPRIM_400000_NS6detail17trampoline_kernelINS0_14default_configENS1_38merge_sort_block_merge_config_selectorIlNS0_10empty_typeEEEZZNS1_27merge_sort_block_merge_implIS3_PlPS5_mZN2at6native12_GLOBAL__N_124unique_dim_cuda_templateIhEESt5tupleIJNSA_6TensorESF_SF_EERKSF_lbbbEUlllE_EE10hipError_tT0_T1_T2_jT3_P12ihipStream_tbPNSt15iterator_traitsISL_E10value_typeEPNSR_ISM_E10value_typeEPSN_NS1_7vsmem_tEENKUlT_SL_SM_SN_E_clIS8_S8_S9_S9_EESK_S10_SL_SM_SN_EUlS10_E1_NS1_11comp_targetILNS1_3genE2ELNS1_11target_archE906ELNS1_3gpuE6ELNS1_3repE0EEENS1_36merge_oddeven_config_static_selectorELNS0_4arch9wavefront6targetE1EEEvSM_,comdat
.Lfunc_end40:
	.size	_ZN7rocprim17ROCPRIM_400000_NS6detail17trampoline_kernelINS0_14default_configENS1_38merge_sort_block_merge_config_selectorIlNS0_10empty_typeEEEZZNS1_27merge_sort_block_merge_implIS3_PlPS5_mZN2at6native12_GLOBAL__N_124unique_dim_cuda_templateIhEESt5tupleIJNSA_6TensorESF_SF_EERKSF_lbbbEUlllE_EE10hipError_tT0_T1_T2_jT3_P12ihipStream_tbPNSt15iterator_traitsISL_E10value_typeEPNSR_ISM_E10value_typeEPSN_NS1_7vsmem_tEENKUlT_SL_SM_SN_E_clIS8_S8_S9_S9_EESK_S10_SL_SM_SN_EUlS10_E1_NS1_11comp_targetILNS1_3genE2ELNS1_11target_archE906ELNS1_3gpuE6ELNS1_3repE0EEENS1_36merge_oddeven_config_static_selectorELNS0_4arch9wavefront6targetE1EEEvSM_, .Lfunc_end40-_ZN7rocprim17ROCPRIM_400000_NS6detail17trampoline_kernelINS0_14default_configENS1_38merge_sort_block_merge_config_selectorIlNS0_10empty_typeEEEZZNS1_27merge_sort_block_merge_implIS3_PlPS5_mZN2at6native12_GLOBAL__N_124unique_dim_cuda_templateIhEESt5tupleIJNSA_6TensorESF_SF_EERKSF_lbbbEUlllE_EE10hipError_tT0_T1_T2_jT3_P12ihipStream_tbPNSt15iterator_traitsISL_E10value_typeEPNSR_ISM_E10value_typeEPSN_NS1_7vsmem_tEENKUlT_SL_SM_SN_E_clIS8_S8_S9_S9_EESK_S10_SL_SM_SN_EUlS10_E1_NS1_11comp_targetILNS1_3genE2ELNS1_11target_archE906ELNS1_3gpuE6ELNS1_3repE0EEENS1_36merge_oddeven_config_static_selectorELNS0_4arch9wavefront6targetE1EEEvSM_
                                        ; -- End function
	.section	.AMDGPU.csdata,"",@progbits
; Kernel info:
; codeLenInByte = 0
; NumSgprs: 6
; NumVgprs: 0
; NumAgprs: 0
; TotalNumVgprs: 0
; ScratchSize: 0
; MemoryBound: 0
; FloatMode: 240
; IeeeMode: 1
; LDSByteSize: 0 bytes/workgroup (compile time only)
; SGPRBlocks: 0
; VGPRBlocks: 0
; NumSGPRsForWavesPerEU: 6
; NumVGPRsForWavesPerEU: 1
; AccumOffset: 4
; Occupancy: 8
; WaveLimiterHint : 0
; COMPUTE_PGM_RSRC2:SCRATCH_EN: 0
; COMPUTE_PGM_RSRC2:USER_SGPR: 2
; COMPUTE_PGM_RSRC2:TRAP_HANDLER: 0
; COMPUTE_PGM_RSRC2:TGID_X_EN: 1
; COMPUTE_PGM_RSRC2:TGID_Y_EN: 0
; COMPUTE_PGM_RSRC2:TGID_Z_EN: 0
; COMPUTE_PGM_RSRC2:TIDIG_COMP_CNT: 0
; COMPUTE_PGM_RSRC3_GFX90A:ACCUM_OFFSET: 0
; COMPUTE_PGM_RSRC3_GFX90A:TG_SPLIT: 0
	.section	.text._ZN7rocprim17ROCPRIM_400000_NS6detail17trampoline_kernelINS0_14default_configENS1_38merge_sort_block_merge_config_selectorIlNS0_10empty_typeEEEZZNS1_27merge_sort_block_merge_implIS3_PlPS5_mZN2at6native12_GLOBAL__N_124unique_dim_cuda_templateIhEESt5tupleIJNSA_6TensorESF_SF_EERKSF_lbbbEUlllE_EE10hipError_tT0_T1_T2_jT3_P12ihipStream_tbPNSt15iterator_traitsISL_E10value_typeEPNSR_ISM_E10value_typeEPSN_NS1_7vsmem_tEENKUlT_SL_SM_SN_E_clIS8_S8_S9_S9_EESK_S10_SL_SM_SN_EUlS10_E1_NS1_11comp_targetILNS1_3genE9ELNS1_11target_archE1100ELNS1_3gpuE3ELNS1_3repE0EEENS1_36merge_oddeven_config_static_selectorELNS0_4arch9wavefront6targetE1EEEvSM_,"axG",@progbits,_ZN7rocprim17ROCPRIM_400000_NS6detail17trampoline_kernelINS0_14default_configENS1_38merge_sort_block_merge_config_selectorIlNS0_10empty_typeEEEZZNS1_27merge_sort_block_merge_implIS3_PlPS5_mZN2at6native12_GLOBAL__N_124unique_dim_cuda_templateIhEESt5tupleIJNSA_6TensorESF_SF_EERKSF_lbbbEUlllE_EE10hipError_tT0_T1_T2_jT3_P12ihipStream_tbPNSt15iterator_traitsISL_E10value_typeEPNSR_ISM_E10value_typeEPSN_NS1_7vsmem_tEENKUlT_SL_SM_SN_E_clIS8_S8_S9_S9_EESK_S10_SL_SM_SN_EUlS10_E1_NS1_11comp_targetILNS1_3genE9ELNS1_11target_archE1100ELNS1_3gpuE3ELNS1_3repE0EEENS1_36merge_oddeven_config_static_selectorELNS0_4arch9wavefront6targetE1EEEvSM_,comdat
	.globl	_ZN7rocprim17ROCPRIM_400000_NS6detail17trampoline_kernelINS0_14default_configENS1_38merge_sort_block_merge_config_selectorIlNS0_10empty_typeEEEZZNS1_27merge_sort_block_merge_implIS3_PlPS5_mZN2at6native12_GLOBAL__N_124unique_dim_cuda_templateIhEESt5tupleIJNSA_6TensorESF_SF_EERKSF_lbbbEUlllE_EE10hipError_tT0_T1_T2_jT3_P12ihipStream_tbPNSt15iterator_traitsISL_E10value_typeEPNSR_ISM_E10value_typeEPSN_NS1_7vsmem_tEENKUlT_SL_SM_SN_E_clIS8_S8_S9_S9_EESK_S10_SL_SM_SN_EUlS10_E1_NS1_11comp_targetILNS1_3genE9ELNS1_11target_archE1100ELNS1_3gpuE3ELNS1_3repE0EEENS1_36merge_oddeven_config_static_selectorELNS0_4arch9wavefront6targetE1EEEvSM_ ; -- Begin function _ZN7rocprim17ROCPRIM_400000_NS6detail17trampoline_kernelINS0_14default_configENS1_38merge_sort_block_merge_config_selectorIlNS0_10empty_typeEEEZZNS1_27merge_sort_block_merge_implIS3_PlPS5_mZN2at6native12_GLOBAL__N_124unique_dim_cuda_templateIhEESt5tupleIJNSA_6TensorESF_SF_EERKSF_lbbbEUlllE_EE10hipError_tT0_T1_T2_jT3_P12ihipStream_tbPNSt15iterator_traitsISL_E10value_typeEPNSR_ISM_E10value_typeEPSN_NS1_7vsmem_tEENKUlT_SL_SM_SN_E_clIS8_S8_S9_S9_EESK_S10_SL_SM_SN_EUlS10_E1_NS1_11comp_targetILNS1_3genE9ELNS1_11target_archE1100ELNS1_3gpuE3ELNS1_3repE0EEENS1_36merge_oddeven_config_static_selectorELNS0_4arch9wavefront6targetE1EEEvSM_
	.p2align	8
	.type	_ZN7rocprim17ROCPRIM_400000_NS6detail17trampoline_kernelINS0_14default_configENS1_38merge_sort_block_merge_config_selectorIlNS0_10empty_typeEEEZZNS1_27merge_sort_block_merge_implIS3_PlPS5_mZN2at6native12_GLOBAL__N_124unique_dim_cuda_templateIhEESt5tupleIJNSA_6TensorESF_SF_EERKSF_lbbbEUlllE_EE10hipError_tT0_T1_T2_jT3_P12ihipStream_tbPNSt15iterator_traitsISL_E10value_typeEPNSR_ISM_E10value_typeEPSN_NS1_7vsmem_tEENKUlT_SL_SM_SN_E_clIS8_S8_S9_S9_EESK_S10_SL_SM_SN_EUlS10_E1_NS1_11comp_targetILNS1_3genE9ELNS1_11target_archE1100ELNS1_3gpuE3ELNS1_3repE0EEENS1_36merge_oddeven_config_static_selectorELNS0_4arch9wavefront6targetE1EEEvSM_,@function
_ZN7rocprim17ROCPRIM_400000_NS6detail17trampoline_kernelINS0_14default_configENS1_38merge_sort_block_merge_config_selectorIlNS0_10empty_typeEEEZZNS1_27merge_sort_block_merge_implIS3_PlPS5_mZN2at6native12_GLOBAL__N_124unique_dim_cuda_templateIhEESt5tupleIJNSA_6TensorESF_SF_EERKSF_lbbbEUlllE_EE10hipError_tT0_T1_T2_jT3_P12ihipStream_tbPNSt15iterator_traitsISL_E10value_typeEPNSR_ISM_E10value_typeEPSN_NS1_7vsmem_tEENKUlT_SL_SM_SN_E_clIS8_S8_S9_S9_EESK_S10_SL_SM_SN_EUlS10_E1_NS1_11comp_targetILNS1_3genE9ELNS1_11target_archE1100ELNS1_3gpuE3ELNS1_3repE0EEENS1_36merge_oddeven_config_static_selectorELNS0_4arch9wavefront6targetE1EEEvSM_: ; @_ZN7rocprim17ROCPRIM_400000_NS6detail17trampoline_kernelINS0_14default_configENS1_38merge_sort_block_merge_config_selectorIlNS0_10empty_typeEEEZZNS1_27merge_sort_block_merge_implIS3_PlPS5_mZN2at6native12_GLOBAL__N_124unique_dim_cuda_templateIhEESt5tupleIJNSA_6TensorESF_SF_EERKSF_lbbbEUlllE_EE10hipError_tT0_T1_T2_jT3_P12ihipStream_tbPNSt15iterator_traitsISL_E10value_typeEPNSR_ISM_E10value_typeEPSN_NS1_7vsmem_tEENKUlT_SL_SM_SN_E_clIS8_S8_S9_S9_EESK_S10_SL_SM_SN_EUlS10_E1_NS1_11comp_targetILNS1_3genE9ELNS1_11target_archE1100ELNS1_3gpuE3ELNS1_3repE0EEENS1_36merge_oddeven_config_static_selectorELNS0_4arch9wavefront6targetE1EEEvSM_
; %bb.0:
	.section	.rodata,"a",@progbits
	.p2align	6, 0x0
	.amdhsa_kernel _ZN7rocprim17ROCPRIM_400000_NS6detail17trampoline_kernelINS0_14default_configENS1_38merge_sort_block_merge_config_selectorIlNS0_10empty_typeEEEZZNS1_27merge_sort_block_merge_implIS3_PlPS5_mZN2at6native12_GLOBAL__N_124unique_dim_cuda_templateIhEESt5tupleIJNSA_6TensorESF_SF_EERKSF_lbbbEUlllE_EE10hipError_tT0_T1_T2_jT3_P12ihipStream_tbPNSt15iterator_traitsISL_E10value_typeEPNSR_ISM_E10value_typeEPSN_NS1_7vsmem_tEENKUlT_SL_SM_SN_E_clIS8_S8_S9_S9_EESK_S10_SL_SM_SN_EUlS10_E1_NS1_11comp_targetILNS1_3genE9ELNS1_11target_archE1100ELNS1_3gpuE3ELNS1_3repE0EEENS1_36merge_oddeven_config_static_selectorELNS0_4arch9wavefront6targetE1EEEvSM_
		.amdhsa_group_segment_fixed_size 0
		.amdhsa_private_segment_fixed_size 0
		.amdhsa_kernarg_size 64
		.amdhsa_user_sgpr_count 2
		.amdhsa_user_sgpr_dispatch_ptr 0
		.amdhsa_user_sgpr_queue_ptr 0
		.amdhsa_user_sgpr_kernarg_segment_ptr 1
		.amdhsa_user_sgpr_dispatch_id 0
		.amdhsa_user_sgpr_kernarg_preload_length 0
		.amdhsa_user_sgpr_kernarg_preload_offset 0
		.amdhsa_user_sgpr_private_segment_size 0
		.amdhsa_uses_dynamic_stack 0
		.amdhsa_enable_private_segment 0
		.amdhsa_system_sgpr_workgroup_id_x 1
		.amdhsa_system_sgpr_workgroup_id_y 0
		.amdhsa_system_sgpr_workgroup_id_z 0
		.amdhsa_system_sgpr_workgroup_info 0
		.amdhsa_system_vgpr_workitem_id 0
		.amdhsa_next_free_vgpr 1
		.amdhsa_next_free_sgpr 0
		.amdhsa_accum_offset 4
		.amdhsa_reserve_vcc 0
		.amdhsa_float_round_mode_32 0
		.amdhsa_float_round_mode_16_64 0
		.amdhsa_float_denorm_mode_32 3
		.amdhsa_float_denorm_mode_16_64 3
		.amdhsa_dx10_clamp 1
		.amdhsa_ieee_mode 1
		.amdhsa_fp16_overflow 0
		.amdhsa_tg_split 0
		.amdhsa_exception_fp_ieee_invalid_op 0
		.amdhsa_exception_fp_denorm_src 0
		.amdhsa_exception_fp_ieee_div_zero 0
		.amdhsa_exception_fp_ieee_overflow 0
		.amdhsa_exception_fp_ieee_underflow 0
		.amdhsa_exception_fp_ieee_inexact 0
		.amdhsa_exception_int_div_zero 0
	.end_amdhsa_kernel
	.section	.text._ZN7rocprim17ROCPRIM_400000_NS6detail17trampoline_kernelINS0_14default_configENS1_38merge_sort_block_merge_config_selectorIlNS0_10empty_typeEEEZZNS1_27merge_sort_block_merge_implIS3_PlPS5_mZN2at6native12_GLOBAL__N_124unique_dim_cuda_templateIhEESt5tupleIJNSA_6TensorESF_SF_EERKSF_lbbbEUlllE_EE10hipError_tT0_T1_T2_jT3_P12ihipStream_tbPNSt15iterator_traitsISL_E10value_typeEPNSR_ISM_E10value_typeEPSN_NS1_7vsmem_tEENKUlT_SL_SM_SN_E_clIS8_S8_S9_S9_EESK_S10_SL_SM_SN_EUlS10_E1_NS1_11comp_targetILNS1_3genE9ELNS1_11target_archE1100ELNS1_3gpuE3ELNS1_3repE0EEENS1_36merge_oddeven_config_static_selectorELNS0_4arch9wavefront6targetE1EEEvSM_,"axG",@progbits,_ZN7rocprim17ROCPRIM_400000_NS6detail17trampoline_kernelINS0_14default_configENS1_38merge_sort_block_merge_config_selectorIlNS0_10empty_typeEEEZZNS1_27merge_sort_block_merge_implIS3_PlPS5_mZN2at6native12_GLOBAL__N_124unique_dim_cuda_templateIhEESt5tupleIJNSA_6TensorESF_SF_EERKSF_lbbbEUlllE_EE10hipError_tT0_T1_T2_jT3_P12ihipStream_tbPNSt15iterator_traitsISL_E10value_typeEPNSR_ISM_E10value_typeEPSN_NS1_7vsmem_tEENKUlT_SL_SM_SN_E_clIS8_S8_S9_S9_EESK_S10_SL_SM_SN_EUlS10_E1_NS1_11comp_targetILNS1_3genE9ELNS1_11target_archE1100ELNS1_3gpuE3ELNS1_3repE0EEENS1_36merge_oddeven_config_static_selectorELNS0_4arch9wavefront6targetE1EEEvSM_,comdat
.Lfunc_end41:
	.size	_ZN7rocprim17ROCPRIM_400000_NS6detail17trampoline_kernelINS0_14default_configENS1_38merge_sort_block_merge_config_selectorIlNS0_10empty_typeEEEZZNS1_27merge_sort_block_merge_implIS3_PlPS5_mZN2at6native12_GLOBAL__N_124unique_dim_cuda_templateIhEESt5tupleIJNSA_6TensorESF_SF_EERKSF_lbbbEUlllE_EE10hipError_tT0_T1_T2_jT3_P12ihipStream_tbPNSt15iterator_traitsISL_E10value_typeEPNSR_ISM_E10value_typeEPSN_NS1_7vsmem_tEENKUlT_SL_SM_SN_E_clIS8_S8_S9_S9_EESK_S10_SL_SM_SN_EUlS10_E1_NS1_11comp_targetILNS1_3genE9ELNS1_11target_archE1100ELNS1_3gpuE3ELNS1_3repE0EEENS1_36merge_oddeven_config_static_selectorELNS0_4arch9wavefront6targetE1EEEvSM_, .Lfunc_end41-_ZN7rocprim17ROCPRIM_400000_NS6detail17trampoline_kernelINS0_14default_configENS1_38merge_sort_block_merge_config_selectorIlNS0_10empty_typeEEEZZNS1_27merge_sort_block_merge_implIS3_PlPS5_mZN2at6native12_GLOBAL__N_124unique_dim_cuda_templateIhEESt5tupleIJNSA_6TensorESF_SF_EERKSF_lbbbEUlllE_EE10hipError_tT0_T1_T2_jT3_P12ihipStream_tbPNSt15iterator_traitsISL_E10value_typeEPNSR_ISM_E10value_typeEPSN_NS1_7vsmem_tEENKUlT_SL_SM_SN_E_clIS8_S8_S9_S9_EESK_S10_SL_SM_SN_EUlS10_E1_NS1_11comp_targetILNS1_3genE9ELNS1_11target_archE1100ELNS1_3gpuE3ELNS1_3repE0EEENS1_36merge_oddeven_config_static_selectorELNS0_4arch9wavefront6targetE1EEEvSM_
                                        ; -- End function
	.section	.AMDGPU.csdata,"",@progbits
; Kernel info:
; codeLenInByte = 0
; NumSgprs: 6
; NumVgprs: 0
; NumAgprs: 0
; TotalNumVgprs: 0
; ScratchSize: 0
; MemoryBound: 0
; FloatMode: 240
; IeeeMode: 1
; LDSByteSize: 0 bytes/workgroup (compile time only)
; SGPRBlocks: 0
; VGPRBlocks: 0
; NumSGPRsForWavesPerEU: 6
; NumVGPRsForWavesPerEU: 1
; AccumOffset: 4
; Occupancy: 8
; WaveLimiterHint : 0
; COMPUTE_PGM_RSRC2:SCRATCH_EN: 0
; COMPUTE_PGM_RSRC2:USER_SGPR: 2
; COMPUTE_PGM_RSRC2:TRAP_HANDLER: 0
; COMPUTE_PGM_RSRC2:TGID_X_EN: 1
; COMPUTE_PGM_RSRC2:TGID_Y_EN: 0
; COMPUTE_PGM_RSRC2:TGID_Z_EN: 0
; COMPUTE_PGM_RSRC2:TIDIG_COMP_CNT: 0
; COMPUTE_PGM_RSRC3_GFX90A:ACCUM_OFFSET: 0
; COMPUTE_PGM_RSRC3_GFX90A:TG_SPLIT: 0
	.section	.text._ZN7rocprim17ROCPRIM_400000_NS6detail17trampoline_kernelINS0_14default_configENS1_38merge_sort_block_merge_config_selectorIlNS0_10empty_typeEEEZZNS1_27merge_sort_block_merge_implIS3_PlPS5_mZN2at6native12_GLOBAL__N_124unique_dim_cuda_templateIhEESt5tupleIJNSA_6TensorESF_SF_EERKSF_lbbbEUlllE_EE10hipError_tT0_T1_T2_jT3_P12ihipStream_tbPNSt15iterator_traitsISL_E10value_typeEPNSR_ISM_E10value_typeEPSN_NS1_7vsmem_tEENKUlT_SL_SM_SN_E_clIS8_S8_S9_S9_EESK_S10_SL_SM_SN_EUlS10_E1_NS1_11comp_targetILNS1_3genE8ELNS1_11target_archE1030ELNS1_3gpuE2ELNS1_3repE0EEENS1_36merge_oddeven_config_static_selectorELNS0_4arch9wavefront6targetE1EEEvSM_,"axG",@progbits,_ZN7rocprim17ROCPRIM_400000_NS6detail17trampoline_kernelINS0_14default_configENS1_38merge_sort_block_merge_config_selectorIlNS0_10empty_typeEEEZZNS1_27merge_sort_block_merge_implIS3_PlPS5_mZN2at6native12_GLOBAL__N_124unique_dim_cuda_templateIhEESt5tupleIJNSA_6TensorESF_SF_EERKSF_lbbbEUlllE_EE10hipError_tT0_T1_T2_jT3_P12ihipStream_tbPNSt15iterator_traitsISL_E10value_typeEPNSR_ISM_E10value_typeEPSN_NS1_7vsmem_tEENKUlT_SL_SM_SN_E_clIS8_S8_S9_S9_EESK_S10_SL_SM_SN_EUlS10_E1_NS1_11comp_targetILNS1_3genE8ELNS1_11target_archE1030ELNS1_3gpuE2ELNS1_3repE0EEENS1_36merge_oddeven_config_static_selectorELNS0_4arch9wavefront6targetE1EEEvSM_,comdat
	.globl	_ZN7rocprim17ROCPRIM_400000_NS6detail17trampoline_kernelINS0_14default_configENS1_38merge_sort_block_merge_config_selectorIlNS0_10empty_typeEEEZZNS1_27merge_sort_block_merge_implIS3_PlPS5_mZN2at6native12_GLOBAL__N_124unique_dim_cuda_templateIhEESt5tupleIJNSA_6TensorESF_SF_EERKSF_lbbbEUlllE_EE10hipError_tT0_T1_T2_jT3_P12ihipStream_tbPNSt15iterator_traitsISL_E10value_typeEPNSR_ISM_E10value_typeEPSN_NS1_7vsmem_tEENKUlT_SL_SM_SN_E_clIS8_S8_S9_S9_EESK_S10_SL_SM_SN_EUlS10_E1_NS1_11comp_targetILNS1_3genE8ELNS1_11target_archE1030ELNS1_3gpuE2ELNS1_3repE0EEENS1_36merge_oddeven_config_static_selectorELNS0_4arch9wavefront6targetE1EEEvSM_ ; -- Begin function _ZN7rocprim17ROCPRIM_400000_NS6detail17trampoline_kernelINS0_14default_configENS1_38merge_sort_block_merge_config_selectorIlNS0_10empty_typeEEEZZNS1_27merge_sort_block_merge_implIS3_PlPS5_mZN2at6native12_GLOBAL__N_124unique_dim_cuda_templateIhEESt5tupleIJNSA_6TensorESF_SF_EERKSF_lbbbEUlllE_EE10hipError_tT0_T1_T2_jT3_P12ihipStream_tbPNSt15iterator_traitsISL_E10value_typeEPNSR_ISM_E10value_typeEPSN_NS1_7vsmem_tEENKUlT_SL_SM_SN_E_clIS8_S8_S9_S9_EESK_S10_SL_SM_SN_EUlS10_E1_NS1_11comp_targetILNS1_3genE8ELNS1_11target_archE1030ELNS1_3gpuE2ELNS1_3repE0EEENS1_36merge_oddeven_config_static_selectorELNS0_4arch9wavefront6targetE1EEEvSM_
	.p2align	8
	.type	_ZN7rocprim17ROCPRIM_400000_NS6detail17trampoline_kernelINS0_14default_configENS1_38merge_sort_block_merge_config_selectorIlNS0_10empty_typeEEEZZNS1_27merge_sort_block_merge_implIS3_PlPS5_mZN2at6native12_GLOBAL__N_124unique_dim_cuda_templateIhEESt5tupleIJNSA_6TensorESF_SF_EERKSF_lbbbEUlllE_EE10hipError_tT0_T1_T2_jT3_P12ihipStream_tbPNSt15iterator_traitsISL_E10value_typeEPNSR_ISM_E10value_typeEPSN_NS1_7vsmem_tEENKUlT_SL_SM_SN_E_clIS8_S8_S9_S9_EESK_S10_SL_SM_SN_EUlS10_E1_NS1_11comp_targetILNS1_3genE8ELNS1_11target_archE1030ELNS1_3gpuE2ELNS1_3repE0EEENS1_36merge_oddeven_config_static_selectorELNS0_4arch9wavefront6targetE1EEEvSM_,@function
_ZN7rocprim17ROCPRIM_400000_NS6detail17trampoline_kernelINS0_14default_configENS1_38merge_sort_block_merge_config_selectorIlNS0_10empty_typeEEEZZNS1_27merge_sort_block_merge_implIS3_PlPS5_mZN2at6native12_GLOBAL__N_124unique_dim_cuda_templateIhEESt5tupleIJNSA_6TensorESF_SF_EERKSF_lbbbEUlllE_EE10hipError_tT0_T1_T2_jT3_P12ihipStream_tbPNSt15iterator_traitsISL_E10value_typeEPNSR_ISM_E10value_typeEPSN_NS1_7vsmem_tEENKUlT_SL_SM_SN_E_clIS8_S8_S9_S9_EESK_S10_SL_SM_SN_EUlS10_E1_NS1_11comp_targetILNS1_3genE8ELNS1_11target_archE1030ELNS1_3gpuE2ELNS1_3repE0EEENS1_36merge_oddeven_config_static_selectorELNS0_4arch9wavefront6targetE1EEEvSM_: ; @_ZN7rocprim17ROCPRIM_400000_NS6detail17trampoline_kernelINS0_14default_configENS1_38merge_sort_block_merge_config_selectorIlNS0_10empty_typeEEEZZNS1_27merge_sort_block_merge_implIS3_PlPS5_mZN2at6native12_GLOBAL__N_124unique_dim_cuda_templateIhEESt5tupleIJNSA_6TensorESF_SF_EERKSF_lbbbEUlllE_EE10hipError_tT0_T1_T2_jT3_P12ihipStream_tbPNSt15iterator_traitsISL_E10value_typeEPNSR_ISM_E10value_typeEPSN_NS1_7vsmem_tEENKUlT_SL_SM_SN_E_clIS8_S8_S9_S9_EESK_S10_SL_SM_SN_EUlS10_E1_NS1_11comp_targetILNS1_3genE8ELNS1_11target_archE1030ELNS1_3gpuE2ELNS1_3repE0EEENS1_36merge_oddeven_config_static_selectorELNS0_4arch9wavefront6targetE1EEEvSM_
; %bb.0:
	.section	.rodata,"a",@progbits
	.p2align	6, 0x0
	.amdhsa_kernel _ZN7rocprim17ROCPRIM_400000_NS6detail17trampoline_kernelINS0_14default_configENS1_38merge_sort_block_merge_config_selectorIlNS0_10empty_typeEEEZZNS1_27merge_sort_block_merge_implIS3_PlPS5_mZN2at6native12_GLOBAL__N_124unique_dim_cuda_templateIhEESt5tupleIJNSA_6TensorESF_SF_EERKSF_lbbbEUlllE_EE10hipError_tT0_T1_T2_jT3_P12ihipStream_tbPNSt15iterator_traitsISL_E10value_typeEPNSR_ISM_E10value_typeEPSN_NS1_7vsmem_tEENKUlT_SL_SM_SN_E_clIS8_S8_S9_S9_EESK_S10_SL_SM_SN_EUlS10_E1_NS1_11comp_targetILNS1_3genE8ELNS1_11target_archE1030ELNS1_3gpuE2ELNS1_3repE0EEENS1_36merge_oddeven_config_static_selectorELNS0_4arch9wavefront6targetE1EEEvSM_
		.amdhsa_group_segment_fixed_size 0
		.amdhsa_private_segment_fixed_size 0
		.amdhsa_kernarg_size 64
		.amdhsa_user_sgpr_count 2
		.amdhsa_user_sgpr_dispatch_ptr 0
		.amdhsa_user_sgpr_queue_ptr 0
		.amdhsa_user_sgpr_kernarg_segment_ptr 1
		.amdhsa_user_sgpr_dispatch_id 0
		.amdhsa_user_sgpr_kernarg_preload_length 0
		.amdhsa_user_sgpr_kernarg_preload_offset 0
		.amdhsa_user_sgpr_private_segment_size 0
		.amdhsa_uses_dynamic_stack 0
		.amdhsa_enable_private_segment 0
		.amdhsa_system_sgpr_workgroup_id_x 1
		.amdhsa_system_sgpr_workgroup_id_y 0
		.amdhsa_system_sgpr_workgroup_id_z 0
		.amdhsa_system_sgpr_workgroup_info 0
		.amdhsa_system_vgpr_workitem_id 0
		.amdhsa_next_free_vgpr 1
		.amdhsa_next_free_sgpr 0
		.amdhsa_accum_offset 4
		.amdhsa_reserve_vcc 0
		.amdhsa_float_round_mode_32 0
		.amdhsa_float_round_mode_16_64 0
		.amdhsa_float_denorm_mode_32 3
		.amdhsa_float_denorm_mode_16_64 3
		.amdhsa_dx10_clamp 1
		.amdhsa_ieee_mode 1
		.amdhsa_fp16_overflow 0
		.amdhsa_tg_split 0
		.amdhsa_exception_fp_ieee_invalid_op 0
		.amdhsa_exception_fp_denorm_src 0
		.amdhsa_exception_fp_ieee_div_zero 0
		.amdhsa_exception_fp_ieee_overflow 0
		.amdhsa_exception_fp_ieee_underflow 0
		.amdhsa_exception_fp_ieee_inexact 0
		.amdhsa_exception_int_div_zero 0
	.end_amdhsa_kernel
	.section	.text._ZN7rocprim17ROCPRIM_400000_NS6detail17trampoline_kernelINS0_14default_configENS1_38merge_sort_block_merge_config_selectorIlNS0_10empty_typeEEEZZNS1_27merge_sort_block_merge_implIS3_PlPS5_mZN2at6native12_GLOBAL__N_124unique_dim_cuda_templateIhEESt5tupleIJNSA_6TensorESF_SF_EERKSF_lbbbEUlllE_EE10hipError_tT0_T1_T2_jT3_P12ihipStream_tbPNSt15iterator_traitsISL_E10value_typeEPNSR_ISM_E10value_typeEPSN_NS1_7vsmem_tEENKUlT_SL_SM_SN_E_clIS8_S8_S9_S9_EESK_S10_SL_SM_SN_EUlS10_E1_NS1_11comp_targetILNS1_3genE8ELNS1_11target_archE1030ELNS1_3gpuE2ELNS1_3repE0EEENS1_36merge_oddeven_config_static_selectorELNS0_4arch9wavefront6targetE1EEEvSM_,"axG",@progbits,_ZN7rocprim17ROCPRIM_400000_NS6detail17trampoline_kernelINS0_14default_configENS1_38merge_sort_block_merge_config_selectorIlNS0_10empty_typeEEEZZNS1_27merge_sort_block_merge_implIS3_PlPS5_mZN2at6native12_GLOBAL__N_124unique_dim_cuda_templateIhEESt5tupleIJNSA_6TensorESF_SF_EERKSF_lbbbEUlllE_EE10hipError_tT0_T1_T2_jT3_P12ihipStream_tbPNSt15iterator_traitsISL_E10value_typeEPNSR_ISM_E10value_typeEPSN_NS1_7vsmem_tEENKUlT_SL_SM_SN_E_clIS8_S8_S9_S9_EESK_S10_SL_SM_SN_EUlS10_E1_NS1_11comp_targetILNS1_3genE8ELNS1_11target_archE1030ELNS1_3gpuE2ELNS1_3repE0EEENS1_36merge_oddeven_config_static_selectorELNS0_4arch9wavefront6targetE1EEEvSM_,comdat
.Lfunc_end42:
	.size	_ZN7rocprim17ROCPRIM_400000_NS6detail17trampoline_kernelINS0_14default_configENS1_38merge_sort_block_merge_config_selectorIlNS0_10empty_typeEEEZZNS1_27merge_sort_block_merge_implIS3_PlPS5_mZN2at6native12_GLOBAL__N_124unique_dim_cuda_templateIhEESt5tupleIJNSA_6TensorESF_SF_EERKSF_lbbbEUlllE_EE10hipError_tT0_T1_T2_jT3_P12ihipStream_tbPNSt15iterator_traitsISL_E10value_typeEPNSR_ISM_E10value_typeEPSN_NS1_7vsmem_tEENKUlT_SL_SM_SN_E_clIS8_S8_S9_S9_EESK_S10_SL_SM_SN_EUlS10_E1_NS1_11comp_targetILNS1_3genE8ELNS1_11target_archE1030ELNS1_3gpuE2ELNS1_3repE0EEENS1_36merge_oddeven_config_static_selectorELNS0_4arch9wavefront6targetE1EEEvSM_, .Lfunc_end42-_ZN7rocprim17ROCPRIM_400000_NS6detail17trampoline_kernelINS0_14default_configENS1_38merge_sort_block_merge_config_selectorIlNS0_10empty_typeEEEZZNS1_27merge_sort_block_merge_implIS3_PlPS5_mZN2at6native12_GLOBAL__N_124unique_dim_cuda_templateIhEESt5tupleIJNSA_6TensorESF_SF_EERKSF_lbbbEUlllE_EE10hipError_tT0_T1_T2_jT3_P12ihipStream_tbPNSt15iterator_traitsISL_E10value_typeEPNSR_ISM_E10value_typeEPSN_NS1_7vsmem_tEENKUlT_SL_SM_SN_E_clIS8_S8_S9_S9_EESK_S10_SL_SM_SN_EUlS10_E1_NS1_11comp_targetILNS1_3genE8ELNS1_11target_archE1030ELNS1_3gpuE2ELNS1_3repE0EEENS1_36merge_oddeven_config_static_selectorELNS0_4arch9wavefront6targetE1EEEvSM_
                                        ; -- End function
	.section	.AMDGPU.csdata,"",@progbits
; Kernel info:
; codeLenInByte = 0
; NumSgprs: 6
; NumVgprs: 0
; NumAgprs: 0
; TotalNumVgprs: 0
; ScratchSize: 0
; MemoryBound: 0
; FloatMode: 240
; IeeeMode: 1
; LDSByteSize: 0 bytes/workgroup (compile time only)
; SGPRBlocks: 0
; VGPRBlocks: 0
; NumSGPRsForWavesPerEU: 6
; NumVGPRsForWavesPerEU: 1
; AccumOffset: 4
; Occupancy: 8
; WaveLimiterHint : 0
; COMPUTE_PGM_RSRC2:SCRATCH_EN: 0
; COMPUTE_PGM_RSRC2:USER_SGPR: 2
; COMPUTE_PGM_RSRC2:TRAP_HANDLER: 0
; COMPUTE_PGM_RSRC2:TGID_X_EN: 1
; COMPUTE_PGM_RSRC2:TGID_Y_EN: 0
; COMPUTE_PGM_RSRC2:TGID_Z_EN: 0
; COMPUTE_PGM_RSRC2:TIDIG_COMP_CNT: 0
; COMPUTE_PGM_RSRC3_GFX90A:ACCUM_OFFSET: 0
; COMPUTE_PGM_RSRC3_GFX90A:TG_SPLIT: 0
	.section	.text._ZN7rocprim17ROCPRIM_400000_NS6detail17trampoline_kernelINS0_14default_configENS1_25transform_config_selectorIlLb1EEEZNS1_14transform_implILb1ES3_S5_PlS7_NS0_8identityIlEEEE10hipError_tT2_T3_mT4_P12ihipStream_tbEUlT_E_NS1_11comp_targetILNS1_3genE0ELNS1_11target_archE4294967295ELNS1_3gpuE0ELNS1_3repE0EEENS1_30default_config_static_selectorELNS0_4arch9wavefront6targetE1EEEvT1_,"axG",@progbits,_ZN7rocprim17ROCPRIM_400000_NS6detail17trampoline_kernelINS0_14default_configENS1_25transform_config_selectorIlLb1EEEZNS1_14transform_implILb1ES3_S5_PlS7_NS0_8identityIlEEEE10hipError_tT2_T3_mT4_P12ihipStream_tbEUlT_E_NS1_11comp_targetILNS1_3genE0ELNS1_11target_archE4294967295ELNS1_3gpuE0ELNS1_3repE0EEENS1_30default_config_static_selectorELNS0_4arch9wavefront6targetE1EEEvT1_,comdat
	.protected	_ZN7rocprim17ROCPRIM_400000_NS6detail17trampoline_kernelINS0_14default_configENS1_25transform_config_selectorIlLb1EEEZNS1_14transform_implILb1ES3_S5_PlS7_NS0_8identityIlEEEE10hipError_tT2_T3_mT4_P12ihipStream_tbEUlT_E_NS1_11comp_targetILNS1_3genE0ELNS1_11target_archE4294967295ELNS1_3gpuE0ELNS1_3repE0EEENS1_30default_config_static_selectorELNS0_4arch9wavefront6targetE1EEEvT1_ ; -- Begin function _ZN7rocprim17ROCPRIM_400000_NS6detail17trampoline_kernelINS0_14default_configENS1_25transform_config_selectorIlLb1EEEZNS1_14transform_implILb1ES3_S5_PlS7_NS0_8identityIlEEEE10hipError_tT2_T3_mT4_P12ihipStream_tbEUlT_E_NS1_11comp_targetILNS1_3genE0ELNS1_11target_archE4294967295ELNS1_3gpuE0ELNS1_3repE0EEENS1_30default_config_static_selectorELNS0_4arch9wavefront6targetE1EEEvT1_
	.globl	_ZN7rocprim17ROCPRIM_400000_NS6detail17trampoline_kernelINS0_14default_configENS1_25transform_config_selectorIlLb1EEEZNS1_14transform_implILb1ES3_S5_PlS7_NS0_8identityIlEEEE10hipError_tT2_T3_mT4_P12ihipStream_tbEUlT_E_NS1_11comp_targetILNS1_3genE0ELNS1_11target_archE4294967295ELNS1_3gpuE0ELNS1_3repE0EEENS1_30default_config_static_selectorELNS0_4arch9wavefront6targetE1EEEvT1_
	.p2align	8
	.type	_ZN7rocprim17ROCPRIM_400000_NS6detail17trampoline_kernelINS0_14default_configENS1_25transform_config_selectorIlLb1EEEZNS1_14transform_implILb1ES3_S5_PlS7_NS0_8identityIlEEEE10hipError_tT2_T3_mT4_P12ihipStream_tbEUlT_E_NS1_11comp_targetILNS1_3genE0ELNS1_11target_archE4294967295ELNS1_3gpuE0ELNS1_3repE0EEENS1_30default_config_static_selectorELNS0_4arch9wavefront6targetE1EEEvT1_,@function
_ZN7rocprim17ROCPRIM_400000_NS6detail17trampoline_kernelINS0_14default_configENS1_25transform_config_selectorIlLb1EEEZNS1_14transform_implILb1ES3_S5_PlS7_NS0_8identityIlEEEE10hipError_tT2_T3_mT4_P12ihipStream_tbEUlT_E_NS1_11comp_targetILNS1_3genE0ELNS1_11target_archE4294967295ELNS1_3gpuE0ELNS1_3repE0EEENS1_30default_config_static_selectorELNS0_4arch9wavefront6targetE1EEEvT1_: ; @_ZN7rocprim17ROCPRIM_400000_NS6detail17trampoline_kernelINS0_14default_configENS1_25transform_config_selectorIlLb1EEEZNS1_14transform_implILb1ES3_S5_PlS7_NS0_8identityIlEEEE10hipError_tT2_T3_mT4_P12ihipStream_tbEUlT_E_NS1_11comp_targetILNS1_3genE0ELNS1_11target_archE4294967295ELNS1_3gpuE0ELNS1_3repE0EEENS1_30default_config_static_selectorELNS0_4arch9wavefront6targetE1EEEvT1_
; %bb.0:
	.section	.rodata,"a",@progbits
	.p2align	6, 0x0
	.amdhsa_kernel _ZN7rocprim17ROCPRIM_400000_NS6detail17trampoline_kernelINS0_14default_configENS1_25transform_config_selectorIlLb1EEEZNS1_14transform_implILb1ES3_S5_PlS7_NS0_8identityIlEEEE10hipError_tT2_T3_mT4_P12ihipStream_tbEUlT_E_NS1_11comp_targetILNS1_3genE0ELNS1_11target_archE4294967295ELNS1_3gpuE0ELNS1_3repE0EEENS1_30default_config_static_selectorELNS0_4arch9wavefront6targetE1EEEvT1_
		.amdhsa_group_segment_fixed_size 0
		.amdhsa_private_segment_fixed_size 0
		.amdhsa_kernarg_size 40
		.amdhsa_user_sgpr_count 2
		.amdhsa_user_sgpr_dispatch_ptr 0
		.amdhsa_user_sgpr_queue_ptr 0
		.amdhsa_user_sgpr_kernarg_segment_ptr 1
		.amdhsa_user_sgpr_dispatch_id 0
		.amdhsa_user_sgpr_kernarg_preload_length 0
		.amdhsa_user_sgpr_kernarg_preload_offset 0
		.amdhsa_user_sgpr_private_segment_size 0
		.amdhsa_uses_dynamic_stack 0
		.amdhsa_enable_private_segment 0
		.amdhsa_system_sgpr_workgroup_id_x 1
		.amdhsa_system_sgpr_workgroup_id_y 0
		.amdhsa_system_sgpr_workgroup_id_z 0
		.amdhsa_system_sgpr_workgroup_info 0
		.amdhsa_system_vgpr_workitem_id 0
		.amdhsa_next_free_vgpr 1
		.amdhsa_next_free_sgpr 0
		.amdhsa_accum_offset 4
		.amdhsa_reserve_vcc 0
		.amdhsa_float_round_mode_32 0
		.amdhsa_float_round_mode_16_64 0
		.amdhsa_float_denorm_mode_32 3
		.amdhsa_float_denorm_mode_16_64 3
		.amdhsa_dx10_clamp 1
		.amdhsa_ieee_mode 1
		.amdhsa_fp16_overflow 0
		.amdhsa_tg_split 0
		.amdhsa_exception_fp_ieee_invalid_op 0
		.amdhsa_exception_fp_denorm_src 0
		.amdhsa_exception_fp_ieee_div_zero 0
		.amdhsa_exception_fp_ieee_overflow 0
		.amdhsa_exception_fp_ieee_underflow 0
		.amdhsa_exception_fp_ieee_inexact 0
		.amdhsa_exception_int_div_zero 0
	.end_amdhsa_kernel
	.section	.text._ZN7rocprim17ROCPRIM_400000_NS6detail17trampoline_kernelINS0_14default_configENS1_25transform_config_selectorIlLb1EEEZNS1_14transform_implILb1ES3_S5_PlS7_NS0_8identityIlEEEE10hipError_tT2_T3_mT4_P12ihipStream_tbEUlT_E_NS1_11comp_targetILNS1_3genE0ELNS1_11target_archE4294967295ELNS1_3gpuE0ELNS1_3repE0EEENS1_30default_config_static_selectorELNS0_4arch9wavefront6targetE1EEEvT1_,"axG",@progbits,_ZN7rocprim17ROCPRIM_400000_NS6detail17trampoline_kernelINS0_14default_configENS1_25transform_config_selectorIlLb1EEEZNS1_14transform_implILb1ES3_S5_PlS7_NS0_8identityIlEEEE10hipError_tT2_T3_mT4_P12ihipStream_tbEUlT_E_NS1_11comp_targetILNS1_3genE0ELNS1_11target_archE4294967295ELNS1_3gpuE0ELNS1_3repE0EEENS1_30default_config_static_selectorELNS0_4arch9wavefront6targetE1EEEvT1_,comdat
.Lfunc_end43:
	.size	_ZN7rocprim17ROCPRIM_400000_NS6detail17trampoline_kernelINS0_14default_configENS1_25transform_config_selectorIlLb1EEEZNS1_14transform_implILb1ES3_S5_PlS7_NS0_8identityIlEEEE10hipError_tT2_T3_mT4_P12ihipStream_tbEUlT_E_NS1_11comp_targetILNS1_3genE0ELNS1_11target_archE4294967295ELNS1_3gpuE0ELNS1_3repE0EEENS1_30default_config_static_selectorELNS0_4arch9wavefront6targetE1EEEvT1_, .Lfunc_end43-_ZN7rocprim17ROCPRIM_400000_NS6detail17trampoline_kernelINS0_14default_configENS1_25transform_config_selectorIlLb1EEEZNS1_14transform_implILb1ES3_S5_PlS7_NS0_8identityIlEEEE10hipError_tT2_T3_mT4_P12ihipStream_tbEUlT_E_NS1_11comp_targetILNS1_3genE0ELNS1_11target_archE4294967295ELNS1_3gpuE0ELNS1_3repE0EEENS1_30default_config_static_selectorELNS0_4arch9wavefront6targetE1EEEvT1_
                                        ; -- End function
	.section	.AMDGPU.csdata,"",@progbits
; Kernel info:
; codeLenInByte = 0
; NumSgprs: 6
; NumVgprs: 0
; NumAgprs: 0
; TotalNumVgprs: 0
; ScratchSize: 0
; MemoryBound: 0
; FloatMode: 240
; IeeeMode: 1
; LDSByteSize: 0 bytes/workgroup (compile time only)
; SGPRBlocks: 0
; VGPRBlocks: 0
; NumSGPRsForWavesPerEU: 6
; NumVGPRsForWavesPerEU: 1
; AccumOffset: 4
; Occupancy: 8
; WaveLimiterHint : 0
; COMPUTE_PGM_RSRC2:SCRATCH_EN: 0
; COMPUTE_PGM_RSRC2:USER_SGPR: 2
; COMPUTE_PGM_RSRC2:TRAP_HANDLER: 0
; COMPUTE_PGM_RSRC2:TGID_X_EN: 1
; COMPUTE_PGM_RSRC2:TGID_Y_EN: 0
; COMPUTE_PGM_RSRC2:TGID_Z_EN: 0
; COMPUTE_PGM_RSRC2:TIDIG_COMP_CNT: 0
; COMPUTE_PGM_RSRC3_GFX90A:ACCUM_OFFSET: 0
; COMPUTE_PGM_RSRC3_GFX90A:TG_SPLIT: 0
	.section	.text._ZN7rocprim17ROCPRIM_400000_NS6detail17trampoline_kernelINS0_14default_configENS1_25transform_config_selectorIlLb1EEEZNS1_14transform_implILb1ES3_S5_PlS7_NS0_8identityIlEEEE10hipError_tT2_T3_mT4_P12ihipStream_tbEUlT_E_NS1_11comp_targetILNS1_3genE10ELNS1_11target_archE1201ELNS1_3gpuE5ELNS1_3repE0EEENS1_30default_config_static_selectorELNS0_4arch9wavefront6targetE1EEEvT1_,"axG",@progbits,_ZN7rocprim17ROCPRIM_400000_NS6detail17trampoline_kernelINS0_14default_configENS1_25transform_config_selectorIlLb1EEEZNS1_14transform_implILb1ES3_S5_PlS7_NS0_8identityIlEEEE10hipError_tT2_T3_mT4_P12ihipStream_tbEUlT_E_NS1_11comp_targetILNS1_3genE10ELNS1_11target_archE1201ELNS1_3gpuE5ELNS1_3repE0EEENS1_30default_config_static_selectorELNS0_4arch9wavefront6targetE1EEEvT1_,comdat
	.protected	_ZN7rocprim17ROCPRIM_400000_NS6detail17trampoline_kernelINS0_14default_configENS1_25transform_config_selectorIlLb1EEEZNS1_14transform_implILb1ES3_S5_PlS7_NS0_8identityIlEEEE10hipError_tT2_T3_mT4_P12ihipStream_tbEUlT_E_NS1_11comp_targetILNS1_3genE10ELNS1_11target_archE1201ELNS1_3gpuE5ELNS1_3repE0EEENS1_30default_config_static_selectorELNS0_4arch9wavefront6targetE1EEEvT1_ ; -- Begin function _ZN7rocprim17ROCPRIM_400000_NS6detail17trampoline_kernelINS0_14default_configENS1_25transform_config_selectorIlLb1EEEZNS1_14transform_implILb1ES3_S5_PlS7_NS0_8identityIlEEEE10hipError_tT2_T3_mT4_P12ihipStream_tbEUlT_E_NS1_11comp_targetILNS1_3genE10ELNS1_11target_archE1201ELNS1_3gpuE5ELNS1_3repE0EEENS1_30default_config_static_selectorELNS0_4arch9wavefront6targetE1EEEvT1_
	.globl	_ZN7rocprim17ROCPRIM_400000_NS6detail17trampoline_kernelINS0_14default_configENS1_25transform_config_selectorIlLb1EEEZNS1_14transform_implILb1ES3_S5_PlS7_NS0_8identityIlEEEE10hipError_tT2_T3_mT4_P12ihipStream_tbEUlT_E_NS1_11comp_targetILNS1_3genE10ELNS1_11target_archE1201ELNS1_3gpuE5ELNS1_3repE0EEENS1_30default_config_static_selectorELNS0_4arch9wavefront6targetE1EEEvT1_
	.p2align	8
	.type	_ZN7rocprim17ROCPRIM_400000_NS6detail17trampoline_kernelINS0_14default_configENS1_25transform_config_selectorIlLb1EEEZNS1_14transform_implILb1ES3_S5_PlS7_NS0_8identityIlEEEE10hipError_tT2_T3_mT4_P12ihipStream_tbEUlT_E_NS1_11comp_targetILNS1_3genE10ELNS1_11target_archE1201ELNS1_3gpuE5ELNS1_3repE0EEENS1_30default_config_static_selectorELNS0_4arch9wavefront6targetE1EEEvT1_,@function
_ZN7rocprim17ROCPRIM_400000_NS6detail17trampoline_kernelINS0_14default_configENS1_25transform_config_selectorIlLb1EEEZNS1_14transform_implILb1ES3_S5_PlS7_NS0_8identityIlEEEE10hipError_tT2_T3_mT4_P12ihipStream_tbEUlT_E_NS1_11comp_targetILNS1_3genE10ELNS1_11target_archE1201ELNS1_3gpuE5ELNS1_3repE0EEENS1_30default_config_static_selectorELNS0_4arch9wavefront6targetE1EEEvT1_: ; @_ZN7rocprim17ROCPRIM_400000_NS6detail17trampoline_kernelINS0_14default_configENS1_25transform_config_selectorIlLb1EEEZNS1_14transform_implILb1ES3_S5_PlS7_NS0_8identityIlEEEE10hipError_tT2_T3_mT4_P12ihipStream_tbEUlT_E_NS1_11comp_targetILNS1_3genE10ELNS1_11target_archE1201ELNS1_3gpuE5ELNS1_3repE0EEENS1_30default_config_static_selectorELNS0_4arch9wavefront6targetE1EEEvT1_
; %bb.0:
	.section	.rodata,"a",@progbits
	.p2align	6, 0x0
	.amdhsa_kernel _ZN7rocprim17ROCPRIM_400000_NS6detail17trampoline_kernelINS0_14default_configENS1_25transform_config_selectorIlLb1EEEZNS1_14transform_implILb1ES3_S5_PlS7_NS0_8identityIlEEEE10hipError_tT2_T3_mT4_P12ihipStream_tbEUlT_E_NS1_11comp_targetILNS1_3genE10ELNS1_11target_archE1201ELNS1_3gpuE5ELNS1_3repE0EEENS1_30default_config_static_selectorELNS0_4arch9wavefront6targetE1EEEvT1_
		.amdhsa_group_segment_fixed_size 0
		.amdhsa_private_segment_fixed_size 0
		.amdhsa_kernarg_size 40
		.amdhsa_user_sgpr_count 2
		.amdhsa_user_sgpr_dispatch_ptr 0
		.amdhsa_user_sgpr_queue_ptr 0
		.amdhsa_user_sgpr_kernarg_segment_ptr 1
		.amdhsa_user_sgpr_dispatch_id 0
		.amdhsa_user_sgpr_kernarg_preload_length 0
		.amdhsa_user_sgpr_kernarg_preload_offset 0
		.amdhsa_user_sgpr_private_segment_size 0
		.amdhsa_uses_dynamic_stack 0
		.amdhsa_enable_private_segment 0
		.amdhsa_system_sgpr_workgroup_id_x 1
		.amdhsa_system_sgpr_workgroup_id_y 0
		.amdhsa_system_sgpr_workgroup_id_z 0
		.amdhsa_system_sgpr_workgroup_info 0
		.amdhsa_system_vgpr_workitem_id 0
		.amdhsa_next_free_vgpr 1
		.amdhsa_next_free_sgpr 0
		.amdhsa_accum_offset 4
		.amdhsa_reserve_vcc 0
		.amdhsa_float_round_mode_32 0
		.amdhsa_float_round_mode_16_64 0
		.amdhsa_float_denorm_mode_32 3
		.amdhsa_float_denorm_mode_16_64 3
		.amdhsa_dx10_clamp 1
		.amdhsa_ieee_mode 1
		.amdhsa_fp16_overflow 0
		.amdhsa_tg_split 0
		.amdhsa_exception_fp_ieee_invalid_op 0
		.amdhsa_exception_fp_denorm_src 0
		.amdhsa_exception_fp_ieee_div_zero 0
		.amdhsa_exception_fp_ieee_overflow 0
		.amdhsa_exception_fp_ieee_underflow 0
		.amdhsa_exception_fp_ieee_inexact 0
		.amdhsa_exception_int_div_zero 0
	.end_amdhsa_kernel
	.section	.text._ZN7rocprim17ROCPRIM_400000_NS6detail17trampoline_kernelINS0_14default_configENS1_25transform_config_selectorIlLb1EEEZNS1_14transform_implILb1ES3_S5_PlS7_NS0_8identityIlEEEE10hipError_tT2_T3_mT4_P12ihipStream_tbEUlT_E_NS1_11comp_targetILNS1_3genE10ELNS1_11target_archE1201ELNS1_3gpuE5ELNS1_3repE0EEENS1_30default_config_static_selectorELNS0_4arch9wavefront6targetE1EEEvT1_,"axG",@progbits,_ZN7rocprim17ROCPRIM_400000_NS6detail17trampoline_kernelINS0_14default_configENS1_25transform_config_selectorIlLb1EEEZNS1_14transform_implILb1ES3_S5_PlS7_NS0_8identityIlEEEE10hipError_tT2_T3_mT4_P12ihipStream_tbEUlT_E_NS1_11comp_targetILNS1_3genE10ELNS1_11target_archE1201ELNS1_3gpuE5ELNS1_3repE0EEENS1_30default_config_static_selectorELNS0_4arch9wavefront6targetE1EEEvT1_,comdat
.Lfunc_end44:
	.size	_ZN7rocprim17ROCPRIM_400000_NS6detail17trampoline_kernelINS0_14default_configENS1_25transform_config_selectorIlLb1EEEZNS1_14transform_implILb1ES3_S5_PlS7_NS0_8identityIlEEEE10hipError_tT2_T3_mT4_P12ihipStream_tbEUlT_E_NS1_11comp_targetILNS1_3genE10ELNS1_11target_archE1201ELNS1_3gpuE5ELNS1_3repE0EEENS1_30default_config_static_selectorELNS0_4arch9wavefront6targetE1EEEvT1_, .Lfunc_end44-_ZN7rocprim17ROCPRIM_400000_NS6detail17trampoline_kernelINS0_14default_configENS1_25transform_config_selectorIlLb1EEEZNS1_14transform_implILb1ES3_S5_PlS7_NS0_8identityIlEEEE10hipError_tT2_T3_mT4_P12ihipStream_tbEUlT_E_NS1_11comp_targetILNS1_3genE10ELNS1_11target_archE1201ELNS1_3gpuE5ELNS1_3repE0EEENS1_30default_config_static_selectorELNS0_4arch9wavefront6targetE1EEEvT1_
                                        ; -- End function
	.section	.AMDGPU.csdata,"",@progbits
; Kernel info:
; codeLenInByte = 0
; NumSgprs: 6
; NumVgprs: 0
; NumAgprs: 0
; TotalNumVgprs: 0
; ScratchSize: 0
; MemoryBound: 0
; FloatMode: 240
; IeeeMode: 1
; LDSByteSize: 0 bytes/workgroup (compile time only)
; SGPRBlocks: 0
; VGPRBlocks: 0
; NumSGPRsForWavesPerEU: 6
; NumVGPRsForWavesPerEU: 1
; AccumOffset: 4
; Occupancy: 8
; WaveLimiterHint : 0
; COMPUTE_PGM_RSRC2:SCRATCH_EN: 0
; COMPUTE_PGM_RSRC2:USER_SGPR: 2
; COMPUTE_PGM_RSRC2:TRAP_HANDLER: 0
; COMPUTE_PGM_RSRC2:TGID_X_EN: 1
; COMPUTE_PGM_RSRC2:TGID_Y_EN: 0
; COMPUTE_PGM_RSRC2:TGID_Z_EN: 0
; COMPUTE_PGM_RSRC2:TIDIG_COMP_CNT: 0
; COMPUTE_PGM_RSRC3_GFX90A:ACCUM_OFFSET: 0
; COMPUTE_PGM_RSRC3_GFX90A:TG_SPLIT: 0
	.section	.text._ZN7rocprim17ROCPRIM_400000_NS6detail17trampoline_kernelINS0_14default_configENS1_25transform_config_selectorIlLb1EEEZNS1_14transform_implILb1ES3_S5_PlS7_NS0_8identityIlEEEE10hipError_tT2_T3_mT4_P12ihipStream_tbEUlT_E_NS1_11comp_targetILNS1_3genE5ELNS1_11target_archE942ELNS1_3gpuE9ELNS1_3repE0EEENS1_30default_config_static_selectorELNS0_4arch9wavefront6targetE1EEEvT1_,"axG",@progbits,_ZN7rocprim17ROCPRIM_400000_NS6detail17trampoline_kernelINS0_14default_configENS1_25transform_config_selectorIlLb1EEEZNS1_14transform_implILb1ES3_S5_PlS7_NS0_8identityIlEEEE10hipError_tT2_T3_mT4_P12ihipStream_tbEUlT_E_NS1_11comp_targetILNS1_3genE5ELNS1_11target_archE942ELNS1_3gpuE9ELNS1_3repE0EEENS1_30default_config_static_selectorELNS0_4arch9wavefront6targetE1EEEvT1_,comdat
	.protected	_ZN7rocprim17ROCPRIM_400000_NS6detail17trampoline_kernelINS0_14default_configENS1_25transform_config_selectorIlLb1EEEZNS1_14transform_implILb1ES3_S5_PlS7_NS0_8identityIlEEEE10hipError_tT2_T3_mT4_P12ihipStream_tbEUlT_E_NS1_11comp_targetILNS1_3genE5ELNS1_11target_archE942ELNS1_3gpuE9ELNS1_3repE0EEENS1_30default_config_static_selectorELNS0_4arch9wavefront6targetE1EEEvT1_ ; -- Begin function _ZN7rocprim17ROCPRIM_400000_NS6detail17trampoline_kernelINS0_14default_configENS1_25transform_config_selectorIlLb1EEEZNS1_14transform_implILb1ES3_S5_PlS7_NS0_8identityIlEEEE10hipError_tT2_T3_mT4_P12ihipStream_tbEUlT_E_NS1_11comp_targetILNS1_3genE5ELNS1_11target_archE942ELNS1_3gpuE9ELNS1_3repE0EEENS1_30default_config_static_selectorELNS0_4arch9wavefront6targetE1EEEvT1_
	.globl	_ZN7rocprim17ROCPRIM_400000_NS6detail17trampoline_kernelINS0_14default_configENS1_25transform_config_selectorIlLb1EEEZNS1_14transform_implILb1ES3_S5_PlS7_NS0_8identityIlEEEE10hipError_tT2_T3_mT4_P12ihipStream_tbEUlT_E_NS1_11comp_targetILNS1_3genE5ELNS1_11target_archE942ELNS1_3gpuE9ELNS1_3repE0EEENS1_30default_config_static_selectorELNS0_4arch9wavefront6targetE1EEEvT1_
	.p2align	8
	.type	_ZN7rocprim17ROCPRIM_400000_NS6detail17trampoline_kernelINS0_14default_configENS1_25transform_config_selectorIlLb1EEEZNS1_14transform_implILb1ES3_S5_PlS7_NS0_8identityIlEEEE10hipError_tT2_T3_mT4_P12ihipStream_tbEUlT_E_NS1_11comp_targetILNS1_3genE5ELNS1_11target_archE942ELNS1_3gpuE9ELNS1_3repE0EEENS1_30default_config_static_selectorELNS0_4arch9wavefront6targetE1EEEvT1_,@function
_ZN7rocprim17ROCPRIM_400000_NS6detail17trampoline_kernelINS0_14default_configENS1_25transform_config_selectorIlLb1EEEZNS1_14transform_implILb1ES3_S5_PlS7_NS0_8identityIlEEEE10hipError_tT2_T3_mT4_P12ihipStream_tbEUlT_E_NS1_11comp_targetILNS1_3genE5ELNS1_11target_archE942ELNS1_3gpuE9ELNS1_3repE0EEENS1_30default_config_static_selectorELNS0_4arch9wavefront6targetE1EEEvT1_: ; @_ZN7rocprim17ROCPRIM_400000_NS6detail17trampoline_kernelINS0_14default_configENS1_25transform_config_selectorIlLb1EEEZNS1_14transform_implILb1ES3_S5_PlS7_NS0_8identityIlEEEE10hipError_tT2_T3_mT4_P12ihipStream_tbEUlT_E_NS1_11comp_targetILNS1_3genE5ELNS1_11target_archE942ELNS1_3gpuE9ELNS1_3repE0EEENS1_30default_config_static_selectorELNS0_4arch9wavefront6targetE1EEEvT1_
; %bb.0:
	s_load_dwordx8 s[4:11], s[0:1], 0x0
	s_load_dword s3, s[0:1], 0x28
	s_waitcnt lgkmcnt(0)
	s_lshl_b64 s[0:1], s[6:7], 3
	s_add_u32 s6, s4, s0
	s_addc_u32 s7, s5, s1
	s_add_u32 s9, s10, s0
	s_addc_u32 s10, s11, s1
	s_lshl_b32 s0, s2, 10
	s_mov_b32 s1, 0
	s_add_i32 s3, s3, -1
	s_lshl_b64 s[4:5], s[0:1], 3
	s_add_u32 s6, s6, s4
	s_addc_u32 s7, s7, s5
	s_cmp_lg_u32 s2, s3
	s_mov_b64 s[2:3], -1
	s_cbranch_scc0 .LBB45_2
; %bb.1:
	v_lshlrev_b32_e32 v1, 4, v0
	global_load_dwordx4 v[2:5], v1, s[6:7] nt
	s_add_u32 s2, s9, s4
	s_addc_u32 s3, s10, s5
	s_waitcnt vmcnt(0)
	global_store_dwordx4 v1, v[2:5], s[2:3]
	s_mov_b64 s[2:3], 0
.LBB45_2:
	s_andn2_b64 vcc, exec, s[2:3]
	s_cbranch_vccnz .LBB45_11
; %bb.3:
	s_sub_i32 s2, s8, s0
	v_cmp_gt_u32_e32 vcc, s2, v0
	v_lshlrev_b32_e32 v6, 3, v0
                                        ; implicit-def: $vgpr2_vgpr3_vgpr4_vgpr5
	s_and_saveexec_b64 s[0:1], vcc
	s_cbranch_execz .LBB45_5
; %bb.4:
	global_load_dwordx2 v[2:3], v6, s[6:7]
.LBB45_5:
	s_or_b64 exec, exec, s[0:1]
	v_or_b32_e32 v0, 0x200, v0
	v_cmp_gt_u32_e64 s[0:1], s2, v0
	s_and_saveexec_b64 s[2:3], s[0:1]
	s_cbranch_execz .LBB45_7
; %bb.6:
	v_lshlrev_b32_e32 v0, 3, v0
	global_load_dwordx2 v[4:5], v0, s[6:7]
.LBB45_7:
	s_or_b64 exec, exec, s[2:3]
	s_add_u32 s2, s9, s4
	s_addc_u32 s3, s10, s5
	v_mov_b32_e32 v7, 0
	v_lshl_add_u64 v[0:1], s[2:3], 0, v[6:7]
	s_and_saveexec_b64 s[2:3], vcc
	s_cbranch_execz .LBB45_9
; %bb.8:
	s_waitcnt vmcnt(0)
	global_store_dwordx2 v[0:1], v[2:3], off
.LBB45_9:
	s_or_b64 exec, exec, s[2:3]
	s_and_saveexec_b64 s[2:3], s[0:1]
	s_cbranch_execz .LBB45_11
; %bb.10:
	v_add_co_u32_e32 v0, vcc, 0x1000, v0
	s_nop 1
	v_addc_co_u32_e32 v1, vcc, 0, v1, vcc
	s_waitcnt vmcnt(0)
	global_store_dwordx2 v[0:1], v[4:5], off
.LBB45_11:
	s_endpgm
	.section	.rodata,"a",@progbits
	.p2align	6, 0x0
	.amdhsa_kernel _ZN7rocprim17ROCPRIM_400000_NS6detail17trampoline_kernelINS0_14default_configENS1_25transform_config_selectorIlLb1EEEZNS1_14transform_implILb1ES3_S5_PlS7_NS0_8identityIlEEEE10hipError_tT2_T3_mT4_P12ihipStream_tbEUlT_E_NS1_11comp_targetILNS1_3genE5ELNS1_11target_archE942ELNS1_3gpuE9ELNS1_3repE0EEENS1_30default_config_static_selectorELNS0_4arch9wavefront6targetE1EEEvT1_
		.amdhsa_group_segment_fixed_size 0
		.amdhsa_private_segment_fixed_size 0
		.amdhsa_kernarg_size 296
		.amdhsa_user_sgpr_count 2
		.amdhsa_user_sgpr_dispatch_ptr 0
		.amdhsa_user_sgpr_queue_ptr 0
		.amdhsa_user_sgpr_kernarg_segment_ptr 1
		.amdhsa_user_sgpr_dispatch_id 0
		.amdhsa_user_sgpr_kernarg_preload_length 0
		.amdhsa_user_sgpr_kernarg_preload_offset 0
		.amdhsa_user_sgpr_private_segment_size 0
		.amdhsa_uses_dynamic_stack 0
		.amdhsa_enable_private_segment 0
		.amdhsa_system_sgpr_workgroup_id_x 1
		.amdhsa_system_sgpr_workgroup_id_y 0
		.amdhsa_system_sgpr_workgroup_id_z 0
		.amdhsa_system_sgpr_workgroup_info 0
		.amdhsa_system_vgpr_workitem_id 0
		.amdhsa_next_free_vgpr 8
		.amdhsa_next_free_sgpr 12
		.amdhsa_accum_offset 8
		.amdhsa_reserve_vcc 1
		.amdhsa_float_round_mode_32 0
		.amdhsa_float_round_mode_16_64 0
		.amdhsa_float_denorm_mode_32 3
		.amdhsa_float_denorm_mode_16_64 3
		.amdhsa_dx10_clamp 1
		.amdhsa_ieee_mode 1
		.amdhsa_fp16_overflow 0
		.amdhsa_tg_split 0
		.amdhsa_exception_fp_ieee_invalid_op 0
		.amdhsa_exception_fp_denorm_src 0
		.amdhsa_exception_fp_ieee_div_zero 0
		.amdhsa_exception_fp_ieee_overflow 0
		.amdhsa_exception_fp_ieee_underflow 0
		.amdhsa_exception_fp_ieee_inexact 0
		.amdhsa_exception_int_div_zero 0
	.end_amdhsa_kernel
	.section	.text._ZN7rocprim17ROCPRIM_400000_NS6detail17trampoline_kernelINS0_14default_configENS1_25transform_config_selectorIlLb1EEEZNS1_14transform_implILb1ES3_S5_PlS7_NS0_8identityIlEEEE10hipError_tT2_T3_mT4_P12ihipStream_tbEUlT_E_NS1_11comp_targetILNS1_3genE5ELNS1_11target_archE942ELNS1_3gpuE9ELNS1_3repE0EEENS1_30default_config_static_selectorELNS0_4arch9wavefront6targetE1EEEvT1_,"axG",@progbits,_ZN7rocprim17ROCPRIM_400000_NS6detail17trampoline_kernelINS0_14default_configENS1_25transform_config_selectorIlLb1EEEZNS1_14transform_implILb1ES3_S5_PlS7_NS0_8identityIlEEEE10hipError_tT2_T3_mT4_P12ihipStream_tbEUlT_E_NS1_11comp_targetILNS1_3genE5ELNS1_11target_archE942ELNS1_3gpuE9ELNS1_3repE0EEENS1_30default_config_static_selectorELNS0_4arch9wavefront6targetE1EEEvT1_,comdat
.Lfunc_end45:
	.size	_ZN7rocprim17ROCPRIM_400000_NS6detail17trampoline_kernelINS0_14default_configENS1_25transform_config_selectorIlLb1EEEZNS1_14transform_implILb1ES3_S5_PlS7_NS0_8identityIlEEEE10hipError_tT2_T3_mT4_P12ihipStream_tbEUlT_E_NS1_11comp_targetILNS1_3genE5ELNS1_11target_archE942ELNS1_3gpuE9ELNS1_3repE0EEENS1_30default_config_static_selectorELNS0_4arch9wavefront6targetE1EEEvT1_, .Lfunc_end45-_ZN7rocprim17ROCPRIM_400000_NS6detail17trampoline_kernelINS0_14default_configENS1_25transform_config_selectorIlLb1EEEZNS1_14transform_implILb1ES3_S5_PlS7_NS0_8identityIlEEEE10hipError_tT2_T3_mT4_P12ihipStream_tbEUlT_E_NS1_11comp_targetILNS1_3genE5ELNS1_11target_archE942ELNS1_3gpuE9ELNS1_3repE0EEENS1_30default_config_static_selectorELNS0_4arch9wavefront6targetE1EEEvT1_
                                        ; -- End function
	.section	.AMDGPU.csdata,"",@progbits
; Kernel info:
; codeLenInByte = 276
; NumSgprs: 18
; NumVgprs: 8
; NumAgprs: 0
; TotalNumVgprs: 8
; ScratchSize: 0
; MemoryBound: 1
; FloatMode: 240
; IeeeMode: 1
; LDSByteSize: 0 bytes/workgroup (compile time only)
; SGPRBlocks: 2
; VGPRBlocks: 0
; NumSGPRsForWavesPerEU: 18
; NumVGPRsForWavesPerEU: 8
; AccumOffset: 8
; Occupancy: 8
; WaveLimiterHint : 0
; COMPUTE_PGM_RSRC2:SCRATCH_EN: 0
; COMPUTE_PGM_RSRC2:USER_SGPR: 2
; COMPUTE_PGM_RSRC2:TRAP_HANDLER: 0
; COMPUTE_PGM_RSRC2:TGID_X_EN: 1
; COMPUTE_PGM_RSRC2:TGID_Y_EN: 0
; COMPUTE_PGM_RSRC2:TGID_Z_EN: 0
; COMPUTE_PGM_RSRC2:TIDIG_COMP_CNT: 0
; COMPUTE_PGM_RSRC3_GFX90A:ACCUM_OFFSET: 1
; COMPUTE_PGM_RSRC3_GFX90A:TG_SPLIT: 0
	.section	.text._ZN7rocprim17ROCPRIM_400000_NS6detail17trampoline_kernelINS0_14default_configENS1_25transform_config_selectorIlLb1EEEZNS1_14transform_implILb1ES3_S5_PlS7_NS0_8identityIlEEEE10hipError_tT2_T3_mT4_P12ihipStream_tbEUlT_E_NS1_11comp_targetILNS1_3genE4ELNS1_11target_archE910ELNS1_3gpuE8ELNS1_3repE0EEENS1_30default_config_static_selectorELNS0_4arch9wavefront6targetE1EEEvT1_,"axG",@progbits,_ZN7rocprim17ROCPRIM_400000_NS6detail17trampoline_kernelINS0_14default_configENS1_25transform_config_selectorIlLb1EEEZNS1_14transform_implILb1ES3_S5_PlS7_NS0_8identityIlEEEE10hipError_tT2_T3_mT4_P12ihipStream_tbEUlT_E_NS1_11comp_targetILNS1_3genE4ELNS1_11target_archE910ELNS1_3gpuE8ELNS1_3repE0EEENS1_30default_config_static_selectorELNS0_4arch9wavefront6targetE1EEEvT1_,comdat
	.protected	_ZN7rocprim17ROCPRIM_400000_NS6detail17trampoline_kernelINS0_14default_configENS1_25transform_config_selectorIlLb1EEEZNS1_14transform_implILb1ES3_S5_PlS7_NS0_8identityIlEEEE10hipError_tT2_T3_mT4_P12ihipStream_tbEUlT_E_NS1_11comp_targetILNS1_3genE4ELNS1_11target_archE910ELNS1_3gpuE8ELNS1_3repE0EEENS1_30default_config_static_selectorELNS0_4arch9wavefront6targetE1EEEvT1_ ; -- Begin function _ZN7rocprim17ROCPRIM_400000_NS6detail17trampoline_kernelINS0_14default_configENS1_25transform_config_selectorIlLb1EEEZNS1_14transform_implILb1ES3_S5_PlS7_NS0_8identityIlEEEE10hipError_tT2_T3_mT4_P12ihipStream_tbEUlT_E_NS1_11comp_targetILNS1_3genE4ELNS1_11target_archE910ELNS1_3gpuE8ELNS1_3repE0EEENS1_30default_config_static_selectorELNS0_4arch9wavefront6targetE1EEEvT1_
	.globl	_ZN7rocprim17ROCPRIM_400000_NS6detail17trampoline_kernelINS0_14default_configENS1_25transform_config_selectorIlLb1EEEZNS1_14transform_implILb1ES3_S5_PlS7_NS0_8identityIlEEEE10hipError_tT2_T3_mT4_P12ihipStream_tbEUlT_E_NS1_11comp_targetILNS1_3genE4ELNS1_11target_archE910ELNS1_3gpuE8ELNS1_3repE0EEENS1_30default_config_static_selectorELNS0_4arch9wavefront6targetE1EEEvT1_
	.p2align	8
	.type	_ZN7rocprim17ROCPRIM_400000_NS6detail17trampoline_kernelINS0_14default_configENS1_25transform_config_selectorIlLb1EEEZNS1_14transform_implILb1ES3_S5_PlS7_NS0_8identityIlEEEE10hipError_tT2_T3_mT4_P12ihipStream_tbEUlT_E_NS1_11comp_targetILNS1_3genE4ELNS1_11target_archE910ELNS1_3gpuE8ELNS1_3repE0EEENS1_30default_config_static_selectorELNS0_4arch9wavefront6targetE1EEEvT1_,@function
_ZN7rocprim17ROCPRIM_400000_NS6detail17trampoline_kernelINS0_14default_configENS1_25transform_config_selectorIlLb1EEEZNS1_14transform_implILb1ES3_S5_PlS7_NS0_8identityIlEEEE10hipError_tT2_T3_mT4_P12ihipStream_tbEUlT_E_NS1_11comp_targetILNS1_3genE4ELNS1_11target_archE910ELNS1_3gpuE8ELNS1_3repE0EEENS1_30default_config_static_selectorELNS0_4arch9wavefront6targetE1EEEvT1_: ; @_ZN7rocprim17ROCPRIM_400000_NS6detail17trampoline_kernelINS0_14default_configENS1_25transform_config_selectorIlLb1EEEZNS1_14transform_implILb1ES3_S5_PlS7_NS0_8identityIlEEEE10hipError_tT2_T3_mT4_P12ihipStream_tbEUlT_E_NS1_11comp_targetILNS1_3genE4ELNS1_11target_archE910ELNS1_3gpuE8ELNS1_3repE0EEENS1_30default_config_static_selectorELNS0_4arch9wavefront6targetE1EEEvT1_
; %bb.0:
	.section	.rodata,"a",@progbits
	.p2align	6, 0x0
	.amdhsa_kernel _ZN7rocprim17ROCPRIM_400000_NS6detail17trampoline_kernelINS0_14default_configENS1_25transform_config_selectorIlLb1EEEZNS1_14transform_implILb1ES3_S5_PlS7_NS0_8identityIlEEEE10hipError_tT2_T3_mT4_P12ihipStream_tbEUlT_E_NS1_11comp_targetILNS1_3genE4ELNS1_11target_archE910ELNS1_3gpuE8ELNS1_3repE0EEENS1_30default_config_static_selectorELNS0_4arch9wavefront6targetE1EEEvT1_
		.amdhsa_group_segment_fixed_size 0
		.amdhsa_private_segment_fixed_size 0
		.amdhsa_kernarg_size 40
		.amdhsa_user_sgpr_count 2
		.amdhsa_user_sgpr_dispatch_ptr 0
		.amdhsa_user_sgpr_queue_ptr 0
		.amdhsa_user_sgpr_kernarg_segment_ptr 1
		.amdhsa_user_sgpr_dispatch_id 0
		.amdhsa_user_sgpr_kernarg_preload_length 0
		.amdhsa_user_sgpr_kernarg_preload_offset 0
		.amdhsa_user_sgpr_private_segment_size 0
		.amdhsa_uses_dynamic_stack 0
		.amdhsa_enable_private_segment 0
		.amdhsa_system_sgpr_workgroup_id_x 1
		.amdhsa_system_sgpr_workgroup_id_y 0
		.amdhsa_system_sgpr_workgroup_id_z 0
		.amdhsa_system_sgpr_workgroup_info 0
		.amdhsa_system_vgpr_workitem_id 0
		.amdhsa_next_free_vgpr 1
		.amdhsa_next_free_sgpr 0
		.amdhsa_accum_offset 4
		.amdhsa_reserve_vcc 0
		.amdhsa_float_round_mode_32 0
		.amdhsa_float_round_mode_16_64 0
		.amdhsa_float_denorm_mode_32 3
		.amdhsa_float_denorm_mode_16_64 3
		.amdhsa_dx10_clamp 1
		.amdhsa_ieee_mode 1
		.amdhsa_fp16_overflow 0
		.amdhsa_tg_split 0
		.amdhsa_exception_fp_ieee_invalid_op 0
		.amdhsa_exception_fp_denorm_src 0
		.amdhsa_exception_fp_ieee_div_zero 0
		.amdhsa_exception_fp_ieee_overflow 0
		.amdhsa_exception_fp_ieee_underflow 0
		.amdhsa_exception_fp_ieee_inexact 0
		.amdhsa_exception_int_div_zero 0
	.end_amdhsa_kernel
	.section	.text._ZN7rocprim17ROCPRIM_400000_NS6detail17trampoline_kernelINS0_14default_configENS1_25transform_config_selectorIlLb1EEEZNS1_14transform_implILb1ES3_S5_PlS7_NS0_8identityIlEEEE10hipError_tT2_T3_mT4_P12ihipStream_tbEUlT_E_NS1_11comp_targetILNS1_3genE4ELNS1_11target_archE910ELNS1_3gpuE8ELNS1_3repE0EEENS1_30default_config_static_selectorELNS0_4arch9wavefront6targetE1EEEvT1_,"axG",@progbits,_ZN7rocprim17ROCPRIM_400000_NS6detail17trampoline_kernelINS0_14default_configENS1_25transform_config_selectorIlLb1EEEZNS1_14transform_implILb1ES3_S5_PlS7_NS0_8identityIlEEEE10hipError_tT2_T3_mT4_P12ihipStream_tbEUlT_E_NS1_11comp_targetILNS1_3genE4ELNS1_11target_archE910ELNS1_3gpuE8ELNS1_3repE0EEENS1_30default_config_static_selectorELNS0_4arch9wavefront6targetE1EEEvT1_,comdat
.Lfunc_end46:
	.size	_ZN7rocprim17ROCPRIM_400000_NS6detail17trampoline_kernelINS0_14default_configENS1_25transform_config_selectorIlLb1EEEZNS1_14transform_implILb1ES3_S5_PlS7_NS0_8identityIlEEEE10hipError_tT2_T3_mT4_P12ihipStream_tbEUlT_E_NS1_11comp_targetILNS1_3genE4ELNS1_11target_archE910ELNS1_3gpuE8ELNS1_3repE0EEENS1_30default_config_static_selectorELNS0_4arch9wavefront6targetE1EEEvT1_, .Lfunc_end46-_ZN7rocprim17ROCPRIM_400000_NS6detail17trampoline_kernelINS0_14default_configENS1_25transform_config_selectorIlLb1EEEZNS1_14transform_implILb1ES3_S5_PlS7_NS0_8identityIlEEEE10hipError_tT2_T3_mT4_P12ihipStream_tbEUlT_E_NS1_11comp_targetILNS1_3genE4ELNS1_11target_archE910ELNS1_3gpuE8ELNS1_3repE0EEENS1_30default_config_static_selectorELNS0_4arch9wavefront6targetE1EEEvT1_
                                        ; -- End function
	.section	.AMDGPU.csdata,"",@progbits
; Kernel info:
; codeLenInByte = 0
; NumSgprs: 6
; NumVgprs: 0
; NumAgprs: 0
; TotalNumVgprs: 0
; ScratchSize: 0
; MemoryBound: 0
; FloatMode: 240
; IeeeMode: 1
; LDSByteSize: 0 bytes/workgroup (compile time only)
; SGPRBlocks: 0
; VGPRBlocks: 0
; NumSGPRsForWavesPerEU: 6
; NumVGPRsForWavesPerEU: 1
; AccumOffset: 4
; Occupancy: 8
; WaveLimiterHint : 0
; COMPUTE_PGM_RSRC2:SCRATCH_EN: 0
; COMPUTE_PGM_RSRC2:USER_SGPR: 2
; COMPUTE_PGM_RSRC2:TRAP_HANDLER: 0
; COMPUTE_PGM_RSRC2:TGID_X_EN: 1
; COMPUTE_PGM_RSRC2:TGID_Y_EN: 0
; COMPUTE_PGM_RSRC2:TGID_Z_EN: 0
; COMPUTE_PGM_RSRC2:TIDIG_COMP_CNT: 0
; COMPUTE_PGM_RSRC3_GFX90A:ACCUM_OFFSET: 0
; COMPUTE_PGM_RSRC3_GFX90A:TG_SPLIT: 0
	.section	.text._ZN7rocprim17ROCPRIM_400000_NS6detail17trampoline_kernelINS0_14default_configENS1_25transform_config_selectorIlLb1EEEZNS1_14transform_implILb1ES3_S5_PlS7_NS0_8identityIlEEEE10hipError_tT2_T3_mT4_P12ihipStream_tbEUlT_E_NS1_11comp_targetILNS1_3genE3ELNS1_11target_archE908ELNS1_3gpuE7ELNS1_3repE0EEENS1_30default_config_static_selectorELNS0_4arch9wavefront6targetE1EEEvT1_,"axG",@progbits,_ZN7rocprim17ROCPRIM_400000_NS6detail17trampoline_kernelINS0_14default_configENS1_25transform_config_selectorIlLb1EEEZNS1_14transform_implILb1ES3_S5_PlS7_NS0_8identityIlEEEE10hipError_tT2_T3_mT4_P12ihipStream_tbEUlT_E_NS1_11comp_targetILNS1_3genE3ELNS1_11target_archE908ELNS1_3gpuE7ELNS1_3repE0EEENS1_30default_config_static_selectorELNS0_4arch9wavefront6targetE1EEEvT1_,comdat
	.protected	_ZN7rocprim17ROCPRIM_400000_NS6detail17trampoline_kernelINS0_14default_configENS1_25transform_config_selectorIlLb1EEEZNS1_14transform_implILb1ES3_S5_PlS7_NS0_8identityIlEEEE10hipError_tT2_T3_mT4_P12ihipStream_tbEUlT_E_NS1_11comp_targetILNS1_3genE3ELNS1_11target_archE908ELNS1_3gpuE7ELNS1_3repE0EEENS1_30default_config_static_selectorELNS0_4arch9wavefront6targetE1EEEvT1_ ; -- Begin function _ZN7rocprim17ROCPRIM_400000_NS6detail17trampoline_kernelINS0_14default_configENS1_25transform_config_selectorIlLb1EEEZNS1_14transform_implILb1ES3_S5_PlS7_NS0_8identityIlEEEE10hipError_tT2_T3_mT4_P12ihipStream_tbEUlT_E_NS1_11comp_targetILNS1_3genE3ELNS1_11target_archE908ELNS1_3gpuE7ELNS1_3repE0EEENS1_30default_config_static_selectorELNS0_4arch9wavefront6targetE1EEEvT1_
	.globl	_ZN7rocprim17ROCPRIM_400000_NS6detail17trampoline_kernelINS0_14default_configENS1_25transform_config_selectorIlLb1EEEZNS1_14transform_implILb1ES3_S5_PlS7_NS0_8identityIlEEEE10hipError_tT2_T3_mT4_P12ihipStream_tbEUlT_E_NS1_11comp_targetILNS1_3genE3ELNS1_11target_archE908ELNS1_3gpuE7ELNS1_3repE0EEENS1_30default_config_static_selectorELNS0_4arch9wavefront6targetE1EEEvT1_
	.p2align	8
	.type	_ZN7rocprim17ROCPRIM_400000_NS6detail17trampoline_kernelINS0_14default_configENS1_25transform_config_selectorIlLb1EEEZNS1_14transform_implILb1ES3_S5_PlS7_NS0_8identityIlEEEE10hipError_tT2_T3_mT4_P12ihipStream_tbEUlT_E_NS1_11comp_targetILNS1_3genE3ELNS1_11target_archE908ELNS1_3gpuE7ELNS1_3repE0EEENS1_30default_config_static_selectorELNS0_4arch9wavefront6targetE1EEEvT1_,@function
_ZN7rocprim17ROCPRIM_400000_NS6detail17trampoline_kernelINS0_14default_configENS1_25transform_config_selectorIlLb1EEEZNS1_14transform_implILb1ES3_S5_PlS7_NS0_8identityIlEEEE10hipError_tT2_T3_mT4_P12ihipStream_tbEUlT_E_NS1_11comp_targetILNS1_3genE3ELNS1_11target_archE908ELNS1_3gpuE7ELNS1_3repE0EEENS1_30default_config_static_selectorELNS0_4arch9wavefront6targetE1EEEvT1_: ; @_ZN7rocprim17ROCPRIM_400000_NS6detail17trampoline_kernelINS0_14default_configENS1_25transform_config_selectorIlLb1EEEZNS1_14transform_implILb1ES3_S5_PlS7_NS0_8identityIlEEEE10hipError_tT2_T3_mT4_P12ihipStream_tbEUlT_E_NS1_11comp_targetILNS1_3genE3ELNS1_11target_archE908ELNS1_3gpuE7ELNS1_3repE0EEENS1_30default_config_static_selectorELNS0_4arch9wavefront6targetE1EEEvT1_
; %bb.0:
	.section	.rodata,"a",@progbits
	.p2align	6, 0x0
	.amdhsa_kernel _ZN7rocprim17ROCPRIM_400000_NS6detail17trampoline_kernelINS0_14default_configENS1_25transform_config_selectorIlLb1EEEZNS1_14transform_implILb1ES3_S5_PlS7_NS0_8identityIlEEEE10hipError_tT2_T3_mT4_P12ihipStream_tbEUlT_E_NS1_11comp_targetILNS1_3genE3ELNS1_11target_archE908ELNS1_3gpuE7ELNS1_3repE0EEENS1_30default_config_static_selectorELNS0_4arch9wavefront6targetE1EEEvT1_
		.amdhsa_group_segment_fixed_size 0
		.amdhsa_private_segment_fixed_size 0
		.amdhsa_kernarg_size 40
		.amdhsa_user_sgpr_count 2
		.amdhsa_user_sgpr_dispatch_ptr 0
		.amdhsa_user_sgpr_queue_ptr 0
		.amdhsa_user_sgpr_kernarg_segment_ptr 1
		.amdhsa_user_sgpr_dispatch_id 0
		.amdhsa_user_sgpr_kernarg_preload_length 0
		.amdhsa_user_sgpr_kernarg_preload_offset 0
		.amdhsa_user_sgpr_private_segment_size 0
		.amdhsa_uses_dynamic_stack 0
		.amdhsa_enable_private_segment 0
		.amdhsa_system_sgpr_workgroup_id_x 1
		.amdhsa_system_sgpr_workgroup_id_y 0
		.amdhsa_system_sgpr_workgroup_id_z 0
		.amdhsa_system_sgpr_workgroup_info 0
		.amdhsa_system_vgpr_workitem_id 0
		.amdhsa_next_free_vgpr 1
		.amdhsa_next_free_sgpr 0
		.amdhsa_accum_offset 4
		.amdhsa_reserve_vcc 0
		.amdhsa_float_round_mode_32 0
		.amdhsa_float_round_mode_16_64 0
		.amdhsa_float_denorm_mode_32 3
		.amdhsa_float_denorm_mode_16_64 3
		.amdhsa_dx10_clamp 1
		.amdhsa_ieee_mode 1
		.amdhsa_fp16_overflow 0
		.amdhsa_tg_split 0
		.amdhsa_exception_fp_ieee_invalid_op 0
		.amdhsa_exception_fp_denorm_src 0
		.amdhsa_exception_fp_ieee_div_zero 0
		.amdhsa_exception_fp_ieee_overflow 0
		.amdhsa_exception_fp_ieee_underflow 0
		.amdhsa_exception_fp_ieee_inexact 0
		.amdhsa_exception_int_div_zero 0
	.end_amdhsa_kernel
	.section	.text._ZN7rocprim17ROCPRIM_400000_NS6detail17trampoline_kernelINS0_14default_configENS1_25transform_config_selectorIlLb1EEEZNS1_14transform_implILb1ES3_S5_PlS7_NS0_8identityIlEEEE10hipError_tT2_T3_mT4_P12ihipStream_tbEUlT_E_NS1_11comp_targetILNS1_3genE3ELNS1_11target_archE908ELNS1_3gpuE7ELNS1_3repE0EEENS1_30default_config_static_selectorELNS0_4arch9wavefront6targetE1EEEvT1_,"axG",@progbits,_ZN7rocprim17ROCPRIM_400000_NS6detail17trampoline_kernelINS0_14default_configENS1_25transform_config_selectorIlLb1EEEZNS1_14transform_implILb1ES3_S5_PlS7_NS0_8identityIlEEEE10hipError_tT2_T3_mT4_P12ihipStream_tbEUlT_E_NS1_11comp_targetILNS1_3genE3ELNS1_11target_archE908ELNS1_3gpuE7ELNS1_3repE0EEENS1_30default_config_static_selectorELNS0_4arch9wavefront6targetE1EEEvT1_,comdat
.Lfunc_end47:
	.size	_ZN7rocprim17ROCPRIM_400000_NS6detail17trampoline_kernelINS0_14default_configENS1_25transform_config_selectorIlLb1EEEZNS1_14transform_implILb1ES3_S5_PlS7_NS0_8identityIlEEEE10hipError_tT2_T3_mT4_P12ihipStream_tbEUlT_E_NS1_11comp_targetILNS1_3genE3ELNS1_11target_archE908ELNS1_3gpuE7ELNS1_3repE0EEENS1_30default_config_static_selectorELNS0_4arch9wavefront6targetE1EEEvT1_, .Lfunc_end47-_ZN7rocprim17ROCPRIM_400000_NS6detail17trampoline_kernelINS0_14default_configENS1_25transform_config_selectorIlLb1EEEZNS1_14transform_implILb1ES3_S5_PlS7_NS0_8identityIlEEEE10hipError_tT2_T3_mT4_P12ihipStream_tbEUlT_E_NS1_11comp_targetILNS1_3genE3ELNS1_11target_archE908ELNS1_3gpuE7ELNS1_3repE0EEENS1_30default_config_static_selectorELNS0_4arch9wavefront6targetE1EEEvT1_
                                        ; -- End function
	.section	.AMDGPU.csdata,"",@progbits
; Kernel info:
; codeLenInByte = 0
; NumSgprs: 6
; NumVgprs: 0
; NumAgprs: 0
; TotalNumVgprs: 0
; ScratchSize: 0
; MemoryBound: 0
; FloatMode: 240
; IeeeMode: 1
; LDSByteSize: 0 bytes/workgroup (compile time only)
; SGPRBlocks: 0
; VGPRBlocks: 0
; NumSGPRsForWavesPerEU: 6
; NumVGPRsForWavesPerEU: 1
; AccumOffset: 4
; Occupancy: 8
; WaveLimiterHint : 0
; COMPUTE_PGM_RSRC2:SCRATCH_EN: 0
; COMPUTE_PGM_RSRC2:USER_SGPR: 2
; COMPUTE_PGM_RSRC2:TRAP_HANDLER: 0
; COMPUTE_PGM_RSRC2:TGID_X_EN: 1
; COMPUTE_PGM_RSRC2:TGID_Y_EN: 0
; COMPUTE_PGM_RSRC2:TGID_Z_EN: 0
; COMPUTE_PGM_RSRC2:TIDIG_COMP_CNT: 0
; COMPUTE_PGM_RSRC3_GFX90A:ACCUM_OFFSET: 0
; COMPUTE_PGM_RSRC3_GFX90A:TG_SPLIT: 0
	.section	.text._ZN7rocprim17ROCPRIM_400000_NS6detail17trampoline_kernelINS0_14default_configENS1_25transform_config_selectorIlLb1EEEZNS1_14transform_implILb1ES3_S5_PlS7_NS0_8identityIlEEEE10hipError_tT2_T3_mT4_P12ihipStream_tbEUlT_E_NS1_11comp_targetILNS1_3genE2ELNS1_11target_archE906ELNS1_3gpuE6ELNS1_3repE0EEENS1_30default_config_static_selectorELNS0_4arch9wavefront6targetE1EEEvT1_,"axG",@progbits,_ZN7rocprim17ROCPRIM_400000_NS6detail17trampoline_kernelINS0_14default_configENS1_25transform_config_selectorIlLb1EEEZNS1_14transform_implILb1ES3_S5_PlS7_NS0_8identityIlEEEE10hipError_tT2_T3_mT4_P12ihipStream_tbEUlT_E_NS1_11comp_targetILNS1_3genE2ELNS1_11target_archE906ELNS1_3gpuE6ELNS1_3repE0EEENS1_30default_config_static_selectorELNS0_4arch9wavefront6targetE1EEEvT1_,comdat
	.protected	_ZN7rocprim17ROCPRIM_400000_NS6detail17trampoline_kernelINS0_14default_configENS1_25transform_config_selectorIlLb1EEEZNS1_14transform_implILb1ES3_S5_PlS7_NS0_8identityIlEEEE10hipError_tT2_T3_mT4_P12ihipStream_tbEUlT_E_NS1_11comp_targetILNS1_3genE2ELNS1_11target_archE906ELNS1_3gpuE6ELNS1_3repE0EEENS1_30default_config_static_selectorELNS0_4arch9wavefront6targetE1EEEvT1_ ; -- Begin function _ZN7rocprim17ROCPRIM_400000_NS6detail17trampoline_kernelINS0_14default_configENS1_25transform_config_selectorIlLb1EEEZNS1_14transform_implILb1ES3_S5_PlS7_NS0_8identityIlEEEE10hipError_tT2_T3_mT4_P12ihipStream_tbEUlT_E_NS1_11comp_targetILNS1_3genE2ELNS1_11target_archE906ELNS1_3gpuE6ELNS1_3repE0EEENS1_30default_config_static_selectorELNS0_4arch9wavefront6targetE1EEEvT1_
	.globl	_ZN7rocprim17ROCPRIM_400000_NS6detail17trampoline_kernelINS0_14default_configENS1_25transform_config_selectorIlLb1EEEZNS1_14transform_implILb1ES3_S5_PlS7_NS0_8identityIlEEEE10hipError_tT2_T3_mT4_P12ihipStream_tbEUlT_E_NS1_11comp_targetILNS1_3genE2ELNS1_11target_archE906ELNS1_3gpuE6ELNS1_3repE0EEENS1_30default_config_static_selectorELNS0_4arch9wavefront6targetE1EEEvT1_
	.p2align	8
	.type	_ZN7rocprim17ROCPRIM_400000_NS6detail17trampoline_kernelINS0_14default_configENS1_25transform_config_selectorIlLb1EEEZNS1_14transform_implILb1ES3_S5_PlS7_NS0_8identityIlEEEE10hipError_tT2_T3_mT4_P12ihipStream_tbEUlT_E_NS1_11comp_targetILNS1_3genE2ELNS1_11target_archE906ELNS1_3gpuE6ELNS1_3repE0EEENS1_30default_config_static_selectorELNS0_4arch9wavefront6targetE1EEEvT1_,@function
_ZN7rocprim17ROCPRIM_400000_NS6detail17trampoline_kernelINS0_14default_configENS1_25transform_config_selectorIlLb1EEEZNS1_14transform_implILb1ES3_S5_PlS7_NS0_8identityIlEEEE10hipError_tT2_T3_mT4_P12ihipStream_tbEUlT_E_NS1_11comp_targetILNS1_3genE2ELNS1_11target_archE906ELNS1_3gpuE6ELNS1_3repE0EEENS1_30default_config_static_selectorELNS0_4arch9wavefront6targetE1EEEvT1_: ; @_ZN7rocprim17ROCPRIM_400000_NS6detail17trampoline_kernelINS0_14default_configENS1_25transform_config_selectorIlLb1EEEZNS1_14transform_implILb1ES3_S5_PlS7_NS0_8identityIlEEEE10hipError_tT2_T3_mT4_P12ihipStream_tbEUlT_E_NS1_11comp_targetILNS1_3genE2ELNS1_11target_archE906ELNS1_3gpuE6ELNS1_3repE0EEENS1_30default_config_static_selectorELNS0_4arch9wavefront6targetE1EEEvT1_
; %bb.0:
	.section	.rodata,"a",@progbits
	.p2align	6, 0x0
	.amdhsa_kernel _ZN7rocprim17ROCPRIM_400000_NS6detail17trampoline_kernelINS0_14default_configENS1_25transform_config_selectorIlLb1EEEZNS1_14transform_implILb1ES3_S5_PlS7_NS0_8identityIlEEEE10hipError_tT2_T3_mT4_P12ihipStream_tbEUlT_E_NS1_11comp_targetILNS1_3genE2ELNS1_11target_archE906ELNS1_3gpuE6ELNS1_3repE0EEENS1_30default_config_static_selectorELNS0_4arch9wavefront6targetE1EEEvT1_
		.amdhsa_group_segment_fixed_size 0
		.amdhsa_private_segment_fixed_size 0
		.amdhsa_kernarg_size 40
		.amdhsa_user_sgpr_count 2
		.amdhsa_user_sgpr_dispatch_ptr 0
		.amdhsa_user_sgpr_queue_ptr 0
		.amdhsa_user_sgpr_kernarg_segment_ptr 1
		.amdhsa_user_sgpr_dispatch_id 0
		.amdhsa_user_sgpr_kernarg_preload_length 0
		.amdhsa_user_sgpr_kernarg_preload_offset 0
		.amdhsa_user_sgpr_private_segment_size 0
		.amdhsa_uses_dynamic_stack 0
		.amdhsa_enable_private_segment 0
		.amdhsa_system_sgpr_workgroup_id_x 1
		.amdhsa_system_sgpr_workgroup_id_y 0
		.amdhsa_system_sgpr_workgroup_id_z 0
		.amdhsa_system_sgpr_workgroup_info 0
		.amdhsa_system_vgpr_workitem_id 0
		.amdhsa_next_free_vgpr 1
		.amdhsa_next_free_sgpr 0
		.amdhsa_accum_offset 4
		.amdhsa_reserve_vcc 0
		.amdhsa_float_round_mode_32 0
		.amdhsa_float_round_mode_16_64 0
		.amdhsa_float_denorm_mode_32 3
		.amdhsa_float_denorm_mode_16_64 3
		.amdhsa_dx10_clamp 1
		.amdhsa_ieee_mode 1
		.amdhsa_fp16_overflow 0
		.amdhsa_tg_split 0
		.amdhsa_exception_fp_ieee_invalid_op 0
		.amdhsa_exception_fp_denorm_src 0
		.amdhsa_exception_fp_ieee_div_zero 0
		.amdhsa_exception_fp_ieee_overflow 0
		.amdhsa_exception_fp_ieee_underflow 0
		.amdhsa_exception_fp_ieee_inexact 0
		.amdhsa_exception_int_div_zero 0
	.end_amdhsa_kernel
	.section	.text._ZN7rocprim17ROCPRIM_400000_NS6detail17trampoline_kernelINS0_14default_configENS1_25transform_config_selectorIlLb1EEEZNS1_14transform_implILb1ES3_S5_PlS7_NS0_8identityIlEEEE10hipError_tT2_T3_mT4_P12ihipStream_tbEUlT_E_NS1_11comp_targetILNS1_3genE2ELNS1_11target_archE906ELNS1_3gpuE6ELNS1_3repE0EEENS1_30default_config_static_selectorELNS0_4arch9wavefront6targetE1EEEvT1_,"axG",@progbits,_ZN7rocprim17ROCPRIM_400000_NS6detail17trampoline_kernelINS0_14default_configENS1_25transform_config_selectorIlLb1EEEZNS1_14transform_implILb1ES3_S5_PlS7_NS0_8identityIlEEEE10hipError_tT2_T3_mT4_P12ihipStream_tbEUlT_E_NS1_11comp_targetILNS1_3genE2ELNS1_11target_archE906ELNS1_3gpuE6ELNS1_3repE0EEENS1_30default_config_static_selectorELNS0_4arch9wavefront6targetE1EEEvT1_,comdat
.Lfunc_end48:
	.size	_ZN7rocprim17ROCPRIM_400000_NS6detail17trampoline_kernelINS0_14default_configENS1_25transform_config_selectorIlLb1EEEZNS1_14transform_implILb1ES3_S5_PlS7_NS0_8identityIlEEEE10hipError_tT2_T3_mT4_P12ihipStream_tbEUlT_E_NS1_11comp_targetILNS1_3genE2ELNS1_11target_archE906ELNS1_3gpuE6ELNS1_3repE0EEENS1_30default_config_static_selectorELNS0_4arch9wavefront6targetE1EEEvT1_, .Lfunc_end48-_ZN7rocprim17ROCPRIM_400000_NS6detail17trampoline_kernelINS0_14default_configENS1_25transform_config_selectorIlLb1EEEZNS1_14transform_implILb1ES3_S5_PlS7_NS0_8identityIlEEEE10hipError_tT2_T3_mT4_P12ihipStream_tbEUlT_E_NS1_11comp_targetILNS1_3genE2ELNS1_11target_archE906ELNS1_3gpuE6ELNS1_3repE0EEENS1_30default_config_static_selectorELNS0_4arch9wavefront6targetE1EEEvT1_
                                        ; -- End function
	.section	.AMDGPU.csdata,"",@progbits
; Kernel info:
; codeLenInByte = 0
; NumSgprs: 6
; NumVgprs: 0
; NumAgprs: 0
; TotalNumVgprs: 0
; ScratchSize: 0
; MemoryBound: 0
; FloatMode: 240
; IeeeMode: 1
; LDSByteSize: 0 bytes/workgroup (compile time only)
; SGPRBlocks: 0
; VGPRBlocks: 0
; NumSGPRsForWavesPerEU: 6
; NumVGPRsForWavesPerEU: 1
; AccumOffset: 4
; Occupancy: 8
; WaveLimiterHint : 0
; COMPUTE_PGM_RSRC2:SCRATCH_EN: 0
; COMPUTE_PGM_RSRC2:USER_SGPR: 2
; COMPUTE_PGM_RSRC2:TRAP_HANDLER: 0
; COMPUTE_PGM_RSRC2:TGID_X_EN: 1
; COMPUTE_PGM_RSRC2:TGID_Y_EN: 0
; COMPUTE_PGM_RSRC2:TGID_Z_EN: 0
; COMPUTE_PGM_RSRC2:TIDIG_COMP_CNT: 0
; COMPUTE_PGM_RSRC3_GFX90A:ACCUM_OFFSET: 0
; COMPUTE_PGM_RSRC3_GFX90A:TG_SPLIT: 0
	.section	.text._ZN7rocprim17ROCPRIM_400000_NS6detail17trampoline_kernelINS0_14default_configENS1_25transform_config_selectorIlLb1EEEZNS1_14transform_implILb1ES3_S5_PlS7_NS0_8identityIlEEEE10hipError_tT2_T3_mT4_P12ihipStream_tbEUlT_E_NS1_11comp_targetILNS1_3genE9ELNS1_11target_archE1100ELNS1_3gpuE3ELNS1_3repE0EEENS1_30default_config_static_selectorELNS0_4arch9wavefront6targetE1EEEvT1_,"axG",@progbits,_ZN7rocprim17ROCPRIM_400000_NS6detail17trampoline_kernelINS0_14default_configENS1_25transform_config_selectorIlLb1EEEZNS1_14transform_implILb1ES3_S5_PlS7_NS0_8identityIlEEEE10hipError_tT2_T3_mT4_P12ihipStream_tbEUlT_E_NS1_11comp_targetILNS1_3genE9ELNS1_11target_archE1100ELNS1_3gpuE3ELNS1_3repE0EEENS1_30default_config_static_selectorELNS0_4arch9wavefront6targetE1EEEvT1_,comdat
	.protected	_ZN7rocprim17ROCPRIM_400000_NS6detail17trampoline_kernelINS0_14default_configENS1_25transform_config_selectorIlLb1EEEZNS1_14transform_implILb1ES3_S5_PlS7_NS0_8identityIlEEEE10hipError_tT2_T3_mT4_P12ihipStream_tbEUlT_E_NS1_11comp_targetILNS1_3genE9ELNS1_11target_archE1100ELNS1_3gpuE3ELNS1_3repE0EEENS1_30default_config_static_selectorELNS0_4arch9wavefront6targetE1EEEvT1_ ; -- Begin function _ZN7rocprim17ROCPRIM_400000_NS6detail17trampoline_kernelINS0_14default_configENS1_25transform_config_selectorIlLb1EEEZNS1_14transform_implILb1ES3_S5_PlS7_NS0_8identityIlEEEE10hipError_tT2_T3_mT4_P12ihipStream_tbEUlT_E_NS1_11comp_targetILNS1_3genE9ELNS1_11target_archE1100ELNS1_3gpuE3ELNS1_3repE0EEENS1_30default_config_static_selectorELNS0_4arch9wavefront6targetE1EEEvT1_
	.globl	_ZN7rocprim17ROCPRIM_400000_NS6detail17trampoline_kernelINS0_14default_configENS1_25transform_config_selectorIlLb1EEEZNS1_14transform_implILb1ES3_S5_PlS7_NS0_8identityIlEEEE10hipError_tT2_T3_mT4_P12ihipStream_tbEUlT_E_NS1_11comp_targetILNS1_3genE9ELNS1_11target_archE1100ELNS1_3gpuE3ELNS1_3repE0EEENS1_30default_config_static_selectorELNS0_4arch9wavefront6targetE1EEEvT1_
	.p2align	8
	.type	_ZN7rocprim17ROCPRIM_400000_NS6detail17trampoline_kernelINS0_14default_configENS1_25transform_config_selectorIlLb1EEEZNS1_14transform_implILb1ES3_S5_PlS7_NS0_8identityIlEEEE10hipError_tT2_T3_mT4_P12ihipStream_tbEUlT_E_NS1_11comp_targetILNS1_3genE9ELNS1_11target_archE1100ELNS1_3gpuE3ELNS1_3repE0EEENS1_30default_config_static_selectorELNS0_4arch9wavefront6targetE1EEEvT1_,@function
_ZN7rocprim17ROCPRIM_400000_NS6detail17trampoline_kernelINS0_14default_configENS1_25transform_config_selectorIlLb1EEEZNS1_14transform_implILb1ES3_S5_PlS7_NS0_8identityIlEEEE10hipError_tT2_T3_mT4_P12ihipStream_tbEUlT_E_NS1_11comp_targetILNS1_3genE9ELNS1_11target_archE1100ELNS1_3gpuE3ELNS1_3repE0EEENS1_30default_config_static_selectorELNS0_4arch9wavefront6targetE1EEEvT1_: ; @_ZN7rocprim17ROCPRIM_400000_NS6detail17trampoline_kernelINS0_14default_configENS1_25transform_config_selectorIlLb1EEEZNS1_14transform_implILb1ES3_S5_PlS7_NS0_8identityIlEEEE10hipError_tT2_T3_mT4_P12ihipStream_tbEUlT_E_NS1_11comp_targetILNS1_3genE9ELNS1_11target_archE1100ELNS1_3gpuE3ELNS1_3repE0EEENS1_30default_config_static_selectorELNS0_4arch9wavefront6targetE1EEEvT1_
; %bb.0:
	.section	.rodata,"a",@progbits
	.p2align	6, 0x0
	.amdhsa_kernel _ZN7rocprim17ROCPRIM_400000_NS6detail17trampoline_kernelINS0_14default_configENS1_25transform_config_selectorIlLb1EEEZNS1_14transform_implILb1ES3_S5_PlS7_NS0_8identityIlEEEE10hipError_tT2_T3_mT4_P12ihipStream_tbEUlT_E_NS1_11comp_targetILNS1_3genE9ELNS1_11target_archE1100ELNS1_3gpuE3ELNS1_3repE0EEENS1_30default_config_static_selectorELNS0_4arch9wavefront6targetE1EEEvT1_
		.amdhsa_group_segment_fixed_size 0
		.amdhsa_private_segment_fixed_size 0
		.amdhsa_kernarg_size 40
		.amdhsa_user_sgpr_count 2
		.amdhsa_user_sgpr_dispatch_ptr 0
		.amdhsa_user_sgpr_queue_ptr 0
		.amdhsa_user_sgpr_kernarg_segment_ptr 1
		.amdhsa_user_sgpr_dispatch_id 0
		.amdhsa_user_sgpr_kernarg_preload_length 0
		.amdhsa_user_sgpr_kernarg_preload_offset 0
		.amdhsa_user_sgpr_private_segment_size 0
		.amdhsa_uses_dynamic_stack 0
		.amdhsa_enable_private_segment 0
		.amdhsa_system_sgpr_workgroup_id_x 1
		.amdhsa_system_sgpr_workgroup_id_y 0
		.amdhsa_system_sgpr_workgroup_id_z 0
		.amdhsa_system_sgpr_workgroup_info 0
		.amdhsa_system_vgpr_workitem_id 0
		.amdhsa_next_free_vgpr 1
		.amdhsa_next_free_sgpr 0
		.amdhsa_accum_offset 4
		.amdhsa_reserve_vcc 0
		.amdhsa_float_round_mode_32 0
		.amdhsa_float_round_mode_16_64 0
		.amdhsa_float_denorm_mode_32 3
		.amdhsa_float_denorm_mode_16_64 3
		.amdhsa_dx10_clamp 1
		.amdhsa_ieee_mode 1
		.amdhsa_fp16_overflow 0
		.amdhsa_tg_split 0
		.amdhsa_exception_fp_ieee_invalid_op 0
		.amdhsa_exception_fp_denorm_src 0
		.amdhsa_exception_fp_ieee_div_zero 0
		.amdhsa_exception_fp_ieee_overflow 0
		.amdhsa_exception_fp_ieee_underflow 0
		.amdhsa_exception_fp_ieee_inexact 0
		.amdhsa_exception_int_div_zero 0
	.end_amdhsa_kernel
	.section	.text._ZN7rocprim17ROCPRIM_400000_NS6detail17trampoline_kernelINS0_14default_configENS1_25transform_config_selectorIlLb1EEEZNS1_14transform_implILb1ES3_S5_PlS7_NS0_8identityIlEEEE10hipError_tT2_T3_mT4_P12ihipStream_tbEUlT_E_NS1_11comp_targetILNS1_3genE9ELNS1_11target_archE1100ELNS1_3gpuE3ELNS1_3repE0EEENS1_30default_config_static_selectorELNS0_4arch9wavefront6targetE1EEEvT1_,"axG",@progbits,_ZN7rocprim17ROCPRIM_400000_NS6detail17trampoline_kernelINS0_14default_configENS1_25transform_config_selectorIlLb1EEEZNS1_14transform_implILb1ES3_S5_PlS7_NS0_8identityIlEEEE10hipError_tT2_T3_mT4_P12ihipStream_tbEUlT_E_NS1_11comp_targetILNS1_3genE9ELNS1_11target_archE1100ELNS1_3gpuE3ELNS1_3repE0EEENS1_30default_config_static_selectorELNS0_4arch9wavefront6targetE1EEEvT1_,comdat
.Lfunc_end49:
	.size	_ZN7rocprim17ROCPRIM_400000_NS6detail17trampoline_kernelINS0_14default_configENS1_25transform_config_selectorIlLb1EEEZNS1_14transform_implILb1ES3_S5_PlS7_NS0_8identityIlEEEE10hipError_tT2_T3_mT4_P12ihipStream_tbEUlT_E_NS1_11comp_targetILNS1_3genE9ELNS1_11target_archE1100ELNS1_3gpuE3ELNS1_3repE0EEENS1_30default_config_static_selectorELNS0_4arch9wavefront6targetE1EEEvT1_, .Lfunc_end49-_ZN7rocprim17ROCPRIM_400000_NS6detail17trampoline_kernelINS0_14default_configENS1_25transform_config_selectorIlLb1EEEZNS1_14transform_implILb1ES3_S5_PlS7_NS0_8identityIlEEEE10hipError_tT2_T3_mT4_P12ihipStream_tbEUlT_E_NS1_11comp_targetILNS1_3genE9ELNS1_11target_archE1100ELNS1_3gpuE3ELNS1_3repE0EEENS1_30default_config_static_selectorELNS0_4arch9wavefront6targetE1EEEvT1_
                                        ; -- End function
	.section	.AMDGPU.csdata,"",@progbits
; Kernel info:
; codeLenInByte = 0
; NumSgprs: 6
; NumVgprs: 0
; NumAgprs: 0
; TotalNumVgprs: 0
; ScratchSize: 0
; MemoryBound: 0
; FloatMode: 240
; IeeeMode: 1
; LDSByteSize: 0 bytes/workgroup (compile time only)
; SGPRBlocks: 0
; VGPRBlocks: 0
; NumSGPRsForWavesPerEU: 6
; NumVGPRsForWavesPerEU: 1
; AccumOffset: 4
; Occupancy: 8
; WaveLimiterHint : 0
; COMPUTE_PGM_RSRC2:SCRATCH_EN: 0
; COMPUTE_PGM_RSRC2:USER_SGPR: 2
; COMPUTE_PGM_RSRC2:TRAP_HANDLER: 0
; COMPUTE_PGM_RSRC2:TGID_X_EN: 1
; COMPUTE_PGM_RSRC2:TGID_Y_EN: 0
; COMPUTE_PGM_RSRC2:TGID_Z_EN: 0
; COMPUTE_PGM_RSRC2:TIDIG_COMP_CNT: 0
; COMPUTE_PGM_RSRC3_GFX90A:ACCUM_OFFSET: 0
; COMPUTE_PGM_RSRC3_GFX90A:TG_SPLIT: 0
	.section	.text._ZN7rocprim17ROCPRIM_400000_NS6detail17trampoline_kernelINS0_14default_configENS1_25transform_config_selectorIlLb1EEEZNS1_14transform_implILb1ES3_S5_PlS7_NS0_8identityIlEEEE10hipError_tT2_T3_mT4_P12ihipStream_tbEUlT_E_NS1_11comp_targetILNS1_3genE8ELNS1_11target_archE1030ELNS1_3gpuE2ELNS1_3repE0EEENS1_30default_config_static_selectorELNS0_4arch9wavefront6targetE1EEEvT1_,"axG",@progbits,_ZN7rocprim17ROCPRIM_400000_NS6detail17trampoline_kernelINS0_14default_configENS1_25transform_config_selectorIlLb1EEEZNS1_14transform_implILb1ES3_S5_PlS7_NS0_8identityIlEEEE10hipError_tT2_T3_mT4_P12ihipStream_tbEUlT_E_NS1_11comp_targetILNS1_3genE8ELNS1_11target_archE1030ELNS1_3gpuE2ELNS1_3repE0EEENS1_30default_config_static_selectorELNS0_4arch9wavefront6targetE1EEEvT1_,comdat
	.protected	_ZN7rocprim17ROCPRIM_400000_NS6detail17trampoline_kernelINS0_14default_configENS1_25transform_config_selectorIlLb1EEEZNS1_14transform_implILb1ES3_S5_PlS7_NS0_8identityIlEEEE10hipError_tT2_T3_mT4_P12ihipStream_tbEUlT_E_NS1_11comp_targetILNS1_3genE8ELNS1_11target_archE1030ELNS1_3gpuE2ELNS1_3repE0EEENS1_30default_config_static_selectorELNS0_4arch9wavefront6targetE1EEEvT1_ ; -- Begin function _ZN7rocprim17ROCPRIM_400000_NS6detail17trampoline_kernelINS0_14default_configENS1_25transform_config_selectorIlLb1EEEZNS1_14transform_implILb1ES3_S5_PlS7_NS0_8identityIlEEEE10hipError_tT2_T3_mT4_P12ihipStream_tbEUlT_E_NS1_11comp_targetILNS1_3genE8ELNS1_11target_archE1030ELNS1_3gpuE2ELNS1_3repE0EEENS1_30default_config_static_selectorELNS0_4arch9wavefront6targetE1EEEvT1_
	.globl	_ZN7rocprim17ROCPRIM_400000_NS6detail17trampoline_kernelINS0_14default_configENS1_25transform_config_selectorIlLb1EEEZNS1_14transform_implILb1ES3_S5_PlS7_NS0_8identityIlEEEE10hipError_tT2_T3_mT4_P12ihipStream_tbEUlT_E_NS1_11comp_targetILNS1_3genE8ELNS1_11target_archE1030ELNS1_3gpuE2ELNS1_3repE0EEENS1_30default_config_static_selectorELNS0_4arch9wavefront6targetE1EEEvT1_
	.p2align	8
	.type	_ZN7rocprim17ROCPRIM_400000_NS6detail17trampoline_kernelINS0_14default_configENS1_25transform_config_selectorIlLb1EEEZNS1_14transform_implILb1ES3_S5_PlS7_NS0_8identityIlEEEE10hipError_tT2_T3_mT4_P12ihipStream_tbEUlT_E_NS1_11comp_targetILNS1_3genE8ELNS1_11target_archE1030ELNS1_3gpuE2ELNS1_3repE0EEENS1_30default_config_static_selectorELNS0_4arch9wavefront6targetE1EEEvT1_,@function
_ZN7rocprim17ROCPRIM_400000_NS6detail17trampoline_kernelINS0_14default_configENS1_25transform_config_selectorIlLb1EEEZNS1_14transform_implILb1ES3_S5_PlS7_NS0_8identityIlEEEE10hipError_tT2_T3_mT4_P12ihipStream_tbEUlT_E_NS1_11comp_targetILNS1_3genE8ELNS1_11target_archE1030ELNS1_3gpuE2ELNS1_3repE0EEENS1_30default_config_static_selectorELNS0_4arch9wavefront6targetE1EEEvT1_: ; @_ZN7rocprim17ROCPRIM_400000_NS6detail17trampoline_kernelINS0_14default_configENS1_25transform_config_selectorIlLb1EEEZNS1_14transform_implILb1ES3_S5_PlS7_NS0_8identityIlEEEE10hipError_tT2_T3_mT4_P12ihipStream_tbEUlT_E_NS1_11comp_targetILNS1_3genE8ELNS1_11target_archE1030ELNS1_3gpuE2ELNS1_3repE0EEENS1_30default_config_static_selectorELNS0_4arch9wavefront6targetE1EEEvT1_
; %bb.0:
	.section	.rodata,"a",@progbits
	.p2align	6, 0x0
	.amdhsa_kernel _ZN7rocprim17ROCPRIM_400000_NS6detail17trampoline_kernelINS0_14default_configENS1_25transform_config_selectorIlLb1EEEZNS1_14transform_implILb1ES3_S5_PlS7_NS0_8identityIlEEEE10hipError_tT2_T3_mT4_P12ihipStream_tbEUlT_E_NS1_11comp_targetILNS1_3genE8ELNS1_11target_archE1030ELNS1_3gpuE2ELNS1_3repE0EEENS1_30default_config_static_selectorELNS0_4arch9wavefront6targetE1EEEvT1_
		.amdhsa_group_segment_fixed_size 0
		.amdhsa_private_segment_fixed_size 0
		.amdhsa_kernarg_size 40
		.amdhsa_user_sgpr_count 2
		.amdhsa_user_sgpr_dispatch_ptr 0
		.amdhsa_user_sgpr_queue_ptr 0
		.amdhsa_user_sgpr_kernarg_segment_ptr 1
		.amdhsa_user_sgpr_dispatch_id 0
		.amdhsa_user_sgpr_kernarg_preload_length 0
		.amdhsa_user_sgpr_kernarg_preload_offset 0
		.amdhsa_user_sgpr_private_segment_size 0
		.amdhsa_uses_dynamic_stack 0
		.amdhsa_enable_private_segment 0
		.amdhsa_system_sgpr_workgroup_id_x 1
		.amdhsa_system_sgpr_workgroup_id_y 0
		.amdhsa_system_sgpr_workgroup_id_z 0
		.amdhsa_system_sgpr_workgroup_info 0
		.amdhsa_system_vgpr_workitem_id 0
		.amdhsa_next_free_vgpr 1
		.amdhsa_next_free_sgpr 0
		.amdhsa_accum_offset 4
		.amdhsa_reserve_vcc 0
		.amdhsa_float_round_mode_32 0
		.amdhsa_float_round_mode_16_64 0
		.amdhsa_float_denorm_mode_32 3
		.amdhsa_float_denorm_mode_16_64 3
		.amdhsa_dx10_clamp 1
		.amdhsa_ieee_mode 1
		.amdhsa_fp16_overflow 0
		.amdhsa_tg_split 0
		.amdhsa_exception_fp_ieee_invalid_op 0
		.amdhsa_exception_fp_denorm_src 0
		.amdhsa_exception_fp_ieee_div_zero 0
		.amdhsa_exception_fp_ieee_overflow 0
		.amdhsa_exception_fp_ieee_underflow 0
		.amdhsa_exception_fp_ieee_inexact 0
		.amdhsa_exception_int_div_zero 0
	.end_amdhsa_kernel
	.section	.text._ZN7rocprim17ROCPRIM_400000_NS6detail17trampoline_kernelINS0_14default_configENS1_25transform_config_selectorIlLb1EEEZNS1_14transform_implILb1ES3_S5_PlS7_NS0_8identityIlEEEE10hipError_tT2_T3_mT4_P12ihipStream_tbEUlT_E_NS1_11comp_targetILNS1_3genE8ELNS1_11target_archE1030ELNS1_3gpuE2ELNS1_3repE0EEENS1_30default_config_static_selectorELNS0_4arch9wavefront6targetE1EEEvT1_,"axG",@progbits,_ZN7rocprim17ROCPRIM_400000_NS6detail17trampoline_kernelINS0_14default_configENS1_25transform_config_selectorIlLb1EEEZNS1_14transform_implILb1ES3_S5_PlS7_NS0_8identityIlEEEE10hipError_tT2_T3_mT4_P12ihipStream_tbEUlT_E_NS1_11comp_targetILNS1_3genE8ELNS1_11target_archE1030ELNS1_3gpuE2ELNS1_3repE0EEENS1_30default_config_static_selectorELNS0_4arch9wavefront6targetE1EEEvT1_,comdat
.Lfunc_end50:
	.size	_ZN7rocprim17ROCPRIM_400000_NS6detail17trampoline_kernelINS0_14default_configENS1_25transform_config_selectorIlLb1EEEZNS1_14transform_implILb1ES3_S5_PlS7_NS0_8identityIlEEEE10hipError_tT2_T3_mT4_P12ihipStream_tbEUlT_E_NS1_11comp_targetILNS1_3genE8ELNS1_11target_archE1030ELNS1_3gpuE2ELNS1_3repE0EEENS1_30default_config_static_selectorELNS0_4arch9wavefront6targetE1EEEvT1_, .Lfunc_end50-_ZN7rocprim17ROCPRIM_400000_NS6detail17trampoline_kernelINS0_14default_configENS1_25transform_config_selectorIlLb1EEEZNS1_14transform_implILb1ES3_S5_PlS7_NS0_8identityIlEEEE10hipError_tT2_T3_mT4_P12ihipStream_tbEUlT_E_NS1_11comp_targetILNS1_3genE8ELNS1_11target_archE1030ELNS1_3gpuE2ELNS1_3repE0EEENS1_30default_config_static_selectorELNS0_4arch9wavefront6targetE1EEEvT1_
                                        ; -- End function
	.section	.AMDGPU.csdata,"",@progbits
; Kernel info:
; codeLenInByte = 0
; NumSgprs: 6
; NumVgprs: 0
; NumAgprs: 0
; TotalNumVgprs: 0
; ScratchSize: 0
; MemoryBound: 0
; FloatMode: 240
; IeeeMode: 1
; LDSByteSize: 0 bytes/workgroup (compile time only)
; SGPRBlocks: 0
; VGPRBlocks: 0
; NumSGPRsForWavesPerEU: 6
; NumVGPRsForWavesPerEU: 1
; AccumOffset: 4
; Occupancy: 8
; WaveLimiterHint : 0
; COMPUTE_PGM_RSRC2:SCRATCH_EN: 0
; COMPUTE_PGM_RSRC2:USER_SGPR: 2
; COMPUTE_PGM_RSRC2:TRAP_HANDLER: 0
; COMPUTE_PGM_RSRC2:TGID_X_EN: 1
; COMPUTE_PGM_RSRC2:TGID_Y_EN: 0
; COMPUTE_PGM_RSRC2:TGID_Z_EN: 0
; COMPUTE_PGM_RSRC2:TIDIG_COMP_CNT: 0
; COMPUTE_PGM_RSRC3_GFX90A:ACCUM_OFFSET: 0
; COMPUTE_PGM_RSRC3_GFX90A:TG_SPLIT: 0
	.section	.text._ZN7rocprim17ROCPRIM_400000_NS6detail17trampoline_kernelINS0_14default_configENS1_25transform_config_selectorINS0_10empty_typeELb1EEEZNS1_14transform_implILb1ES3_S6_PS5_S8_NS0_8identityIS5_EEEE10hipError_tT2_T3_mT4_P12ihipStream_tbEUlT_E_NS1_11comp_targetILNS1_3genE0ELNS1_11target_archE4294967295ELNS1_3gpuE0ELNS1_3repE0EEENS1_30default_config_static_selectorELNS0_4arch9wavefront6targetE1EEEvT1_,"axG",@progbits,_ZN7rocprim17ROCPRIM_400000_NS6detail17trampoline_kernelINS0_14default_configENS1_25transform_config_selectorINS0_10empty_typeELb1EEEZNS1_14transform_implILb1ES3_S6_PS5_S8_NS0_8identityIS5_EEEE10hipError_tT2_T3_mT4_P12ihipStream_tbEUlT_E_NS1_11comp_targetILNS1_3genE0ELNS1_11target_archE4294967295ELNS1_3gpuE0ELNS1_3repE0EEENS1_30default_config_static_selectorELNS0_4arch9wavefront6targetE1EEEvT1_,comdat
	.protected	_ZN7rocprim17ROCPRIM_400000_NS6detail17trampoline_kernelINS0_14default_configENS1_25transform_config_selectorINS0_10empty_typeELb1EEEZNS1_14transform_implILb1ES3_S6_PS5_S8_NS0_8identityIS5_EEEE10hipError_tT2_T3_mT4_P12ihipStream_tbEUlT_E_NS1_11comp_targetILNS1_3genE0ELNS1_11target_archE4294967295ELNS1_3gpuE0ELNS1_3repE0EEENS1_30default_config_static_selectorELNS0_4arch9wavefront6targetE1EEEvT1_ ; -- Begin function _ZN7rocprim17ROCPRIM_400000_NS6detail17trampoline_kernelINS0_14default_configENS1_25transform_config_selectorINS0_10empty_typeELb1EEEZNS1_14transform_implILb1ES3_S6_PS5_S8_NS0_8identityIS5_EEEE10hipError_tT2_T3_mT4_P12ihipStream_tbEUlT_E_NS1_11comp_targetILNS1_3genE0ELNS1_11target_archE4294967295ELNS1_3gpuE0ELNS1_3repE0EEENS1_30default_config_static_selectorELNS0_4arch9wavefront6targetE1EEEvT1_
	.globl	_ZN7rocprim17ROCPRIM_400000_NS6detail17trampoline_kernelINS0_14default_configENS1_25transform_config_selectorINS0_10empty_typeELb1EEEZNS1_14transform_implILb1ES3_S6_PS5_S8_NS0_8identityIS5_EEEE10hipError_tT2_T3_mT4_P12ihipStream_tbEUlT_E_NS1_11comp_targetILNS1_3genE0ELNS1_11target_archE4294967295ELNS1_3gpuE0ELNS1_3repE0EEENS1_30default_config_static_selectorELNS0_4arch9wavefront6targetE1EEEvT1_
	.p2align	8
	.type	_ZN7rocprim17ROCPRIM_400000_NS6detail17trampoline_kernelINS0_14default_configENS1_25transform_config_selectorINS0_10empty_typeELb1EEEZNS1_14transform_implILb1ES3_S6_PS5_S8_NS0_8identityIS5_EEEE10hipError_tT2_T3_mT4_P12ihipStream_tbEUlT_E_NS1_11comp_targetILNS1_3genE0ELNS1_11target_archE4294967295ELNS1_3gpuE0ELNS1_3repE0EEENS1_30default_config_static_selectorELNS0_4arch9wavefront6targetE1EEEvT1_,@function
_ZN7rocprim17ROCPRIM_400000_NS6detail17trampoline_kernelINS0_14default_configENS1_25transform_config_selectorINS0_10empty_typeELb1EEEZNS1_14transform_implILb1ES3_S6_PS5_S8_NS0_8identityIS5_EEEE10hipError_tT2_T3_mT4_P12ihipStream_tbEUlT_E_NS1_11comp_targetILNS1_3genE0ELNS1_11target_archE4294967295ELNS1_3gpuE0ELNS1_3repE0EEENS1_30default_config_static_selectorELNS0_4arch9wavefront6targetE1EEEvT1_: ; @_ZN7rocprim17ROCPRIM_400000_NS6detail17trampoline_kernelINS0_14default_configENS1_25transform_config_selectorINS0_10empty_typeELb1EEEZNS1_14transform_implILb1ES3_S6_PS5_S8_NS0_8identityIS5_EEEE10hipError_tT2_T3_mT4_P12ihipStream_tbEUlT_E_NS1_11comp_targetILNS1_3genE0ELNS1_11target_archE4294967295ELNS1_3gpuE0ELNS1_3repE0EEENS1_30default_config_static_selectorELNS0_4arch9wavefront6targetE1EEEvT1_
; %bb.0:
	.section	.rodata,"a",@progbits
	.p2align	6, 0x0
	.amdhsa_kernel _ZN7rocprim17ROCPRIM_400000_NS6detail17trampoline_kernelINS0_14default_configENS1_25transform_config_selectorINS0_10empty_typeELb1EEEZNS1_14transform_implILb1ES3_S6_PS5_S8_NS0_8identityIS5_EEEE10hipError_tT2_T3_mT4_P12ihipStream_tbEUlT_E_NS1_11comp_targetILNS1_3genE0ELNS1_11target_archE4294967295ELNS1_3gpuE0ELNS1_3repE0EEENS1_30default_config_static_selectorELNS0_4arch9wavefront6targetE1EEEvT1_
		.amdhsa_group_segment_fixed_size 0
		.amdhsa_private_segment_fixed_size 0
		.amdhsa_kernarg_size 40
		.amdhsa_user_sgpr_count 2
		.amdhsa_user_sgpr_dispatch_ptr 0
		.amdhsa_user_sgpr_queue_ptr 0
		.amdhsa_user_sgpr_kernarg_segment_ptr 1
		.amdhsa_user_sgpr_dispatch_id 0
		.amdhsa_user_sgpr_kernarg_preload_length 0
		.amdhsa_user_sgpr_kernarg_preload_offset 0
		.amdhsa_user_sgpr_private_segment_size 0
		.amdhsa_uses_dynamic_stack 0
		.amdhsa_enable_private_segment 0
		.amdhsa_system_sgpr_workgroup_id_x 1
		.amdhsa_system_sgpr_workgroup_id_y 0
		.amdhsa_system_sgpr_workgroup_id_z 0
		.amdhsa_system_sgpr_workgroup_info 0
		.amdhsa_system_vgpr_workitem_id 0
		.amdhsa_next_free_vgpr 1
		.amdhsa_next_free_sgpr 0
		.amdhsa_accum_offset 4
		.amdhsa_reserve_vcc 0
		.amdhsa_float_round_mode_32 0
		.amdhsa_float_round_mode_16_64 0
		.amdhsa_float_denorm_mode_32 3
		.amdhsa_float_denorm_mode_16_64 3
		.amdhsa_dx10_clamp 1
		.amdhsa_ieee_mode 1
		.amdhsa_fp16_overflow 0
		.amdhsa_tg_split 0
		.amdhsa_exception_fp_ieee_invalid_op 0
		.amdhsa_exception_fp_denorm_src 0
		.amdhsa_exception_fp_ieee_div_zero 0
		.amdhsa_exception_fp_ieee_overflow 0
		.amdhsa_exception_fp_ieee_underflow 0
		.amdhsa_exception_fp_ieee_inexact 0
		.amdhsa_exception_int_div_zero 0
	.end_amdhsa_kernel
	.section	.text._ZN7rocprim17ROCPRIM_400000_NS6detail17trampoline_kernelINS0_14default_configENS1_25transform_config_selectorINS0_10empty_typeELb1EEEZNS1_14transform_implILb1ES3_S6_PS5_S8_NS0_8identityIS5_EEEE10hipError_tT2_T3_mT4_P12ihipStream_tbEUlT_E_NS1_11comp_targetILNS1_3genE0ELNS1_11target_archE4294967295ELNS1_3gpuE0ELNS1_3repE0EEENS1_30default_config_static_selectorELNS0_4arch9wavefront6targetE1EEEvT1_,"axG",@progbits,_ZN7rocprim17ROCPRIM_400000_NS6detail17trampoline_kernelINS0_14default_configENS1_25transform_config_selectorINS0_10empty_typeELb1EEEZNS1_14transform_implILb1ES3_S6_PS5_S8_NS0_8identityIS5_EEEE10hipError_tT2_T3_mT4_P12ihipStream_tbEUlT_E_NS1_11comp_targetILNS1_3genE0ELNS1_11target_archE4294967295ELNS1_3gpuE0ELNS1_3repE0EEENS1_30default_config_static_selectorELNS0_4arch9wavefront6targetE1EEEvT1_,comdat
.Lfunc_end51:
	.size	_ZN7rocprim17ROCPRIM_400000_NS6detail17trampoline_kernelINS0_14default_configENS1_25transform_config_selectorINS0_10empty_typeELb1EEEZNS1_14transform_implILb1ES3_S6_PS5_S8_NS0_8identityIS5_EEEE10hipError_tT2_T3_mT4_P12ihipStream_tbEUlT_E_NS1_11comp_targetILNS1_3genE0ELNS1_11target_archE4294967295ELNS1_3gpuE0ELNS1_3repE0EEENS1_30default_config_static_selectorELNS0_4arch9wavefront6targetE1EEEvT1_, .Lfunc_end51-_ZN7rocprim17ROCPRIM_400000_NS6detail17trampoline_kernelINS0_14default_configENS1_25transform_config_selectorINS0_10empty_typeELb1EEEZNS1_14transform_implILb1ES3_S6_PS5_S8_NS0_8identityIS5_EEEE10hipError_tT2_T3_mT4_P12ihipStream_tbEUlT_E_NS1_11comp_targetILNS1_3genE0ELNS1_11target_archE4294967295ELNS1_3gpuE0ELNS1_3repE0EEENS1_30default_config_static_selectorELNS0_4arch9wavefront6targetE1EEEvT1_
                                        ; -- End function
	.section	.AMDGPU.csdata,"",@progbits
; Kernel info:
; codeLenInByte = 0
; NumSgprs: 6
; NumVgprs: 0
; NumAgprs: 0
; TotalNumVgprs: 0
; ScratchSize: 0
; MemoryBound: 0
; FloatMode: 240
; IeeeMode: 1
; LDSByteSize: 0 bytes/workgroup (compile time only)
; SGPRBlocks: 0
; VGPRBlocks: 0
; NumSGPRsForWavesPerEU: 6
; NumVGPRsForWavesPerEU: 1
; AccumOffset: 4
; Occupancy: 8
; WaveLimiterHint : 0
; COMPUTE_PGM_RSRC2:SCRATCH_EN: 0
; COMPUTE_PGM_RSRC2:USER_SGPR: 2
; COMPUTE_PGM_RSRC2:TRAP_HANDLER: 0
; COMPUTE_PGM_RSRC2:TGID_X_EN: 1
; COMPUTE_PGM_RSRC2:TGID_Y_EN: 0
; COMPUTE_PGM_RSRC2:TGID_Z_EN: 0
; COMPUTE_PGM_RSRC2:TIDIG_COMP_CNT: 0
; COMPUTE_PGM_RSRC3_GFX90A:ACCUM_OFFSET: 0
; COMPUTE_PGM_RSRC3_GFX90A:TG_SPLIT: 0
	.section	.text._ZN7rocprim17ROCPRIM_400000_NS6detail17trampoline_kernelINS0_14default_configENS1_25transform_config_selectorINS0_10empty_typeELb1EEEZNS1_14transform_implILb1ES3_S6_PS5_S8_NS0_8identityIS5_EEEE10hipError_tT2_T3_mT4_P12ihipStream_tbEUlT_E_NS1_11comp_targetILNS1_3genE10ELNS1_11target_archE1201ELNS1_3gpuE5ELNS1_3repE0EEENS1_30default_config_static_selectorELNS0_4arch9wavefront6targetE1EEEvT1_,"axG",@progbits,_ZN7rocprim17ROCPRIM_400000_NS6detail17trampoline_kernelINS0_14default_configENS1_25transform_config_selectorINS0_10empty_typeELb1EEEZNS1_14transform_implILb1ES3_S6_PS5_S8_NS0_8identityIS5_EEEE10hipError_tT2_T3_mT4_P12ihipStream_tbEUlT_E_NS1_11comp_targetILNS1_3genE10ELNS1_11target_archE1201ELNS1_3gpuE5ELNS1_3repE0EEENS1_30default_config_static_selectorELNS0_4arch9wavefront6targetE1EEEvT1_,comdat
	.protected	_ZN7rocprim17ROCPRIM_400000_NS6detail17trampoline_kernelINS0_14default_configENS1_25transform_config_selectorINS0_10empty_typeELb1EEEZNS1_14transform_implILb1ES3_S6_PS5_S8_NS0_8identityIS5_EEEE10hipError_tT2_T3_mT4_P12ihipStream_tbEUlT_E_NS1_11comp_targetILNS1_3genE10ELNS1_11target_archE1201ELNS1_3gpuE5ELNS1_3repE0EEENS1_30default_config_static_selectorELNS0_4arch9wavefront6targetE1EEEvT1_ ; -- Begin function _ZN7rocprim17ROCPRIM_400000_NS6detail17trampoline_kernelINS0_14default_configENS1_25transform_config_selectorINS0_10empty_typeELb1EEEZNS1_14transform_implILb1ES3_S6_PS5_S8_NS0_8identityIS5_EEEE10hipError_tT2_T3_mT4_P12ihipStream_tbEUlT_E_NS1_11comp_targetILNS1_3genE10ELNS1_11target_archE1201ELNS1_3gpuE5ELNS1_3repE0EEENS1_30default_config_static_selectorELNS0_4arch9wavefront6targetE1EEEvT1_
	.globl	_ZN7rocprim17ROCPRIM_400000_NS6detail17trampoline_kernelINS0_14default_configENS1_25transform_config_selectorINS0_10empty_typeELb1EEEZNS1_14transform_implILb1ES3_S6_PS5_S8_NS0_8identityIS5_EEEE10hipError_tT2_T3_mT4_P12ihipStream_tbEUlT_E_NS1_11comp_targetILNS1_3genE10ELNS1_11target_archE1201ELNS1_3gpuE5ELNS1_3repE0EEENS1_30default_config_static_selectorELNS0_4arch9wavefront6targetE1EEEvT1_
	.p2align	8
	.type	_ZN7rocprim17ROCPRIM_400000_NS6detail17trampoline_kernelINS0_14default_configENS1_25transform_config_selectorINS0_10empty_typeELb1EEEZNS1_14transform_implILb1ES3_S6_PS5_S8_NS0_8identityIS5_EEEE10hipError_tT2_T3_mT4_P12ihipStream_tbEUlT_E_NS1_11comp_targetILNS1_3genE10ELNS1_11target_archE1201ELNS1_3gpuE5ELNS1_3repE0EEENS1_30default_config_static_selectorELNS0_4arch9wavefront6targetE1EEEvT1_,@function
_ZN7rocprim17ROCPRIM_400000_NS6detail17trampoline_kernelINS0_14default_configENS1_25transform_config_selectorINS0_10empty_typeELb1EEEZNS1_14transform_implILb1ES3_S6_PS5_S8_NS0_8identityIS5_EEEE10hipError_tT2_T3_mT4_P12ihipStream_tbEUlT_E_NS1_11comp_targetILNS1_3genE10ELNS1_11target_archE1201ELNS1_3gpuE5ELNS1_3repE0EEENS1_30default_config_static_selectorELNS0_4arch9wavefront6targetE1EEEvT1_: ; @_ZN7rocprim17ROCPRIM_400000_NS6detail17trampoline_kernelINS0_14default_configENS1_25transform_config_selectorINS0_10empty_typeELb1EEEZNS1_14transform_implILb1ES3_S6_PS5_S8_NS0_8identityIS5_EEEE10hipError_tT2_T3_mT4_P12ihipStream_tbEUlT_E_NS1_11comp_targetILNS1_3genE10ELNS1_11target_archE1201ELNS1_3gpuE5ELNS1_3repE0EEENS1_30default_config_static_selectorELNS0_4arch9wavefront6targetE1EEEvT1_
; %bb.0:
	.section	.rodata,"a",@progbits
	.p2align	6, 0x0
	.amdhsa_kernel _ZN7rocprim17ROCPRIM_400000_NS6detail17trampoline_kernelINS0_14default_configENS1_25transform_config_selectorINS0_10empty_typeELb1EEEZNS1_14transform_implILb1ES3_S6_PS5_S8_NS0_8identityIS5_EEEE10hipError_tT2_T3_mT4_P12ihipStream_tbEUlT_E_NS1_11comp_targetILNS1_3genE10ELNS1_11target_archE1201ELNS1_3gpuE5ELNS1_3repE0EEENS1_30default_config_static_selectorELNS0_4arch9wavefront6targetE1EEEvT1_
		.amdhsa_group_segment_fixed_size 0
		.amdhsa_private_segment_fixed_size 0
		.amdhsa_kernarg_size 40
		.amdhsa_user_sgpr_count 2
		.amdhsa_user_sgpr_dispatch_ptr 0
		.amdhsa_user_sgpr_queue_ptr 0
		.amdhsa_user_sgpr_kernarg_segment_ptr 1
		.amdhsa_user_sgpr_dispatch_id 0
		.amdhsa_user_sgpr_kernarg_preload_length 0
		.amdhsa_user_sgpr_kernarg_preload_offset 0
		.amdhsa_user_sgpr_private_segment_size 0
		.amdhsa_uses_dynamic_stack 0
		.amdhsa_enable_private_segment 0
		.amdhsa_system_sgpr_workgroup_id_x 1
		.amdhsa_system_sgpr_workgroup_id_y 0
		.amdhsa_system_sgpr_workgroup_id_z 0
		.amdhsa_system_sgpr_workgroup_info 0
		.amdhsa_system_vgpr_workitem_id 0
		.amdhsa_next_free_vgpr 1
		.amdhsa_next_free_sgpr 0
		.amdhsa_accum_offset 4
		.amdhsa_reserve_vcc 0
		.amdhsa_float_round_mode_32 0
		.amdhsa_float_round_mode_16_64 0
		.amdhsa_float_denorm_mode_32 3
		.amdhsa_float_denorm_mode_16_64 3
		.amdhsa_dx10_clamp 1
		.amdhsa_ieee_mode 1
		.amdhsa_fp16_overflow 0
		.amdhsa_tg_split 0
		.amdhsa_exception_fp_ieee_invalid_op 0
		.amdhsa_exception_fp_denorm_src 0
		.amdhsa_exception_fp_ieee_div_zero 0
		.amdhsa_exception_fp_ieee_overflow 0
		.amdhsa_exception_fp_ieee_underflow 0
		.amdhsa_exception_fp_ieee_inexact 0
		.amdhsa_exception_int_div_zero 0
	.end_amdhsa_kernel
	.section	.text._ZN7rocprim17ROCPRIM_400000_NS6detail17trampoline_kernelINS0_14default_configENS1_25transform_config_selectorINS0_10empty_typeELb1EEEZNS1_14transform_implILb1ES3_S6_PS5_S8_NS0_8identityIS5_EEEE10hipError_tT2_T3_mT4_P12ihipStream_tbEUlT_E_NS1_11comp_targetILNS1_3genE10ELNS1_11target_archE1201ELNS1_3gpuE5ELNS1_3repE0EEENS1_30default_config_static_selectorELNS0_4arch9wavefront6targetE1EEEvT1_,"axG",@progbits,_ZN7rocprim17ROCPRIM_400000_NS6detail17trampoline_kernelINS0_14default_configENS1_25transform_config_selectorINS0_10empty_typeELb1EEEZNS1_14transform_implILb1ES3_S6_PS5_S8_NS0_8identityIS5_EEEE10hipError_tT2_T3_mT4_P12ihipStream_tbEUlT_E_NS1_11comp_targetILNS1_3genE10ELNS1_11target_archE1201ELNS1_3gpuE5ELNS1_3repE0EEENS1_30default_config_static_selectorELNS0_4arch9wavefront6targetE1EEEvT1_,comdat
.Lfunc_end52:
	.size	_ZN7rocprim17ROCPRIM_400000_NS6detail17trampoline_kernelINS0_14default_configENS1_25transform_config_selectorINS0_10empty_typeELb1EEEZNS1_14transform_implILb1ES3_S6_PS5_S8_NS0_8identityIS5_EEEE10hipError_tT2_T3_mT4_P12ihipStream_tbEUlT_E_NS1_11comp_targetILNS1_3genE10ELNS1_11target_archE1201ELNS1_3gpuE5ELNS1_3repE0EEENS1_30default_config_static_selectorELNS0_4arch9wavefront6targetE1EEEvT1_, .Lfunc_end52-_ZN7rocprim17ROCPRIM_400000_NS6detail17trampoline_kernelINS0_14default_configENS1_25transform_config_selectorINS0_10empty_typeELb1EEEZNS1_14transform_implILb1ES3_S6_PS5_S8_NS0_8identityIS5_EEEE10hipError_tT2_T3_mT4_P12ihipStream_tbEUlT_E_NS1_11comp_targetILNS1_3genE10ELNS1_11target_archE1201ELNS1_3gpuE5ELNS1_3repE0EEENS1_30default_config_static_selectorELNS0_4arch9wavefront6targetE1EEEvT1_
                                        ; -- End function
	.section	.AMDGPU.csdata,"",@progbits
; Kernel info:
; codeLenInByte = 0
; NumSgprs: 6
; NumVgprs: 0
; NumAgprs: 0
; TotalNumVgprs: 0
; ScratchSize: 0
; MemoryBound: 0
; FloatMode: 240
; IeeeMode: 1
; LDSByteSize: 0 bytes/workgroup (compile time only)
; SGPRBlocks: 0
; VGPRBlocks: 0
; NumSGPRsForWavesPerEU: 6
; NumVGPRsForWavesPerEU: 1
; AccumOffset: 4
; Occupancy: 8
; WaveLimiterHint : 0
; COMPUTE_PGM_RSRC2:SCRATCH_EN: 0
; COMPUTE_PGM_RSRC2:USER_SGPR: 2
; COMPUTE_PGM_RSRC2:TRAP_HANDLER: 0
; COMPUTE_PGM_RSRC2:TGID_X_EN: 1
; COMPUTE_PGM_RSRC2:TGID_Y_EN: 0
; COMPUTE_PGM_RSRC2:TGID_Z_EN: 0
; COMPUTE_PGM_RSRC2:TIDIG_COMP_CNT: 0
; COMPUTE_PGM_RSRC3_GFX90A:ACCUM_OFFSET: 0
; COMPUTE_PGM_RSRC3_GFX90A:TG_SPLIT: 0
	.section	.text._ZN7rocprim17ROCPRIM_400000_NS6detail17trampoline_kernelINS0_14default_configENS1_25transform_config_selectorINS0_10empty_typeELb1EEEZNS1_14transform_implILb1ES3_S6_PS5_S8_NS0_8identityIS5_EEEE10hipError_tT2_T3_mT4_P12ihipStream_tbEUlT_E_NS1_11comp_targetILNS1_3genE5ELNS1_11target_archE942ELNS1_3gpuE9ELNS1_3repE0EEENS1_30default_config_static_selectorELNS0_4arch9wavefront6targetE1EEEvT1_,"axG",@progbits,_ZN7rocprim17ROCPRIM_400000_NS6detail17trampoline_kernelINS0_14default_configENS1_25transform_config_selectorINS0_10empty_typeELb1EEEZNS1_14transform_implILb1ES3_S6_PS5_S8_NS0_8identityIS5_EEEE10hipError_tT2_T3_mT4_P12ihipStream_tbEUlT_E_NS1_11comp_targetILNS1_3genE5ELNS1_11target_archE942ELNS1_3gpuE9ELNS1_3repE0EEENS1_30default_config_static_selectorELNS0_4arch9wavefront6targetE1EEEvT1_,comdat
	.protected	_ZN7rocprim17ROCPRIM_400000_NS6detail17trampoline_kernelINS0_14default_configENS1_25transform_config_selectorINS0_10empty_typeELb1EEEZNS1_14transform_implILb1ES3_S6_PS5_S8_NS0_8identityIS5_EEEE10hipError_tT2_T3_mT4_P12ihipStream_tbEUlT_E_NS1_11comp_targetILNS1_3genE5ELNS1_11target_archE942ELNS1_3gpuE9ELNS1_3repE0EEENS1_30default_config_static_selectorELNS0_4arch9wavefront6targetE1EEEvT1_ ; -- Begin function _ZN7rocprim17ROCPRIM_400000_NS6detail17trampoline_kernelINS0_14default_configENS1_25transform_config_selectorINS0_10empty_typeELb1EEEZNS1_14transform_implILb1ES3_S6_PS5_S8_NS0_8identityIS5_EEEE10hipError_tT2_T3_mT4_P12ihipStream_tbEUlT_E_NS1_11comp_targetILNS1_3genE5ELNS1_11target_archE942ELNS1_3gpuE9ELNS1_3repE0EEENS1_30default_config_static_selectorELNS0_4arch9wavefront6targetE1EEEvT1_
	.globl	_ZN7rocprim17ROCPRIM_400000_NS6detail17trampoline_kernelINS0_14default_configENS1_25transform_config_selectorINS0_10empty_typeELb1EEEZNS1_14transform_implILb1ES3_S6_PS5_S8_NS0_8identityIS5_EEEE10hipError_tT2_T3_mT4_P12ihipStream_tbEUlT_E_NS1_11comp_targetILNS1_3genE5ELNS1_11target_archE942ELNS1_3gpuE9ELNS1_3repE0EEENS1_30default_config_static_selectorELNS0_4arch9wavefront6targetE1EEEvT1_
	.p2align	8
	.type	_ZN7rocprim17ROCPRIM_400000_NS6detail17trampoline_kernelINS0_14default_configENS1_25transform_config_selectorINS0_10empty_typeELb1EEEZNS1_14transform_implILb1ES3_S6_PS5_S8_NS0_8identityIS5_EEEE10hipError_tT2_T3_mT4_P12ihipStream_tbEUlT_E_NS1_11comp_targetILNS1_3genE5ELNS1_11target_archE942ELNS1_3gpuE9ELNS1_3repE0EEENS1_30default_config_static_selectorELNS0_4arch9wavefront6targetE1EEEvT1_,@function
_ZN7rocprim17ROCPRIM_400000_NS6detail17trampoline_kernelINS0_14default_configENS1_25transform_config_selectorINS0_10empty_typeELb1EEEZNS1_14transform_implILb1ES3_S6_PS5_S8_NS0_8identityIS5_EEEE10hipError_tT2_T3_mT4_P12ihipStream_tbEUlT_E_NS1_11comp_targetILNS1_3genE5ELNS1_11target_archE942ELNS1_3gpuE9ELNS1_3repE0EEENS1_30default_config_static_selectorELNS0_4arch9wavefront6targetE1EEEvT1_: ; @_ZN7rocprim17ROCPRIM_400000_NS6detail17trampoline_kernelINS0_14default_configENS1_25transform_config_selectorINS0_10empty_typeELb1EEEZNS1_14transform_implILb1ES3_S6_PS5_S8_NS0_8identityIS5_EEEE10hipError_tT2_T3_mT4_P12ihipStream_tbEUlT_E_NS1_11comp_targetILNS1_3genE5ELNS1_11target_archE942ELNS1_3gpuE9ELNS1_3repE0EEENS1_30default_config_static_selectorELNS0_4arch9wavefront6targetE1EEEvT1_
; %bb.0:
	s_endpgm
	.section	.rodata,"a",@progbits
	.p2align	6, 0x0
	.amdhsa_kernel _ZN7rocprim17ROCPRIM_400000_NS6detail17trampoline_kernelINS0_14default_configENS1_25transform_config_selectorINS0_10empty_typeELb1EEEZNS1_14transform_implILb1ES3_S6_PS5_S8_NS0_8identityIS5_EEEE10hipError_tT2_T3_mT4_P12ihipStream_tbEUlT_E_NS1_11comp_targetILNS1_3genE5ELNS1_11target_archE942ELNS1_3gpuE9ELNS1_3repE0EEENS1_30default_config_static_selectorELNS0_4arch9wavefront6targetE1EEEvT1_
		.amdhsa_group_segment_fixed_size 0
		.amdhsa_private_segment_fixed_size 0
		.amdhsa_kernarg_size 40
		.amdhsa_user_sgpr_count 2
		.amdhsa_user_sgpr_dispatch_ptr 0
		.amdhsa_user_sgpr_queue_ptr 0
		.amdhsa_user_sgpr_kernarg_segment_ptr 1
		.amdhsa_user_sgpr_dispatch_id 0
		.amdhsa_user_sgpr_kernarg_preload_length 0
		.amdhsa_user_sgpr_kernarg_preload_offset 0
		.amdhsa_user_sgpr_private_segment_size 0
		.amdhsa_uses_dynamic_stack 0
		.amdhsa_enable_private_segment 0
		.amdhsa_system_sgpr_workgroup_id_x 1
		.amdhsa_system_sgpr_workgroup_id_y 0
		.amdhsa_system_sgpr_workgroup_id_z 0
		.amdhsa_system_sgpr_workgroup_info 0
		.amdhsa_system_vgpr_workitem_id 0
		.amdhsa_next_free_vgpr 1
		.amdhsa_next_free_sgpr 0
		.amdhsa_accum_offset 4
		.amdhsa_reserve_vcc 0
		.amdhsa_float_round_mode_32 0
		.amdhsa_float_round_mode_16_64 0
		.amdhsa_float_denorm_mode_32 3
		.amdhsa_float_denorm_mode_16_64 3
		.amdhsa_dx10_clamp 1
		.amdhsa_ieee_mode 1
		.amdhsa_fp16_overflow 0
		.amdhsa_tg_split 0
		.amdhsa_exception_fp_ieee_invalid_op 0
		.amdhsa_exception_fp_denorm_src 0
		.amdhsa_exception_fp_ieee_div_zero 0
		.amdhsa_exception_fp_ieee_overflow 0
		.amdhsa_exception_fp_ieee_underflow 0
		.amdhsa_exception_fp_ieee_inexact 0
		.amdhsa_exception_int_div_zero 0
	.end_amdhsa_kernel
	.section	.text._ZN7rocprim17ROCPRIM_400000_NS6detail17trampoline_kernelINS0_14default_configENS1_25transform_config_selectorINS0_10empty_typeELb1EEEZNS1_14transform_implILb1ES3_S6_PS5_S8_NS0_8identityIS5_EEEE10hipError_tT2_T3_mT4_P12ihipStream_tbEUlT_E_NS1_11comp_targetILNS1_3genE5ELNS1_11target_archE942ELNS1_3gpuE9ELNS1_3repE0EEENS1_30default_config_static_selectorELNS0_4arch9wavefront6targetE1EEEvT1_,"axG",@progbits,_ZN7rocprim17ROCPRIM_400000_NS6detail17trampoline_kernelINS0_14default_configENS1_25transform_config_selectorINS0_10empty_typeELb1EEEZNS1_14transform_implILb1ES3_S6_PS5_S8_NS0_8identityIS5_EEEE10hipError_tT2_T3_mT4_P12ihipStream_tbEUlT_E_NS1_11comp_targetILNS1_3genE5ELNS1_11target_archE942ELNS1_3gpuE9ELNS1_3repE0EEENS1_30default_config_static_selectorELNS0_4arch9wavefront6targetE1EEEvT1_,comdat
.Lfunc_end53:
	.size	_ZN7rocprim17ROCPRIM_400000_NS6detail17trampoline_kernelINS0_14default_configENS1_25transform_config_selectorINS0_10empty_typeELb1EEEZNS1_14transform_implILb1ES3_S6_PS5_S8_NS0_8identityIS5_EEEE10hipError_tT2_T3_mT4_P12ihipStream_tbEUlT_E_NS1_11comp_targetILNS1_3genE5ELNS1_11target_archE942ELNS1_3gpuE9ELNS1_3repE0EEENS1_30default_config_static_selectorELNS0_4arch9wavefront6targetE1EEEvT1_, .Lfunc_end53-_ZN7rocprim17ROCPRIM_400000_NS6detail17trampoline_kernelINS0_14default_configENS1_25transform_config_selectorINS0_10empty_typeELb1EEEZNS1_14transform_implILb1ES3_S6_PS5_S8_NS0_8identityIS5_EEEE10hipError_tT2_T3_mT4_P12ihipStream_tbEUlT_E_NS1_11comp_targetILNS1_3genE5ELNS1_11target_archE942ELNS1_3gpuE9ELNS1_3repE0EEENS1_30default_config_static_selectorELNS0_4arch9wavefront6targetE1EEEvT1_
                                        ; -- End function
	.section	.AMDGPU.csdata,"",@progbits
; Kernel info:
; codeLenInByte = 4
; NumSgprs: 6
; NumVgprs: 0
; NumAgprs: 0
; TotalNumVgprs: 0
; ScratchSize: 0
; MemoryBound: 0
; FloatMode: 240
; IeeeMode: 1
; LDSByteSize: 0 bytes/workgroup (compile time only)
; SGPRBlocks: 0
; VGPRBlocks: 0
; NumSGPRsForWavesPerEU: 6
; NumVGPRsForWavesPerEU: 1
; AccumOffset: 4
; Occupancy: 8
; WaveLimiterHint : 0
; COMPUTE_PGM_RSRC2:SCRATCH_EN: 0
; COMPUTE_PGM_RSRC2:USER_SGPR: 2
; COMPUTE_PGM_RSRC2:TRAP_HANDLER: 0
; COMPUTE_PGM_RSRC2:TGID_X_EN: 1
; COMPUTE_PGM_RSRC2:TGID_Y_EN: 0
; COMPUTE_PGM_RSRC2:TGID_Z_EN: 0
; COMPUTE_PGM_RSRC2:TIDIG_COMP_CNT: 0
; COMPUTE_PGM_RSRC3_GFX90A:ACCUM_OFFSET: 0
; COMPUTE_PGM_RSRC3_GFX90A:TG_SPLIT: 0
	.section	.text._ZN7rocprim17ROCPRIM_400000_NS6detail17trampoline_kernelINS0_14default_configENS1_25transform_config_selectorINS0_10empty_typeELb1EEEZNS1_14transform_implILb1ES3_S6_PS5_S8_NS0_8identityIS5_EEEE10hipError_tT2_T3_mT4_P12ihipStream_tbEUlT_E_NS1_11comp_targetILNS1_3genE4ELNS1_11target_archE910ELNS1_3gpuE8ELNS1_3repE0EEENS1_30default_config_static_selectorELNS0_4arch9wavefront6targetE1EEEvT1_,"axG",@progbits,_ZN7rocprim17ROCPRIM_400000_NS6detail17trampoline_kernelINS0_14default_configENS1_25transform_config_selectorINS0_10empty_typeELb1EEEZNS1_14transform_implILb1ES3_S6_PS5_S8_NS0_8identityIS5_EEEE10hipError_tT2_T3_mT4_P12ihipStream_tbEUlT_E_NS1_11comp_targetILNS1_3genE4ELNS1_11target_archE910ELNS1_3gpuE8ELNS1_3repE0EEENS1_30default_config_static_selectorELNS0_4arch9wavefront6targetE1EEEvT1_,comdat
	.protected	_ZN7rocprim17ROCPRIM_400000_NS6detail17trampoline_kernelINS0_14default_configENS1_25transform_config_selectorINS0_10empty_typeELb1EEEZNS1_14transform_implILb1ES3_S6_PS5_S8_NS0_8identityIS5_EEEE10hipError_tT2_T3_mT4_P12ihipStream_tbEUlT_E_NS1_11comp_targetILNS1_3genE4ELNS1_11target_archE910ELNS1_3gpuE8ELNS1_3repE0EEENS1_30default_config_static_selectorELNS0_4arch9wavefront6targetE1EEEvT1_ ; -- Begin function _ZN7rocprim17ROCPRIM_400000_NS6detail17trampoline_kernelINS0_14default_configENS1_25transform_config_selectorINS0_10empty_typeELb1EEEZNS1_14transform_implILb1ES3_S6_PS5_S8_NS0_8identityIS5_EEEE10hipError_tT2_T3_mT4_P12ihipStream_tbEUlT_E_NS1_11comp_targetILNS1_3genE4ELNS1_11target_archE910ELNS1_3gpuE8ELNS1_3repE0EEENS1_30default_config_static_selectorELNS0_4arch9wavefront6targetE1EEEvT1_
	.globl	_ZN7rocprim17ROCPRIM_400000_NS6detail17trampoline_kernelINS0_14default_configENS1_25transform_config_selectorINS0_10empty_typeELb1EEEZNS1_14transform_implILb1ES3_S6_PS5_S8_NS0_8identityIS5_EEEE10hipError_tT2_T3_mT4_P12ihipStream_tbEUlT_E_NS1_11comp_targetILNS1_3genE4ELNS1_11target_archE910ELNS1_3gpuE8ELNS1_3repE0EEENS1_30default_config_static_selectorELNS0_4arch9wavefront6targetE1EEEvT1_
	.p2align	8
	.type	_ZN7rocprim17ROCPRIM_400000_NS6detail17trampoline_kernelINS0_14default_configENS1_25transform_config_selectorINS0_10empty_typeELb1EEEZNS1_14transform_implILb1ES3_S6_PS5_S8_NS0_8identityIS5_EEEE10hipError_tT2_T3_mT4_P12ihipStream_tbEUlT_E_NS1_11comp_targetILNS1_3genE4ELNS1_11target_archE910ELNS1_3gpuE8ELNS1_3repE0EEENS1_30default_config_static_selectorELNS0_4arch9wavefront6targetE1EEEvT1_,@function
_ZN7rocprim17ROCPRIM_400000_NS6detail17trampoline_kernelINS0_14default_configENS1_25transform_config_selectorINS0_10empty_typeELb1EEEZNS1_14transform_implILb1ES3_S6_PS5_S8_NS0_8identityIS5_EEEE10hipError_tT2_T3_mT4_P12ihipStream_tbEUlT_E_NS1_11comp_targetILNS1_3genE4ELNS1_11target_archE910ELNS1_3gpuE8ELNS1_3repE0EEENS1_30default_config_static_selectorELNS0_4arch9wavefront6targetE1EEEvT1_: ; @_ZN7rocprim17ROCPRIM_400000_NS6detail17trampoline_kernelINS0_14default_configENS1_25transform_config_selectorINS0_10empty_typeELb1EEEZNS1_14transform_implILb1ES3_S6_PS5_S8_NS0_8identityIS5_EEEE10hipError_tT2_T3_mT4_P12ihipStream_tbEUlT_E_NS1_11comp_targetILNS1_3genE4ELNS1_11target_archE910ELNS1_3gpuE8ELNS1_3repE0EEENS1_30default_config_static_selectorELNS0_4arch9wavefront6targetE1EEEvT1_
; %bb.0:
	.section	.rodata,"a",@progbits
	.p2align	6, 0x0
	.amdhsa_kernel _ZN7rocprim17ROCPRIM_400000_NS6detail17trampoline_kernelINS0_14default_configENS1_25transform_config_selectorINS0_10empty_typeELb1EEEZNS1_14transform_implILb1ES3_S6_PS5_S8_NS0_8identityIS5_EEEE10hipError_tT2_T3_mT4_P12ihipStream_tbEUlT_E_NS1_11comp_targetILNS1_3genE4ELNS1_11target_archE910ELNS1_3gpuE8ELNS1_3repE0EEENS1_30default_config_static_selectorELNS0_4arch9wavefront6targetE1EEEvT1_
		.amdhsa_group_segment_fixed_size 0
		.amdhsa_private_segment_fixed_size 0
		.amdhsa_kernarg_size 40
		.amdhsa_user_sgpr_count 2
		.amdhsa_user_sgpr_dispatch_ptr 0
		.amdhsa_user_sgpr_queue_ptr 0
		.amdhsa_user_sgpr_kernarg_segment_ptr 1
		.amdhsa_user_sgpr_dispatch_id 0
		.amdhsa_user_sgpr_kernarg_preload_length 0
		.amdhsa_user_sgpr_kernarg_preload_offset 0
		.amdhsa_user_sgpr_private_segment_size 0
		.amdhsa_uses_dynamic_stack 0
		.amdhsa_enable_private_segment 0
		.amdhsa_system_sgpr_workgroup_id_x 1
		.amdhsa_system_sgpr_workgroup_id_y 0
		.amdhsa_system_sgpr_workgroup_id_z 0
		.amdhsa_system_sgpr_workgroup_info 0
		.amdhsa_system_vgpr_workitem_id 0
		.amdhsa_next_free_vgpr 1
		.amdhsa_next_free_sgpr 0
		.amdhsa_accum_offset 4
		.amdhsa_reserve_vcc 0
		.amdhsa_float_round_mode_32 0
		.amdhsa_float_round_mode_16_64 0
		.amdhsa_float_denorm_mode_32 3
		.amdhsa_float_denorm_mode_16_64 3
		.amdhsa_dx10_clamp 1
		.amdhsa_ieee_mode 1
		.amdhsa_fp16_overflow 0
		.amdhsa_tg_split 0
		.amdhsa_exception_fp_ieee_invalid_op 0
		.amdhsa_exception_fp_denorm_src 0
		.amdhsa_exception_fp_ieee_div_zero 0
		.amdhsa_exception_fp_ieee_overflow 0
		.amdhsa_exception_fp_ieee_underflow 0
		.amdhsa_exception_fp_ieee_inexact 0
		.amdhsa_exception_int_div_zero 0
	.end_amdhsa_kernel
	.section	.text._ZN7rocprim17ROCPRIM_400000_NS6detail17trampoline_kernelINS0_14default_configENS1_25transform_config_selectorINS0_10empty_typeELb1EEEZNS1_14transform_implILb1ES3_S6_PS5_S8_NS0_8identityIS5_EEEE10hipError_tT2_T3_mT4_P12ihipStream_tbEUlT_E_NS1_11comp_targetILNS1_3genE4ELNS1_11target_archE910ELNS1_3gpuE8ELNS1_3repE0EEENS1_30default_config_static_selectorELNS0_4arch9wavefront6targetE1EEEvT1_,"axG",@progbits,_ZN7rocprim17ROCPRIM_400000_NS6detail17trampoline_kernelINS0_14default_configENS1_25transform_config_selectorINS0_10empty_typeELb1EEEZNS1_14transform_implILb1ES3_S6_PS5_S8_NS0_8identityIS5_EEEE10hipError_tT2_T3_mT4_P12ihipStream_tbEUlT_E_NS1_11comp_targetILNS1_3genE4ELNS1_11target_archE910ELNS1_3gpuE8ELNS1_3repE0EEENS1_30default_config_static_selectorELNS0_4arch9wavefront6targetE1EEEvT1_,comdat
.Lfunc_end54:
	.size	_ZN7rocprim17ROCPRIM_400000_NS6detail17trampoline_kernelINS0_14default_configENS1_25transform_config_selectorINS0_10empty_typeELb1EEEZNS1_14transform_implILb1ES3_S6_PS5_S8_NS0_8identityIS5_EEEE10hipError_tT2_T3_mT4_P12ihipStream_tbEUlT_E_NS1_11comp_targetILNS1_3genE4ELNS1_11target_archE910ELNS1_3gpuE8ELNS1_3repE0EEENS1_30default_config_static_selectorELNS0_4arch9wavefront6targetE1EEEvT1_, .Lfunc_end54-_ZN7rocprim17ROCPRIM_400000_NS6detail17trampoline_kernelINS0_14default_configENS1_25transform_config_selectorINS0_10empty_typeELb1EEEZNS1_14transform_implILb1ES3_S6_PS5_S8_NS0_8identityIS5_EEEE10hipError_tT2_T3_mT4_P12ihipStream_tbEUlT_E_NS1_11comp_targetILNS1_3genE4ELNS1_11target_archE910ELNS1_3gpuE8ELNS1_3repE0EEENS1_30default_config_static_selectorELNS0_4arch9wavefront6targetE1EEEvT1_
                                        ; -- End function
	.section	.AMDGPU.csdata,"",@progbits
; Kernel info:
; codeLenInByte = 0
; NumSgprs: 6
; NumVgprs: 0
; NumAgprs: 0
; TotalNumVgprs: 0
; ScratchSize: 0
; MemoryBound: 0
; FloatMode: 240
; IeeeMode: 1
; LDSByteSize: 0 bytes/workgroup (compile time only)
; SGPRBlocks: 0
; VGPRBlocks: 0
; NumSGPRsForWavesPerEU: 6
; NumVGPRsForWavesPerEU: 1
; AccumOffset: 4
; Occupancy: 8
; WaveLimiterHint : 0
; COMPUTE_PGM_RSRC2:SCRATCH_EN: 0
; COMPUTE_PGM_RSRC2:USER_SGPR: 2
; COMPUTE_PGM_RSRC2:TRAP_HANDLER: 0
; COMPUTE_PGM_RSRC2:TGID_X_EN: 1
; COMPUTE_PGM_RSRC2:TGID_Y_EN: 0
; COMPUTE_PGM_RSRC2:TGID_Z_EN: 0
; COMPUTE_PGM_RSRC2:TIDIG_COMP_CNT: 0
; COMPUTE_PGM_RSRC3_GFX90A:ACCUM_OFFSET: 0
; COMPUTE_PGM_RSRC3_GFX90A:TG_SPLIT: 0
	.section	.text._ZN7rocprim17ROCPRIM_400000_NS6detail17trampoline_kernelINS0_14default_configENS1_25transform_config_selectorINS0_10empty_typeELb1EEEZNS1_14transform_implILb1ES3_S6_PS5_S8_NS0_8identityIS5_EEEE10hipError_tT2_T3_mT4_P12ihipStream_tbEUlT_E_NS1_11comp_targetILNS1_3genE3ELNS1_11target_archE908ELNS1_3gpuE7ELNS1_3repE0EEENS1_30default_config_static_selectorELNS0_4arch9wavefront6targetE1EEEvT1_,"axG",@progbits,_ZN7rocprim17ROCPRIM_400000_NS6detail17trampoline_kernelINS0_14default_configENS1_25transform_config_selectorINS0_10empty_typeELb1EEEZNS1_14transform_implILb1ES3_S6_PS5_S8_NS0_8identityIS5_EEEE10hipError_tT2_T3_mT4_P12ihipStream_tbEUlT_E_NS1_11comp_targetILNS1_3genE3ELNS1_11target_archE908ELNS1_3gpuE7ELNS1_3repE0EEENS1_30default_config_static_selectorELNS0_4arch9wavefront6targetE1EEEvT1_,comdat
	.protected	_ZN7rocprim17ROCPRIM_400000_NS6detail17trampoline_kernelINS0_14default_configENS1_25transform_config_selectorINS0_10empty_typeELb1EEEZNS1_14transform_implILb1ES3_S6_PS5_S8_NS0_8identityIS5_EEEE10hipError_tT2_T3_mT4_P12ihipStream_tbEUlT_E_NS1_11comp_targetILNS1_3genE3ELNS1_11target_archE908ELNS1_3gpuE7ELNS1_3repE0EEENS1_30default_config_static_selectorELNS0_4arch9wavefront6targetE1EEEvT1_ ; -- Begin function _ZN7rocprim17ROCPRIM_400000_NS6detail17trampoline_kernelINS0_14default_configENS1_25transform_config_selectorINS0_10empty_typeELb1EEEZNS1_14transform_implILb1ES3_S6_PS5_S8_NS0_8identityIS5_EEEE10hipError_tT2_T3_mT4_P12ihipStream_tbEUlT_E_NS1_11comp_targetILNS1_3genE3ELNS1_11target_archE908ELNS1_3gpuE7ELNS1_3repE0EEENS1_30default_config_static_selectorELNS0_4arch9wavefront6targetE1EEEvT1_
	.globl	_ZN7rocprim17ROCPRIM_400000_NS6detail17trampoline_kernelINS0_14default_configENS1_25transform_config_selectorINS0_10empty_typeELb1EEEZNS1_14transform_implILb1ES3_S6_PS5_S8_NS0_8identityIS5_EEEE10hipError_tT2_T3_mT4_P12ihipStream_tbEUlT_E_NS1_11comp_targetILNS1_3genE3ELNS1_11target_archE908ELNS1_3gpuE7ELNS1_3repE0EEENS1_30default_config_static_selectorELNS0_4arch9wavefront6targetE1EEEvT1_
	.p2align	8
	.type	_ZN7rocprim17ROCPRIM_400000_NS6detail17trampoline_kernelINS0_14default_configENS1_25transform_config_selectorINS0_10empty_typeELb1EEEZNS1_14transform_implILb1ES3_S6_PS5_S8_NS0_8identityIS5_EEEE10hipError_tT2_T3_mT4_P12ihipStream_tbEUlT_E_NS1_11comp_targetILNS1_3genE3ELNS1_11target_archE908ELNS1_3gpuE7ELNS1_3repE0EEENS1_30default_config_static_selectorELNS0_4arch9wavefront6targetE1EEEvT1_,@function
_ZN7rocprim17ROCPRIM_400000_NS6detail17trampoline_kernelINS0_14default_configENS1_25transform_config_selectorINS0_10empty_typeELb1EEEZNS1_14transform_implILb1ES3_S6_PS5_S8_NS0_8identityIS5_EEEE10hipError_tT2_T3_mT4_P12ihipStream_tbEUlT_E_NS1_11comp_targetILNS1_3genE3ELNS1_11target_archE908ELNS1_3gpuE7ELNS1_3repE0EEENS1_30default_config_static_selectorELNS0_4arch9wavefront6targetE1EEEvT1_: ; @_ZN7rocprim17ROCPRIM_400000_NS6detail17trampoline_kernelINS0_14default_configENS1_25transform_config_selectorINS0_10empty_typeELb1EEEZNS1_14transform_implILb1ES3_S6_PS5_S8_NS0_8identityIS5_EEEE10hipError_tT2_T3_mT4_P12ihipStream_tbEUlT_E_NS1_11comp_targetILNS1_3genE3ELNS1_11target_archE908ELNS1_3gpuE7ELNS1_3repE0EEENS1_30default_config_static_selectorELNS0_4arch9wavefront6targetE1EEEvT1_
; %bb.0:
	.section	.rodata,"a",@progbits
	.p2align	6, 0x0
	.amdhsa_kernel _ZN7rocprim17ROCPRIM_400000_NS6detail17trampoline_kernelINS0_14default_configENS1_25transform_config_selectorINS0_10empty_typeELb1EEEZNS1_14transform_implILb1ES3_S6_PS5_S8_NS0_8identityIS5_EEEE10hipError_tT2_T3_mT4_P12ihipStream_tbEUlT_E_NS1_11comp_targetILNS1_3genE3ELNS1_11target_archE908ELNS1_3gpuE7ELNS1_3repE0EEENS1_30default_config_static_selectorELNS0_4arch9wavefront6targetE1EEEvT1_
		.amdhsa_group_segment_fixed_size 0
		.amdhsa_private_segment_fixed_size 0
		.amdhsa_kernarg_size 40
		.amdhsa_user_sgpr_count 2
		.amdhsa_user_sgpr_dispatch_ptr 0
		.amdhsa_user_sgpr_queue_ptr 0
		.amdhsa_user_sgpr_kernarg_segment_ptr 1
		.amdhsa_user_sgpr_dispatch_id 0
		.amdhsa_user_sgpr_kernarg_preload_length 0
		.amdhsa_user_sgpr_kernarg_preload_offset 0
		.amdhsa_user_sgpr_private_segment_size 0
		.amdhsa_uses_dynamic_stack 0
		.amdhsa_enable_private_segment 0
		.amdhsa_system_sgpr_workgroup_id_x 1
		.amdhsa_system_sgpr_workgroup_id_y 0
		.amdhsa_system_sgpr_workgroup_id_z 0
		.amdhsa_system_sgpr_workgroup_info 0
		.amdhsa_system_vgpr_workitem_id 0
		.amdhsa_next_free_vgpr 1
		.amdhsa_next_free_sgpr 0
		.amdhsa_accum_offset 4
		.amdhsa_reserve_vcc 0
		.amdhsa_float_round_mode_32 0
		.amdhsa_float_round_mode_16_64 0
		.amdhsa_float_denorm_mode_32 3
		.amdhsa_float_denorm_mode_16_64 3
		.amdhsa_dx10_clamp 1
		.amdhsa_ieee_mode 1
		.amdhsa_fp16_overflow 0
		.amdhsa_tg_split 0
		.amdhsa_exception_fp_ieee_invalid_op 0
		.amdhsa_exception_fp_denorm_src 0
		.amdhsa_exception_fp_ieee_div_zero 0
		.amdhsa_exception_fp_ieee_overflow 0
		.amdhsa_exception_fp_ieee_underflow 0
		.amdhsa_exception_fp_ieee_inexact 0
		.amdhsa_exception_int_div_zero 0
	.end_amdhsa_kernel
	.section	.text._ZN7rocprim17ROCPRIM_400000_NS6detail17trampoline_kernelINS0_14default_configENS1_25transform_config_selectorINS0_10empty_typeELb1EEEZNS1_14transform_implILb1ES3_S6_PS5_S8_NS0_8identityIS5_EEEE10hipError_tT2_T3_mT4_P12ihipStream_tbEUlT_E_NS1_11comp_targetILNS1_3genE3ELNS1_11target_archE908ELNS1_3gpuE7ELNS1_3repE0EEENS1_30default_config_static_selectorELNS0_4arch9wavefront6targetE1EEEvT1_,"axG",@progbits,_ZN7rocprim17ROCPRIM_400000_NS6detail17trampoline_kernelINS0_14default_configENS1_25transform_config_selectorINS0_10empty_typeELb1EEEZNS1_14transform_implILb1ES3_S6_PS5_S8_NS0_8identityIS5_EEEE10hipError_tT2_T3_mT4_P12ihipStream_tbEUlT_E_NS1_11comp_targetILNS1_3genE3ELNS1_11target_archE908ELNS1_3gpuE7ELNS1_3repE0EEENS1_30default_config_static_selectorELNS0_4arch9wavefront6targetE1EEEvT1_,comdat
.Lfunc_end55:
	.size	_ZN7rocprim17ROCPRIM_400000_NS6detail17trampoline_kernelINS0_14default_configENS1_25transform_config_selectorINS0_10empty_typeELb1EEEZNS1_14transform_implILb1ES3_S6_PS5_S8_NS0_8identityIS5_EEEE10hipError_tT2_T3_mT4_P12ihipStream_tbEUlT_E_NS1_11comp_targetILNS1_3genE3ELNS1_11target_archE908ELNS1_3gpuE7ELNS1_3repE0EEENS1_30default_config_static_selectorELNS0_4arch9wavefront6targetE1EEEvT1_, .Lfunc_end55-_ZN7rocprim17ROCPRIM_400000_NS6detail17trampoline_kernelINS0_14default_configENS1_25transform_config_selectorINS0_10empty_typeELb1EEEZNS1_14transform_implILb1ES3_S6_PS5_S8_NS0_8identityIS5_EEEE10hipError_tT2_T3_mT4_P12ihipStream_tbEUlT_E_NS1_11comp_targetILNS1_3genE3ELNS1_11target_archE908ELNS1_3gpuE7ELNS1_3repE0EEENS1_30default_config_static_selectorELNS0_4arch9wavefront6targetE1EEEvT1_
                                        ; -- End function
	.section	.AMDGPU.csdata,"",@progbits
; Kernel info:
; codeLenInByte = 0
; NumSgprs: 6
; NumVgprs: 0
; NumAgprs: 0
; TotalNumVgprs: 0
; ScratchSize: 0
; MemoryBound: 0
; FloatMode: 240
; IeeeMode: 1
; LDSByteSize: 0 bytes/workgroup (compile time only)
; SGPRBlocks: 0
; VGPRBlocks: 0
; NumSGPRsForWavesPerEU: 6
; NumVGPRsForWavesPerEU: 1
; AccumOffset: 4
; Occupancy: 8
; WaveLimiterHint : 0
; COMPUTE_PGM_RSRC2:SCRATCH_EN: 0
; COMPUTE_PGM_RSRC2:USER_SGPR: 2
; COMPUTE_PGM_RSRC2:TRAP_HANDLER: 0
; COMPUTE_PGM_RSRC2:TGID_X_EN: 1
; COMPUTE_PGM_RSRC2:TGID_Y_EN: 0
; COMPUTE_PGM_RSRC2:TGID_Z_EN: 0
; COMPUTE_PGM_RSRC2:TIDIG_COMP_CNT: 0
; COMPUTE_PGM_RSRC3_GFX90A:ACCUM_OFFSET: 0
; COMPUTE_PGM_RSRC3_GFX90A:TG_SPLIT: 0
	.section	.text._ZN7rocprim17ROCPRIM_400000_NS6detail17trampoline_kernelINS0_14default_configENS1_25transform_config_selectorINS0_10empty_typeELb1EEEZNS1_14transform_implILb1ES3_S6_PS5_S8_NS0_8identityIS5_EEEE10hipError_tT2_T3_mT4_P12ihipStream_tbEUlT_E_NS1_11comp_targetILNS1_3genE2ELNS1_11target_archE906ELNS1_3gpuE6ELNS1_3repE0EEENS1_30default_config_static_selectorELNS0_4arch9wavefront6targetE1EEEvT1_,"axG",@progbits,_ZN7rocprim17ROCPRIM_400000_NS6detail17trampoline_kernelINS0_14default_configENS1_25transform_config_selectorINS0_10empty_typeELb1EEEZNS1_14transform_implILb1ES3_S6_PS5_S8_NS0_8identityIS5_EEEE10hipError_tT2_T3_mT4_P12ihipStream_tbEUlT_E_NS1_11comp_targetILNS1_3genE2ELNS1_11target_archE906ELNS1_3gpuE6ELNS1_3repE0EEENS1_30default_config_static_selectorELNS0_4arch9wavefront6targetE1EEEvT1_,comdat
	.protected	_ZN7rocprim17ROCPRIM_400000_NS6detail17trampoline_kernelINS0_14default_configENS1_25transform_config_selectorINS0_10empty_typeELb1EEEZNS1_14transform_implILb1ES3_S6_PS5_S8_NS0_8identityIS5_EEEE10hipError_tT2_T3_mT4_P12ihipStream_tbEUlT_E_NS1_11comp_targetILNS1_3genE2ELNS1_11target_archE906ELNS1_3gpuE6ELNS1_3repE0EEENS1_30default_config_static_selectorELNS0_4arch9wavefront6targetE1EEEvT1_ ; -- Begin function _ZN7rocprim17ROCPRIM_400000_NS6detail17trampoline_kernelINS0_14default_configENS1_25transform_config_selectorINS0_10empty_typeELb1EEEZNS1_14transform_implILb1ES3_S6_PS5_S8_NS0_8identityIS5_EEEE10hipError_tT2_T3_mT4_P12ihipStream_tbEUlT_E_NS1_11comp_targetILNS1_3genE2ELNS1_11target_archE906ELNS1_3gpuE6ELNS1_3repE0EEENS1_30default_config_static_selectorELNS0_4arch9wavefront6targetE1EEEvT1_
	.globl	_ZN7rocprim17ROCPRIM_400000_NS6detail17trampoline_kernelINS0_14default_configENS1_25transform_config_selectorINS0_10empty_typeELb1EEEZNS1_14transform_implILb1ES3_S6_PS5_S8_NS0_8identityIS5_EEEE10hipError_tT2_T3_mT4_P12ihipStream_tbEUlT_E_NS1_11comp_targetILNS1_3genE2ELNS1_11target_archE906ELNS1_3gpuE6ELNS1_3repE0EEENS1_30default_config_static_selectorELNS0_4arch9wavefront6targetE1EEEvT1_
	.p2align	8
	.type	_ZN7rocprim17ROCPRIM_400000_NS6detail17trampoline_kernelINS0_14default_configENS1_25transform_config_selectorINS0_10empty_typeELb1EEEZNS1_14transform_implILb1ES3_S6_PS5_S8_NS0_8identityIS5_EEEE10hipError_tT2_T3_mT4_P12ihipStream_tbEUlT_E_NS1_11comp_targetILNS1_3genE2ELNS1_11target_archE906ELNS1_3gpuE6ELNS1_3repE0EEENS1_30default_config_static_selectorELNS0_4arch9wavefront6targetE1EEEvT1_,@function
_ZN7rocprim17ROCPRIM_400000_NS6detail17trampoline_kernelINS0_14default_configENS1_25transform_config_selectorINS0_10empty_typeELb1EEEZNS1_14transform_implILb1ES3_S6_PS5_S8_NS0_8identityIS5_EEEE10hipError_tT2_T3_mT4_P12ihipStream_tbEUlT_E_NS1_11comp_targetILNS1_3genE2ELNS1_11target_archE906ELNS1_3gpuE6ELNS1_3repE0EEENS1_30default_config_static_selectorELNS0_4arch9wavefront6targetE1EEEvT1_: ; @_ZN7rocprim17ROCPRIM_400000_NS6detail17trampoline_kernelINS0_14default_configENS1_25transform_config_selectorINS0_10empty_typeELb1EEEZNS1_14transform_implILb1ES3_S6_PS5_S8_NS0_8identityIS5_EEEE10hipError_tT2_T3_mT4_P12ihipStream_tbEUlT_E_NS1_11comp_targetILNS1_3genE2ELNS1_11target_archE906ELNS1_3gpuE6ELNS1_3repE0EEENS1_30default_config_static_selectorELNS0_4arch9wavefront6targetE1EEEvT1_
; %bb.0:
	.section	.rodata,"a",@progbits
	.p2align	6, 0x0
	.amdhsa_kernel _ZN7rocprim17ROCPRIM_400000_NS6detail17trampoline_kernelINS0_14default_configENS1_25transform_config_selectorINS0_10empty_typeELb1EEEZNS1_14transform_implILb1ES3_S6_PS5_S8_NS0_8identityIS5_EEEE10hipError_tT2_T3_mT4_P12ihipStream_tbEUlT_E_NS1_11comp_targetILNS1_3genE2ELNS1_11target_archE906ELNS1_3gpuE6ELNS1_3repE0EEENS1_30default_config_static_selectorELNS0_4arch9wavefront6targetE1EEEvT1_
		.amdhsa_group_segment_fixed_size 0
		.amdhsa_private_segment_fixed_size 0
		.amdhsa_kernarg_size 40
		.amdhsa_user_sgpr_count 2
		.amdhsa_user_sgpr_dispatch_ptr 0
		.amdhsa_user_sgpr_queue_ptr 0
		.amdhsa_user_sgpr_kernarg_segment_ptr 1
		.amdhsa_user_sgpr_dispatch_id 0
		.amdhsa_user_sgpr_kernarg_preload_length 0
		.amdhsa_user_sgpr_kernarg_preload_offset 0
		.amdhsa_user_sgpr_private_segment_size 0
		.amdhsa_uses_dynamic_stack 0
		.amdhsa_enable_private_segment 0
		.amdhsa_system_sgpr_workgroup_id_x 1
		.amdhsa_system_sgpr_workgroup_id_y 0
		.amdhsa_system_sgpr_workgroup_id_z 0
		.amdhsa_system_sgpr_workgroup_info 0
		.amdhsa_system_vgpr_workitem_id 0
		.amdhsa_next_free_vgpr 1
		.amdhsa_next_free_sgpr 0
		.amdhsa_accum_offset 4
		.amdhsa_reserve_vcc 0
		.amdhsa_float_round_mode_32 0
		.amdhsa_float_round_mode_16_64 0
		.amdhsa_float_denorm_mode_32 3
		.amdhsa_float_denorm_mode_16_64 3
		.amdhsa_dx10_clamp 1
		.amdhsa_ieee_mode 1
		.amdhsa_fp16_overflow 0
		.amdhsa_tg_split 0
		.amdhsa_exception_fp_ieee_invalid_op 0
		.amdhsa_exception_fp_denorm_src 0
		.amdhsa_exception_fp_ieee_div_zero 0
		.amdhsa_exception_fp_ieee_overflow 0
		.amdhsa_exception_fp_ieee_underflow 0
		.amdhsa_exception_fp_ieee_inexact 0
		.amdhsa_exception_int_div_zero 0
	.end_amdhsa_kernel
	.section	.text._ZN7rocprim17ROCPRIM_400000_NS6detail17trampoline_kernelINS0_14default_configENS1_25transform_config_selectorINS0_10empty_typeELb1EEEZNS1_14transform_implILb1ES3_S6_PS5_S8_NS0_8identityIS5_EEEE10hipError_tT2_T3_mT4_P12ihipStream_tbEUlT_E_NS1_11comp_targetILNS1_3genE2ELNS1_11target_archE906ELNS1_3gpuE6ELNS1_3repE0EEENS1_30default_config_static_selectorELNS0_4arch9wavefront6targetE1EEEvT1_,"axG",@progbits,_ZN7rocprim17ROCPRIM_400000_NS6detail17trampoline_kernelINS0_14default_configENS1_25transform_config_selectorINS0_10empty_typeELb1EEEZNS1_14transform_implILb1ES3_S6_PS5_S8_NS0_8identityIS5_EEEE10hipError_tT2_T3_mT4_P12ihipStream_tbEUlT_E_NS1_11comp_targetILNS1_3genE2ELNS1_11target_archE906ELNS1_3gpuE6ELNS1_3repE0EEENS1_30default_config_static_selectorELNS0_4arch9wavefront6targetE1EEEvT1_,comdat
.Lfunc_end56:
	.size	_ZN7rocprim17ROCPRIM_400000_NS6detail17trampoline_kernelINS0_14default_configENS1_25transform_config_selectorINS0_10empty_typeELb1EEEZNS1_14transform_implILb1ES3_S6_PS5_S8_NS0_8identityIS5_EEEE10hipError_tT2_T3_mT4_P12ihipStream_tbEUlT_E_NS1_11comp_targetILNS1_3genE2ELNS1_11target_archE906ELNS1_3gpuE6ELNS1_3repE0EEENS1_30default_config_static_selectorELNS0_4arch9wavefront6targetE1EEEvT1_, .Lfunc_end56-_ZN7rocprim17ROCPRIM_400000_NS6detail17trampoline_kernelINS0_14default_configENS1_25transform_config_selectorINS0_10empty_typeELb1EEEZNS1_14transform_implILb1ES3_S6_PS5_S8_NS0_8identityIS5_EEEE10hipError_tT2_T3_mT4_P12ihipStream_tbEUlT_E_NS1_11comp_targetILNS1_3genE2ELNS1_11target_archE906ELNS1_3gpuE6ELNS1_3repE0EEENS1_30default_config_static_selectorELNS0_4arch9wavefront6targetE1EEEvT1_
                                        ; -- End function
	.section	.AMDGPU.csdata,"",@progbits
; Kernel info:
; codeLenInByte = 0
; NumSgprs: 6
; NumVgprs: 0
; NumAgprs: 0
; TotalNumVgprs: 0
; ScratchSize: 0
; MemoryBound: 0
; FloatMode: 240
; IeeeMode: 1
; LDSByteSize: 0 bytes/workgroup (compile time only)
; SGPRBlocks: 0
; VGPRBlocks: 0
; NumSGPRsForWavesPerEU: 6
; NumVGPRsForWavesPerEU: 1
; AccumOffset: 4
; Occupancy: 8
; WaveLimiterHint : 0
; COMPUTE_PGM_RSRC2:SCRATCH_EN: 0
; COMPUTE_PGM_RSRC2:USER_SGPR: 2
; COMPUTE_PGM_RSRC2:TRAP_HANDLER: 0
; COMPUTE_PGM_RSRC2:TGID_X_EN: 1
; COMPUTE_PGM_RSRC2:TGID_Y_EN: 0
; COMPUTE_PGM_RSRC2:TGID_Z_EN: 0
; COMPUTE_PGM_RSRC2:TIDIG_COMP_CNT: 0
; COMPUTE_PGM_RSRC3_GFX90A:ACCUM_OFFSET: 0
; COMPUTE_PGM_RSRC3_GFX90A:TG_SPLIT: 0
	.section	.text._ZN7rocprim17ROCPRIM_400000_NS6detail17trampoline_kernelINS0_14default_configENS1_25transform_config_selectorINS0_10empty_typeELb1EEEZNS1_14transform_implILb1ES3_S6_PS5_S8_NS0_8identityIS5_EEEE10hipError_tT2_T3_mT4_P12ihipStream_tbEUlT_E_NS1_11comp_targetILNS1_3genE9ELNS1_11target_archE1100ELNS1_3gpuE3ELNS1_3repE0EEENS1_30default_config_static_selectorELNS0_4arch9wavefront6targetE1EEEvT1_,"axG",@progbits,_ZN7rocprim17ROCPRIM_400000_NS6detail17trampoline_kernelINS0_14default_configENS1_25transform_config_selectorINS0_10empty_typeELb1EEEZNS1_14transform_implILb1ES3_S6_PS5_S8_NS0_8identityIS5_EEEE10hipError_tT2_T3_mT4_P12ihipStream_tbEUlT_E_NS1_11comp_targetILNS1_3genE9ELNS1_11target_archE1100ELNS1_3gpuE3ELNS1_3repE0EEENS1_30default_config_static_selectorELNS0_4arch9wavefront6targetE1EEEvT1_,comdat
	.protected	_ZN7rocprim17ROCPRIM_400000_NS6detail17trampoline_kernelINS0_14default_configENS1_25transform_config_selectorINS0_10empty_typeELb1EEEZNS1_14transform_implILb1ES3_S6_PS5_S8_NS0_8identityIS5_EEEE10hipError_tT2_T3_mT4_P12ihipStream_tbEUlT_E_NS1_11comp_targetILNS1_3genE9ELNS1_11target_archE1100ELNS1_3gpuE3ELNS1_3repE0EEENS1_30default_config_static_selectorELNS0_4arch9wavefront6targetE1EEEvT1_ ; -- Begin function _ZN7rocprim17ROCPRIM_400000_NS6detail17trampoline_kernelINS0_14default_configENS1_25transform_config_selectorINS0_10empty_typeELb1EEEZNS1_14transform_implILb1ES3_S6_PS5_S8_NS0_8identityIS5_EEEE10hipError_tT2_T3_mT4_P12ihipStream_tbEUlT_E_NS1_11comp_targetILNS1_3genE9ELNS1_11target_archE1100ELNS1_3gpuE3ELNS1_3repE0EEENS1_30default_config_static_selectorELNS0_4arch9wavefront6targetE1EEEvT1_
	.globl	_ZN7rocprim17ROCPRIM_400000_NS6detail17trampoline_kernelINS0_14default_configENS1_25transform_config_selectorINS0_10empty_typeELb1EEEZNS1_14transform_implILb1ES3_S6_PS5_S8_NS0_8identityIS5_EEEE10hipError_tT2_T3_mT4_P12ihipStream_tbEUlT_E_NS1_11comp_targetILNS1_3genE9ELNS1_11target_archE1100ELNS1_3gpuE3ELNS1_3repE0EEENS1_30default_config_static_selectorELNS0_4arch9wavefront6targetE1EEEvT1_
	.p2align	8
	.type	_ZN7rocprim17ROCPRIM_400000_NS6detail17trampoline_kernelINS0_14default_configENS1_25transform_config_selectorINS0_10empty_typeELb1EEEZNS1_14transform_implILb1ES3_S6_PS5_S8_NS0_8identityIS5_EEEE10hipError_tT2_T3_mT4_P12ihipStream_tbEUlT_E_NS1_11comp_targetILNS1_3genE9ELNS1_11target_archE1100ELNS1_3gpuE3ELNS1_3repE0EEENS1_30default_config_static_selectorELNS0_4arch9wavefront6targetE1EEEvT1_,@function
_ZN7rocprim17ROCPRIM_400000_NS6detail17trampoline_kernelINS0_14default_configENS1_25transform_config_selectorINS0_10empty_typeELb1EEEZNS1_14transform_implILb1ES3_S6_PS5_S8_NS0_8identityIS5_EEEE10hipError_tT2_T3_mT4_P12ihipStream_tbEUlT_E_NS1_11comp_targetILNS1_3genE9ELNS1_11target_archE1100ELNS1_3gpuE3ELNS1_3repE0EEENS1_30default_config_static_selectorELNS0_4arch9wavefront6targetE1EEEvT1_: ; @_ZN7rocprim17ROCPRIM_400000_NS6detail17trampoline_kernelINS0_14default_configENS1_25transform_config_selectorINS0_10empty_typeELb1EEEZNS1_14transform_implILb1ES3_S6_PS5_S8_NS0_8identityIS5_EEEE10hipError_tT2_T3_mT4_P12ihipStream_tbEUlT_E_NS1_11comp_targetILNS1_3genE9ELNS1_11target_archE1100ELNS1_3gpuE3ELNS1_3repE0EEENS1_30default_config_static_selectorELNS0_4arch9wavefront6targetE1EEEvT1_
; %bb.0:
	.section	.rodata,"a",@progbits
	.p2align	6, 0x0
	.amdhsa_kernel _ZN7rocprim17ROCPRIM_400000_NS6detail17trampoline_kernelINS0_14default_configENS1_25transform_config_selectorINS0_10empty_typeELb1EEEZNS1_14transform_implILb1ES3_S6_PS5_S8_NS0_8identityIS5_EEEE10hipError_tT2_T3_mT4_P12ihipStream_tbEUlT_E_NS1_11comp_targetILNS1_3genE9ELNS1_11target_archE1100ELNS1_3gpuE3ELNS1_3repE0EEENS1_30default_config_static_selectorELNS0_4arch9wavefront6targetE1EEEvT1_
		.amdhsa_group_segment_fixed_size 0
		.amdhsa_private_segment_fixed_size 0
		.amdhsa_kernarg_size 40
		.amdhsa_user_sgpr_count 2
		.amdhsa_user_sgpr_dispatch_ptr 0
		.amdhsa_user_sgpr_queue_ptr 0
		.amdhsa_user_sgpr_kernarg_segment_ptr 1
		.amdhsa_user_sgpr_dispatch_id 0
		.amdhsa_user_sgpr_kernarg_preload_length 0
		.amdhsa_user_sgpr_kernarg_preload_offset 0
		.amdhsa_user_sgpr_private_segment_size 0
		.amdhsa_uses_dynamic_stack 0
		.amdhsa_enable_private_segment 0
		.amdhsa_system_sgpr_workgroup_id_x 1
		.amdhsa_system_sgpr_workgroup_id_y 0
		.amdhsa_system_sgpr_workgroup_id_z 0
		.amdhsa_system_sgpr_workgroup_info 0
		.amdhsa_system_vgpr_workitem_id 0
		.amdhsa_next_free_vgpr 1
		.amdhsa_next_free_sgpr 0
		.amdhsa_accum_offset 4
		.amdhsa_reserve_vcc 0
		.amdhsa_float_round_mode_32 0
		.amdhsa_float_round_mode_16_64 0
		.amdhsa_float_denorm_mode_32 3
		.amdhsa_float_denorm_mode_16_64 3
		.amdhsa_dx10_clamp 1
		.amdhsa_ieee_mode 1
		.amdhsa_fp16_overflow 0
		.amdhsa_tg_split 0
		.amdhsa_exception_fp_ieee_invalid_op 0
		.amdhsa_exception_fp_denorm_src 0
		.amdhsa_exception_fp_ieee_div_zero 0
		.amdhsa_exception_fp_ieee_overflow 0
		.amdhsa_exception_fp_ieee_underflow 0
		.amdhsa_exception_fp_ieee_inexact 0
		.amdhsa_exception_int_div_zero 0
	.end_amdhsa_kernel
	.section	.text._ZN7rocprim17ROCPRIM_400000_NS6detail17trampoline_kernelINS0_14default_configENS1_25transform_config_selectorINS0_10empty_typeELb1EEEZNS1_14transform_implILb1ES3_S6_PS5_S8_NS0_8identityIS5_EEEE10hipError_tT2_T3_mT4_P12ihipStream_tbEUlT_E_NS1_11comp_targetILNS1_3genE9ELNS1_11target_archE1100ELNS1_3gpuE3ELNS1_3repE0EEENS1_30default_config_static_selectorELNS0_4arch9wavefront6targetE1EEEvT1_,"axG",@progbits,_ZN7rocprim17ROCPRIM_400000_NS6detail17trampoline_kernelINS0_14default_configENS1_25transform_config_selectorINS0_10empty_typeELb1EEEZNS1_14transform_implILb1ES3_S6_PS5_S8_NS0_8identityIS5_EEEE10hipError_tT2_T3_mT4_P12ihipStream_tbEUlT_E_NS1_11comp_targetILNS1_3genE9ELNS1_11target_archE1100ELNS1_3gpuE3ELNS1_3repE0EEENS1_30default_config_static_selectorELNS0_4arch9wavefront6targetE1EEEvT1_,comdat
.Lfunc_end57:
	.size	_ZN7rocprim17ROCPRIM_400000_NS6detail17trampoline_kernelINS0_14default_configENS1_25transform_config_selectorINS0_10empty_typeELb1EEEZNS1_14transform_implILb1ES3_S6_PS5_S8_NS0_8identityIS5_EEEE10hipError_tT2_T3_mT4_P12ihipStream_tbEUlT_E_NS1_11comp_targetILNS1_3genE9ELNS1_11target_archE1100ELNS1_3gpuE3ELNS1_3repE0EEENS1_30default_config_static_selectorELNS0_4arch9wavefront6targetE1EEEvT1_, .Lfunc_end57-_ZN7rocprim17ROCPRIM_400000_NS6detail17trampoline_kernelINS0_14default_configENS1_25transform_config_selectorINS0_10empty_typeELb1EEEZNS1_14transform_implILb1ES3_S6_PS5_S8_NS0_8identityIS5_EEEE10hipError_tT2_T3_mT4_P12ihipStream_tbEUlT_E_NS1_11comp_targetILNS1_3genE9ELNS1_11target_archE1100ELNS1_3gpuE3ELNS1_3repE0EEENS1_30default_config_static_selectorELNS0_4arch9wavefront6targetE1EEEvT1_
                                        ; -- End function
	.section	.AMDGPU.csdata,"",@progbits
; Kernel info:
; codeLenInByte = 0
; NumSgprs: 6
; NumVgprs: 0
; NumAgprs: 0
; TotalNumVgprs: 0
; ScratchSize: 0
; MemoryBound: 0
; FloatMode: 240
; IeeeMode: 1
; LDSByteSize: 0 bytes/workgroup (compile time only)
; SGPRBlocks: 0
; VGPRBlocks: 0
; NumSGPRsForWavesPerEU: 6
; NumVGPRsForWavesPerEU: 1
; AccumOffset: 4
; Occupancy: 8
; WaveLimiterHint : 0
; COMPUTE_PGM_RSRC2:SCRATCH_EN: 0
; COMPUTE_PGM_RSRC2:USER_SGPR: 2
; COMPUTE_PGM_RSRC2:TRAP_HANDLER: 0
; COMPUTE_PGM_RSRC2:TGID_X_EN: 1
; COMPUTE_PGM_RSRC2:TGID_Y_EN: 0
; COMPUTE_PGM_RSRC2:TGID_Z_EN: 0
; COMPUTE_PGM_RSRC2:TIDIG_COMP_CNT: 0
; COMPUTE_PGM_RSRC3_GFX90A:ACCUM_OFFSET: 0
; COMPUTE_PGM_RSRC3_GFX90A:TG_SPLIT: 0
	.section	.text._ZN7rocprim17ROCPRIM_400000_NS6detail17trampoline_kernelINS0_14default_configENS1_25transform_config_selectorINS0_10empty_typeELb1EEEZNS1_14transform_implILb1ES3_S6_PS5_S8_NS0_8identityIS5_EEEE10hipError_tT2_T3_mT4_P12ihipStream_tbEUlT_E_NS1_11comp_targetILNS1_3genE8ELNS1_11target_archE1030ELNS1_3gpuE2ELNS1_3repE0EEENS1_30default_config_static_selectorELNS0_4arch9wavefront6targetE1EEEvT1_,"axG",@progbits,_ZN7rocprim17ROCPRIM_400000_NS6detail17trampoline_kernelINS0_14default_configENS1_25transform_config_selectorINS0_10empty_typeELb1EEEZNS1_14transform_implILb1ES3_S6_PS5_S8_NS0_8identityIS5_EEEE10hipError_tT2_T3_mT4_P12ihipStream_tbEUlT_E_NS1_11comp_targetILNS1_3genE8ELNS1_11target_archE1030ELNS1_3gpuE2ELNS1_3repE0EEENS1_30default_config_static_selectorELNS0_4arch9wavefront6targetE1EEEvT1_,comdat
	.protected	_ZN7rocprim17ROCPRIM_400000_NS6detail17trampoline_kernelINS0_14default_configENS1_25transform_config_selectorINS0_10empty_typeELb1EEEZNS1_14transform_implILb1ES3_S6_PS5_S8_NS0_8identityIS5_EEEE10hipError_tT2_T3_mT4_P12ihipStream_tbEUlT_E_NS1_11comp_targetILNS1_3genE8ELNS1_11target_archE1030ELNS1_3gpuE2ELNS1_3repE0EEENS1_30default_config_static_selectorELNS0_4arch9wavefront6targetE1EEEvT1_ ; -- Begin function _ZN7rocprim17ROCPRIM_400000_NS6detail17trampoline_kernelINS0_14default_configENS1_25transform_config_selectorINS0_10empty_typeELb1EEEZNS1_14transform_implILb1ES3_S6_PS5_S8_NS0_8identityIS5_EEEE10hipError_tT2_T3_mT4_P12ihipStream_tbEUlT_E_NS1_11comp_targetILNS1_3genE8ELNS1_11target_archE1030ELNS1_3gpuE2ELNS1_3repE0EEENS1_30default_config_static_selectorELNS0_4arch9wavefront6targetE1EEEvT1_
	.globl	_ZN7rocprim17ROCPRIM_400000_NS6detail17trampoline_kernelINS0_14default_configENS1_25transform_config_selectorINS0_10empty_typeELb1EEEZNS1_14transform_implILb1ES3_S6_PS5_S8_NS0_8identityIS5_EEEE10hipError_tT2_T3_mT4_P12ihipStream_tbEUlT_E_NS1_11comp_targetILNS1_3genE8ELNS1_11target_archE1030ELNS1_3gpuE2ELNS1_3repE0EEENS1_30default_config_static_selectorELNS0_4arch9wavefront6targetE1EEEvT1_
	.p2align	8
	.type	_ZN7rocprim17ROCPRIM_400000_NS6detail17trampoline_kernelINS0_14default_configENS1_25transform_config_selectorINS0_10empty_typeELb1EEEZNS1_14transform_implILb1ES3_S6_PS5_S8_NS0_8identityIS5_EEEE10hipError_tT2_T3_mT4_P12ihipStream_tbEUlT_E_NS1_11comp_targetILNS1_3genE8ELNS1_11target_archE1030ELNS1_3gpuE2ELNS1_3repE0EEENS1_30default_config_static_selectorELNS0_4arch9wavefront6targetE1EEEvT1_,@function
_ZN7rocprim17ROCPRIM_400000_NS6detail17trampoline_kernelINS0_14default_configENS1_25transform_config_selectorINS0_10empty_typeELb1EEEZNS1_14transform_implILb1ES3_S6_PS5_S8_NS0_8identityIS5_EEEE10hipError_tT2_T3_mT4_P12ihipStream_tbEUlT_E_NS1_11comp_targetILNS1_3genE8ELNS1_11target_archE1030ELNS1_3gpuE2ELNS1_3repE0EEENS1_30default_config_static_selectorELNS0_4arch9wavefront6targetE1EEEvT1_: ; @_ZN7rocprim17ROCPRIM_400000_NS6detail17trampoline_kernelINS0_14default_configENS1_25transform_config_selectorINS0_10empty_typeELb1EEEZNS1_14transform_implILb1ES3_S6_PS5_S8_NS0_8identityIS5_EEEE10hipError_tT2_T3_mT4_P12ihipStream_tbEUlT_E_NS1_11comp_targetILNS1_3genE8ELNS1_11target_archE1030ELNS1_3gpuE2ELNS1_3repE0EEENS1_30default_config_static_selectorELNS0_4arch9wavefront6targetE1EEEvT1_
; %bb.0:
	.section	.rodata,"a",@progbits
	.p2align	6, 0x0
	.amdhsa_kernel _ZN7rocprim17ROCPRIM_400000_NS6detail17trampoline_kernelINS0_14default_configENS1_25transform_config_selectorINS0_10empty_typeELb1EEEZNS1_14transform_implILb1ES3_S6_PS5_S8_NS0_8identityIS5_EEEE10hipError_tT2_T3_mT4_P12ihipStream_tbEUlT_E_NS1_11comp_targetILNS1_3genE8ELNS1_11target_archE1030ELNS1_3gpuE2ELNS1_3repE0EEENS1_30default_config_static_selectorELNS0_4arch9wavefront6targetE1EEEvT1_
		.amdhsa_group_segment_fixed_size 0
		.amdhsa_private_segment_fixed_size 0
		.amdhsa_kernarg_size 40
		.amdhsa_user_sgpr_count 2
		.amdhsa_user_sgpr_dispatch_ptr 0
		.amdhsa_user_sgpr_queue_ptr 0
		.amdhsa_user_sgpr_kernarg_segment_ptr 1
		.amdhsa_user_sgpr_dispatch_id 0
		.amdhsa_user_sgpr_kernarg_preload_length 0
		.amdhsa_user_sgpr_kernarg_preload_offset 0
		.amdhsa_user_sgpr_private_segment_size 0
		.amdhsa_uses_dynamic_stack 0
		.amdhsa_enable_private_segment 0
		.amdhsa_system_sgpr_workgroup_id_x 1
		.amdhsa_system_sgpr_workgroup_id_y 0
		.amdhsa_system_sgpr_workgroup_id_z 0
		.amdhsa_system_sgpr_workgroup_info 0
		.amdhsa_system_vgpr_workitem_id 0
		.amdhsa_next_free_vgpr 1
		.amdhsa_next_free_sgpr 0
		.amdhsa_accum_offset 4
		.amdhsa_reserve_vcc 0
		.amdhsa_float_round_mode_32 0
		.amdhsa_float_round_mode_16_64 0
		.amdhsa_float_denorm_mode_32 3
		.amdhsa_float_denorm_mode_16_64 3
		.amdhsa_dx10_clamp 1
		.amdhsa_ieee_mode 1
		.amdhsa_fp16_overflow 0
		.amdhsa_tg_split 0
		.amdhsa_exception_fp_ieee_invalid_op 0
		.amdhsa_exception_fp_denorm_src 0
		.amdhsa_exception_fp_ieee_div_zero 0
		.amdhsa_exception_fp_ieee_overflow 0
		.amdhsa_exception_fp_ieee_underflow 0
		.amdhsa_exception_fp_ieee_inexact 0
		.amdhsa_exception_int_div_zero 0
	.end_amdhsa_kernel
	.section	.text._ZN7rocprim17ROCPRIM_400000_NS6detail17trampoline_kernelINS0_14default_configENS1_25transform_config_selectorINS0_10empty_typeELb1EEEZNS1_14transform_implILb1ES3_S6_PS5_S8_NS0_8identityIS5_EEEE10hipError_tT2_T3_mT4_P12ihipStream_tbEUlT_E_NS1_11comp_targetILNS1_3genE8ELNS1_11target_archE1030ELNS1_3gpuE2ELNS1_3repE0EEENS1_30default_config_static_selectorELNS0_4arch9wavefront6targetE1EEEvT1_,"axG",@progbits,_ZN7rocprim17ROCPRIM_400000_NS6detail17trampoline_kernelINS0_14default_configENS1_25transform_config_selectorINS0_10empty_typeELb1EEEZNS1_14transform_implILb1ES3_S6_PS5_S8_NS0_8identityIS5_EEEE10hipError_tT2_T3_mT4_P12ihipStream_tbEUlT_E_NS1_11comp_targetILNS1_3genE8ELNS1_11target_archE1030ELNS1_3gpuE2ELNS1_3repE0EEENS1_30default_config_static_selectorELNS0_4arch9wavefront6targetE1EEEvT1_,comdat
.Lfunc_end58:
	.size	_ZN7rocprim17ROCPRIM_400000_NS6detail17trampoline_kernelINS0_14default_configENS1_25transform_config_selectorINS0_10empty_typeELb1EEEZNS1_14transform_implILb1ES3_S6_PS5_S8_NS0_8identityIS5_EEEE10hipError_tT2_T3_mT4_P12ihipStream_tbEUlT_E_NS1_11comp_targetILNS1_3genE8ELNS1_11target_archE1030ELNS1_3gpuE2ELNS1_3repE0EEENS1_30default_config_static_selectorELNS0_4arch9wavefront6targetE1EEEvT1_, .Lfunc_end58-_ZN7rocprim17ROCPRIM_400000_NS6detail17trampoline_kernelINS0_14default_configENS1_25transform_config_selectorINS0_10empty_typeELb1EEEZNS1_14transform_implILb1ES3_S6_PS5_S8_NS0_8identityIS5_EEEE10hipError_tT2_T3_mT4_P12ihipStream_tbEUlT_E_NS1_11comp_targetILNS1_3genE8ELNS1_11target_archE1030ELNS1_3gpuE2ELNS1_3repE0EEENS1_30default_config_static_selectorELNS0_4arch9wavefront6targetE1EEEvT1_
                                        ; -- End function
	.section	.AMDGPU.csdata,"",@progbits
; Kernel info:
; codeLenInByte = 0
; NumSgprs: 6
; NumVgprs: 0
; NumAgprs: 0
; TotalNumVgprs: 0
; ScratchSize: 0
; MemoryBound: 0
; FloatMode: 240
; IeeeMode: 1
; LDSByteSize: 0 bytes/workgroup (compile time only)
; SGPRBlocks: 0
; VGPRBlocks: 0
; NumSGPRsForWavesPerEU: 6
; NumVGPRsForWavesPerEU: 1
; AccumOffset: 4
; Occupancy: 8
; WaveLimiterHint : 0
; COMPUTE_PGM_RSRC2:SCRATCH_EN: 0
; COMPUTE_PGM_RSRC2:USER_SGPR: 2
; COMPUTE_PGM_RSRC2:TRAP_HANDLER: 0
; COMPUTE_PGM_RSRC2:TGID_X_EN: 1
; COMPUTE_PGM_RSRC2:TGID_Y_EN: 0
; COMPUTE_PGM_RSRC2:TGID_Z_EN: 0
; COMPUTE_PGM_RSRC2:TIDIG_COMP_CNT: 0
; COMPUTE_PGM_RSRC3_GFX90A:ACCUM_OFFSET: 0
; COMPUTE_PGM_RSRC3_GFX90A:TG_SPLIT: 0
	.section	.text._ZN7rocprim17ROCPRIM_400000_NS6detail17trampoline_kernelINS0_14default_configENS1_35adjacent_difference_config_selectorILb0ElEEZNS1_24adjacent_difference_implIS3_Lb0ELb0EPlS7_ZN2at6native12_GLOBAL__N_124unique_dim_cuda_templateIhEESt5tupleIJNS8_6TensorESD_SD_EERKSD_lbbbEUlllE1_EE10hipError_tPvRmT2_T3_mT4_P12ihipStream_tbEUlT_E_NS1_11comp_targetILNS1_3genE0ELNS1_11target_archE4294967295ELNS1_3gpuE0ELNS1_3repE0EEENS1_30default_config_static_selectorELNS0_4arch9wavefront6targetE1EEEvT1_,"axG",@progbits,_ZN7rocprim17ROCPRIM_400000_NS6detail17trampoline_kernelINS0_14default_configENS1_35adjacent_difference_config_selectorILb0ElEEZNS1_24adjacent_difference_implIS3_Lb0ELb0EPlS7_ZN2at6native12_GLOBAL__N_124unique_dim_cuda_templateIhEESt5tupleIJNS8_6TensorESD_SD_EERKSD_lbbbEUlllE1_EE10hipError_tPvRmT2_T3_mT4_P12ihipStream_tbEUlT_E_NS1_11comp_targetILNS1_3genE0ELNS1_11target_archE4294967295ELNS1_3gpuE0ELNS1_3repE0EEENS1_30default_config_static_selectorELNS0_4arch9wavefront6targetE1EEEvT1_,comdat
	.globl	_ZN7rocprim17ROCPRIM_400000_NS6detail17trampoline_kernelINS0_14default_configENS1_35adjacent_difference_config_selectorILb0ElEEZNS1_24adjacent_difference_implIS3_Lb0ELb0EPlS7_ZN2at6native12_GLOBAL__N_124unique_dim_cuda_templateIhEESt5tupleIJNS8_6TensorESD_SD_EERKSD_lbbbEUlllE1_EE10hipError_tPvRmT2_T3_mT4_P12ihipStream_tbEUlT_E_NS1_11comp_targetILNS1_3genE0ELNS1_11target_archE4294967295ELNS1_3gpuE0ELNS1_3repE0EEENS1_30default_config_static_selectorELNS0_4arch9wavefront6targetE1EEEvT1_ ; -- Begin function _ZN7rocprim17ROCPRIM_400000_NS6detail17trampoline_kernelINS0_14default_configENS1_35adjacent_difference_config_selectorILb0ElEEZNS1_24adjacent_difference_implIS3_Lb0ELb0EPlS7_ZN2at6native12_GLOBAL__N_124unique_dim_cuda_templateIhEESt5tupleIJNS8_6TensorESD_SD_EERKSD_lbbbEUlllE1_EE10hipError_tPvRmT2_T3_mT4_P12ihipStream_tbEUlT_E_NS1_11comp_targetILNS1_3genE0ELNS1_11target_archE4294967295ELNS1_3gpuE0ELNS1_3repE0EEENS1_30default_config_static_selectorELNS0_4arch9wavefront6targetE1EEEvT1_
	.p2align	8
	.type	_ZN7rocprim17ROCPRIM_400000_NS6detail17trampoline_kernelINS0_14default_configENS1_35adjacent_difference_config_selectorILb0ElEEZNS1_24adjacent_difference_implIS3_Lb0ELb0EPlS7_ZN2at6native12_GLOBAL__N_124unique_dim_cuda_templateIhEESt5tupleIJNS8_6TensorESD_SD_EERKSD_lbbbEUlllE1_EE10hipError_tPvRmT2_T3_mT4_P12ihipStream_tbEUlT_E_NS1_11comp_targetILNS1_3genE0ELNS1_11target_archE4294967295ELNS1_3gpuE0ELNS1_3repE0EEENS1_30default_config_static_selectorELNS0_4arch9wavefront6targetE1EEEvT1_,@function
_ZN7rocprim17ROCPRIM_400000_NS6detail17trampoline_kernelINS0_14default_configENS1_35adjacent_difference_config_selectorILb0ElEEZNS1_24adjacent_difference_implIS3_Lb0ELb0EPlS7_ZN2at6native12_GLOBAL__N_124unique_dim_cuda_templateIhEESt5tupleIJNS8_6TensorESD_SD_EERKSD_lbbbEUlllE1_EE10hipError_tPvRmT2_T3_mT4_P12ihipStream_tbEUlT_E_NS1_11comp_targetILNS1_3genE0ELNS1_11target_archE4294967295ELNS1_3gpuE0ELNS1_3repE0EEENS1_30default_config_static_selectorELNS0_4arch9wavefront6targetE1EEEvT1_: ; @_ZN7rocprim17ROCPRIM_400000_NS6detail17trampoline_kernelINS0_14default_configENS1_35adjacent_difference_config_selectorILb0ElEEZNS1_24adjacent_difference_implIS3_Lb0ELb0EPlS7_ZN2at6native12_GLOBAL__N_124unique_dim_cuda_templateIhEESt5tupleIJNS8_6TensorESD_SD_EERKSD_lbbbEUlllE1_EE10hipError_tPvRmT2_T3_mT4_P12ihipStream_tbEUlT_E_NS1_11comp_targetILNS1_3genE0ELNS1_11target_archE4294967295ELNS1_3gpuE0ELNS1_3repE0EEENS1_30default_config_static_selectorELNS0_4arch9wavefront6targetE1EEEvT1_
; %bb.0:
	.section	.rodata,"a",@progbits
	.p2align	6, 0x0
	.amdhsa_kernel _ZN7rocprim17ROCPRIM_400000_NS6detail17trampoline_kernelINS0_14default_configENS1_35adjacent_difference_config_selectorILb0ElEEZNS1_24adjacent_difference_implIS3_Lb0ELb0EPlS7_ZN2at6native12_GLOBAL__N_124unique_dim_cuda_templateIhEESt5tupleIJNS8_6TensorESD_SD_EERKSD_lbbbEUlllE1_EE10hipError_tPvRmT2_T3_mT4_P12ihipStream_tbEUlT_E_NS1_11comp_targetILNS1_3genE0ELNS1_11target_archE4294967295ELNS1_3gpuE0ELNS1_3repE0EEENS1_30default_config_static_selectorELNS0_4arch9wavefront6targetE1EEEvT1_
		.amdhsa_group_segment_fixed_size 0
		.amdhsa_private_segment_fixed_size 0
		.amdhsa_kernarg_size 64
		.amdhsa_user_sgpr_count 2
		.amdhsa_user_sgpr_dispatch_ptr 0
		.amdhsa_user_sgpr_queue_ptr 0
		.amdhsa_user_sgpr_kernarg_segment_ptr 1
		.amdhsa_user_sgpr_dispatch_id 0
		.amdhsa_user_sgpr_kernarg_preload_length 0
		.amdhsa_user_sgpr_kernarg_preload_offset 0
		.amdhsa_user_sgpr_private_segment_size 0
		.amdhsa_uses_dynamic_stack 0
		.amdhsa_enable_private_segment 0
		.amdhsa_system_sgpr_workgroup_id_x 1
		.amdhsa_system_sgpr_workgroup_id_y 0
		.amdhsa_system_sgpr_workgroup_id_z 0
		.amdhsa_system_sgpr_workgroup_info 0
		.amdhsa_system_vgpr_workitem_id 0
		.amdhsa_next_free_vgpr 1
		.amdhsa_next_free_sgpr 0
		.amdhsa_accum_offset 4
		.amdhsa_reserve_vcc 0
		.amdhsa_float_round_mode_32 0
		.amdhsa_float_round_mode_16_64 0
		.amdhsa_float_denorm_mode_32 3
		.amdhsa_float_denorm_mode_16_64 3
		.amdhsa_dx10_clamp 1
		.amdhsa_ieee_mode 1
		.amdhsa_fp16_overflow 0
		.amdhsa_tg_split 0
		.amdhsa_exception_fp_ieee_invalid_op 0
		.amdhsa_exception_fp_denorm_src 0
		.amdhsa_exception_fp_ieee_div_zero 0
		.amdhsa_exception_fp_ieee_overflow 0
		.amdhsa_exception_fp_ieee_underflow 0
		.amdhsa_exception_fp_ieee_inexact 0
		.amdhsa_exception_int_div_zero 0
	.end_amdhsa_kernel
	.section	.text._ZN7rocprim17ROCPRIM_400000_NS6detail17trampoline_kernelINS0_14default_configENS1_35adjacent_difference_config_selectorILb0ElEEZNS1_24adjacent_difference_implIS3_Lb0ELb0EPlS7_ZN2at6native12_GLOBAL__N_124unique_dim_cuda_templateIhEESt5tupleIJNS8_6TensorESD_SD_EERKSD_lbbbEUlllE1_EE10hipError_tPvRmT2_T3_mT4_P12ihipStream_tbEUlT_E_NS1_11comp_targetILNS1_3genE0ELNS1_11target_archE4294967295ELNS1_3gpuE0ELNS1_3repE0EEENS1_30default_config_static_selectorELNS0_4arch9wavefront6targetE1EEEvT1_,"axG",@progbits,_ZN7rocprim17ROCPRIM_400000_NS6detail17trampoline_kernelINS0_14default_configENS1_35adjacent_difference_config_selectorILb0ElEEZNS1_24adjacent_difference_implIS3_Lb0ELb0EPlS7_ZN2at6native12_GLOBAL__N_124unique_dim_cuda_templateIhEESt5tupleIJNS8_6TensorESD_SD_EERKSD_lbbbEUlllE1_EE10hipError_tPvRmT2_T3_mT4_P12ihipStream_tbEUlT_E_NS1_11comp_targetILNS1_3genE0ELNS1_11target_archE4294967295ELNS1_3gpuE0ELNS1_3repE0EEENS1_30default_config_static_selectorELNS0_4arch9wavefront6targetE1EEEvT1_,comdat
.Lfunc_end59:
	.size	_ZN7rocprim17ROCPRIM_400000_NS6detail17trampoline_kernelINS0_14default_configENS1_35adjacent_difference_config_selectorILb0ElEEZNS1_24adjacent_difference_implIS3_Lb0ELb0EPlS7_ZN2at6native12_GLOBAL__N_124unique_dim_cuda_templateIhEESt5tupleIJNS8_6TensorESD_SD_EERKSD_lbbbEUlllE1_EE10hipError_tPvRmT2_T3_mT4_P12ihipStream_tbEUlT_E_NS1_11comp_targetILNS1_3genE0ELNS1_11target_archE4294967295ELNS1_3gpuE0ELNS1_3repE0EEENS1_30default_config_static_selectorELNS0_4arch9wavefront6targetE1EEEvT1_, .Lfunc_end59-_ZN7rocprim17ROCPRIM_400000_NS6detail17trampoline_kernelINS0_14default_configENS1_35adjacent_difference_config_selectorILb0ElEEZNS1_24adjacent_difference_implIS3_Lb0ELb0EPlS7_ZN2at6native12_GLOBAL__N_124unique_dim_cuda_templateIhEESt5tupleIJNS8_6TensorESD_SD_EERKSD_lbbbEUlllE1_EE10hipError_tPvRmT2_T3_mT4_P12ihipStream_tbEUlT_E_NS1_11comp_targetILNS1_3genE0ELNS1_11target_archE4294967295ELNS1_3gpuE0ELNS1_3repE0EEENS1_30default_config_static_selectorELNS0_4arch9wavefront6targetE1EEEvT1_
                                        ; -- End function
	.section	.AMDGPU.csdata,"",@progbits
; Kernel info:
; codeLenInByte = 0
; NumSgprs: 6
; NumVgprs: 0
; NumAgprs: 0
; TotalNumVgprs: 0
; ScratchSize: 0
; MemoryBound: 0
; FloatMode: 240
; IeeeMode: 1
; LDSByteSize: 0 bytes/workgroup (compile time only)
; SGPRBlocks: 0
; VGPRBlocks: 0
; NumSGPRsForWavesPerEU: 6
; NumVGPRsForWavesPerEU: 1
; AccumOffset: 4
; Occupancy: 8
; WaveLimiterHint : 0
; COMPUTE_PGM_RSRC2:SCRATCH_EN: 0
; COMPUTE_PGM_RSRC2:USER_SGPR: 2
; COMPUTE_PGM_RSRC2:TRAP_HANDLER: 0
; COMPUTE_PGM_RSRC2:TGID_X_EN: 1
; COMPUTE_PGM_RSRC2:TGID_Y_EN: 0
; COMPUTE_PGM_RSRC2:TGID_Z_EN: 0
; COMPUTE_PGM_RSRC2:TIDIG_COMP_CNT: 0
; COMPUTE_PGM_RSRC3_GFX90A:ACCUM_OFFSET: 0
; COMPUTE_PGM_RSRC3_GFX90A:TG_SPLIT: 0
	.section	.text._ZN7rocprim17ROCPRIM_400000_NS6detail17trampoline_kernelINS0_14default_configENS1_35adjacent_difference_config_selectorILb0ElEEZNS1_24adjacent_difference_implIS3_Lb0ELb0EPlS7_ZN2at6native12_GLOBAL__N_124unique_dim_cuda_templateIhEESt5tupleIJNS8_6TensorESD_SD_EERKSD_lbbbEUlllE1_EE10hipError_tPvRmT2_T3_mT4_P12ihipStream_tbEUlT_E_NS1_11comp_targetILNS1_3genE10ELNS1_11target_archE1201ELNS1_3gpuE5ELNS1_3repE0EEENS1_30default_config_static_selectorELNS0_4arch9wavefront6targetE1EEEvT1_,"axG",@progbits,_ZN7rocprim17ROCPRIM_400000_NS6detail17trampoline_kernelINS0_14default_configENS1_35adjacent_difference_config_selectorILb0ElEEZNS1_24adjacent_difference_implIS3_Lb0ELb0EPlS7_ZN2at6native12_GLOBAL__N_124unique_dim_cuda_templateIhEESt5tupleIJNS8_6TensorESD_SD_EERKSD_lbbbEUlllE1_EE10hipError_tPvRmT2_T3_mT4_P12ihipStream_tbEUlT_E_NS1_11comp_targetILNS1_3genE10ELNS1_11target_archE1201ELNS1_3gpuE5ELNS1_3repE0EEENS1_30default_config_static_selectorELNS0_4arch9wavefront6targetE1EEEvT1_,comdat
	.globl	_ZN7rocprim17ROCPRIM_400000_NS6detail17trampoline_kernelINS0_14default_configENS1_35adjacent_difference_config_selectorILb0ElEEZNS1_24adjacent_difference_implIS3_Lb0ELb0EPlS7_ZN2at6native12_GLOBAL__N_124unique_dim_cuda_templateIhEESt5tupleIJNS8_6TensorESD_SD_EERKSD_lbbbEUlllE1_EE10hipError_tPvRmT2_T3_mT4_P12ihipStream_tbEUlT_E_NS1_11comp_targetILNS1_3genE10ELNS1_11target_archE1201ELNS1_3gpuE5ELNS1_3repE0EEENS1_30default_config_static_selectorELNS0_4arch9wavefront6targetE1EEEvT1_ ; -- Begin function _ZN7rocprim17ROCPRIM_400000_NS6detail17trampoline_kernelINS0_14default_configENS1_35adjacent_difference_config_selectorILb0ElEEZNS1_24adjacent_difference_implIS3_Lb0ELb0EPlS7_ZN2at6native12_GLOBAL__N_124unique_dim_cuda_templateIhEESt5tupleIJNS8_6TensorESD_SD_EERKSD_lbbbEUlllE1_EE10hipError_tPvRmT2_T3_mT4_P12ihipStream_tbEUlT_E_NS1_11comp_targetILNS1_3genE10ELNS1_11target_archE1201ELNS1_3gpuE5ELNS1_3repE0EEENS1_30default_config_static_selectorELNS0_4arch9wavefront6targetE1EEEvT1_
	.p2align	8
	.type	_ZN7rocprim17ROCPRIM_400000_NS6detail17trampoline_kernelINS0_14default_configENS1_35adjacent_difference_config_selectorILb0ElEEZNS1_24adjacent_difference_implIS3_Lb0ELb0EPlS7_ZN2at6native12_GLOBAL__N_124unique_dim_cuda_templateIhEESt5tupleIJNS8_6TensorESD_SD_EERKSD_lbbbEUlllE1_EE10hipError_tPvRmT2_T3_mT4_P12ihipStream_tbEUlT_E_NS1_11comp_targetILNS1_3genE10ELNS1_11target_archE1201ELNS1_3gpuE5ELNS1_3repE0EEENS1_30default_config_static_selectorELNS0_4arch9wavefront6targetE1EEEvT1_,@function
_ZN7rocprim17ROCPRIM_400000_NS6detail17trampoline_kernelINS0_14default_configENS1_35adjacent_difference_config_selectorILb0ElEEZNS1_24adjacent_difference_implIS3_Lb0ELb0EPlS7_ZN2at6native12_GLOBAL__N_124unique_dim_cuda_templateIhEESt5tupleIJNS8_6TensorESD_SD_EERKSD_lbbbEUlllE1_EE10hipError_tPvRmT2_T3_mT4_P12ihipStream_tbEUlT_E_NS1_11comp_targetILNS1_3genE10ELNS1_11target_archE1201ELNS1_3gpuE5ELNS1_3repE0EEENS1_30default_config_static_selectorELNS0_4arch9wavefront6targetE1EEEvT1_: ; @_ZN7rocprim17ROCPRIM_400000_NS6detail17trampoline_kernelINS0_14default_configENS1_35adjacent_difference_config_selectorILb0ElEEZNS1_24adjacent_difference_implIS3_Lb0ELb0EPlS7_ZN2at6native12_GLOBAL__N_124unique_dim_cuda_templateIhEESt5tupleIJNS8_6TensorESD_SD_EERKSD_lbbbEUlllE1_EE10hipError_tPvRmT2_T3_mT4_P12ihipStream_tbEUlT_E_NS1_11comp_targetILNS1_3genE10ELNS1_11target_archE1201ELNS1_3gpuE5ELNS1_3repE0EEENS1_30default_config_static_selectorELNS0_4arch9wavefront6targetE1EEEvT1_
; %bb.0:
	.section	.rodata,"a",@progbits
	.p2align	6, 0x0
	.amdhsa_kernel _ZN7rocprim17ROCPRIM_400000_NS6detail17trampoline_kernelINS0_14default_configENS1_35adjacent_difference_config_selectorILb0ElEEZNS1_24adjacent_difference_implIS3_Lb0ELb0EPlS7_ZN2at6native12_GLOBAL__N_124unique_dim_cuda_templateIhEESt5tupleIJNS8_6TensorESD_SD_EERKSD_lbbbEUlllE1_EE10hipError_tPvRmT2_T3_mT4_P12ihipStream_tbEUlT_E_NS1_11comp_targetILNS1_3genE10ELNS1_11target_archE1201ELNS1_3gpuE5ELNS1_3repE0EEENS1_30default_config_static_selectorELNS0_4arch9wavefront6targetE1EEEvT1_
		.amdhsa_group_segment_fixed_size 0
		.amdhsa_private_segment_fixed_size 0
		.amdhsa_kernarg_size 64
		.amdhsa_user_sgpr_count 2
		.amdhsa_user_sgpr_dispatch_ptr 0
		.amdhsa_user_sgpr_queue_ptr 0
		.amdhsa_user_sgpr_kernarg_segment_ptr 1
		.amdhsa_user_sgpr_dispatch_id 0
		.amdhsa_user_sgpr_kernarg_preload_length 0
		.amdhsa_user_sgpr_kernarg_preload_offset 0
		.amdhsa_user_sgpr_private_segment_size 0
		.amdhsa_uses_dynamic_stack 0
		.amdhsa_enable_private_segment 0
		.amdhsa_system_sgpr_workgroup_id_x 1
		.amdhsa_system_sgpr_workgroup_id_y 0
		.amdhsa_system_sgpr_workgroup_id_z 0
		.amdhsa_system_sgpr_workgroup_info 0
		.amdhsa_system_vgpr_workitem_id 0
		.amdhsa_next_free_vgpr 1
		.amdhsa_next_free_sgpr 0
		.amdhsa_accum_offset 4
		.amdhsa_reserve_vcc 0
		.amdhsa_float_round_mode_32 0
		.amdhsa_float_round_mode_16_64 0
		.amdhsa_float_denorm_mode_32 3
		.amdhsa_float_denorm_mode_16_64 3
		.amdhsa_dx10_clamp 1
		.amdhsa_ieee_mode 1
		.amdhsa_fp16_overflow 0
		.amdhsa_tg_split 0
		.amdhsa_exception_fp_ieee_invalid_op 0
		.amdhsa_exception_fp_denorm_src 0
		.amdhsa_exception_fp_ieee_div_zero 0
		.amdhsa_exception_fp_ieee_overflow 0
		.amdhsa_exception_fp_ieee_underflow 0
		.amdhsa_exception_fp_ieee_inexact 0
		.amdhsa_exception_int_div_zero 0
	.end_amdhsa_kernel
	.section	.text._ZN7rocprim17ROCPRIM_400000_NS6detail17trampoline_kernelINS0_14default_configENS1_35adjacent_difference_config_selectorILb0ElEEZNS1_24adjacent_difference_implIS3_Lb0ELb0EPlS7_ZN2at6native12_GLOBAL__N_124unique_dim_cuda_templateIhEESt5tupleIJNS8_6TensorESD_SD_EERKSD_lbbbEUlllE1_EE10hipError_tPvRmT2_T3_mT4_P12ihipStream_tbEUlT_E_NS1_11comp_targetILNS1_3genE10ELNS1_11target_archE1201ELNS1_3gpuE5ELNS1_3repE0EEENS1_30default_config_static_selectorELNS0_4arch9wavefront6targetE1EEEvT1_,"axG",@progbits,_ZN7rocprim17ROCPRIM_400000_NS6detail17trampoline_kernelINS0_14default_configENS1_35adjacent_difference_config_selectorILb0ElEEZNS1_24adjacent_difference_implIS3_Lb0ELb0EPlS7_ZN2at6native12_GLOBAL__N_124unique_dim_cuda_templateIhEESt5tupleIJNS8_6TensorESD_SD_EERKSD_lbbbEUlllE1_EE10hipError_tPvRmT2_T3_mT4_P12ihipStream_tbEUlT_E_NS1_11comp_targetILNS1_3genE10ELNS1_11target_archE1201ELNS1_3gpuE5ELNS1_3repE0EEENS1_30default_config_static_selectorELNS0_4arch9wavefront6targetE1EEEvT1_,comdat
.Lfunc_end60:
	.size	_ZN7rocprim17ROCPRIM_400000_NS6detail17trampoline_kernelINS0_14default_configENS1_35adjacent_difference_config_selectorILb0ElEEZNS1_24adjacent_difference_implIS3_Lb0ELb0EPlS7_ZN2at6native12_GLOBAL__N_124unique_dim_cuda_templateIhEESt5tupleIJNS8_6TensorESD_SD_EERKSD_lbbbEUlllE1_EE10hipError_tPvRmT2_T3_mT4_P12ihipStream_tbEUlT_E_NS1_11comp_targetILNS1_3genE10ELNS1_11target_archE1201ELNS1_3gpuE5ELNS1_3repE0EEENS1_30default_config_static_selectorELNS0_4arch9wavefront6targetE1EEEvT1_, .Lfunc_end60-_ZN7rocprim17ROCPRIM_400000_NS6detail17trampoline_kernelINS0_14default_configENS1_35adjacent_difference_config_selectorILb0ElEEZNS1_24adjacent_difference_implIS3_Lb0ELb0EPlS7_ZN2at6native12_GLOBAL__N_124unique_dim_cuda_templateIhEESt5tupleIJNS8_6TensorESD_SD_EERKSD_lbbbEUlllE1_EE10hipError_tPvRmT2_T3_mT4_P12ihipStream_tbEUlT_E_NS1_11comp_targetILNS1_3genE10ELNS1_11target_archE1201ELNS1_3gpuE5ELNS1_3repE0EEENS1_30default_config_static_selectorELNS0_4arch9wavefront6targetE1EEEvT1_
                                        ; -- End function
	.section	.AMDGPU.csdata,"",@progbits
; Kernel info:
; codeLenInByte = 0
; NumSgprs: 6
; NumVgprs: 0
; NumAgprs: 0
; TotalNumVgprs: 0
; ScratchSize: 0
; MemoryBound: 0
; FloatMode: 240
; IeeeMode: 1
; LDSByteSize: 0 bytes/workgroup (compile time only)
; SGPRBlocks: 0
; VGPRBlocks: 0
; NumSGPRsForWavesPerEU: 6
; NumVGPRsForWavesPerEU: 1
; AccumOffset: 4
; Occupancy: 8
; WaveLimiterHint : 0
; COMPUTE_PGM_RSRC2:SCRATCH_EN: 0
; COMPUTE_PGM_RSRC2:USER_SGPR: 2
; COMPUTE_PGM_RSRC2:TRAP_HANDLER: 0
; COMPUTE_PGM_RSRC2:TGID_X_EN: 1
; COMPUTE_PGM_RSRC2:TGID_Y_EN: 0
; COMPUTE_PGM_RSRC2:TGID_Z_EN: 0
; COMPUTE_PGM_RSRC2:TIDIG_COMP_CNT: 0
; COMPUTE_PGM_RSRC3_GFX90A:ACCUM_OFFSET: 0
; COMPUTE_PGM_RSRC3_GFX90A:TG_SPLIT: 0
	.section	.text._ZN7rocprim17ROCPRIM_400000_NS6detail17trampoline_kernelINS0_14default_configENS1_35adjacent_difference_config_selectorILb0ElEEZNS1_24adjacent_difference_implIS3_Lb0ELb0EPlS7_ZN2at6native12_GLOBAL__N_124unique_dim_cuda_templateIhEESt5tupleIJNS8_6TensorESD_SD_EERKSD_lbbbEUlllE1_EE10hipError_tPvRmT2_T3_mT4_P12ihipStream_tbEUlT_E_NS1_11comp_targetILNS1_3genE5ELNS1_11target_archE942ELNS1_3gpuE9ELNS1_3repE0EEENS1_30default_config_static_selectorELNS0_4arch9wavefront6targetE1EEEvT1_,"axG",@progbits,_ZN7rocprim17ROCPRIM_400000_NS6detail17trampoline_kernelINS0_14default_configENS1_35adjacent_difference_config_selectorILb0ElEEZNS1_24adjacent_difference_implIS3_Lb0ELb0EPlS7_ZN2at6native12_GLOBAL__N_124unique_dim_cuda_templateIhEESt5tupleIJNS8_6TensorESD_SD_EERKSD_lbbbEUlllE1_EE10hipError_tPvRmT2_T3_mT4_P12ihipStream_tbEUlT_E_NS1_11comp_targetILNS1_3genE5ELNS1_11target_archE942ELNS1_3gpuE9ELNS1_3repE0EEENS1_30default_config_static_selectorELNS0_4arch9wavefront6targetE1EEEvT1_,comdat
	.globl	_ZN7rocprim17ROCPRIM_400000_NS6detail17trampoline_kernelINS0_14default_configENS1_35adjacent_difference_config_selectorILb0ElEEZNS1_24adjacent_difference_implIS3_Lb0ELb0EPlS7_ZN2at6native12_GLOBAL__N_124unique_dim_cuda_templateIhEESt5tupleIJNS8_6TensorESD_SD_EERKSD_lbbbEUlllE1_EE10hipError_tPvRmT2_T3_mT4_P12ihipStream_tbEUlT_E_NS1_11comp_targetILNS1_3genE5ELNS1_11target_archE942ELNS1_3gpuE9ELNS1_3repE0EEENS1_30default_config_static_selectorELNS0_4arch9wavefront6targetE1EEEvT1_ ; -- Begin function _ZN7rocprim17ROCPRIM_400000_NS6detail17trampoline_kernelINS0_14default_configENS1_35adjacent_difference_config_selectorILb0ElEEZNS1_24adjacent_difference_implIS3_Lb0ELb0EPlS7_ZN2at6native12_GLOBAL__N_124unique_dim_cuda_templateIhEESt5tupleIJNS8_6TensorESD_SD_EERKSD_lbbbEUlllE1_EE10hipError_tPvRmT2_T3_mT4_P12ihipStream_tbEUlT_E_NS1_11comp_targetILNS1_3genE5ELNS1_11target_archE942ELNS1_3gpuE9ELNS1_3repE0EEENS1_30default_config_static_selectorELNS0_4arch9wavefront6targetE1EEEvT1_
	.p2align	8
	.type	_ZN7rocprim17ROCPRIM_400000_NS6detail17trampoline_kernelINS0_14default_configENS1_35adjacent_difference_config_selectorILb0ElEEZNS1_24adjacent_difference_implIS3_Lb0ELb0EPlS7_ZN2at6native12_GLOBAL__N_124unique_dim_cuda_templateIhEESt5tupleIJNS8_6TensorESD_SD_EERKSD_lbbbEUlllE1_EE10hipError_tPvRmT2_T3_mT4_P12ihipStream_tbEUlT_E_NS1_11comp_targetILNS1_3genE5ELNS1_11target_archE942ELNS1_3gpuE9ELNS1_3repE0EEENS1_30default_config_static_selectorELNS0_4arch9wavefront6targetE1EEEvT1_,@function
_ZN7rocprim17ROCPRIM_400000_NS6detail17trampoline_kernelINS0_14default_configENS1_35adjacent_difference_config_selectorILb0ElEEZNS1_24adjacent_difference_implIS3_Lb0ELb0EPlS7_ZN2at6native12_GLOBAL__N_124unique_dim_cuda_templateIhEESt5tupleIJNS8_6TensorESD_SD_EERKSD_lbbbEUlllE1_EE10hipError_tPvRmT2_T3_mT4_P12ihipStream_tbEUlT_E_NS1_11comp_targetILNS1_3genE5ELNS1_11target_archE942ELNS1_3gpuE9ELNS1_3repE0EEENS1_30default_config_static_selectorELNS0_4arch9wavefront6targetE1EEEvT1_: ; @_ZN7rocprim17ROCPRIM_400000_NS6detail17trampoline_kernelINS0_14default_configENS1_35adjacent_difference_config_selectorILb0ElEEZNS1_24adjacent_difference_implIS3_Lb0ELb0EPlS7_ZN2at6native12_GLOBAL__N_124unique_dim_cuda_templateIhEESt5tupleIJNS8_6TensorESD_SD_EERKSD_lbbbEUlllE1_EE10hipError_tPvRmT2_T3_mT4_P12ihipStream_tbEUlT_E_NS1_11comp_targetILNS1_3genE5ELNS1_11target_archE942ELNS1_3gpuE9ELNS1_3repE0EEENS1_30default_config_static_selectorELNS0_4arch9wavefront6targetE1EEEvT1_
; %bb.0:
	s_load_dwordx8 s[4:11], s[0:1], 0x0
	s_load_dwordx4 s[12:15], s[0:1], 0x20
	s_load_dwordx2 s[18:19], s[0:1], 0x38
	s_mov_b32 s1, 0xcec4e8e0
	v_bfrev_b32_e32 v1, 1
	s_waitcnt lgkmcnt(0)
	s_lshl_b64 s[16:17], s[6:7], 3
	s_add_u32 s24, s4, s16
	s_addc_u32 s25, s5, s17
	s_add_u32 s1, 0x150, s1
	s_addc_u32 s3, 0, 0
	v_add_co_u32_e32 v1, vcc, s1, v1
	s_cmp_lg_u64 vcc, 0
	v_readfirstlane_b32 s4, v1
	s_addc_u32 s1, s3, 0x4ec4eb
	s_mul_hi_u32 s5, s4, 0xfffffcc0
	s_mul_i32 s3, s1, 0xfffffcc0
	s_sub_i32 s5, s5, s4
	s_add_i32 s5, s5, s3
	s_mul_i32 s21, s4, 0xfffffcc0
	s_mul_hi_u32 s3, s4, s5
	s_mul_i32 s20, s4, s5
	s_mul_hi_u32 s4, s4, s21
	s_add_u32 s4, s4, s20
	s_addc_u32 s3, 0, s3
	s_mul_hi_u32 s22, s1, s21
	s_mul_i32 s21, s1, s21
	s_add_u32 s4, s4, s21
	s_mul_hi_u32 s20, s1, s5
	s_addc_u32 s3, s3, s22
	s_addc_u32 s4, s20, 0
	s_mul_i32 s5, s1, s5
	s_add_u32 s3, s3, s5
	s_addc_u32 s4, 0, s4
	v_add_co_u32_e32 v1, vcc, s3, v1
	s_cmp_lg_u64 vcc, 0
	s_addc_u32 s1, s1, s4
	v_readfirstlane_b32 s5, v1
	s_mul_i32 s4, s10, s1
	s_mul_hi_u32 s20, s10, s5
	s_mul_hi_u32 s3, s10, s1
	s_add_u32 s4, s20, s4
	s_addc_u32 s3, 0, s3
	s_mul_hi_u32 s21, s11, s5
	s_mul_i32 s5, s11, s5
	s_add_u32 s4, s4, s5
	s_mul_hi_u32 s20, s11, s1
	s_addc_u32 s3, s3, s21
	s_addc_u32 s4, s20, 0
	s_mul_i32 s1, s11, s1
	s_add_u32 s1, s3, s1
	s_addc_u32 s3, 0, s4
	s_add_u32 s4, s1, 1
	s_addc_u32 s5, s3, 0
	s_add_u32 s20, s1, 2
	s_mul_i32 s22, s3, 0x340
	s_mul_hi_u32 s23, s1, 0x340
	s_addc_u32 s21, s3, 0
	s_add_i32 s23, s23, s22
	s_mul_i32 s22, s1, 0x340
	v_mov_b32_e32 v1, s22
	v_sub_co_u32_e32 v1, vcc, s10, v1
	s_movk_i32 s0, 0x340
	s_cmp_lg_u64 vcc, 0
	s_subb_u32 s22, s11, s23
	v_subrev_co_u32_e32 v2, vcc, s0, v1
	s_cmp_lg_u64 vcc, 0
	s_subb_u32 s0, s22, 0
	v_readfirstlane_b32 s23, v2
	s_cmpk_gt_u32 s23, 0x33f
	s_cselect_b32 s23, -1, 0
	s_cmp_eq_u32 s0, 0
	s_cselect_b32 s0, s23, -1
	s_cmp_lg_u32 s0, 0
	s_cselect_b32 s0, s20, s4
	s_cselect_b32 s4, s21, s5
	v_readfirstlane_b32 s5, v1
	s_cmpk_gt_u32 s5, 0x33f
	s_cselect_b32 s5, -1, 0
	s_cmp_eq_u32 s22, 0
	s_cselect_b32 s5, s5, -1
	s_cmp_lg_u32 s5, 0
	s_cselect_b32 s3, s4, s3
	s_cselect_b32 s4, s0, s1
	s_mul_i32 s0, s3, 0x340
	s_mul_hi_u32 s1, s4, 0x340
	s_add_i32 s1, s1, s0
	s_mul_i32 s0, s4, 0x340
	s_sub_u32 s0, s10, s0
	s_subb_u32 s1, s11, s1
	s_cmp_lg_u64 s[0:1], 0
	s_cselect_b64 s[0:1], -1, 0
	v_cndmask_b32_e64 v1, 0, 1, s[0:1]
	s_mul_i32 s6, s2, 0x340
	v_readfirstlane_b32 s0, v1
	s_add_u32 s4, s4, s0
	s_addc_u32 s5, s3, 0
	s_add_u32 s22, s18, s2
	s_addc_u32 s23, s19, 0
	s_add_u32 s2, s4, -1
	s_addc_u32 s3, s5, -1
	v_mov_b64_e32 v[2:3], s[2:3]
	v_cmp_ge_u64_e64 s[0:1], s[22:23], v[2:3]
	s_mov_b32 s7, 0
	s_mov_b64 s[18:19], -1
	s_and_b64 vcc, exec, s[0:1]
	s_mul_i32 s11, s2, 0xfffffcc0
	s_cbranch_vccz .LBB61_28
; %bb.1:
	s_add_i32 s26, s11, s10
	s_lshl_b64 s[18:19], s[6:7], 3
	s_add_u32 s18, s24, s18
	s_addc_u32 s19, s25, s19
	v_cmp_gt_u32_e32 vcc, s26, v0
                                        ; implicit-def: $vgpr2_vgpr3_vgpr4_vgpr5_vgpr6_vgpr7_vgpr8_vgpr9_vgpr10_vgpr11_vgpr12_vgpr13_vgpr14_vgpr15_vgpr16_vgpr17_vgpr18_vgpr19_vgpr20_vgpr21_vgpr22_vgpr23_vgpr24_vgpr25_vgpr26_vgpr27_vgpr28_vgpr29_vgpr30_vgpr31_vgpr32_vgpr33
	s_and_saveexec_b64 s[20:21], vcc
	s_cbranch_execz .LBB61_3
; %bb.2:
	v_lshlrev_b32_e32 v1, 3, v0
	global_load_dwordx2 v[2:3], v1, s[18:19]
.LBB61_3:
	s_or_b64 exec, exec, s[20:21]
	v_or_b32_e32 v1, 64, v0
	v_cmp_gt_u32_e32 vcc, s26, v1
	s_and_saveexec_b64 s[20:21], vcc
	s_cbranch_execz .LBB61_5
; %bb.4:
	v_lshlrev_b32_e32 v1, 3, v0
	global_load_dwordx2 v[4:5], v1, s[18:19] offset:512
.LBB61_5:
	s_or_b64 exec, exec, s[20:21]
	v_or_b32_e32 v1, 0x80, v0
	v_cmp_gt_u32_e32 vcc, s26, v1
	s_and_saveexec_b64 s[20:21], vcc
	s_cbranch_execz .LBB61_7
; %bb.6:
	v_lshlrev_b32_e32 v1, 3, v0
	global_load_dwordx2 v[6:7], v1, s[18:19] offset:1024
.LBB61_7:
	;; [unrolled: 9-line block ×7, first 2 shown]
	s_or_b64 exec, exec, s[20:21]
	v_or_b32_e32 v1, 0x200, v0
	v_cmp_gt_u32_e32 vcc, s26, v1
	s_and_saveexec_b64 s[20:21], vcc
	s_cbranch_execz .LBB61_19
; %bb.18:
	v_lshlrev_b32_e32 v1, 3, v1
	global_load_dwordx2 v[18:19], v1, s[18:19]
.LBB61_19:
	s_or_b64 exec, exec, s[20:21]
	v_or_b32_e32 v1, 0x240, v0
	v_cmp_gt_u32_e32 vcc, s26, v1
	s_and_saveexec_b64 s[20:21], vcc
	s_cbranch_execz .LBB61_21
; %bb.20:
	v_lshlrev_b32_e32 v1, 3, v1
	global_load_dwordx2 v[20:21], v1, s[18:19]
.LBB61_21:
	;; [unrolled: 9-line block ×5, first 2 shown]
	s_or_b64 exec, exec, s[20:21]
	v_lshlrev_b32_e32 v1, 3, v0
	s_mov_b64 s[18:19], 0
	s_waitcnt vmcnt(0)
	ds_write2st64_b64 v1, v[2:3], v[4:5] offset1:1
	ds_write2st64_b64 v1, v[6:7], v[8:9] offset0:2 offset1:3
	ds_write2st64_b64 v1, v[10:11], v[12:13] offset0:4 offset1:5
	;; [unrolled: 1-line block ×5, first 2 shown]
	ds_write_b64 v1, v[26:27] offset:6144
	s_waitcnt lgkmcnt(0)
	; wave barrier
.LBB61_28:
	s_and_b64 vcc, exec, s[18:19]
	v_lshlrev_b32_e32 v48, 3, v0
	s_cbranch_vccz .LBB61_30
; %bb.29:
	s_lshl_b64 s[18:19], s[6:7], 3
	s_add_u32 s18, s24, s18
	s_addc_u32 s19, s25, s19
	v_mov_b32_e32 v49, 0
	v_lshl_add_u64 v[2:3], s[18:19], 0, v[48:49]
	s_movk_i32 s7, 0x1000
	v_add_co_u32_e32 v2, vcc, s7, v2
	global_load_dwordx2 v[4:5], v48, s[18:19]
	global_load_dwordx2 v[6:7], v48, s[18:19] offset:512
	global_load_dwordx2 v[8:9], v48, s[18:19] offset:1024
	;; [unrolled: 1-line block ×7, first 2 shown]
	v_addc_co_u32_e32 v3, vcc, 0, v3, vcc
	global_load_dwordx2 v[20:21], v[2:3], off
	global_load_dwordx2 v[22:23], v[2:3], off offset:512
	global_load_dwordx2 v[24:25], v[2:3], off offset:1024
	;; [unrolled: 1-line block ×4, first 2 shown]
	s_waitcnt vmcnt(11)
	ds_write2st64_b64 v48, v[4:5], v[6:7] offset1:1
	s_waitcnt vmcnt(9)
	ds_write2st64_b64 v48, v[8:9], v[10:11] offset0:2 offset1:3
	s_waitcnt vmcnt(7)
	ds_write2st64_b64 v48, v[12:13], v[14:15] offset0:4 offset1:5
	;; [unrolled: 2-line block ×5, first 2 shown]
	s_waitcnt vmcnt(0)
	ds_write_b64 v48, v[28:29] offset:6144
	s_waitcnt lgkmcnt(0)
	; wave barrier
.LBB61_30:
	v_mul_u32_u24_e32 v1, 13, v0
	v_lshlrev_b32_e32 v1, 3, v1
	s_waitcnt lgkmcnt(0)
	ds_read2_b64 v[2:5], v1 offset1:1
	ds_read2_b64 v[6:9], v1 offset0:2 offset1:3
	ds_read2_b64 v[10:13], v1 offset0:4 offset1:5
	;; [unrolled: 1-line block ×5, first 2 shown]
	ds_read_b64 v[44:45], v1 offset:96
	s_cmp_eq_u64 s[22:23], 0
	s_mov_b64 s[18:19], 0
	s_waitcnt lgkmcnt(0)
	; wave barrier
	s_waitcnt lgkmcnt(0)
	s_cbranch_scc1 .LBB61_39
; %bb.31:
	s_mov_b32 s7, 0
	s_lshl_b64 s[20:21], s[6:7], 3
	s_add_u32 s7, s24, s20
	s_addc_u32 s21, s25, s21
	s_add_u32 s20, s7, -8
	s_addc_u32 s21, s21, -1
	s_load_dwordx2 s[20:21], s[20:21], 0x0
	s_cmp_lg_u64 s[22:23], s[2:3]
	s_cbranch_scc0 .LBB61_40
; %bb.32:
	v_mul_lo_u32 v1, v25, s12
	v_mul_lo_u32 v28, v24, s13
	v_mad_u64_u32 v[26:27], s[24:25], v24, s12, 0
	v_mov_b64_e32 v[46:47], 0
	v_cmp_lt_i64_e64 s[2:3], s[12:13], 1
	v_add3_u32 v27, v27, v28, v1
	v_cmp_gt_i64_e64 s[18:19], s[12:13], 0
	s_and_b64 vcc, exec, s[2:3]
	v_lshl_add_u64 v[26:27], s[14:15], 0, v[26:27]
	v_mov_b64_e32 v[50:51], v[46:47]
	ds_write_b64 v48, v[44:45]
	s_cbranch_vccnz .LBB61_44
; %bb.33:
	v_mov_b64_e32 v[28:29], s[14:15]
	v_mad_u64_u32 v[28:29], s[2:3], v44, s12, v[28:29]
	v_mul_lo_u32 v1, v44, s13
	v_mul_lo_u32 v30, v45, s12
	v_add3_u32 v29, v30, v29, v1
	global_load_ubyte v1, v[28:29], off
	global_load_ubyte v30, v[26:27], off
	v_mov_b64_e32 v[50:51], 1
	s_waitcnt vmcnt(0)
	v_cmp_eq_u16_e32 vcc, v1, v30
	s_and_saveexec_b64 s[2:3], vcc
	s_cbranch_execz .LBB61_43
; %bb.34:
	s_mov_b64 s[28:29], 1
	s_mov_b64 s[24:25], 0
                                        ; implicit-def: $sgpr26_sgpr27
	s_branch .LBB61_37
.LBB61_35:                              ;   in Loop: Header=BB61_37 Depth=1
	v_lshl_add_u64 v[30:31], v[28:29], 0, s[28:29]
	v_lshl_add_u64 v[32:33], v[26:27], 0, s[28:29]
	global_load_ubyte v1, v[30:31], off
	global_load_ubyte v34, v[32:33], off
	s_add_u32 s30, s28, 1
	s_addc_u32 s31, s29, 0
	s_andn2_b64 s[26:27], s[26:27], exec
	s_waitcnt vmcnt(0)
	v_cmp_ne_u16_e32 vcc, v1, v34
	s_and_b64 s[34:35], vcc, exec
	s_or_b64 s[26:27], s[26:27], s[34:35]
.LBB61_36:                              ;   in Loop: Header=BB61_37 Depth=1
	s_and_b64 s[34:35], exec, s[26:27]
	s_or_b64 s[24:25], s[34:35], s[24:25]
	v_mov_b64_e32 v[30:31], s[28:29]
	s_mov_b64 s[28:29], s[30:31]
	s_andn2_b64 exec, exec, s[24:25]
	s_cbranch_execz .LBB61_42
.LBB61_37:                              ; =>This Inner Loop Header: Depth=1
	s_or_b64 s[26:27], s[26:27], exec
	s_cmp_eq_u64 s[12:13], s[28:29]
	s_cbranch_scc0 .LBB61_35
; %bb.38:                               ;   in Loop: Header=BB61_37 Depth=1
                                        ; implicit-def: $sgpr30_sgpr31
	s_mov_b64 s[28:29], s[12:13]
	s_branch .LBB61_36
.LBB61_39:
                                        ; implicit-def: $vgpr26_vgpr27_vgpr28_vgpr29
                                        ; implicit-def: $sgpr24_sgpr25
                                        ; implicit-def: $vgpr50_vgpr51
                                        ; implicit-def: $vgpr52_vgpr53
                                        ; implicit-def: $vgpr46_vgpr47
                                        ; implicit-def: $vgpr70_vgpr71
                                        ; implicit-def: $vgpr68_vgpr69
                                        ; implicit-def: $vgpr66_vgpr67
                                        ; implicit-def: $vgpr64_vgpr65
                                        ; implicit-def: $vgpr62_vgpr63
                                        ; implicit-def: $vgpr60_vgpr61
                                        ; implicit-def: $vgpr58_vgpr59
                                        ; implicit-def: $vgpr56_vgpr57
                                        ; implicit-def: $vgpr54_vgpr55
                                        ; implicit-def: $vgpr72_vgpr73
                                        ; implicit-def: $vgpr82_vgpr83
                                        ; implicit-def: $vgpr74_vgpr75
                                        ; implicit-def: $vgpr76_vgpr77
                                        ; implicit-def: $vgpr78_vgpr79
                                        ; implicit-def: $vgpr80_vgpr81
                                        ; implicit-def: $vgpr28_vgpr29_vgpr30_vgpr31
                                        ; implicit-def: $vgpr32_vgpr33_vgpr34_vgpr35
                                        ; implicit-def: $vgpr36_vgpr37_vgpr38_vgpr39
                                        ; implicit-def: $vgpr40_vgpr41_vgpr42_vgpr43
	s_cbranch_execnz .LBB61_303
	s_branch .LBB61_572
.LBB61_40:
                                        ; implicit-def: $sgpr24_sgpr25
                                        ; implicit-def: $vgpr50_vgpr51
                                        ; implicit-def: $vgpr52_vgpr53
                                        ; implicit-def: $vgpr46_vgpr47
                                        ; implicit-def: $vgpr70_vgpr71
                                        ; implicit-def: $vgpr68_vgpr69
                                        ; implicit-def: $vgpr66_vgpr67
                                        ; implicit-def: $vgpr64_vgpr65
                                        ; implicit-def: $vgpr62_vgpr63
                                        ; implicit-def: $vgpr60_vgpr61
                                        ; implicit-def: $vgpr58_vgpr59
                                        ; implicit-def: $vgpr56_vgpr57
                                        ; implicit-def: $vgpr54_vgpr55
	s_cbranch_execnz .LBB61_156
.LBB61_41:
                                        ; implicit-def: $vgpr26_vgpr27_vgpr28_vgpr29
                                        ; implicit-def: $vgpr72_vgpr73
                                        ; implicit-def: $vgpr82_vgpr83
                                        ; implicit-def: $vgpr74_vgpr75
                                        ; implicit-def: $vgpr76_vgpr77
                                        ; implicit-def: $vgpr78_vgpr79
                                        ; implicit-def: $vgpr80_vgpr81
                                        ; implicit-def: $vgpr32_vgpr33_vgpr34_vgpr35
                                        ; implicit-def: $vgpr36_vgpr37_vgpr38_vgpr39
                                        ; implicit-def: $vgpr40_vgpr41_vgpr42_vgpr43
                                        ; implicit-def: $vgpr28_vgpr29_vgpr30_vgpr31
	s_branch .LBB61_572
.LBB61_42:
	s_or_b64 exec, exec, s[24:25]
	v_cmp_gt_i64_e32 vcc, s[12:13], v[30:31]
	s_mov_b32 s7, 0
	v_mov_b32_e32 v51, s7
	v_cndmask_b32_e64 v50, 0, 1, vcc
.LBB61_43:
	s_or_b64 exec, exec, s[2:3]
.LBB61_44:
	v_mul_lo_u32 v1, v23, s12
	v_mul_lo_u32 v30, v22, s13
	v_mad_u64_u32 v[28:29], s[2:3], v22, s12, 0
	v_add3_u32 v29, v29, v30, v1
	v_cndmask_b32_e64 v1, 0, 1, s[18:19]
	v_cmp_ne_u32_e64 s[2:3], 1, v1
	s_andn2_b64 vcc, exec, s[18:19]
	v_lshl_add_u64 v[28:29], s[14:15], 0, v[28:29]
	v_mov_b64_e32 v[52:53], v[46:47]
	s_cbranch_vccnz .LBB61_53
; %bb.45:
	global_load_ubyte v1, v[26:27], off
	global_load_ubyte v30, v[28:29], off
	v_mov_b64_e32 v[52:53], 1
	s_waitcnt vmcnt(0)
	v_cmp_eq_u16_e32 vcc, v1, v30
	s_and_saveexec_b64 s[18:19], vcc
	s_cbranch_execz .LBB61_52
; %bb.46:
	s_mov_b64 s[28:29], 1
	s_mov_b64 s[24:25], 0
                                        ; implicit-def: $sgpr26_sgpr27
	s_branch .LBB61_49
.LBB61_47:                              ;   in Loop: Header=BB61_49 Depth=1
	v_lshl_add_u64 v[30:31], v[26:27], 0, s[28:29]
	v_lshl_add_u64 v[32:33], v[28:29], 0, s[28:29]
	global_load_ubyte v1, v[30:31], off
	global_load_ubyte v34, v[32:33], off
	s_add_u32 s30, s28, 1
	s_addc_u32 s31, s29, 0
	s_andn2_b64 s[26:27], s[26:27], exec
	s_waitcnt vmcnt(0)
	v_cmp_ne_u16_e32 vcc, v1, v34
	s_and_b64 s[34:35], vcc, exec
	s_or_b64 s[26:27], s[26:27], s[34:35]
.LBB61_48:                              ;   in Loop: Header=BB61_49 Depth=1
	s_and_b64 s[34:35], exec, s[26:27]
	s_or_b64 s[24:25], s[34:35], s[24:25]
	v_mov_b64_e32 v[30:31], s[28:29]
	s_mov_b64 s[28:29], s[30:31]
	s_andn2_b64 exec, exec, s[24:25]
	s_cbranch_execz .LBB61_51
.LBB61_49:                              ; =>This Inner Loop Header: Depth=1
	s_or_b64 s[26:27], s[26:27], exec
	s_cmp_eq_u64 s[12:13], s[28:29]
	s_cbranch_scc0 .LBB61_47
; %bb.50:                               ;   in Loop: Header=BB61_49 Depth=1
                                        ; implicit-def: $sgpr30_sgpr31
	s_mov_b64 s[28:29], s[12:13]
	s_branch .LBB61_48
.LBB61_51:
	s_or_b64 exec, exec, s[24:25]
	v_cmp_gt_i64_e32 vcc, s[12:13], v[30:31]
	s_mov_b32 s7, 0
	v_mov_b32_e32 v53, s7
	v_cndmask_b32_e64 v52, 0, 1, vcc
.LBB61_52:
	s_or_b64 exec, exec, s[18:19]
.LBB61_53:
	v_mul_lo_u32 v1, v21, s12
	v_mul_lo_u32 v30, v20, s13
	v_mad_u64_u32 v[26:27], s[18:19], v20, s12, 0
	v_add3_u32 v27, v27, v30, v1
	s_and_b64 vcc, exec, s[2:3]
	v_lshl_add_u64 v[26:27], s[14:15], 0, v[26:27]
	s_cbranch_vccnz .LBB61_62
; %bb.54:
	global_load_ubyte v1, v[28:29], off
	global_load_ubyte v30, v[26:27], off
	v_mov_b64_e32 v[46:47], 1
	s_waitcnt vmcnt(0)
	v_cmp_eq_u16_e32 vcc, v1, v30
	s_and_saveexec_b64 s[18:19], vcc
	s_cbranch_execz .LBB61_61
; %bb.55:
	s_mov_b64 s[28:29], 1
	s_mov_b64 s[24:25], 0
                                        ; implicit-def: $sgpr26_sgpr27
	s_branch .LBB61_58
.LBB61_56:                              ;   in Loop: Header=BB61_58 Depth=1
	v_lshl_add_u64 v[30:31], v[28:29], 0, s[28:29]
	v_lshl_add_u64 v[32:33], v[26:27], 0, s[28:29]
	global_load_ubyte v1, v[30:31], off
	global_load_ubyte v34, v[32:33], off
	s_add_u32 s30, s28, 1
	s_addc_u32 s31, s29, 0
	s_andn2_b64 s[26:27], s[26:27], exec
	s_waitcnt vmcnt(0)
	v_cmp_ne_u16_e32 vcc, v1, v34
	s_and_b64 s[34:35], vcc, exec
	s_or_b64 s[26:27], s[26:27], s[34:35]
.LBB61_57:                              ;   in Loop: Header=BB61_58 Depth=1
	s_and_b64 s[34:35], exec, s[26:27]
	s_or_b64 s[24:25], s[34:35], s[24:25]
	v_mov_b64_e32 v[30:31], s[28:29]
	s_mov_b64 s[28:29], s[30:31]
	s_andn2_b64 exec, exec, s[24:25]
	s_cbranch_execz .LBB61_60
.LBB61_58:                              ; =>This Inner Loop Header: Depth=1
	s_or_b64 s[26:27], s[26:27], exec
	s_cmp_eq_u64 s[12:13], s[28:29]
	s_cbranch_scc0 .LBB61_56
; %bb.59:                               ;   in Loop: Header=BB61_58 Depth=1
                                        ; implicit-def: $sgpr30_sgpr31
	s_mov_b64 s[28:29], s[12:13]
	s_branch .LBB61_57
.LBB61_60:
	s_or_b64 exec, exec, s[24:25]
	v_cmp_gt_i64_e32 vcc, s[12:13], v[30:31]
	s_mov_b32 s7, 0
	v_mov_b32_e32 v47, s7
	v_cndmask_b32_e64 v46, 0, 1, vcc
.LBB61_61:
	s_or_b64 exec, exec, s[18:19]
.LBB61_62:
	v_mul_lo_u32 v1, v19, s12
	v_mul_lo_u32 v30, v18, s13
	v_mad_u64_u32 v[28:29], s[18:19], v18, s12, 0
	v_add3_u32 v29, v29, v30, v1
	v_mov_b64_e32 v[56:57], 0
	s_and_b64 vcc, exec, s[2:3]
	v_lshl_add_u64 v[28:29], s[14:15], 0, v[28:29]
	v_mov_b64_e32 v[54:55], v[56:57]
	s_cbranch_vccnz .LBB61_71
; %bb.63:
	global_load_ubyte v1, v[26:27], off
	global_load_ubyte v30, v[28:29], off
	v_mov_b64_e32 v[54:55], 1
	s_waitcnt vmcnt(0)
	v_cmp_eq_u16_e32 vcc, v1, v30
	s_and_saveexec_b64 s[18:19], vcc
	s_cbranch_execz .LBB61_70
; %bb.64:
	s_mov_b64 s[28:29], 1
	s_mov_b64 s[24:25], 0
                                        ; implicit-def: $sgpr26_sgpr27
	s_branch .LBB61_67
.LBB61_65:                              ;   in Loop: Header=BB61_67 Depth=1
	v_lshl_add_u64 v[30:31], v[26:27], 0, s[28:29]
	v_lshl_add_u64 v[32:33], v[28:29], 0, s[28:29]
	global_load_ubyte v1, v[30:31], off
	global_load_ubyte v34, v[32:33], off
	s_add_u32 s30, s28, 1
	s_addc_u32 s31, s29, 0
	s_andn2_b64 s[26:27], s[26:27], exec
	s_waitcnt vmcnt(0)
	v_cmp_ne_u16_e32 vcc, v1, v34
	s_and_b64 s[34:35], vcc, exec
	s_or_b64 s[26:27], s[26:27], s[34:35]
.LBB61_66:                              ;   in Loop: Header=BB61_67 Depth=1
	s_and_b64 s[34:35], exec, s[26:27]
	s_or_b64 s[24:25], s[34:35], s[24:25]
	v_mov_b64_e32 v[30:31], s[28:29]
	s_mov_b64 s[28:29], s[30:31]
	s_andn2_b64 exec, exec, s[24:25]
	s_cbranch_execz .LBB61_69
.LBB61_67:                              ; =>This Inner Loop Header: Depth=1
	s_or_b64 s[26:27], s[26:27], exec
	s_cmp_eq_u64 s[12:13], s[28:29]
	s_cbranch_scc0 .LBB61_65
; %bb.68:                               ;   in Loop: Header=BB61_67 Depth=1
                                        ; implicit-def: $sgpr30_sgpr31
	s_mov_b64 s[28:29], s[12:13]
	s_branch .LBB61_66
.LBB61_69:
	s_or_b64 exec, exec, s[24:25]
	v_cmp_gt_i64_e32 vcc, s[12:13], v[30:31]
	s_mov_b32 s7, 0
	v_mov_b32_e32 v55, s7
	v_cndmask_b32_e64 v54, 0, 1, vcc
.LBB61_70:
	s_or_b64 exec, exec, s[18:19]
.LBB61_71:
	v_mul_lo_u32 v1, v17, s12
	v_mul_lo_u32 v30, v16, s13
	v_mad_u64_u32 v[26:27], s[18:19], v16, s12, 0
	v_add3_u32 v27, v27, v30, v1
	s_and_b64 vcc, exec, s[2:3]
	v_lshl_add_u64 v[26:27], s[14:15], 0, v[26:27]
	s_cbranch_vccnz .LBB61_80
; %bb.72:
	global_load_ubyte v1, v[28:29], off
	global_load_ubyte v30, v[26:27], off
	v_mov_b64_e32 v[56:57], 1
	s_waitcnt vmcnt(0)
	v_cmp_eq_u16_e32 vcc, v1, v30
	s_and_saveexec_b64 s[18:19], vcc
	s_cbranch_execz .LBB61_79
; %bb.73:
	s_mov_b64 s[28:29], 1
	s_mov_b64 s[24:25], 0
                                        ; implicit-def: $sgpr26_sgpr27
	s_branch .LBB61_76
.LBB61_74:                              ;   in Loop: Header=BB61_76 Depth=1
	v_lshl_add_u64 v[30:31], v[28:29], 0, s[28:29]
	v_lshl_add_u64 v[32:33], v[26:27], 0, s[28:29]
	global_load_ubyte v1, v[30:31], off
	global_load_ubyte v34, v[32:33], off
	s_add_u32 s30, s28, 1
	s_addc_u32 s31, s29, 0
	s_andn2_b64 s[26:27], s[26:27], exec
	s_waitcnt vmcnt(0)
	v_cmp_ne_u16_e32 vcc, v1, v34
	s_and_b64 s[34:35], vcc, exec
	s_or_b64 s[26:27], s[26:27], s[34:35]
.LBB61_75:                              ;   in Loop: Header=BB61_76 Depth=1
	s_and_b64 s[34:35], exec, s[26:27]
	s_or_b64 s[24:25], s[34:35], s[24:25]
	v_mov_b64_e32 v[30:31], s[28:29]
	s_mov_b64 s[28:29], s[30:31]
	s_andn2_b64 exec, exec, s[24:25]
	s_cbranch_execz .LBB61_78
.LBB61_76:                              ; =>This Inner Loop Header: Depth=1
	s_or_b64 s[26:27], s[26:27], exec
	s_cmp_eq_u64 s[12:13], s[28:29]
	s_cbranch_scc0 .LBB61_74
; %bb.77:                               ;   in Loop: Header=BB61_76 Depth=1
                                        ; implicit-def: $sgpr30_sgpr31
	s_mov_b64 s[28:29], s[12:13]
	s_branch .LBB61_75
.LBB61_78:
	s_or_b64 exec, exec, s[24:25]
	v_cmp_gt_i64_e32 vcc, s[12:13], v[30:31]
	s_mov_b32 s7, 0
	v_mov_b32_e32 v57, s7
	v_cndmask_b32_e64 v56, 0, 1, vcc
.LBB61_79:
	s_or_b64 exec, exec, s[18:19]
.LBB61_80:
	v_mul_lo_u32 v1, v15, s12
	v_mul_lo_u32 v30, v14, s13
	v_mad_u64_u32 v[28:29], s[18:19], v14, s12, 0
	v_add3_u32 v29, v29, v30, v1
	v_mov_b64_e32 v[60:61], 0
	s_and_b64 vcc, exec, s[2:3]
	v_lshl_add_u64 v[28:29], s[14:15], 0, v[28:29]
	v_mov_b64_e32 v[58:59], v[60:61]
	s_cbranch_vccnz .LBB61_89
; %bb.81:
	global_load_ubyte v1, v[26:27], off
	global_load_ubyte v30, v[28:29], off
	v_mov_b64_e32 v[58:59], 1
	s_waitcnt vmcnt(0)
	v_cmp_eq_u16_e32 vcc, v1, v30
	s_and_saveexec_b64 s[18:19], vcc
	s_cbranch_execz .LBB61_88
; %bb.82:
	s_mov_b64 s[28:29], 1
	s_mov_b64 s[24:25], 0
                                        ; implicit-def: $sgpr26_sgpr27
	s_branch .LBB61_85
.LBB61_83:                              ;   in Loop: Header=BB61_85 Depth=1
	v_lshl_add_u64 v[30:31], v[26:27], 0, s[28:29]
	v_lshl_add_u64 v[32:33], v[28:29], 0, s[28:29]
	global_load_ubyte v1, v[30:31], off
	global_load_ubyte v34, v[32:33], off
	s_add_u32 s30, s28, 1
	s_addc_u32 s31, s29, 0
	s_andn2_b64 s[26:27], s[26:27], exec
	s_waitcnt vmcnt(0)
	v_cmp_ne_u16_e32 vcc, v1, v34
	s_and_b64 s[34:35], vcc, exec
	s_or_b64 s[26:27], s[26:27], s[34:35]
.LBB61_84:                              ;   in Loop: Header=BB61_85 Depth=1
	s_and_b64 s[34:35], exec, s[26:27]
	s_or_b64 s[24:25], s[34:35], s[24:25]
	v_mov_b64_e32 v[30:31], s[28:29]
	s_mov_b64 s[28:29], s[30:31]
	s_andn2_b64 exec, exec, s[24:25]
	s_cbranch_execz .LBB61_87
.LBB61_85:                              ; =>This Inner Loop Header: Depth=1
	s_or_b64 s[26:27], s[26:27], exec
	s_cmp_eq_u64 s[12:13], s[28:29]
	s_cbranch_scc0 .LBB61_83
; %bb.86:                               ;   in Loop: Header=BB61_85 Depth=1
                                        ; implicit-def: $sgpr30_sgpr31
	s_mov_b64 s[28:29], s[12:13]
	s_branch .LBB61_84
.LBB61_87:
	s_or_b64 exec, exec, s[24:25]
	v_cmp_gt_i64_e32 vcc, s[12:13], v[30:31]
	s_mov_b32 s7, 0
	v_mov_b32_e32 v59, s7
	v_cndmask_b32_e64 v58, 0, 1, vcc
.LBB61_88:
	s_or_b64 exec, exec, s[18:19]
.LBB61_89:
	v_mul_lo_u32 v1, v13, s12
	v_mul_lo_u32 v30, v12, s13
	v_mad_u64_u32 v[26:27], s[18:19], v12, s12, 0
	v_add3_u32 v27, v27, v30, v1
	s_and_b64 vcc, exec, s[2:3]
	v_lshl_add_u64 v[26:27], s[14:15], 0, v[26:27]
	s_cbranch_vccnz .LBB61_98
; %bb.90:
	global_load_ubyte v1, v[28:29], off
	global_load_ubyte v30, v[26:27], off
	v_mov_b64_e32 v[60:61], 1
	s_waitcnt vmcnt(0)
	v_cmp_eq_u16_e32 vcc, v1, v30
	s_and_saveexec_b64 s[18:19], vcc
	s_cbranch_execz .LBB61_97
; %bb.91:
	s_mov_b64 s[28:29], 1
	s_mov_b64 s[24:25], 0
                                        ; implicit-def: $sgpr26_sgpr27
	s_branch .LBB61_94
.LBB61_92:                              ;   in Loop: Header=BB61_94 Depth=1
	v_lshl_add_u64 v[30:31], v[28:29], 0, s[28:29]
	v_lshl_add_u64 v[32:33], v[26:27], 0, s[28:29]
	global_load_ubyte v1, v[30:31], off
	global_load_ubyte v34, v[32:33], off
	s_add_u32 s30, s28, 1
	s_addc_u32 s31, s29, 0
	s_andn2_b64 s[26:27], s[26:27], exec
	s_waitcnt vmcnt(0)
	v_cmp_ne_u16_e32 vcc, v1, v34
	s_and_b64 s[34:35], vcc, exec
	s_or_b64 s[26:27], s[26:27], s[34:35]
.LBB61_93:                              ;   in Loop: Header=BB61_94 Depth=1
	s_and_b64 s[34:35], exec, s[26:27]
	s_or_b64 s[24:25], s[34:35], s[24:25]
	v_mov_b64_e32 v[30:31], s[28:29]
	s_mov_b64 s[28:29], s[30:31]
	s_andn2_b64 exec, exec, s[24:25]
	s_cbranch_execz .LBB61_96
.LBB61_94:                              ; =>This Inner Loop Header: Depth=1
	s_or_b64 s[26:27], s[26:27], exec
	s_cmp_eq_u64 s[12:13], s[28:29]
	s_cbranch_scc0 .LBB61_92
; %bb.95:                               ;   in Loop: Header=BB61_94 Depth=1
                                        ; implicit-def: $sgpr30_sgpr31
	s_mov_b64 s[28:29], s[12:13]
	s_branch .LBB61_93
.LBB61_96:
	s_or_b64 exec, exec, s[24:25]
	v_cmp_gt_i64_e32 vcc, s[12:13], v[30:31]
	s_mov_b32 s7, 0
	v_mov_b32_e32 v61, s7
	v_cndmask_b32_e64 v60, 0, 1, vcc
.LBB61_97:
	s_or_b64 exec, exec, s[18:19]
.LBB61_98:
	v_mul_lo_u32 v1, v11, s12
	v_mul_lo_u32 v30, v10, s13
	v_mad_u64_u32 v[28:29], s[18:19], v10, s12, 0
	v_add3_u32 v29, v29, v30, v1
	v_mov_b64_e32 v[64:65], 0
	s_and_b64 vcc, exec, s[2:3]
	v_lshl_add_u64 v[28:29], s[14:15], 0, v[28:29]
	v_mov_b64_e32 v[62:63], v[64:65]
	s_cbranch_vccnz .LBB61_107
; %bb.99:
	global_load_ubyte v1, v[26:27], off
	global_load_ubyte v30, v[28:29], off
	v_mov_b64_e32 v[62:63], 1
	s_waitcnt vmcnt(0)
	v_cmp_eq_u16_e32 vcc, v1, v30
	s_and_saveexec_b64 s[18:19], vcc
	s_cbranch_execz .LBB61_106
; %bb.100:
	s_mov_b64 s[28:29], 1
	s_mov_b64 s[24:25], 0
                                        ; implicit-def: $sgpr26_sgpr27
	s_branch .LBB61_103
.LBB61_101:                             ;   in Loop: Header=BB61_103 Depth=1
	v_lshl_add_u64 v[30:31], v[26:27], 0, s[28:29]
	v_lshl_add_u64 v[32:33], v[28:29], 0, s[28:29]
	global_load_ubyte v1, v[30:31], off
	global_load_ubyte v34, v[32:33], off
	s_add_u32 s30, s28, 1
	s_addc_u32 s31, s29, 0
	s_andn2_b64 s[26:27], s[26:27], exec
	s_waitcnt vmcnt(0)
	v_cmp_ne_u16_e32 vcc, v1, v34
	s_and_b64 s[34:35], vcc, exec
	s_or_b64 s[26:27], s[26:27], s[34:35]
.LBB61_102:                             ;   in Loop: Header=BB61_103 Depth=1
	s_and_b64 s[34:35], exec, s[26:27]
	s_or_b64 s[24:25], s[34:35], s[24:25]
	v_mov_b64_e32 v[30:31], s[28:29]
	s_mov_b64 s[28:29], s[30:31]
	s_andn2_b64 exec, exec, s[24:25]
	s_cbranch_execz .LBB61_105
.LBB61_103:                             ; =>This Inner Loop Header: Depth=1
	s_or_b64 s[26:27], s[26:27], exec
	s_cmp_eq_u64 s[12:13], s[28:29]
	s_cbranch_scc0 .LBB61_101
; %bb.104:                              ;   in Loop: Header=BB61_103 Depth=1
                                        ; implicit-def: $sgpr30_sgpr31
	s_mov_b64 s[28:29], s[12:13]
	s_branch .LBB61_102
.LBB61_105:
	s_or_b64 exec, exec, s[24:25]
	v_cmp_gt_i64_e32 vcc, s[12:13], v[30:31]
	s_mov_b32 s7, 0
	v_mov_b32_e32 v63, s7
	v_cndmask_b32_e64 v62, 0, 1, vcc
.LBB61_106:
	s_or_b64 exec, exec, s[18:19]
.LBB61_107:
	v_mul_lo_u32 v1, v9, s12
	v_mul_lo_u32 v30, v8, s13
	v_mad_u64_u32 v[26:27], s[18:19], v8, s12, 0
	v_add3_u32 v27, v27, v30, v1
	s_and_b64 vcc, exec, s[2:3]
	v_lshl_add_u64 v[26:27], s[14:15], 0, v[26:27]
	s_cbranch_vccnz .LBB61_116
; %bb.108:
	global_load_ubyte v1, v[28:29], off
	global_load_ubyte v30, v[26:27], off
	v_mov_b64_e32 v[64:65], 1
	s_waitcnt vmcnt(0)
	v_cmp_eq_u16_e32 vcc, v1, v30
	s_and_saveexec_b64 s[18:19], vcc
	s_cbranch_execz .LBB61_115
; %bb.109:
	s_mov_b64 s[28:29], 1
	s_mov_b64 s[24:25], 0
                                        ; implicit-def: $sgpr26_sgpr27
	s_branch .LBB61_112
.LBB61_110:                             ;   in Loop: Header=BB61_112 Depth=1
	v_lshl_add_u64 v[30:31], v[28:29], 0, s[28:29]
	v_lshl_add_u64 v[32:33], v[26:27], 0, s[28:29]
	global_load_ubyte v1, v[30:31], off
	global_load_ubyte v34, v[32:33], off
	s_add_u32 s30, s28, 1
	s_addc_u32 s31, s29, 0
	s_andn2_b64 s[26:27], s[26:27], exec
	s_waitcnt vmcnt(0)
	v_cmp_ne_u16_e32 vcc, v1, v34
	s_and_b64 s[34:35], vcc, exec
	s_or_b64 s[26:27], s[26:27], s[34:35]
.LBB61_111:                             ;   in Loop: Header=BB61_112 Depth=1
	s_and_b64 s[34:35], exec, s[26:27]
	s_or_b64 s[24:25], s[34:35], s[24:25]
	v_mov_b64_e32 v[30:31], s[28:29]
	s_mov_b64 s[28:29], s[30:31]
	s_andn2_b64 exec, exec, s[24:25]
	s_cbranch_execz .LBB61_114
.LBB61_112:                             ; =>This Inner Loop Header: Depth=1
	s_or_b64 s[26:27], s[26:27], exec
	s_cmp_eq_u64 s[12:13], s[28:29]
	s_cbranch_scc0 .LBB61_110
; %bb.113:                              ;   in Loop: Header=BB61_112 Depth=1
                                        ; implicit-def: $sgpr30_sgpr31
	s_mov_b64 s[28:29], s[12:13]
	s_branch .LBB61_111
.LBB61_114:
	s_or_b64 exec, exec, s[24:25]
	v_cmp_gt_i64_e32 vcc, s[12:13], v[30:31]
	s_mov_b32 s7, 0
	v_mov_b32_e32 v65, s7
	v_cndmask_b32_e64 v64, 0, 1, vcc
.LBB61_115:
	s_or_b64 exec, exec, s[18:19]
.LBB61_116:
	v_mul_lo_u32 v1, v7, s12
	v_mul_lo_u32 v30, v6, s13
	v_mad_u64_u32 v[28:29], s[18:19], v6, s12, 0
	v_add3_u32 v29, v29, v30, v1
	v_mov_b64_e32 v[68:69], 0
	s_and_b64 vcc, exec, s[2:3]
	v_lshl_add_u64 v[28:29], s[14:15], 0, v[28:29]
	v_mov_b64_e32 v[66:67], v[68:69]
	s_cbranch_vccnz .LBB61_125
; %bb.117:
	global_load_ubyte v1, v[26:27], off
	global_load_ubyte v30, v[28:29], off
	v_mov_b64_e32 v[66:67], 1
	s_waitcnt vmcnt(0)
	v_cmp_eq_u16_e32 vcc, v1, v30
	s_and_saveexec_b64 s[18:19], vcc
	s_cbranch_execz .LBB61_124
; %bb.118:
	s_mov_b64 s[28:29], 1
	s_mov_b64 s[24:25], 0
                                        ; implicit-def: $sgpr26_sgpr27
	s_branch .LBB61_121
.LBB61_119:                             ;   in Loop: Header=BB61_121 Depth=1
	v_lshl_add_u64 v[30:31], v[26:27], 0, s[28:29]
	v_lshl_add_u64 v[32:33], v[28:29], 0, s[28:29]
	global_load_ubyte v1, v[30:31], off
	global_load_ubyte v34, v[32:33], off
	s_add_u32 s30, s28, 1
	s_addc_u32 s31, s29, 0
	s_andn2_b64 s[26:27], s[26:27], exec
	s_waitcnt vmcnt(0)
	v_cmp_ne_u16_e32 vcc, v1, v34
	s_and_b64 s[34:35], vcc, exec
	s_or_b64 s[26:27], s[26:27], s[34:35]
.LBB61_120:                             ;   in Loop: Header=BB61_121 Depth=1
	s_and_b64 s[34:35], exec, s[26:27]
	s_or_b64 s[24:25], s[34:35], s[24:25]
	v_mov_b64_e32 v[30:31], s[28:29]
	s_mov_b64 s[28:29], s[30:31]
	s_andn2_b64 exec, exec, s[24:25]
	s_cbranch_execz .LBB61_123
.LBB61_121:                             ; =>This Inner Loop Header: Depth=1
	s_or_b64 s[26:27], s[26:27], exec
	s_cmp_eq_u64 s[12:13], s[28:29]
	s_cbranch_scc0 .LBB61_119
; %bb.122:                              ;   in Loop: Header=BB61_121 Depth=1
                                        ; implicit-def: $sgpr30_sgpr31
	s_mov_b64 s[28:29], s[12:13]
	s_branch .LBB61_120
.LBB61_123:
	s_or_b64 exec, exec, s[24:25]
	v_cmp_gt_i64_e32 vcc, s[12:13], v[30:31]
	s_mov_b32 s7, 0
	v_mov_b32_e32 v67, s7
	v_cndmask_b32_e64 v66, 0, 1, vcc
.LBB61_124:
	s_or_b64 exec, exec, s[18:19]
.LBB61_125:
	v_mul_lo_u32 v1, v5, s12
	v_mul_lo_u32 v30, v4, s13
	v_mad_u64_u32 v[26:27], s[18:19], v4, s12, 0
	v_add3_u32 v27, v27, v30, v1
	s_and_b64 vcc, exec, s[2:3]
	v_lshl_add_u64 v[26:27], s[14:15], 0, v[26:27]
	s_cbranch_vccnz .LBB61_134
; %bb.126:
	global_load_ubyte v1, v[28:29], off
	global_load_ubyte v30, v[26:27], off
	v_mov_b64_e32 v[68:69], 1
	s_waitcnt vmcnt(0)
	v_cmp_eq_u16_e32 vcc, v1, v30
	s_and_saveexec_b64 s[18:19], vcc
	s_cbranch_execz .LBB61_133
; %bb.127:
	s_mov_b64 s[28:29], 1
	s_mov_b64 s[24:25], 0
                                        ; implicit-def: $sgpr26_sgpr27
	s_branch .LBB61_130
.LBB61_128:                             ;   in Loop: Header=BB61_130 Depth=1
	v_lshl_add_u64 v[30:31], v[28:29], 0, s[28:29]
	v_lshl_add_u64 v[32:33], v[26:27], 0, s[28:29]
	global_load_ubyte v1, v[30:31], off
	global_load_ubyte v34, v[32:33], off
	s_add_u32 s30, s28, 1
	s_addc_u32 s31, s29, 0
	s_andn2_b64 s[26:27], s[26:27], exec
	s_waitcnt vmcnt(0)
	v_cmp_ne_u16_e32 vcc, v1, v34
	s_and_b64 s[34:35], vcc, exec
	s_or_b64 s[26:27], s[26:27], s[34:35]
.LBB61_129:                             ;   in Loop: Header=BB61_130 Depth=1
	s_and_b64 s[34:35], exec, s[26:27]
	s_or_b64 s[24:25], s[34:35], s[24:25]
	v_mov_b64_e32 v[30:31], s[28:29]
	s_mov_b64 s[28:29], s[30:31]
	s_andn2_b64 exec, exec, s[24:25]
	s_cbranch_execz .LBB61_132
.LBB61_130:                             ; =>This Inner Loop Header: Depth=1
	s_or_b64 s[26:27], s[26:27], exec
	s_cmp_eq_u64 s[12:13], s[28:29]
	s_cbranch_scc0 .LBB61_128
; %bb.131:                              ;   in Loop: Header=BB61_130 Depth=1
                                        ; implicit-def: $sgpr30_sgpr31
	s_mov_b64 s[28:29], s[12:13]
	s_branch .LBB61_129
.LBB61_132:
	s_or_b64 exec, exec, s[24:25]
	v_cmp_gt_i64_e32 vcc, s[12:13], v[30:31]
	s_mov_b32 s7, 0
	v_mov_b32_e32 v69, s7
	v_cndmask_b32_e64 v68, 0, 1, vcc
.LBB61_133:
	s_or_b64 exec, exec, s[18:19]
.LBB61_134:
	s_and_b64 vcc, exec, s[2:3]
	s_cbranch_vccnz .LBB61_141
; %bb.135:
	v_mov_b64_e32 v[28:29], s[14:15]
	v_mad_u64_u32 v[28:29], s[18:19], v2, s12, v[28:29]
	v_mul_lo_u32 v1, v2, s13
	v_mul_lo_u32 v30, v3, s12
	v_add3_u32 v29, v30, v29, v1
	global_load_ubyte v1, v[26:27], off
	global_load_ubyte v30, v[28:29], off
	v_mov_b64_e32 v[70:71], 1
	s_waitcnt vmcnt(0)
	v_cmp_eq_u16_e32 vcc, v1, v30
	s_and_saveexec_b64 s[18:19], vcc
	s_cbranch_execz .LBB61_143
; %bb.136:
	s_mov_b64 s[28:29], 1
	s_mov_b64 s[24:25], 0
                                        ; implicit-def: $sgpr26_sgpr27
	s_branch .LBB61_139
.LBB61_137:                             ;   in Loop: Header=BB61_139 Depth=1
	v_lshl_add_u64 v[30:31], v[26:27], 0, s[28:29]
	v_lshl_add_u64 v[32:33], v[28:29], 0, s[28:29]
	global_load_ubyte v1, v[30:31], off
	global_load_ubyte v34, v[32:33], off
	s_add_u32 s30, s28, 1
	s_addc_u32 s31, s29, 0
	s_andn2_b64 s[26:27], s[26:27], exec
	s_waitcnt vmcnt(0)
	v_cmp_ne_u16_e32 vcc, v1, v34
	s_and_b64 s[34:35], vcc, exec
	s_or_b64 s[26:27], s[26:27], s[34:35]
.LBB61_138:                             ;   in Loop: Header=BB61_139 Depth=1
	s_and_b64 s[34:35], exec, s[26:27]
	s_or_b64 s[24:25], s[34:35], s[24:25]
	v_mov_b64_e32 v[30:31], s[28:29]
	s_mov_b64 s[28:29], s[30:31]
	s_andn2_b64 exec, exec, s[24:25]
	s_cbranch_execz .LBB61_142
.LBB61_139:                             ; =>This Inner Loop Header: Depth=1
	s_or_b64 s[26:27], s[26:27], exec
	s_cmp_eq_u64 s[12:13], s[28:29]
	s_cbranch_scc0 .LBB61_137
; %bb.140:                              ;   in Loop: Header=BB61_139 Depth=1
                                        ; implicit-def: $sgpr30_sgpr31
	s_mov_b64 s[28:29], s[12:13]
	s_branch .LBB61_138
.LBB61_141:
	v_mov_b64_e32 v[70:71], 0
	s_branch .LBB61_144
.LBB61_142:
	s_or_b64 exec, exec, s[24:25]
	v_cmp_gt_i64_e32 vcc, s[12:13], v[30:31]
	s_mov_b32 s7, 0
	v_mov_b32_e32 v71, s7
	v_cndmask_b32_e64 v70, 0, 1, vcc
.LBB61_143:
	s_or_b64 exec, exec, s[18:19]
.LBB61_144:
	v_cmp_ne_u32_e32 vcc, 0, v0
	s_waitcnt lgkmcnt(0)
	v_mov_b64_e32 v[30:31], s[20:21]
	s_waitcnt lgkmcnt(0)
	; wave barrier
	s_and_saveexec_b64 s[18:19], vcc
	s_cbranch_execz .LBB61_146
; %bb.145:
	v_add_u32_e32 v1, -8, v48
	ds_read_b64 v[30:31], v1
.LBB61_146:
	s_or_b64 exec, exec, s[18:19]
	s_mov_b64 s[26:27], 0
	s_and_b64 vcc, exec, s[2:3]
	s_mov_b64 s[24:25], 0
	s_cbranch_vccnz .LBB61_155
; %bb.147:
	v_mov_b64_e32 v[28:29], s[14:15]
	v_mad_u64_u32 v[26:27], s[2:3], v2, s12, v[28:29]
	v_mul_lo_u32 v1, v2, s13
	v_mul_lo_u32 v32, v3, s12
	v_add3_u32 v27, v32, v27, v1
	s_waitcnt lgkmcnt(0)
	v_mad_u64_u32 v[28:29], s[2:3], v30, s12, v[28:29]
	v_mul_lo_u32 v1, v30, s13
	v_mul_lo_u32 v30, v31, s12
	v_add3_u32 v29, v30, v29, v1
	global_load_ubyte v1, v[26:27], off
	global_load_ubyte v30, v[28:29], off
	s_mov_b64 s[24:25], -1
	s_waitcnt vmcnt(0)
	v_cmp_eq_u16_e32 vcc, v1, v30
	s_and_saveexec_b64 s[2:3], vcc
	s_cbranch_execz .LBB61_154
; %bb.148:
	s_mov_b64 s[28:29], 1
	s_mov_b64 s[18:19], 0
                                        ; implicit-def: $sgpr24_sgpr25
	s_branch .LBB61_151
.LBB61_149:                             ;   in Loop: Header=BB61_151 Depth=1
	v_lshl_add_u64 v[30:31], v[26:27], 0, s[28:29]
	v_lshl_add_u64 v[32:33], v[28:29], 0, s[28:29]
	global_load_ubyte v1, v[30:31], off
	global_load_ubyte v34, v[32:33], off
	s_add_u32 s30, s28, 1
	s_addc_u32 s31, s29, 0
	s_andn2_b64 s[24:25], s[24:25], exec
	s_waitcnt vmcnt(0)
	v_cmp_ne_u16_e32 vcc, v1, v34
	s_and_b64 s[34:35], vcc, exec
	s_or_b64 s[24:25], s[24:25], s[34:35]
.LBB61_150:                             ;   in Loop: Header=BB61_151 Depth=1
	s_and_b64 s[34:35], exec, s[24:25]
	s_or_b64 s[18:19], s[34:35], s[18:19]
	v_mov_b64_e32 v[30:31], s[28:29]
	s_mov_b64 s[28:29], s[30:31]
	s_andn2_b64 exec, exec, s[18:19]
	s_cbranch_execz .LBB61_153
.LBB61_151:                             ; =>This Inner Loop Header: Depth=1
	s_or_b64 s[24:25], s[24:25], exec
	s_cmp_eq_u64 s[12:13], s[28:29]
	s_cbranch_scc0 .LBB61_149
; %bb.152:                              ;   in Loop: Header=BB61_151 Depth=1
                                        ; implicit-def: $sgpr30_sgpr31
	s_mov_b64 s[28:29], s[12:13]
	s_branch .LBB61_150
.LBB61_153:
	s_or_b64 exec, exec, s[18:19]
	v_cmp_gt_i64_e32 vcc, s[12:13], v[30:31]
	s_orn2_b64 s[24:25], vcc, exec
.LBB61_154:
	s_or_b64 exec, exec, s[2:3]
.LBB61_155:
	s_mov_b64 s[18:19], -1
	s_and_b64 vcc, exec, s[26:27]
	s_cbranch_vccz .LBB61_41
.LBB61_156:
	s_mul_i32 s7, s22, 0xfffffcc0
	s_add_i32 s7, s7, s10
	v_mad_u32_u24 v26, v0, 13, 12
	v_cmp_gt_i64_e64 s[2:3], s[12:13], 0
	v_cmp_gt_u32_e32 vcc, s7, v26
	v_mul_u32_u24_e32 v1, 13, v0
	v_cndmask_b32_e64 v26, 0, 1, s[2:3]
	v_cmp_ne_u32_e64 s[2:3], 1, v26
	v_mov_b64_e32 v[50:51], v[44:45]
	ds_write_b64 v48, v[44:45]
	s_and_saveexec_b64 s[22:23], vcc
	s_cbranch_execz .LBB61_167
; %bb.157:
	s_and_b64 vcc, exec, s[2:3]
	s_cbranch_vccnz .LBB61_164
; %bb.158:
	v_mov_b64_e32 v[28:29], s[14:15]
	v_mad_u64_u32 v[26:27], s[24:25], v44, s12, v[28:29]
	s_waitcnt lgkmcnt(0)
	v_mul_lo_u32 v30, v44, s13
	v_mul_lo_u32 v31, v45, s12
	v_add3_u32 v27, v31, v27, v30
	v_mad_u64_u32 v[28:29], s[24:25], v24, s12, v[28:29]
	v_mul_lo_u32 v30, v24, s13
	v_mul_lo_u32 v31, v25, s12
	v_add3_u32 v29, v31, v29, v30
	global_load_ubyte v30, v[26:27], off
	global_load_ubyte v31, v[28:29], off
	v_mov_b64_e32 v[50:51], 1
	s_waitcnt vmcnt(0)
	v_cmp_eq_u16_e32 vcc, v30, v31
	s_and_saveexec_b64 s[24:25], vcc
	s_cbranch_execz .LBB61_166
; %bb.159:
	s_mov_b64 s[30:31], 1
	s_mov_b64 s[26:27], 0
                                        ; implicit-def: $sgpr28_sgpr29
	s_branch .LBB61_162
.LBB61_160:                             ;   in Loop: Header=BB61_162 Depth=1
	v_lshl_add_u64 v[30:31], v[26:27], 0, s[30:31]
	v_lshl_add_u64 v[32:33], v[28:29], 0, s[30:31]
	global_load_ubyte v34, v[30:31], off
	global_load_ubyte v35, v[32:33], off
	s_add_u32 s34, s30, 1
	s_addc_u32 s35, s31, 0
	s_andn2_b64 s[28:29], s[28:29], exec
	s_waitcnt vmcnt(0)
	v_cmp_ne_u16_e32 vcc, v34, v35
	s_and_b64 s[36:37], vcc, exec
	s_or_b64 s[28:29], s[28:29], s[36:37]
.LBB61_161:                             ;   in Loop: Header=BB61_162 Depth=1
	s_and_b64 s[36:37], exec, s[28:29]
	s_or_b64 s[26:27], s[36:37], s[26:27]
	v_mov_b64_e32 v[30:31], s[30:31]
	s_mov_b64 s[30:31], s[34:35]
	s_andn2_b64 exec, exec, s[26:27]
	s_cbranch_execz .LBB61_165
.LBB61_162:                             ; =>This Inner Loop Header: Depth=1
	s_or_b64 s[28:29], s[28:29], exec
	s_cmp_eq_u64 s[12:13], s[30:31]
	s_cbranch_scc0 .LBB61_160
; %bb.163:                              ;   in Loop: Header=BB61_162 Depth=1
                                        ; implicit-def: $sgpr34_sgpr35
	s_mov_b64 s[30:31], s[12:13]
	s_branch .LBB61_161
.LBB61_164:
	v_mov_b64_e32 v[50:51], 0
	s_branch .LBB61_167
.LBB61_165:
	s_or_b64 exec, exec, s[26:27]
	v_cmp_gt_i64_e32 vcc, s[12:13], v[30:31]
	s_mov_b32 s26, 0
	v_mov_b32_e32 v51, s26
	v_cndmask_b32_e64 v50, 0, 1, vcc
.LBB61_166:
	s_or_b64 exec, exec, s[24:25]
.LBB61_167:
	s_or_b64 exec, exec, s[22:23]
	v_add_u32_e32 v26, 11, v1
	v_cmp_gt_u32_e32 vcc, s7, v26
	v_mov_b64_e32 v[52:53], v[24:25]
	s_and_saveexec_b64 s[22:23], vcc
	s_cbranch_execz .LBB61_178
; %bb.168:
	s_and_b64 vcc, exec, s[2:3]
	s_cbranch_vccnz .LBB61_175
; %bb.169:
	v_mov_b64_e32 v[28:29], s[14:15]
	v_mad_u64_u32 v[26:27], s[24:25], v24, s12, v[28:29]
	s_waitcnt lgkmcnt(0)
	v_mul_lo_u32 v30, v24, s13
	v_mul_lo_u32 v31, v25, s12
	v_add3_u32 v27, v31, v27, v30
	v_mad_u64_u32 v[28:29], s[24:25], v22, s12, v[28:29]
	v_mul_lo_u32 v30, v22, s13
	v_mul_lo_u32 v31, v23, s12
	v_add3_u32 v29, v31, v29, v30
	global_load_ubyte v30, v[26:27], off
	global_load_ubyte v31, v[28:29], off
	v_mov_b64_e32 v[52:53], 1
	s_waitcnt vmcnt(0)
	v_cmp_eq_u16_e32 vcc, v30, v31
	s_and_saveexec_b64 s[24:25], vcc
	s_cbranch_execz .LBB61_177
; %bb.170:
	s_mov_b64 s[30:31], 1
	s_mov_b64 s[26:27], 0
                                        ; implicit-def: $sgpr28_sgpr29
	s_branch .LBB61_173
.LBB61_171:                             ;   in Loop: Header=BB61_173 Depth=1
	v_lshl_add_u64 v[30:31], v[26:27], 0, s[30:31]
	v_lshl_add_u64 v[32:33], v[28:29], 0, s[30:31]
	global_load_ubyte v34, v[30:31], off
	global_load_ubyte v35, v[32:33], off
	s_add_u32 s34, s30, 1
	s_addc_u32 s35, s31, 0
	s_andn2_b64 s[28:29], s[28:29], exec
	s_waitcnt vmcnt(0)
	v_cmp_ne_u16_e32 vcc, v34, v35
	s_and_b64 s[36:37], vcc, exec
	s_or_b64 s[28:29], s[28:29], s[36:37]
.LBB61_172:                             ;   in Loop: Header=BB61_173 Depth=1
	s_and_b64 s[36:37], exec, s[28:29]
	s_or_b64 s[26:27], s[36:37], s[26:27]
	v_mov_b64_e32 v[30:31], s[30:31]
	s_mov_b64 s[30:31], s[34:35]
	s_andn2_b64 exec, exec, s[26:27]
	s_cbranch_execz .LBB61_176
.LBB61_173:                             ; =>This Inner Loop Header: Depth=1
	s_or_b64 s[28:29], s[28:29], exec
	s_cmp_eq_u64 s[12:13], s[30:31]
	s_cbranch_scc0 .LBB61_171
; %bb.174:                              ;   in Loop: Header=BB61_173 Depth=1
                                        ; implicit-def: $sgpr34_sgpr35
	s_mov_b64 s[30:31], s[12:13]
	s_branch .LBB61_172
.LBB61_175:
	v_mov_b64_e32 v[52:53], 0
	s_branch .LBB61_178
.LBB61_176:
	s_or_b64 exec, exec, s[26:27]
	v_cmp_gt_i64_e32 vcc, s[12:13], v[30:31]
	s_mov_b32 s26, 0
	v_mov_b32_e32 v53, s26
	v_cndmask_b32_e64 v52, 0, 1, vcc
.LBB61_177:
	s_or_b64 exec, exec, s[24:25]
.LBB61_178:
	s_or_b64 exec, exec, s[22:23]
	v_add_u32_e32 v26, 10, v1
	v_cmp_gt_u32_e32 vcc, s7, v26
	v_mov_b64_e32 v[46:47], v[22:23]
	s_and_saveexec_b64 s[22:23], vcc
	s_cbranch_execz .LBB61_189
; %bb.179:
	s_and_b64 vcc, exec, s[2:3]
	s_cbranch_vccnz .LBB61_186
; %bb.180:
	v_mov_b64_e32 v[28:29], s[14:15]
	v_mad_u64_u32 v[26:27], s[24:25], v22, s12, v[28:29]
	s_waitcnt lgkmcnt(0)
	v_mul_lo_u32 v30, v22, s13
	v_mul_lo_u32 v31, v23, s12
	v_add3_u32 v27, v31, v27, v30
	v_mad_u64_u32 v[28:29], s[24:25], v20, s12, v[28:29]
	v_mul_lo_u32 v30, v20, s13
	v_mul_lo_u32 v31, v21, s12
	v_add3_u32 v29, v31, v29, v30
	global_load_ubyte v30, v[26:27], off
	global_load_ubyte v31, v[28:29], off
	v_mov_b64_e32 v[46:47], 1
	s_waitcnt vmcnt(0)
	v_cmp_eq_u16_e32 vcc, v30, v31
	s_and_saveexec_b64 s[24:25], vcc
	s_cbranch_execz .LBB61_188
; %bb.181:
	s_mov_b64 s[30:31], 1
	s_mov_b64 s[26:27], 0
                                        ; implicit-def: $sgpr28_sgpr29
	s_branch .LBB61_184
.LBB61_182:                             ;   in Loop: Header=BB61_184 Depth=1
	v_lshl_add_u64 v[30:31], v[26:27], 0, s[30:31]
	v_lshl_add_u64 v[32:33], v[28:29], 0, s[30:31]
	global_load_ubyte v34, v[30:31], off
	global_load_ubyte v35, v[32:33], off
	s_add_u32 s34, s30, 1
	s_addc_u32 s35, s31, 0
	s_andn2_b64 s[28:29], s[28:29], exec
	s_waitcnt vmcnt(0)
	v_cmp_ne_u16_e32 vcc, v34, v35
	s_and_b64 s[36:37], vcc, exec
	s_or_b64 s[28:29], s[28:29], s[36:37]
.LBB61_183:                             ;   in Loop: Header=BB61_184 Depth=1
	s_and_b64 s[36:37], exec, s[28:29]
	s_or_b64 s[26:27], s[36:37], s[26:27]
	v_mov_b64_e32 v[30:31], s[30:31]
	s_mov_b64 s[30:31], s[34:35]
	s_andn2_b64 exec, exec, s[26:27]
	s_cbranch_execz .LBB61_187
.LBB61_184:                             ; =>This Inner Loop Header: Depth=1
	s_or_b64 s[28:29], s[28:29], exec
	s_cmp_eq_u64 s[12:13], s[30:31]
	s_cbranch_scc0 .LBB61_182
; %bb.185:                              ;   in Loop: Header=BB61_184 Depth=1
                                        ; implicit-def: $sgpr34_sgpr35
	s_mov_b64 s[30:31], s[12:13]
	s_branch .LBB61_183
.LBB61_186:
	v_mov_b64_e32 v[46:47], 0
	s_branch .LBB61_189
.LBB61_187:
	s_or_b64 exec, exec, s[26:27]
	v_cmp_gt_i64_e32 vcc, s[12:13], v[30:31]
	s_mov_b32 s26, 0
	v_mov_b32_e32 v47, s26
	v_cndmask_b32_e64 v46, 0, 1, vcc
.LBB61_188:
	s_or_b64 exec, exec, s[24:25]
.LBB61_189:
	s_or_b64 exec, exec, s[22:23]
	v_add_u32_e32 v26, 9, v1
	v_cmp_gt_u32_e32 vcc, s7, v26
	v_mov_b64_e32 v[54:55], v[20:21]
	s_and_saveexec_b64 s[22:23], vcc
	s_cbranch_execz .LBB61_200
; %bb.190:
	s_and_b64 vcc, exec, s[2:3]
	s_cbranch_vccnz .LBB61_197
; %bb.191:
	v_mov_b64_e32 v[28:29], s[14:15]
	v_mad_u64_u32 v[26:27], s[24:25], v20, s12, v[28:29]
	s_waitcnt lgkmcnt(0)
	v_mul_lo_u32 v30, v20, s13
	v_mul_lo_u32 v31, v21, s12
	v_add3_u32 v27, v31, v27, v30
	v_mad_u64_u32 v[28:29], s[24:25], v18, s12, v[28:29]
	v_mul_lo_u32 v30, v18, s13
	v_mul_lo_u32 v31, v19, s12
	v_add3_u32 v29, v31, v29, v30
	global_load_ubyte v30, v[26:27], off
	global_load_ubyte v31, v[28:29], off
	v_mov_b64_e32 v[54:55], 1
	s_waitcnt vmcnt(0)
	v_cmp_eq_u16_e32 vcc, v30, v31
	s_and_saveexec_b64 s[24:25], vcc
	s_cbranch_execz .LBB61_199
; %bb.192:
	s_mov_b64 s[30:31], 1
	s_mov_b64 s[26:27], 0
                                        ; implicit-def: $sgpr28_sgpr29
	s_branch .LBB61_195
.LBB61_193:                             ;   in Loop: Header=BB61_195 Depth=1
	v_lshl_add_u64 v[30:31], v[26:27], 0, s[30:31]
	v_lshl_add_u64 v[32:33], v[28:29], 0, s[30:31]
	global_load_ubyte v34, v[30:31], off
	global_load_ubyte v35, v[32:33], off
	s_add_u32 s34, s30, 1
	s_addc_u32 s35, s31, 0
	s_andn2_b64 s[28:29], s[28:29], exec
	s_waitcnt vmcnt(0)
	v_cmp_ne_u16_e32 vcc, v34, v35
	s_and_b64 s[36:37], vcc, exec
	s_or_b64 s[28:29], s[28:29], s[36:37]
.LBB61_194:                             ;   in Loop: Header=BB61_195 Depth=1
	s_and_b64 s[36:37], exec, s[28:29]
	s_or_b64 s[26:27], s[36:37], s[26:27]
	v_mov_b64_e32 v[30:31], s[30:31]
	s_mov_b64 s[30:31], s[34:35]
	s_andn2_b64 exec, exec, s[26:27]
	s_cbranch_execz .LBB61_198
.LBB61_195:                             ; =>This Inner Loop Header: Depth=1
	s_or_b64 s[28:29], s[28:29], exec
	s_cmp_eq_u64 s[12:13], s[30:31]
	s_cbranch_scc0 .LBB61_193
; %bb.196:                              ;   in Loop: Header=BB61_195 Depth=1
                                        ; implicit-def: $sgpr34_sgpr35
	s_mov_b64 s[30:31], s[12:13]
	s_branch .LBB61_194
.LBB61_197:
	v_mov_b64_e32 v[54:55], 0
	s_branch .LBB61_200
.LBB61_198:
	s_or_b64 exec, exec, s[26:27]
	v_cmp_gt_i64_e32 vcc, s[12:13], v[30:31]
	s_mov_b32 s26, 0
	v_mov_b32_e32 v55, s26
	v_cndmask_b32_e64 v54, 0, 1, vcc
.LBB61_199:
	s_or_b64 exec, exec, s[24:25]
.LBB61_200:
	s_or_b64 exec, exec, s[22:23]
	v_add_u32_e32 v26, 8, v1
	v_cmp_gt_u32_e32 vcc, s7, v26
	v_mov_b64_e32 v[56:57], v[18:19]
	s_and_saveexec_b64 s[22:23], vcc
	s_cbranch_execz .LBB61_211
; %bb.201:
	s_and_b64 vcc, exec, s[2:3]
	s_cbranch_vccnz .LBB61_208
; %bb.202:
	v_mov_b64_e32 v[28:29], s[14:15]
	v_mad_u64_u32 v[26:27], s[24:25], v18, s12, v[28:29]
	s_waitcnt lgkmcnt(0)
	v_mul_lo_u32 v30, v18, s13
	v_mul_lo_u32 v31, v19, s12
	v_add3_u32 v27, v31, v27, v30
	v_mad_u64_u32 v[28:29], s[24:25], v16, s12, v[28:29]
	v_mul_lo_u32 v30, v16, s13
	v_mul_lo_u32 v31, v17, s12
	v_add3_u32 v29, v31, v29, v30
	global_load_ubyte v30, v[26:27], off
	global_load_ubyte v31, v[28:29], off
	v_mov_b64_e32 v[56:57], 1
	s_waitcnt vmcnt(0)
	v_cmp_eq_u16_e32 vcc, v30, v31
	s_and_saveexec_b64 s[24:25], vcc
	s_cbranch_execz .LBB61_210
; %bb.203:
	s_mov_b64 s[30:31], 1
	s_mov_b64 s[26:27], 0
                                        ; implicit-def: $sgpr28_sgpr29
	s_branch .LBB61_206
.LBB61_204:                             ;   in Loop: Header=BB61_206 Depth=1
	v_lshl_add_u64 v[30:31], v[26:27], 0, s[30:31]
	v_lshl_add_u64 v[32:33], v[28:29], 0, s[30:31]
	global_load_ubyte v34, v[30:31], off
	global_load_ubyte v35, v[32:33], off
	s_add_u32 s34, s30, 1
	s_addc_u32 s35, s31, 0
	s_andn2_b64 s[28:29], s[28:29], exec
	s_waitcnt vmcnt(0)
	v_cmp_ne_u16_e32 vcc, v34, v35
	s_and_b64 s[36:37], vcc, exec
	s_or_b64 s[28:29], s[28:29], s[36:37]
.LBB61_205:                             ;   in Loop: Header=BB61_206 Depth=1
	s_and_b64 s[36:37], exec, s[28:29]
	s_or_b64 s[26:27], s[36:37], s[26:27]
	v_mov_b64_e32 v[30:31], s[30:31]
	s_mov_b64 s[30:31], s[34:35]
	s_andn2_b64 exec, exec, s[26:27]
	s_cbranch_execz .LBB61_209
.LBB61_206:                             ; =>This Inner Loop Header: Depth=1
	s_or_b64 s[28:29], s[28:29], exec
	s_cmp_eq_u64 s[12:13], s[30:31]
	s_cbranch_scc0 .LBB61_204
; %bb.207:                              ;   in Loop: Header=BB61_206 Depth=1
                                        ; implicit-def: $sgpr34_sgpr35
	s_mov_b64 s[30:31], s[12:13]
	s_branch .LBB61_205
.LBB61_208:
	v_mov_b64_e32 v[56:57], 0
	s_branch .LBB61_211
.LBB61_209:
	s_or_b64 exec, exec, s[26:27]
	v_cmp_gt_i64_e32 vcc, s[12:13], v[30:31]
	s_mov_b32 s26, 0
	v_mov_b32_e32 v57, s26
	v_cndmask_b32_e64 v56, 0, 1, vcc
.LBB61_210:
	s_or_b64 exec, exec, s[24:25]
.LBB61_211:
	s_or_b64 exec, exec, s[22:23]
	v_add_u32_e32 v26, 7, v1
	v_cmp_gt_u32_e32 vcc, s7, v26
	v_mov_b64_e32 v[58:59], v[16:17]
	s_and_saveexec_b64 s[22:23], vcc
	s_cbranch_execz .LBB61_222
; %bb.212:
	s_and_b64 vcc, exec, s[2:3]
	s_cbranch_vccnz .LBB61_219
; %bb.213:
	v_mov_b64_e32 v[28:29], s[14:15]
	v_mad_u64_u32 v[26:27], s[24:25], v16, s12, v[28:29]
	s_waitcnt lgkmcnt(0)
	v_mul_lo_u32 v30, v16, s13
	v_mul_lo_u32 v31, v17, s12
	v_add3_u32 v27, v31, v27, v30
	v_mad_u64_u32 v[28:29], s[24:25], v14, s12, v[28:29]
	v_mul_lo_u32 v30, v14, s13
	v_mul_lo_u32 v31, v15, s12
	v_add3_u32 v29, v31, v29, v30
	global_load_ubyte v30, v[26:27], off
	global_load_ubyte v31, v[28:29], off
	v_mov_b64_e32 v[58:59], 1
	s_waitcnt vmcnt(0)
	v_cmp_eq_u16_e32 vcc, v30, v31
	s_and_saveexec_b64 s[24:25], vcc
	s_cbranch_execz .LBB61_221
; %bb.214:
	s_mov_b64 s[30:31], 1
	s_mov_b64 s[26:27], 0
                                        ; implicit-def: $sgpr28_sgpr29
	s_branch .LBB61_217
.LBB61_215:                             ;   in Loop: Header=BB61_217 Depth=1
	v_lshl_add_u64 v[30:31], v[26:27], 0, s[30:31]
	v_lshl_add_u64 v[32:33], v[28:29], 0, s[30:31]
	global_load_ubyte v34, v[30:31], off
	global_load_ubyte v35, v[32:33], off
	s_add_u32 s34, s30, 1
	s_addc_u32 s35, s31, 0
	s_andn2_b64 s[28:29], s[28:29], exec
	s_waitcnt vmcnt(0)
	v_cmp_ne_u16_e32 vcc, v34, v35
	s_and_b64 s[36:37], vcc, exec
	s_or_b64 s[28:29], s[28:29], s[36:37]
.LBB61_216:                             ;   in Loop: Header=BB61_217 Depth=1
	s_and_b64 s[36:37], exec, s[28:29]
	s_or_b64 s[26:27], s[36:37], s[26:27]
	v_mov_b64_e32 v[30:31], s[30:31]
	s_mov_b64 s[30:31], s[34:35]
	s_andn2_b64 exec, exec, s[26:27]
	s_cbranch_execz .LBB61_220
.LBB61_217:                             ; =>This Inner Loop Header: Depth=1
	s_or_b64 s[28:29], s[28:29], exec
	s_cmp_eq_u64 s[12:13], s[30:31]
	s_cbranch_scc0 .LBB61_215
; %bb.218:                              ;   in Loop: Header=BB61_217 Depth=1
                                        ; implicit-def: $sgpr34_sgpr35
	s_mov_b64 s[30:31], s[12:13]
	s_branch .LBB61_216
.LBB61_219:
	v_mov_b64_e32 v[58:59], 0
	s_branch .LBB61_222
.LBB61_220:
	s_or_b64 exec, exec, s[26:27]
	v_cmp_gt_i64_e32 vcc, s[12:13], v[30:31]
	s_mov_b32 s26, 0
	v_mov_b32_e32 v59, s26
	v_cndmask_b32_e64 v58, 0, 1, vcc
.LBB61_221:
	s_or_b64 exec, exec, s[24:25]
.LBB61_222:
	s_or_b64 exec, exec, s[22:23]
	v_add_u32_e32 v26, 6, v1
	v_cmp_gt_u32_e32 vcc, s7, v26
	v_mov_b64_e32 v[60:61], v[14:15]
	s_and_saveexec_b64 s[22:23], vcc
	s_cbranch_execz .LBB61_233
; %bb.223:
	s_and_b64 vcc, exec, s[2:3]
	s_cbranch_vccnz .LBB61_230
; %bb.224:
	v_mov_b64_e32 v[28:29], s[14:15]
	v_mad_u64_u32 v[26:27], s[24:25], v14, s12, v[28:29]
	s_waitcnt lgkmcnt(0)
	v_mul_lo_u32 v30, v14, s13
	v_mul_lo_u32 v31, v15, s12
	v_add3_u32 v27, v31, v27, v30
	v_mad_u64_u32 v[28:29], s[24:25], v12, s12, v[28:29]
	v_mul_lo_u32 v30, v12, s13
	v_mul_lo_u32 v31, v13, s12
	v_add3_u32 v29, v31, v29, v30
	global_load_ubyte v30, v[26:27], off
	global_load_ubyte v31, v[28:29], off
	v_mov_b64_e32 v[60:61], 1
	s_waitcnt vmcnt(0)
	v_cmp_eq_u16_e32 vcc, v30, v31
	s_and_saveexec_b64 s[24:25], vcc
	s_cbranch_execz .LBB61_232
; %bb.225:
	s_mov_b64 s[30:31], 1
	s_mov_b64 s[26:27], 0
                                        ; implicit-def: $sgpr28_sgpr29
	s_branch .LBB61_228
.LBB61_226:                             ;   in Loop: Header=BB61_228 Depth=1
	v_lshl_add_u64 v[30:31], v[26:27], 0, s[30:31]
	v_lshl_add_u64 v[32:33], v[28:29], 0, s[30:31]
	global_load_ubyte v34, v[30:31], off
	global_load_ubyte v35, v[32:33], off
	s_add_u32 s34, s30, 1
	s_addc_u32 s35, s31, 0
	s_andn2_b64 s[28:29], s[28:29], exec
	s_waitcnt vmcnt(0)
	v_cmp_ne_u16_e32 vcc, v34, v35
	s_and_b64 s[36:37], vcc, exec
	s_or_b64 s[28:29], s[28:29], s[36:37]
.LBB61_227:                             ;   in Loop: Header=BB61_228 Depth=1
	s_and_b64 s[36:37], exec, s[28:29]
	s_or_b64 s[26:27], s[36:37], s[26:27]
	v_mov_b64_e32 v[30:31], s[30:31]
	s_mov_b64 s[30:31], s[34:35]
	s_andn2_b64 exec, exec, s[26:27]
	s_cbranch_execz .LBB61_231
.LBB61_228:                             ; =>This Inner Loop Header: Depth=1
	s_or_b64 s[28:29], s[28:29], exec
	s_cmp_eq_u64 s[12:13], s[30:31]
	s_cbranch_scc0 .LBB61_226
; %bb.229:                              ;   in Loop: Header=BB61_228 Depth=1
                                        ; implicit-def: $sgpr34_sgpr35
	s_mov_b64 s[30:31], s[12:13]
	s_branch .LBB61_227
.LBB61_230:
	v_mov_b64_e32 v[60:61], 0
	s_branch .LBB61_233
.LBB61_231:
	s_or_b64 exec, exec, s[26:27]
	v_cmp_gt_i64_e32 vcc, s[12:13], v[30:31]
	s_mov_b32 s26, 0
	v_mov_b32_e32 v61, s26
	v_cndmask_b32_e64 v60, 0, 1, vcc
.LBB61_232:
	s_or_b64 exec, exec, s[24:25]
.LBB61_233:
	s_or_b64 exec, exec, s[22:23]
	v_add_u32_e32 v26, 5, v1
	v_cmp_gt_u32_e32 vcc, s7, v26
	v_mov_b64_e32 v[62:63], v[12:13]
	s_and_saveexec_b64 s[22:23], vcc
	s_cbranch_execz .LBB61_244
; %bb.234:
	s_and_b64 vcc, exec, s[2:3]
	s_cbranch_vccnz .LBB61_241
; %bb.235:
	v_mov_b64_e32 v[28:29], s[14:15]
	v_mad_u64_u32 v[26:27], s[24:25], v12, s12, v[28:29]
	s_waitcnt lgkmcnt(0)
	v_mul_lo_u32 v30, v12, s13
	v_mul_lo_u32 v31, v13, s12
	v_add3_u32 v27, v31, v27, v30
	v_mad_u64_u32 v[28:29], s[24:25], v10, s12, v[28:29]
	v_mul_lo_u32 v30, v10, s13
	v_mul_lo_u32 v31, v11, s12
	v_add3_u32 v29, v31, v29, v30
	global_load_ubyte v30, v[26:27], off
	global_load_ubyte v31, v[28:29], off
	v_mov_b64_e32 v[62:63], 1
	s_waitcnt vmcnt(0)
	v_cmp_eq_u16_e32 vcc, v30, v31
	s_and_saveexec_b64 s[24:25], vcc
	s_cbranch_execz .LBB61_243
; %bb.236:
	s_mov_b64 s[30:31], 1
	s_mov_b64 s[26:27], 0
                                        ; implicit-def: $sgpr28_sgpr29
	s_branch .LBB61_239
.LBB61_237:                             ;   in Loop: Header=BB61_239 Depth=1
	v_lshl_add_u64 v[30:31], v[26:27], 0, s[30:31]
	v_lshl_add_u64 v[32:33], v[28:29], 0, s[30:31]
	global_load_ubyte v34, v[30:31], off
	global_load_ubyte v35, v[32:33], off
	s_add_u32 s34, s30, 1
	s_addc_u32 s35, s31, 0
	s_andn2_b64 s[28:29], s[28:29], exec
	s_waitcnt vmcnt(0)
	v_cmp_ne_u16_e32 vcc, v34, v35
	s_and_b64 s[36:37], vcc, exec
	s_or_b64 s[28:29], s[28:29], s[36:37]
.LBB61_238:                             ;   in Loop: Header=BB61_239 Depth=1
	s_and_b64 s[36:37], exec, s[28:29]
	s_or_b64 s[26:27], s[36:37], s[26:27]
	v_mov_b64_e32 v[30:31], s[30:31]
	s_mov_b64 s[30:31], s[34:35]
	s_andn2_b64 exec, exec, s[26:27]
	s_cbranch_execz .LBB61_242
.LBB61_239:                             ; =>This Inner Loop Header: Depth=1
	s_or_b64 s[28:29], s[28:29], exec
	s_cmp_eq_u64 s[12:13], s[30:31]
	s_cbranch_scc0 .LBB61_237
; %bb.240:                              ;   in Loop: Header=BB61_239 Depth=1
                                        ; implicit-def: $sgpr34_sgpr35
	s_mov_b64 s[30:31], s[12:13]
	s_branch .LBB61_238
.LBB61_241:
	v_mov_b64_e32 v[62:63], 0
	s_branch .LBB61_244
.LBB61_242:
	s_or_b64 exec, exec, s[26:27]
	v_cmp_gt_i64_e32 vcc, s[12:13], v[30:31]
	s_mov_b32 s26, 0
	v_mov_b32_e32 v63, s26
	v_cndmask_b32_e64 v62, 0, 1, vcc
.LBB61_243:
	s_or_b64 exec, exec, s[24:25]
.LBB61_244:
	s_or_b64 exec, exec, s[22:23]
	v_add_u32_e32 v26, 4, v1
	v_cmp_gt_u32_e32 vcc, s7, v26
	v_mov_b64_e32 v[64:65], v[10:11]
	s_and_saveexec_b64 s[22:23], vcc
	s_cbranch_execz .LBB61_255
; %bb.245:
	s_and_b64 vcc, exec, s[2:3]
	s_cbranch_vccnz .LBB61_252
; %bb.246:
	v_mov_b64_e32 v[28:29], s[14:15]
	v_mad_u64_u32 v[26:27], s[24:25], v10, s12, v[28:29]
	s_waitcnt lgkmcnt(0)
	v_mul_lo_u32 v30, v10, s13
	v_mul_lo_u32 v31, v11, s12
	v_add3_u32 v27, v31, v27, v30
	v_mad_u64_u32 v[28:29], s[24:25], v8, s12, v[28:29]
	v_mul_lo_u32 v30, v8, s13
	v_mul_lo_u32 v31, v9, s12
	v_add3_u32 v29, v31, v29, v30
	global_load_ubyte v30, v[26:27], off
	global_load_ubyte v31, v[28:29], off
	v_mov_b64_e32 v[64:65], 1
	s_waitcnt vmcnt(0)
	v_cmp_eq_u16_e32 vcc, v30, v31
	s_and_saveexec_b64 s[24:25], vcc
	s_cbranch_execz .LBB61_254
; %bb.247:
	s_mov_b64 s[30:31], 1
	s_mov_b64 s[26:27], 0
                                        ; implicit-def: $sgpr28_sgpr29
	s_branch .LBB61_250
.LBB61_248:                             ;   in Loop: Header=BB61_250 Depth=1
	v_lshl_add_u64 v[30:31], v[26:27], 0, s[30:31]
	v_lshl_add_u64 v[32:33], v[28:29], 0, s[30:31]
	global_load_ubyte v34, v[30:31], off
	global_load_ubyte v35, v[32:33], off
	s_add_u32 s34, s30, 1
	s_addc_u32 s35, s31, 0
	s_andn2_b64 s[28:29], s[28:29], exec
	s_waitcnt vmcnt(0)
	v_cmp_ne_u16_e32 vcc, v34, v35
	s_and_b64 s[36:37], vcc, exec
	s_or_b64 s[28:29], s[28:29], s[36:37]
.LBB61_249:                             ;   in Loop: Header=BB61_250 Depth=1
	s_and_b64 s[36:37], exec, s[28:29]
	s_or_b64 s[26:27], s[36:37], s[26:27]
	v_mov_b64_e32 v[30:31], s[30:31]
	s_mov_b64 s[30:31], s[34:35]
	s_andn2_b64 exec, exec, s[26:27]
	s_cbranch_execz .LBB61_253
.LBB61_250:                             ; =>This Inner Loop Header: Depth=1
	s_or_b64 s[28:29], s[28:29], exec
	s_cmp_eq_u64 s[12:13], s[30:31]
	s_cbranch_scc0 .LBB61_248
; %bb.251:                              ;   in Loop: Header=BB61_250 Depth=1
                                        ; implicit-def: $sgpr34_sgpr35
	s_mov_b64 s[30:31], s[12:13]
	s_branch .LBB61_249
.LBB61_252:
	v_mov_b64_e32 v[64:65], 0
	s_branch .LBB61_255
.LBB61_253:
	s_or_b64 exec, exec, s[26:27]
	v_cmp_gt_i64_e32 vcc, s[12:13], v[30:31]
	s_mov_b32 s26, 0
	v_mov_b32_e32 v65, s26
	v_cndmask_b32_e64 v64, 0, 1, vcc
.LBB61_254:
	s_or_b64 exec, exec, s[24:25]
.LBB61_255:
	s_or_b64 exec, exec, s[22:23]
	v_add_u32_e32 v26, 3, v1
	v_cmp_gt_u32_e32 vcc, s7, v26
	v_mov_b64_e32 v[66:67], v[8:9]
	s_and_saveexec_b64 s[22:23], vcc
	s_cbranch_execz .LBB61_266
; %bb.256:
	s_and_b64 vcc, exec, s[2:3]
	s_cbranch_vccnz .LBB61_263
; %bb.257:
	v_mov_b64_e32 v[28:29], s[14:15]
	v_mad_u64_u32 v[26:27], s[24:25], v8, s12, v[28:29]
	s_waitcnt lgkmcnt(0)
	v_mul_lo_u32 v30, v8, s13
	v_mul_lo_u32 v31, v9, s12
	v_add3_u32 v27, v31, v27, v30
	v_mad_u64_u32 v[28:29], s[24:25], v6, s12, v[28:29]
	v_mul_lo_u32 v30, v6, s13
	v_mul_lo_u32 v31, v7, s12
	v_add3_u32 v29, v31, v29, v30
	global_load_ubyte v30, v[26:27], off
	global_load_ubyte v31, v[28:29], off
	v_mov_b64_e32 v[66:67], 1
	s_waitcnt vmcnt(0)
	v_cmp_eq_u16_e32 vcc, v30, v31
	s_and_saveexec_b64 s[24:25], vcc
	s_cbranch_execz .LBB61_265
; %bb.258:
	s_mov_b64 s[30:31], 1
	s_mov_b64 s[26:27], 0
                                        ; implicit-def: $sgpr28_sgpr29
	s_branch .LBB61_261
.LBB61_259:                             ;   in Loop: Header=BB61_261 Depth=1
	v_lshl_add_u64 v[30:31], v[26:27], 0, s[30:31]
	v_lshl_add_u64 v[32:33], v[28:29], 0, s[30:31]
	global_load_ubyte v34, v[30:31], off
	global_load_ubyte v35, v[32:33], off
	s_add_u32 s34, s30, 1
	s_addc_u32 s35, s31, 0
	s_andn2_b64 s[28:29], s[28:29], exec
	s_waitcnt vmcnt(0)
	v_cmp_ne_u16_e32 vcc, v34, v35
	s_and_b64 s[36:37], vcc, exec
	s_or_b64 s[28:29], s[28:29], s[36:37]
.LBB61_260:                             ;   in Loop: Header=BB61_261 Depth=1
	s_and_b64 s[36:37], exec, s[28:29]
	s_or_b64 s[26:27], s[36:37], s[26:27]
	v_mov_b64_e32 v[30:31], s[30:31]
	s_mov_b64 s[30:31], s[34:35]
	s_andn2_b64 exec, exec, s[26:27]
	s_cbranch_execz .LBB61_264
.LBB61_261:                             ; =>This Inner Loop Header: Depth=1
	s_or_b64 s[28:29], s[28:29], exec
	s_cmp_eq_u64 s[12:13], s[30:31]
	s_cbranch_scc0 .LBB61_259
; %bb.262:                              ;   in Loop: Header=BB61_261 Depth=1
                                        ; implicit-def: $sgpr34_sgpr35
	s_mov_b64 s[30:31], s[12:13]
	s_branch .LBB61_260
.LBB61_263:
	v_mov_b64_e32 v[66:67], 0
	s_branch .LBB61_266
.LBB61_264:
	s_or_b64 exec, exec, s[26:27]
	v_cmp_gt_i64_e32 vcc, s[12:13], v[30:31]
	s_mov_b32 s26, 0
	v_mov_b32_e32 v67, s26
	v_cndmask_b32_e64 v66, 0, 1, vcc
.LBB61_265:
	s_or_b64 exec, exec, s[24:25]
.LBB61_266:
	s_or_b64 exec, exec, s[22:23]
	v_add_u32_e32 v26, 2, v1
	v_cmp_gt_u32_e32 vcc, s7, v26
	v_mov_b64_e32 v[68:69], v[6:7]
	s_and_saveexec_b64 s[22:23], vcc
	s_cbranch_execz .LBB61_277
; %bb.267:
	s_and_b64 vcc, exec, s[2:3]
	s_cbranch_vccnz .LBB61_274
; %bb.268:
	v_mov_b64_e32 v[28:29], s[14:15]
	v_mad_u64_u32 v[26:27], s[24:25], v6, s12, v[28:29]
	s_waitcnt lgkmcnt(0)
	v_mul_lo_u32 v30, v6, s13
	v_mul_lo_u32 v31, v7, s12
	v_add3_u32 v27, v31, v27, v30
	v_mad_u64_u32 v[28:29], s[24:25], v4, s12, v[28:29]
	v_mul_lo_u32 v30, v4, s13
	v_mul_lo_u32 v31, v5, s12
	v_add3_u32 v29, v31, v29, v30
	global_load_ubyte v30, v[26:27], off
	global_load_ubyte v31, v[28:29], off
	v_mov_b64_e32 v[68:69], 1
	s_waitcnt vmcnt(0)
	v_cmp_eq_u16_e32 vcc, v30, v31
	s_and_saveexec_b64 s[24:25], vcc
	s_cbranch_execz .LBB61_276
; %bb.269:
	s_mov_b64 s[30:31], 1
	s_mov_b64 s[26:27], 0
                                        ; implicit-def: $sgpr28_sgpr29
	s_branch .LBB61_272
.LBB61_270:                             ;   in Loop: Header=BB61_272 Depth=1
	v_lshl_add_u64 v[30:31], v[26:27], 0, s[30:31]
	v_lshl_add_u64 v[32:33], v[28:29], 0, s[30:31]
	global_load_ubyte v34, v[30:31], off
	global_load_ubyte v35, v[32:33], off
	s_add_u32 s34, s30, 1
	s_addc_u32 s35, s31, 0
	s_andn2_b64 s[28:29], s[28:29], exec
	s_waitcnt vmcnt(0)
	v_cmp_ne_u16_e32 vcc, v34, v35
	s_and_b64 s[36:37], vcc, exec
	s_or_b64 s[28:29], s[28:29], s[36:37]
.LBB61_271:                             ;   in Loop: Header=BB61_272 Depth=1
	s_and_b64 s[36:37], exec, s[28:29]
	s_or_b64 s[26:27], s[36:37], s[26:27]
	v_mov_b64_e32 v[30:31], s[30:31]
	s_mov_b64 s[30:31], s[34:35]
	s_andn2_b64 exec, exec, s[26:27]
	s_cbranch_execz .LBB61_275
.LBB61_272:                             ; =>This Inner Loop Header: Depth=1
	s_or_b64 s[28:29], s[28:29], exec
	s_cmp_eq_u64 s[12:13], s[30:31]
	s_cbranch_scc0 .LBB61_270
; %bb.273:                              ;   in Loop: Header=BB61_272 Depth=1
                                        ; implicit-def: $sgpr34_sgpr35
	s_mov_b64 s[30:31], s[12:13]
	s_branch .LBB61_271
.LBB61_274:
	v_mov_b64_e32 v[68:69], 0
	s_branch .LBB61_277
.LBB61_275:
	s_or_b64 exec, exec, s[26:27]
	v_cmp_gt_i64_e32 vcc, s[12:13], v[30:31]
	s_mov_b32 s26, 0
	v_mov_b32_e32 v69, s26
	v_cndmask_b32_e64 v68, 0, 1, vcc
.LBB61_276:
	s_or_b64 exec, exec, s[24:25]
.LBB61_277:
	s_or_b64 exec, exec, s[22:23]
	v_add_u32_e32 v26, 1, v1
	v_cmp_gt_u32_e32 vcc, s7, v26
	v_mov_b64_e32 v[70:71], v[4:5]
	s_and_saveexec_b64 s[22:23], vcc
	s_cbranch_execz .LBB61_288
; %bb.278:
	s_and_b64 vcc, exec, s[2:3]
	s_cbranch_vccnz .LBB61_285
; %bb.279:
	v_mov_b64_e32 v[28:29], s[14:15]
	v_mad_u64_u32 v[26:27], s[24:25], v4, s12, v[28:29]
	s_waitcnt lgkmcnt(0)
	v_mul_lo_u32 v30, v4, s13
	v_mul_lo_u32 v31, v5, s12
	v_add3_u32 v27, v31, v27, v30
	v_mad_u64_u32 v[28:29], s[24:25], v2, s12, v[28:29]
	v_mul_lo_u32 v30, v2, s13
	v_mul_lo_u32 v31, v3, s12
	v_add3_u32 v29, v31, v29, v30
	global_load_ubyte v30, v[26:27], off
	global_load_ubyte v31, v[28:29], off
	v_mov_b64_e32 v[70:71], 1
	s_waitcnt vmcnt(0)
	v_cmp_eq_u16_e32 vcc, v30, v31
	s_and_saveexec_b64 s[24:25], vcc
	s_cbranch_execz .LBB61_287
; %bb.280:
	s_mov_b64 s[30:31], 1
	s_mov_b64 s[26:27], 0
                                        ; implicit-def: $sgpr28_sgpr29
	s_branch .LBB61_283
.LBB61_281:                             ;   in Loop: Header=BB61_283 Depth=1
	v_lshl_add_u64 v[30:31], v[26:27], 0, s[30:31]
	v_lshl_add_u64 v[32:33], v[28:29], 0, s[30:31]
	global_load_ubyte v34, v[30:31], off
	global_load_ubyte v35, v[32:33], off
	s_add_u32 s34, s30, 1
	s_addc_u32 s35, s31, 0
	s_andn2_b64 s[28:29], s[28:29], exec
	s_waitcnt vmcnt(0)
	v_cmp_ne_u16_e32 vcc, v34, v35
	s_and_b64 s[36:37], vcc, exec
	s_or_b64 s[28:29], s[28:29], s[36:37]
.LBB61_282:                             ;   in Loop: Header=BB61_283 Depth=1
	s_and_b64 s[36:37], exec, s[28:29]
	s_or_b64 s[26:27], s[36:37], s[26:27]
	v_mov_b64_e32 v[30:31], s[30:31]
	s_mov_b64 s[30:31], s[34:35]
	s_andn2_b64 exec, exec, s[26:27]
	s_cbranch_execz .LBB61_286
.LBB61_283:                             ; =>This Inner Loop Header: Depth=1
	s_or_b64 s[28:29], s[28:29], exec
	s_cmp_eq_u64 s[12:13], s[30:31]
	s_cbranch_scc0 .LBB61_281
; %bb.284:                              ;   in Loop: Header=BB61_283 Depth=1
                                        ; implicit-def: $sgpr34_sgpr35
	s_mov_b64 s[30:31], s[12:13]
	s_branch .LBB61_282
.LBB61_285:
	v_mov_b64_e32 v[70:71], 0
	s_branch .LBB61_288
.LBB61_286:
	s_or_b64 exec, exec, s[26:27]
	v_cmp_gt_i64_e32 vcc, s[12:13], v[30:31]
	s_mov_b32 s26, 0
	v_mov_b32_e32 v71, s26
	v_cndmask_b32_e64 v70, 0, 1, vcc
.LBB61_287:
	s_or_b64 exec, exec, s[24:25]
.LBB61_288:
	s_or_b64 exec, exec, s[22:23]
	v_cmp_ne_u32_e32 vcc, 0, v0
	s_waitcnt lgkmcnt(0)
	v_mov_b64_e32 v[30:31], s[20:21]
	s_waitcnt lgkmcnt(0)
	; wave barrier
	s_and_saveexec_b64 s[20:21], vcc
	s_cbranch_execz .LBB61_290
; %bb.289:
	v_add_u32_e32 v26, -8, v48
	ds_read_b64 v[30:31], v26
.LBB61_290:
	s_or_b64 exec, exec, s[20:21]
	v_cmp_gt_u32_e32 vcc, s7, v1
                                        ; implicit-def: $sgpr24_sgpr25
	s_and_saveexec_b64 s[20:21], vcc
	s_cbranch_execz .LBB61_302
; %bb.291:
	s_and_b64 vcc, exec, s[2:3]
	s_cbranch_vccnz .LBB61_298
; %bb.292:
	v_mov_b64_e32 v[28:29], s[14:15]
	v_mad_u64_u32 v[26:27], s[2:3], v2, s12, v[28:29]
	v_mul_lo_u32 v1, v2, s13
	v_mul_lo_u32 v32, v3, s12
	v_add3_u32 v27, v32, v27, v1
	s_waitcnt lgkmcnt(0)
	v_mad_u64_u32 v[28:29], s[2:3], v30, s12, v[28:29]
	v_mul_lo_u32 v1, v30, s13
	v_mul_lo_u32 v30, v31, s12
	v_add3_u32 v29, v30, v29, v1
	global_load_ubyte v1, v[26:27], off
	global_load_ubyte v30, v[28:29], off
	s_mov_b64 s[22:23], -1
	s_waitcnt vmcnt(0)
	v_cmp_eq_u16_e32 vcc, v1, v30
	s_and_saveexec_b64 s[2:3], vcc
	s_cbranch_execz .LBB61_300
; %bb.293:
	s_mov_b64 s[26:27], 1
	s_mov_b64 s[22:23], 0
                                        ; implicit-def: $sgpr24_sgpr25
	s_branch .LBB61_296
.LBB61_294:                             ;   in Loop: Header=BB61_296 Depth=1
	v_lshl_add_u64 v[30:31], v[26:27], 0, s[26:27]
	v_lshl_add_u64 v[32:33], v[28:29], 0, s[26:27]
	global_load_ubyte v1, v[30:31], off
	global_load_ubyte v34, v[32:33], off
	s_add_u32 s28, s26, 1
	s_addc_u32 s29, s27, 0
	s_andn2_b64 s[24:25], s[24:25], exec
	s_waitcnt vmcnt(0)
	v_cmp_ne_u16_e32 vcc, v1, v34
	s_and_b64 s[30:31], vcc, exec
	s_or_b64 s[24:25], s[24:25], s[30:31]
.LBB61_295:                             ;   in Loop: Header=BB61_296 Depth=1
	s_and_b64 s[30:31], exec, s[24:25]
	s_or_b64 s[22:23], s[30:31], s[22:23]
	v_mov_b64_e32 v[30:31], s[26:27]
	s_mov_b64 s[26:27], s[28:29]
	s_andn2_b64 exec, exec, s[22:23]
	s_cbranch_execz .LBB61_299
.LBB61_296:                             ; =>This Inner Loop Header: Depth=1
	s_or_b64 s[24:25], s[24:25], exec
	s_cmp_eq_u64 s[12:13], s[26:27]
	s_cbranch_scc0 .LBB61_294
; %bb.297:                              ;   in Loop: Header=BB61_296 Depth=1
                                        ; implicit-def: $sgpr28_sgpr29
	s_mov_b64 s[26:27], s[12:13]
	s_branch .LBB61_295
.LBB61_298:
	s_mov_b64 s[22:23], 0
	s_branch .LBB61_301
.LBB61_299:
	s_or_b64 exec, exec, s[22:23]
	v_cmp_gt_i64_e32 vcc, s[12:13], v[30:31]
	s_orn2_b64 s[22:23], vcc, exec
.LBB61_300:
	s_or_b64 exec, exec, s[2:3]
.LBB61_301:
	s_and_b64 s[24:25], s[22:23], exec
	s_or_b64 s[18:19], s[18:19], exec
.LBB61_302:
	s_or_b64 exec, exec, s[20:21]
	v_mov_b64_e32 v[72:73], v[52:53]
	v_mov_b64_e32 v[26:27], v[46:47]
	;; [unrolled: 1-line block ×10, first 2 shown]
	s_waitcnt lgkmcnt(0)
	v_mov_b64_e32 v[30:31], v[54:55]
	s_branch .LBB61_572
.LBB61_303:
	s_cmp_lg_u64 s[4:5], 1
	s_cbranch_scc0 .LBB61_311
; %bb.304:
	v_mul_lo_u32 v1, v25, s12
	v_mul_lo_u32 v28, v24, s13
	s_waitcnt lgkmcnt(0)
	v_mad_u64_u32 v[26:27], s[20:21], v24, s12, 0
	v_mov_b64_e32 v[46:47], 0
	v_cmp_lt_i64_e64 s[2:3], s[12:13], 1
	v_add3_u32 v27, v27, v28, v1
	v_cmp_gt_i64_e64 s[4:5], s[12:13], 0
	s_and_b64 vcc, exec, s[2:3]
	v_lshl_add_u64 v[26:27], s[14:15], 0, v[26:27]
	v_mov_b64_e32 v[50:51], v[46:47]
	ds_write_b64 v48, v[44:45]
	s_cbranch_vccnz .LBB61_314
; %bb.305:
	v_mov_b64_e32 v[28:29], s[14:15]
	v_mad_u64_u32 v[28:29], s[2:3], v44, s12, v[28:29]
	v_mul_lo_u32 v1, v44, s13
	v_mul_lo_u32 v30, v45, s12
	v_add3_u32 v29, v30, v29, v1
	global_load_ubyte v1, v[28:29], off
	global_load_ubyte v30, v[26:27], off
	v_mov_b64_e32 v[50:51], 1
	s_waitcnt vmcnt(0)
	v_cmp_eq_u16_e32 vcc, v1, v30
	s_and_saveexec_b64 s[2:3], vcc
	s_cbranch_execz .LBB61_313
; %bb.306:
	s_mov_b64 s[24:25], 1
	s_mov_b64 s[20:21], 0
                                        ; implicit-def: $sgpr22_sgpr23
	s_branch .LBB61_309
.LBB61_307:                             ;   in Loop: Header=BB61_309 Depth=1
	v_lshl_add_u64 v[30:31], v[28:29], 0, s[24:25]
	v_lshl_add_u64 v[32:33], v[26:27], 0, s[24:25]
	global_load_ubyte v1, v[30:31], off
	global_load_ubyte v34, v[32:33], off
	s_add_u32 s26, s24, 1
	s_addc_u32 s27, s25, 0
	s_andn2_b64 s[22:23], s[22:23], exec
	s_waitcnt vmcnt(0)
	v_cmp_ne_u16_e32 vcc, v1, v34
	s_and_b64 s[28:29], vcc, exec
	s_or_b64 s[22:23], s[22:23], s[28:29]
.LBB61_308:                             ;   in Loop: Header=BB61_309 Depth=1
	s_and_b64 s[28:29], exec, s[22:23]
	s_or_b64 s[20:21], s[28:29], s[20:21]
	v_mov_b64_e32 v[30:31], s[24:25]
	s_mov_b64 s[24:25], s[26:27]
	s_andn2_b64 exec, exec, s[20:21]
	s_cbranch_execz .LBB61_312
.LBB61_309:                             ; =>This Inner Loop Header: Depth=1
	s_or_b64 s[22:23], s[22:23], exec
	s_cmp_eq_u64 s[12:13], s[24:25]
	s_cbranch_scc0 .LBB61_307
; %bb.310:                              ;   in Loop: Header=BB61_309 Depth=1
                                        ; implicit-def: $sgpr26_sgpr27
	s_mov_b64 s[24:25], s[12:13]
	s_branch .LBB61_308
.LBB61_311:
                                        ; implicit-def: $vgpr26_vgpr27_vgpr28_vgpr29
                                        ; implicit-def: $sgpr24_sgpr25
                                        ; implicit-def: $vgpr50_vgpr51
                                        ; implicit-def: $vgpr52_vgpr53
                                        ; implicit-def: $vgpr46_vgpr47
                                        ; implicit-def: $vgpr70_vgpr71
                                        ; implicit-def: $vgpr68_vgpr69
                                        ; implicit-def: $vgpr66_vgpr67
                                        ; implicit-def: $vgpr64_vgpr65
                                        ; implicit-def: $vgpr62_vgpr63
                                        ; implicit-def: $vgpr60_vgpr61
                                        ; implicit-def: $vgpr58_vgpr59
                                        ; implicit-def: $vgpr56_vgpr57
                                        ; implicit-def: $vgpr54_vgpr55
                                        ; implicit-def: $vgpr72_vgpr73
                                        ; implicit-def: $vgpr82_vgpr83
                                        ; implicit-def: $vgpr74_vgpr75
                                        ; implicit-def: $vgpr76_vgpr77
                                        ; implicit-def: $vgpr78_vgpr79
                                        ; implicit-def: $vgpr80_vgpr81
                                        ; implicit-def: $vgpr28_vgpr29_vgpr30_vgpr31
                                        ; implicit-def: $vgpr32_vgpr33_vgpr34_vgpr35
                                        ; implicit-def: $vgpr36_vgpr37_vgpr38_vgpr39
                                        ; implicit-def: $vgpr40_vgpr41_vgpr42_vgpr43
	s_cbranch_execnz .LBB61_427
	s_branch .LBB61_572
.LBB61_312:
	s_or_b64 exec, exec, s[20:21]
	v_cmp_gt_i64_e32 vcc, s[12:13], v[30:31]
	s_mov_b32 s7, 0
	v_mov_b32_e32 v51, s7
	v_cndmask_b32_e64 v50, 0, 1, vcc
.LBB61_313:
	s_or_b64 exec, exec, s[2:3]
.LBB61_314:
	v_mul_lo_u32 v1, v23, s12
	v_mul_lo_u32 v30, v22, s13
	v_mad_u64_u32 v[28:29], s[2:3], v22, s12, 0
	v_add3_u32 v29, v29, v30, v1
	v_cndmask_b32_e64 v1, 0, 1, s[4:5]
	v_cmp_ne_u32_e64 s[2:3], 1, v1
	s_andn2_b64 vcc, exec, s[4:5]
	v_lshl_add_u64 v[28:29], s[14:15], 0, v[28:29]
	v_mov_b64_e32 v[52:53], v[46:47]
	s_cbranch_vccnz .LBB61_323
; %bb.315:
	global_load_ubyte v1, v[26:27], off
	global_load_ubyte v30, v[28:29], off
	v_mov_b64_e32 v[52:53], 1
	s_waitcnt vmcnt(0)
	v_cmp_eq_u16_e32 vcc, v1, v30
	s_and_saveexec_b64 s[4:5], vcc
	s_cbranch_execz .LBB61_322
; %bb.316:
	s_mov_b64 s[24:25], 1
	s_mov_b64 s[20:21], 0
                                        ; implicit-def: $sgpr22_sgpr23
	s_branch .LBB61_319
.LBB61_317:                             ;   in Loop: Header=BB61_319 Depth=1
	v_lshl_add_u64 v[30:31], v[26:27], 0, s[24:25]
	v_lshl_add_u64 v[32:33], v[28:29], 0, s[24:25]
	global_load_ubyte v1, v[30:31], off
	global_load_ubyte v34, v[32:33], off
	s_add_u32 s26, s24, 1
	s_addc_u32 s27, s25, 0
	s_andn2_b64 s[22:23], s[22:23], exec
	s_waitcnt vmcnt(0)
	v_cmp_ne_u16_e32 vcc, v1, v34
	s_and_b64 s[28:29], vcc, exec
	s_or_b64 s[22:23], s[22:23], s[28:29]
.LBB61_318:                             ;   in Loop: Header=BB61_319 Depth=1
	s_and_b64 s[28:29], exec, s[22:23]
	s_or_b64 s[20:21], s[28:29], s[20:21]
	v_mov_b64_e32 v[30:31], s[24:25]
	s_mov_b64 s[24:25], s[26:27]
	s_andn2_b64 exec, exec, s[20:21]
	s_cbranch_execz .LBB61_321
.LBB61_319:                             ; =>This Inner Loop Header: Depth=1
	s_or_b64 s[22:23], s[22:23], exec
	s_cmp_eq_u64 s[12:13], s[24:25]
	s_cbranch_scc0 .LBB61_317
; %bb.320:                              ;   in Loop: Header=BB61_319 Depth=1
                                        ; implicit-def: $sgpr26_sgpr27
	s_mov_b64 s[24:25], s[12:13]
	s_branch .LBB61_318
.LBB61_321:
	s_or_b64 exec, exec, s[20:21]
	v_cmp_gt_i64_e32 vcc, s[12:13], v[30:31]
	s_mov_b32 s7, 0
	v_mov_b32_e32 v53, s7
	v_cndmask_b32_e64 v52, 0, 1, vcc
.LBB61_322:
	s_or_b64 exec, exec, s[4:5]
.LBB61_323:
	v_mul_lo_u32 v1, v21, s12
	v_mul_lo_u32 v30, v20, s13
	v_mad_u64_u32 v[26:27], s[4:5], v20, s12, 0
	v_add3_u32 v27, v27, v30, v1
	s_and_b64 vcc, exec, s[2:3]
	v_lshl_add_u64 v[26:27], s[14:15], 0, v[26:27]
	s_cbranch_vccnz .LBB61_332
; %bb.324:
	global_load_ubyte v1, v[28:29], off
	global_load_ubyte v30, v[26:27], off
	v_mov_b64_e32 v[46:47], 1
	s_waitcnt vmcnt(0)
	v_cmp_eq_u16_e32 vcc, v1, v30
	s_and_saveexec_b64 s[4:5], vcc
	s_cbranch_execz .LBB61_331
; %bb.325:
	s_mov_b64 s[24:25], 1
	s_mov_b64 s[20:21], 0
                                        ; implicit-def: $sgpr22_sgpr23
	s_branch .LBB61_328
.LBB61_326:                             ;   in Loop: Header=BB61_328 Depth=1
	v_lshl_add_u64 v[30:31], v[28:29], 0, s[24:25]
	v_lshl_add_u64 v[32:33], v[26:27], 0, s[24:25]
	global_load_ubyte v1, v[30:31], off
	global_load_ubyte v34, v[32:33], off
	s_add_u32 s26, s24, 1
	s_addc_u32 s27, s25, 0
	s_andn2_b64 s[22:23], s[22:23], exec
	s_waitcnt vmcnt(0)
	v_cmp_ne_u16_e32 vcc, v1, v34
	s_and_b64 s[28:29], vcc, exec
	s_or_b64 s[22:23], s[22:23], s[28:29]
.LBB61_327:                             ;   in Loop: Header=BB61_328 Depth=1
	s_and_b64 s[28:29], exec, s[22:23]
	s_or_b64 s[20:21], s[28:29], s[20:21]
	v_mov_b64_e32 v[30:31], s[24:25]
	s_mov_b64 s[24:25], s[26:27]
	s_andn2_b64 exec, exec, s[20:21]
	s_cbranch_execz .LBB61_330
.LBB61_328:                             ; =>This Inner Loop Header: Depth=1
	s_or_b64 s[22:23], s[22:23], exec
	s_cmp_eq_u64 s[12:13], s[24:25]
	s_cbranch_scc0 .LBB61_326
; %bb.329:                              ;   in Loop: Header=BB61_328 Depth=1
                                        ; implicit-def: $sgpr26_sgpr27
	s_mov_b64 s[24:25], s[12:13]
	s_branch .LBB61_327
.LBB61_330:
	s_or_b64 exec, exec, s[20:21]
	v_cmp_gt_i64_e32 vcc, s[12:13], v[30:31]
	s_mov_b32 s7, 0
	v_mov_b32_e32 v47, s7
	v_cndmask_b32_e64 v46, 0, 1, vcc
.LBB61_331:
	s_or_b64 exec, exec, s[4:5]
.LBB61_332:
	v_mul_lo_u32 v1, v19, s12
	v_mul_lo_u32 v30, v18, s13
	v_mad_u64_u32 v[28:29], s[4:5], v18, s12, 0
	v_add3_u32 v29, v29, v30, v1
	v_mov_b64_e32 v[56:57], 0
	s_and_b64 vcc, exec, s[2:3]
	v_lshl_add_u64 v[28:29], s[14:15], 0, v[28:29]
	v_mov_b64_e32 v[54:55], v[56:57]
	s_cbranch_vccnz .LBB61_341
; %bb.333:
	global_load_ubyte v1, v[26:27], off
	global_load_ubyte v30, v[28:29], off
	v_mov_b64_e32 v[54:55], 1
	s_waitcnt vmcnt(0)
	v_cmp_eq_u16_e32 vcc, v1, v30
	s_and_saveexec_b64 s[4:5], vcc
	s_cbranch_execz .LBB61_340
; %bb.334:
	s_mov_b64 s[24:25], 1
	s_mov_b64 s[20:21], 0
                                        ; implicit-def: $sgpr22_sgpr23
	s_branch .LBB61_337
.LBB61_335:                             ;   in Loop: Header=BB61_337 Depth=1
	v_lshl_add_u64 v[30:31], v[26:27], 0, s[24:25]
	v_lshl_add_u64 v[32:33], v[28:29], 0, s[24:25]
	global_load_ubyte v1, v[30:31], off
	global_load_ubyte v34, v[32:33], off
	s_add_u32 s26, s24, 1
	s_addc_u32 s27, s25, 0
	s_andn2_b64 s[22:23], s[22:23], exec
	s_waitcnt vmcnt(0)
	v_cmp_ne_u16_e32 vcc, v1, v34
	s_and_b64 s[28:29], vcc, exec
	s_or_b64 s[22:23], s[22:23], s[28:29]
.LBB61_336:                             ;   in Loop: Header=BB61_337 Depth=1
	s_and_b64 s[28:29], exec, s[22:23]
	s_or_b64 s[20:21], s[28:29], s[20:21]
	v_mov_b64_e32 v[30:31], s[24:25]
	s_mov_b64 s[24:25], s[26:27]
	s_andn2_b64 exec, exec, s[20:21]
	s_cbranch_execz .LBB61_339
.LBB61_337:                             ; =>This Inner Loop Header: Depth=1
	s_or_b64 s[22:23], s[22:23], exec
	s_cmp_eq_u64 s[12:13], s[24:25]
	s_cbranch_scc0 .LBB61_335
; %bb.338:                              ;   in Loop: Header=BB61_337 Depth=1
                                        ; implicit-def: $sgpr26_sgpr27
	s_mov_b64 s[24:25], s[12:13]
	s_branch .LBB61_336
.LBB61_339:
	s_or_b64 exec, exec, s[20:21]
	v_cmp_gt_i64_e32 vcc, s[12:13], v[30:31]
	s_mov_b32 s7, 0
	v_mov_b32_e32 v55, s7
	v_cndmask_b32_e64 v54, 0, 1, vcc
.LBB61_340:
	s_or_b64 exec, exec, s[4:5]
.LBB61_341:
	v_mul_lo_u32 v1, v17, s12
	v_mul_lo_u32 v30, v16, s13
	v_mad_u64_u32 v[26:27], s[4:5], v16, s12, 0
	v_add3_u32 v27, v27, v30, v1
	s_and_b64 vcc, exec, s[2:3]
	v_lshl_add_u64 v[26:27], s[14:15], 0, v[26:27]
	s_cbranch_vccnz .LBB61_350
; %bb.342:
	global_load_ubyte v1, v[28:29], off
	global_load_ubyte v30, v[26:27], off
	v_mov_b64_e32 v[56:57], 1
	s_waitcnt vmcnt(0)
	v_cmp_eq_u16_e32 vcc, v1, v30
	s_and_saveexec_b64 s[4:5], vcc
	s_cbranch_execz .LBB61_349
; %bb.343:
	s_mov_b64 s[24:25], 1
	s_mov_b64 s[20:21], 0
                                        ; implicit-def: $sgpr22_sgpr23
	s_branch .LBB61_346
.LBB61_344:                             ;   in Loop: Header=BB61_346 Depth=1
	v_lshl_add_u64 v[30:31], v[28:29], 0, s[24:25]
	v_lshl_add_u64 v[32:33], v[26:27], 0, s[24:25]
	global_load_ubyte v1, v[30:31], off
	global_load_ubyte v34, v[32:33], off
	s_add_u32 s26, s24, 1
	s_addc_u32 s27, s25, 0
	s_andn2_b64 s[22:23], s[22:23], exec
	s_waitcnt vmcnt(0)
	v_cmp_ne_u16_e32 vcc, v1, v34
	s_and_b64 s[28:29], vcc, exec
	s_or_b64 s[22:23], s[22:23], s[28:29]
.LBB61_345:                             ;   in Loop: Header=BB61_346 Depth=1
	s_and_b64 s[28:29], exec, s[22:23]
	s_or_b64 s[20:21], s[28:29], s[20:21]
	v_mov_b64_e32 v[30:31], s[24:25]
	s_mov_b64 s[24:25], s[26:27]
	s_andn2_b64 exec, exec, s[20:21]
	s_cbranch_execz .LBB61_348
.LBB61_346:                             ; =>This Inner Loop Header: Depth=1
	s_or_b64 s[22:23], s[22:23], exec
	s_cmp_eq_u64 s[12:13], s[24:25]
	s_cbranch_scc0 .LBB61_344
; %bb.347:                              ;   in Loop: Header=BB61_346 Depth=1
                                        ; implicit-def: $sgpr26_sgpr27
	s_mov_b64 s[24:25], s[12:13]
	s_branch .LBB61_345
.LBB61_348:
	s_or_b64 exec, exec, s[20:21]
	v_cmp_gt_i64_e32 vcc, s[12:13], v[30:31]
	s_mov_b32 s7, 0
	v_mov_b32_e32 v57, s7
	v_cndmask_b32_e64 v56, 0, 1, vcc
.LBB61_349:
	s_or_b64 exec, exec, s[4:5]
.LBB61_350:
	v_mul_lo_u32 v1, v15, s12
	v_mul_lo_u32 v30, v14, s13
	v_mad_u64_u32 v[28:29], s[4:5], v14, s12, 0
	v_add3_u32 v29, v29, v30, v1
	v_mov_b64_e32 v[60:61], 0
	s_and_b64 vcc, exec, s[2:3]
	v_lshl_add_u64 v[28:29], s[14:15], 0, v[28:29]
	v_mov_b64_e32 v[58:59], v[60:61]
	s_cbranch_vccnz .LBB61_359
; %bb.351:
	global_load_ubyte v1, v[26:27], off
	global_load_ubyte v30, v[28:29], off
	v_mov_b64_e32 v[58:59], 1
	s_waitcnt vmcnt(0)
	v_cmp_eq_u16_e32 vcc, v1, v30
	s_and_saveexec_b64 s[4:5], vcc
	s_cbranch_execz .LBB61_358
; %bb.352:
	s_mov_b64 s[24:25], 1
	s_mov_b64 s[20:21], 0
                                        ; implicit-def: $sgpr22_sgpr23
	s_branch .LBB61_355
.LBB61_353:                             ;   in Loop: Header=BB61_355 Depth=1
	v_lshl_add_u64 v[30:31], v[26:27], 0, s[24:25]
	v_lshl_add_u64 v[32:33], v[28:29], 0, s[24:25]
	global_load_ubyte v1, v[30:31], off
	global_load_ubyte v34, v[32:33], off
	s_add_u32 s26, s24, 1
	s_addc_u32 s27, s25, 0
	s_andn2_b64 s[22:23], s[22:23], exec
	s_waitcnt vmcnt(0)
	v_cmp_ne_u16_e32 vcc, v1, v34
	s_and_b64 s[28:29], vcc, exec
	s_or_b64 s[22:23], s[22:23], s[28:29]
.LBB61_354:                             ;   in Loop: Header=BB61_355 Depth=1
	s_and_b64 s[28:29], exec, s[22:23]
	s_or_b64 s[20:21], s[28:29], s[20:21]
	v_mov_b64_e32 v[30:31], s[24:25]
	s_mov_b64 s[24:25], s[26:27]
	s_andn2_b64 exec, exec, s[20:21]
	s_cbranch_execz .LBB61_357
.LBB61_355:                             ; =>This Inner Loop Header: Depth=1
	s_or_b64 s[22:23], s[22:23], exec
	s_cmp_eq_u64 s[12:13], s[24:25]
	s_cbranch_scc0 .LBB61_353
; %bb.356:                              ;   in Loop: Header=BB61_355 Depth=1
                                        ; implicit-def: $sgpr26_sgpr27
	s_mov_b64 s[24:25], s[12:13]
	s_branch .LBB61_354
.LBB61_357:
	s_or_b64 exec, exec, s[20:21]
	v_cmp_gt_i64_e32 vcc, s[12:13], v[30:31]
	s_mov_b32 s7, 0
	v_mov_b32_e32 v59, s7
	v_cndmask_b32_e64 v58, 0, 1, vcc
.LBB61_358:
	s_or_b64 exec, exec, s[4:5]
.LBB61_359:
	v_mul_lo_u32 v1, v13, s12
	v_mul_lo_u32 v30, v12, s13
	v_mad_u64_u32 v[26:27], s[4:5], v12, s12, 0
	v_add3_u32 v27, v27, v30, v1
	s_and_b64 vcc, exec, s[2:3]
	v_lshl_add_u64 v[26:27], s[14:15], 0, v[26:27]
	s_cbranch_vccnz .LBB61_368
; %bb.360:
	global_load_ubyte v1, v[28:29], off
	global_load_ubyte v30, v[26:27], off
	v_mov_b64_e32 v[60:61], 1
	s_waitcnt vmcnt(0)
	v_cmp_eq_u16_e32 vcc, v1, v30
	s_and_saveexec_b64 s[4:5], vcc
	s_cbranch_execz .LBB61_367
; %bb.361:
	s_mov_b64 s[24:25], 1
	s_mov_b64 s[20:21], 0
                                        ; implicit-def: $sgpr22_sgpr23
	s_branch .LBB61_364
.LBB61_362:                             ;   in Loop: Header=BB61_364 Depth=1
	v_lshl_add_u64 v[30:31], v[28:29], 0, s[24:25]
	v_lshl_add_u64 v[32:33], v[26:27], 0, s[24:25]
	global_load_ubyte v1, v[30:31], off
	global_load_ubyte v34, v[32:33], off
	s_add_u32 s26, s24, 1
	s_addc_u32 s27, s25, 0
	s_andn2_b64 s[22:23], s[22:23], exec
	s_waitcnt vmcnt(0)
	v_cmp_ne_u16_e32 vcc, v1, v34
	s_and_b64 s[28:29], vcc, exec
	s_or_b64 s[22:23], s[22:23], s[28:29]
.LBB61_363:                             ;   in Loop: Header=BB61_364 Depth=1
	s_and_b64 s[28:29], exec, s[22:23]
	s_or_b64 s[20:21], s[28:29], s[20:21]
	v_mov_b64_e32 v[30:31], s[24:25]
	s_mov_b64 s[24:25], s[26:27]
	s_andn2_b64 exec, exec, s[20:21]
	s_cbranch_execz .LBB61_366
.LBB61_364:                             ; =>This Inner Loop Header: Depth=1
	s_or_b64 s[22:23], s[22:23], exec
	s_cmp_eq_u64 s[12:13], s[24:25]
	s_cbranch_scc0 .LBB61_362
; %bb.365:                              ;   in Loop: Header=BB61_364 Depth=1
                                        ; implicit-def: $sgpr26_sgpr27
	s_mov_b64 s[24:25], s[12:13]
	s_branch .LBB61_363
.LBB61_366:
	s_or_b64 exec, exec, s[20:21]
	v_cmp_gt_i64_e32 vcc, s[12:13], v[30:31]
	s_mov_b32 s7, 0
	v_mov_b32_e32 v61, s7
	v_cndmask_b32_e64 v60, 0, 1, vcc
.LBB61_367:
	s_or_b64 exec, exec, s[4:5]
.LBB61_368:
	v_mul_lo_u32 v1, v11, s12
	v_mul_lo_u32 v30, v10, s13
	v_mad_u64_u32 v[28:29], s[4:5], v10, s12, 0
	v_add3_u32 v29, v29, v30, v1
	v_mov_b64_e32 v[64:65], 0
	s_and_b64 vcc, exec, s[2:3]
	v_lshl_add_u64 v[28:29], s[14:15], 0, v[28:29]
	v_mov_b64_e32 v[62:63], v[64:65]
	s_cbranch_vccnz .LBB61_377
; %bb.369:
	global_load_ubyte v1, v[26:27], off
	global_load_ubyte v30, v[28:29], off
	v_mov_b64_e32 v[62:63], 1
	s_waitcnt vmcnt(0)
	v_cmp_eq_u16_e32 vcc, v1, v30
	s_and_saveexec_b64 s[4:5], vcc
	s_cbranch_execz .LBB61_376
; %bb.370:
	s_mov_b64 s[24:25], 1
	s_mov_b64 s[20:21], 0
                                        ; implicit-def: $sgpr22_sgpr23
	s_branch .LBB61_373
.LBB61_371:                             ;   in Loop: Header=BB61_373 Depth=1
	v_lshl_add_u64 v[30:31], v[26:27], 0, s[24:25]
	v_lshl_add_u64 v[32:33], v[28:29], 0, s[24:25]
	global_load_ubyte v1, v[30:31], off
	global_load_ubyte v34, v[32:33], off
	s_add_u32 s26, s24, 1
	s_addc_u32 s27, s25, 0
	s_andn2_b64 s[22:23], s[22:23], exec
	s_waitcnt vmcnt(0)
	v_cmp_ne_u16_e32 vcc, v1, v34
	s_and_b64 s[28:29], vcc, exec
	s_or_b64 s[22:23], s[22:23], s[28:29]
.LBB61_372:                             ;   in Loop: Header=BB61_373 Depth=1
	s_and_b64 s[28:29], exec, s[22:23]
	s_or_b64 s[20:21], s[28:29], s[20:21]
	v_mov_b64_e32 v[30:31], s[24:25]
	s_mov_b64 s[24:25], s[26:27]
	s_andn2_b64 exec, exec, s[20:21]
	s_cbranch_execz .LBB61_375
.LBB61_373:                             ; =>This Inner Loop Header: Depth=1
	s_or_b64 s[22:23], s[22:23], exec
	s_cmp_eq_u64 s[12:13], s[24:25]
	s_cbranch_scc0 .LBB61_371
; %bb.374:                              ;   in Loop: Header=BB61_373 Depth=1
                                        ; implicit-def: $sgpr26_sgpr27
	s_mov_b64 s[24:25], s[12:13]
	s_branch .LBB61_372
.LBB61_375:
	s_or_b64 exec, exec, s[20:21]
	v_cmp_gt_i64_e32 vcc, s[12:13], v[30:31]
	s_mov_b32 s7, 0
	v_mov_b32_e32 v63, s7
	v_cndmask_b32_e64 v62, 0, 1, vcc
.LBB61_376:
	s_or_b64 exec, exec, s[4:5]
.LBB61_377:
	v_mul_lo_u32 v1, v9, s12
	v_mul_lo_u32 v30, v8, s13
	v_mad_u64_u32 v[26:27], s[4:5], v8, s12, 0
	v_add3_u32 v27, v27, v30, v1
	s_and_b64 vcc, exec, s[2:3]
	v_lshl_add_u64 v[26:27], s[14:15], 0, v[26:27]
	s_cbranch_vccnz .LBB61_386
; %bb.378:
	global_load_ubyte v1, v[28:29], off
	global_load_ubyte v30, v[26:27], off
	v_mov_b64_e32 v[64:65], 1
	s_waitcnt vmcnt(0)
	v_cmp_eq_u16_e32 vcc, v1, v30
	s_and_saveexec_b64 s[4:5], vcc
	s_cbranch_execz .LBB61_385
; %bb.379:
	s_mov_b64 s[24:25], 1
	s_mov_b64 s[20:21], 0
                                        ; implicit-def: $sgpr22_sgpr23
	s_branch .LBB61_382
.LBB61_380:                             ;   in Loop: Header=BB61_382 Depth=1
	v_lshl_add_u64 v[30:31], v[28:29], 0, s[24:25]
	v_lshl_add_u64 v[32:33], v[26:27], 0, s[24:25]
	global_load_ubyte v1, v[30:31], off
	global_load_ubyte v34, v[32:33], off
	s_add_u32 s26, s24, 1
	s_addc_u32 s27, s25, 0
	s_andn2_b64 s[22:23], s[22:23], exec
	s_waitcnt vmcnt(0)
	v_cmp_ne_u16_e32 vcc, v1, v34
	s_and_b64 s[28:29], vcc, exec
	s_or_b64 s[22:23], s[22:23], s[28:29]
.LBB61_381:                             ;   in Loop: Header=BB61_382 Depth=1
	s_and_b64 s[28:29], exec, s[22:23]
	s_or_b64 s[20:21], s[28:29], s[20:21]
	v_mov_b64_e32 v[30:31], s[24:25]
	s_mov_b64 s[24:25], s[26:27]
	s_andn2_b64 exec, exec, s[20:21]
	s_cbranch_execz .LBB61_384
.LBB61_382:                             ; =>This Inner Loop Header: Depth=1
	s_or_b64 s[22:23], s[22:23], exec
	s_cmp_eq_u64 s[12:13], s[24:25]
	s_cbranch_scc0 .LBB61_380
; %bb.383:                              ;   in Loop: Header=BB61_382 Depth=1
                                        ; implicit-def: $sgpr26_sgpr27
	s_mov_b64 s[24:25], s[12:13]
	s_branch .LBB61_381
.LBB61_384:
	s_or_b64 exec, exec, s[20:21]
	v_cmp_gt_i64_e32 vcc, s[12:13], v[30:31]
	s_mov_b32 s7, 0
	v_mov_b32_e32 v65, s7
	v_cndmask_b32_e64 v64, 0, 1, vcc
.LBB61_385:
	s_or_b64 exec, exec, s[4:5]
.LBB61_386:
	v_mul_lo_u32 v1, v7, s12
	v_mul_lo_u32 v30, v6, s13
	v_mad_u64_u32 v[28:29], s[4:5], v6, s12, 0
	v_add3_u32 v29, v29, v30, v1
	v_mov_b64_e32 v[68:69], 0
	s_and_b64 vcc, exec, s[2:3]
	v_lshl_add_u64 v[28:29], s[14:15], 0, v[28:29]
	v_mov_b64_e32 v[66:67], v[68:69]
	s_cbranch_vccnz .LBB61_395
; %bb.387:
	global_load_ubyte v1, v[26:27], off
	global_load_ubyte v30, v[28:29], off
	v_mov_b64_e32 v[66:67], 1
	s_waitcnt vmcnt(0)
	v_cmp_eq_u16_e32 vcc, v1, v30
	s_and_saveexec_b64 s[4:5], vcc
	s_cbranch_execz .LBB61_394
; %bb.388:
	s_mov_b64 s[24:25], 1
	s_mov_b64 s[20:21], 0
                                        ; implicit-def: $sgpr22_sgpr23
	s_branch .LBB61_391
.LBB61_389:                             ;   in Loop: Header=BB61_391 Depth=1
	v_lshl_add_u64 v[30:31], v[26:27], 0, s[24:25]
	v_lshl_add_u64 v[32:33], v[28:29], 0, s[24:25]
	global_load_ubyte v1, v[30:31], off
	global_load_ubyte v34, v[32:33], off
	s_add_u32 s26, s24, 1
	s_addc_u32 s27, s25, 0
	s_andn2_b64 s[22:23], s[22:23], exec
	s_waitcnt vmcnt(0)
	v_cmp_ne_u16_e32 vcc, v1, v34
	s_and_b64 s[28:29], vcc, exec
	s_or_b64 s[22:23], s[22:23], s[28:29]
.LBB61_390:                             ;   in Loop: Header=BB61_391 Depth=1
	s_and_b64 s[28:29], exec, s[22:23]
	s_or_b64 s[20:21], s[28:29], s[20:21]
	v_mov_b64_e32 v[30:31], s[24:25]
	s_mov_b64 s[24:25], s[26:27]
	s_andn2_b64 exec, exec, s[20:21]
	s_cbranch_execz .LBB61_393
.LBB61_391:                             ; =>This Inner Loop Header: Depth=1
	s_or_b64 s[22:23], s[22:23], exec
	s_cmp_eq_u64 s[12:13], s[24:25]
	s_cbranch_scc0 .LBB61_389
; %bb.392:                              ;   in Loop: Header=BB61_391 Depth=1
                                        ; implicit-def: $sgpr26_sgpr27
	s_mov_b64 s[24:25], s[12:13]
	s_branch .LBB61_390
.LBB61_393:
	s_or_b64 exec, exec, s[20:21]
	v_cmp_gt_i64_e32 vcc, s[12:13], v[30:31]
	s_mov_b32 s7, 0
	v_mov_b32_e32 v67, s7
	v_cndmask_b32_e64 v66, 0, 1, vcc
.LBB61_394:
	s_or_b64 exec, exec, s[4:5]
.LBB61_395:
	v_mul_lo_u32 v1, v5, s12
	v_mul_lo_u32 v30, v4, s13
	v_mad_u64_u32 v[26:27], s[4:5], v4, s12, 0
	v_add3_u32 v27, v27, v30, v1
	s_and_b64 vcc, exec, s[2:3]
	v_lshl_add_u64 v[26:27], s[14:15], 0, v[26:27]
	s_cbranch_vccnz .LBB61_404
; %bb.396:
	global_load_ubyte v1, v[28:29], off
	global_load_ubyte v30, v[26:27], off
	v_mov_b64_e32 v[68:69], 1
	s_waitcnt vmcnt(0)
	v_cmp_eq_u16_e32 vcc, v1, v30
	s_and_saveexec_b64 s[4:5], vcc
	s_cbranch_execz .LBB61_403
; %bb.397:
	s_mov_b64 s[24:25], 1
	s_mov_b64 s[20:21], 0
                                        ; implicit-def: $sgpr22_sgpr23
	s_branch .LBB61_400
.LBB61_398:                             ;   in Loop: Header=BB61_400 Depth=1
	v_lshl_add_u64 v[30:31], v[28:29], 0, s[24:25]
	v_lshl_add_u64 v[32:33], v[26:27], 0, s[24:25]
	global_load_ubyte v1, v[30:31], off
	global_load_ubyte v34, v[32:33], off
	s_add_u32 s26, s24, 1
	s_addc_u32 s27, s25, 0
	s_andn2_b64 s[22:23], s[22:23], exec
	s_waitcnt vmcnt(0)
	v_cmp_ne_u16_e32 vcc, v1, v34
	s_and_b64 s[28:29], vcc, exec
	s_or_b64 s[22:23], s[22:23], s[28:29]
.LBB61_399:                             ;   in Loop: Header=BB61_400 Depth=1
	s_and_b64 s[28:29], exec, s[22:23]
	s_or_b64 s[20:21], s[28:29], s[20:21]
	v_mov_b64_e32 v[30:31], s[24:25]
	s_mov_b64 s[24:25], s[26:27]
	s_andn2_b64 exec, exec, s[20:21]
	s_cbranch_execz .LBB61_402
.LBB61_400:                             ; =>This Inner Loop Header: Depth=1
	s_or_b64 s[22:23], s[22:23], exec
	s_cmp_eq_u64 s[12:13], s[24:25]
	s_cbranch_scc0 .LBB61_398
; %bb.401:                              ;   in Loop: Header=BB61_400 Depth=1
                                        ; implicit-def: $sgpr26_sgpr27
	s_mov_b64 s[24:25], s[12:13]
	s_branch .LBB61_399
.LBB61_402:
	s_or_b64 exec, exec, s[20:21]
	v_cmp_gt_i64_e32 vcc, s[12:13], v[30:31]
	s_mov_b32 s7, 0
	v_mov_b32_e32 v69, s7
	v_cndmask_b32_e64 v68, 0, 1, vcc
.LBB61_403:
	s_or_b64 exec, exec, s[4:5]
.LBB61_404:
	s_and_b64 vcc, exec, s[2:3]
	s_cbranch_vccnz .LBB61_411
; %bb.405:
	v_mov_b64_e32 v[28:29], s[14:15]
	v_mad_u64_u32 v[28:29], s[4:5], v2, s12, v[28:29]
	v_mul_lo_u32 v1, v2, s13
	v_mul_lo_u32 v30, v3, s12
	v_add3_u32 v29, v30, v29, v1
	global_load_ubyte v1, v[26:27], off
	global_load_ubyte v30, v[28:29], off
	v_mov_b64_e32 v[70:71], 1
	s_waitcnt vmcnt(0)
	v_cmp_eq_u16_e32 vcc, v1, v30
	s_and_saveexec_b64 s[4:5], vcc
	s_cbranch_execz .LBB61_413
; %bb.406:
	s_mov_b64 s[24:25], 1
	s_mov_b64 s[20:21], 0
                                        ; implicit-def: $sgpr22_sgpr23
	s_branch .LBB61_409
.LBB61_407:                             ;   in Loop: Header=BB61_409 Depth=1
	v_lshl_add_u64 v[30:31], v[26:27], 0, s[24:25]
	v_lshl_add_u64 v[32:33], v[28:29], 0, s[24:25]
	global_load_ubyte v1, v[30:31], off
	global_load_ubyte v34, v[32:33], off
	s_add_u32 s26, s24, 1
	s_addc_u32 s27, s25, 0
	s_andn2_b64 s[22:23], s[22:23], exec
	s_waitcnt vmcnt(0)
	v_cmp_ne_u16_e32 vcc, v1, v34
	s_and_b64 s[28:29], vcc, exec
	s_or_b64 s[22:23], s[22:23], s[28:29]
.LBB61_408:                             ;   in Loop: Header=BB61_409 Depth=1
	s_and_b64 s[28:29], exec, s[22:23]
	s_or_b64 s[20:21], s[28:29], s[20:21]
	v_mov_b64_e32 v[30:31], s[24:25]
	s_mov_b64 s[24:25], s[26:27]
	s_andn2_b64 exec, exec, s[20:21]
	s_cbranch_execz .LBB61_412
.LBB61_409:                             ; =>This Inner Loop Header: Depth=1
	s_or_b64 s[22:23], s[22:23], exec
	s_cmp_eq_u64 s[12:13], s[24:25]
	s_cbranch_scc0 .LBB61_407
; %bb.410:                              ;   in Loop: Header=BB61_409 Depth=1
                                        ; implicit-def: $sgpr26_sgpr27
	s_mov_b64 s[24:25], s[12:13]
	s_branch .LBB61_408
.LBB61_411:
	v_mov_b64_e32 v[70:71], 0
	s_branch .LBB61_414
.LBB61_412:
	s_or_b64 exec, exec, s[20:21]
	v_cmp_gt_i64_e32 vcc, s[12:13], v[30:31]
	s_mov_b32 s7, 0
	v_mov_b32_e32 v71, s7
	v_cndmask_b32_e64 v70, 0, 1, vcc
.LBB61_413:
	s_or_b64 exec, exec, s[4:5]
.LBB61_414:
	v_cmp_ne_u32_e32 vcc, 0, v0
	s_waitcnt lgkmcnt(0)
	; wave barrier
	s_waitcnt lgkmcnt(0)
                                        ; implicit-def: $sgpr24_sgpr25
	s_and_saveexec_b64 s[4:5], vcc
	s_cbranch_execz .LBB61_426
; %bb.415:
	s_and_b64 vcc, exec, s[2:3]
	s_cbranch_vccnz .LBB61_422
; %bb.416:
	v_add_u32_e32 v1, -8, v48
	ds_read_b64 v[28:29], v1
	v_mov_b64_e32 v[30:31], s[14:15]
	v_mad_u64_u32 v[26:27], s[2:3], v2, s12, v[30:31]
	v_mul_lo_u32 v1, v2, s13
	v_mul_lo_u32 v32, v3, s12
	v_add3_u32 v27, v32, v27, v1
	s_waitcnt lgkmcnt(0)
	v_mul_lo_u32 v1, v28, s13
	v_mul_lo_u32 v32, v29, s12
	v_mad_u64_u32 v[28:29], s[2:3], v28, s12, v[30:31]
	v_add3_u32 v29, v32, v29, v1
	global_load_ubyte v1, v[26:27], off
	global_load_ubyte v30, v[28:29], off
	s_mov_b64 s[20:21], -1
	s_waitcnt vmcnt(0)
	v_cmp_eq_u16_e32 vcc, v1, v30
	s_and_saveexec_b64 s[2:3], vcc
	s_cbranch_execz .LBB61_424
; %bb.417:
	s_mov_b64 s[24:25], 1
	s_mov_b64 s[20:21], 0
                                        ; implicit-def: $sgpr22_sgpr23
	s_branch .LBB61_420
.LBB61_418:                             ;   in Loop: Header=BB61_420 Depth=1
	v_lshl_add_u64 v[30:31], v[26:27], 0, s[24:25]
	v_lshl_add_u64 v[32:33], v[28:29], 0, s[24:25]
	global_load_ubyte v1, v[30:31], off
	global_load_ubyte v34, v[32:33], off
	s_add_u32 s26, s24, 1
	s_addc_u32 s27, s25, 0
	s_andn2_b64 s[22:23], s[22:23], exec
	s_waitcnt vmcnt(0)
	v_cmp_ne_u16_e32 vcc, v1, v34
	s_and_b64 s[28:29], vcc, exec
	s_or_b64 s[22:23], s[22:23], s[28:29]
.LBB61_419:                             ;   in Loop: Header=BB61_420 Depth=1
	s_and_b64 s[28:29], exec, s[22:23]
	s_or_b64 s[20:21], s[28:29], s[20:21]
	v_mov_b64_e32 v[30:31], s[24:25]
	s_mov_b64 s[24:25], s[26:27]
	s_andn2_b64 exec, exec, s[20:21]
	s_cbranch_execz .LBB61_423
.LBB61_420:                             ; =>This Inner Loop Header: Depth=1
	s_or_b64 s[22:23], s[22:23], exec
	s_cmp_eq_u64 s[12:13], s[24:25]
	s_cbranch_scc0 .LBB61_418
; %bb.421:                              ;   in Loop: Header=BB61_420 Depth=1
                                        ; implicit-def: $sgpr26_sgpr27
	s_mov_b64 s[24:25], s[12:13]
	s_branch .LBB61_419
.LBB61_422:
	s_mov_b64 s[20:21], 0
	s_branch .LBB61_425
.LBB61_423:
	s_or_b64 exec, exec, s[20:21]
	v_cmp_gt_i64_e32 vcc, s[12:13], v[30:31]
	s_orn2_b64 s[20:21], vcc, exec
.LBB61_424:
	s_or_b64 exec, exec, s[2:3]
.LBB61_425:
	s_and_b64 s[24:25], s[20:21], exec
	s_or_b64 s[18:19], s[18:19], exec
.LBB61_426:
	s_or_b64 exec, exec, s[4:5]
	v_mov_b64_e32 v[72:73], v[52:53]
	v_mov_b64_e32 v[26:27], v[46:47]
	;; [unrolled: 1-line block ×11, first 2 shown]
	s_branch .LBB61_572
.LBB61_427:
	v_mad_u32_u24 v26, v0, 13, 12
	v_cmp_gt_i64_e64 s[2:3], s[12:13], 0
	v_cmp_gt_u32_e32 vcc, s10, v26
	v_mul_u32_u24_e32 v1, 13, v0
	v_cndmask_b32_e64 v26, 0, 1, s[2:3]
	v_cmp_ne_u32_e64 s[2:3], 1, v26
	ds_write_b64 v48, v[44:45]
	s_and_saveexec_b64 s[4:5], vcc
	s_cbranch_execz .LBB61_438
; %bb.428:
	s_and_b64 vcc, exec, s[2:3]
	s_cbranch_vccnz .LBB61_435
; %bb.429:
	v_mov_b64_e32 v[28:29], s[14:15]
	s_waitcnt lgkmcnt(0)
	v_mad_u64_u32 v[26:27], s[20:21], v44, s12, v[28:29]
	v_mul_lo_u32 v30, v44, s13
	v_mul_lo_u32 v31, v45, s12
	v_add3_u32 v27, v31, v27, v30
	v_mad_u64_u32 v[28:29], s[20:21], v24, s12, v[28:29]
	v_mul_lo_u32 v30, v24, s13
	v_mul_lo_u32 v31, v25, s12
	v_add3_u32 v29, v31, v29, v30
	global_load_ubyte v30, v[26:27], off
	global_load_ubyte v31, v[28:29], off
	v_mov_b64_e32 v[44:45], 1
	s_waitcnt vmcnt(0)
	v_cmp_eq_u16_e32 vcc, v30, v31
	s_and_saveexec_b64 s[20:21], vcc
	s_cbranch_execz .LBB61_437
; %bb.430:
	s_mov_b64 s[26:27], 1
	s_mov_b64 s[22:23], 0
                                        ; implicit-def: $sgpr24_sgpr25
	s_branch .LBB61_433
.LBB61_431:                             ;   in Loop: Header=BB61_433 Depth=1
	v_lshl_add_u64 v[30:31], v[26:27], 0, s[26:27]
	v_lshl_add_u64 v[32:33], v[28:29], 0, s[26:27]
	global_load_ubyte v34, v[30:31], off
	global_load_ubyte v35, v[32:33], off
	s_add_u32 s28, s26, 1
	s_addc_u32 s29, s27, 0
	s_andn2_b64 s[24:25], s[24:25], exec
	s_waitcnt vmcnt(0)
	v_cmp_ne_u16_e32 vcc, v34, v35
	s_and_b64 s[30:31], vcc, exec
	s_or_b64 s[24:25], s[24:25], s[30:31]
.LBB61_432:                             ;   in Loop: Header=BB61_433 Depth=1
	s_and_b64 s[30:31], exec, s[24:25]
	s_or_b64 s[22:23], s[30:31], s[22:23]
	v_mov_b64_e32 v[30:31], s[26:27]
	s_mov_b64 s[26:27], s[28:29]
	s_andn2_b64 exec, exec, s[22:23]
	s_cbranch_execz .LBB61_436
.LBB61_433:                             ; =>This Inner Loop Header: Depth=1
	s_or_b64 s[24:25], s[24:25], exec
	s_cmp_eq_u64 s[12:13], s[26:27]
	s_cbranch_scc0 .LBB61_431
; %bb.434:                              ;   in Loop: Header=BB61_433 Depth=1
                                        ; implicit-def: $sgpr28_sgpr29
	s_mov_b64 s[26:27], s[12:13]
	s_branch .LBB61_432
.LBB61_435:
	v_mov_b64_e32 v[44:45], 0
	s_branch .LBB61_438
.LBB61_436:
	s_or_b64 exec, exec, s[22:23]
	v_cmp_gt_i64_e32 vcc, s[12:13], v[30:31]
	s_mov_b32 s7, 0
	v_mov_b32_e32 v45, s7
	v_cndmask_b32_e64 v44, 0, 1, vcc
.LBB61_437:
	s_or_b64 exec, exec, s[20:21]
.LBB61_438:
	s_or_b64 exec, exec, s[4:5]
	v_add_u32_e32 v26, 11, v1
	v_cmp_gt_u32_e32 vcc, s10, v26
	s_and_saveexec_b64 s[4:5], vcc
	s_cbranch_execz .LBB61_449
; %bb.439:
	s_and_b64 vcc, exec, s[2:3]
	s_cbranch_vccnz .LBB61_446
; %bb.440:
	v_mov_b64_e32 v[28:29], s[14:15]
	s_waitcnt lgkmcnt(0)
	v_mad_u64_u32 v[26:27], s[20:21], v24, s12, v[28:29]
	v_mul_lo_u32 v24, v24, s13
	v_mul_lo_u32 v25, v25, s12
	v_add3_u32 v27, v25, v27, v24
	v_mad_u64_u32 v[28:29], s[20:21], v22, s12, v[28:29]
	v_mul_lo_u32 v24, v22, s13
	v_mul_lo_u32 v25, v23, s12
	v_add3_u32 v29, v25, v29, v24
	global_load_ubyte v24, v[26:27], off
	global_load_ubyte v25, v[28:29], off
	s_waitcnt vmcnt(0)
	v_cmp_eq_u16_e32 vcc, v24, v25
	v_mov_b64_e32 v[24:25], 1
	s_and_saveexec_b64 s[20:21], vcc
	s_cbranch_execz .LBB61_448
; %bb.441:
	s_mov_b64 s[26:27], 1
	s_mov_b64 s[22:23], 0
                                        ; implicit-def: $sgpr24_sgpr25
	s_branch .LBB61_444
.LBB61_442:                             ;   in Loop: Header=BB61_444 Depth=1
	v_lshl_add_u64 v[24:25], v[26:27], 0, s[26:27]
	v_lshl_add_u64 v[30:31], v[28:29], 0, s[26:27]
	global_load_ubyte v32, v[24:25], off
	global_load_ubyte v33, v[30:31], off
	s_add_u32 s28, s26, 1
	s_addc_u32 s29, s27, 0
	s_andn2_b64 s[24:25], s[24:25], exec
	s_waitcnt vmcnt(0)
	v_cmp_ne_u16_e32 vcc, v32, v33
	s_and_b64 s[30:31], vcc, exec
	s_or_b64 s[24:25], s[24:25], s[30:31]
.LBB61_443:                             ;   in Loop: Header=BB61_444 Depth=1
	s_and_b64 s[30:31], exec, s[24:25]
	s_or_b64 s[22:23], s[30:31], s[22:23]
	v_mov_b64_e32 v[24:25], s[26:27]
	s_mov_b64 s[26:27], s[28:29]
	s_andn2_b64 exec, exec, s[22:23]
	s_cbranch_execz .LBB61_447
.LBB61_444:                             ; =>This Inner Loop Header: Depth=1
	s_or_b64 s[24:25], s[24:25], exec
	s_cmp_eq_u64 s[12:13], s[26:27]
	s_cbranch_scc0 .LBB61_442
; %bb.445:                              ;   in Loop: Header=BB61_444 Depth=1
                                        ; implicit-def: $sgpr28_sgpr29
	s_mov_b64 s[26:27], s[12:13]
	s_branch .LBB61_443
.LBB61_446:
	v_mov_b64_e32 v[24:25], 0
	s_branch .LBB61_449
.LBB61_447:
	s_or_b64 exec, exec, s[22:23]
	v_cmp_gt_i64_e32 vcc, s[12:13], v[24:25]
	s_mov_b32 s7, 0
	v_mov_b32_e32 v25, s7
	v_cndmask_b32_e64 v24, 0, 1, vcc
.LBB61_448:
	s_or_b64 exec, exec, s[20:21]
.LBB61_449:
	s_or_b64 exec, exec, s[4:5]
	v_add_u32_e32 v26, 10, v1
	v_cmp_gt_u32_e32 vcc, s10, v26
	s_and_saveexec_b64 s[4:5], vcc
	s_cbranch_execz .LBB61_460
; %bb.450:
	s_and_b64 vcc, exec, s[2:3]
	s_cbranch_vccnz .LBB61_457
; %bb.451:
	v_mov_b64_e32 v[28:29], s[14:15]
	s_waitcnt lgkmcnt(0)
	v_mad_u64_u32 v[26:27], s[20:21], v22, s12, v[28:29]
	v_mul_lo_u32 v22, v22, s13
	v_mul_lo_u32 v23, v23, s12
	v_add3_u32 v27, v23, v27, v22
	v_mad_u64_u32 v[28:29], s[20:21], v20, s12, v[28:29]
	v_mul_lo_u32 v22, v20, s13
	v_mul_lo_u32 v23, v21, s12
	v_add3_u32 v29, v23, v29, v22
	global_load_ubyte v22, v[26:27], off
	global_load_ubyte v23, v[28:29], off
	s_waitcnt vmcnt(0)
	v_cmp_eq_u16_e32 vcc, v22, v23
	v_mov_b64_e32 v[22:23], 1
	s_and_saveexec_b64 s[20:21], vcc
	s_cbranch_execz .LBB61_459
; %bb.452:
	s_mov_b64 s[26:27], 1
	s_mov_b64 s[22:23], 0
                                        ; implicit-def: $sgpr24_sgpr25
	s_branch .LBB61_455
.LBB61_453:                             ;   in Loop: Header=BB61_455 Depth=1
	v_lshl_add_u64 v[22:23], v[26:27], 0, s[26:27]
	v_lshl_add_u64 v[30:31], v[28:29], 0, s[26:27]
	global_load_ubyte v32, v[22:23], off
	global_load_ubyte v33, v[30:31], off
	s_add_u32 s28, s26, 1
	s_addc_u32 s29, s27, 0
	s_andn2_b64 s[24:25], s[24:25], exec
	s_waitcnt vmcnt(0)
	v_cmp_ne_u16_e32 vcc, v32, v33
	s_and_b64 s[30:31], vcc, exec
	s_or_b64 s[24:25], s[24:25], s[30:31]
.LBB61_454:                             ;   in Loop: Header=BB61_455 Depth=1
	s_and_b64 s[30:31], exec, s[24:25]
	s_or_b64 s[22:23], s[30:31], s[22:23]
	v_mov_b64_e32 v[22:23], s[26:27]
	s_mov_b64 s[26:27], s[28:29]
	s_andn2_b64 exec, exec, s[22:23]
	s_cbranch_execz .LBB61_458
.LBB61_455:                             ; =>This Inner Loop Header: Depth=1
	s_or_b64 s[24:25], s[24:25], exec
	s_cmp_eq_u64 s[12:13], s[26:27]
	s_cbranch_scc0 .LBB61_453
; %bb.456:                              ;   in Loop: Header=BB61_455 Depth=1
                                        ; implicit-def: $sgpr28_sgpr29
	s_mov_b64 s[26:27], s[12:13]
	s_branch .LBB61_454
.LBB61_457:
	v_mov_b64_e32 v[22:23], 0
	s_branch .LBB61_460
.LBB61_458:
	s_or_b64 exec, exec, s[22:23]
	v_cmp_gt_i64_e32 vcc, s[12:13], v[22:23]
	s_mov_b32 s7, 0
	v_mov_b32_e32 v23, s7
	v_cndmask_b32_e64 v22, 0, 1, vcc
.LBB61_459:
	s_or_b64 exec, exec, s[20:21]
.LBB61_460:
	s_or_b64 exec, exec, s[4:5]
	v_add_u32_e32 v26, 9, v1
	v_cmp_gt_u32_e32 vcc, s10, v26
	s_and_saveexec_b64 s[4:5], vcc
	s_cbranch_execz .LBB61_471
; %bb.461:
	s_and_b64 vcc, exec, s[2:3]
	s_cbranch_vccnz .LBB61_468
; %bb.462:
	v_mov_b64_e32 v[28:29], s[14:15]
	s_waitcnt lgkmcnt(0)
	v_mad_u64_u32 v[26:27], s[20:21], v20, s12, v[28:29]
	v_mul_lo_u32 v20, v20, s13
	v_mul_lo_u32 v21, v21, s12
	v_add3_u32 v27, v21, v27, v20
	v_mad_u64_u32 v[28:29], s[20:21], v18, s12, v[28:29]
	v_mul_lo_u32 v20, v18, s13
	v_mul_lo_u32 v21, v19, s12
	v_add3_u32 v29, v21, v29, v20
	global_load_ubyte v20, v[26:27], off
	global_load_ubyte v21, v[28:29], off
	s_waitcnt vmcnt(0)
	v_cmp_eq_u16_e32 vcc, v20, v21
	v_mov_b64_e32 v[20:21], 1
	s_and_saveexec_b64 s[20:21], vcc
	s_cbranch_execz .LBB61_470
; %bb.463:
	s_mov_b64 s[26:27], 1
	s_mov_b64 s[22:23], 0
                                        ; implicit-def: $sgpr24_sgpr25
	s_branch .LBB61_466
.LBB61_464:                             ;   in Loop: Header=BB61_466 Depth=1
	v_lshl_add_u64 v[20:21], v[26:27], 0, s[26:27]
	v_lshl_add_u64 v[30:31], v[28:29], 0, s[26:27]
	global_load_ubyte v32, v[20:21], off
	global_load_ubyte v33, v[30:31], off
	s_add_u32 s28, s26, 1
	s_addc_u32 s29, s27, 0
	s_andn2_b64 s[24:25], s[24:25], exec
	s_waitcnt vmcnt(0)
	v_cmp_ne_u16_e32 vcc, v32, v33
	s_and_b64 s[30:31], vcc, exec
	s_or_b64 s[24:25], s[24:25], s[30:31]
.LBB61_465:                             ;   in Loop: Header=BB61_466 Depth=1
	s_and_b64 s[30:31], exec, s[24:25]
	s_or_b64 s[22:23], s[30:31], s[22:23]
	v_mov_b64_e32 v[20:21], s[26:27]
	s_mov_b64 s[26:27], s[28:29]
	s_andn2_b64 exec, exec, s[22:23]
	s_cbranch_execz .LBB61_469
.LBB61_466:                             ; =>This Inner Loop Header: Depth=1
	s_or_b64 s[24:25], s[24:25], exec
	s_cmp_eq_u64 s[12:13], s[26:27]
	s_cbranch_scc0 .LBB61_464
; %bb.467:                              ;   in Loop: Header=BB61_466 Depth=1
                                        ; implicit-def: $sgpr28_sgpr29
	s_mov_b64 s[26:27], s[12:13]
	s_branch .LBB61_465
.LBB61_468:
	v_mov_b64_e32 v[20:21], 0
	s_branch .LBB61_471
.LBB61_469:
	s_or_b64 exec, exec, s[22:23]
	v_cmp_gt_i64_e32 vcc, s[12:13], v[20:21]
	s_mov_b32 s7, 0
	v_mov_b32_e32 v21, s7
	v_cndmask_b32_e64 v20, 0, 1, vcc
.LBB61_470:
	s_or_b64 exec, exec, s[20:21]
.LBB61_471:
	s_or_b64 exec, exec, s[4:5]
	v_add_u32_e32 v26, 8, v1
	v_cmp_gt_u32_e32 vcc, s10, v26
	s_and_saveexec_b64 s[4:5], vcc
	s_cbranch_execz .LBB61_482
; %bb.472:
	s_and_b64 vcc, exec, s[2:3]
	s_cbranch_vccnz .LBB61_479
; %bb.473:
	v_mov_b64_e32 v[28:29], s[14:15]
	s_waitcnt lgkmcnt(0)
	v_mad_u64_u32 v[26:27], s[20:21], v18, s12, v[28:29]
	v_mul_lo_u32 v18, v18, s13
	v_mul_lo_u32 v19, v19, s12
	v_add3_u32 v27, v19, v27, v18
	v_mad_u64_u32 v[28:29], s[20:21], v16, s12, v[28:29]
	v_mul_lo_u32 v18, v16, s13
	v_mul_lo_u32 v19, v17, s12
	v_add3_u32 v29, v19, v29, v18
	global_load_ubyte v18, v[26:27], off
	global_load_ubyte v19, v[28:29], off
	s_waitcnt vmcnt(0)
	v_cmp_eq_u16_e32 vcc, v18, v19
	v_mov_b64_e32 v[18:19], 1
	s_and_saveexec_b64 s[20:21], vcc
	s_cbranch_execz .LBB61_481
; %bb.474:
	s_mov_b64 s[26:27], 1
	s_mov_b64 s[22:23], 0
                                        ; implicit-def: $sgpr24_sgpr25
	s_branch .LBB61_477
.LBB61_475:                             ;   in Loop: Header=BB61_477 Depth=1
	v_lshl_add_u64 v[18:19], v[26:27], 0, s[26:27]
	v_lshl_add_u64 v[30:31], v[28:29], 0, s[26:27]
	global_load_ubyte v32, v[18:19], off
	global_load_ubyte v33, v[30:31], off
	s_add_u32 s28, s26, 1
	s_addc_u32 s29, s27, 0
	s_andn2_b64 s[24:25], s[24:25], exec
	s_waitcnt vmcnt(0)
	v_cmp_ne_u16_e32 vcc, v32, v33
	s_and_b64 s[30:31], vcc, exec
	s_or_b64 s[24:25], s[24:25], s[30:31]
.LBB61_476:                             ;   in Loop: Header=BB61_477 Depth=1
	s_and_b64 s[30:31], exec, s[24:25]
	s_or_b64 s[22:23], s[30:31], s[22:23]
	v_mov_b64_e32 v[18:19], s[26:27]
	s_mov_b64 s[26:27], s[28:29]
	s_andn2_b64 exec, exec, s[22:23]
	s_cbranch_execz .LBB61_480
.LBB61_477:                             ; =>This Inner Loop Header: Depth=1
	s_or_b64 s[24:25], s[24:25], exec
	s_cmp_eq_u64 s[12:13], s[26:27]
	s_cbranch_scc0 .LBB61_475
; %bb.478:                              ;   in Loop: Header=BB61_477 Depth=1
                                        ; implicit-def: $sgpr28_sgpr29
	s_mov_b64 s[26:27], s[12:13]
	s_branch .LBB61_476
.LBB61_479:
	v_mov_b64_e32 v[18:19], 0
	s_branch .LBB61_482
.LBB61_480:
	s_or_b64 exec, exec, s[22:23]
	v_cmp_gt_i64_e32 vcc, s[12:13], v[18:19]
	s_mov_b32 s7, 0
	v_mov_b32_e32 v19, s7
	v_cndmask_b32_e64 v18, 0, 1, vcc
.LBB61_481:
	s_or_b64 exec, exec, s[20:21]
.LBB61_482:
	s_or_b64 exec, exec, s[4:5]
	v_add_u32_e32 v26, 7, v1
	v_cmp_gt_u32_e32 vcc, s10, v26
	s_and_saveexec_b64 s[4:5], vcc
	s_cbranch_execz .LBB61_493
; %bb.483:
	s_and_b64 vcc, exec, s[2:3]
	s_cbranch_vccnz .LBB61_490
; %bb.484:
	v_mov_b64_e32 v[28:29], s[14:15]
	s_waitcnt lgkmcnt(0)
	v_mad_u64_u32 v[26:27], s[20:21], v16, s12, v[28:29]
	v_mul_lo_u32 v16, v16, s13
	v_mul_lo_u32 v17, v17, s12
	v_add3_u32 v27, v17, v27, v16
	v_mad_u64_u32 v[28:29], s[20:21], v14, s12, v[28:29]
	v_mul_lo_u32 v16, v14, s13
	v_mul_lo_u32 v17, v15, s12
	v_add3_u32 v29, v17, v29, v16
	global_load_ubyte v16, v[26:27], off
	global_load_ubyte v17, v[28:29], off
	s_waitcnt vmcnt(0)
	v_cmp_eq_u16_e32 vcc, v16, v17
	v_mov_b64_e32 v[16:17], 1
	s_and_saveexec_b64 s[20:21], vcc
	s_cbranch_execz .LBB61_492
; %bb.485:
	s_mov_b64 s[26:27], 1
	s_mov_b64 s[22:23], 0
                                        ; implicit-def: $sgpr24_sgpr25
	s_branch .LBB61_488
.LBB61_486:                             ;   in Loop: Header=BB61_488 Depth=1
	v_lshl_add_u64 v[16:17], v[26:27], 0, s[26:27]
	v_lshl_add_u64 v[30:31], v[28:29], 0, s[26:27]
	global_load_ubyte v32, v[16:17], off
	global_load_ubyte v33, v[30:31], off
	s_add_u32 s28, s26, 1
	s_addc_u32 s29, s27, 0
	s_andn2_b64 s[24:25], s[24:25], exec
	s_waitcnt vmcnt(0)
	v_cmp_ne_u16_e32 vcc, v32, v33
	s_and_b64 s[30:31], vcc, exec
	s_or_b64 s[24:25], s[24:25], s[30:31]
.LBB61_487:                             ;   in Loop: Header=BB61_488 Depth=1
	s_and_b64 s[30:31], exec, s[24:25]
	s_or_b64 s[22:23], s[30:31], s[22:23]
	v_mov_b64_e32 v[16:17], s[26:27]
	s_mov_b64 s[26:27], s[28:29]
	s_andn2_b64 exec, exec, s[22:23]
	s_cbranch_execz .LBB61_491
.LBB61_488:                             ; =>This Inner Loop Header: Depth=1
	s_or_b64 s[24:25], s[24:25], exec
	s_cmp_eq_u64 s[12:13], s[26:27]
	s_cbranch_scc0 .LBB61_486
; %bb.489:                              ;   in Loop: Header=BB61_488 Depth=1
                                        ; implicit-def: $sgpr28_sgpr29
	s_mov_b64 s[26:27], s[12:13]
	s_branch .LBB61_487
.LBB61_490:
	v_mov_b64_e32 v[16:17], 0
	s_branch .LBB61_493
.LBB61_491:
	s_or_b64 exec, exec, s[22:23]
	v_cmp_gt_i64_e32 vcc, s[12:13], v[16:17]
	s_mov_b32 s7, 0
	v_mov_b32_e32 v17, s7
	v_cndmask_b32_e64 v16, 0, 1, vcc
.LBB61_492:
	s_or_b64 exec, exec, s[20:21]
.LBB61_493:
	s_or_b64 exec, exec, s[4:5]
	v_add_u32_e32 v26, 6, v1
	v_cmp_gt_u32_e32 vcc, s10, v26
	s_and_saveexec_b64 s[4:5], vcc
	s_cbranch_execz .LBB61_504
; %bb.494:
	s_and_b64 vcc, exec, s[2:3]
	s_cbranch_vccnz .LBB61_501
; %bb.495:
	v_mov_b64_e32 v[28:29], s[14:15]
	s_waitcnt lgkmcnt(0)
	v_mad_u64_u32 v[26:27], s[20:21], v14, s12, v[28:29]
	v_mul_lo_u32 v14, v14, s13
	v_mul_lo_u32 v15, v15, s12
	v_add3_u32 v27, v15, v27, v14
	v_mad_u64_u32 v[28:29], s[20:21], v12, s12, v[28:29]
	v_mul_lo_u32 v14, v12, s13
	v_mul_lo_u32 v15, v13, s12
	v_add3_u32 v29, v15, v29, v14
	global_load_ubyte v14, v[26:27], off
	global_load_ubyte v15, v[28:29], off
	s_waitcnt vmcnt(0)
	v_cmp_eq_u16_e32 vcc, v14, v15
	v_mov_b64_e32 v[14:15], 1
	s_and_saveexec_b64 s[20:21], vcc
	s_cbranch_execz .LBB61_503
; %bb.496:
	s_mov_b64 s[26:27], 1
	s_mov_b64 s[22:23], 0
                                        ; implicit-def: $sgpr24_sgpr25
	s_branch .LBB61_499
.LBB61_497:                             ;   in Loop: Header=BB61_499 Depth=1
	v_lshl_add_u64 v[14:15], v[26:27], 0, s[26:27]
	v_lshl_add_u64 v[30:31], v[28:29], 0, s[26:27]
	global_load_ubyte v32, v[14:15], off
	global_load_ubyte v33, v[30:31], off
	s_add_u32 s28, s26, 1
	s_addc_u32 s29, s27, 0
	s_andn2_b64 s[24:25], s[24:25], exec
	s_waitcnt vmcnt(0)
	v_cmp_ne_u16_e32 vcc, v32, v33
	s_and_b64 s[30:31], vcc, exec
	s_or_b64 s[24:25], s[24:25], s[30:31]
.LBB61_498:                             ;   in Loop: Header=BB61_499 Depth=1
	s_and_b64 s[30:31], exec, s[24:25]
	s_or_b64 s[22:23], s[30:31], s[22:23]
	v_mov_b64_e32 v[14:15], s[26:27]
	s_mov_b64 s[26:27], s[28:29]
	s_andn2_b64 exec, exec, s[22:23]
	s_cbranch_execz .LBB61_502
.LBB61_499:                             ; =>This Inner Loop Header: Depth=1
	s_or_b64 s[24:25], s[24:25], exec
	s_cmp_eq_u64 s[12:13], s[26:27]
	s_cbranch_scc0 .LBB61_497
; %bb.500:                              ;   in Loop: Header=BB61_499 Depth=1
                                        ; implicit-def: $sgpr28_sgpr29
	s_mov_b64 s[26:27], s[12:13]
	s_branch .LBB61_498
.LBB61_501:
	v_mov_b64_e32 v[14:15], 0
	s_branch .LBB61_504
.LBB61_502:
	s_or_b64 exec, exec, s[22:23]
	v_cmp_gt_i64_e32 vcc, s[12:13], v[14:15]
	s_mov_b32 s7, 0
	v_mov_b32_e32 v15, s7
	v_cndmask_b32_e64 v14, 0, 1, vcc
.LBB61_503:
	s_or_b64 exec, exec, s[20:21]
.LBB61_504:
	s_or_b64 exec, exec, s[4:5]
	v_add_u32_e32 v26, 5, v1
	v_cmp_gt_u32_e32 vcc, s10, v26
	s_and_saveexec_b64 s[4:5], vcc
	s_cbranch_execz .LBB61_515
; %bb.505:
	s_and_b64 vcc, exec, s[2:3]
	s_cbranch_vccnz .LBB61_512
; %bb.506:
	v_mov_b64_e32 v[28:29], s[14:15]
	s_waitcnt lgkmcnt(0)
	v_mad_u64_u32 v[26:27], s[20:21], v12, s12, v[28:29]
	v_mul_lo_u32 v12, v12, s13
	v_mul_lo_u32 v13, v13, s12
	v_add3_u32 v27, v13, v27, v12
	v_mad_u64_u32 v[28:29], s[20:21], v10, s12, v[28:29]
	v_mul_lo_u32 v12, v10, s13
	v_mul_lo_u32 v13, v11, s12
	v_add3_u32 v29, v13, v29, v12
	global_load_ubyte v12, v[26:27], off
	global_load_ubyte v13, v[28:29], off
	s_waitcnt vmcnt(0)
	v_cmp_eq_u16_e32 vcc, v12, v13
	v_mov_b64_e32 v[12:13], 1
	s_and_saveexec_b64 s[20:21], vcc
	s_cbranch_execz .LBB61_514
; %bb.507:
	s_mov_b64 s[26:27], 1
	s_mov_b64 s[22:23], 0
                                        ; implicit-def: $sgpr24_sgpr25
	s_branch .LBB61_510
.LBB61_508:                             ;   in Loop: Header=BB61_510 Depth=1
	v_lshl_add_u64 v[12:13], v[26:27], 0, s[26:27]
	v_lshl_add_u64 v[30:31], v[28:29], 0, s[26:27]
	global_load_ubyte v32, v[12:13], off
	global_load_ubyte v33, v[30:31], off
	s_add_u32 s28, s26, 1
	s_addc_u32 s29, s27, 0
	s_andn2_b64 s[24:25], s[24:25], exec
	s_waitcnt vmcnt(0)
	v_cmp_ne_u16_e32 vcc, v32, v33
	s_and_b64 s[30:31], vcc, exec
	s_or_b64 s[24:25], s[24:25], s[30:31]
.LBB61_509:                             ;   in Loop: Header=BB61_510 Depth=1
	s_and_b64 s[30:31], exec, s[24:25]
	s_or_b64 s[22:23], s[30:31], s[22:23]
	v_mov_b64_e32 v[12:13], s[26:27]
	s_mov_b64 s[26:27], s[28:29]
	s_andn2_b64 exec, exec, s[22:23]
	s_cbranch_execz .LBB61_513
.LBB61_510:                             ; =>This Inner Loop Header: Depth=1
	s_or_b64 s[24:25], s[24:25], exec
	s_cmp_eq_u64 s[12:13], s[26:27]
	s_cbranch_scc0 .LBB61_508
; %bb.511:                              ;   in Loop: Header=BB61_510 Depth=1
                                        ; implicit-def: $sgpr28_sgpr29
	s_mov_b64 s[26:27], s[12:13]
	s_branch .LBB61_509
.LBB61_512:
	v_mov_b64_e32 v[12:13], 0
	s_branch .LBB61_515
.LBB61_513:
	s_or_b64 exec, exec, s[22:23]
	v_cmp_gt_i64_e32 vcc, s[12:13], v[12:13]
	s_mov_b32 s7, 0
	v_mov_b32_e32 v13, s7
	v_cndmask_b32_e64 v12, 0, 1, vcc
.LBB61_514:
	s_or_b64 exec, exec, s[20:21]
.LBB61_515:
	s_or_b64 exec, exec, s[4:5]
	v_add_u32_e32 v26, 4, v1
	v_cmp_gt_u32_e32 vcc, s10, v26
	s_and_saveexec_b64 s[4:5], vcc
	s_cbranch_execz .LBB61_526
; %bb.516:
	s_and_b64 vcc, exec, s[2:3]
	s_cbranch_vccnz .LBB61_523
; %bb.517:
	v_mov_b64_e32 v[28:29], s[14:15]
	s_waitcnt lgkmcnt(0)
	v_mad_u64_u32 v[26:27], s[20:21], v10, s12, v[28:29]
	v_mul_lo_u32 v10, v10, s13
	v_mul_lo_u32 v11, v11, s12
	v_add3_u32 v27, v11, v27, v10
	v_mad_u64_u32 v[28:29], s[20:21], v8, s12, v[28:29]
	v_mul_lo_u32 v10, v8, s13
	v_mul_lo_u32 v11, v9, s12
	v_add3_u32 v29, v11, v29, v10
	global_load_ubyte v10, v[26:27], off
	global_load_ubyte v11, v[28:29], off
	s_waitcnt vmcnt(0)
	v_cmp_eq_u16_e32 vcc, v10, v11
	v_mov_b64_e32 v[10:11], 1
	s_and_saveexec_b64 s[20:21], vcc
	s_cbranch_execz .LBB61_525
; %bb.518:
	s_mov_b64 s[26:27], 1
	s_mov_b64 s[22:23], 0
                                        ; implicit-def: $sgpr24_sgpr25
	s_branch .LBB61_521
.LBB61_519:                             ;   in Loop: Header=BB61_521 Depth=1
	v_lshl_add_u64 v[10:11], v[26:27], 0, s[26:27]
	v_lshl_add_u64 v[30:31], v[28:29], 0, s[26:27]
	global_load_ubyte v32, v[10:11], off
	global_load_ubyte v33, v[30:31], off
	s_add_u32 s28, s26, 1
	s_addc_u32 s29, s27, 0
	s_andn2_b64 s[24:25], s[24:25], exec
	s_waitcnt vmcnt(0)
	v_cmp_ne_u16_e32 vcc, v32, v33
	s_and_b64 s[30:31], vcc, exec
	s_or_b64 s[24:25], s[24:25], s[30:31]
.LBB61_520:                             ;   in Loop: Header=BB61_521 Depth=1
	s_and_b64 s[30:31], exec, s[24:25]
	s_or_b64 s[22:23], s[30:31], s[22:23]
	v_mov_b64_e32 v[10:11], s[26:27]
	s_mov_b64 s[26:27], s[28:29]
	s_andn2_b64 exec, exec, s[22:23]
	s_cbranch_execz .LBB61_524
.LBB61_521:                             ; =>This Inner Loop Header: Depth=1
	s_or_b64 s[24:25], s[24:25], exec
	s_cmp_eq_u64 s[12:13], s[26:27]
	s_cbranch_scc0 .LBB61_519
; %bb.522:                              ;   in Loop: Header=BB61_521 Depth=1
                                        ; implicit-def: $sgpr28_sgpr29
	s_mov_b64 s[26:27], s[12:13]
	s_branch .LBB61_520
.LBB61_523:
	v_mov_b64_e32 v[10:11], 0
	s_branch .LBB61_526
.LBB61_524:
	s_or_b64 exec, exec, s[22:23]
	v_cmp_gt_i64_e32 vcc, s[12:13], v[10:11]
	s_mov_b32 s7, 0
	v_mov_b32_e32 v11, s7
	v_cndmask_b32_e64 v10, 0, 1, vcc
.LBB61_525:
	s_or_b64 exec, exec, s[20:21]
.LBB61_526:
	s_or_b64 exec, exec, s[4:5]
	v_add_u32_e32 v26, 3, v1
	v_cmp_gt_u32_e32 vcc, s10, v26
	s_and_saveexec_b64 s[4:5], vcc
	s_cbranch_execz .LBB61_537
; %bb.527:
	s_and_b64 vcc, exec, s[2:3]
	s_cbranch_vccnz .LBB61_534
; %bb.528:
	v_mov_b64_e32 v[28:29], s[14:15]
	s_waitcnt lgkmcnt(0)
	v_mad_u64_u32 v[26:27], s[20:21], v8, s12, v[28:29]
	v_mul_lo_u32 v8, v8, s13
	v_mul_lo_u32 v9, v9, s12
	v_add3_u32 v27, v9, v27, v8
	v_mad_u64_u32 v[28:29], s[20:21], v6, s12, v[28:29]
	v_mul_lo_u32 v8, v6, s13
	v_mul_lo_u32 v9, v7, s12
	v_add3_u32 v29, v9, v29, v8
	global_load_ubyte v8, v[26:27], off
	global_load_ubyte v9, v[28:29], off
	s_waitcnt vmcnt(0)
	v_cmp_eq_u16_e32 vcc, v8, v9
	v_mov_b64_e32 v[8:9], 1
	s_and_saveexec_b64 s[20:21], vcc
	s_cbranch_execz .LBB61_536
; %bb.529:
	s_mov_b64 s[26:27], 1
	s_mov_b64 s[22:23], 0
                                        ; implicit-def: $sgpr24_sgpr25
	s_branch .LBB61_532
.LBB61_530:                             ;   in Loop: Header=BB61_532 Depth=1
	v_lshl_add_u64 v[8:9], v[26:27], 0, s[26:27]
	v_lshl_add_u64 v[30:31], v[28:29], 0, s[26:27]
	global_load_ubyte v32, v[8:9], off
	global_load_ubyte v33, v[30:31], off
	s_add_u32 s28, s26, 1
	s_addc_u32 s29, s27, 0
	s_andn2_b64 s[24:25], s[24:25], exec
	s_waitcnt vmcnt(0)
	v_cmp_ne_u16_e32 vcc, v32, v33
	s_and_b64 s[30:31], vcc, exec
	s_or_b64 s[24:25], s[24:25], s[30:31]
.LBB61_531:                             ;   in Loop: Header=BB61_532 Depth=1
	s_and_b64 s[30:31], exec, s[24:25]
	s_or_b64 s[22:23], s[30:31], s[22:23]
	v_mov_b64_e32 v[8:9], s[26:27]
	s_mov_b64 s[26:27], s[28:29]
	s_andn2_b64 exec, exec, s[22:23]
	s_cbranch_execz .LBB61_535
.LBB61_532:                             ; =>This Inner Loop Header: Depth=1
	s_or_b64 s[24:25], s[24:25], exec
	s_cmp_eq_u64 s[12:13], s[26:27]
	s_cbranch_scc0 .LBB61_530
; %bb.533:                              ;   in Loop: Header=BB61_532 Depth=1
                                        ; implicit-def: $sgpr28_sgpr29
	s_mov_b64 s[26:27], s[12:13]
	s_branch .LBB61_531
.LBB61_534:
	v_mov_b64_e32 v[8:9], 0
	s_branch .LBB61_537
.LBB61_535:
	s_or_b64 exec, exec, s[22:23]
	v_cmp_gt_i64_e32 vcc, s[12:13], v[8:9]
	s_mov_b32 s7, 0
	v_mov_b32_e32 v9, s7
	v_cndmask_b32_e64 v8, 0, 1, vcc
.LBB61_536:
	s_or_b64 exec, exec, s[20:21]
.LBB61_537:
	s_or_b64 exec, exec, s[4:5]
	v_add_u32_e32 v26, 2, v1
	v_cmp_gt_u32_e32 vcc, s10, v26
	s_and_saveexec_b64 s[4:5], vcc
	s_cbranch_execz .LBB61_548
; %bb.538:
	s_and_b64 vcc, exec, s[2:3]
	s_cbranch_vccnz .LBB61_545
; %bb.539:
	v_mov_b64_e32 v[28:29], s[14:15]
	s_waitcnt lgkmcnt(0)
	v_mad_u64_u32 v[26:27], s[20:21], v6, s12, v[28:29]
	v_mul_lo_u32 v6, v6, s13
	v_mul_lo_u32 v7, v7, s12
	v_add3_u32 v27, v7, v27, v6
	v_mad_u64_u32 v[28:29], s[20:21], v4, s12, v[28:29]
	v_mul_lo_u32 v6, v4, s13
	v_mul_lo_u32 v7, v5, s12
	v_add3_u32 v29, v7, v29, v6
	global_load_ubyte v6, v[26:27], off
	global_load_ubyte v7, v[28:29], off
	s_waitcnt vmcnt(0)
	v_cmp_eq_u16_e32 vcc, v6, v7
	v_mov_b64_e32 v[6:7], 1
	s_and_saveexec_b64 s[20:21], vcc
	s_cbranch_execz .LBB61_547
; %bb.540:
	s_mov_b64 s[26:27], 1
	s_mov_b64 s[22:23], 0
                                        ; implicit-def: $sgpr24_sgpr25
	s_branch .LBB61_543
.LBB61_541:                             ;   in Loop: Header=BB61_543 Depth=1
	v_lshl_add_u64 v[6:7], v[26:27], 0, s[26:27]
	v_lshl_add_u64 v[30:31], v[28:29], 0, s[26:27]
	global_load_ubyte v32, v[6:7], off
	global_load_ubyte v33, v[30:31], off
	s_add_u32 s28, s26, 1
	s_addc_u32 s29, s27, 0
	s_andn2_b64 s[24:25], s[24:25], exec
	s_waitcnt vmcnt(0)
	v_cmp_ne_u16_e32 vcc, v32, v33
	s_and_b64 s[30:31], vcc, exec
	s_or_b64 s[24:25], s[24:25], s[30:31]
.LBB61_542:                             ;   in Loop: Header=BB61_543 Depth=1
	s_and_b64 s[30:31], exec, s[24:25]
	s_or_b64 s[22:23], s[30:31], s[22:23]
	v_mov_b64_e32 v[6:7], s[26:27]
	s_mov_b64 s[26:27], s[28:29]
	s_andn2_b64 exec, exec, s[22:23]
	s_cbranch_execz .LBB61_546
.LBB61_543:                             ; =>This Inner Loop Header: Depth=1
	s_or_b64 s[24:25], s[24:25], exec
	s_cmp_eq_u64 s[12:13], s[26:27]
	s_cbranch_scc0 .LBB61_541
; %bb.544:                              ;   in Loop: Header=BB61_543 Depth=1
                                        ; implicit-def: $sgpr28_sgpr29
	s_mov_b64 s[26:27], s[12:13]
	s_branch .LBB61_542
.LBB61_545:
	v_mov_b64_e32 v[6:7], 0
	s_branch .LBB61_548
.LBB61_546:
	s_or_b64 exec, exec, s[22:23]
	v_cmp_gt_i64_e32 vcc, s[12:13], v[6:7]
	s_mov_b32 s7, 0
	v_mov_b32_e32 v7, s7
	v_cndmask_b32_e64 v6, 0, 1, vcc
.LBB61_547:
	s_or_b64 exec, exec, s[20:21]
.LBB61_548:
	s_or_b64 exec, exec, s[4:5]
	v_add_u32_e32 v26, 1, v1
	v_cmp_gt_u32_e32 vcc, s10, v26
	s_and_saveexec_b64 s[4:5], vcc
	s_cbranch_execz .LBB61_559
; %bb.549:
	s_and_b64 vcc, exec, s[2:3]
	s_cbranch_vccnz .LBB61_556
; %bb.550:
	v_mov_b64_e32 v[28:29], s[14:15]
	s_waitcnt lgkmcnt(0)
	v_mad_u64_u32 v[26:27], s[20:21], v4, s12, v[28:29]
	v_mul_lo_u32 v4, v4, s13
	v_mul_lo_u32 v5, v5, s12
	v_add3_u32 v27, v5, v27, v4
	v_mad_u64_u32 v[28:29], s[20:21], v2, s12, v[28:29]
	v_mul_lo_u32 v4, v2, s13
	v_mul_lo_u32 v5, v3, s12
	v_add3_u32 v29, v5, v29, v4
	global_load_ubyte v4, v[26:27], off
	global_load_ubyte v5, v[28:29], off
	s_waitcnt vmcnt(0)
	v_cmp_eq_u16_e32 vcc, v4, v5
	v_mov_b64_e32 v[4:5], 1
	s_and_saveexec_b64 s[20:21], vcc
	s_cbranch_execz .LBB61_558
; %bb.551:
	s_mov_b64 s[26:27], 1
	s_mov_b64 s[22:23], 0
                                        ; implicit-def: $sgpr24_sgpr25
	s_branch .LBB61_554
.LBB61_552:                             ;   in Loop: Header=BB61_554 Depth=1
	v_lshl_add_u64 v[4:5], v[26:27], 0, s[26:27]
	v_lshl_add_u64 v[30:31], v[28:29], 0, s[26:27]
	global_load_ubyte v32, v[4:5], off
	global_load_ubyte v33, v[30:31], off
	s_add_u32 s28, s26, 1
	s_addc_u32 s29, s27, 0
	s_andn2_b64 s[24:25], s[24:25], exec
	s_waitcnt vmcnt(0)
	v_cmp_ne_u16_e32 vcc, v32, v33
	s_and_b64 s[30:31], vcc, exec
	s_or_b64 s[24:25], s[24:25], s[30:31]
.LBB61_553:                             ;   in Loop: Header=BB61_554 Depth=1
	s_and_b64 s[30:31], exec, s[24:25]
	s_or_b64 s[22:23], s[30:31], s[22:23]
	v_mov_b64_e32 v[4:5], s[26:27]
	s_mov_b64 s[26:27], s[28:29]
	s_andn2_b64 exec, exec, s[22:23]
	s_cbranch_execz .LBB61_557
.LBB61_554:                             ; =>This Inner Loop Header: Depth=1
	s_or_b64 s[24:25], s[24:25], exec
	s_cmp_eq_u64 s[12:13], s[26:27]
	s_cbranch_scc0 .LBB61_552
; %bb.555:                              ;   in Loop: Header=BB61_554 Depth=1
                                        ; implicit-def: $sgpr28_sgpr29
	s_mov_b64 s[26:27], s[12:13]
	s_branch .LBB61_553
.LBB61_556:
	v_mov_b64_e32 v[4:5], 0
	s_branch .LBB61_559
.LBB61_557:
	s_or_b64 exec, exec, s[22:23]
	v_cmp_gt_i64_e32 vcc, s[12:13], v[4:5]
	s_mov_b32 s7, 0
	v_mov_b32_e32 v5, s7
	v_cndmask_b32_e64 v4, 0, 1, vcc
.LBB61_558:
	s_or_b64 exec, exec, s[20:21]
.LBB61_559:
	s_or_b64 exec, exec, s[4:5]
	v_cmp_ne_u32_e32 vcc, 0, v0
	v_cmp_gt_u32_e64 s[4:5], s10, v1
	s_waitcnt lgkmcnt(0)
	s_and_b64 s[20:21], vcc, s[4:5]
	s_waitcnt lgkmcnt(0)
	; wave barrier
	s_waitcnt lgkmcnt(0)
                                        ; implicit-def: $sgpr24_sgpr25
	s_and_saveexec_b64 s[4:5], s[20:21]
	s_cbranch_execz .LBB61_571
; %bb.560:
	s_and_b64 vcc, exec, s[2:3]
	s_cbranch_vccnz .LBB61_567
; %bb.561:
	v_add_u32_e32 v1, -8, v48
	ds_read_b64 v[28:29], v1
	v_mov_b64_e32 v[30:31], s[14:15]
	v_mad_u64_u32 v[26:27], s[2:3], v2, s12, v[30:31]
	v_mul_lo_u32 v1, v2, s13
	v_mul_lo_u32 v2, v3, s12
	v_add3_u32 v27, v2, v27, v1
	s_waitcnt lgkmcnt(0)
	v_mul_lo_u32 v1, v28, s13
	v_mul_lo_u32 v29, v29, s12
	v_mad_u64_u32 v[2:3], s[2:3], v28, s12, v[30:31]
	v_add3_u32 v3, v29, v3, v1
	global_load_ubyte v1, v[26:27], off
	global_load_ubyte v28, v[2:3], off
	s_mov_b64 s[14:15], -1
	s_waitcnt vmcnt(0)
	v_cmp_eq_u16_e32 vcc, v1, v28
	s_and_saveexec_b64 s[2:3], vcc
	s_cbranch_execz .LBB61_569
; %bb.562:
	s_mov_b64 s[22:23], 1
	s_mov_b64 s[14:15], 0
                                        ; implicit-def: $sgpr20_sgpr21
	s_branch .LBB61_565
.LBB61_563:                             ;   in Loop: Header=BB61_565 Depth=1
	v_lshl_add_u64 v[28:29], v[26:27], 0, s[22:23]
	v_lshl_add_u64 v[30:31], v[2:3], 0, s[22:23]
	global_load_ubyte v1, v[28:29], off
	global_load_ubyte v32, v[30:31], off
	s_add_u32 s24, s22, 1
	s_addc_u32 s25, s23, 0
	s_andn2_b64 s[20:21], s[20:21], exec
	s_waitcnt vmcnt(0)
	v_cmp_ne_u16_e32 vcc, v1, v32
	s_and_b64 s[26:27], vcc, exec
	s_or_b64 s[20:21], s[20:21], s[26:27]
.LBB61_564:                             ;   in Loop: Header=BB61_565 Depth=1
	s_and_b64 s[26:27], exec, s[20:21]
	s_or_b64 s[14:15], s[26:27], s[14:15]
	v_mov_b64_e32 v[28:29], s[22:23]
	s_mov_b64 s[22:23], s[24:25]
	s_andn2_b64 exec, exec, s[14:15]
	s_cbranch_execz .LBB61_568
.LBB61_565:                             ; =>This Inner Loop Header: Depth=1
	s_or_b64 s[20:21], s[20:21], exec
	s_cmp_eq_u64 s[12:13], s[22:23]
	s_cbranch_scc0 .LBB61_563
; %bb.566:                              ;   in Loop: Header=BB61_565 Depth=1
                                        ; implicit-def: $sgpr24_sgpr25
	s_mov_b64 s[22:23], s[12:13]
	s_branch .LBB61_564
.LBB61_567:
	s_mov_b64 s[14:15], 0
	s_branch .LBB61_570
.LBB61_568:
	s_or_b64 exec, exec, s[14:15]
	v_cmp_gt_i64_e32 vcc, s[12:13], v[28:29]
	s_orn2_b64 s[14:15], vcc, exec
.LBB61_569:
	s_or_b64 exec, exec, s[2:3]
.LBB61_570:
	s_and_b64 s[24:25], s[14:15], exec
	s_or_b64 s[18:19], s[18:19], exec
.LBB61_571:
	s_or_b64 exec, exec, s[4:5]
	v_mov_b64_e32 v[50:51], v[44:45]
	v_mov_b64_e32 v[52:53], v[24:25]
	;; [unrolled: 1-line block ×23, first 2 shown]
.LBB61_572:
	s_and_saveexec_b64 s[2:3], s[18:19]
	s_cbranch_execz .LBB61_574
; %bb.573:
	s_mov_b32 s4, 0
	v_cndmask_b32_e64 v2, 0, 1, s[24:25]
	v_mov_b32_e32 v3, s4
	s_waitcnt lgkmcnt(0)
	v_mov_b64_e32 v[30:31], v[54:55]
	v_mov_b64_e32 v[80:81], v[56:57]
	;; [unrolled: 1-line block ×11, first 2 shown]
.LBB61_574:
	s_or_b64 exec, exec, s[2:3]
	s_add_u32 s4, s8, s16
	s_addc_u32 s5, s9, s17
	s_and_b64 vcc, exec, s[0:1]
	s_waitcnt lgkmcnt(0)
	; wave barrier
	s_waitcnt lgkmcnt(0)
	s_cbranch_vccz .LBB61_600
; %bb.575:
	s_movk_i32 s2, 0x68
	v_mul_u32_u24_e32 v1, 0x68, v0
	v_mov_b32_e32 v4, v82
	v_mov_b32_e32 v5, v83
	v_mul_i32_i24_e32 v28, 0xffffffa0, v0
	ds_write2_b64 v1, v[2:3], v[4:5] offset1:1
	ds_write2_b64 v1, v[74:75], v[42:43] offset0:2 offset1:3
	ds_write2_b64 v1, v[76:77], v[38:39] offset0:4 offset1:5
	;; [unrolled: 1-line block ×5, first 2 shown]
	ds_write_b64 v1, v[50:51] offset:96
	v_mad_u32_u24 v4, v0, s2, v28
	s_waitcnt lgkmcnt(0)
	; wave barrier
	s_waitcnt lgkmcnt(0)
	ds_read2st64_b64 v[44:47], v4 offset0:1 offset1:2
	ds_read2st64_b64 v[20:23], v4 offset0:3 offset1:4
	;; [unrolled: 1-line block ×6, first 2 shown]
	s_mov_b32 s7, 0
	s_add_i32 s11, s11, s10
	s_lshl_b64 s[0:1], s[6:7], 3
	s_add_u32 s0, s4, s0
	s_addc_u32 s1, s5, s1
	v_mov_b32_e32 v49, 0
	v_lshl_add_u64 v[24:25], s[0:1], 0, v[48:49]
	v_cmp_gt_u32_e32 vcc, s11, v0
	s_and_saveexec_b64 s[0:1], vcc
	s_cbranch_execz .LBB61_577
; %bb.576:
	v_add_u32_e32 v1, v1, v28
	ds_read_b64 v[28:29], v1
	s_waitcnt lgkmcnt(0)
	global_store_dwordx2 v[24:25], v[28:29], off
.LBB61_577:
	s_or_b64 exec, exec, s[0:1]
	v_or_b32_e32 v1, 64, v0
	v_cmp_gt_u32_e32 vcc, s11, v1
	s_and_saveexec_b64 s[0:1], vcc
	s_cbranch_execz .LBB61_579
; %bb.578:
	s_waitcnt lgkmcnt(5)
	global_store_dwordx2 v[24:25], v[44:45], off offset:512
.LBB61_579:
	s_or_b64 exec, exec, s[0:1]
	v_or_b32_e32 v1, 0x80, v0
	v_cmp_gt_u32_e32 vcc, s11, v1
	s_and_saveexec_b64 s[0:1], vcc
	s_cbranch_execz .LBB61_581
; %bb.580:
	s_waitcnt lgkmcnt(5)
	global_store_dwordx2 v[24:25], v[46:47], off offset:1024
.LBB61_581:
	;; [unrolled: 9-line block ×7, first 2 shown]
	s_or_b64 exec, exec, s[0:1]
	v_or_b32_e32 v1, 0x200, v0
	v_cmp_gt_u32_e32 vcc, s11, v1
	s_and_saveexec_b64 s[0:1], vcc
	s_cbranch_execz .LBB61_593
; %bb.592:
	s_waitcnt lgkmcnt(2)
	v_add_co_u32_e32 v12, vcc, 0x1000, v24
	s_nop 1
	v_addc_co_u32_e32 v13, vcc, 0, v25, vcc
	global_store_dwordx2 v[12:13], v[14:15], off
.LBB61_593:
	s_or_b64 exec, exec, s[0:1]
	v_or_b32_e32 v1, 0x240, v0
	v_cmp_gt_u32_e32 vcc, s11, v1
	s_and_saveexec_b64 s[0:1], vcc
	s_cbranch_execz .LBB61_595
; %bb.594:
	s_waitcnt lgkmcnt(2)
	v_add_co_u32_e32 v12, vcc, 0x1000, v24
	s_nop 1
	v_addc_co_u32_e32 v13, vcc, 0, v25, vcc
	s_waitcnt lgkmcnt(1)
	global_store_dwordx2 v[12:13], v[8:9], off offset:512
.LBB61_595:
	s_or_b64 exec, exec, s[0:1]
	v_or_b32_e32 v1, 0x280, v0
	v_cmp_gt_u32_e32 vcc, s11, v1
	s_and_saveexec_b64 s[0:1], vcc
	s_cbranch_execz .LBB61_597
; %bb.596:
	s_waitcnt lgkmcnt(1)
	v_add_co_u32_e32 v8, vcc, 0x1000, v24
	s_nop 1
	v_addc_co_u32_e32 v9, vcc, 0, v25, vcc
	global_store_dwordx2 v[8:9], v[10:11], off offset:1024
.LBB61_597:
	s_or_b64 exec, exec, s[0:1]
	v_or_b32_e32 v1, 0x2c0, v0
	v_cmp_gt_u32_e32 vcc, s11, v1
	s_and_saveexec_b64 s[0:1], vcc
	s_cbranch_execz .LBB61_599
; %bb.598:
	s_waitcnt lgkmcnt(1)
	v_add_co_u32_e32 v8, vcc, 0x1000, v24
	s_nop 1
	v_addc_co_u32_e32 v9, vcc, 0, v25, vcc
	s_waitcnt lgkmcnt(0)
	global_store_dwordx2 v[8:9], v[4:5], off offset:1536
.LBB61_599:
	s_or_b64 exec, exec, s[0:1]
	v_or_b32_e32 v1, 0x300, v0
	v_cmp_gt_u32_e64 s[0:1], s11, v1
	s_branch .LBB61_602
.LBB61_600:
	s_mov_b64 s[0:1], 0
                                        ; implicit-def: $vgpr6_vgpr7
                                        ; implicit-def: $vgpr24_vgpr25
	s_cbranch_execz .LBB61_602
; %bb.601:
	s_mov_b32 s7, 0
	s_lshl_b64 s[2:3], s[6:7], 3
	v_mul_u32_u24_e32 v1, 0x68, v0
	s_add_u32 s2, s4, s2
	s_movk_i32 s4, 0x68
	ds_write2_b64 v1, v[2:3], v[82:83] offset1:1
	ds_write2_b64 v1, v[74:75], v[42:43] offset0:2 offset1:3
	ds_write2_b64 v1, v[76:77], v[38:39] offset0:4 offset1:5
	;; [unrolled: 1-line block ×5, first 2 shown]
	ds_write_b64 v1, v[50:51] offset:96
	v_mul_i32_i24_e32 v1, 0xffffffa0, v0
	s_waitcnt lgkmcnt(7)
	v_mad_u32_u24 v4, v0, s4, v1
	s_addc_u32 s3, s5, s3
	s_waitcnt lgkmcnt(0)
	; wave barrier
	s_waitcnt lgkmcnt(0)
	ds_read2st64_b64 v[0:3], v4 offset1:1
	ds_read2st64_b64 v[8:11], v4 offset0:2 offset1:3
	ds_read2st64_b64 v[12:15], v4 offset0:4 offset1:5
	;; [unrolled: 1-line block ×5, first 2 shown]
	ds_read_b64 v[6:7], v4 offset:6144
	v_mov_b32_e32 v49, 0
	v_lshl_add_u64 v[24:25], s[2:3], 0, v[48:49]
	s_waitcnt lgkmcnt(6)
	global_store_dwordx2 v48, v[0:1], s[2:3]
	global_store_dwordx2 v48, v[2:3], s[2:3] offset:512
	s_waitcnt lgkmcnt(5)
	global_store_dwordx2 v48, v[8:9], s[2:3] offset:1024
	global_store_dwordx2 v48, v[10:11], s[2:3] offset:1536
	s_waitcnt lgkmcnt(4)
	global_store_dwordx2 v48, v[12:13], s[2:3] offset:2048
	;; [unrolled: 3-line block ×3, first 2 shown]
	global_store_dwordx2 v48, v[18:19], s[2:3] offset:3584
	v_add_co_u32_e32 v0, vcc, 0x1000, v24
	s_or_b64 s[0:1], s[0:1], exec
	s_nop 0
	v_addc_co_u32_e32 v1, vcc, 0, v25, vcc
	s_waitcnt lgkmcnt(2)
	global_store_dwordx2 v[0:1], v[20:21], off
	global_store_dwordx2 v[0:1], v[22:23], off offset:512
	s_waitcnt lgkmcnt(1)
	global_store_dwordx2 v[0:1], v[26:27], off offset:1024
	global_store_dwordx2 v[0:1], v[28:29], off offset:1536
.LBB61_602:
	s_and_saveexec_b64 s[2:3], s[0:1]
	s_cbranch_execnz .LBB61_604
; %bb.603:
	s_endpgm
.LBB61_604:
	v_add_co_u32_e32 v0, vcc, 0x1000, v24
	s_nop 1
	v_addc_co_u32_e32 v1, vcc, 0, v25, vcc
	s_waitcnt lgkmcnt(0)
	global_store_dwordx2 v[0:1], v[6:7], off offset:2048
	s_endpgm
	.section	.rodata,"a",@progbits
	.p2align	6, 0x0
	.amdhsa_kernel _ZN7rocprim17ROCPRIM_400000_NS6detail17trampoline_kernelINS0_14default_configENS1_35adjacent_difference_config_selectorILb0ElEEZNS1_24adjacent_difference_implIS3_Lb0ELb0EPlS7_ZN2at6native12_GLOBAL__N_124unique_dim_cuda_templateIhEESt5tupleIJNS8_6TensorESD_SD_EERKSD_lbbbEUlllE1_EE10hipError_tPvRmT2_T3_mT4_P12ihipStream_tbEUlT_E_NS1_11comp_targetILNS1_3genE5ELNS1_11target_archE942ELNS1_3gpuE9ELNS1_3repE0EEENS1_30default_config_static_selectorELNS0_4arch9wavefront6targetE1EEEvT1_
		.amdhsa_group_segment_fixed_size 6656
		.amdhsa_private_segment_fixed_size 0
		.amdhsa_kernarg_size 64
		.amdhsa_user_sgpr_count 2
		.amdhsa_user_sgpr_dispatch_ptr 0
		.amdhsa_user_sgpr_queue_ptr 0
		.amdhsa_user_sgpr_kernarg_segment_ptr 1
		.amdhsa_user_sgpr_dispatch_id 0
		.amdhsa_user_sgpr_kernarg_preload_length 0
		.amdhsa_user_sgpr_kernarg_preload_offset 0
		.amdhsa_user_sgpr_private_segment_size 0
		.amdhsa_uses_dynamic_stack 0
		.amdhsa_enable_private_segment 0
		.amdhsa_system_sgpr_workgroup_id_x 1
		.amdhsa_system_sgpr_workgroup_id_y 0
		.amdhsa_system_sgpr_workgroup_id_z 0
		.amdhsa_system_sgpr_workgroup_info 0
		.amdhsa_system_vgpr_workitem_id 0
		.amdhsa_next_free_vgpr 84
		.amdhsa_next_free_sgpr 38
		.amdhsa_accum_offset 84
		.amdhsa_reserve_vcc 1
		.amdhsa_float_round_mode_32 0
		.amdhsa_float_round_mode_16_64 0
		.amdhsa_float_denorm_mode_32 3
		.amdhsa_float_denorm_mode_16_64 3
		.amdhsa_dx10_clamp 1
		.amdhsa_ieee_mode 1
		.amdhsa_fp16_overflow 0
		.amdhsa_tg_split 0
		.amdhsa_exception_fp_ieee_invalid_op 0
		.amdhsa_exception_fp_denorm_src 0
		.amdhsa_exception_fp_ieee_div_zero 0
		.amdhsa_exception_fp_ieee_overflow 0
		.amdhsa_exception_fp_ieee_underflow 0
		.amdhsa_exception_fp_ieee_inexact 0
		.amdhsa_exception_int_div_zero 0
	.end_amdhsa_kernel
	.section	.text._ZN7rocprim17ROCPRIM_400000_NS6detail17trampoline_kernelINS0_14default_configENS1_35adjacent_difference_config_selectorILb0ElEEZNS1_24adjacent_difference_implIS3_Lb0ELb0EPlS7_ZN2at6native12_GLOBAL__N_124unique_dim_cuda_templateIhEESt5tupleIJNS8_6TensorESD_SD_EERKSD_lbbbEUlllE1_EE10hipError_tPvRmT2_T3_mT4_P12ihipStream_tbEUlT_E_NS1_11comp_targetILNS1_3genE5ELNS1_11target_archE942ELNS1_3gpuE9ELNS1_3repE0EEENS1_30default_config_static_selectorELNS0_4arch9wavefront6targetE1EEEvT1_,"axG",@progbits,_ZN7rocprim17ROCPRIM_400000_NS6detail17trampoline_kernelINS0_14default_configENS1_35adjacent_difference_config_selectorILb0ElEEZNS1_24adjacent_difference_implIS3_Lb0ELb0EPlS7_ZN2at6native12_GLOBAL__N_124unique_dim_cuda_templateIhEESt5tupleIJNS8_6TensorESD_SD_EERKSD_lbbbEUlllE1_EE10hipError_tPvRmT2_T3_mT4_P12ihipStream_tbEUlT_E_NS1_11comp_targetILNS1_3genE5ELNS1_11target_archE942ELNS1_3gpuE9ELNS1_3repE0EEENS1_30default_config_static_selectorELNS0_4arch9wavefront6targetE1EEEvT1_,comdat
.Lfunc_end61:
	.size	_ZN7rocprim17ROCPRIM_400000_NS6detail17trampoline_kernelINS0_14default_configENS1_35adjacent_difference_config_selectorILb0ElEEZNS1_24adjacent_difference_implIS3_Lb0ELb0EPlS7_ZN2at6native12_GLOBAL__N_124unique_dim_cuda_templateIhEESt5tupleIJNS8_6TensorESD_SD_EERKSD_lbbbEUlllE1_EE10hipError_tPvRmT2_T3_mT4_P12ihipStream_tbEUlT_E_NS1_11comp_targetILNS1_3genE5ELNS1_11target_archE942ELNS1_3gpuE9ELNS1_3repE0EEENS1_30default_config_static_selectorELNS0_4arch9wavefront6targetE1EEEvT1_, .Lfunc_end61-_ZN7rocprim17ROCPRIM_400000_NS6detail17trampoline_kernelINS0_14default_configENS1_35adjacent_difference_config_selectorILb0ElEEZNS1_24adjacent_difference_implIS3_Lb0ELb0EPlS7_ZN2at6native12_GLOBAL__N_124unique_dim_cuda_templateIhEESt5tupleIJNS8_6TensorESD_SD_EERKSD_lbbbEUlllE1_EE10hipError_tPvRmT2_T3_mT4_P12ihipStream_tbEUlT_E_NS1_11comp_targetILNS1_3genE5ELNS1_11target_archE942ELNS1_3gpuE9ELNS1_3repE0EEENS1_30default_config_static_selectorELNS0_4arch9wavefront6targetE1EEEvT1_
                                        ; -- End function
	.section	.AMDGPU.csdata,"",@progbits
; Kernel info:
; codeLenInByte = 16840
; NumSgprs: 44
; NumVgprs: 84
; NumAgprs: 0
; TotalNumVgprs: 84
; ScratchSize: 0
; MemoryBound: 0
; FloatMode: 240
; IeeeMode: 1
; LDSByteSize: 6656 bytes/workgroup (compile time only)
; SGPRBlocks: 5
; VGPRBlocks: 10
; NumSGPRsForWavesPerEU: 44
; NumVGPRsForWavesPerEU: 84
; AccumOffset: 84
; Occupancy: 3
; WaveLimiterHint : 1
; COMPUTE_PGM_RSRC2:SCRATCH_EN: 0
; COMPUTE_PGM_RSRC2:USER_SGPR: 2
; COMPUTE_PGM_RSRC2:TRAP_HANDLER: 0
; COMPUTE_PGM_RSRC2:TGID_X_EN: 1
; COMPUTE_PGM_RSRC2:TGID_Y_EN: 0
; COMPUTE_PGM_RSRC2:TGID_Z_EN: 0
; COMPUTE_PGM_RSRC2:TIDIG_COMP_CNT: 0
; COMPUTE_PGM_RSRC3_GFX90A:ACCUM_OFFSET: 20
; COMPUTE_PGM_RSRC3_GFX90A:TG_SPLIT: 0
	.section	.text._ZN7rocprim17ROCPRIM_400000_NS6detail17trampoline_kernelINS0_14default_configENS1_35adjacent_difference_config_selectorILb0ElEEZNS1_24adjacent_difference_implIS3_Lb0ELb0EPlS7_ZN2at6native12_GLOBAL__N_124unique_dim_cuda_templateIhEESt5tupleIJNS8_6TensorESD_SD_EERKSD_lbbbEUlllE1_EE10hipError_tPvRmT2_T3_mT4_P12ihipStream_tbEUlT_E_NS1_11comp_targetILNS1_3genE4ELNS1_11target_archE910ELNS1_3gpuE8ELNS1_3repE0EEENS1_30default_config_static_selectorELNS0_4arch9wavefront6targetE1EEEvT1_,"axG",@progbits,_ZN7rocprim17ROCPRIM_400000_NS6detail17trampoline_kernelINS0_14default_configENS1_35adjacent_difference_config_selectorILb0ElEEZNS1_24adjacent_difference_implIS3_Lb0ELb0EPlS7_ZN2at6native12_GLOBAL__N_124unique_dim_cuda_templateIhEESt5tupleIJNS8_6TensorESD_SD_EERKSD_lbbbEUlllE1_EE10hipError_tPvRmT2_T3_mT4_P12ihipStream_tbEUlT_E_NS1_11comp_targetILNS1_3genE4ELNS1_11target_archE910ELNS1_3gpuE8ELNS1_3repE0EEENS1_30default_config_static_selectorELNS0_4arch9wavefront6targetE1EEEvT1_,comdat
	.globl	_ZN7rocprim17ROCPRIM_400000_NS6detail17trampoline_kernelINS0_14default_configENS1_35adjacent_difference_config_selectorILb0ElEEZNS1_24adjacent_difference_implIS3_Lb0ELb0EPlS7_ZN2at6native12_GLOBAL__N_124unique_dim_cuda_templateIhEESt5tupleIJNS8_6TensorESD_SD_EERKSD_lbbbEUlllE1_EE10hipError_tPvRmT2_T3_mT4_P12ihipStream_tbEUlT_E_NS1_11comp_targetILNS1_3genE4ELNS1_11target_archE910ELNS1_3gpuE8ELNS1_3repE0EEENS1_30default_config_static_selectorELNS0_4arch9wavefront6targetE1EEEvT1_ ; -- Begin function _ZN7rocprim17ROCPRIM_400000_NS6detail17trampoline_kernelINS0_14default_configENS1_35adjacent_difference_config_selectorILb0ElEEZNS1_24adjacent_difference_implIS3_Lb0ELb0EPlS7_ZN2at6native12_GLOBAL__N_124unique_dim_cuda_templateIhEESt5tupleIJNS8_6TensorESD_SD_EERKSD_lbbbEUlllE1_EE10hipError_tPvRmT2_T3_mT4_P12ihipStream_tbEUlT_E_NS1_11comp_targetILNS1_3genE4ELNS1_11target_archE910ELNS1_3gpuE8ELNS1_3repE0EEENS1_30default_config_static_selectorELNS0_4arch9wavefront6targetE1EEEvT1_
	.p2align	8
	.type	_ZN7rocprim17ROCPRIM_400000_NS6detail17trampoline_kernelINS0_14default_configENS1_35adjacent_difference_config_selectorILb0ElEEZNS1_24adjacent_difference_implIS3_Lb0ELb0EPlS7_ZN2at6native12_GLOBAL__N_124unique_dim_cuda_templateIhEESt5tupleIJNS8_6TensorESD_SD_EERKSD_lbbbEUlllE1_EE10hipError_tPvRmT2_T3_mT4_P12ihipStream_tbEUlT_E_NS1_11comp_targetILNS1_3genE4ELNS1_11target_archE910ELNS1_3gpuE8ELNS1_3repE0EEENS1_30default_config_static_selectorELNS0_4arch9wavefront6targetE1EEEvT1_,@function
_ZN7rocprim17ROCPRIM_400000_NS6detail17trampoline_kernelINS0_14default_configENS1_35adjacent_difference_config_selectorILb0ElEEZNS1_24adjacent_difference_implIS3_Lb0ELb0EPlS7_ZN2at6native12_GLOBAL__N_124unique_dim_cuda_templateIhEESt5tupleIJNS8_6TensorESD_SD_EERKSD_lbbbEUlllE1_EE10hipError_tPvRmT2_T3_mT4_P12ihipStream_tbEUlT_E_NS1_11comp_targetILNS1_3genE4ELNS1_11target_archE910ELNS1_3gpuE8ELNS1_3repE0EEENS1_30default_config_static_selectorELNS0_4arch9wavefront6targetE1EEEvT1_: ; @_ZN7rocprim17ROCPRIM_400000_NS6detail17trampoline_kernelINS0_14default_configENS1_35adjacent_difference_config_selectorILb0ElEEZNS1_24adjacent_difference_implIS3_Lb0ELb0EPlS7_ZN2at6native12_GLOBAL__N_124unique_dim_cuda_templateIhEESt5tupleIJNS8_6TensorESD_SD_EERKSD_lbbbEUlllE1_EE10hipError_tPvRmT2_T3_mT4_P12ihipStream_tbEUlT_E_NS1_11comp_targetILNS1_3genE4ELNS1_11target_archE910ELNS1_3gpuE8ELNS1_3repE0EEENS1_30default_config_static_selectorELNS0_4arch9wavefront6targetE1EEEvT1_
; %bb.0:
	.section	.rodata,"a",@progbits
	.p2align	6, 0x0
	.amdhsa_kernel _ZN7rocprim17ROCPRIM_400000_NS6detail17trampoline_kernelINS0_14default_configENS1_35adjacent_difference_config_selectorILb0ElEEZNS1_24adjacent_difference_implIS3_Lb0ELb0EPlS7_ZN2at6native12_GLOBAL__N_124unique_dim_cuda_templateIhEESt5tupleIJNS8_6TensorESD_SD_EERKSD_lbbbEUlllE1_EE10hipError_tPvRmT2_T3_mT4_P12ihipStream_tbEUlT_E_NS1_11comp_targetILNS1_3genE4ELNS1_11target_archE910ELNS1_3gpuE8ELNS1_3repE0EEENS1_30default_config_static_selectorELNS0_4arch9wavefront6targetE1EEEvT1_
		.amdhsa_group_segment_fixed_size 0
		.amdhsa_private_segment_fixed_size 0
		.amdhsa_kernarg_size 64
		.amdhsa_user_sgpr_count 2
		.amdhsa_user_sgpr_dispatch_ptr 0
		.amdhsa_user_sgpr_queue_ptr 0
		.amdhsa_user_sgpr_kernarg_segment_ptr 1
		.amdhsa_user_sgpr_dispatch_id 0
		.amdhsa_user_sgpr_kernarg_preload_length 0
		.amdhsa_user_sgpr_kernarg_preload_offset 0
		.amdhsa_user_sgpr_private_segment_size 0
		.amdhsa_uses_dynamic_stack 0
		.amdhsa_enable_private_segment 0
		.amdhsa_system_sgpr_workgroup_id_x 1
		.amdhsa_system_sgpr_workgroup_id_y 0
		.amdhsa_system_sgpr_workgroup_id_z 0
		.amdhsa_system_sgpr_workgroup_info 0
		.amdhsa_system_vgpr_workitem_id 0
		.amdhsa_next_free_vgpr 1
		.amdhsa_next_free_sgpr 0
		.amdhsa_accum_offset 4
		.amdhsa_reserve_vcc 0
		.amdhsa_float_round_mode_32 0
		.amdhsa_float_round_mode_16_64 0
		.amdhsa_float_denorm_mode_32 3
		.amdhsa_float_denorm_mode_16_64 3
		.amdhsa_dx10_clamp 1
		.amdhsa_ieee_mode 1
		.amdhsa_fp16_overflow 0
		.amdhsa_tg_split 0
		.amdhsa_exception_fp_ieee_invalid_op 0
		.amdhsa_exception_fp_denorm_src 0
		.amdhsa_exception_fp_ieee_div_zero 0
		.amdhsa_exception_fp_ieee_overflow 0
		.amdhsa_exception_fp_ieee_underflow 0
		.amdhsa_exception_fp_ieee_inexact 0
		.amdhsa_exception_int_div_zero 0
	.end_amdhsa_kernel
	.section	.text._ZN7rocprim17ROCPRIM_400000_NS6detail17trampoline_kernelINS0_14default_configENS1_35adjacent_difference_config_selectorILb0ElEEZNS1_24adjacent_difference_implIS3_Lb0ELb0EPlS7_ZN2at6native12_GLOBAL__N_124unique_dim_cuda_templateIhEESt5tupleIJNS8_6TensorESD_SD_EERKSD_lbbbEUlllE1_EE10hipError_tPvRmT2_T3_mT4_P12ihipStream_tbEUlT_E_NS1_11comp_targetILNS1_3genE4ELNS1_11target_archE910ELNS1_3gpuE8ELNS1_3repE0EEENS1_30default_config_static_selectorELNS0_4arch9wavefront6targetE1EEEvT1_,"axG",@progbits,_ZN7rocprim17ROCPRIM_400000_NS6detail17trampoline_kernelINS0_14default_configENS1_35adjacent_difference_config_selectorILb0ElEEZNS1_24adjacent_difference_implIS3_Lb0ELb0EPlS7_ZN2at6native12_GLOBAL__N_124unique_dim_cuda_templateIhEESt5tupleIJNS8_6TensorESD_SD_EERKSD_lbbbEUlllE1_EE10hipError_tPvRmT2_T3_mT4_P12ihipStream_tbEUlT_E_NS1_11comp_targetILNS1_3genE4ELNS1_11target_archE910ELNS1_3gpuE8ELNS1_3repE0EEENS1_30default_config_static_selectorELNS0_4arch9wavefront6targetE1EEEvT1_,comdat
.Lfunc_end62:
	.size	_ZN7rocprim17ROCPRIM_400000_NS6detail17trampoline_kernelINS0_14default_configENS1_35adjacent_difference_config_selectorILb0ElEEZNS1_24adjacent_difference_implIS3_Lb0ELb0EPlS7_ZN2at6native12_GLOBAL__N_124unique_dim_cuda_templateIhEESt5tupleIJNS8_6TensorESD_SD_EERKSD_lbbbEUlllE1_EE10hipError_tPvRmT2_T3_mT4_P12ihipStream_tbEUlT_E_NS1_11comp_targetILNS1_3genE4ELNS1_11target_archE910ELNS1_3gpuE8ELNS1_3repE0EEENS1_30default_config_static_selectorELNS0_4arch9wavefront6targetE1EEEvT1_, .Lfunc_end62-_ZN7rocprim17ROCPRIM_400000_NS6detail17trampoline_kernelINS0_14default_configENS1_35adjacent_difference_config_selectorILb0ElEEZNS1_24adjacent_difference_implIS3_Lb0ELb0EPlS7_ZN2at6native12_GLOBAL__N_124unique_dim_cuda_templateIhEESt5tupleIJNS8_6TensorESD_SD_EERKSD_lbbbEUlllE1_EE10hipError_tPvRmT2_T3_mT4_P12ihipStream_tbEUlT_E_NS1_11comp_targetILNS1_3genE4ELNS1_11target_archE910ELNS1_3gpuE8ELNS1_3repE0EEENS1_30default_config_static_selectorELNS0_4arch9wavefront6targetE1EEEvT1_
                                        ; -- End function
	.section	.AMDGPU.csdata,"",@progbits
; Kernel info:
; codeLenInByte = 0
; NumSgprs: 6
; NumVgprs: 0
; NumAgprs: 0
; TotalNumVgprs: 0
; ScratchSize: 0
; MemoryBound: 0
; FloatMode: 240
; IeeeMode: 1
; LDSByteSize: 0 bytes/workgroup (compile time only)
; SGPRBlocks: 0
; VGPRBlocks: 0
; NumSGPRsForWavesPerEU: 6
; NumVGPRsForWavesPerEU: 1
; AccumOffset: 4
; Occupancy: 8
; WaveLimiterHint : 0
; COMPUTE_PGM_RSRC2:SCRATCH_EN: 0
; COMPUTE_PGM_RSRC2:USER_SGPR: 2
; COMPUTE_PGM_RSRC2:TRAP_HANDLER: 0
; COMPUTE_PGM_RSRC2:TGID_X_EN: 1
; COMPUTE_PGM_RSRC2:TGID_Y_EN: 0
; COMPUTE_PGM_RSRC2:TGID_Z_EN: 0
; COMPUTE_PGM_RSRC2:TIDIG_COMP_CNT: 0
; COMPUTE_PGM_RSRC3_GFX90A:ACCUM_OFFSET: 0
; COMPUTE_PGM_RSRC3_GFX90A:TG_SPLIT: 0
	.section	.text._ZN7rocprim17ROCPRIM_400000_NS6detail17trampoline_kernelINS0_14default_configENS1_35adjacent_difference_config_selectorILb0ElEEZNS1_24adjacent_difference_implIS3_Lb0ELb0EPlS7_ZN2at6native12_GLOBAL__N_124unique_dim_cuda_templateIhEESt5tupleIJNS8_6TensorESD_SD_EERKSD_lbbbEUlllE1_EE10hipError_tPvRmT2_T3_mT4_P12ihipStream_tbEUlT_E_NS1_11comp_targetILNS1_3genE3ELNS1_11target_archE908ELNS1_3gpuE7ELNS1_3repE0EEENS1_30default_config_static_selectorELNS0_4arch9wavefront6targetE1EEEvT1_,"axG",@progbits,_ZN7rocprim17ROCPRIM_400000_NS6detail17trampoline_kernelINS0_14default_configENS1_35adjacent_difference_config_selectorILb0ElEEZNS1_24adjacent_difference_implIS3_Lb0ELb0EPlS7_ZN2at6native12_GLOBAL__N_124unique_dim_cuda_templateIhEESt5tupleIJNS8_6TensorESD_SD_EERKSD_lbbbEUlllE1_EE10hipError_tPvRmT2_T3_mT4_P12ihipStream_tbEUlT_E_NS1_11comp_targetILNS1_3genE3ELNS1_11target_archE908ELNS1_3gpuE7ELNS1_3repE0EEENS1_30default_config_static_selectorELNS0_4arch9wavefront6targetE1EEEvT1_,comdat
	.globl	_ZN7rocprim17ROCPRIM_400000_NS6detail17trampoline_kernelINS0_14default_configENS1_35adjacent_difference_config_selectorILb0ElEEZNS1_24adjacent_difference_implIS3_Lb0ELb0EPlS7_ZN2at6native12_GLOBAL__N_124unique_dim_cuda_templateIhEESt5tupleIJNS8_6TensorESD_SD_EERKSD_lbbbEUlllE1_EE10hipError_tPvRmT2_T3_mT4_P12ihipStream_tbEUlT_E_NS1_11comp_targetILNS1_3genE3ELNS1_11target_archE908ELNS1_3gpuE7ELNS1_3repE0EEENS1_30default_config_static_selectorELNS0_4arch9wavefront6targetE1EEEvT1_ ; -- Begin function _ZN7rocprim17ROCPRIM_400000_NS6detail17trampoline_kernelINS0_14default_configENS1_35adjacent_difference_config_selectorILb0ElEEZNS1_24adjacent_difference_implIS3_Lb0ELb0EPlS7_ZN2at6native12_GLOBAL__N_124unique_dim_cuda_templateIhEESt5tupleIJNS8_6TensorESD_SD_EERKSD_lbbbEUlllE1_EE10hipError_tPvRmT2_T3_mT4_P12ihipStream_tbEUlT_E_NS1_11comp_targetILNS1_3genE3ELNS1_11target_archE908ELNS1_3gpuE7ELNS1_3repE0EEENS1_30default_config_static_selectorELNS0_4arch9wavefront6targetE1EEEvT1_
	.p2align	8
	.type	_ZN7rocprim17ROCPRIM_400000_NS6detail17trampoline_kernelINS0_14default_configENS1_35adjacent_difference_config_selectorILb0ElEEZNS1_24adjacent_difference_implIS3_Lb0ELb0EPlS7_ZN2at6native12_GLOBAL__N_124unique_dim_cuda_templateIhEESt5tupleIJNS8_6TensorESD_SD_EERKSD_lbbbEUlllE1_EE10hipError_tPvRmT2_T3_mT4_P12ihipStream_tbEUlT_E_NS1_11comp_targetILNS1_3genE3ELNS1_11target_archE908ELNS1_3gpuE7ELNS1_3repE0EEENS1_30default_config_static_selectorELNS0_4arch9wavefront6targetE1EEEvT1_,@function
_ZN7rocprim17ROCPRIM_400000_NS6detail17trampoline_kernelINS0_14default_configENS1_35adjacent_difference_config_selectorILb0ElEEZNS1_24adjacent_difference_implIS3_Lb0ELb0EPlS7_ZN2at6native12_GLOBAL__N_124unique_dim_cuda_templateIhEESt5tupleIJNS8_6TensorESD_SD_EERKSD_lbbbEUlllE1_EE10hipError_tPvRmT2_T3_mT4_P12ihipStream_tbEUlT_E_NS1_11comp_targetILNS1_3genE3ELNS1_11target_archE908ELNS1_3gpuE7ELNS1_3repE0EEENS1_30default_config_static_selectorELNS0_4arch9wavefront6targetE1EEEvT1_: ; @_ZN7rocprim17ROCPRIM_400000_NS6detail17trampoline_kernelINS0_14default_configENS1_35adjacent_difference_config_selectorILb0ElEEZNS1_24adjacent_difference_implIS3_Lb0ELb0EPlS7_ZN2at6native12_GLOBAL__N_124unique_dim_cuda_templateIhEESt5tupleIJNS8_6TensorESD_SD_EERKSD_lbbbEUlllE1_EE10hipError_tPvRmT2_T3_mT4_P12ihipStream_tbEUlT_E_NS1_11comp_targetILNS1_3genE3ELNS1_11target_archE908ELNS1_3gpuE7ELNS1_3repE0EEENS1_30default_config_static_selectorELNS0_4arch9wavefront6targetE1EEEvT1_
; %bb.0:
	.section	.rodata,"a",@progbits
	.p2align	6, 0x0
	.amdhsa_kernel _ZN7rocprim17ROCPRIM_400000_NS6detail17trampoline_kernelINS0_14default_configENS1_35adjacent_difference_config_selectorILb0ElEEZNS1_24adjacent_difference_implIS3_Lb0ELb0EPlS7_ZN2at6native12_GLOBAL__N_124unique_dim_cuda_templateIhEESt5tupleIJNS8_6TensorESD_SD_EERKSD_lbbbEUlllE1_EE10hipError_tPvRmT2_T3_mT4_P12ihipStream_tbEUlT_E_NS1_11comp_targetILNS1_3genE3ELNS1_11target_archE908ELNS1_3gpuE7ELNS1_3repE0EEENS1_30default_config_static_selectorELNS0_4arch9wavefront6targetE1EEEvT1_
		.amdhsa_group_segment_fixed_size 0
		.amdhsa_private_segment_fixed_size 0
		.amdhsa_kernarg_size 64
		.amdhsa_user_sgpr_count 2
		.amdhsa_user_sgpr_dispatch_ptr 0
		.amdhsa_user_sgpr_queue_ptr 0
		.amdhsa_user_sgpr_kernarg_segment_ptr 1
		.amdhsa_user_sgpr_dispatch_id 0
		.amdhsa_user_sgpr_kernarg_preload_length 0
		.amdhsa_user_sgpr_kernarg_preload_offset 0
		.amdhsa_user_sgpr_private_segment_size 0
		.amdhsa_uses_dynamic_stack 0
		.amdhsa_enable_private_segment 0
		.amdhsa_system_sgpr_workgroup_id_x 1
		.amdhsa_system_sgpr_workgroup_id_y 0
		.amdhsa_system_sgpr_workgroup_id_z 0
		.amdhsa_system_sgpr_workgroup_info 0
		.amdhsa_system_vgpr_workitem_id 0
		.amdhsa_next_free_vgpr 1
		.amdhsa_next_free_sgpr 0
		.amdhsa_accum_offset 4
		.amdhsa_reserve_vcc 0
		.amdhsa_float_round_mode_32 0
		.amdhsa_float_round_mode_16_64 0
		.amdhsa_float_denorm_mode_32 3
		.amdhsa_float_denorm_mode_16_64 3
		.amdhsa_dx10_clamp 1
		.amdhsa_ieee_mode 1
		.amdhsa_fp16_overflow 0
		.amdhsa_tg_split 0
		.amdhsa_exception_fp_ieee_invalid_op 0
		.amdhsa_exception_fp_denorm_src 0
		.amdhsa_exception_fp_ieee_div_zero 0
		.amdhsa_exception_fp_ieee_overflow 0
		.amdhsa_exception_fp_ieee_underflow 0
		.amdhsa_exception_fp_ieee_inexact 0
		.amdhsa_exception_int_div_zero 0
	.end_amdhsa_kernel
	.section	.text._ZN7rocprim17ROCPRIM_400000_NS6detail17trampoline_kernelINS0_14default_configENS1_35adjacent_difference_config_selectorILb0ElEEZNS1_24adjacent_difference_implIS3_Lb0ELb0EPlS7_ZN2at6native12_GLOBAL__N_124unique_dim_cuda_templateIhEESt5tupleIJNS8_6TensorESD_SD_EERKSD_lbbbEUlllE1_EE10hipError_tPvRmT2_T3_mT4_P12ihipStream_tbEUlT_E_NS1_11comp_targetILNS1_3genE3ELNS1_11target_archE908ELNS1_3gpuE7ELNS1_3repE0EEENS1_30default_config_static_selectorELNS0_4arch9wavefront6targetE1EEEvT1_,"axG",@progbits,_ZN7rocprim17ROCPRIM_400000_NS6detail17trampoline_kernelINS0_14default_configENS1_35adjacent_difference_config_selectorILb0ElEEZNS1_24adjacent_difference_implIS3_Lb0ELb0EPlS7_ZN2at6native12_GLOBAL__N_124unique_dim_cuda_templateIhEESt5tupleIJNS8_6TensorESD_SD_EERKSD_lbbbEUlllE1_EE10hipError_tPvRmT2_T3_mT4_P12ihipStream_tbEUlT_E_NS1_11comp_targetILNS1_3genE3ELNS1_11target_archE908ELNS1_3gpuE7ELNS1_3repE0EEENS1_30default_config_static_selectorELNS0_4arch9wavefront6targetE1EEEvT1_,comdat
.Lfunc_end63:
	.size	_ZN7rocprim17ROCPRIM_400000_NS6detail17trampoline_kernelINS0_14default_configENS1_35adjacent_difference_config_selectorILb0ElEEZNS1_24adjacent_difference_implIS3_Lb0ELb0EPlS7_ZN2at6native12_GLOBAL__N_124unique_dim_cuda_templateIhEESt5tupleIJNS8_6TensorESD_SD_EERKSD_lbbbEUlllE1_EE10hipError_tPvRmT2_T3_mT4_P12ihipStream_tbEUlT_E_NS1_11comp_targetILNS1_3genE3ELNS1_11target_archE908ELNS1_3gpuE7ELNS1_3repE0EEENS1_30default_config_static_selectorELNS0_4arch9wavefront6targetE1EEEvT1_, .Lfunc_end63-_ZN7rocprim17ROCPRIM_400000_NS6detail17trampoline_kernelINS0_14default_configENS1_35adjacent_difference_config_selectorILb0ElEEZNS1_24adjacent_difference_implIS3_Lb0ELb0EPlS7_ZN2at6native12_GLOBAL__N_124unique_dim_cuda_templateIhEESt5tupleIJNS8_6TensorESD_SD_EERKSD_lbbbEUlllE1_EE10hipError_tPvRmT2_T3_mT4_P12ihipStream_tbEUlT_E_NS1_11comp_targetILNS1_3genE3ELNS1_11target_archE908ELNS1_3gpuE7ELNS1_3repE0EEENS1_30default_config_static_selectorELNS0_4arch9wavefront6targetE1EEEvT1_
                                        ; -- End function
	.section	.AMDGPU.csdata,"",@progbits
; Kernel info:
; codeLenInByte = 0
; NumSgprs: 6
; NumVgprs: 0
; NumAgprs: 0
; TotalNumVgprs: 0
; ScratchSize: 0
; MemoryBound: 0
; FloatMode: 240
; IeeeMode: 1
; LDSByteSize: 0 bytes/workgroup (compile time only)
; SGPRBlocks: 0
; VGPRBlocks: 0
; NumSGPRsForWavesPerEU: 6
; NumVGPRsForWavesPerEU: 1
; AccumOffset: 4
; Occupancy: 8
; WaveLimiterHint : 0
; COMPUTE_PGM_RSRC2:SCRATCH_EN: 0
; COMPUTE_PGM_RSRC2:USER_SGPR: 2
; COMPUTE_PGM_RSRC2:TRAP_HANDLER: 0
; COMPUTE_PGM_RSRC2:TGID_X_EN: 1
; COMPUTE_PGM_RSRC2:TGID_Y_EN: 0
; COMPUTE_PGM_RSRC2:TGID_Z_EN: 0
; COMPUTE_PGM_RSRC2:TIDIG_COMP_CNT: 0
; COMPUTE_PGM_RSRC3_GFX90A:ACCUM_OFFSET: 0
; COMPUTE_PGM_RSRC3_GFX90A:TG_SPLIT: 0
	.section	.text._ZN7rocprim17ROCPRIM_400000_NS6detail17trampoline_kernelINS0_14default_configENS1_35adjacent_difference_config_selectorILb0ElEEZNS1_24adjacent_difference_implIS3_Lb0ELb0EPlS7_ZN2at6native12_GLOBAL__N_124unique_dim_cuda_templateIhEESt5tupleIJNS8_6TensorESD_SD_EERKSD_lbbbEUlllE1_EE10hipError_tPvRmT2_T3_mT4_P12ihipStream_tbEUlT_E_NS1_11comp_targetILNS1_3genE2ELNS1_11target_archE906ELNS1_3gpuE6ELNS1_3repE0EEENS1_30default_config_static_selectorELNS0_4arch9wavefront6targetE1EEEvT1_,"axG",@progbits,_ZN7rocprim17ROCPRIM_400000_NS6detail17trampoline_kernelINS0_14default_configENS1_35adjacent_difference_config_selectorILb0ElEEZNS1_24adjacent_difference_implIS3_Lb0ELb0EPlS7_ZN2at6native12_GLOBAL__N_124unique_dim_cuda_templateIhEESt5tupleIJNS8_6TensorESD_SD_EERKSD_lbbbEUlllE1_EE10hipError_tPvRmT2_T3_mT4_P12ihipStream_tbEUlT_E_NS1_11comp_targetILNS1_3genE2ELNS1_11target_archE906ELNS1_3gpuE6ELNS1_3repE0EEENS1_30default_config_static_selectorELNS0_4arch9wavefront6targetE1EEEvT1_,comdat
	.globl	_ZN7rocprim17ROCPRIM_400000_NS6detail17trampoline_kernelINS0_14default_configENS1_35adjacent_difference_config_selectorILb0ElEEZNS1_24adjacent_difference_implIS3_Lb0ELb0EPlS7_ZN2at6native12_GLOBAL__N_124unique_dim_cuda_templateIhEESt5tupleIJNS8_6TensorESD_SD_EERKSD_lbbbEUlllE1_EE10hipError_tPvRmT2_T3_mT4_P12ihipStream_tbEUlT_E_NS1_11comp_targetILNS1_3genE2ELNS1_11target_archE906ELNS1_3gpuE6ELNS1_3repE0EEENS1_30default_config_static_selectorELNS0_4arch9wavefront6targetE1EEEvT1_ ; -- Begin function _ZN7rocprim17ROCPRIM_400000_NS6detail17trampoline_kernelINS0_14default_configENS1_35adjacent_difference_config_selectorILb0ElEEZNS1_24adjacent_difference_implIS3_Lb0ELb0EPlS7_ZN2at6native12_GLOBAL__N_124unique_dim_cuda_templateIhEESt5tupleIJNS8_6TensorESD_SD_EERKSD_lbbbEUlllE1_EE10hipError_tPvRmT2_T3_mT4_P12ihipStream_tbEUlT_E_NS1_11comp_targetILNS1_3genE2ELNS1_11target_archE906ELNS1_3gpuE6ELNS1_3repE0EEENS1_30default_config_static_selectorELNS0_4arch9wavefront6targetE1EEEvT1_
	.p2align	8
	.type	_ZN7rocprim17ROCPRIM_400000_NS6detail17trampoline_kernelINS0_14default_configENS1_35adjacent_difference_config_selectorILb0ElEEZNS1_24adjacent_difference_implIS3_Lb0ELb0EPlS7_ZN2at6native12_GLOBAL__N_124unique_dim_cuda_templateIhEESt5tupleIJNS8_6TensorESD_SD_EERKSD_lbbbEUlllE1_EE10hipError_tPvRmT2_T3_mT4_P12ihipStream_tbEUlT_E_NS1_11comp_targetILNS1_3genE2ELNS1_11target_archE906ELNS1_3gpuE6ELNS1_3repE0EEENS1_30default_config_static_selectorELNS0_4arch9wavefront6targetE1EEEvT1_,@function
_ZN7rocprim17ROCPRIM_400000_NS6detail17trampoline_kernelINS0_14default_configENS1_35adjacent_difference_config_selectorILb0ElEEZNS1_24adjacent_difference_implIS3_Lb0ELb0EPlS7_ZN2at6native12_GLOBAL__N_124unique_dim_cuda_templateIhEESt5tupleIJNS8_6TensorESD_SD_EERKSD_lbbbEUlllE1_EE10hipError_tPvRmT2_T3_mT4_P12ihipStream_tbEUlT_E_NS1_11comp_targetILNS1_3genE2ELNS1_11target_archE906ELNS1_3gpuE6ELNS1_3repE0EEENS1_30default_config_static_selectorELNS0_4arch9wavefront6targetE1EEEvT1_: ; @_ZN7rocprim17ROCPRIM_400000_NS6detail17trampoline_kernelINS0_14default_configENS1_35adjacent_difference_config_selectorILb0ElEEZNS1_24adjacent_difference_implIS3_Lb0ELb0EPlS7_ZN2at6native12_GLOBAL__N_124unique_dim_cuda_templateIhEESt5tupleIJNS8_6TensorESD_SD_EERKSD_lbbbEUlllE1_EE10hipError_tPvRmT2_T3_mT4_P12ihipStream_tbEUlT_E_NS1_11comp_targetILNS1_3genE2ELNS1_11target_archE906ELNS1_3gpuE6ELNS1_3repE0EEENS1_30default_config_static_selectorELNS0_4arch9wavefront6targetE1EEEvT1_
; %bb.0:
	.section	.rodata,"a",@progbits
	.p2align	6, 0x0
	.amdhsa_kernel _ZN7rocprim17ROCPRIM_400000_NS6detail17trampoline_kernelINS0_14default_configENS1_35adjacent_difference_config_selectorILb0ElEEZNS1_24adjacent_difference_implIS3_Lb0ELb0EPlS7_ZN2at6native12_GLOBAL__N_124unique_dim_cuda_templateIhEESt5tupleIJNS8_6TensorESD_SD_EERKSD_lbbbEUlllE1_EE10hipError_tPvRmT2_T3_mT4_P12ihipStream_tbEUlT_E_NS1_11comp_targetILNS1_3genE2ELNS1_11target_archE906ELNS1_3gpuE6ELNS1_3repE0EEENS1_30default_config_static_selectorELNS0_4arch9wavefront6targetE1EEEvT1_
		.amdhsa_group_segment_fixed_size 0
		.amdhsa_private_segment_fixed_size 0
		.amdhsa_kernarg_size 64
		.amdhsa_user_sgpr_count 2
		.amdhsa_user_sgpr_dispatch_ptr 0
		.amdhsa_user_sgpr_queue_ptr 0
		.amdhsa_user_sgpr_kernarg_segment_ptr 1
		.amdhsa_user_sgpr_dispatch_id 0
		.amdhsa_user_sgpr_kernarg_preload_length 0
		.amdhsa_user_sgpr_kernarg_preload_offset 0
		.amdhsa_user_sgpr_private_segment_size 0
		.amdhsa_uses_dynamic_stack 0
		.amdhsa_enable_private_segment 0
		.amdhsa_system_sgpr_workgroup_id_x 1
		.amdhsa_system_sgpr_workgroup_id_y 0
		.amdhsa_system_sgpr_workgroup_id_z 0
		.amdhsa_system_sgpr_workgroup_info 0
		.amdhsa_system_vgpr_workitem_id 0
		.amdhsa_next_free_vgpr 1
		.amdhsa_next_free_sgpr 0
		.amdhsa_accum_offset 4
		.amdhsa_reserve_vcc 0
		.amdhsa_float_round_mode_32 0
		.amdhsa_float_round_mode_16_64 0
		.amdhsa_float_denorm_mode_32 3
		.amdhsa_float_denorm_mode_16_64 3
		.amdhsa_dx10_clamp 1
		.amdhsa_ieee_mode 1
		.amdhsa_fp16_overflow 0
		.amdhsa_tg_split 0
		.amdhsa_exception_fp_ieee_invalid_op 0
		.amdhsa_exception_fp_denorm_src 0
		.amdhsa_exception_fp_ieee_div_zero 0
		.amdhsa_exception_fp_ieee_overflow 0
		.amdhsa_exception_fp_ieee_underflow 0
		.amdhsa_exception_fp_ieee_inexact 0
		.amdhsa_exception_int_div_zero 0
	.end_amdhsa_kernel
	.section	.text._ZN7rocprim17ROCPRIM_400000_NS6detail17trampoline_kernelINS0_14default_configENS1_35adjacent_difference_config_selectorILb0ElEEZNS1_24adjacent_difference_implIS3_Lb0ELb0EPlS7_ZN2at6native12_GLOBAL__N_124unique_dim_cuda_templateIhEESt5tupleIJNS8_6TensorESD_SD_EERKSD_lbbbEUlllE1_EE10hipError_tPvRmT2_T3_mT4_P12ihipStream_tbEUlT_E_NS1_11comp_targetILNS1_3genE2ELNS1_11target_archE906ELNS1_3gpuE6ELNS1_3repE0EEENS1_30default_config_static_selectorELNS0_4arch9wavefront6targetE1EEEvT1_,"axG",@progbits,_ZN7rocprim17ROCPRIM_400000_NS6detail17trampoline_kernelINS0_14default_configENS1_35adjacent_difference_config_selectorILb0ElEEZNS1_24adjacent_difference_implIS3_Lb0ELb0EPlS7_ZN2at6native12_GLOBAL__N_124unique_dim_cuda_templateIhEESt5tupleIJNS8_6TensorESD_SD_EERKSD_lbbbEUlllE1_EE10hipError_tPvRmT2_T3_mT4_P12ihipStream_tbEUlT_E_NS1_11comp_targetILNS1_3genE2ELNS1_11target_archE906ELNS1_3gpuE6ELNS1_3repE0EEENS1_30default_config_static_selectorELNS0_4arch9wavefront6targetE1EEEvT1_,comdat
.Lfunc_end64:
	.size	_ZN7rocprim17ROCPRIM_400000_NS6detail17trampoline_kernelINS0_14default_configENS1_35adjacent_difference_config_selectorILb0ElEEZNS1_24adjacent_difference_implIS3_Lb0ELb0EPlS7_ZN2at6native12_GLOBAL__N_124unique_dim_cuda_templateIhEESt5tupleIJNS8_6TensorESD_SD_EERKSD_lbbbEUlllE1_EE10hipError_tPvRmT2_T3_mT4_P12ihipStream_tbEUlT_E_NS1_11comp_targetILNS1_3genE2ELNS1_11target_archE906ELNS1_3gpuE6ELNS1_3repE0EEENS1_30default_config_static_selectorELNS0_4arch9wavefront6targetE1EEEvT1_, .Lfunc_end64-_ZN7rocprim17ROCPRIM_400000_NS6detail17trampoline_kernelINS0_14default_configENS1_35adjacent_difference_config_selectorILb0ElEEZNS1_24adjacent_difference_implIS3_Lb0ELb0EPlS7_ZN2at6native12_GLOBAL__N_124unique_dim_cuda_templateIhEESt5tupleIJNS8_6TensorESD_SD_EERKSD_lbbbEUlllE1_EE10hipError_tPvRmT2_T3_mT4_P12ihipStream_tbEUlT_E_NS1_11comp_targetILNS1_3genE2ELNS1_11target_archE906ELNS1_3gpuE6ELNS1_3repE0EEENS1_30default_config_static_selectorELNS0_4arch9wavefront6targetE1EEEvT1_
                                        ; -- End function
	.section	.AMDGPU.csdata,"",@progbits
; Kernel info:
; codeLenInByte = 0
; NumSgprs: 6
; NumVgprs: 0
; NumAgprs: 0
; TotalNumVgprs: 0
; ScratchSize: 0
; MemoryBound: 0
; FloatMode: 240
; IeeeMode: 1
; LDSByteSize: 0 bytes/workgroup (compile time only)
; SGPRBlocks: 0
; VGPRBlocks: 0
; NumSGPRsForWavesPerEU: 6
; NumVGPRsForWavesPerEU: 1
; AccumOffset: 4
; Occupancy: 8
; WaveLimiterHint : 0
; COMPUTE_PGM_RSRC2:SCRATCH_EN: 0
; COMPUTE_PGM_RSRC2:USER_SGPR: 2
; COMPUTE_PGM_RSRC2:TRAP_HANDLER: 0
; COMPUTE_PGM_RSRC2:TGID_X_EN: 1
; COMPUTE_PGM_RSRC2:TGID_Y_EN: 0
; COMPUTE_PGM_RSRC2:TGID_Z_EN: 0
; COMPUTE_PGM_RSRC2:TIDIG_COMP_CNT: 0
; COMPUTE_PGM_RSRC3_GFX90A:ACCUM_OFFSET: 0
; COMPUTE_PGM_RSRC3_GFX90A:TG_SPLIT: 0
	.section	.text._ZN7rocprim17ROCPRIM_400000_NS6detail17trampoline_kernelINS0_14default_configENS1_35adjacent_difference_config_selectorILb0ElEEZNS1_24adjacent_difference_implIS3_Lb0ELb0EPlS7_ZN2at6native12_GLOBAL__N_124unique_dim_cuda_templateIhEESt5tupleIJNS8_6TensorESD_SD_EERKSD_lbbbEUlllE1_EE10hipError_tPvRmT2_T3_mT4_P12ihipStream_tbEUlT_E_NS1_11comp_targetILNS1_3genE9ELNS1_11target_archE1100ELNS1_3gpuE3ELNS1_3repE0EEENS1_30default_config_static_selectorELNS0_4arch9wavefront6targetE1EEEvT1_,"axG",@progbits,_ZN7rocprim17ROCPRIM_400000_NS6detail17trampoline_kernelINS0_14default_configENS1_35adjacent_difference_config_selectorILb0ElEEZNS1_24adjacent_difference_implIS3_Lb0ELb0EPlS7_ZN2at6native12_GLOBAL__N_124unique_dim_cuda_templateIhEESt5tupleIJNS8_6TensorESD_SD_EERKSD_lbbbEUlllE1_EE10hipError_tPvRmT2_T3_mT4_P12ihipStream_tbEUlT_E_NS1_11comp_targetILNS1_3genE9ELNS1_11target_archE1100ELNS1_3gpuE3ELNS1_3repE0EEENS1_30default_config_static_selectorELNS0_4arch9wavefront6targetE1EEEvT1_,comdat
	.globl	_ZN7rocprim17ROCPRIM_400000_NS6detail17trampoline_kernelINS0_14default_configENS1_35adjacent_difference_config_selectorILb0ElEEZNS1_24adjacent_difference_implIS3_Lb0ELb0EPlS7_ZN2at6native12_GLOBAL__N_124unique_dim_cuda_templateIhEESt5tupleIJNS8_6TensorESD_SD_EERKSD_lbbbEUlllE1_EE10hipError_tPvRmT2_T3_mT4_P12ihipStream_tbEUlT_E_NS1_11comp_targetILNS1_3genE9ELNS1_11target_archE1100ELNS1_3gpuE3ELNS1_3repE0EEENS1_30default_config_static_selectorELNS0_4arch9wavefront6targetE1EEEvT1_ ; -- Begin function _ZN7rocprim17ROCPRIM_400000_NS6detail17trampoline_kernelINS0_14default_configENS1_35adjacent_difference_config_selectorILb0ElEEZNS1_24adjacent_difference_implIS3_Lb0ELb0EPlS7_ZN2at6native12_GLOBAL__N_124unique_dim_cuda_templateIhEESt5tupleIJNS8_6TensorESD_SD_EERKSD_lbbbEUlllE1_EE10hipError_tPvRmT2_T3_mT4_P12ihipStream_tbEUlT_E_NS1_11comp_targetILNS1_3genE9ELNS1_11target_archE1100ELNS1_3gpuE3ELNS1_3repE0EEENS1_30default_config_static_selectorELNS0_4arch9wavefront6targetE1EEEvT1_
	.p2align	8
	.type	_ZN7rocprim17ROCPRIM_400000_NS6detail17trampoline_kernelINS0_14default_configENS1_35adjacent_difference_config_selectorILb0ElEEZNS1_24adjacent_difference_implIS3_Lb0ELb0EPlS7_ZN2at6native12_GLOBAL__N_124unique_dim_cuda_templateIhEESt5tupleIJNS8_6TensorESD_SD_EERKSD_lbbbEUlllE1_EE10hipError_tPvRmT2_T3_mT4_P12ihipStream_tbEUlT_E_NS1_11comp_targetILNS1_3genE9ELNS1_11target_archE1100ELNS1_3gpuE3ELNS1_3repE0EEENS1_30default_config_static_selectorELNS0_4arch9wavefront6targetE1EEEvT1_,@function
_ZN7rocprim17ROCPRIM_400000_NS6detail17trampoline_kernelINS0_14default_configENS1_35adjacent_difference_config_selectorILb0ElEEZNS1_24adjacent_difference_implIS3_Lb0ELb0EPlS7_ZN2at6native12_GLOBAL__N_124unique_dim_cuda_templateIhEESt5tupleIJNS8_6TensorESD_SD_EERKSD_lbbbEUlllE1_EE10hipError_tPvRmT2_T3_mT4_P12ihipStream_tbEUlT_E_NS1_11comp_targetILNS1_3genE9ELNS1_11target_archE1100ELNS1_3gpuE3ELNS1_3repE0EEENS1_30default_config_static_selectorELNS0_4arch9wavefront6targetE1EEEvT1_: ; @_ZN7rocprim17ROCPRIM_400000_NS6detail17trampoline_kernelINS0_14default_configENS1_35adjacent_difference_config_selectorILb0ElEEZNS1_24adjacent_difference_implIS3_Lb0ELb0EPlS7_ZN2at6native12_GLOBAL__N_124unique_dim_cuda_templateIhEESt5tupleIJNS8_6TensorESD_SD_EERKSD_lbbbEUlllE1_EE10hipError_tPvRmT2_T3_mT4_P12ihipStream_tbEUlT_E_NS1_11comp_targetILNS1_3genE9ELNS1_11target_archE1100ELNS1_3gpuE3ELNS1_3repE0EEENS1_30default_config_static_selectorELNS0_4arch9wavefront6targetE1EEEvT1_
; %bb.0:
	.section	.rodata,"a",@progbits
	.p2align	6, 0x0
	.amdhsa_kernel _ZN7rocprim17ROCPRIM_400000_NS6detail17trampoline_kernelINS0_14default_configENS1_35adjacent_difference_config_selectorILb0ElEEZNS1_24adjacent_difference_implIS3_Lb0ELb0EPlS7_ZN2at6native12_GLOBAL__N_124unique_dim_cuda_templateIhEESt5tupleIJNS8_6TensorESD_SD_EERKSD_lbbbEUlllE1_EE10hipError_tPvRmT2_T3_mT4_P12ihipStream_tbEUlT_E_NS1_11comp_targetILNS1_3genE9ELNS1_11target_archE1100ELNS1_3gpuE3ELNS1_3repE0EEENS1_30default_config_static_selectorELNS0_4arch9wavefront6targetE1EEEvT1_
		.amdhsa_group_segment_fixed_size 0
		.amdhsa_private_segment_fixed_size 0
		.amdhsa_kernarg_size 64
		.amdhsa_user_sgpr_count 2
		.amdhsa_user_sgpr_dispatch_ptr 0
		.amdhsa_user_sgpr_queue_ptr 0
		.amdhsa_user_sgpr_kernarg_segment_ptr 1
		.amdhsa_user_sgpr_dispatch_id 0
		.amdhsa_user_sgpr_kernarg_preload_length 0
		.amdhsa_user_sgpr_kernarg_preload_offset 0
		.amdhsa_user_sgpr_private_segment_size 0
		.amdhsa_uses_dynamic_stack 0
		.amdhsa_enable_private_segment 0
		.amdhsa_system_sgpr_workgroup_id_x 1
		.amdhsa_system_sgpr_workgroup_id_y 0
		.amdhsa_system_sgpr_workgroup_id_z 0
		.amdhsa_system_sgpr_workgroup_info 0
		.amdhsa_system_vgpr_workitem_id 0
		.amdhsa_next_free_vgpr 1
		.amdhsa_next_free_sgpr 0
		.amdhsa_accum_offset 4
		.amdhsa_reserve_vcc 0
		.amdhsa_float_round_mode_32 0
		.amdhsa_float_round_mode_16_64 0
		.amdhsa_float_denorm_mode_32 3
		.amdhsa_float_denorm_mode_16_64 3
		.amdhsa_dx10_clamp 1
		.amdhsa_ieee_mode 1
		.amdhsa_fp16_overflow 0
		.amdhsa_tg_split 0
		.amdhsa_exception_fp_ieee_invalid_op 0
		.amdhsa_exception_fp_denorm_src 0
		.amdhsa_exception_fp_ieee_div_zero 0
		.amdhsa_exception_fp_ieee_overflow 0
		.amdhsa_exception_fp_ieee_underflow 0
		.amdhsa_exception_fp_ieee_inexact 0
		.amdhsa_exception_int_div_zero 0
	.end_amdhsa_kernel
	.section	.text._ZN7rocprim17ROCPRIM_400000_NS6detail17trampoline_kernelINS0_14default_configENS1_35adjacent_difference_config_selectorILb0ElEEZNS1_24adjacent_difference_implIS3_Lb0ELb0EPlS7_ZN2at6native12_GLOBAL__N_124unique_dim_cuda_templateIhEESt5tupleIJNS8_6TensorESD_SD_EERKSD_lbbbEUlllE1_EE10hipError_tPvRmT2_T3_mT4_P12ihipStream_tbEUlT_E_NS1_11comp_targetILNS1_3genE9ELNS1_11target_archE1100ELNS1_3gpuE3ELNS1_3repE0EEENS1_30default_config_static_selectorELNS0_4arch9wavefront6targetE1EEEvT1_,"axG",@progbits,_ZN7rocprim17ROCPRIM_400000_NS6detail17trampoline_kernelINS0_14default_configENS1_35adjacent_difference_config_selectorILb0ElEEZNS1_24adjacent_difference_implIS3_Lb0ELb0EPlS7_ZN2at6native12_GLOBAL__N_124unique_dim_cuda_templateIhEESt5tupleIJNS8_6TensorESD_SD_EERKSD_lbbbEUlllE1_EE10hipError_tPvRmT2_T3_mT4_P12ihipStream_tbEUlT_E_NS1_11comp_targetILNS1_3genE9ELNS1_11target_archE1100ELNS1_3gpuE3ELNS1_3repE0EEENS1_30default_config_static_selectorELNS0_4arch9wavefront6targetE1EEEvT1_,comdat
.Lfunc_end65:
	.size	_ZN7rocprim17ROCPRIM_400000_NS6detail17trampoline_kernelINS0_14default_configENS1_35adjacent_difference_config_selectorILb0ElEEZNS1_24adjacent_difference_implIS3_Lb0ELb0EPlS7_ZN2at6native12_GLOBAL__N_124unique_dim_cuda_templateIhEESt5tupleIJNS8_6TensorESD_SD_EERKSD_lbbbEUlllE1_EE10hipError_tPvRmT2_T3_mT4_P12ihipStream_tbEUlT_E_NS1_11comp_targetILNS1_3genE9ELNS1_11target_archE1100ELNS1_3gpuE3ELNS1_3repE0EEENS1_30default_config_static_selectorELNS0_4arch9wavefront6targetE1EEEvT1_, .Lfunc_end65-_ZN7rocprim17ROCPRIM_400000_NS6detail17trampoline_kernelINS0_14default_configENS1_35adjacent_difference_config_selectorILb0ElEEZNS1_24adjacent_difference_implIS3_Lb0ELb0EPlS7_ZN2at6native12_GLOBAL__N_124unique_dim_cuda_templateIhEESt5tupleIJNS8_6TensorESD_SD_EERKSD_lbbbEUlllE1_EE10hipError_tPvRmT2_T3_mT4_P12ihipStream_tbEUlT_E_NS1_11comp_targetILNS1_3genE9ELNS1_11target_archE1100ELNS1_3gpuE3ELNS1_3repE0EEENS1_30default_config_static_selectorELNS0_4arch9wavefront6targetE1EEEvT1_
                                        ; -- End function
	.section	.AMDGPU.csdata,"",@progbits
; Kernel info:
; codeLenInByte = 0
; NumSgprs: 6
; NumVgprs: 0
; NumAgprs: 0
; TotalNumVgprs: 0
; ScratchSize: 0
; MemoryBound: 0
; FloatMode: 240
; IeeeMode: 1
; LDSByteSize: 0 bytes/workgroup (compile time only)
; SGPRBlocks: 0
; VGPRBlocks: 0
; NumSGPRsForWavesPerEU: 6
; NumVGPRsForWavesPerEU: 1
; AccumOffset: 4
; Occupancy: 8
; WaveLimiterHint : 0
; COMPUTE_PGM_RSRC2:SCRATCH_EN: 0
; COMPUTE_PGM_RSRC2:USER_SGPR: 2
; COMPUTE_PGM_RSRC2:TRAP_HANDLER: 0
; COMPUTE_PGM_RSRC2:TGID_X_EN: 1
; COMPUTE_PGM_RSRC2:TGID_Y_EN: 0
; COMPUTE_PGM_RSRC2:TGID_Z_EN: 0
; COMPUTE_PGM_RSRC2:TIDIG_COMP_CNT: 0
; COMPUTE_PGM_RSRC3_GFX90A:ACCUM_OFFSET: 0
; COMPUTE_PGM_RSRC3_GFX90A:TG_SPLIT: 0
	.section	.text._ZN7rocprim17ROCPRIM_400000_NS6detail17trampoline_kernelINS0_14default_configENS1_35adjacent_difference_config_selectorILb0ElEEZNS1_24adjacent_difference_implIS3_Lb0ELb0EPlS7_ZN2at6native12_GLOBAL__N_124unique_dim_cuda_templateIhEESt5tupleIJNS8_6TensorESD_SD_EERKSD_lbbbEUlllE1_EE10hipError_tPvRmT2_T3_mT4_P12ihipStream_tbEUlT_E_NS1_11comp_targetILNS1_3genE8ELNS1_11target_archE1030ELNS1_3gpuE2ELNS1_3repE0EEENS1_30default_config_static_selectorELNS0_4arch9wavefront6targetE1EEEvT1_,"axG",@progbits,_ZN7rocprim17ROCPRIM_400000_NS6detail17trampoline_kernelINS0_14default_configENS1_35adjacent_difference_config_selectorILb0ElEEZNS1_24adjacent_difference_implIS3_Lb0ELb0EPlS7_ZN2at6native12_GLOBAL__N_124unique_dim_cuda_templateIhEESt5tupleIJNS8_6TensorESD_SD_EERKSD_lbbbEUlllE1_EE10hipError_tPvRmT2_T3_mT4_P12ihipStream_tbEUlT_E_NS1_11comp_targetILNS1_3genE8ELNS1_11target_archE1030ELNS1_3gpuE2ELNS1_3repE0EEENS1_30default_config_static_selectorELNS0_4arch9wavefront6targetE1EEEvT1_,comdat
	.globl	_ZN7rocprim17ROCPRIM_400000_NS6detail17trampoline_kernelINS0_14default_configENS1_35adjacent_difference_config_selectorILb0ElEEZNS1_24adjacent_difference_implIS3_Lb0ELb0EPlS7_ZN2at6native12_GLOBAL__N_124unique_dim_cuda_templateIhEESt5tupleIJNS8_6TensorESD_SD_EERKSD_lbbbEUlllE1_EE10hipError_tPvRmT2_T3_mT4_P12ihipStream_tbEUlT_E_NS1_11comp_targetILNS1_3genE8ELNS1_11target_archE1030ELNS1_3gpuE2ELNS1_3repE0EEENS1_30default_config_static_selectorELNS0_4arch9wavefront6targetE1EEEvT1_ ; -- Begin function _ZN7rocprim17ROCPRIM_400000_NS6detail17trampoline_kernelINS0_14default_configENS1_35adjacent_difference_config_selectorILb0ElEEZNS1_24adjacent_difference_implIS3_Lb0ELb0EPlS7_ZN2at6native12_GLOBAL__N_124unique_dim_cuda_templateIhEESt5tupleIJNS8_6TensorESD_SD_EERKSD_lbbbEUlllE1_EE10hipError_tPvRmT2_T3_mT4_P12ihipStream_tbEUlT_E_NS1_11comp_targetILNS1_3genE8ELNS1_11target_archE1030ELNS1_3gpuE2ELNS1_3repE0EEENS1_30default_config_static_selectorELNS0_4arch9wavefront6targetE1EEEvT1_
	.p2align	8
	.type	_ZN7rocprim17ROCPRIM_400000_NS6detail17trampoline_kernelINS0_14default_configENS1_35adjacent_difference_config_selectorILb0ElEEZNS1_24adjacent_difference_implIS3_Lb0ELb0EPlS7_ZN2at6native12_GLOBAL__N_124unique_dim_cuda_templateIhEESt5tupleIJNS8_6TensorESD_SD_EERKSD_lbbbEUlllE1_EE10hipError_tPvRmT2_T3_mT4_P12ihipStream_tbEUlT_E_NS1_11comp_targetILNS1_3genE8ELNS1_11target_archE1030ELNS1_3gpuE2ELNS1_3repE0EEENS1_30default_config_static_selectorELNS0_4arch9wavefront6targetE1EEEvT1_,@function
_ZN7rocprim17ROCPRIM_400000_NS6detail17trampoline_kernelINS0_14default_configENS1_35adjacent_difference_config_selectorILb0ElEEZNS1_24adjacent_difference_implIS3_Lb0ELb0EPlS7_ZN2at6native12_GLOBAL__N_124unique_dim_cuda_templateIhEESt5tupleIJNS8_6TensorESD_SD_EERKSD_lbbbEUlllE1_EE10hipError_tPvRmT2_T3_mT4_P12ihipStream_tbEUlT_E_NS1_11comp_targetILNS1_3genE8ELNS1_11target_archE1030ELNS1_3gpuE2ELNS1_3repE0EEENS1_30default_config_static_selectorELNS0_4arch9wavefront6targetE1EEEvT1_: ; @_ZN7rocprim17ROCPRIM_400000_NS6detail17trampoline_kernelINS0_14default_configENS1_35adjacent_difference_config_selectorILb0ElEEZNS1_24adjacent_difference_implIS3_Lb0ELb0EPlS7_ZN2at6native12_GLOBAL__N_124unique_dim_cuda_templateIhEESt5tupleIJNS8_6TensorESD_SD_EERKSD_lbbbEUlllE1_EE10hipError_tPvRmT2_T3_mT4_P12ihipStream_tbEUlT_E_NS1_11comp_targetILNS1_3genE8ELNS1_11target_archE1030ELNS1_3gpuE2ELNS1_3repE0EEENS1_30default_config_static_selectorELNS0_4arch9wavefront6targetE1EEEvT1_
; %bb.0:
	.section	.rodata,"a",@progbits
	.p2align	6, 0x0
	.amdhsa_kernel _ZN7rocprim17ROCPRIM_400000_NS6detail17trampoline_kernelINS0_14default_configENS1_35adjacent_difference_config_selectorILb0ElEEZNS1_24adjacent_difference_implIS3_Lb0ELb0EPlS7_ZN2at6native12_GLOBAL__N_124unique_dim_cuda_templateIhEESt5tupleIJNS8_6TensorESD_SD_EERKSD_lbbbEUlllE1_EE10hipError_tPvRmT2_T3_mT4_P12ihipStream_tbEUlT_E_NS1_11comp_targetILNS1_3genE8ELNS1_11target_archE1030ELNS1_3gpuE2ELNS1_3repE0EEENS1_30default_config_static_selectorELNS0_4arch9wavefront6targetE1EEEvT1_
		.amdhsa_group_segment_fixed_size 0
		.amdhsa_private_segment_fixed_size 0
		.amdhsa_kernarg_size 64
		.amdhsa_user_sgpr_count 2
		.amdhsa_user_sgpr_dispatch_ptr 0
		.amdhsa_user_sgpr_queue_ptr 0
		.amdhsa_user_sgpr_kernarg_segment_ptr 1
		.amdhsa_user_sgpr_dispatch_id 0
		.amdhsa_user_sgpr_kernarg_preload_length 0
		.amdhsa_user_sgpr_kernarg_preload_offset 0
		.amdhsa_user_sgpr_private_segment_size 0
		.amdhsa_uses_dynamic_stack 0
		.amdhsa_enable_private_segment 0
		.amdhsa_system_sgpr_workgroup_id_x 1
		.amdhsa_system_sgpr_workgroup_id_y 0
		.amdhsa_system_sgpr_workgroup_id_z 0
		.amdhsa_system_sgpr_workgroup_info 0
		.amdhsa_system_vgpr_workitem_id 0
		.amdhsa_next_free_vgpr 1
		.amdhsa_next_free_sgpr 0
		.amdhsa_accum_offset 4
		.amdhsa_reserve_vcc 0
		.amdhsa_float_round_mode_32 0
		.amdhsa_float_round_mode_16_64 0
		.amdhsa_float_denorm_mode_32 3
		.amdhsa_float_denorm_mode_16_64 3
		.amdhsa_dx10_clamp 1
		.amdhsa_ieee_mode 1
		.amdhsa_fp16_overflow 0
		.amdhsa_tg_split 0
		.amdhsa_exception_fp_ieee_invalid_op 0
		.amdhsa_exception_fp_denorm_src 0
		.amdhsa_exception_fp_ieee_div_zero 0
		.amdhsa_exception_fp_ieee_overflow 0
		.amdhsa_exception_fp_ieee_underflow 0
		.amdhsa_exception_fp_ieee_inexact 0
		.amdhsa_exception_int_div_zero 0
	.end_amdhsa_kernel
	.section	.text._ZN7rocprim17ROCPRIM_400000_NS6detail17trampoline_kernelINS0_14default_configENS1_35adjacent_difference_config_selectorILb0ElEEZNS1_24adjacent_difference_implIS3_Lb0ELb0EPlS7_ZN2at6native12_GLOBAL__N_124unique_dim_cuda_templateIhEESt5tupleIJNS8_6TensorESD_SD_EERKSD_lbbbEUlllE1_EE10hipError_tPvRmT2_T3_mT4_P12ihipStream_tbEUlT_E_NS1_11comp_targetILNS1_3genE8ELNS1_11target_archE1030ELNS1_3gpuE2ELNS1_3repE0EEENS1_30default_config_static_selectorELNS0_4arch9wavefront6targetE1EEEvT1_,"axG",@progbits,_ZN7rocprim17ROCPRIM_400000_NS6detail17trampoline_kernelINS0_14default_configENS1_35adjacent_difference_config_selectorILb0ElEEZNS1_24adjacent_difference_implIS3_Lb0ELb0EPlS7_ZN2at6native12_GLOBAL__N_124unique_dim_cuda_templateIhEESt5tupleIJNS8_6TensorESD_SD_EERKSD_lbbbEUlllE1_EE10hipError_tPvRmT2_T3_mT4_P12ihipStream_tbEUlT_E_NS1_11comp_targetILNS1_3genE8ELNS1_11target_archE1030ELNS1_3gpuE2ELNS1_3repE0EEENS1_30default_config_static_selectorELNS0_4arch9wavefront6targetE1EEEvT1_,comdat
.Lfunc_end66:
	.size	_ZN7rocprim17ROCPRIM_400000_NS6detail17trampoline_kernelINS0_14default_configENS1_35adjacent_difference_config_selectorILb0ElEEZNS1_24adjacent_difference_implIS3_Lb0ELb0EPlS7_ZN2at6native12_GLOBAL__N_124unique_dim_cuda_templateIhEESt5tupleIJNS8_6TensorESD_SD_EERKSD_lbbbEUlllE1_EE10hipError_tPvRmT2_T3_mT4_P12ihipStream_tbEUlT_E_NS1_11comp_targetILNS1_3genE8ELNS1_11target_archE1030ELNS1_3gpuE2ELNS1_3repE0EEENS1_30default_config_static_selectorELNS0_4arch9wavefront6targetE1EEEvT1_, .Lfunc_end66-_ZN7rocprim17ROCPRIM_400000_NS6detail17trampoline_kernelINS0_14default_configENS1_35adjacent_difference_config_selectorILb0ElEEZNS1_24adjacent_difference_implIS3_Lb0ELb0EPlS7_ZN2at6native12_GLOBAL__N_124unique_dim_cuda_templateIhEESt5tupleIJNS8_6TensorESD_SD_EERKSD_lbbbEUlllE1_EE10hipError_tPvRmT2_T3_mT4_P12ihipStream_tbEUlT_E_NS1_11comp_targetILNS1_3genE8ELNS1_11target_archE1030ELNS1_3gpuE2ELNS1_3repE0EEENS1_30default_config_static_selectorELNS0_4arch9wavefront6targetE1EEEvT1_
                                        ; -- End function
	.section	.AMDGPU.csdata,"",@progbits
; Kernel info:
; codeLenInByte = 0
; NumSgprs: 6
; NumVgprs: 0
; NumAgprs: 0
; TotalNumVgprs: 0
; ScratchSize: 0
; MemoryBound: 0
; FloatMode: 240
; IeeeMode: 1
; LDSByteSize: 0 bytes/workgroup (compile time only)
; SGPRBlocks: 0
; VGPRBlocks: 0
; NumSGPRsForWavesPerEU: 6
; NumVGPRsForWavesPerEU: 1
; AccumOffset: 4
; Occupancy: 8
; WaveLimiterHint : 0
; COMPUTE_PGM_RSRC2:SCRATCH_EN: 0
; COMPUTE_PGM_RSRC2:USER_SGPR: 2
; COMPUTE_PGM_RSRC2:TRAP_HANDLER: 0
; COMPUTE_PGM_RSRC2:TGID_X_EN: 1
; COMPUTE_PGM_RSRC2:TGID_Y_EN: 0
; COMPUTE_PGM_RSRC2:TGID_Z_EN: 0
; COMPUTE_PGM_RSRC2:TIDIG_COMP_CNT: 0
; COMPUTE_PGM_RSRC3_GFX90A:ACCUM_OFFSET: 0
; COMPUTE_PGM_RSRC3_GFX90A:TG_SPLIT: 0
	.section	.text._ZN7rocprim17ROCPRIM_400000_NS6detail17trampoline_kernelINS0_14default_configENS1_25transform_config_selectorIlLb0EEEZNS1_14transform_implILb0ES3_S5_NS0_18transform_iteratorINS0_17counting_iteratorImlEEZNS1_24adjacent_difference_implIS3_Lb1ELb0EPlSB_ZN2at6native12_GLOBAL__N_124unique_dim_cuda_templateIhEESt5tupleIJNSC_6TensorESH_SH_EERKSH_lbbbEUlllE1_EE10hipError_tPvRmT2_T3_mT4_P12ihipStream_tbEUlmE_lEESB_NS0_8identityIvEEEESM_SP_SQ_mSR_ST_bEUlT_E_NS1_11comp_targetILNS1_3genE0ELNS1_11target_archE4294967295ELNS1_3gpuE0ELNS1_3repE0EEENS1_30default_config_static_selectorELNS0_4arch9wavefront6targetE1EEEvT1_,"axG",@progbits,_ZN7rocprim17ROCPRIM_400000_NS6detail17trampoline_kernelINS0_14default_configENS1_25transform_config_selectorIlLb0EEEZNS1_14transform_implILb0ES3_S5_NS0_18transform_iteratorINS0_17counting_iteratorImlEEZNS1_24adjacent_difference_implIS3_Lb1ELb0EPlSB_ZN2at6native12_GLOBAL__N_124unique_dim_cuda_templateIhEESt5tupleIJNSC_6TensorESH_SH_EERKSH_lbbbEUlllE1_EE10hipError_tPvRmT2_T3_mT4_P12ihipStream_tbEUlmE_lEESB_NS0_8identityIvEEEESM_SP_SQ_mSR_ST_bEUlT_E_NS1_11comp_targetILNS1_3genE0ELNS1_11target_archE4294967295ELNS1_3gpuE0ELNS1_3repE0EEENS1_30default_config_static_selectorELNS0_4arch9wavefront6targetE1EEEvT1_,comdat
	.globl	_ZN7rocprim17ROCPRIM_400000_NS6detail17trampoline_kernelINS0_14default_configENS1_25transform_config_selectorIlLb0EEEZNS1_14transform_implILb0ES3_S5_NS0_18transform_iteratorINS0_17counting_iteratorImlEEZNS1_24adjacent_difference_implIS3_Lb1ELb0EPlSB_ZN2at6native12_GLOBAL__N_124unique_dim_cuda_templateIhEESt5tupleIJNSC_6TensorESH_SH_EERKSH_lbbbEUlllE1_EE10hipError_tPvRmT2_T3_mT4_P12ihipStream_tbEUlmE_lEESB_NS0_8identityIvEEEESM_SP_SQ_mSR_ST_bEUlT_E_NS1_11comp_targetILNS1_3genE0ELNS1_11target_archE4294967295ELNS1_3gpuE0ELNS1_3repE0EEENS1_30default_config_static_selectorELNS0_4arch9wavefront6targetE1EEEvT1_ ; -- Begin function _ZN7rocprim17ROCPRIM_400000_NS6detail17trampoline_kernelINS0_14default_configENS1_25transform_config_selectorIlLb0EEEZNS1_14transform_implILb0ES3_S5_NS0_18transform_iteratorINS0_17counting_iteratorImlEEZNS1_24adjacent_difference_implIS3_Lb1ELb0EPlSB_ZN2at6native12_GLOBAL__N_124unique_dim_cuda_templateIhEESt5tupleIJNSC_6TensorESH_SH_EERKSH_lbbbEUlllE1_EE10hipError_tPvRmT2_T3_mT4_P12ihipStream_tbEUlmE_lEESB_NS0_8identityIvEEEESM_SP_SQ_mSR_ST_bEUlT_E_NS1_11comp_targetILNS1_3genE0ELNS1_11target_archE4294967295ELNS1_3gpuE0ELNS1_3repE0EEENS1_30default_config_static_selectorELNS0_4arch9wavefront6targetE1EEEvT1_
	.p2align	8
	.type	_ZN7rocprim17ROCPRIM_400000_NS6detail17trampoline_kernelINS0_14default_configENS1_25transform_config_selectorIlLb0EEEZNS1_14transform_implILb0ES3_S5_NS0_18transform_iteratorINS0_17counting_iteratorImlEEZNS1_24adjacent_difference_implIS3_Lb1ELb0EPlSB_ZN2at6native12_GLOBAL__N_124unique_dim_cuda_templateIhEESt5tupleIJNSC_6TensorESH_SH_EERKSH_lbbbEUlllE1_EE10hipError_tPvRmT2_T3_mT4_P12ihipStream_tbEUlmE_lEESB_NS0_8identityIvEEEESM_SP_SQ_mSR_ST_bEUlT_E_NS1_11comp_targetILNS1_3genE0ELNS1_11target_archE4294967295ELNS1_3gpuE0ELNS1_3repE0EEENS1_30default_config_static_selectorELNS0_4arch9wavefront6targetE1EEEvT1_,@function
_ZN7rocprim17ROCPRIM_400000_NS6detail17trampoline_kernelINS0_14default_configENS1_25transform_config_selectorIlLb0EEEZNS1_14transform_implILb0ES3_S5_NS0_18transform_iteratorINS0_17counting_iteratorImlEEZNS1_24adjacent_difference_implIS3_Lb1ELb0EPlSB_ZN2at6native12_GLOBAL__N_124unique_dim_cuda_templateIhEESt5tupleIJNSC_6TensorESH_SH_EERKSH_lbbbEUlllE1_EE10hipError_tPvRmT2_T3_mT4_P12ihipStream_tbEUlmE_lEESB_NS0_8identityIvEEEESM_SP_SQ_mSR_ST_bEUlT_E_NS1_11comp_targetILNS1_3genE0ELNS1_11target_archE4294967295ELNS1_3gpuE0ELNS1_3repE0EEENS1_30default_config_static_selectorELNS0_4arch9wavefront6targetE1EEEvT1_: ; @_ZN7rocprim17ROCPRIM_400000_NS6detail17trampoline_kernelINS0_14default_configENS1_25transform_config_selectorIlLb0EEEZNS1_14transform_implILb0ES3_S5_NS0_18transform_iteratorINS0_17counting_iteratorImlEEZNS1_24adjacent_difference_implIS3_Lb1ELb0EPlSB_ZN2at6native12_GLOBAL__N_124unique_dim_cuda_templateIhEESt5tupleIJNSC_6TensorESH_SH_EERKSH_lbbbEUlllE1_EE10hipError_tPvRmT2_T3_mT4_P12ihipStream_tbEUlmE_lEESB_NS0_8identityIvEEEESM_SP_SQ_mSR_ST_bEUlT_E_NS1_11comp_targetILNS1_3genE0ELNS1_11target_archE4294967295ELNS1_3gpuE0ELNS1_3repE0EEENS1_30default_config_static_selectorELNS0_4arch9wavefront6targetE1EEEvT1_
; %bb.0:
	.section	.rodata,"a",@progbits
	.p2align	6, 0x0
	.amdhsa_kernel _ZN7rocprim17ROCPRIM_400000_NS6detail17trampoline_kernelINS0_14default_configENS1_25transform_config_selectorIlLb0EEEZNS1_14transform_implILb0ES3_S5_NS0_18transform_iteratorINS0_17counting_iteratorImlEEZNS1_24adjacent_difference_implIS3_Lb1ELb0EPlSB_ZN2at6native12_GLOBAL__N_124unique_dim_cuda_templateIhEESt5tupleIJNSC_6TensorESH_SH_EERKSH_lbbbEUlllE1_EE10hipError_tPvRmT2_T3_mT4_P12ihipStream_tbEUlmE_lEESB_NS0_8identityIvEEEESM_SP_SQ_mSR_ST_bEUlT_E_NS1_11comp_targetILNS1_3genE0ELNS1_11target_archE4294967295ELNS1_3gpuE0ELNS1_3repE0EEENS1_30default_config_static_selectorELNS0_4arch9wavefront6targetE1EEEvT1_
		.amdhsa_group_segment_fixed_size 0
		.amdhsa_private_segment_fixed_size 0
		.amdhsa_kernarg_size 56
		.amdhsa_user_sgpr_count 2
		.amdhsa_user_sgpr_dispatch_ptr 0
		.amdhsa_user_sgpr_queue_ptr 0
		.amdhsa_user_sgpr_kernarg_segment_ptr 1
		.amdhsa_user_sgpr_dispatch_id 0
		.amdhsa_user_sgpr_kernarg_preload_length 0
		.amdhsa_user_sgpr_kernarg_preload_offset 0
		.amdhsa_user_sgpr_private_segment_size 0
		.amdhsa_uses_dynamic_stack 0
		.amdhsa_enable_private_segment 0
		.amdhsa_system_sgpr_workgroup_id_x 1
		.amdhsa_system_sgpr_workgroup_id_y 0
		.amdhsa_system_sgpr_workgroup_id_z 0
		.amdhsa_system_sgpr_workgroup_info 0
		.amdhsa_system_vgpr_workitem_id 0
		.amdhsa_next_free_vgpr 1
		.amdhsa_next_free_sgpr 0
		.amdhsa_accum_offset 4
		.amdhsa_reserve_vcc 0
		.amdhsa_float_round_mode_32 0
		.amdhsa_float_round_mode_16_64 0
		.amdhsa_float_denorm_mode_32 3
		.amdhsa_float_denorm_mode_16_64 3
		.amdhsa_dx10_clamp 1
		.amdhsa_ieee_mode 1
		.amdhsa_fp16_overflow 0
		.amdhsa_tg_split 0
		.amdhsa_exception_fp_ieee_invalid_op 0
		.amdhsa_exception_fp_denorm_src 0
		.amdhsa_exception_fp_ieee_div_zero 0
		.amdhsa_exception_fp_ieee_overflow 0
		.amdhsa_exception_fp_ieee_underflow 0
		.amdhsa_exception_fp_ieee_inexact 0
		.amdhsa_exception_int_div_zero 0
	.end_amdhsa_kernel
	.section	.text._ZN7rocprim17ROCPRIM_400000_NS6detail17trampoline_kernelINS0_14default_configENS1_25transform_config_selectorIlLb0EEEZNS1_14transform_implILb0ES3_S5_NS0_18transform_iteratorINS0_17counting_iteratorImlEEZNS1_24adjacent_difference_implIS3_Lb1ELb0EPlSB_ZN2at6native12_GLOBAL__N_124unique_dim_cuda_templateIhEESt5tupleIJNSC_6TensorESH_SH_EERKSH_lbbbEUlllE1_EE10hipError_tPvRmT2_T3_mT4_P12ihipStream_tbEUlmE_lEESB_NS0_8identityIvEEEESM_SP_SQ_mSR_ST_bEUlT_E_NS1_11comp_targetILNS1_3genE0ELNS1_11target_archE4294967295ELNS1_3gpuE0ELNS1_3repE0EEENS1_30default_config_static_selectorELNS0_4arch9wavefront6targetE1EEEvT1_,"axG",@progbits,_ZN7rocprim17ROCPRIM_400000_NS6detail17trampoline_kernelINS0_14default_configENS1_25transform_config_selectorIlLb0EEEZNS1_14transform_implILb0ES3_S5_NS0_18transform_iteratorINS0_17counting_iteratorImlEEZNS1_24adjacent_difference_implIS3_Lb1ELb0EPlSB_ZN2at6native12_GLOBAL__N_124unique_dim_cuda_templateIhEESt5tupleIJNSC_6TensorESH_SH_EERKSH_lbbbEUlllE1_EE10hipError_tPvRmT2_T3_mT4_P12ihipStream_tbEUlmE_lEESB_NS0_8identityIvEEEESM_SP_SQ_mSR_ST_bEUlT_E_NS1_11comp_targetILNS1_3genE0ELNS1_11target_archE4294967295ELNS1_3gpuE0ELNS1_3repE0EEENS1_30default_config_static_selectorELNS0_4arch9wavefront6targetE1EEEvT1_,comdat
.Lfunc_end67:
	.size	_ZN7rocprim17ROCPRIM_400000_NS6detail17trampoline_kernelINS0_14default_configENS1_25transform_config_selectorIlLb0EEEZNS1_14transform_implILb0ES3_S5_NS0_18transform_iteratorINS0_17counting_iteratorImlEEZNS1_24adjacent_difference_implIS3_Lb1ELb0EPlSB_ZN2at6native12_GLOBAL__N_124unique_dim_cuda_templateIhEESt5tupleIJNSC_6TensorESH_SH_EERKSH_lbbbEUlllE1_EE10hipError_tPvRmT2_T3_mT4_P12ihipStream_tbEUlmE_lEESB_NS0_8identityIvEEEESM_SP_SQ_mSR_ST_bEUlT_E_NS1_11comp_targetILNS1_3genE0ELNS1_11target_archE4294967295ELNS1_3gpuE0ELNS1_3repE0EEENS1_30default_config_static_selectorELNS0_4arch9wavefront6targetE1EEEvT1_, .Lfunc_end67-_ZN7rocprim17ROCPRIM_400000_NS6detail17trampoline_kernelINS0_14default_configENS1_25transform_config_selectorIlLb0EEEZNS1_14transform_implILb0ES3_S5_NS0_18transform_iteratorINS0_17counting_iteratorImlEEZNS1_24adjacent_difference_implIS3_Lb1ELb0EPlSB_ZN2at6native12_GLOBAL__N_124unique_dim_cuda_templateIhEESt5tupleIJNSC_6TensorESH_SH_EERKSH_lbbbEUlllE1_EE10hipError_tPvRmT2_T3_mT4_P12ihipStream_tbEUlmE_lEESB_NS0_8identityIvEEEESM_SP_SQ_mSR_ST_bEUlT_E_NS1_11comp_targetILNS1_3genE0ELNS1_11target_archE4294967295ELNS1_3gpuE0ELNS1_3repE0EEENS1_30default_config_static_selectorELNS0_4arch9wavefront6targetE1EEEvT1_
                                        ; -- End function
	.section	.AMDGPU.csdata,"",@progbits
; Kernel info:
; codeLenInByte = 0
; NumSgprs: 6
; NumVgprs: 0
; NumAgprs: 0
; TotalNumVgprs: 0
; ScratchSize: 0
; MemoryBound: 0
; FloatMode: 240
; IeeeMode: 1
; LDSByteSize: 0 bytes/workgroup (compile time only)
; SGPRBlocks: 0
; VGPRBlocks: 0
; NumSGPRsForWavesPerEU: 6
; NumVGPRsForWavesPerEU: 1
; AccumOffset: 4
; Occupancy: 8
; WaveLimiterHint : 0
; COMPUTE_PGM_RSRC2:SCRATCH_EN: 0
; COMPUTE_PGM_RSRC2:USER_SGPR: 2
; COMPUTE_PGM_RSRC2:TRAP_HANDLER: 0
; COMPUTE_PGM_RSRC2:TGID_X_EN: 1
; COMPUTE_PGM_RSRC2:TGID_Y_EN: 0
; COMPUTE_PGM_RSRC2:TGID_Z_EN: 0
; COMPUTE_PGM_RSRC2:TIDIG_COMP_CNT: 0
; COMPUTE_PGM_RSRC3_GFX90A:ACCUM_OFFSET: 0
; COMPUTE_PGM_RSRC3_GFX90A:TG_SPLIT: 0
	.section	.text._ZN7rocprim17ROCPRIM_400000_NS6detail17trampoline_kernelINS0_14default_configENS1_25transform_config_selectorIlLb0EEEZNS1_14transform_implILb0ES3_S5_NS0_18transform_iteratorINS0_17counting_iteratorImlEEZNS1_24adjacent_difference_implIS3_Lb1ELb0EPlSB_ZN2at6native12_GLOBAL__N_124unique_dim_cuda_templateIhEESt5tupleIJNSC_6TensorESH_SH_EERKSH_lbbbEUlllE1_EE10hipError_tPvRmT2_T3_mT4_P12ihipStream_tbEUlmE_lEESB_NS0_8identityIvEEEESM_SP_SQ_mSR_ST_bEUlT_E_NS1_11comp_targetILNS1_3genE5ELNS1_11target_archE942ELNS1_3gpuE9ELNS1_3repE0EEENS1_30default_config_static_selectorELNS0_4arch9wavefront6targetE1EEEvT1_,"axG",@progbits,_ZN7rocprim17ROCPRIM_400000_NS6detail17trampoline_kernelINS0_14default_configENS1_25transform_config_selectorIlLb0EEEZNS1_14transform_implILb0ES3_S5_NS0_18transform_iteratorINS0_17counting_iteratorImlEEZNS1_24adjacent_difference_implIS3_Lb1ELb0EPlSB_ZN2at6native12_GLOBAL__N_124unique_dim_cuda_templateIhEESt5tupleIJNSC_6TensorESH_SH_EERKSH_lbbbEUlllE1_EE10hipError_tPvRmT2_T3_mT4_P12ihipStream_tbEUlmE_lEESB_NS0_8identityIvEEEESM_SP_SQ_mSR_ST_bEUlT_E_NS1_11comp_targetILNS1_3genE5ELNS1_11target_archE942ELNS1_3gpuE9ELNS1_3repE0EEENS1_30default_config_static_selectorELNS0_4arch9wavefront6targetE1EEEvT1_,comdat
	.globl	_ZN7rocprim17ROCPRIM_400000_NS6detail17trampoline_kernelINS0_14default_configENS1_25transform_config_selectorIlLb0EEEZNS1_14transform_implILb0ES3_S5_NS0_18transform_iteratorINS0_17counting_iteratorImlEEZNS1_24adjacent_difference_implIS3_Lb1ELb0EPlSB_ZN2at6native12_GLOBAL__N_124unique_dim_cuda_templateIhEESt5tupleIJNSC_6TensorESH_SH_EERKSH_lbbbEUlllE1_EE10hipError_tPvRmT2_T3_mT4_P12ihipStream_tbEUlmE_lEESB_NS0_8identityIvEEEESM_SP_SQ_mSR_ST_bEUlT_E_NS1_11comp_targetILNS1_3genE5ELNS1_11target_archE942ELNS1_3gpuE9ELNS1_3repE0EEENS1_30default_config_static_selectorELNS0_4arch9wavefront6targetE1EEEvT1_ ; -- Begin function _ZN7rocprim17ROCPRIM_400000_NS6detail17trampoline_kernelINS0_14default_configENS1_25transform_config_selectorIlLb0EEEZNS1_14transform_implILb0ES3_S5_NS0_18transform_iteratorINS0_17counting_iteratorImlEEZNS1_24adjacent_difference_implIS3_Lb1ELb0EPlSB_ZN2at6native12_GLOBAL__N_124unique_dim_cuda_templateIhEESt5tupleIJNSC_6TensorESH_SH_EERKSH_lbbbEUlllE1_EE10hipError_tPvRmT2_T3_mT4_P12ihipStream_tbEUlmE_lEESB_NS0_8identityIvEEEESM_SP_SQ_mSR_ST_bEUlT_E_NS1_11comp_targetILNS1_3genE5ELNS1_11target_archE942ELNS1_3gpuE9ELNS1_3repE0EEENS1_30default_config_static_selectorELNS0_4arch9wavefront6targetE1EEEvT1_
	.p2align	8
	.type	_ZN7rocprim17ROCPRIM_400000_NS6detail17trampoline_kernelINS0_14default_configENS1_25transform_config_selectorIlLb0EEEZNS1_14transform_implILb0ES3_S5_NS0_18transform_iteratorINS0_17counting_iteratorImlEEZNS1_24adjacent_difference_implIS3_Lb1ELb0EPlSB_ZN2at6native12_GLOBAL__N_124unique_dim_cuda_templateIhEESt5tupleIJNSC_6TensorESH_SH_EERKSH_lbbbEUlllE1_EE10hipError_tPvRmT2_T3_mT4_P12ihipStream_tbEUlmE_lEESB_NS0_8identityIvEEEESM_SP_SQ_mSR_ST_bEUlT_E_NS1_11comp_targetILNS1_3genE5ELNS1_11target_archE942ELNS1_3gpuE9ELNS1_3repE0EEENS1_30default_config_static_selectorELNS0_4arch9wavefront6targetE1EEEvT1_,@function
_ZN7rocprim17ROCPRIM_400000_NS6detail17trampoline_kernelINS0_14default_configENS1_25transform_config_selectorIlLb0EEEZNS1_14transform_implILb0ES3_S5_NS0_18transform_iteratorINS0_17counting_iteratorImlEEZNS1_24adjacent_difference_implIS3_Lb1ELb0EPlSB_ZN2at6native12_GLOBAL__N_124unique_dim_cuda_templateIhEESt5tupleIJNSC_6TensorESH_SH_EERKSH_lbbbEUlllE1_EE10hipError_tPvRmT2_T3_mT4_P12ihipStream_tbEUlmE_lEESB_NS0_8identityIvEEEESM_SP_SQ_mSR_ST_bEUlT_E_NS1_11comp_targetILNS1_3genE5ELNS1_11target_archE942ELNS1_3gpuE9ELNS1_3repE0EEENS1_30default_config_static_selectorELNS0_4arch9wavefront6targetE1EEEvT1_: ; @_ZN7rocprim17ROCPRIM_400000_NS6detail17trampoline_kernelINS0_14default_configENS1_25transform_config_selectorIlLb0EEEZNS1_14transform_implILb0ES3_S5_NS0_18transform_iteratorINS0_17counting_iteratorImlEEZNS1_24adjacent_difference_implIS3_Lb1ELb0EPlSB_ZN2at6native12_GLOBAL__N_124unique_dim_cuda_templateIhEESt5tupleIJNSC_6TensorESH_SH_EERKSH_lbbbEUlllE1_EE10hipError_tPvRmT2_T3_mT4_P12ihipStream_tbEUlmE_lEESB_NS0_8identityIvEEEESM_SP_SQ_mSR_ST_bEUlT_E_NS1_11comp_targetILNS1_3genE5ELNS1_11target_archE942ELNS1_3gpuE9ELNS1_3repE0EEENS1_30default_config_static_selectorELNS0_4arch9wavefront6targetE1EEEvT1_
; %bb.0:
	s_load_dwordx4 s[8:11], s[0:1], 0x18
	s_load_dwordx2 s[12:13], s[0:1], 0x28
	s_load_dwordx4 s[4:7], s[0:1], 0x0
	s_load_dword s14, s[0:1], 0x10
	s_load_dword s3, s[0:1], 0x38
	s_waitcnt lgkmcnt(0)
	s_lshl_b64 s[0:1], s[8:9], 3
	s_add_u32 s11, s12, s0
	s_addc_u32 s16, s13, s1
	s_lshl_b32 s12, s2, 10
	s_add_i32 s3, s3, -1
	s_add_u32 s0, s4, s12
	s_addc_u32 s1, s5, 0
	s_add_u32 s4, s0, s8
	s_addc_u32 s5, s1, s9
	s_mov_b32 s13, 0
	s_cmp_lg_u32 s2, s3
	v_lshlrev_b32_e32 v6, 3, v0
	s_cbranch_scc0 .LBB68_2
; %bb.1:
	v_mov_b32_e32 v1, 0
	v_lshl_add_u64 v[2:3], s[4:5], 0, v[0:1]
	v_mad_u64_u32 v[4:5], s[0:1], v2, s14, 0
	v_mov_b32_e32 v2, v5
	v_mad_u64_u32 v[2:3], s[0:1], v3, s14, v[2:3]
	s_mov_b32 s15, s13
	v_mov_b32_e32 v5, v2
	v_lshl_add_u64 v[2:3], v[4:5], 3, s[6:7]
	s_lshl_b64 s[0:1], s[14:15], 12
	global_load_dwordx2 v[10:11], v[2:3], off
	v_lshl_add_u64 v[2:3], v[2:3], 0, s[0:1]
	global_load_dwordx2 v[4:5], v[2:3], off
	s_lshl_b64 s[2:3], s[12:13], 3
	s_add_u32 s2, s11, s2
	v_mov_b32_e32 v7, v1
	s_addc_u32 s3, s16, s3
	v_lshl_add_u64 v[8:9], s[2:3], 0, v[6:7]
	s_waitcnt vmcnt(1)
	global_store_dwordx2 v6, v[10:11], s[2:3]
	s_mov_b64 s[2:3], -1
	s_cbranch_execz .LBB68_3
	s_branch .LBB68_12
.LBB68_2:
	s_mov_b64 s[2:3], 0
                                        ; implicit-def: $vgpr4_vgpr5
                                        ; implicit-def: $vgpr8_vgpr9
.LBB68_3:
	s_sub_i32 s8, s10, s12
	v_cmp_gt_u32_e32 vcc, s8, v0
                                        ; implicit-def: $vgpr2_vgpr3_vgpr4_vgpr5
	s_and_saveexec_b64 s[0:1], vcc
	s_cbranch_execz .LBB68_5
; %bb.4:
	v_mov_b32_e32 v1, 0
	v_lshl_add_u64 v[2:3], s[4:5], 0, v[0:1]
	s_waitcnt vmcnt(1)
	v_mad_u64_u32 v[4:5], s[18:19], v2, s14, 0
	v_mov_b32_e32 v2, v5
	v_mad_u64_u32 v[2:3], s[18:19], v3, s14, v[2:3]
	v_mov_b32_e32 v5, v2
	v_lshl_add_u64 v[2:3], v[4:5], 3, s[6:7]
	global_load_dwordx2 v[2:3], v[2:3], off
.LBB68_5:
	s_or_b64 exec, exec, s[0:1]
	v_or_b32_e32 v0, 0x200, v0
	v_cmp_gt_u32_e64 s[0:1], s8, v0
	s_and_saveexec_b64 s[8:9], s[0:1]
	s_cbranch_execz .LBB68_7
; %bb.6:
	v_mov_b32_e32 v1, 0
	v_lshl_add_u64 v[0:1], s[4:5], 0, v[0:1]
	s_waitcnt vmcnt(1)
	v_mad_u64_u32 v[4:5], s[4:5], v0, s14, 0
	v_mov_b32_e32 v0, v5
	v_mad_u64_u32 v[0:1], s[4:5], v1, s14, v[0:1]
	v_mov_b32_e32 v5, v0
	v_lshl_add_u64 v[0:1], v[4:5], 3, s[6:7]
	global_load_dwordx2 v[4:5], v[0:1], off
.LBB68_7:
	s_or_b64 exec, exec, s[8:9]
	s_lshl_b64 s[4:5], s[12:13], 3
	s_add_u32 s4, s11, s4
	s_addc_u32 s5, s16, s5
	v_mov_b32_e32 v7, 0
	v_lshl_add_u64 v[8:9], s[4:5], 0, v[6:7]
	s_and_saveexec_b64 s[4:5], vcc
	s_cbranch_execz .LBB68_9
; %bb.8:
	s_waitcnt vmcnt(0)
	global_store_dwordx2 v[8:9], v[2:3], off
.LBB68_9:
	s_or_b64 exec, exec, s[4:5]
	s_and_saveexec_b64 s[4:5], s[0:1]
; %bb.10:
	s_or_b64 s[2:3], s[2:3], exec
; %bb.11:
	s_or_b64 exec, exec, s[4:5]
.LBB68_12:
	s_and_saveexec_b64 s[0:1], s[2:3]
	s_cbranch_execnz .LBB68_14
; %bb.13:
	s_endpgm
.LBB68_14:
	v_add_co_u32_e32 v0, vcc, 0x1000, v8
	s_nop 1
	v_addc_co_u32_e32 v1, vcc, 0, v9, vcc
	s_waitcnt vmcnt(0)
	global_store_dwordx2 v[0:1], v[4:5], off
	s_endpgm
	.section	.rodata,"a",@progbits
	.p2align	6, 0x0
	.amdhsa_kernel _ZN7rocprim17ROCPRIM_400000_NS6detail17trampoline_kernelINS0_14default_configENS1_25transform_config_selectorIlLb0EEEZNS1_14transform_implILb0ES3_S5_NS0_18transform_iteratorINS0_17counting_iteratorImlEEZNS1_24adjacent_difference_implIS3_Lb1ELb0EPlSB_ZN2at6native12_GLOBAL__N_124unique_dim_cuda_templateIhEESt5tupleIJNSC_6TensorESH_SH_EERKSH_lbbbEUlllE1_EE10hipError_tPvRmT2_T3_mT4_P12ihipStream_tbEUlmE_lEESB_NS0_8identityIvEEEESM_SP_SQ_mSR_ST_bEUlT_E_NS1_11comp_targetILNS1_3genE5ELNS1_11target_archE942ELNS1_3gpuE9ELNS1_3repE0EEENS1_30default_config_static_selectorELNS0_4arch9wavefront6targetE1EEEvT1_
		.amdhsa_group_segment_fixed_size 0
		.amdhsa_private_segment_fixed_size 0
		.amdhsa_kernarg_size 312
		.amdhsa_user_sgpr_count 2
		.amdhsa_user_sgpr_dispatch_ptr 0
		.amdhsa_user_sgpr_queue_ptr 0
		.amdhsa_user_sgpr_kernarg_segment_ptr 1
		.amdhsa_user_sgpr_dispatch_id 0
		.amdhsa_user_sgpr_kernarg_preload_length 0
		.amdhsa_user_sgpr_kernarg_preload_offset 0
		.amdhsa_user_sgpr_private_segment_size 0
		.amdhsa_uses_dynamic_stack 0
		.amdhsa_enable_private_segment 0
		.amdhsa_system_sgpr_workgroup_id_x 1
		.amdhsa_system_sgpr_workgroup_id_y 0
		.amdhsa_system_sgpr_workgroup_id_z 0
		.amdhsa_system_sgpr_workgroup_info 0
		.amdhsa_system_vgpr_workitem_id 0
		.amdhsa_next_free_vgpr 12
		.amdhsa_next_free_sgpr 20
		.amdhsa_accum_offset 12
		.amdhsa_reserve_vcc 1
		.amdhsa_float_round_mode_32 0
		.amdhsa_float_round_mode_16_64 0
		.amdhsa_float_denorm_mode_32 3
		.amdhsa_float_denorm_mode_16_64 3
		.amdhsa_dx10_clamp 1
		.amdhsa_ieee_mode 1
		.amdhsa_fp16_overflow 0
		.amdhsa_tg_split 0
		.amdhsa_exception_fp_ieee_invalid_op 0
		.amdhsa_exception_fp_denorm_src 0
		.amdhsa_exception_fp_ieee_div_zero 0
		.amdhsa_exception_fp_ieee_overflow 0
		.amdhsa_exception_fp_ieee_underflow 0
		.amdhsa_exception_fp_ieee_inexact 0
		.amdhsa_exception_int_div_zero 0
	.end_amdhsa_kernel
	.section	.text._ZN7rocprim17ROCPRIM_400000_NS6detail17trampoline_kernelINS0_14default_configENS1_25transform_config_selectorIlLb0EEEZNS1_14transform_implILb0ES3_S5_NS0_18transform_iteratorINS0_17counting_iteratorImlEEZNS1_24adjacent_difference_implIS3_Lb1ELb0EPlSB_ZN2at6native12_GLOBAL__N_124unique_dim_cuda_templateIhEESt5tupleIJNSC_6TensorESH_SH_EERKSH_lbbbEUlllE1_EE10hipError_tPvRmT2_T3_mT4_P12ihipStream_tbEUlmE_lEESB_NS0_8identityIvEEEESM_SP_SQ_mSR_ST_bEUlT_E_NS1_11comp_targetILNS1_3genE5ELNS1_11target_archE942ELNS1_3gpuE9ELNS1_3repE0EEENS1_30default_config_static_selectorELNS0_4arch9wavefront6targetE1EEEvT1_,"axG",@progbits,_ZN7rocprim17ROCPRIM_400000_NS6detail17trampoline_kernelINS0_14default_configENS1_25transform_config_selectorIlLb0EEEZNS1_14transform_implILb0ES3_S5_NS0_18transform_iteratorINS0_17counting_iteratorImlEEZNS1_24adjacent_difference_implIS3_Lb1ELb0EPlSB_ZN2at6native12_GLOBAL__N_124unique_dim_cuda_templateIhEESt5tupleIJNSC_6TensorESH_SH_EERKSH_lbbbEUlllE1_EE10hipError_tPvRmT2_T3_mT4_P12ihipStream_tbEUlmE_lEESB_NS0_8identityIvEEEESM_SP_SQ_mSR_ST_bEUlT_E_NS1_11comp_targetILNS1_3genE5ELNS1_11target_archE942ELNS1_3gpuE9ELNS1_3repE0EEENS1_30default_config_static_selectorELNS0_4arch9wavefront6targetE1EEEvT1_,comdat
.Lfunc_end68:
	.size	_ZN7rocprim17ROCPRIM_400000_NS6detail17trampoline_kernelINS0_14default_configENS1_25transform_config_selectorIlLb0EEEZNS1_14transform_implILb0ES3_S5_NS0_18transform_iteratorINS0_17counting_iteratorImlEEZNS1_24adjacent_difference_implIS3_Lb1ELb0EPlSB_ZN2at6native12_GLOBAL__N_124unique_dim_cuda_templateIhEESt5tupleIJNSC_6TensorESH_SH_EERKSH_lbbbEUlllE1_EE10hipError_tPvRmT2_T3_mT4_P12ihipStream_tbEUlmE_lEESB_NS0_8identityIvEEEESM_SP_SQ_mSR_ST_bEUlT_E_NS1_11comp_targetILNS1_3genE5ELNS1_11target_archE942ELNS1_3gpuE9ELNS1_3repE0EEENS1_30default_config_static_selectorELNS0_4arch9wavefront6targetE1EEEvT1_, .Lfunc_end68-_ZN7rocprim17ROCPRIM_400000_NS6detail17trampoline_kernelINS0_14default_configENS1_25transform_config_selectorIlLb0EEEZNS1_14transform_implILb0ES3_S5_NS0_18transform_iteratorINS0_17counting_iteratorImlEEZNS1_24adjacent_difference_implIS3_Lb1ELb0EPlSB_ZN2at6native12_GLOBAL__N_124unique_dim_cuda_templateIhEESt5tupleIJNSC_6TensorESH_SH_EERKSH_lbbbEUlllE1_EE10hipError_tPvRmT2_T3_mT4_P12ihipStream_tbEUlmE_lEESB_NS0_8identityIvEEEESM_SP_SQ_mSR_ST_bEUlT_E_NS1_11comp_targetILNS1_3genE5ELNS1_11target_archE942ELNS1_3gpuE9ELNS1_3repE0EEENS1_30default_config_static_selectorELNS0_4arch9wavefront6targetE1EEEvT1_
                                        ; -- End function
	.section	.AMDGPU.csdata,"",@progbits
; Kernel info:
; codeLenInByte = 488
; NumSgprs: 26
; NumVgprs: 12
; NumAgprs: 0
; TotalNumVgprs: 12
; ScratchSize: 0
; MemoryBound: 0
; FloatMode: 240
; IeeeMode: 1
; LDSByteSize: 0 bytes/workgroup (compile time only)
; SGPRBlocks: 3
; VGPRBlocks: 1
; NumSGPRsForWavesPerEU: 26
; NumVGPRsForWavesPerEU: 12
; AccumOffset: 12
; Occupancy: 8
; WaveLimiterHint : 0
; COMPUTE_PGM_RSRC2:SCRATCH_EN: 0
; COMPUTE_PGM_RSRC2:USER_SGPR: 2
; COMPUTE_PGM_RSRC2:TRAP_HANDLER: 0
; COMPUTE_PGM_RSRC2:TGID_X_EN: 1
; COMPUTE_PGM_RSRC2:TGID_Y_EN: 0
; COMPUTE_PGM_RSRC2:TGID_Z_EN: 0
; COMPUTE_PGM_RSRC2:TIDIG_COMP_CNT: 0
; COMPUTE_PGM_RSRC3_GFX90A:ACCUM_OFFSET: 2
; COMPUTE_PGM_RSRC3_GFX90A:TG_SPLIT: 0
	.section	.text._ZN7rocprim17ROCPRIM_400000_NS6detail17trampoline_kernelINS0_14default_configENS1_25transform_config_selectorIlLb0EEEZNS1_14transform_implILb0ES3_S5_NS0_18transform_iteratorINS0_17counting_iteratorImlEEZNS1_24adjacent_difference_implIS3_Lb1ELb0EPlSB_ZN2at6native12_GLOBAL__N_124unique_dim_cuda_templateIhEESt5tupleIJNSC_6TensorESH_SH_EERKSH_lbbbEUlllE1_EE10hipError_tPvRmT2_T3_mT4_P12ihipStream_tbEUlmE_lEESB_NS0_8identityIvEEEESM_SP_SQ_mSR_ST_bEUlT_E_NS1_11comp_targetILNS1_3genE4ELNS1_11target_archE910ELNS1_3gpuE8ELNS1_3repE0EEENS1_30default_config_static_selectorELNS0_4arch9wavefront6targetE1EEEvT1_,"axG",@progbits,_ZN7rocprim17ROCPRIM_400000_NS6detail17trampoline_kernelINS0_14default_configENS1_25transform_config_selectorIlLb0EEEZNS1_14transform_implILb0ES3_S5_NS0_18transform_iteratorINS0_17counting_iteratorImlEEZNS1_24adjacent_difference_implIS3_Lb1ELb0EPlSB_ZN2at6native12_GLOBAL__N_124unique_dim_cuda_templateIhEESt5tupleIJNSC_6TensorESH_SH_EERKSH_lbbbEUlllE1_EE10hipError_tPvRmT2_T3_mT4_P12ihipStream_tbEUlmE_lEESB_NS0_8identityIvEEEESM_SP_SQ_mSR_ST_bEUlT_E_NS1_11comp_targetILNS1_3genE4ELNS1_11target_archE910ELNS1_3gpuE8ELNS1_3repE0EEENS1_30default_config_static_selectorELNS0_4arch9wavefront6targetE1EEEvT1_,comdat
	.globl	_ZN7rocprim17ROCPRIM_400000_NS6detail17trampoline_kernelINS0_14default_configENS1_25transform_config_selectorIlLb0EEEZNS1_14transform_implILb0ES3_S5_NS0_18transform_iteratorINS0_17counting_iteratorImlEEZNS1_24adjacent_difference_implIS3_Lb1ELb0EPlSB_ZN2at6native12_GLOBAL__N_124unique_dim_cuda_templateIhEESt5tupleIJNSC_6TensorESH_SH_EERKSH_lbbbEUlllE1_EE10hipError_tPvRmT2_T3_mT4_P12ihipStream_tbEUlmE_lEESB_NS0_8identityIvEEEESM_SP_SQ_mSR_ST_bEUlT_E_NS1_11comp_targetILNS1_3genE4ELNS1_11target_archE910ELNS1_3gpuE8ELNS1_3repE0EEENS1_30default_config_static_selectorELNS0_4arch9wavefront6targetE1EEEvT1_ ; -- Begin function _ZN7rocprim17ROCPRIM_400000_NS6detail17trampoline_kernelINS0_14default_configENS1_25transform_config_selectorIlLb0EEEZNS1_14transform_implILb0ES3_S5_NS0_18transform_iteratorINS0_17counting_iteratorImlEEZNS1_24adjacent_difference_implIS3_Lb1ELb0EPlSB_ZN2at6native12_GLOBAL__N_124unique_dim_cuda_templateIhEESt5tupleIJNSC_6TensorESH_SH_EERKSH_lbbbEUlllE1_EE10hipError_tPvRmT2_T3_mT4_P12ihipStream_tbEUlmE_lEESB_NS0_8identityIvEEEESM_SP_SQ_mSR_ST_bEUlT_E_NS1_11comp_targetILNS1_3genE4ELNS1_11target_archE910ELNS1_3gpuE8ELNS1_3repE0EEENS1_30default_config_static_selectorELNS0_4arch9wavefront6targetE1EEEvT1_
	.p2align	8
	.type	_ZN7rocprim17ROCPRIM_400000_NS6detail17trampoline_kernelINS0_14default_configENS1_25transform_config_selectorIlLb0EEEZNS1_14transform_implILb0ES3_S5_NS0_18transform_iteratorINS0_17counting_iteratorImlEEZNS1_24adjacent_difference_implIS3_Lb1ELb0EPlSB_ZN2at6native12_GLOBAL__N_124unique_dim_cuda_templateIhEESt5tupleIJNSC_6TensorESH_SH_EERKSH_lbbbEUlllE1_EE10hipError_tPvRmT2_T3_mT4_P12ihipStream_tbEUlmE_lEESB_NS0_8identityIvEEEESM_SP_SQ_mSR_ST_bEUlT_E_NS1_11comp_targetILNS1_3genE4ELNS1_11target_archE910ELNS1_3gpuE8ELNS1_3repE0EEENS1_30default_config_static_selectorELNS0_4arch9wavefront6targetE1EEEvT1_,@function
_ZN7rocprim17ROCPRIM_400000_NS6detail17trampoline_kernelINS0_14default_configENS1_25transform_config_selectorIlLb0EEEZNS1_14transform_implILb0ES3_S5_NS0_18transform_iteratorINS0_17counting_iteratorImlEEZNS1_24adjacent_difference_implIS3_Lb1ELb0EPlSB_ZN2at6native12_GLOBAL__N_124unique_dim_cuda_templateIhEESt5tupleIJNSC_6TensorESH_SH_EERKSH_lbbbEUlllE1_EE10hipError_tPvRmT2_T3_mT4_P12ihipStream_tbEUlmE_lEESB_NS0_8identityIvEEEESM_SP_SQ_mSR_ST_bEUlT_E_NS1_11comp_targetILNS1_3genE4ELNS1_11target_archE910ELNS1_3gpuE8ELNS1_3repE0EEENS1_30default_config_static_selectorELNS0_4arch9wavefront6targetE1EEEvT1_: ; @_ZN7rocprim17ROCPRIM_400000_NS6detail17trampoline_kernelINS0_14default_configENS1_25transform_config_selectorIlLb0EEEZNS1_14transform_implILb0ES3_S5_NS0_18transform_iteratorINS0_17counting_iteratorImlEEZNS1_24adjacent_difference_implIS3_Lb1ELb0EPlSB_ZN2at6native12_GLOBAL__N_124unique_dim_cuda_templateIhEESt5tupleIJNSC_6TensorESH_SH_EERKSH_lbbbEUlllE1_EE10hipError_tPvRmT2_T3_mT4_P12ihipStream_tbEUlmE_lEESB_NS0_8identityIvEEEESM_SP_SQ_mSR_ST_bEUlT_E_NS1_11comp_targetILNS1_3genE4ELNS1_11target_archE910ELNS1_3gpuE8ELNS1_3repE0EEENS1_30default_config_static_selectorELNS0_4arch9wavefront6targetE1EEEvT1_
; %bb.0:
	.section	.rodata,"a",@progbits
	.p2align	6, 0x0
	.amdhsa_kernel _ZN7rocprim17ROCPRIM_400000_NS6detail17trampoline_kernelINS0_14default_configENS1_25transform_config_selectorIlLb0EEEZNS1_14transform_implILb0ES3_S5_NS0_18transform_iteratorINS0_17counting_iteratorImlEEZNS1_24adjacent_difference_implIS3_Lb1ELb0EPlSB_ZN2at6native12_GLOBAL__N_124unique_dim_cuda_templateIhEESt5tupleIJNSC_6TensorESH_SH_EERKSH_lbbbEUlllE1_EE10hipError_tPvRmT2_T3_mT4_P12ihipStream_tbEUlmE_lEESB_NS0_8identityIvEEEESM_SP_SQ_mSR_ST_bEUlT_E_NS1_11comp_targetILNS1_3genE4ELNS1_11target_archE910ELNS1_3gpuE8ELNS1_3repE0EEENS1_30default_config_static_selectorELNS0_4arch9wavefront6targetE1EEEvT1_
		.amdhsa_group_segment_fixed_size 0
		.amdhsa_private_segment_fixed_size 0
		.amdhsa_kernarg_size 56
		.amdhsa_user_sgpr_count 2
		.amdhsa_user_sgpr_dispatch_ptr 0
		.amdhsa_user_sgpr_queue_ptr 0
		.amdhsa_user_sgpr_kernarg_segment_ptr 1
		.amdhsa_user_sgpr_dispatch_id 0
		.amdhsa_user_sgpr_kernarg_preload_length 0
		.amdhsa_user_sgpr_kernarg_preload_offset 0
		.amdhsa_user_sgpr_private_segment_size 0
		.amdhsa_uses_dynamic_stack 0
		.amdhsa_enable_private_segment 0
		.amdhsa_system_sgpr_workgroup_id_x 1
		.amdhsa_system_sgpr_workgroup_id_y 0
		.amdhsa_system_sgpr_workgroup_id_z 0
		.amdhsa_system_sgpr_workgroup_info 0
		.amdhsa_system_vgpr_workitem_id 0
		.amdhsa_next_free_vgpr 1
		.amdhsa_next_free_sgpr 0
		.amdhsa_accum_offset 4
		.amdhsa_reserve_vcc 0
		.amdhsa_float_round_mode_32 0
		.amdhsa_float_round_mode_16_64 0
		.amdhsa_float_denorm_mode_32 3
		.amdhsa_float_denorm_mode_16_64 3
		.amdhsa_dx10_clamp 1
		.amdhsa_ieee_mode 1
		.amdhsa_fp16_overflow 0
		.amdhsa_tg_split 0
		.amdhsa_exception_fp_ieee_invalid_op 0
		.amdhsa_exception_fp_denorm_src 0
		.amdhsa_exception_fp_ieee_div_zero 0
		.amdhsa_exception_fp_ieee_overflow 0
		.amdhsa_exception_fp_ieee_underflow 0
		.amdhsa_exception_fp_ieee_inexact 0
		.amdhsa_exception_int_div_zero 0
	.end_amdhsa_kernel
	.section	.text._ZN7rocprim17ROCPRIM_400000_NS6detail17trampoline_kernelINS0_14default_configENS1_25transform_config_selectorIlLb0EEEZNS1_14transform_implILb0ES3_S5_NS0_18transform_iteratorINS0_17counting_iteratorImlEEZNS1_24adjacent_difference_implIS3_Lb1ELb0EPlSB_ZN2at6native12_GLOBAL__N_124unique_dim_cuda_templateIhEESt5tupleIJNSC_6TensorESH_SH_EERKSH_lbbbEUlllE1_EE10hipError_tPvRmT2_T3_mT4_P12ihipStream_tbEUlmE_lEESB_NS0_8identityIvEEEESM_SP_SQ_mSR_ST_bEUlT_E_NS1_11comp_targetILNS1_3genE4ELNS1_11target_archE910ELNS1_3gpuE8ELNS1_3repE0EEENS1_30default_config_static_selectorELNS0_4arch9wavefront6targetE1EEEvT1_,"axG",@progbits,_ZN7rocprim17ROCPRIM_400000_NS6detail17trampoline_kernelINS0_14default_configENS1_25transform_config_selectorIlLb0EEEZNS1_14transform_implILb0ES3_S5_NS0_18transform_iteratorINS0_17counting_iteratorImlEEZNS1_24adjacent_difference_implIS3_Lb1ELb0EPlSB_ZN2at6native12_GLOBAL__N_124unique_dim_cuda_templateIhEESt5tupleIJNSC_6TensorESH_SH_EERKSH_lbbbEUlllE1_EE10hipError_tPvRmT2_T3_mT4_P12ihipStream_tbEUlmE_lEESB_NS0_8identityIvEEEESM_SP_SQ_mSR_ST_bEUlT_E_NS1_11comp_targetILNS1_3genE4ELNS1_11target_archE910ELNS1_3gpuE8ELNS1_3repE0EEENS1_30default_config_static_selectorELNS0_4arch9wavefront6targetE1EEEvT1_,comdat
.Lfunc_end69:
	.size	_ZN7rocprim17ROCPRIM_400000_NS6detail17trampoline_kernelINS0_14default_configENS1_25transform_config_selectorIlLb0EEEZNS1_14transform_implILb0ES3_S5_NS0_18transform_iteratorINS0_17counting_iteratorImlEEZNS1_24adjacent_difference_implIS3_Lb1ELb0EPlSB_ZN2at6native12_GLOBAL__N_124unique_dim_cuda_templateIhEESt5tupleIJNSC_6TensorESH_SH_EERKSH_lbbbEUlllE1_EE10hipError_tPvRmT2_T3_mT4_P12ihipStream_tbEUlmE_lEESB_NS0_8identityIvEEEESM_SP_SQ_mSR_ST_bEUlT_E_NS1_11comp_targetILNS1_3genE4ELNS1_11target_archE910ELNS1_3gpuE8ELNS1_3repE0EEENS1_30default_config_static_selectorELNS0_4arch9wavefront6targetE1EEEvT1_, .Lfunc_end69-_ZN7rocprim17ROCPRIM_400000_NS6detail17trampoline_kernelINS0_14default_configENS1_25transform_config_selectorIlLb0EEEZNS1_14transform_implILb0ES3_S5_NS0_18transform_iteratorINS0_17counting_iteratorImlEEZNS1_24adjacent_difference_implIS3_Lb1ELb0EPlSB_ZN2at6native12_GLOBAL__N_124unique_dim_cuda_templateIhEESt5tupleIJNSC_6TensorESH_SH_EERKSH_lbbbEUlllE1_EE10hipError_tPvRmT2_T3_mT4_P12ihipStream_tbEUlmE_lEESB_NS0_8identityIvEEEESM_SP_SQ_mSR_ST_bEUlT_E_NS1_11comp_targetILNS1_3genE4ELNS1_11target_archE910ELNS1_3gpuE8ELNS1_3repE0EEENS1_30default_config_static_selectorELNS0_4arch9wavefront6targetE1EEEvT1_
                                        ; -- End function
	.section	.AMDGPU.csdata,"",@progbits
; Kernel info:
; codeLenInByte = 0
; NumSgprs: 6
; NumVgprs: 0
; NumAgprs: 0
; TotalNumVgprs: 0
; ScratchSize: 0
; MemoryBound: 0
; FloatMode: 240
; IeeeMode: 1
; LDSByteSize: 0 bytes/workgroup (compile time only)
; SGPRBlocks: 0
; VGPRBlocks: 0
; NumSGPRsForWavesPerEU: 6
; NumVGPRsForWavesPerEU: 1
; AccumOffset: 4
; Occupancy: 8
; WaveLimiterHint : 0
; COMPUTE_PGM_RSRC2:SCRATCH_EN: 0
; COMPUTE_PGM_RSRC2:USER_SGPR: 2
; COMPUTE_PGM_RSRC2:TRAP_HANDLER: 0
; COMPUTE_PGM_RSRC2:TGID_X_EN: 1
; COMPUTE_PGM_RSRC2:TGID_Y_EN: 0
; COMPUTE_PGM_RSRC2:TGID_Z_EN: 0
; COMPUTE_PGM_RSRC2:TIDIG_COMP_CNT: 0
; COMPUTE_PGM_RSRC3_GFX90A:ACCUM_OFFSET: 0
; COMPUTE_PGM_RSRC3_GFX90A:TG_SPLIT: 0
	.section	.text._ZN7rocprim17ROCPRIM_400000_NS6detail17trampoline_kernelINS0_14default_configENS1_25transform_config_selectorIlLb0EEEZNS1_14transform_implILb0ES3_S5_NS0_18transform_iteratorINS0_17counting_iteratorImlEEZNS1_24adjacent_difference_implIS3_Lb1ELb0EPlSB_ZN2at6native12_GLOBAL__N_124unique_dim_cuda_templateIhEESt5tupleIJNSC_6TensorESH_SH_EERKSH_lbbbEUlllE1_EE10hipError_tPvRmT2_T3_mT4_P12ihipStream_tbEUlmE_lEESB_NS0_8identityIvEEEESM_SP_SQ_mSR_ST_bEUlT_E_NS1_11comp_targetILNS1_3genE3ELNS1_11target_archE908ELNS1_3gpuE7ELNS1_3repE0EEENS1_30default_config_static_selectorELNS0_4arch9wavefront6targetE1EEEvT1_,"axG",@progbits,_ZN7rocprim17ROCPRIM_400000_NS6detail17trampoline_kernelINS0_14default_configENS1_25transform_config_selectorIlLb0EEEZNS1_14transform_implILb0ES3_S5_NS0_18transform_iteratorINS0_17counting_iteratorImlEEZNS1_24adjacent_difference_implIS3_Lb1ELb0EPlSB_ZN2at6native12_GLOBAL__N_124unique_dim_cuda_templateIhEESt5tupleIJNSC_6TensorESH_SH_EERKSH_lbbbEUlllE1_EE10hipError_tPvRmT2_T3_mT4_P12ihipStream_tbEUlmE_lEESB_NS0_8identityIvEEEESM_SP_SQ_mSR_ST_bEUlT_E_NS1_11comp_targetILNS1_3genE3ELNS1_11target_archE908ELNS1_3gpuE7ELNS1_3repE0EEENS1_30default_config_static_selectorELNS0_4arch9wavefront6targetE1EEEvT1_,comdat
	.globl	_ZN7rocprim17ROCPRIM_400000_NS6detail17trampoline_kernelINS0_14default_configENS1_25transform_config_selectorIlLb0EEEZNS1_14transform_implILb0ES3_S5_NS0_18transform_iteratorINS0_17counting_iteratorImlEEZNS1_24adjacent_difference_implIS3_Lb1ELb0EPlSB_ZN2at6native12_GLOBAL__N_124unique_dim_cuda_templateIhEESt5tupleIJNSC_6TensorESH_SH_EERKSH_lbbbEUlllE1_EE10hipError_tPvRmT2_T3_mT4_P12ihipStream_tbEUlmE_lEESB_NS0_8identityIvEEEESM_SP_SQ_mSR_ST_bEUlT_E_NS1_11comp_targetILNS1_3genE3ELNS1_11target_archE908ELNS1_3gpuE7ELNS1_3repE0EEENS1_30default_config_static_selectorELNS0_4arch9wavefront6targetE1EEEvT1_ ; -- Begin function _ZN7rocprim17ROCPRIM_400000_NS6detail17trampoline_kernelINS0_14default_configENS1_25transform_config_selectorIlLb0EEEZNS1_14transform_implILb0ES3_S5_NS0_18transform_iteratorINS0_17counting_iteratorImlEEZNS1_24adjacent_difference_implIS3_Lb1ELb0EPlSB_ZN2at6native12_GLOBAL__N_124unique_dim_cuda_templateIhEESt5tupleIJNSC_6TensorESH_SH_EERKSH_lbbbEUlllE1_EE10hipError_tPvRmT2_T3_mT4_P12ihipStream_tbEUlmE_lEESB_NS0_8identityIvEEEESM_SP_SQ_mSR_ST_bEUlT_E_NS1_11comp_targetILNS1_3genE3ELNS1_11target_archE908ELNS1_3gpuE7ELNS1_3repE0EEENS1_30default_config_static_selectorELNS0_4arch9wavefront6targetE1EEEvT1_
	.p2align	8
	.type	_ZN7rocprim17ROCPRIM_400000_NS6detail17trampoline_kernelINS0_14default_configENS1_25transform_config_selectorIlLb0EEEZNS1_14transform_implILb0ES3_S5_NS0_18transform_iteratorINS0_17counting_iteratorImlEEZNS1_24adjacent_difference_implIS3_Lb1ELb0EPlSB_ZN2at6native12_GLOBAL__N_124unique_dim_cuda_templateIhEESt5tupleIJNSC_6TensorESH_SH_EERKSH_lbbbEUlllE1_EE10hipError_tPvRmT2_T3_mT4_P12ihipStream_tbEUlmE_lEESB_NS0_8identityIvEEEESM_SP_SQ_mSR_ST_bEUlT_E_NS1_11comp_targetILNS1_3genE3ELNS1_11target_archE908ELNS1_3gpuE7ELNS1_3repE0EEENS1_30default_config_static_selectorELNS0_4arch9wavefront6targetE1EEEvT1_,@function
_ZN7rocprim17ROCPRIM_400000_NS6detail17trampoline_kernelINS0_14default_configENS1_25transform_config_selectorIlLb0EEEZNS1_14transform_implILb0ES3_S5_NS0_18transform_iteratorINS0_17counting_iteratorImlEEZNS1_24adjacent_difference_implIS3_Lb1ELb0EPlSB_ZN2at6native12_GLOBAL__N_124unique_dim_cuda_templateIhEESt5tupleIJNSC_6TensorESH_SH_EERKSH_lbbbEUlllE1_EE10hipError_tPvRmT2_T3_mT4_P12ihipStream_tbEUlmE_lEESB_NS0_8identityIvEEEESM_SP_SQ_mSR_ST_bEUlT_E_NS1_11comp_targetILNS1_3genE3ELNS1_11target_archE908ELNS1_3gpuE7ELNS1_3repE0EEENS1_30default_config_static_selectorELNS0_4arch9wavefront6targetE1EEEvT1_: ; @_ZN7rocprim17ROCPRIM_400000_NS6detail17trampoline_kernelINS0_14default_configENS1_25transform_config_selectorIlLb0EEEZNS1_14transform_implILb0ES3_S5_NS0_18transform_iteratorINS0_17counting_iteratorImlEEZNS1_24adjacent_difference_implIS3_Lb1ELb0EPlSB_ZN2at6native12_GLOBAL__N_124unique_dim_cuda_templateIhEESt5tupleIJNSC_6TensorESH_SH_EERKSH_lbbbEUlllE1_EE10hipError_tPvRmT2_T3_mT4_P12ihipStream_tbEUlmE_lEESB_NS0_8identityIvEEEESM_SP_SQ_mSR_ST_bEUlT_E_NS1_11comp_targetILNS1_3genE3ELNS1_11target_archE908ELNS1_3gpuE7ELNS1_3repE0EEENS1_30default_config_static_selectorELNS0_4arch9wavefront6targetE1EEEvT1_
; %bb.0:
	.section	.rodata,"a",@progbits
	.p2align	6, 0x0
	.amdhsa_kernel _ZN7rocprim17ROCPRIM_400000_NS6detail17trampoline_kernelINS0_14default_configENS1_25transform_config_selectorIlLb0EEEZNS1_14transform_implILb0ES3_S5_NS0_18transform_iteratorINS0_17counting_iteratorImlEEZNS1_24adjacent_difference_implIS3_Lb1ELb0EPlSB_ZN2at6native12_GLOBAL__N_124unique_dim_cuda_templateIhEESt5tupleIJNSC_6TensorESH_SH_EERKSH_lbbbEUlllE1_EE10hipError_tPvRmT2_T3_mT4_P12ihipStream_tbEUlmE_lEESB_NS0_8identityIvEEEESM_SP_SQ_mSR_ST_bEUlT_E_NS1_11comp_targetILNS1_3genE3ELNS1_11target_archE908ELNS1_3gpuE7ELNS1_3repE0EEENS1_30default_config_static_selectorELNS0_4arch9wavefront6targetE1EEEvT1_
		.amdhsa_group_segment_fixed_size 0
		.amdhsa_private_segment_fixed_size 0
		.amdhsa_kernarg_size 56
		.amdhsa_user_sgpr_count 2
		.amdhsa_user_sgpr_dispatch_ptr 0
		.amdhsa_user_sgpr_queue_ptr 0
		.amdhsa_user_sgpr_kernarg_segment_ptr 1
		.amdhsa_user_sgpr_dispatch_id 0
		.amdhsa_user_sgpr_kernarg_preload_length 0
		.amdhsa_user_sgpr_kernarg_preload_offset 0
		.amdhsa_user_sgpr_private_segment_size 0
		.amdhsa_uses_dynamic_stack 0
		.amdhsa_enable_private_segment 0
		.amdhsa_system_sgpr_workgroup_id_x 1
		.amdhsa_system_sgpr_workgroup_id_y 0
		.amdhsa_system_sgpr_workgroup_id_z 0
		.amdhsa_system_sgpr_workgroup_info 0
		.amdhsa_system_vgpr_workitem_id 0
		.amdhsa_next_free_vgpr 1
		.amdhsa_next_free_sgpr 0
		.amdhsa_accum_offset 4
		.amdhsa_reserve_vcc 0
		.amdhsa_float_round_mode_32 0
		.amdhsa_float_round_mode_16_64 0
		.amdhsa_float_denorm_mode_32 3
		.amdhsa_float_denorm_mode_16_64 3
		.amdhsa_dx10_clamp 1
		.amdhsa_ieee_mode 1
		.amdhsa_fp16_overflow 0
		.amdhsa_tg_split 0
		.amdhsa_exception_fp_ieee_invalid_op 0
		.amdhsa_exception_fp_denorm_src 0
		.amdhsa_exception_fp_ieee_div_zero 0
		.amdhsa_exception_fp_ieee_overflow 0
		.amdhsa_exception_fp_ieee_underflow 0
		.amdhsa_exception_fp_ieee_inexact 0
		.amdhsa_exception_int_div_zero 0
	.end_amdhsa_kernel
	.section	.text._ZN7rocprim17ROCPRIM_400000_NS6detail17trampoline_kernelINS0_14default_configENS1_25transform_config_selectorIlLb0EEEZNS1_14transform_implILb0ES3_S5_NS0_18transform_iteratorINS0_17counting_iteratorImlEEZNS1_24adjacent_difference_implIS3_Lb1ELb0EPlSB_ZN2at6native12_GLOBAL__N_124unique_dim_cuda_templateIhEESt5tupleIJNSC_6TensorESH_SH_EERKSH_lbbbEUlllE1_EE10hipError_tPvRmT2_T3_mT4_P12ihipStream_tbEUlmE_lEESB_NS0_8identityIvEEEESM_SP_SQ_mSR_ST_bEUlT_E_NS1_11comp_targetILNS1_3genE3ELNS1_11target_archE908ELNS1_3gpuE7ELNS1_3repE0EEENS1_30default_config_static_selectorELNS0_4arch9wavefront6targetE1EEEvT1_,"axG",@progbits,_ZN7rocprim17ROCPRIM_400000_NS6detail17trampoline_kernelINS0_14default_configENS1_25transform_config_selectorIlLb0EEEZNS1_14transform_implILb0ES3_S5_NS0_18transform_iteratorINS0_17counting_iteratorImlEEZNS1_24adjacent_difference_implIS3_Lb1ELb0EPlSB_ZN2at6native12_GLOBAL__N_124unique_dim_cuda_templateIhEESt5tupleIJNSC_6TensorESH_SH_EERKSH_lbbbEUlllE1_EE10hipError_tPvRmT2_T3_mT4_P12ihipStream_tbEUlmE_lEESB_NS0_8identityIvEEEESM_SP_SQ_mSR_ST_bEUlT_E_NS1_11comp_targetILNS1_3genE3ELNS1_11target_archE908ELNS1_3gpuE7ELNS1_3repE0EEENS1_30default_config_static_selectorELNS0_4arch9wavefront6targetE1EEEvT1_,comdat
.Lfunc_end70:
	.size	_ZN7rocprim17ROCPRIM_400000_NS6detail17trampoline_kernelINS0_14default_configENS1_25transform_config_selectorIlLb0EEEZNS1_14transform_implILb0ES3_S5_NS0_18transform_iteratorINS0_17counting_iteratorImlEEZNS1_24adjacent_difference_implIS3_Lb1ELb0EPlSB_ZN2at6native12_GLOBAL__N_124unique_dim_cuda_templateIhEESt5tupleIJNSC_6TensorESH_SH_EERKSH_lbbbEUlllE1_EE10hipError_tPvRmT2_T3_mT4_P12ihipStream_tbEUlmE_lEESB_NS0_8identityIvEEEESM_SP_SQ_mSR_ST_bEUlT_E_NS1_11comp_targetILNS1_3genE3ELNS1_11target_archE908ELNS1_3gpuE7ELNS1_3repE0EEENS1_30default_config_static_selectorELNS0_4arch9wavefront6targetE1EEEvT1_, .Lfunc_end70-_ZN7rocprim17ROCPRIM_400000_NS6detail17trampoline_kernelINS0_14default_configENS1_25transform_config_selectorIlLb0EEEZNS1_14transform_implILb0ES3_S5_NS0_18transform_iteratorINS0_17counting_iteratorImlEEZNS1_24adjacent_difference_implIS3_Lb1ELb0EPlSB_ZN2at6native12_GLOBAL__N_124unique_dim_cuda_templateIhEESt5tupleIJNSC_6TensorESH_SH_EERKSH_lbbbEUlllE1_EE10hipError_tPvRmT2_T3_mT4_P12ihipStream_tbEUlmE_lEESB_NS0_8identityIvEEEESM_SP_SQ_mSR_ST_bEUlT_E_NS1_11comp_targetILNS1_3genE3ELNS1_11target_archE908ELNS1_3gpuE7ELNS1_3repE0EEENS1_30default_config_static_selectorELNS0_4arch9wavefront6targetE1EEEvT1_
                                        ; -- End function
	.section	.AMDGPU.csdata,"",@progbits
; Kernel info:
; codeLenInByte = 0
; NumSgprs: 6
; NumVgprs: 0
; NumAgprs: 0
; TotalNumVgprs: 0
; ScratchSize: 0
; MemoryBound: 0
; FloatMode: 240
; IeeeMode: 1
; LDSByteSize: 0 bytes/workgroup (compile time only)
; SGPRBlocks: 0
; VGPRBlocks: 0
; NumSGPRsForWavesPerEU: 6
; NumVGPRsForWavesPerEU: 1
; AccumOffset: 4
; Occupancy: 8
; WaveLimiterHint : 0
; COMPUTE_PGM_RSRC2:SCRATCH_EN: 0
; COMPUTE_PGM_RSRC2:USER_SGPR: 2
; COMPUTE_PGM_RSRC2:TRAP_HANDLER: 0
; COMPUTE_PGM_RSRC2:TGID_X_EN: 1
; COMPUTE_PGM_RSRC2:TGID_Y_EN: 0
; COMPUTE_PGM_RSRC2:TGID_Z_EN: 0
; COMPUTE_PGM_RSRC2:TIDIG_COMP_CNT: 0
; COMPUTE_PGM_RSRC3_GFX90A:ACCUM_OFFSET: 0
; COMPUTE_PGM_RSRC3_GFX90A:TG_SPLIT: 0
	.section	.text._ZN7rocprim17ROCPRIM_400000_NS6detail17trampoline_kernelINS0_14default_configENS1_25transform_config_selectorIlLb0EEEZNS1_14transform_implILb0ES3_S5_NS0_18transform_iteratorINS0_17counting_iteratorImlEEZNS1_24adjacent_difference_implIS3_Lb1ELb0EPlSB_ZN2at6native12_GLOBAL__N_124unique_dim_cuda_templateIhEESt5tupleIJNSC_6TensorESH_SH_EERKSH_lbbbEUlllE1_EE10hipError_tPvRmT2_T3_mT4_P12ihipStream_tbEUlmE_lEESB_NS0_8identityIvEEEESM_SP_SQ_mSR_ST_bEUlT_E_NS1_11comp_targetILNS1_3genE2ELNS1_11target_archE906ELNS1_3gpuE6ELNS1_3repE0EEENS1_30default_config_static_selectorELNS0_4arch9wavefront6targetE1EEEvT1_,"axG",@progbits,_ZN7rocprim17ROCPRIM_400000_NS6detail17trampoline_kernelINS0_14default_configENS1_25transform_config_selectorIlLb0EEEZNS1_14transform_implILb0ES3_S5_NS0_18transform_iteratorINS0_17counting_iteratorImlEEZNS1_24adjacent_difference_implIS3_Lb1ELb0EPlSB_ZN2at6native12_GLOBAL__N_124unique_dim_cuda_templateIhEESt5tupleIJNSC_6TensorESH_SH_EERKSH_lbbbEUlllE1_EE10hipError_tPvRmT2_T3_mT4_P12ihipStream_tbEUlmE_lEESB_NS0_8identityIvEEEESM_SP_SQ_mSR_ST_bEUlT_E_NS1_11comp_targetILNS1_3genE2ELNS1_11target_archE906ELNS1_3gpuE6ELNS1_3repE0EEENS1_30default_config_static_selectorELNS0_4arch9wavefront6targetE1EEEvT1_,comdat
	.globl	_ZN7rocprim17ROCPRIM_400000_NS6detail17trampoline_kernelINS0_14default_configENS1_25transform_config_selectorIlLb0EEEZNS1_14transform_implILb0ES3_S5_NS0_18transform_iteratorINS0_17counting_iteratorImlEEZNS1_24adjacent_difference_implIS3_Lb1ELb0EPlSB_ZN2at6native12_GLOBAL__N_124unique_dim_cuda_templateIhEESt5tupleIJNSC_6TensorESH_SH_EERKSH_lbbbEUlllE1_EE10hipError_tPvRmT2_T3_mT4_P12ihipStream_tbEUlmE_lEESB_NS0_8identityIvEEEESM_SP_SQ_mSR_ST_bEUlT_E_NS1_11comp_targetILNS1_3genE2ELNS1_11target_archE906ELNS1_3gpuE6ELNS1_3repE0EEENS1_30default_config_static_selectorELNS0_4arch9wavefront6targetE1EEEvT1_ ; -- Begin function _ZN7rocprim17ROCPRIM_400000_NS6detail17trampoline_kernelINS0_14default_configENS1_25transform_config_selectorIlLb0EEEZNS1_14transform_implILb0ES3_S5_NS0_18transform_iteratorINS0_17counting_iteratorImlEEZNS1_24adjacent_difference_implIS3_Lb1ELb0EPlSB_ZN2at6native12_GLOBAL__N_124unique_dim_cuda_templateIhEESt5tupleIJNSC_6TensorESH_SH_EERKSH_lbbbEUlllE1_EE10hipError_tPvRmT2_T3_mT4_P12ihipStream_tbEUlmE_lEESB_NS0_8identityIvEEEESM_SP_SQ_mSR_ST_bEUlT_E_NS1_11comp_targetILNS1_3genE2ELNS1_11target_archE906ELNS1_3gpuE6ELNS1_3repE0EEENS1_30default_config_static_selectorELNS0_4arch9wavefront6targetE1EEEvT1_
	.p2align	8
	.type	_ZN7rocprim17ROCPRIM_400000_NS6detail17trampoline_kernelINS0_14default_configENS1_25transform_config_selectorIlLb0EEEZNS1_14transform_implILb0ES3_S5_NS0_18transform_iteratorINS0_17counting_iteratorImlEEZNS1_24adjacent_difference_implIS3_Lb1ELb0EPlSB_ZN2at6native12_GLOBAL__N_124unique_dim_cuda_templateIhEESt5tupleIJNSC_6TensorESH_SH_EERKSH_lbbbEUlllE1_EE10hipError_tPvRmT2_T3_mT4_P12ihipStream_tbEUlmE_lEESB_NS0_8identityIvEEEESM_SP_SQ_mSR_ST_bEUlT_E_NS1_11comp_targetILNS1_3genE2ELNS1_11target_archE906ELNS1_3gpuE6ELNS1_3repE0EEENS1_30default_config_static_selectorELNS0_4arch9wavefront6targetE1EEEvT1_,@function
_ZN7rocprim17ROCPRIM_400000_NS6detail17trampoline_kernelINS0_14default_configENS1_25transform_config_selectorIlLb0EEEZNS1_14transform_implILb0ES3_S5_NS0_18transform_iteratorINS0_17counting_iteratorImlEEZNS1_24adjacent_difference_implIS3_Lb1ELb0EPlSB_ZN2at6native12_GLOBAL__N_124unique_dim_cuda_templateIhEESt5tupleIJNSC_6TensorESH_SH_EERKSH_lbbbEUlllE1_EE10hipError_tPvRmT2_T3_mT4_P12ihipStream_tbEUlmE_lEESB_NS0_8identityIvEEEESM_SP_SQ_mSR_ST_bEUlT_E_NS1_11comp_targetILNS1_3genE2ELNS1_11target_archE906ELNS1_3gpuE6ELNS1_3repE0EEENS1_30default_config_static_selectorELNS0_4arch9wavefront6targetE1EEEvT1_: ; @_ZN7rocprim17ROCPRIM_400000_NS6detail17trampoline_kernelINS0_14default_configENS1_25transform_config_selectorIlLb0EEEZNS1_14transform_implILb0ES3_S5_NS0_18transform_iteratorINS0_17counting_iteratorImlEEZNS1_24adjacent_difference_implIS3_Lb1ELb0EPlSB_ZN2at6native12_GLOBAL__N_124unique_dim_cuda_templateIhEESt5tupleIJNSC_6TensorESH_SH_EERKSH_lbbbEUlllE1_EE10hipError_tPvRmT2_T3_mT4_P12ihipStream_tbEUlmE_lEESB_NS0_8identityIvEEEESM_SP_SQ_mSR_ST_bEUlT_E_NS1_11comp_targetILNS1_3genE2ELNS1_11target_archE906ELNS1_3gpuE6ELNS1_3repE0EEENS1_30default_config_static_selectorELNS0_4arch9wavefront6targetE1EEEvT1_
; %bb.0:
	.section	.rodata,"a",@progbits
	.p2align	6, 0x0
	.amdhsa_kernel _ZN7rocprim17ROCPRIM_400000_NS6detail17trampoline_kernelINS0_14default_configENS1_25transform_config_selectorIlLb0EEEZNS1_14transform_implILb0ES3_S5_NS0_18transform_iteratorINS0_17counting_iteratorImlEEZNS1_24adjacent_difference_implIS3_Lb1ELb0EPlSB_ZN2at6native12_GLOBAL__N_124unique_dim_cuda_templateIhEESt5tupleIJNSC_6TensorESH_SH_EERKSH_lbbbEUlllE1_EE10hipError_tPvRmT2_T3_mT4_P12ihipStream_tbEUlmE_lEESB_NS0_8identityIvEEEESM_SP_SQ_mSR_ST_bEUlT_E_NS1_11comp_targetILNS1_3genE2ELNS1_11target_archE906ELNS1_3gpuE6ELNS1_3repE0EEENS1_30default_config_static_selectorELNS0_4arch9wavefront6targetE1EEEvT1_
		.amdhsa_group_segment_fixed_size 0
		.amdhsa_private_segment_fixed_size 0
		.amdhsa_kernarg_size 56
		.amdhsa_user_sgpr_count 2
		.amdhsa_user_sgpr_dispatch_ptr 0
		.amdhsa_user_sgpr_queue_ptr 0
		.amdhsa_user_sgpr_kernarg_segment_ptr 1
		.amdhsa_user_sgpr_dispatch_id 0
		.amdhsa_user_sgpr_kernarg_preload_length 0
		.amdhsa_user_sgpr_kernarg_preload_offset 0
		.amdhsa_user_sgpr_private_segment_size 0
		.amdhsa_uses_dynamic_stack 0
		.amdhsa_enable_private_segment 0
		.amdhsa_system_sgpr_workgroup_id_x 1
		.amdhsa_system_sgpr_workgroup_id_y 0
		.amdhsa_system_sgpr_workgroup_id_z 0
		.amdhsa_system_sgpr_workgroup_info 0
		.amdhsa_system_vgpr_workitem_id 0
		.amdhsa_next_free_vgpr 1
		.amdhsa_next_free_sgpr 0
		.amdhsa_accum_offset 4
		.amdhsa_reserve_vcc 0
		.amdhsa_float_round_mode_32 0
		.amdhsa_float_round_mode_16_64 0
		.amdhsa_float_denorm_mode_32 3
		.amdhsa_float_denorm_mode_16_64 3
		.amdhsa_dx10_clamp 1
		.amdhsa_ieee_mode 1
		.amdhsa_fp16_overflow 0
		.amdhsa_tg_split 0
		.amdhsa_exception_fp_ieee_invalid_op 0
		.amdhsa_exception_fp_denorm_src 0
		.amdhsa_exception_fp_ieee_div_zero 0
		.amdhsa_exception_fp_ieee_overflow 0
		.amdhsa_exception_fp_ieee_underflow 0
		.amdhsa_exception_fp_ieee_inexact 0
		.amdhsa_exception_int_div_zero 0
	.end_amdhsa_kernel
	.section	.text._ZN7rocprim17ROCPRIM_400000_NS6detail17trampoline_kernelINS0_14default_configENS1_25transform_config_selectorIlLb0EEEZNS1_14transform_implILb0ES3_S5_NS0_18transform_iteratorINS0_17counting_iteratorImlEEZNS1_24adjacent_difference_implIS3_Lb1ELb0EPlSB_ZN2at6native12_GLOBAL__N_124unique_dim_cuda_templateIhEESt5tupleIJNSC_6TensorESH_SH_EERKSH_lbbbEUlllE1_EE10hipError_tPvRmT2_T3_mT4_P12ihipStream_tbEUlmE_lEESB_NS0_8identityIvEEEESM_SP_SQ_mSR_ST_bEUlT_E_NS1_11comp_targetILNS1_3genE2ELNS1_11target_archE906ELNS1_3gpuE6ELNS1_3repE0EEENS1_30default_config_static_selectorELNS0_4arch9wavefront6targetE1EEEvT1_,"axG",@progbits,_ZN7rocprim17ROCPRIM_400000_NS6detail17trampoline_kernelINS0_14default_configENS1_25transform_config_selectorIlLb0EEEZNS1_14transform_implILb0ES3_S5_NS0_18transform_iteratorINS0_17counting_iteratorImlEEZNS1_24adjacent_difference_implIS3_Lb1ELb0EPlSB_ZN2at6native12_GLOBAL__N_124unique_dim_cuda_templateIhEESt5tupleIJNSC_6TensorESH_SH_EERKSH_lbbbEUlllE1_EE10hipError_tPvRmT2_T3_mT4_P12ihipStream_tbEUlmE_lEESB_NS0_8identityIvEEEESM_SP_SQ_mSR_ST_bEUlT_E_NS1_11comp_targetILNS1_3genE2ELNS1_11target_archE906ELNS1_3gpuE6ELNS1_3repE0EEENS1_30default_config_static_selectorELNS0_4arch9wavefront6targetE1EEEvT1_,comdat
.Lfunc_end71:
	.size	_ZN7rocprim17ROCPRIM_400000_NS6detail17trampoline_kernelINS0_14default_configENS1_25transform_config_selectorIlLb0EEEZNS1_14transform_implILb0ES3_S5_NS0_18transform_iteratorINS0_17counting_iteratorImlEEZNS1_24adjacent_difference_implIS3_Lb1ELb0EPlSB_ZN2at6native12_GLOBAL__N_124unique_dim_cuda_templateIhEESt5tupleIJNSC_6TensorESH_SH_EERKSH_lbbbEUlllE1_EE10hipError_tPvRmT2_T3_mT4_P12ihipStream_tbEUlmE_lEESB_NS0_8identityIvEEEESM_SP_SQ_mSR_ST_bEUlT_E_NS1_11comp_targetILNS1_3genE2ELNS1_11target_archE906ELNS1_3gpuE6ELNS1_3repE0EEENS1_30default_config_static_selectorELNS0_4arch9wavefront6targetE1EEEvT1_, .Lfunc_end71-_ZN7rocprim17ROCPRIM_400000_NS6detail17trampoline_kernelINS0_14default_configENS1_25transform_config_selectorIlLb0EEEZNS1_14transform_implILb0ES3_S5_NS0_18transform_iteratorINS0_17counting_iteratorImlEEZNS1_24adjacent_difference_implIS3_Lb1ELb0EPlSB_ZN2at6native12_GLOBAL__N_124unique_dim_cuda_templateIhEESt5tupleIJNSC_6TensorESH_SH_EERKSH_lbbbEUlllE1_EE10hipError_tPvRmT2_T3_mT4_P12ihipStream_tbEUlmE_lEESB_NS0_8identityIvEEEESM_SP_SQ_mSR_ST_bEUlT_E_NS1_11comp_targetILNS1_3genE2ELNS1_11target_archE906ELNS1_3gpuE6ELNS1_3repE0EEENS1_30default_config_static_selectorELNS0_4arch9wavefront6targetE1EEEvT1_
                                        ; -- End function
	.section	.AMDGPU.csdata,"",@progbits
; Kernel info:
; codeLenInByte = 0
; NumSgprs: 6
; NumVgprs: 0
; NumAgprs: 0
; TotalNumVgprs: 0
; ScratchSize: 0
; MemoryBound: 0
; FloatMode: 240
; IeeeMode: 1
; LDSByteSize: 0 bytes/workgroup (compile time only)
; SGPRBlocks: 0
; VGPRBlocks: 0
; NumSGPRsForWavesPerEU: 6
; NumVGPRsForWavesPerEU: 1
; AccumOffset: 4
; Occupancy: 8
; WaveLimiterHint : 0
; COMPUTE_PGM_RSRC2:SCRATCH_EN: 0
; COMPUTE_PGM_RSRC2:USER_SGPR: 2
; COMPUTE_PGM_RSRC2:TRAP_HANDLER: 0
; COMPUTE_PGM_RSRC2:TGID_X_EN: 1
; COMPUTE_PGM_RSRC2:TGID_Y_EN: 0
; COMPUTE_PGM_RSRC2:TGID_Z_EN: 0
; COMPUTE_PGM_RSRC2:TIDIG_COMP_CNT: 0
; COMPUTE_PGM_RSRC3_GFX90A:ACCUM_OFFSET: 0
; COMPUTE_PGM_RSRC3_GFX90A:TG_SPLIT: 0
	.section	.text._ZN7rocprim17ROCPRIM_400000_NS6detail17trampoline_kernelINS0_14default_configENS1_25transform_config_selectorIlLb0EEEZNS1_14transform_implILb0ES3_S5_NS0_18transform_iteratorINS0_17counting_iteratorImlEEZNS1_24adjacent_difference_implIS3_Lb1ELb0EPlSB_ZN2at6native12_GLOBAL__N_124unique_dim_cuda_templateIhEESt5tupleIJNSC_6TensorESH_SH_EERKSH_lbbbEUlllE1_EE10hipError_tPvRmT2_T3_mT4_P12ihipStream_tbEUlmE_lEESB_NS0_8identityIvEEEESM_SP_SQ_mSR_ST_bEUlT_E_NS1_11comp_targetILNS1_3genE10ELNS1_11target_archE1201ELNS1_3gpuE5ELNS1_3repE0EEENS1_30default_config_static_selectorELNS0_4arch9wavefront6targetE1EEEvT1_,"axG",@progbits,_ZN7rocprim17ROCPRIM_400000_NS6detail17trampoline_kernelINS0_14default_configENS1_25transform_config_selectorIlLb0EEEZNS1_14transform_implILb0ES3_S5_NS0_18transform_iteratorINS0_17counting_iteratorImlEEZNS1_24adjacent_difference_implIS3_Lb1ELb0EPlSB_ZN2at6native12_GLOBAL__N_124unique_dim_cuda_templateIhEESt5tupleIJNSC_6TensorESH_SH_EERKSH_lbbbEUlllE1_EE10hipError_tPvRmT2_T3_mT4_P12ihipStream_tbEUlmE_lEESB_NS0_8identityIvEEEESM_SP_SQ_mSR_ST_bEUlT_E_NS1_11comp_targetILNS1_3genE10ELNS1_11target_archE1201ELNS1_3gpuE5ELNS1_3repE0EEENS1_30default_config_static_selectorELNS0_4arch9wavefront6targetE1EEEvT1_,comdat
	.globl	_ZN7rocprim17ROCPRIM_400000_NS6detail17trampoline_kernelINS0_14default_configENS1_25transform_config_selectorIlLb0EEEZNS1_14transform_implILb0ES3_S5_NS0_18transform_iteratorINS0_17counting_iteratorImlEEZNS1_24adjacent_difference_implIS3_Lb1ELb0EPlSB_ZN2at6native12_GLOBAL__N_124unique_dim_cuda_templateIhEESt5tupleIJNSC_6TensorESH_SH_EERKSH_lbbbEUlllE1_EE10hipError_tPvRmT2_T3_mT4_P12ihipStream_tbEUlmE_lEESB_NS0_8identityIvEEEESM_SP_SQ_mSR_ST_bEUlT_E_NS1_11comp_targetILNS1_3genE10ELNS1_11target_archE1201ELNS1_3gpuE5ELNS1_3repE0EEENS1_30default_config_static_selectorELNS0_4arch9wavefront6targetE1EEEvT1_ ; -- Begin function _ZN7rocprim17ROCPRIM_400000_NS6detail17trampoline_kernelINS0_14default_configENS1_25transform_config_selectorIlLb0EEEZNS1_14transform_implILb0ES3_S5_NS0_18transform_iteratorINS0_17counting_iteratorImlEEZNS1_24adjacent_difference_implIS3_Lb1ELb0EPlSB_ZN2at6native12_GLOBAL__N_124unique_dim_cuda_templateIhEESt5tupleIJNSC_6TensorESH_SH_EERKSH_lbbbEUlllE1_EE10hipError_tPvRmT2_T3_mT4_P12ihipStream_tbEUlmE_lEESB_NS0_8identityIvEEEESM_SP_SQ_mSR_ST_bEUlT_E_NS1_11comp_targetILNS1_3genE10ELNS1_11target_archE1201ELNS1_3gpuE5ELNS1_3repE0EEENS1_30default_config_static_selectorELNS0_4arch9wavefront6targetE1EEEvT1_
	.p2align	8
	.type	_ZN7rocprim17ROCPRIM_400000_NS6detail17trampoline_kernelINS0_14default_configENS1_25transform_config_selectorIlLb0EEEZNS1_14transform_implILb0ES3_S5_NS0_18transform_iteratorINS0_17counting_iteratorImlEEZNS1_24adjacent_difference_implIS3_Lb1ELb0EPlSB_ZN2at6native12_GLOBAL__N_124unique_dim_cuda_templateIhEESt5tupleIJNSC_6TensorESH_SH_EERKSH_lbbbEUlllE1_EE10hipError_tPvRmT2_T3_mT4_P12ihipStream_tbEUlmE_lEESB_NS0_8identityIvEEEESM_SP_SQ_mSR_ST_bEUlT_E_NS1_11comp_targetILNS1_3genE10ELNS1_11target_archE1201ELNS1_3gpuE5ELNS1_3repE0EEENS1_30default_config_static_selectorELNS0_4arch9wavefront6targetE1EEEvT1_,@function
_ZN7rocprim17ROCPRIM_400000_NS6detail17trampoline_kernelINS0_14default_configENS1_25transform_config_selectorIlLb0EEEZNS1_14transform_implILb0ES3_S5_NS0_18transform_iteratorINS0_17counting_iteratorImlEEZNS1_24adjacent_difference_implIS3_Lb1ELb0EPlSB_ZN2at6native12_GLOBAL__N_124unique_dim_cuda_templateIhEESt5tupleIJNSC_6TensorESH_SH_EERKSH_lbbbEUlllE1_EE10hipError_tPvRmT2_T3_mT4_P12ihipStream_tbEUlmE_lEESB_NS0_8identityIvEEEESM_SP_SQ_mSR_ST_bEUlT_E_NS1_11comp_targetILNS1_3genE10ELNS1_11target_archE1201ELNS1_3gpuE5ELNS1_3repE0EEENS1_30default_config_static_selectorELNS0_4arch9wavefront6targetE1EEEvT1_: ; @_ZN7rocprim17ROCPRIM_400000_NS6detail17trampoline_kernelINS0_14default_configENS1_25transform_config_selectorIlLb0EEEZNS1_14transform_implILb0ES3_S5_NS0_18transform_iteratorINS0_17counting_iteratorImlEEZNS1_24adjacent_difference_implIS3_Lb1ELb0EPlSB_ZN2at6native12_GLOBAL__N_124unique_dim_cuda_templateIhEESt5tupleIJNSC_6TensorESH_SH_EERKSH_lbbbEUlllE1_EE10hipError_tPvRmT2_T3_mT4_P12ihipStream_tbEUlmE_lEESB_NS0_8identityIvEEEESM_SP_SQ_mSR_ST_bEUlT_E_NS1_11comp_targetILNS1_3genE10ELNS1_11target_archE1201ELNS1_3gpuE5ELNS1_3repE0EEENS1_30default_config_static_selectorELNS0_4arch9wavefront6targetE1EEEvT1_
; %bb.0:
	.section	.rodata,"a",@progbits
	.p2align	6, 0x0
	.amdhsa_kernel _ZN7rocprim17ROCPRIM_400000_NS6detail17trampoline_kernelINS0_14default_configENS1_25transform_config_selectorIlLb0EEEZNS1_14transform_implILb0ES3_S5_NS0_18transform_iteratorINS0_17counting_iteratorImlEEZNS1_24adjacent_difference_implIS3_Lb1ELb0EPlSB_ZN2at6native12_GLOBAL__N_124unique_dim_cuda_templateIhEESt5tupleIJNSC_6TensorESH_SH_EERKSH_lbbbEUlllE1_EE10hipError_tPvRmT2_T3_mT4_P12ihipStream_tbEUlmE_lEESB_NS0_8identityIvEEEESM_SP_SQ_mSR_ST_bEUlT_E_NS1_11comp_targetILNS1_3genE10ELNS1_11target_archE1201ELNS1_3gpuE5ELNS1_3repE0EEENS1_30default_config_static_selectorELNS0_4arch9wavefront6targetE1EEEvT1_
		.amdhsa_group_segment_fixed_size 0
		.amdhsa_private_segment_fixed_size 0
		.amdhsa_kernarg_size 56
		.amdhsa_user_sgpr_count 2
		.amdhsa_user_sgpr_dispatch_ptr 0
		.amdhsa_user_sgpr_queue_ptr 0
		.amdhsa_user_sgpr_kernarg_segment_ptr 1
		.amdhsa_user_sgpr_dispatch_id 0
		.amdhsa_user_sgpr_kernarg_preload_length 0
		.amdhsa_user_sgpr_kernarg_preload_offset 0
		.amdhsa_user_sgpr_private_segment_size 0
		.amdhsa_uses_dynamic_stack 0
		.amdhsa_enable_private_segment 0
		.amdhsa_system_sgpr_workgroup_id_x 1
		.amdhsa_system_sgpr_workgroup_id_y 0
		.amdhsa_system_sgpr_workgroup_id_z 0
		.amdhsa_system_sgpr_workgroup_info 0
		.amdhsa_system_vgpr_workitem_id 0
		.amdhsa_next_free_vgpr 1
		.amdhsa_next_free_sgpr 0
		.amdhsa_accum_offset 4
		.amdhsa_reserve_vcc 0
		.amdhsa_float_round_mode_32 0
		.amdhsa_float_round_mode_16_64 0
		.amdhsa_float_denorm_mode_32 3
		.amdhsa_float_denorm_mode_16_64 3
		.amdhsa_dx10_clamp 1
		.amdhsa_ieee_mode 1
		.amdhsa_fp16_overflow 0
		.amdhsa_tg_split 0
		.amdhsa_exception_fp_ieee_invalid_op 0
		.amdhsa_exception_fp_denorm_src 0
		.amdhsa_exception_fp_ieee_div_zero 0
		.amdhsa_exception_fp_ieee_overflow 0
		.amdhsa_exception_fp_ieee_underflow 0
		.amdhsa_exception_fp_ieee_inexact 0
		.amdhsa_exception_int_div_zero 0
	.end_amdhsa_kernel
	.section	.text._ZN7rocprim17ROCPRIM_400000_NS6detail17trampoline_kernelINS0_14default_configENS1_25transform_config_selectorIlLb0EEEZNS1_14transform_implILb0ES3_S5_NS0_18transform_iteratorINS0_17counting_iteratorImlEEZNS1_24adjacent_difference_implIS3_Lb1ELb0EPlSB_ZN2at6native12_GLOBAL__N_124unique_dim_cuda_templateIhEESt5tupleIJNSC_6TensorESH_SH_EERKSH_lbbbEUlllE1_EE10hipError_tPvRmT2_T3_mT4_P12ihipStream_tbEUlmE_lEESB_NS0_8identityIvEEEESM_SP_SQ_mSR_ST_bEUlT_E_NS1_11comp_targetILNS1_3genE10ELNS1_11target_archE1201ELNS1_3gpuE5ELNS1_3repE0EEENS1_30default_config_static_selectorELNS0_4arch9wavefront6targetE1EEEvT1_,"axG",@progbits,_ZN7rocprim17ROCPRIM_400000_NS6detail17trampoline_kernelINS0_14default_configENS1_25transform_config_selectorIlLb0EEEZNS1_14transform_implILb0ES3_S5_NS0_18transform_iteratorINS0_17counting_iteratorImlEEZNS1_24adjacent_difference_implIS3_Lb1ELb0EPlSB_ZN2at6native12_GLOBAL__N_124unique_dim_cuda_templateIhEESt5tupleIJNSC_6TensorESH_SH_EERKSH_lbbbEUlllE1_EE10hipError_tPvRmT2_T3_mT4_P12ihipStream_tbEUlmE_lEESB_NS0_8identityIvEEEESM_SP_SQ_mSR_ST_bEUlT_E_NS1_11comp_targetILNS1_3genE10ELNS1_11target_archE1201ELNS1_3gpuE5ELNS1_3repE0EEENS1_30default_config_static_selectorELNS0_4arch9wavefront6targetE1EEEvT1_,comdat
.Lfunc_end72:
	.size	_ZN7rocprim17ROCPRIM_400000_NS6detail17trampoline_kernelINS0_14default_configENS1_25transform_config_selectorIlLb0EEEZNS1_14transform_implILb0ES3_S5_NS0_18transform_iteratorINS0_17counting_iteratorImlEEZNS1_24adjacent_difference_implIS3_Lb1ELb0EPlSB_ZN2at6native12_GLOBAL__N_124unique_dim_cuda_templateIhEESt5tupleIJNSC_6TensorESH_SH_EERKSH_lbbbEUlllE1_EE10hipError_tPvRmT2_T3_mT4_P12ihipStream_tbEUlmE_lEESB_NS0_8identityIvEEEESM_SP_SQ_mSR_ST_bEUlT_E_NS1_11comp_targetILNS1_3genE10ELNS1_11target_archE1201ELNS1_3gpuE5ELNS1_3repE0EEENS1_30default_config_static_selectorELNS0_4arch9wavefront6targetE1EEEvT1_, .Lfunc_end72-_ZN7rocprim17ROCPRIM_400000_NS6detail17trampoline_kernelINS0_14default_configENS1_25transform_config_selectorIlLb0EEEZNS1_14transform_implILb0ES3_S5_NS0_18transform_iteratorINS0_17counting_iteratorImlEEZNS1_24adjacent_difference_implIS3_Lb1ELb0EPlSB_ZN2at6native12_GLOBAL__N_124unique_dim_cuda_templateIhEESt5tupleIJNSC_6TensorESH_SH_EERKSH_lbbbEUlllE1_EE10hipError_tPvRmT2_T3_mT4_P12ihipStream_tbEUlmE_lEESB_NS0_8identityIvEEEESM_SP_SQ_mSR_ST_bEUlT_E_NS1_11comp_targetILNS1_3genE10ELNS1_11target_archE1201ELNS1_3gpuE5ELNS1_3repE0EEENS1_30default_config_static_selectorELNS0_4arch9wavefront6targetE1EEEvT1_
                                        ; -- End function
	.section	.AMDGPU.csdata,"",@progbits
; Kernel info:
; codeLenInByte = 0
; NumSgprs: 6
; NumVgprs: 0
; NumAgprs: 0
; TotalNumVgprs: 0
; ScratchSize: 0
; MemoryBound: 0
; FloatMode: 240
; IeeeMode: 1
; LDSByteSize: 0 bytes/workgroup (compile time only)
; SGPRBlocks: 0
; VGPRBlocks: 0
; NumSGPRsForWavesPerEU: 6
; NumVGPRsForWavesPerEU: 1
; AccumOffset: 4
; Occupancy: 8
; WaveLimiterHint : 0
; COMPUTE_PGM_RSRC2:SCRATCH_EN: 0
; COMPUTE_PGM_RSRC2:USER_SGPR: 2
; COMPUTE_PGM_RSRC2:TRAP_HANDLER: 0
; COMPUTE_PGM_RSRC2:TGID_X_EN: 1
; COMPUTE_PGM_RSRC2:TGID_Y_EN: 0
; COMPUTE_PGM_RSRC2:TGID_Z_EN: 0
; COMPUTE_PGM_RSRC2:TIDIG_COMP_CNT: 0
; COMPUTE_PGM_RSRC3_GFX90A:ACCUM_OFFSET: 0
; COMPUTE_PGM_RSRC3_GFX90A:TG_SPLIT: 0
	.section	.text._ZN7rocprim17ROCPRIM_400000_NS6detail17trampoline_kernelINS0_14default_configENS1_25transform_config_selectorIlLb0EEEZNS1_14transform_implILb0ES3_S5_NS0_18transform_iteratorINS0_17counting_iteratorImlEEZNS1_24adjacent_difference_implIS3_Lb1ELb0EPlSB_ZN2at6native12_GLOBAL__N_124unique_dim_cuda_templateIhEESt5tupleIJNSC_6TensorESH_SH_EERKSH_lbbbEUlllE1_EE10hipError_tPvRmT2_T3_mT4_P12ihipStream_tbEUlmE_lEESB_NS0_8identityIvEEEESM_SP_SQ_mSR_ST_bEUlT_E_NS1_11comp_targetILNS1_3genE10ELNS1_11target_archE1200ELNS1_3gpuE4ELNS1_3repE0EEENS1_30default_config_static_selectorELNS0_4arch9wavefront6targetE1EEEvT1_,"axG",@progbits,_ZN7rocprim17ROCPRIM_400000_NS6detail17trampoline_kernelINS0_14default_configENS1_25transform_config_selectorIlLb0EEEZNS1_14transform_implILb0ES3_S5_NS0_18transform_iteratorINS0_17counting_iteratorImlEEZNS1_24adjacent_difference_implIS3_Lb1ELb0EPlSB_ZN2at6native12_GLOBAL__N_124unique_dim_cuda_templateIhEESt5tupleIJNSC_6TensorESH_SH_EERKSH_lbbbEUlllE1_EE10hipError_tPvRmT2_T3_mT4_P12ihipStream_tbEUlmE_lEESB_NS0_8identityIvEEEESM_SP_SQ_mSR_ST_bEUlT_E_NS1_11comp_targetILNS1_3genE10ELNS1_11target_archE1200ELNS1_3gpuE4ELNS1_3repE0EEENS1_30default_config_static_selectorELNS0_4arch9wavefront6targetE1EEEvT1_,comdat
	.globl	_ZN7rocprim17ROCPRIM_400000_NS6detail17trampoline_kernelINS0_14default_configENS1_25transform_config_selectorIlLb0EEEZNS1_14transform_implILb0ES3_S5_NS0_18transform_iteratorINS0_17counting_iteratorImlEEZNS1_24adjacent_difference_implIS3_Lb1ELb0EPlSB_ZN2at6native12_GLOBAL__N_124unique_dim_cuda_templateIhEESt5tupleIJNSC_6TensorESH_SH_EERKSH_lbbbEUlllE1_EE10hipError_tPvRmT2_T3_mT4_P12ihipStream_tbEUlmE_lEESB_NS0_8identityIvEEEESM_SP_SQ_mSR_ST_bEUlT_E_NS1_11comp_targetILNS1_3genE10ELNS1_11target_archE1200ELNS1_3gpuE4ELNS1_3repE0EEENS1_30default_config_static_selectorELNS0_4arch9wavefront6targetE1EEEvT1_ ; -- Begin function _ZN7rocprim17ROCPRIM_400000_NS6detail17trampoline_kernelINS0_14default_configENS1_25transform_config_selectorIlLb0EEEZNS1_14transform_implILb0ES3_S5_NS0_18transform_iteratorINS0_17counting_iteratorImlEEZNS1_24adjacent_difference_implIS3_Lb1ELb0EPlSB_ZN2at6native12_GLOBAL__N_124unique_dim_cuda_templateIhEESt5tupleIJNSC_6TensorESH_SH_EERKSH_lbbbEUlllE1_EE10hipError_tPvRmT2_T3_mT4_P12ihipStream_tbEUlmE_lEESB_NS0_8identityIvEEEESM_SP_SQ_mSR_ST_bEUlT_E_NS1_11comp_targetILNS1_3genE10ELNS1_11target_archE1200ELNS1_3gpuE4ELNS1_3repE0EEENS1_30default_config_static_selectorELNS0_4arch9wavefront6targetE1EEEvT1_
	.p2align	8
	.type	_ZN7rocprim17ROCPRIM_400000_NS6detail17trampoline_kernelINS0_14default_configENS1_25transform_config_selectorIlLb0EEEZNS1_14transform_implILb0ES3_S5_NS0_18transform_iteratorINS0_17counting_iteratorImlEEZNS1_24adjacent_difference_implIS3_Lb1ELb0EPlSB_ZN2at6native12_GLOBAL__N_124unique_dim_cuda_templateIhEESt5tupleIJNSC_6TensorESH_SH_EERKSH_lbbbEUlllE1_EE10hipError_tPvRmT2_T3_mT4_P12ihipStream_tbEUlmE_lEESB_NS0_8identityIvEEEESM_SP_SQ_mSR_ST_bEUlT_E_NS1_11comp_targetILNS1_3genE10ELNS1_11target_archE1200ELNS1_3gpuE4ELNS1_3repE0EEENS1_30default_config_static_selectorELNS0_4arch9wavefront6targetE1EEEvT1_,@function
_ZN7rocprim17ROCPRIM_400000_NS6detail17trampoline_kernelINS0_14default_configENS1_25transform_config_selectorIlLb0EEEZNS1_14transform_implILb0ES3_S5_NS0_18transform_iteratorINS0_17counting_iteratorImlEEZNS1_24adjacent_difference_implIS3_Lb1ELb0EPlSB_ZN2at6native12_GLOBAL__N_124unique_dim_cuda_templateIhEESt5tupleIJNSC_6TensorESH_SH_EERKSH_lbbbEUlllE1_EE10hipError_tPvRmT2_T3_mT4_P12ihipStream_tbEUlmE_lEESB_NS0_8identityIvEEEESM_SP_SQ_mSR_ST_bEUlT_E_NS1_11comp_targetILNS1_3genE10ELNS1_11target_archE1200ELNS1_3gpuE4ELNS1_3repE0EEENS1_30default_config_static_selectorELNS0_4arch9wavefront6targetE1EEEvT1_: ; @_ZN7rocprim17ROCPRIM_400000_NS6detail17trampoline_kernelINS0_14default_configENS1_25transform_config_selectorIlLb0EEEZNS1_14transform_implILb0ES3_S5_NS0_18transform_iteratorINS0_17counting_iteratorImlEEZNS1_24adjacent_difference_implIS3_Lb1ELb0EPlSB_ZN2at6native12_GLOBAL__N_124unique_dim_cuda_templateIhEESt5tupleIJNSC_6TensorESH_SH_EERKSH_lbbbEUlllE1_EE10hipError_tPvRmT2_T3_mT4_P12ihipStream_tbEUlmE_lEESB_NS0_8identityIvEEEESM_SP_SQ_mSR_ST_bEUlT_E_NS1_11comp_targetILNS1_3genE10ELNS1_11target_archE1200ELNS1_3gpuE4ELNS1_3repE0EEENS1_30default_config_static_selectorELNS0_4arch9wavefront6targetE1EEEvT1_
; %bb.0:
	.section	.rodata,"a",@progbits
	.p2align	6, 0x0
	.amdhsa_kernel _ZN7rocprim17ROCPRIM_400000_NS6detail17trampoline_kernelINS0_14default_configENS1_25transform_config_selectorIlLb0EEEZNS1_14transform_implILb0ES3_S5_NS0_18transform_iteratorINS0_17counting_iteratorImlEEZNS1_24adjacent_difference_implIS3_Lb1ELb0EPlSB_ZN2at6native12_GLOBAL__N_124unique_dim_cuda_templateIhEESt5tupleIJNSC_6TensorESH_SH_EERKSH_lbbbEUlllE1_EE10hipError_tPvRmT2_T3_mT4_P12ihipStream_tbEUlmE_lEESB_NS0_8identityIvEEEESM_SP_SQ_mSR_ST_bEUlT_E_NS1_11comp_targetILNS1_3genE10ELNS1_11target_archE1200ELNS1_3gpuE4ELNS1_3repE0EEENS1_30default_config_static_selectorELNS0_4arch9wavefront6targetE1EEEvT1_
		.amdhsa_group_segment_fixed_size 0
		.amdhsa_private_segment_fixed_size 0
		.amdhsa_kernarg_size 56
		.amdhsa_user_sgpr_count 2
		.amdhsa_user_sgpr_dispatch_ptr 0
		.amdhsa_user_sgpr_queue_ptr 0
		.amdhsa_user_sgpr_kernarg_segment_ptr 1
		.amdhsa_user_sgpr_dispatch_id 0
		.amdhsa_user_sgpr_kernarg_preload_length 0
		.amdhsa_user_sgpr_kernarg_preload_offset 0
		.amdhsa_user_sgpr_private_segment_size 0
		.amdhsa_uses_dynamic_stack 0
		.amdhsa_enable_private_segment 0
		.amdhsa_system_sgpr_workgroup_id_x 1
		.amdhsa_system_sgpr_workgroup_id_y 0
		.amdhsa_system_sgpr_workgroup_id_z 0
		.amdhsa_system_sgpr_workgroup_info 0
		.amdhsa_system_vgpr_workitem_id 0
		.amdhsa_next_free_vgpr 1
		.amdhsa_next_free_sgpr 0
		.amdhsa_accum_offset 4
		.amdhsa_reserve_vcc 0
		.amdhsa_float_round_mode_32 0
		.amdhsa_float_round_mode_16_64 0
		.amdhsa_float_denorm_mode_32 3
		.amdhsa_float_denorm_mode_16_64 3
		.amdhsa_dx10_clamp 1
		.amdhsa_ieee_mode 1
		.amdhsa_fp16_overflow 0
		.amdhsa_tg_split 0
		.amdhsa_exception_fp_ieee_invalid_op 0
		.amdhsa_exception_fp_denorm_src 0
		.amdhsa_exception_fp_ieee_div_zero 0
		.amdhsa_exception_fp_ieee_overflow 0
		.amdhsa_exception_fp_ieee_underflow 0
		.amdhsa_exception_fp_ieee_inexact 0
		.amdhsa_exception_int_div_zero 0
	.end_amdhsa_kernel
	.section	.text._ZN7rocprim17ROCPRIM_400000_NS6detail17trampoline_kernelINS0_14default_configENS1_25transform_config_selectorIlLb0EEEZNS1_14transform_implILb0ES3_S5_NS0_18transform_iteratorINS0_17counting_iteratorImlEEZNS1_24adjacent_difference_implIS3_Lb1ELb0EPlSB_ZN2at6native12_GLOBAL__N_124unique_dim_cuda_templateIhEESt5tupleIJNSC_6TensorESH_SH_EERKSH_lbbbEUlllE1_EE10hipError_tPvRmT2_T3_mT4_P12ihipStream_tbEUlmE_lEESB_NS0_8identityIvEEEESM_SP_SQ_mSR_ST_bEUlT_E_NS1_11comp_targetILNS1_3genE10ELNS1_11target_archE1200ELNS1_3gpuE4ELNS1_3repE0EEENS1_30default_config_static_selectorELNS0_4arch9wavefront6targetE1EEEvT1_,"axG",@progbits,_ZN7rocprim17ROCPRIM_400000_NS6detail17trampoline_kernelINS0_14default_configENS1_25transform_config_selectorIlLb0EEEZNS1_14transform_implILb0ES3_S5_NS0_18transform_iteratorINS0_17counting_iteratorImlEEZNS1_24adjacent_difference_implIS3_Lb1ELb0EPlSB_ZN2at6native12_GLOBAL__N_124unique_dim_cuda_templateIhEESt5tupleIJNSC_6TensorESH_SH_EERKSH_lbbbEUlllE1_EE10hipError_tPvRmT2_T3_mT4_P12ihipStream_tbEUlmE_lEESB_NS0_8identityIvEEEESM_SP_SQ_mSR_ST_bEUlT_E_NS1_11comp_targetILNS1_3genE10ELNS1_11target_archE1200ELNS1_3gpuE4ELNS1_3repE0EEENS1_30default_config_static_selectorELNS0_4arch9wavefront6targetE1EEEvT1_,comdat
.Lfunc_end73:
	.size	_ZN7rocprim17ROCPRIM_400000_NS6detail17trampoline_kernelINS0_14default_configENS1_25transform_config_selectorIlLb0EEEZNS1_14transform_implILb0ES3_S5_NS0_18transform_iteratorINS0_17counting_iteratorImlEEZNS1_24adjacent_difference_implIS3_Lb1ELb0EPlSB_ZN2at6native12_GLOBAL__N_124unique_dim_cuda_templateIhEESt5tupleIJNSC_6TensorESH_SH_EERKSH_lbbbEUlllE1_EE10hipError_tPvRmT2_T3_mT4_P12ihipStream_tbEUlmE_lEESB_NS0_8identityIvEEEESM_SP_SQ_mSR_ST_bEUlT_E_NS1_11comp_targetILNS1_3genE10ELNS1_11target_archE1200ELNS1_3gpuE4ELNS1_3repE0EEENS1_30default_config_static_selectorELNS0_4arch9wavefront6targetE1EEEvT1_, .Lfunc_end73-_ZN7rocprim17ROCPRIM_400000_NS6detail17trampoline_kernelINS0_14default_configENS1_25transform_config_selectorIlLb0EEEZNS1_14transform_implILb0ES3_S5_NS0_18transform_iteratorINS0_17counting_iteratorImlEEZNS1_24adjacent_difference_implIS3_Lb1ELb0EPlSB_ZN2at6native12_GLOBAL__N_124unique_dim_cuda_templateIhEESt5tupleIJNSC_6TensorESH_SH_EERKSH_lbbbEUlllE1_EE10hipError_tPvRmT2_T3_mT4_P12ihipStream_tbEUlmE_lEESB_NS0_8identityIvEEEESM_SP_SQ_mSR_ST_bEUlT_E_NS1_11comp_targetILNS1_3genE10ELNS1_11target_archE1200ELNS1_3gpuE4ELNS1_3repE0EEENS1_30default_config_static_selectorELNS0_4arch9wavefront6targetE1EEEvT1_
                                        ; -- End function
	.section	.AMDGPU.csdata,"",@progbits
; Kernel info:
; codeLenInByte = 0
; NumSgprs: 6
; NumVgprs: 0
; NumAgprs: 0
; TotalNumVgprs: 0
; ScratchSize: 0
; MemoryBound: 0
; FloatMode: 240
; IeeeMode: 1
; LDSByteSize: 0 bytes/workgroup (compile time only)
; SGPRBlocks: 0
; VGPRBlocks: 0
; NumSGPRsForWavesPerEU: 6
; NumVGPRsForWavesPerEU: 1
; AccumOffset: 4
; Occupancy: 8
; WaveLimiterHint : 0
; COMPUTE_PGM_RSRC2:SCRATCH_EN: 0
; COMPUTE_PGM_RSRC2:USER_SGPR: 2
; COMPUTE_PGM_RSRC2:TRAP_HANDLER: 0
; COMPUTE_PGM_RSRC2:TGID_X_EN: 1
; COMPUTE_PGM_RSRC2:TGID_Y_EN: 0
; COMPUTE_PGM_RSRC2:TGID_Z_EN: 0
; COMPUTE_PGM_RSRC2:TIDIG_COMP_CNT: 0
; COMPUTE_PGM_RSRC3_GFX90A:ACCUM_OFFSET: 0
; COMPUTE_PGM_RSRC3_GFX90A:TG_SPLIT: 0
	.section	.text._ZN7rocprim17ROCPRIM_400000_NS6detail17trampoline_kernelINS0_14default_configENS1_25transform_config_selectorIlLb0EEEZNS1_14transform_implILb0ES3_S5_NS0_18transform_iteratorINS0_17counting_iteratorImlEEZNS1_24adjacent_difference_implIS3_Lb1ELb0EPlSB_ZN2at6native12_GLOBAL__N_124unique_dim_cuda_templateIhEESt5tupleIJNSC_6TensorESH_SH_EERKSH_lbbbEUlllE1_EE10hipError_tPvRmT2_T3_mT4_P12ihipStream_tbEUlmE_lEESB_NS0_8identityIvEEEESM_SP_SQ_mSR_ST_bEUlT_E_NS1_11comp_targetILNS1_3genE9ELNS1_11target_archE1100ELNS1_3gpuE3ELNS1_3repE0EEENS1_30default_config_static_selectorELNS0_4arch9wavefront6targetE1EEEvT1_,"axG",@progbits,_ZN7rocprim17ROCPRIM_400000_NS6detail17trampoline_kernelINS0_14default_configENS1_25transform_config_selectorIlLb0EEEZNS1_14transform_implILb0ES3_S5_NS0_18transform_iteratorINS0_17counting_iteratorImlEEZNS1_24adjacent_difference_implIS3_Lb1ELb0EPlSB_ZN2at6native12_GLOBAL__N_124unique_dim_cuda_templateIhEESt5tupleIJNSC_6TensorESH_SH_EERKSH_lbbbEUlllE1_EE10hipError_tPvRmT2_T3_mT4_P12ihipStream_tbEUlmE_lEESB_NS0_8identityIvEEEESM_SP_SQ_mSR_ST_bEUlT_E_NS1_11comp_targetILNS1_3genE9ELNS1_11target_archE1100ELNS1_3gpuE3ELNS1_3repE0EEENS1_30default_config_static_selectorELNS0_4arch9wavefront6targetE1EEEvT1_,comdat
	.globl	_ZN7rocprim17ROCPRIM_400000_NS6detail17trampoline_kernelINS0_14default_configENS1_25transform_config_selectorIlLb0EEEZNS1_14transform_implILb0ES3_S5_NS0_18transform_iteratorINS0_17counting_iteratorImlEEZNS1_24adjacent_difference_implIS3_Lb1ELb0EPlSB_ZN2at6native12_GLOBAL__N_124unique_dim_cuda_templateIhEESt5tupleIJNSC_6TensorESH_SH_EERKSH_lbbbEUlllE1_EE10hipError_tPvRmT2_T3_mT4_P12ihipStream_tbEUlmE_lEESB_NS0_8identityIvEEEESM_SP_SQ_mSR_ST_bEUlT_E_NS1_11comp_targetILNS1_3genE9ELNS1_11target_archE1100ELNS1_3gpuE3ELNS1_3repE0EEENS1_30default_config_static_selectorELNS0_4arch9wavefront6targetE1EEEvT1_ ; -- Begin function _ZN7rocprim17ROCPRIM_400000_NS6detail17trampoline_kernelINS0_14default_configENS1_25transform_config_selectorIlLb0EEEZNS1_14transform_implILb0ES3_S5_NS0_18transform_iteratorINS0_17counting_iteratorImlEEZNS1_24adjacent_difference_implIS3_Lb1ELb0EPlSB_ZN2at6native12_GLOBAL__N_124unique_dim_cuda_templateIhEESt5tupleIJNSC_6TensorESH_SH_EERKSH_lbbbEUlllE1_EE10hipError_tPvRmT2_T3_mT4_P12ihipStream_tbEUlmE_lEESB_NS0_8identityIvEEEESM_SP_SQ_mSR_ST_bEUlT_E_NS1_11comp_targetILNS1_3genE9ELNS1_11target_archE1100ELNS1_3gpuE3ELNS1_3repE0EEENS1_30default_config_static_selectorELNS0_4arch9wavefront6targetE1EEEvT1_
	.p2align	8
	.type	_ZN7rocprim17ROCPRIM_400000_NS6detail17trampoline_kernelINS0_14default_configENS1_25transform_config_selectorIlLb0EEEZNS1_14transform_implILb0ES3_S5_NS0_18transform_iteratorINS0_17counting_iteratorImlEEZNS1_24adjacent_difference_implIS3_Lb1ELb0EPlSB_ZN2at6native12_GLOBAL__N_124unique_dim_cuda_templateIhEESt5tupleIJNSC_6TensorESH_SH_EERKSH_lbbbEUlllE1_EE10hipError_tPvRmT2_T3_mT4_P12ihipStream_tbEUlmE_lEESB_NS0_8identityIvEEEESM_SP_SQ_mSR_ST_bEUlT_E_NS1_11comp_targetILNS1_3genE9ELNS1_11target_archE1100ELNS1_3gpuE3ELNS1_3repE0EEENS1_30default_config_static_selectorELNS0_4arch9wavefront6targetE1EEEvT1_,@function
_ZN7rocprim17ROCPRIM_400000_NS6detail17trampoline_kernelINS0_14default_configENS1_25transform_config_selectorIlLb0EEEZNS1_14transform_implILb0ES3_S5_NS0_18transform_iteratorINS0_17counting_iteratorImlEEZNS1_24adjacent_difference_implIS3_Lb1ELb0EPlSB_ZN2at6native12_GLOBAL__N_124unique_dim_cuda_templateIhEESt5tupleIJNSC_6TensorESH_SH_EERKSH_lbbbEUlllE1_EE10hipError_tPvRmT2_T3_mT4_P12ihipStream_tbEUlmE_lEESB_NS0_8identityIvEEEESM_SP_SQ_mSR_ST_bEUlT_E_NS1_11comp_targetILNS1_3genE9ELNS1_11target_archE1100ELNS1_3gpuE3ELNS1_3repE0EEENS1_30default_config_static_selectorELNS0_4arch9wavefront6targetE1EEEvT1_: ; @_ZN7rocprim17ROCPRIM_400000_NS6detail17trampoline_kernelINS0_14default_configENS1_25transform_config_selectorIlLb0EEEZNS1_14transform_implILb0ES3_S5_NS0_18transform_iteratorINS0_17counting_iteratorImlEEZNS1_24adjacent_difference_implIS3_Lb1ELb0EPlSB_ZN2at6native12_GLOBAL__N_124unique_dim_cuda_templateIhEESt5tupleIJNSC_6TensorESH_SH_EERKSH_lbbbEUlllE1_EE10hipError_tPvRmT2_T3_mT4_P12ihipStream_tbEUlmE_lEESB_NS0_8identityIvEEEESM_SP_SQ_mSR_ST_bEUlT_E_NS1_11comp_targetILNS1_3genE9ELNS1_11target_archE1100ELNS1_3gpuE3ELNS1_3repE0EEENS1_30default_config_static_selectorELNS0_4arch9wavefront6targetE1EEEvT1_
; %bb.0:
	.section	.rodata,"a",@progbits
	.p2align	6, 0x0
	.amdhsa_kernel _ZN7rocprim17ROCPRIM_400000_NS6detail17trampoline_kernelINS0_14default_configENS1_25transform_config_selectorIlLb0EEEZNS1_14transform_implILb0ES3_S5_NS0_18transform_iteratorINS0_17counting_iteratorImlEEZNS1_24adjacent_difference_implIS3_Lb1ELb0EPlSB_ZN2at6native12_GLOBAL__N_124unique_dim_cuda_templateIhEESt5tupleIJNSC_6TensorESH_SH_EERKSH_lbbbEUlllE1_EE10hipError_tPvRmT2_T3_mT4_P12ihipStream_tbEUlmE_lEESB_NS0_8identityIvEEEESM_SP_SQ_mSR_ST_bEUlT_E_NS1_11comp_targetILNS1_3genE9ELNS1_11target_archE1100ELNS1_3gpuE3ELNS1_3repE0EEENS1_30default_config_static_selectorELNS0_4arch9wavefront6targetE1EEEvT1_
		.amdhsa_group_segment_fixed_size 0
		.amdhsa_private_segment_fixed_size 0
		.amdhsa_kernarg_size 56
		.amdhsa_user_sgpr_count 2
		.amdhsa_user_sgpr_dispatch_ptr 0
		.amdhsa_user_sgpr_queue_ptr 0
		.amdhsa_user_sgpr_kernarg_segment_ptr 1
		.amdhsa_user_sgpr_dispatch_id 0
		.amdhsa_user_sgpr_kernarg_preload_length 0
		.amdhsa_user_sgpr_kernarg_preload_offset 0
		.amdhsa_user_sgpr_private_segment_size 0
		.amdhsa_uses_dynamic_stack 0
		.amdhsa_enable_private_segment 0
		.amdhsa_system_sgpr_workgroup_id_x 1
		.amdhsa_system_sgpr_workgroup_id_y 0
		.amdhsa_system_sgpr_workgroup_id_z 0
		.amdhsa_system_sgpr_workgroup_info 0
		.amdhsa_system_vgpr_workitem_id 0
		.amdhsa_next_free_vgpr 1
		.amdhsa_next_free_sgpr 0
		.amdhsa_accum_offset 4
		.amdhsa_reserve_vcc 0
		.amdhsa_float_round_mode_32 0
		.amdhsa_float_round_mode_16_64 0
		.amdhsa_float_denorm_mode_32 3
		.amdhsa_float_denorm_mode_16_64 3
		.amdhsa_dx10_clamp 1
		.amdhsa_ieee_mode 1
		.amdhsa_fp16_overflow 0
		.amdhsa_tg_split 0
		.amdhsa_exception_fp_ieee_invalid_op 0
		.amdhsa_exception_fp_denorm_src 0
		.amdhsa_exception_fp_ieee_div_zero 0
		.amdhsa_exception_fp_ieee_overflow 0
		.amdhsa_exception_fp_ieee_underflow 0
		.amdhsa_exception_fp_ieee_inexact 0
		.amdhsa_exception_int_div_zero 0
	.end_amdhsa_kernel
	.section	.text._ZN7rocprim17ROCPRIM_400000_NS6detail17trampoline_kernelINS0_14default_configENS1_25transform_config_selectorIlLb0EEEZNS1_14transform_implILb0ES3_S5_NS0_18transform_iteratorINS0_17counting_iteratorImlEEZNS1_24adjacent_difference_implIS3_Lb1ELb0EPlSB_ZN2at6native12_GLOBAL__N_124unique_dim_cuda_templateIhEESt5tupleIJNSC_6TensorESH_SH_EERKSH_lbbbEUlllE1_EE10hipError_tPvRmT2_T3_mT4_P12ihipStream_tbEUlmE_lEESB_NS0_8identityIvEEEESM_SP_SQ_mSR_ST_bEUlT_E_NS1_11comp_targetILNS1_3genE9ELNS1_11target_archE1100ELNS1_3gpuE3ELNS1_3repE0EEENS1_30default_config_static_selectorELNS0_4arch9wavefront6targetE1EEEvT1_,"axG",@progbits,_ZN7rocprim17ROCPRIM_400000_NS6detail17trampoline_kernelINS0_14default_configENS1_25transform_config_selectorIlLb0EEEZNS1_14transform_implILb0ES3_S5_NS0_18transform_iteratorINS0_17counting_iteratorImlEEZNS1_24adjacent_difference_implIS3_Lb1ELb0EPlSB_ZN2at6native12_GLOBAL__N_124unique_dim_cuda_templateIhEESt5tupleIJNSC_6TensorESH_SH_EERKSH_lbbbEUlllE1_EE10hipError_tPvRmT2_T3_mT4_P12ihipStream_tbEUlmE_lEESB_NS0_8identityIvEEEESM_SP_SQ_mSR_ST_bEUlT_E_NS1_11comp_targetILNS1_3genE9ELNS1_11target_archE1100ELNS1_3gpuE3ELNS1_3repE0EEENS1_30default_config_static_selectorELNS0_4arch9wavefront6targetE1EEEvT1_,comdat
.Lfunc_end74:
	.size	_ZN7rocprim17ROCPRIM_400000_NS6detail17trampoline_kernelINS0_14default_configENS1_25transform_config_selectorIlLb0EEEZNS1_14transform_implILb0ES3_S5_NS0_18transform_iteratorINS0_17counting_iteratorImlEEZNS1_24adjacent_difference_implIS3_Lb1ELb0EPlSB_ZN2at6native12_GLOBAL__N_124unique_dim_cuda_templateIhEESt5tupleIJNSC_6TensorESH_SH_EERKSH_lbbbEUlllE1_EE10hipError_tPvRmT2_T3_mT4_P12ihipStream_tbEUlmE_lEESB_NS0_8identityIvEEEESM_SP_SQ_mSR_ST_bEUlT_E_NS1_11comp_targetILNS1_3genE9ELNS1_11target_archE1100ELNS1_3gpuE3ELNS1_3repE0EEENS1_30default_config_static_selectorELNS0_4arch9wavefront6targetE1EEEvT1_, .Lfunc_end74-_ZN7rocprim17ROCPRIM_400000_NS6detail17trampoline_kernelINS0_14default_configENS1_25transform_config_selectorIlLb0EEEZNS1_14transform_implILb0ES3_S5_NS0_18transform_iteratorINS0_17counting_iteratorImlEEZNS1_24adjacent_difference_implIS3_Lb1ELb0EPlSB_ZN2at6native12_GLOBAL__N_124unique_dim_cuda_templateIhEESt5tupleIJNSC_6TensorESH_SH_EERKSH_lbbbEUlllE1_EE10hipError_tPvRmT2_T3_mT4_P12ihipStream_tbEUlmE_lEESB_NS0_8identityIvEEEESM_SP_SQ_mSR_ST_bEUlT_E_NS1_11comp_targetILNS1_3genE9ELNS1_11target_archE1100ELNS1_3gpuE3ELNS1_3repE0EEENS1_30default_config_static_selectorELNS0_4arch9wavefront6targetE1EEEvT1_
                                        ; -- End function
	.section	.AMDGPU.csdata,"",@progbits
; Kernel info:
; codeLenInByte = 0
; NumSgprs: 6
; NumVgprs: 0
; NumAgprs: 0
; TotalNumVgprs: 0
; ScratchSize: 0
; MemoryBound: 0
; FloatMode: 240
; IeeeMode: 1
; LDSByteSize: 0 bytes/workgroup (compile time only)
; SGPRBlocks: 0
; VGPRBlocks: 0
; NumSGPRsForWavesPerEU: 6
; NumVGPRsForWavesPerEU: 1
; AccumOffset: 4
; Occupancy: 8
; WaveLimiterHint : 0
; COMPUTE_PGM_RSRC2:SCRATCH_EN: 0
; COMPUTE_PGM_RSRC2:USER_SGPR: 2
; COMPUTE_PGM_RSRC2:TRAP_HANDLER: 0
; COMPUTE_PGM_RSRC2:TGID_X_EN: 1
; COMPUTE_PGM_RSRC2:TGID_Y_EN: 0
; COMPUTE_PGM_RSRC2:TGID_Z_EN: 0
; COMPUTE_PGM_RSRC2:TIDIG_COMP_CNT: 0
; COMPUTE_PGM_RSRC3_GFX90A:ACCUM_OFFSET: 0
; COMPUTE_PGM_RSRC3_GFX90A:TG_SPLIT: 0
	.section	.text._ZN7rocprim17ROCPRIM_400000_NS6detail17trampoline_kernelINS0_14default_configENS1_25transform_config_selectorIlLb0EEEZNS1_14transform_implILb0ES3_S5_NS0_18transform_iteratorINS0_17counting_iteratorImlEEZNS1_24adjacent_difference_implIS3_Lb1ELb0EPlSB_ZN2at6native12_GLOBAL__N_124unique_dim_cuda_templateIhEESt5tupleIJNSC_6TensorESH_SH_EERKSH_lbbbEUlllE1_EE10hipError_tPvRmT2_T3_mT4_P12ihipStream_tbEUlmE_lEESB_NS0_8identityIvEEEESM_SP_SQ_mSR_ST_bEUlT_E_NS1_11comp_targetILNS1_3genE8ELNS1_11target_archE1030ELNS1_3gpuE2ELNS1_3repE0EEENS1_30default_config_static_selectorELNS0_4arch9wavefront6targetE1EEEvT1_,"axG",@progbits,_ZN7rocprim17ROCPRIM_400000_NS6detail17trampoline_kernelINS0_14default_configENS1_25transform_config_selectorIlLb0EEEZNS1_14transform_implILb0ES3_S5_NS0_18transform_iteratorINS0_17counting_iteratorImlEEZNS1_24adjacent_difference_implIS3_Lb1ELb0EPlSB_ZN2at6native12_GLOBAL__N_124unique_dim_cuda_templateIhEESt5tupleIJNSC_6TensorESH_SH_EERKSH_lbbbEUlllE1_EE10hipError_tPvRmT2_T3_mT4_P12ihipStream_tbEUlmE_lEESB_NS0_8identityIvEEEESM_SP_SQ_mSR_ST_bEUlT_E_NS1_11comp_targetILNS1_3genE8ELNS1_11target_archE1030ELNS1_3gpuE2ELNS1_3repE0EEENS1_30default_config_static_selectorELNS0_4arch9wavefront6targetE1EEEvT1_,comdat
	.globl	_ZN7rocprim17ROCPRIM_400000_NS6detail17trampoline_kernelINS0_14default_configENS1_25transform_config_selectorIlLb0EEEZNS1_14transform_implILb0ES3_S5_NS0_18transform_iteratorINS0_17counting_iteratorImlEEZNS1_24adjacent_difference_implIS3_Lb1ELb0EPlSB_ZN2at6native12_GLOBAL__N_124unique_dim_cuda_templateIhEESt5tupleIJNSC_6TensorESH_SH_EERKSH_lbbbEUlllE1_EE10hipError_tPvRmT2_T3_mT4_P12ihipStream_tbEUlmE_lEESB_NS0_8identityIvEEEESM_SP_SQ_mSR_ST_bEUlT_E_NS1_11comp_targetILNS1_3genE8ELNS1_11target_archE1030ELNS1_3gpuE2ELNS1_3repE0EEENS1_30default_config_static_selectorELNS0_4arch9wavefront6targetE1EEEvT1_ ; -- Begin function _ZN7rocprim17ROCPRIM_400000_NS6detail17trampoline_kernelINS0_14default_configENS1_25transform_config_selectorIlLb0EEEZNS1_14transform_implILb0ES3_S5_NS0_18transform_iteratorINS0_17counting_iteratorImlEEZNS1_24adjacent_difference_implIS3_Lb1ELb0EPlSB_ZN2at6native12_GLOBAL__N_124unique_dim_cuda_templateIhEESt5tupleIJNSC_6TensorESH_SH_EERKSH_lbbbEUlllE1_EE10hipError_tPvRmT2_T3_mT4_P12ihipStream_tbEUlmE_lEESB_NS0_8identityIvEEEESM_SP_SQ_mSR_ST_bEUlT_E_NS1_11comp_targetILNS1_3genE8ELNS1_11target_archE1030ELNS1_3gpuE2ELNS1_3repE0EEENS1_30default_config_static_selectorELNS0_4arch9wavefront6targetE1EEEvT1_
	.p2align	8
	.type	_ZN7rocprim17ROCPRIM_400000_NS6detail17trampoline_kernelINS0_14default_configENS1_25transform_config_selectorIlLb0EEEZNS1_14transform_implILb0ES3_S5_NS0_18transform_iteratorINS0_17counting_iteratorImlEEZNS1_24adjacent_difference_implIS3_Lb1ELb0EPlSB_ZN2at6native12_GLOBAL__N_124unique_dim_cuda_templateIhEESt5tupleIJNSC_6TensorESH_SH_EERKSH_lbbbEUlllE1_EE10hipError_tPvRmT2_T3_mT4_P12ihipStream_tbEUlmE_lEESB_NS0_8identityIvEEEESM_SP_SQ_mSR_ST_bEUlT_E_NS1_11comp_targetILNS1_3genE8ELNS1_11target_archE1030ELNS1_3gpuE2ELNS1_3repE0EEENS1_30default_config_static_selectorELNS0_4arch9wavefront6targetE1EEEvT1_,@function
_ZN7rocprim17ROCPRIM_400000_NS6detail17trampoline_kernelINS0_14default_configENS1_25transform_config_selectorIlLb0EEEZNS1_14transform_implILb0ES3_S5_NS0_18transform_iteratorINS0_17counting_iteratorImlEEZNS1_24adjacent_difference_implIS3_Lb1ELb0EPlSB_ZN2at6native12_GLOBAL__N_124unique_dim_cuda_templateIhEESt5tupleIJNSC_6TensorESH_SH_EERKSH_lbbbEUlllE1_EE10hipError_tPvRmT2_T3_mT4_P12ihipStream_tbEUlmE_lEESB_NS0_8identityIvEEEESM_SP_SQ_mSR_ST_bEUlT_E_NS1_11comp_targetILNS1_3genE8ELNS1_11target_archE1030ELNS1_3gpuE2ELNS1_3repE0EEENS1_30default_config_static_selectorELNS0_4arch9wavefront6targetE1EEEvT1_: ; @_ZN7rocprim17ROCPRIM_400000_NS6detail17trampoline_kernelINS0_14default_configENS1_25transform_config_selectorIlLb0EEEZNS1_14transform_implILb0ES3_S5_NS0_18transform_iteratorINS0_17counting_iteratorImlEEZNS1_24adjacent_difference_implIS3_Lb1ELb0EPlSB_ZN2at6native12_GLOBAL__N_124unique_dim_cuda_templateIhEESt5tupleIJNSC_6TensorESH_SH_EERKSH_lbbbEUlllE1_EE10hipError_tPvRmT2_T3_mT4_P12ihipStream_tbEUlmE_lEESB_NS0_8identityIvEEEESM_SP_SQ_mSR_ST_bEUlT_E_NS1_11comp_targetILNS1_3genE8ELNS1_11target_archE1030ELNS1_3gpuE2ELNS1_3repE0EEENS1_30default_config_static_selectorELNS0_4arch9wavefront6targetE1EEEvT1_
; %bb.0:
	.section	.rodata,"a",@progbits
	.p2align	6, 0x0
	.amdhsa_kernel _ZN7rocprim17ROCPRIM_400000_NS6detail17trampoline_kernelINS0_14default_configENS1_25transform_config_selectorIlLb0EEEZNS1_14transform_implILb0ES3_S5_NS0_18transform_iteratorINS0_17counting_iteratorImlEEZNS1_24adjacent_difference_implIS3_Lb1ELb0EPlSB_ZN2at6native12_GLOBAL__N_124unique_dim_cuda_templateIhEESt5tupleIJNSC_6TensorESH_SH_EERKSH_lbbbEUlllE1_EE10hipError_tPvRmT2_T3_mT4_P12ihipStream_tbEUlmE_lEESB_NS0_8identityIvEEEESM_SP_SQ_mSR_ST_bEUlT_E_NS1_11comp_targetILNS1_3genE8ELNS1_11target_archE1030ELNS1_3gpuE2ELNS1_3repE0EEENS1_30default_config_static_selectorELNS0_4arch9wavefront6targetE1EEEvT1_
		.amdhsa_group_segment_fixed_size 0
		.amdhsa_private_segment_fixed_size 0
		.amdhsa_kernarg_size 56
		.amdhsa_user_sgpr_count 2
		.amdhsa_user_sgpr_dispatch_ptr 0
		.amdhsa_user_sgpr_queue_ptr 0
		.amdhsa_user_sgpr_kernarg_segment_ptr 1
		.amdhsa_user_sgpr_dispatch_id 0
		.amdhsa_user_sgpr_kernarg_preload_length 0
		.amdhsa_user_sgpr_kernarg_preload_offset 0
		.amdhsa_user_sgpr_private_segment_size 0
		.amdhsa_uses_dynamic_stack 0
		.amdhsa_enable_private_segment 0
		.amdhsa_system_sgpr_workgroup_id_x 1
		.amdhsa_system_sgpr_workgroup_id_y 0
		.amdhsa_system_sgpr_workgroup_id_z 0
		.amdhsa_system_sgpr_workgroup_info 0
		.amdhsa_system_vgpr_workitem_id 0
		.amdhsa_next_free_vgpr 1
		.amdhsa_next_free_sgpr 0
		.amdhsa_accum_offset 4
		.amdhsa_reserve_vcc 0
		.amdhsa_float_round_mode_32 0
		.amdhsa_float_round_mode_16_64 0
		.amdhsa_float_denorm_mode_32 3
		.amdhsa_float_denorm_mode_16_64 3
		.amdhsa_dx10_clamp 1
		.amdhsa_ieee_mode 1
		.amdhsa_fp16_overflow 0
		.amdhsa_tg_split 0
		.amdhsa_exception_fp_ieee_invalid_op 0
		.amdhsa_exception_fp_denorm_src 0
		.amdhsa_exception_fp_ieee_div_zero 0
		.amdhsa_exception_fp_ieee_overflow 0
		.amdhsa_exception_fp_ieee_underflow 0
		.amdhsa_exception_fp_ieee_inexact 0
		.amdhsa_exception_int_div_zero 0
	.end_amdhsa_kernel
	.section	.text._ZN7rocprim17ROCPRIM_400000_NS6detail17trampoline_kernelINS0_14default_configENS1_25transform_config_selectorIlLb0EEEZNS1_14transform_implILb0ES3_S5_NS0_18transform_iteratorINS0_17counting_iteratorImlEEZNS1_24adjacent_difference_implIS3_Lb1ELb0EPlSB_ZN2at6native12_GLOBAL__N_124unique_dim_cuda_templateIhEESt5tupleIJNSC_6TensorESH_SH_EERKSH_lbbbEUlllE1_EE10hipError_tPvRmT2_T3_mT4_P12ihipStream_tbEUlmE_lEESB_NS0_8identityIvEEEESM_SP_SQ_mSR_ST_bEUlT_E_NS1_11comp_targetILNS1_3genE8ELNS1_11target_archE1030ELNS1_3gpuE2ELNS1_3repE0EEENS1_30default_config_static_selectorELNS0_4arch9wavefront6targetE1EEEvT1_,"axG",@progbits,_ZN7rocprim17ROCPRIM_400000_NS6detail17trampoline_kernelINS0_14default_configENS1_25transform_config_selectorIlLb0EEEZNS1_14transform_implILb0ES3_S5_NS0_18transform_iteratorINS0_17counting_iteratorImlEEZNS1_24adjacent_difference_implIS3_Lb1ELb0EPlSB_ZN2at6native12_GLOBAL__N_124unique_dim_cuda_templateIhEESt5tupleIJNSC_6TensorESH_SH_EERKSH_lbbbEUlllE1_EE10hipError_tPvRmT2_T3_mT4_P12ihipStream_tbEUlmE_lEESB_NS0_8identityIvEEEESM_SP_SQ_mSR_ST_bEUlT_E_NS1_11comp_targetILNS1_3genE8ELNS1_11target_archE1030ELNS1_3gpuE2ELNS1_3repE0EEENS1_30default_config_static_selectorELNS0_4arch9wavefront6targetE1EEEvT1_,comdat
.Lfunc_end75:
	.size	_ZN7rocprim17ROCPRIM_400000_NS6detail17trampoline_kernelINS0_14default_configENS1_25transform_config_selectorIlLb0EEEZNS1_14transform_implILb0ES3_S5_NS0_18transform_iteratorINS0_17counting_iteratorImlEEZNS1_24adjacent_difference_implIS3_Lb1ELb0EPlSB_ZN2at6native12_GLOBAL__N_124unique_dim_cuda_templateIhEESt5tupleIJNSC_6TensorESH_SH_EERKSH_lbbbEUlllE1_EE10hipError_tPvRmT2_T3_mT4_P12ihipStream_tbEUlmE_lEESB_NS0_8identityIvEEEESM_SP_SQ_mSR_ST_bEUlT_E_NS1_11comp_targetILNS1_3genE8ELNS1_11target_archE1030ELNS1_3gpuE2ELNS1_3repE0EEENS1_30default_config_static_selectorELNS0_4arch9wavefront6targetE1EEEvT1_, .Lfunc_end75-_ZN7rocprim17ROCPRIM_400000_NS6detail17trampoline_kernelINS0_14default_configENS1_25transform_config_selectorIlLb0EEEZNS1_14transform_implILb0ES3_S5_NS0_18transform_iteratorINS0_17counting_iteratorImlEEZNS1_24adjacent_difference_implIS3_Lb1ELb0EPlSB_ZN2at6native12_GLOBAL__N_124unique_dim_cuda_templateIhEESt5tupleIJNSC_6TensorESH_SH_EERKSH_lbbbEUlllE1_EE10hipError_tPvRmT2_T3_mT4_P12ihipStream_tbEUlmE_lEESB_NS0_8identityIvEEEESM_SP_SQ_mSR_ST_bEUlT_E_NS1_11comp_targetILNS1_3genE8ELNS1_11target_archE1030ELNS1_3gpuE2ELNS1_3repE0EEENS1_30default_config_static_selectorELNS0_4arch9wavefront6targetE1EEEvT1_
                                        ; -- End function
	.section	.AMDGPU.csdata,"",@progbits
; Kernel info:
; codeLenInByte = 0
; NumSgprs: 6
; NumVgprs: 0
; NumAgprs: 0
; TotalNumVgprs: 0
; ScratchSize: 0
; MemoryBound: 0
; FloatMode: 240
; IeeeMode: 1
; LDSByteSize: 0 bytes/workgroup (compile time only)
; SGPRBlocks: 0
; VGPRBlocks: 0
; NumSGPRsForWavesPerEU: 6
; NumVGPRsForWavesPerEU: 1
; AccumOffset: 4
; Occupancy: 8
; WaveLimiterHint : 0
; COMPUTE_PGM_RSRC2:SCRATCH_EN: 0
; COMPUTE_PGM_RSRC2:USER_SGPR: 2
; COMPUTE_PGM_RSRC2:TRAP_HANDLER: 0
; COMPUTE_PGM_RSRC2:TGID_X_EN: 1
; COMPUTE_PGM_RSRC2:TGID_Y_EN: 0
; COMPUTE_PGM_RSRC2:TGID_Z_EN: 0
; COMPUTE_PGM_RSRC2:TIDIG_COMP_CNT: 0
; COMPUTE_PGM_RSRC3_GFX90A:ACCUM_OFFSET: 0
; COMPUTE_PGM_RSRC3_GFX90A:TG_SPLIT: 0
	.section	.text._ZN7rocprim17ROCPRIM_400000_NS6detail17trampoline_kernelINS0_14default_configENS1_35adjacent_difference_config_selectorILb1ElEEZNS1_24adjacent_difference_implIS3_Lb1ELb0EPlS7_ZN2at6native12_GLOBAL__N_124unique_dim_cuda_templateIhEESt5tupleIJNS8_6TensorESD_SD_EERKSD_lbbbEUlllE1_EE10hipError_tPvRmT2_T3_mT4_P12ihipStream_tbEUlT_E_NS1_11comp_targetILNS1_3genE0ELNS1_11target_archE4294967295ELNS1_3gpuE0ELNS1_3repE0EEENS1_30default_config_static_selectorELNS0_4arch9wavefront6targetE1EEEvT1_,"axG",@progbits,_ZN7rocprim17ROCPRIM_400000_NS6detail17trampoline_kernelINS0_14default_configENS1_35adjacent_difference_config_selectorILb1ElEEZNS1_24adjacent_difference_implIS3_Lb1ELb0EPlS7_ZN2at6native12_GLOBAL__N_124unique_dim_cuda_templateIhEESt5tupleIJNS8_6TensorESD_SD_EERKSD_lbbbEUlllE1_EE10hipError_tPvRmT2_T3_mT4_P12ihipStream_tbEUlT_E_NS1_11comp_targetILNS1_3genE0ELNS1_11target_archE4294967295ELNS1_3gpuE0ELNS1_3repE0EEENS1_30default_config_static_selectorELNS0_4arch9wavefront6targetE1EEEvT1_,comdat
	.globl	_ZN7rocprim17ROCPRIM_400000_NS6detail17trampoline_kernelINS0_14default_configENS1_35adjacent_difference_config_selectorILb1ElEEZNS1_24adjacent_difference_implIS3_Lb1ELb0EPlS7_ZN2at6native12_GLOBAL__N_124unique_dim_cuda_templateIhEESt5tupleIJNS8_6TensorESD_SD_EERKSD_lbbbEUlllE1_EE10hipError_tPvRmT2_T3_mT4_P12ihipStream_tbEUlT_E_NS1_11comp_targetILNS1_3genE0ELNS1_11target_archE4294967295ELNS1_3gpuE0ELNS1_3repE0EEENS1_30default_config_static_selectorELNS0_4arch9wavefront6targetE1EEEvT1_ ; -- Begin function _ZN7rocprim17ROCPRIM_400000_NS6detail17trampoline_kernelINS0_14default_configENS1_35adjacent_difference_config_selectorILb1ElEEZNS1_24adjacent_difference_implIS3_Lb1ELb0EPlS7_ZN2at6native12_GLOBAL__N_124unique_dim_cuda_templateIhEESt5tupleIJNS8_6TensorESD_SD_EERKSD_lbbbEUlllE1_EE10hipError_tPvRmT2_T3_mT4_P12ihipStream_tbEUlT_E_NS1_11comp_targetILNS1_3genE0ELNS1_11target_archE4294967295ELNS1_3gpuE0ELNS1_3repE0EEENS1_30default_config_static_selectorELNS0_4arch9wavefront6targetE1EEEvT1_
	.p2align	8
	.type	_ZN7rocprim17ROCPRIM_400000_NS6detail17trampoline_kernelINS0_14default_configENS1_35adjacent_difference_config_selectorILb1ElEEZNS1_24adjacent_difference_implIS3_Lb1ELb0EPlS7_ZN2at6native12_GLOBAL__N_124unique_dim_cuda_templateIhEESt5tupleIJNS8_6TensorESD_SD_EERKSD_lbbbEUlllE1_EE10hipError_tPvRmT2_T3_mT4_P12ihipStream_tbEUlT_E_NS1_11comp_targetILNS1_3genE0ELNS1_11target_archE4294967295ELNS1_3gpuE0ELNS1_3repE0EEENS1_30default_config_static_selectorELNS0_4arch9wavefront6targetE1EEEvT1_,@function
_ZN7rocprim17ROCPRIM_400000_NS6detail17trampoline_kernelINS0_14default_configENS1_35adjacent_difference_config_selectorILb1ElEEZNS1_24adjacent_difference_implIS3_Lb1ELb0EPlS7_ZN2at6native12_GLOBAL__N_124unique_dim_cuda_templateIhEESt5tupleIJNS8_6TensorESD_SD_EERKSD_lbbbEUlllE1_EE10hipError_tPvRmT2_T3_mT4_P12ihipStream_tbEUlT_E_NS1_11comp_targetILNS1_3genE0ELNS1_11target_archE4294967295ELNS1_3gpuE0ELNS1_3repE0EEENS1_30default_config_static_selectorELNS0_4arch9wavefront6targetE1EEEvT1_: ; @_ZN7rocprim17ROCPRIM_400000_NS6detail17trampoline_kernelINS0_14default_configENS1_35adjacent_difference_config_selectorILb1ElEEZNS1_24adjacent_difference_implIS3_Lb1ELb0EPlS7_ZN2at6native12_GLOBAL__N_124unique_dim_cuda_templateIhEESt5tupleIJNS8_6TensorESD_SD_EERKSD_lbbbEUlllE1_EE10hipError_tPvRmT2_T3_mT4_P12ihipStream_tbEUlT_E_NS1_11comp_targetILNS1_3genE0ELNS1_11target_archE4294967295ELNS1_3gpuE0ELNS1_3repE0EEENS1_30default_config_static_selectorELNS0_4arch9wavefront6targetE1EEEvT1_
; %bb.0:
	.section	.rodata,"a",@progbits
	.p2align	6, 0x0
	.amdhsa_kernel _ZN7rocprim17ROCPRIM_400000_NS6detail17trampoline_kernelINS0_14default_configENS1_35adjacent_difference_config_selectorILb1ElEEZNS1_24adjacent_difference_implIS3_Lb1ELb0EPlS7_ZN2at6native12_GLOBAL__N_124unique_dim_cuda_templateIhEESt5tupleIJNS8_6TensorESD_SD_EERKSD_lbbbEUlllE1_EE10hipError_tPvRmT2_T3_mT4_P12ihipStream_tbEUlT_E_NS1_11comp_targetILNS1_3genE0ELNS1_11target_archE4294967295ELNS1_3gpuE0ELNS1_3repE0EEENS1_30default_config_static_selectorELNS0_4arch9wavefront6targetE1EEEvT1_
		.amdhsa_group_segment_fixed_size 0
		.amdhsa_private_segment_fixed_size 0
		.amdhsa_kernarg_size 64
		.amdhsa_user_sgpr_count 2
		.amdhsa_user_sgpr_dispatch_ptr 0
		.amdhsa_user_sgpr_queue_ptr 0
		.amdhsa_user_sgpr_kernarg_segment_ptr 1
		.amdhsa_user_sgpr_dispatch_id 0
		.amdhsa_user_sgpr_kernarg_preload_length 0
		.amdhsa_user_sgpr_kernarg_preload_offset 0
		.amdhsa_user_sgpr_private_segment_size 0
		.amdhsa_uses_dynamic_stack 0
		.amdhsa_enable_private_segment 0
		.amdhsa_system_sgpr_workgroup_id_x 1
		.amdhsa_system_sgpr_workgroup_id_y 0
		.amdhsa_system_sgpr_workgroup_id_z 0
		.amdhsa_system_sgpr_workgroup_info 0
		.amdhsa_system_vgpr_workitem_id 0
		.amdhsa_next_free_vgpr 1
		.amdhsa_next_free_sgpr 0
		.amdhsa_accum_offset 4
		.amdhsa_reserve_vcc 0
		.amdhsa_float_round_mode_32 0
		.amdhsa_float_round_mode_16_64 0
		.amdhsa_float_denorm_mode_32 3
		.amdhsa_float_denorm_mode_16_64 3
		.amdhsa_dx10_clamp 1
		.amdhsa_ieee_mode 1
		.amdhsa_fp16_overflow 0
		.amdhsa_tg_split 0
		.amdhsa_exception_fp_ieee_invalid_op 0
		.amdhsa_exception_fp_denorm_src 0
		.amdhsa_exception_fp_ieee_div_zero 0
		.amdhsa_exception_fp_ieee_overflow 0
		.amdhsa_exception_fp_ieee_underflow 0
		.amdhsa_exception_fp_ieee_inexact 0
		.amdhsa_exception_int_div_zero 0
	.end_amdhsa_kernel
	.section	.text._ZN7rocprim17ROCPRIM_400000_NS6detail17trampoline_kernelINS0_14default_configENS1_35adjacent_difference_config_selectorILb1ElEEZNS1_24adjacent_difference_implIS3_Lb1ELb0EPlS7_ZN2at6native12_GLOBAL__N_124unique_dim_cuda_templateIhEESt5tupleIJNS8_6TensorESD_SD_EERKSD_lbbbEUlllE1_EE10hipError_tPvRmT2_T3_mT4_P12ihipStream_tbEUlT_E_NS1_11comp_targetILNS1_3genE0ELNS1_11target_archE4294967295ELNS1_3gpuE0ELNS1_3repE0EEENS1_30default_config_static_selectorELNS0_4arch9wavefront6targetE1EEEvT1_,"axG",@progbits,_ZN7rocprim17ROCPRIM_400000_NS6detail17trampoline_kernelINS0_14default_configENS1_35adjacent_difference_config_selectorILb1ElEEZNS1_24adjacent_difference_implIS3_Lb1ELb0EPlS7_ZN2at6native12_GLOBAL__N_124unique_dim_cuda_templateIhEESt5tupleIJNS8_6TensorESD_SD_EERKSD_lbbbEUlllE1_EE10hipError_tPvRmT2_T3_mT4_P12ihipStream_tbEUlT_E_NS1_11comp_targetILNS1_3genE0ELNS1_11target_archE4294967295ELNS1_3gpuE0ELNS1_3repE0EEENS1_30default_config_static_selectorELNS0_4arch9wavefront6targetE1EEEvT1_,comdat
.Lfunc_end76:
	.size	_ZN7rocprim17ROCPRIM_400000_NS6detail17trampoline_kernelINS0_14default_configENS1_35adjacent_difference_config_selectorILb1ElEEZNS1_24adjacent_difference_implIS3_Lb1ELb0EPlS7_ZN2at6native12_GLOBAL__N_124unique_dim_cuda_templateIhEESt5tupleIJNS8_6TensorESD_SD_EERKSD_lbbbEUlllE1_EE10hipError_tPvRmT2_T3_mT4_P12ihipStream_tbEUlT_E_NS1_11comp_targetILNS1_3genE0ELNS1_11target_archE4294967295ELNS1_3gpuE0ELNS1_3repE0EEENS1_30default_config_static_selectorELNS0_4arch9wavefront6targetE1EEEvT1_, .Lfunc_end76-_ZN7rocprim17ROCPRIM_400000_NS6detail17trampoline_kernelINS0_14default_configENS1_35adjacent_difference_config_selectorILb1ElEEZNS1_24adjacent_difference_implIS3_Lb1ELb0EPlS7_ZN2at6native12_GLOBAL__N_124unique_dim_cuda_templateIhEESt5tupleIJNS8_6TensorESD_SD_EERKSD_lbbbEUlllE1_EE10hipError_tPvRmT2_T3_mT4_P12ihipStream_tbEUlT_E_NS1_11comp_targetILNS1_3genE0ELNS1_11target_archE4294967295ELNS1_3gpuE0ELNS1_3repE0EEENS1_30default_config_static_selectorELNS0_4arch9wavefront6targetE1EEEvT1_
                                        ; -- End function
	.section	.AMDGPU.csdata,"",@progbits
; Kernel info:
; codeLenInByte = 0
; NumSgprs: 6
; NumVgprs: 0
; NumAgprs: 0
; TotalNumVgprs: 0
; ScratchSize: 0
; MemoryBound: 0
; FloatMode: 240
; IeeeMode: 1
; LDSByteSize: 0 bytes/workgroup (compile time only)
; SGPRBlocks: 0
; VGPRBlocks: 0
; NumSGPRsForWavesPerEU: 6
; NumVGPRsForWavesPerEU: 1
; AccumOffset: 4
; Occupancy: 8
; WaveLimiterHint : 0
; COMPUTE_PGM_RSRC2:SCRATCH_EN: 0
; COMPUTE_PGM_RSRC2:USER_SGPR: 2
; COMPUTE_PGM_RSRC2:TRAP_HANDLER: 0
; COMPUTE_PGM_RSRC2:TGID_X_EN: 1
; COMPUTE_PGM_RSRC2:TGID_Y_EN: 0
; COMPUTE_PGM_RSRC2:TGID_Z_EN: 0
; COMPUTE_PGM_RSRC2:TIDIG_COMP_CNT: 0
; COMPUTE_PGM_RSRC3_GFX90A:ACCUM_OFFSET: 0
; COMPUTE_PGM_RSRC3_GFX90A:TG_SPLIT: 0
	.section	.text._ZN7rocprim17ROCPRIM_400000_NS6detail17trampoline_kernelINS0_14default_configENS1_35adjacent_difference_config_selectorILb1ElEEZNS1_24adjacent_difference_implIS3_Lb1ELb0EPlS7_ZN2at6native12_GLOBAL__N_124unique_dim_cuda_templateIhEESt5tupleIJNS8_6TensorESD_SD_EERKSD_lbbbEUlllE1_EE10hipError_tPvRmT2_T3_mT4_P12ihipStream_tbEUlT_E_NS1_11comp_targetILNS1_3genE10ELNS1_11target_archE1201ELNS1_3gpuE5ELNS1_3repE0EEENS1_30default_config_static_selectorELNS0_4arch9wavefront6targetE1EEEvT1_,"axG",@progbits,_ZN7rocprim17ROCPRIM_400000_NS6detail17trampoline_kernelINS0_14default_configENS1_35adjacent_difference_config_selectorILb1ElEEZNS1_24adjacent_difference_implIS3_Lb1ELb0EPlS7_ZN2at6native12_GLOBAL__N_124unique_dim_cuda_templateIhEESt5tupleIJNS8_6TensorESD_SD_EERKSD_lbbbEUlllE1_EE10hipError_tPvRmT2_T3_mT4_P12ihipStream_tbEUlT_E_NS1_11comp_targetILNS1_3genE10ELNS1_11target_archE1201ELNS1_3gpuE5ELNS1_3repE0EEENS1_30default_config_static_selectorELNS0_4arch9wavefront6targetE1EEEvT1_,comdat
	.globl	_ZN7rocprim17ROCPRIM_400000_NS6detail17trampoline_kernelINS0_14default_configENS1_35adjacent_difference_config_selectorILb1ElEEZNS1_24adjacent_difference_implIS3_Lb1ELb0EPlS7_ZN2at6native12_GLOBAL__N_124unique_dim_cuda_templateIhEESt5tupleIJNS8_6TensorESD_SD_EERKSD_lbbbEUlllE1_EE10hipError_tPvRmT2_T3_mT4_P12ihipStream_tbEUlT_E_NS1_11comp_targetILNS1_3genE10ELNS1_11target_archE1201ELNS1_3gpuE5ELNS1_3repE0EEENS1_30default_config_static_selectorELNS0_4arch9wavefront6targetE1EEEvT1_ ; -- Begin function _ZN7rocprim17ROCPRIM_400000_NS6detail17trampoline_kernelINS0_14default_configENS1_35adjacent_difference_config_selectorILb1ElEEZNS1_24adjacent_difference_implIS3_Lb1ELb0EPlS7_ZN2at6native12_GLOBAL__N_124unique_dim_cuda_templateIhEESt5tupleIJNS8_6TensorESD_SD_EERKSD_lbbbEUlllE1_EE10hipError_tPvRmT2_T3_mT4_P12ihipStream_tbEUlT_E_NS1_11comp_targetILNS1_3genE10ELNS1_11target_archE1201ELNS1_3gpuE5ELNS1_3repE0EEENS1_30default_config_static_selectorELNS0_4arch9wavefront6targetE1EEEvT1_
	.p2align	8
	.type	_ZN7rocprim17ROCPRIM_400000_NS6detail17trampoline_kernelINS0_14default_configENS1_35adjacent_difference_config_selectorILb1ElEEZNS1_24adjacent_difference_implIS3_Lb1ELb0EPlS7_ZN2at6native12_GLOBAL__N_124unique_dim_cuda_templateIhEESt5tupleIJNS8_6TensorESD_SD_EERKSD_lbbbEUlllE1_EE10hipError_tPvRmT2_T3_mT4_P12ihipStream_tbEUlT_E_NS1_11comp_targetILNS1_3genE10ELNS1_11target_archE1201ELNS1_3gpuE5ELNS1_3repE0EEENS1_30default_config_static_selectorELNS0_4arch9wavefront6targetE1EEEvT1_,@function
_ZN7rocprim17ROCPRIM_400000_NS6detail17trampoline_kernelINS0_14default_configENS1_35adjacent_difference_config_selectorILb1ElEEZNS1_24adjacent_difference_implIS3_Lb1ELb0EPlS7_ZN2at6native12_GLOBAL__N_124unique_dim_cuda_templateIhEESt5tupleIJNS8_6TensorESD_SD_EERKSD_lbbbEUlllE1_EE10hipError_tPvRmT2_T3_mT4_P12ihipStream_tbEUlT_E_NS1_11comp_targetILNS1_3genE10ELNS1_11target_archE1201ELNS1_3gpuE5ELNS1_3repE0EEENS1_30default_config_static_selectorELNS0_4arch9wavefront6targetE1EEEvT1_: ; @_ZN7rocprim17ROCPRIM_400000_NS6detail17trampoline_kernelINS0_14default_configENS1_35adjacent_difference_config_selectorILb1ElEEZNS1_24adjacent_difference_implIS3_Lb1ELb0EPlS7_ZN2at6native12_GLOBAL__N_124unique_dim_cuda_templateIhEESt5tupleIJNS8_6TensorESD_SD_EERKSD_lbbbEUlllE1_EE10hipError_tPvRmT2_T3_mT4_P12ihipStream_tbEUlT_E_NS1_11comp_targetILNS1_3genE10ELNS1_11target_archE1201ELNS1_3gpuE5ELNS1_3repE0EEENS1_30default_config_static_selectorELNS0_4arch9wavefront6targetE1EEEvT1_
; %bb.0:
	.section	.rodata,"a",@progbits
	.p2align	6, 0x0
	.amdhsa_kernel _ZN7rocprim17ROCPRIM_400000_NS6detail17trampoline_kernelINS0_14default_configENS1_35adjacent_difference_config_selectorILb1ElEEZNS1_24adjacent_difference_implIS3_Lb1ELb0EPlS7_ZN2at6native12_GLOBAL__N_124unique_dim_cuda_templateIhEESt5tupleIJNS8_6TensorESD_SD_EERKSD_lbbbEUlllE1_EE10hipError_tPvRmT2_T3_mT4_P12ihipStream_tbEUlT_E_NS1_11comp_targetILNS1_3genE10ELNS1_11target_archE1201ELNS1_3gpuE5ELNS1_3repE0EEENS1_30default_config_static_selectorELNS0_4arch9wavefront6targetE1EEEvT1_
		.amdhsa_group_segment_fixed_size 0
		.amdhsa_private_segment_fixed_size 0
		.amdhsa_kernarg_size 64
		.amdhsa_user_sgpr_count 2
		.amdhsa_user_sgpr_dispatch_ptr 0
		.amdhsa_user_sgpr_queue_ptr 0
		.amdhsa_user_sgpr_kernarg_segment_ptr 1
		.amdhsa_user_sgpr_dispatch_id 0
		.amdhsa_user_sgpr_kernarg_preload_length 0
		.amdhsa_user_sgpr_kernarg_preload_offset 0
		.amdhsa_user_sgpr_private_segment_size 0
		.amdhsa_uses_dynamic_stack 0
		.amdhsa_enable_private_segment 0
		.amdhsa_system_sgpr_workgroup_id_x 1
		.amdhsa_system_sgpr_workgroup_id_y 0
		.amdhsa_system_sgpr_workgroup_id_z 0
		.amdhsa_system_sgpr_workgroup_info 0
		.amdhsa_system_vgpr_workitem_id 0
		.amdhsa_next_free_vgpr 1
		.amdhsa_next_free_sgpr 0
		.amdhsa_accum_offset 4
		.amdhsa_reserve_vcc 0
		.amdhsa_float_round_mode_32 0
		.amdhsa_float_round_mode_16_64 0
		.amdhsa_float_denorm_mode_32 3
		.amdhsa_float_denorm_mode_16_64 3
		.amdhsa_dx10_clamp 1
		.amdhsa_ieee_mode 1
		.amdhsa_fp16_overflow 0
		.amdhsa_tg_split 0
		.amdhsa_exception_fp_ieee_invalid_op 0
		.amdhsa_exception_fp_denorm_src 0
		.amdhsa_exception_fp_ieee_div_zero 0
		.amdhsa_exception_fp_ieee_overflow 0
		.amdhsa_exception_fp_ieee_underflow 0
		.amdhsa_exception_fp_ieee_inexact 0
		.amdhsa_exception_int_div_zero 0
	.end_amdhsa_kernel
	.section	.text._ZN7rocprim17ROCPRIM_400000_NS6detail17trampoline_kernelINS0_14default_configENS1_35adjacent_difference_config_selectorILb1ElEEZNS1_24adjacent_difference_implIS3_Lb1ELb0EPlS7_ZN2at6native12_GLOBAL__N_124unique_dim_cuda_templateIhEESt5tupleIJNS8_6TensorESD_SD_EERKSD_lbbbEUlllE1_EE10hipError_tPvRmT2_T3_mT4_P12ihipStream_tbEUlT_E_NS1_11comp_targetILNS1_3genE10ELNS1_11target_archE1201ELNS1_3gpuE5ELNS1_3repE0EEENS1_30default_config_static_selectorELNS0_4arch9wavefront6targetE1EEEvT1_,"axG",@progbits,_ZN7rocprim17ROCPRIM_400000_NS6detail17trampoline_kernelINS0_14default_configENS1_35adjacent_difference_config_selectorILb1ElEEZNS1_24adjacent_difference_implIS3_Lb1ELb0EPlS7_ZN2at6native12_GLOBAL__N_124unique_dim_cuda_templateIhEESt5tupleIJNS8_6TensorESD_SD_EERKSD_lbbbEUlllE1_EE10hipError_tPvRmT2_T3_mT4_P12ihipStream_tbEUlT_E_NS1_11comp_targetILNS1_3genE10ELNS1_11target_archE1201ELNS1_3gpuE5ELNS1_3repE0EEENS1_30default_config_static_selectorELNS0_4arch9wavefront6targetE1EEEvT1_,comdat
.Lfunc_end77:
	.size	_ZN7rocprim17ROCPRIM_400000_NS6detail17trampoline_kernelINS0_14default_configENS1_35adjacent_difference_config_selectorILb1ElEEZNS1_24adjacent_difference_implIS3_Lb1ELb0EPlS7_ZN2at6native12_GLOBAL__N_124unique_dim_cuda_templateIhEESt5tupleIJNS8_6TensorESD_SD_EERKSD_lbbbEUlllE1_EE10hipError_tPvRmT2_T3_mT4_P12ihipStream_tbEUlT_E_NS1_11comp_targetILNS1_3genE10ELNS1_11target_archE1201ELNS1_3gpuE5ELNS1_3repE0EEENS1_30default_config_static_selectorELNS0_4arch9wavefront6targetE1EEEvT1_, .Lfunc_end77-_ZN7rocprim17ROCPRIM_400000_NS6detail17trampoline_kernelINS0_14default_configENS1_35adjacent_difference_config_selectorILb1ElEEZNS1_24adjacent_difference_implIS3_Lb1ELb0EPlS7_ZN2at6native12_GLOBAL__N_124unique_dim_cuda_templateIhEESt5tupleIJNS8_6TensorESD_SD_EERKSD_lbbbEUlllE1_EE10hipError_tPvRmT2_T3_mT4_P12ihipStream_tbEUlT_E_NS1_11comp_targetILNS1_3genE10ELNS1_11target_archE1201ELNS1_3gpuE5ELNS1_3repE0EEENS1_30default_config_static_selectorELNS0_4arch9wavefront6targetE1EEEvT1_
                                        ; -- End function
	.section	.AMDGPU.csdata,"",@progbits
; Kernel info:
; codeLenInByte = 0
; NumSgprs: 6
; NumVgprs: 0
; NumAgprs: 0
; TotalNumVgprs: 0
; ScratchSize: 0
; MemoryBound: 0
; FloatMode: 240
; IeeeMode: 1
; LDSByteSize: 0 bytes/workgroup (compile time only)
; SGPRBlocks: 0
; VGPRBlocks: 0
; NumSGPRsForWavesPerEU: 6
; NumVGPRsForWavesPerEU: 1
; AccumOffset: 4
; Occupancy: 8
; WaveLimiterHint : 0
; COMPUTE_PGM_RSRC2:SCRATCH_EN: 0
; COMPUTE_PGM_RSRC2:USER_SGPR: 2
; COMPUTE_PGM_RSRC2:TRAP_HANDLER: 0
; COMPUTE_PGM_RSRC2:TGID_X_EN: 1
; COMPUTE_PGM_RSRC2:TGID_Y_EN: 0
; COMPUTE_PGM_RSRC2:TGID_Z_EN: 0
; COMPUTE_PGM_RSRC2:TIDIG_COMP_CNT: 0
; COMPUTE_PGM_RSRC3_GFX90A:ACCUM_OFFSET: 0
; COMPUTE_PGM_RSRC3_GFX90A:TG_SPLIT: 0
	.section	.text._ZN7rocprim17ROCPRIM_400000_NS6detail17trampoline_kernelINS0_14default_configENS1_35adjacent_difference_config_selectorILb1ElEEZNS1_24adjacent_difference_implIS3_Lb1ELb0EPlS7_ZN2at6native12_GLOBAL__N_124unique_dim_cuda_templateIhEESt5tupleIJNS8_6TensorESD_SD_EERKSD_lbbbEUlllE1_EE10hipError_tPvRmT2_T3_mT4_P12ihipStream_tbEUlT_E_NS1_11comp_targetILNS1_3genE5ELNS1_11target_archE942ELNS1_3gpuE9ELNS1_3repE0EEENS1_30default_config_static_selectorELNS0_4arch9wavefront6targetE1EEEvT1_,"axG",@progbits,_ZN7rocprim17ROCPRIM_400000_NS6detail17trampoline_kernelINS0_14default_configENS1_35adjacent_difference_config_selectorILb1ElEEZNS1_24adjacent_difference_implIS3_Lb1ELb0EPlS7_ZN2at6native12_GLOBAL__N_124unique_dim_cuda_templateIhEESt5tupleIJNS8_6TensorESD_SD_EERKSD_lbbbEUlllE1_EE10hipError_tPvRmT2_T3_mT4_P12ihipStream_tbEUlT_E_NS1_11comp_targetILNS1_3genE5ELNS1_11target_archE942ELNS1_3gpuE9ELNS1_3repE0EEENS1_30default_config_static_selectorELNS0_4arch9wavefront6targetE1EEEvT1_,comdat
	.globl	_ZN7rocprim17ROCPRIM_400000_NS6detail17trampoline_kernelINS0_14default_configENS1_35adjacent_difference_config_selectorILb1ElEEZNS1_24adjacent_difference_implIS3_Lb1ELb0EPlS7_ZN2at6native12_GLOBAL__N_124unique_dim_cuda_templateIhEESt5tupleIJNS8_6TensorESD_SD_EERKSD_lbbbEUlllE1_EE10hipError_tPvRmT2_T3_mT4_P12ihipStream_tbEUlT_E_NS1_11comp_targetILNS1_3genE5ELNS1_11target_archE942ELNS1_3gpuE9ELNS1_3repE0EEENS1_30default_config_static_selectorELNS0_4arch9wavefront6targetE1EEEvT1_ ; -- Begin function _ZN7rocprim17ROCPRIM_400000_NS6detail17trampoline_kernelINS0_14default_configENS1_35adjacent_difference_config_selectorILb1ElEEZNS1_24adjacent_difference_implIS3_Lb1ELb0EPlS7_ZN2at6native12_GLOBAL__N_124unique_dim_cuda_templateIhEESt5tupleIJNS8_6TensorESD_SD_EERKSD_lbbbEUlllE1_EE10hipError_tPvRmT2_T3_mT4_P12ihipStream_tbEUlT_E_NS1_11comp_targetILNS1_3genE5ELNS1_11target_archE942ELNS1_3gpuE9ELNS1_3repE0EEENS1_30default_config_static_selectorELNS0_4arch9wavefront6targetE1EEEvT1_
	.p2align	8
	.type	_ZN7rocprim17ROCPRIM_400000_NS6detail17trampoline_kernelINS0_14default_configENS1_35adjacent_difference_config_selectorILb1ElEEZNS1_24adjacent_difference_implIS3_Lb1ELb0EPlS7_ZN2at6native12_GLOBAL__N_124unique_dim_cuda_templateIhEESt5tupleIJNS8_6TensorESD_SD_EERKSD_lbbbEUlllE1_EE10hipError_tPvRmT2_T3_mT4_P12ihipStream_tbEUlT_E_NS1_11comp_targetILNS1_3genE5ELNS1_11target_archE942ELNS1_3gpuE9ELNS1_3repE0EEENS1_30default_config_static_selectorELNS0_4arch9wavefront6targetE1EEEvT1_,@function
_ZN7rocprim17ROCPRIM_400000_NS6detail17trampoline_kernelINS0_14default_configENS1_35adjacent_difference_config_selectorILb1ElEEZNS1_24adjacent_difference_implIS3_Lb1ELb0EPlS7_ZN2at6native12_GLOBAL__N_124unique_dim_cuda_templateIhEESt5tupleIJNS8_6TensorESD_SD_EERKSD_lbbbEUlllE1_EE10hipError_tPvRmT2_T3_mT4_P12ihipStream_tbEUlT_E_NS1_11comp_targetILNS1_3genE5ELNS1_11target_archE942ELNS1_3gpuE9ELNS1_3repE0EEENS1_30default_config_static_selectorELNS0_4arch9wavefront6targetE1EEEvT1_: ; @_ZN7rocprim17ROCPRIM_400000_NS6detail17trampoline_kernelINS0_14default_configENS1_35adjacent_difference_config_selectorILb1ElEEZNS1_24adjacent_difference_implIS3_Lb1ELb0EPlS7_ZN2at6native12_GLOBAL__N_124unique_dim_cuda_templateIhEESt5tupleIJNS8_6TensorESD_SD_EERKSD_lbbbEUlllE1_EE10hipError_tPvRmT2_T3_mT4_P12ihipStream_tbEUlT_E_NS1_11comp_targetILNS1_3genE5ELNS1_11target_archE942ELNS1_3gpuE9ELNS1_3repE0EEENS1_30default_config_static_selectorELNS0_4arch9wavefront6targetE1EEEvT1_
; %bb.0:
	s_load_dwordx16 s[4:19], s[0:1], 0x0
	s_mov_b32 s1, 0x545d15a0
	v_bfrev_b32_e32 v1, 4
	s_movk_i32 s0, 0xb00
	s_mul_i32 s20, s2, 0xb00
	s_waitcnt lgkmcnt(0)
	s_lshl_b64 s[6:7], s[6:7], 3
	s_add_u32 s30, s4, s6
	s_addc_u32 s31, s5, s7
	s_add_u32 s1, 0x74, s1
	s_addc_u32 s4, 0, 0
	v_add_co_u32_e32 v1, vcc, s1, v1
	s_cmp_lg_u64 vcc, 0
	v_readfirstlane_b32 s5, v1
	s_addc_u32 s1, s4, 0x1745d1
	s_mul_hi_u32 s21, s5, 0xfffff500
	s_mul_i32 s4, s1, 0xfffff500
	s_sub_i32 s21, s21, s5
	s_add_i32 s21, s21, s4
	s_mul_i32 s23, s5, 0xfffff500
	s_mul_hi_u32 s4, s5, s21
	s_mul_i32 s22, s5, s21
	s_mul_hi_u32 s5, s5, s23
	s_add_u32 s5, s5, s22
	s_addc_u32 s4, 0, s4
	s_mul_hi_u32 s24, s1, s23
	s_mul_i32 s23, s1, s23
	s_add_u32 s5, s5, s23
	s_mul_hi_u32 s22, s1, s21
	s_addc_u32 s4, s4, s24
	s_addc_u32 s5, s22, 0
	s_mul_i32 s21, s1, s21
	s_add_u32 s4, s4, s21
	s_addc_u32 s5, 0, s5
	v_add_co_u32_e32 v1, vcc, s4, v1
	s_cmp_lg_u64 vcc, 0
	s_addc_u32 s1, s1, s5
	v_readfirstlane_b32 s21, v1
	s_mul_i32 s5, s10, s1
	s_mul_hi_u32 s22, s10, s21
	s_mul_hi_u32 s4, s10, s1
	s_add_u32 s5, s22, s5
	s_addc_u32 s4, 0, s4
	s_mul_hi_u32 s23, s11, s21
	s_mul_i32 s21, s11, s21
	s_add_u32 s5, s5, s21
	s_mul_hi_u32 s22, s11, s1
	s_addc_u32 s4, s4, s23
	s_addc_u32 s5, s22, 0
	s_mul_i32 s1, s11, s1
	s_add_u32 s1, s4, s1
	s_addc_u32 s4, 0, s5
	s_add_u32 s5, s1, 1
	s_addc_u32 s21, s4, 0
	s_add_u32 s22, s1, 2
	s_mul_i32 s24, s4, 0xb00
	s_mul_hi_u32 s25, s1, 0xb00
	s_addc_u32 s23, s4, 0
	s_add_i32 s25, s25, s24
	s_mul_i32 s24, s1, 0xb00
	v_mov_b32_e32 v1, s24
	v_sub_co_u32_e32 v1, vcc, s10, v1
	s_cmp_lg_u64 vcc, 0
	s_subb_u32 s24, s11, s25
	v_subrev_co_u32_e32 v2, vcc, s0, v1
	s_cmp_lg_u64 vcc, 0
	s_subb_u32 s0, s24, 0
	v_readfirstlane_b32 s25, v2
	s_cmpk_gt_u32 s25, 0xaff
	s_cselect_b32 s25, -1, 0
	s_cmp_eq_u32 s0, 0
	s_cselect_b32 s0, s25, -1
	s_cmp_lg_u32 s0, 0
	s_cselect_b32 s0, s22, s5
	s_cselect_b32 s5, s23, s21
	v_readfirstlane_b32 s21, v1
	s_cmpk_gt_u32 s21, 0xaff
	s_cselect_b32 s21, -1, 0
	s_cmp_eq_u32 s24, 0
	s_cselect_b32 s21, s21, -1
	s_cmp_lg_u32 s21, 0
	s_cselect_b32 s5, s5, s4
	s_cselect_b32 s4, s0, s1
	s_mul_i32 s0, s5, 0xb00
	s_mul_hi_u32 s1, s4, 0xb00
	s_add_i32 s1, s1, s0
	s_mul_i32 s0, s4, 0xb00
	s_sub_u32 s0, s10, s0
	s_subb_u32 s1, s11, s1
	s_cmp_lg_u64 s[0:1], 0
	s_cselect_b64 s[0:1], -1, 0
	v_cndmask_b32_e64 v1, 0, 1, s[0:1]
	s_mov_b32 s3, 0
	v_readfirstlane_b32 s0, v1
	s_add_u32 s4, s4, s0
	s_addc_u32 s5, s5, 0
	s_add_u32 s24, s18, s2
	s_addc_u32 s25, s19, 0
	s_add_u32 s26, s4, -1
	s_addc_u32 s27, s5, -1
	v_mov_b64_e32 v[2:3], s[26:27]
	v_cmp_ge_u64_e64 s[0:1], s[24:25], v[2:3]
	s_mov_b64 s[22:23], -1
	s_and_b64 vcc, exec, s[0:1]
	s_mul_i32 s11, s26, 0xfffff500
	s_cbranch_vccz .LBB78_24
; %bb.1:
	s_mov_b32 s21, s3
	s_add_i32 s33, s11, s10
	s_lshl_b64 s[22:23], s[20:21], 3
	s_add_u32 s22, s30, s22
	s_addc_u32 s23, s31, s23
	v_cmp_gt_u32_e32 vcc, s33, v0
                                        ; implicit-def: $vgpr2_vgpr3_vgpr4_vgpr5_vgpr6_vgpr7_vgpr8_vgpr9_vgpr10_vgpr11_vgpr12_vgpr13_vgpr14_vgpr15_vgpr16_vgpr17_vgpr18_vgpr19_vgpr20_vgpr21_vgpr22_vgpr23_vgpr24_vgpr25_vgpr26_vgpr27_vgpr28_vgpr29_vgpr30_vgpr31_vgpr32_vgpr33
	s_and_saveexec_b64 s[28:29], vcc
	s_cbranch_execz .LBB78_3
; %bb.2:
	v_lshlrev_b32_e32 v1, 3, v0
	global_load_dwordx2 v[2:3], v1, s[22:23]
.LBB78_3:
	s_or_b64 exec, exec, s[28:29]
	v_or_b32_e32 v1, 0x100, v0
	v_cmp_gt_u32_e32 vcc, s33, v1
	s_and_saveexec_b64 s[28:29], vcc
	s_cbranch_execz .LBB78_5
; %bb.4:
	v_lshlrev_b32_e32 v1, 3, v0
	global_load_dwordx2 v[4:5], v1, s[22:23] offset:2048
.LBB78_5:
	s_or_b64 exec, exec, s[28:29]
	v_or_b32_e32 v1, 0x200, v0
	v_cmp_gt_u32_e32 vcc, s33, v1
	s_and_saveexec_b64 s[28:29], vcc
	s_cbranch_execz .LBB78_7
; %bb.6:
	v_lshlrev_b32_e32 v1, 3, v1
	global_load_dwordx2 v[6:7], v1, s[22:23]
.LBB78_7:
	s_or_b64 exec, exec, s[28:29]
	v_or_b32_e32 v1, 0x300, v0
	v_cmp_gt_u32_e32 vcc, s33, v1
	s_and_saveexec_b64 s[28:29], vcc
	s_cbranch_execz .LBB78_9
; %bb.8:
	v_lshlrev_b32_e32 v1, 3, v1
	global_load_dwordx2 v[8:9], v1, s[22:23]
.LBB78_9:
	;; [unrolled: 9-line block ×9, first 2 shown]
	s_or_b64 exec, exec, s[28:29]
	v_lshlrev_b32_e32 v1, 3, v0
	s_mov_b64 s[22:23], 0
	s_waitcnt vmcnt(0)
	ds_write2st64_b64 v1, v[2:3], v[4:5] offset1:4
	ds_write2st64_b64 v1, v[6:7], v[8:9] offset0:8 offset1:12
	ds_write2st64_b64 v1, v[10:11], v[12:13] offset0:16 offset1:20
	;; [unrolled: 1-line block ×4, first 2 shown]
	ds_write_b64 v1, v[22:23] offset:20480
	s_waitcnt lgkmcnt(0)
	s_barrier
.LBB78_24:
	s_and_b64 vcc, exec, s[22:23]
	v_lshlrev_b32_e32 v40, 3, v0
	s_cbranch_vccz .LBB78_26
; %bb.25:
	s_mov_b32 s21, 0
	s_lshl_b64 s[22:23], s[20:21], 3
	s_add_u32 s22, s30, s22
	s_addc_u32 s23, s31, s23
	v_mov_b32_e32 v41, 0
	v_lshl_add_u64 v[2:3], s[22:23], 0, v[40:41]
	v_add_co_u32_e32 v8, vcc, 0x1000, v2
	global_load_dwordx2 v[4:5], v40, s[22:23]
	global_load_dwordx2 v[6:7], v40, s[22:23] offset:2048
	v_addc_co_u32_e32 v9, vcc, 0, v3, vcc
	v_add_co_u32_e32 v10, vcc, 0x2000, v2
	s_nop 1
	v_addc_co_u32_e32 v11, vcc, 0, v3, vcc
	global_load_dwordx2 v[12:13], v[8:9], off
	global_load_dwordx2 v[14:15], v[8:9], off offset:2048
	global_load_dwordx2 v[16:17], v[10:11], off
	global_load_dwordx2 v[18:19], v[10:11], off offset:2048
	v_add_co_u32_e32 v8, vcc, 0x3000, v2
	s_nop 1
	v_addc_co_u32_e32 v9, vcc, 0, v3, vcc
	v_add_co_u32_e32 v10, vcc, 0x4000, v2
	s_nop 1
	v_addc_co_u32_e32 v11, vcc, 0, v3, vcc
	global_load_dwordx2 v[20:21], v[8:9], off
	global_load_dwordx2 v[22:23], v[8:9], off offset:2048
	global_load_dwordx2 v[24:25], v[10:11], off
	global_load_dwordx2 v[26:27], v[10:11], off offset:2048
	v_add_co_u32_e32 v2, vcc, 0x5000, v2
	s_nop 1
	v_addc_co_u32_e32 v3, vcc, 0, v3, vcc
	global_load_dwordx2 v[2:3], v[2:3], off
	s_waitcnt vmcnt(9)
	ds_write2st64_b64 v40, v[4:5], v[6:7] offset1:4
	s_waitcnt vmcnt(7)
	ds_write2st64_b64 v40, v[12:13], v[14:15] offset0:8 offset1:12
	s_waitcnt vmcnt(5)
	ds_write2st64_b64 v40, v[16:17], v[18:19] offset0:16 offset1:20
	;; [unrolled: 2-line block ×4, first 2 shown]
	s_waitcnt vmcnt(0)
	ds_write_b64 v40, v[2:3] offset:20480
	s_waitcnt lgkmcnt(0)
	s_barrier
.LBB78_26:
	v_mul_u32_u24_e32 v1, 11, v0
	v_lshlrev_b32_e32 v1, 3, v1
	ds_read2_b64 v[2:5], v1 offset1:1
	ds_read2_b64 v[6:9], v1 offset0:2 offset1:3
	ds_read2_b64 v[10:13], v1 offset0:4 offset1:5
	;; [unrolled: 1-line block ×4, first 2 shown]
	ds_read_b64 v[36:37], v1 offset:80
	s_cmp_eq_u64 s[24:25], 0
	s_mov_b64 s[22:23], 0
	s_waitcnt lgkmcnt(0)
	s_barrier
	s_cbranch_scc1 .LBB78_35
; %bb.27:
	s_lshl_b64 s[18:19], s[18:19], 3
	s_add_u32 s16, s16, s18
	s_addc_u32 s17, s17, s19
	s_lshl_b64 s[2:3], s[2:3], 3
	s_add_u32 s2, s16, s2
	s_addc_u32 s3, s17, s3
	s_add_u32 s2, s2, -8
	s_addc_u32 s3, s3, -1
	s_load_dwordx2 s[16:17], s[2:3], 0x0
	s_cmp_lg_u64 s[24:25], s[26:27]
	s_cbranch_scc0 .LBB78_36
; %bb.28:
	v_mul_lo_u32 v1, v21, s12
	v_mul_lo_u32 v24, v20, s13
	v_mad_u64_u32 v[22:23], s[22:23], v20, s12, 0
	v_mov_b64_e32 v[38:39], 0
	v_cmp_lt_i64_e64 s[2:3], s[12:13], 1
	v_add3_u32 v23, v23, v24, v1
	v_cmp_gt_i64_e64 s[18:19], s[12:13], 0
	s_and_b64 vcc, exec, s[2:3]
	v_lshl_add_u64 v[22:23], s[14:15], 0, v[22:23]
	v_mov_b64_e32 v[42:43], v[38:39]
	ds_write_b64 v40, v[36:37]
	s_cbranch_vccnz .LBB78_40
; %bb.29:
	v_mov_b64_e32 v[24:25], s[14:15]
	v_mad_u64_u32 v[24:25], s[2:3], v36, s12, v[24:25]
	v_mul_lo_u32 v1, v36, s13
	v_mul_lo_u32 v26, v37, s12
	v_add3_u32 v25, v26, v25, v1
	global_load_ubyte v1, v[24:25], off
	global_load_ubyte v26, v[22:23], off
	v_mov_b64_e32 v[42:43], 1
	s_waitcnt vmcnt(0)
	v_cmp_eq_u16_e32 vcc, v1, v26
	s_and_saveexec_b64 s[2:3], vcc
	s_cbranch_execz .LBB78_39
; %bb.30:
	s_mov_b64 s[28:29], 1
	s_mov_b64 s[22:23], 0
                                        ; implicit-def: $sgpr26_sgpr27
	s_branch .LBB78_33
.LBB78_31:                              ;   in Loop: Header=BB78_33 Depth=1
	v_lshl_add_u64 v[26:27], v[24:25], 0, s[28:29]
	v_lshl_add_u64 v[28:29], v[22:23], 0, s[28:29]
	global_load_ubyte v1, v[26:27], off
	global_load_ubyte v30, v[28:29], off
	s_add_u32 s30, s28, 1
	s_addc_u32 s31, s29, 0
	s_andn2_b64 s[26:27], s[26:27], exec
	s_waitcnt vmcnt(0)
	v_cmp_ne_u16_e32 vcc, v1, v30
	s_and_b64 s[34:35], vcc, exec
	s_or_b64 s[26:27], s[26:27], s[34:35]
.LBB78_32:                              ;   in Loop: Header=BB78_33 Depth=1
	s_and_b64 s[34:35], exec, s[26:27]
	s_or_b64 s[22:23], s[34:35], s[22:23]
	v_mov_b64_e32 v[26:27], s[28:29]
	s_mov_b64 s[28:29], s[30:31]
	s_andn2_b64 exec, exec, s[22:23]
	s_cbranch_execz .LBB78_38
.LBB78_33:                              ; =>This Inner Loop Header: Depth=1
	s_or_b64 s[26:27], s[26:27], exec
	s_cmp_eq_u64 s[12:13], s[28:29]
	s_cbranch_scc0 .LBB78_31
; %bb.34:                               ;   in Loop: Header=BB78_33 Depth=1
                                        ; implicit-def: $sgpr30_sgpr31
	s_mov_b64 s[28:29], s[12:13]
	s_branch .LBB78_32
.LBB78_35:
                                        ; implicit-def: $vgpr22_vgpr23_vgpr24_vgpr25
                                        ; implicit-def: $sgpr18_sgpr19
                                        ; implicit-def: $vgpr42_vgpr43
                                        ; implicit-def: $vgpr44_vgpr45
                                        ; implicit-def: $vgpr38_vgpr39
                                        ; implicit-def: $vgpr58_vgpr59
                                        ; implicit-def: $vgpr56_vgpr57
                                        ; implicit-def: $vgpr54_vgpr55
                                        ; implicit-def: $vgpr52_vgpr53
                                        ; implicit-def: $vgpr50_vgpr51
                                        ; implicit-def: $vgpr48_vgpr49
                                        ; implicit-def: $vgpr46_vgpr47
                                        ; implicit-def: $vgpr60_vgpr61
                                        ; implicit-def: $vgpr68_vgpr69
                                        ; implicit-def: $vgpr62_vgpr63
                                        ; implicit-def: $vgpr64_vgpr65
                                        ; implicit-def: $vgpr66_vgpr67
                                        ; implicit-def: $vgpr24_vgpr25_vgpr26_vgpr27
                                        ; implicit-def: $vgpr28_vgpr29_vgpr30_vgpr31
                                        ; implicit-def: $vgpr32_vgpr33_vgpr34_vgpr35
	s_cbranch_execnz .LBB78_259
	s_branch .LBB78_488
.LBB78_36:
                                        ; implicit-def: $sgpr18_sgpr19
                                        ; implicit-def: $vgpr42_vgpr43
                                        ; implicit-def: $vgpr44_vgpr45
                                        ; implicit-def: $vgpr38_vgpr39
                                        ; implicit-def: $vgpr58_vgpr59
                                        ; implicit-def: $vgpr56_vgpr57
                                        ; implicit-def: $vgpr54_vgpr55
                                        ; implicit-def: $vgpr52_vgpr53
                                        ; implicit-def: $vgpr50_vgpr51
                                        ; implicit-def: $vgpr48_vgpr49
                                        ; implicit-def: $vgpr46_vgpr47
	s_cbranch_execnz .LBB78_134
.LBB78_37:
                                        ; implicit-def: $vgpr22_vgpr23_vgpr24_vgpr25
                                        ; implicit-def: $vgpr60_vgpr61
                                        ; implicit-def: $vgpr68_vgpr69
                                        ; implicit-def: $vgpr62_vgpr63
                                        ; implicit-def: $vgpr64_vgpr65
                                        ; implicit-def: $vgpr66_vgpr67
                                        ; implicit-def: $vgpr28_vgpr29_vgpr30_vgpr31
                                        ; implicit-def: $vgpr32_vgpr33_vgpr34_vgpr35
                                        ; implicit-def: $vgpr24_vgpr25_vgpr26_vgpr27
	s_branch .LBB78_488
.LBB78_38:
	s_or_b64 exec, exec, s[22:23]
	v_cmp_gt_i64_e32 vcc, s[12:13], v[26:27]
	s_mov_b32 s21, 0
	v_mov_b32_e32 v43, s21
	v_cndmask_b32_e64 v42, 0, 1, vcc
.LBB78_39:
	s_or_b64 exec, exec, s[2:3]
.LBB78_40:
	v_mul_lo_u32 v1, v19, s12
	v_mul_lo_u32 v26, v18, s13
	v_mad_u64_u32 v[24:25], s[2:3], v18, s12, 0
	v_add3_u32 v25, v25, v26, v1
	v_cndmask_b32_e64 v1, 0, 1, s[18:19]
	v_cmp_ne_u32_e64 s[2:3], 1, v1
	s_andn2_b64 vcc, exec, s[18:19]
	v_lshl_add_u64 v[24:25], s[14:15], 0, v[24:25]
	v_mov_b64_e32 v[44:45], v[38:39]
	s_cbranch_vccnz .LBB78_49
; %bb.41:
	global_load_ubyte v1, v[22:23], off
	global_load_ubyte v26, v[24:25], off
	v_mov_b64_e32 v[44:45], 1
	s_waitcnt vmcnt(0)
	v_cmp_eq_u16_e32 vcc, v1, v26
	s_and_saveexec_b64 s[18:19], vcc
	s_cbranch_execz .LBB78_48
; %bb.42:
	s_mov_b64 s[28:29], 1
	s_mov_b64 s[22:23], 0
                                        ; implicit-def: $sgpr26_sgpr27
	s_branch .LBB78_45
.LBB78_43:                              ;   in Loop: Header=BB78_45 Depth=1
	v_lshl_add_u64 v[26:27], v[22:23], 0, s[28:29]
	v_lshl_add_u64 v[28:29], v[24:25], 0, s[28:29]
	global_load_ubyte v1, v[26:27], off
	global_load_ubyte v30, v[28:29], off
	s_add_u32 s30, s28, 1
	s_addc_u32 s31, s29, 0
	s_andn2_b64 s[26:27], s[26:27], exec
	s_waitcnt vmcnt(0)
	v_cmp_ne_u16_e32 vcc, v1, v30
	s_and_b64 s[34:35], vcc, exec
	s_or_b64 s[26:27], s[26:27], s[34:35]
.LBB78_44:                              ;   in Loop: Header=BB78_45 Depth=1
	s_and_b64 s[34:35], exec, s[26:27]
	s_or_b64 s[22:23], s[34:35], s[22:23]
	v_mov_b64_e32 v[26:27], s[28:29]
	s_mov_b64 s[28:29], s[30:31]
	s_andn2_b64 exec, exec, s[22:23]
	s_cbranch_execz .LBB78_47
.LBB78_45:                              ; =>This Inner Loop Header: Depth=1
	s_or_b64 s[26:27], s[26:27], exec
	s_cmp_eq_u64 s[12:13], s[28:29]
	s_cbranch_scc0 .LBB78_43
; %bb.46:                               ;   in Loop: Header=BB78_45 Depth=1
                                        ; implicit-def: $sgpr30_sgpr31
	s_mov_b64 s[28:29], s[12:13]
	s_branch .LBB78_44
.LBB78_47:
	s_or_b64 exec, exec, s[22:23]
	v_cmp_gt_i64_e32 vcc, s[12:13], v[26:27]
	s_mov_b32 s21, 0
	v_mov_b32_e32 v45, s21
	v_cndmask_b32_e64 v44, 0, 1, vcc
.LBB78_48:
	s_or_b64 exec, exec, s[18:19]
.LBB78_49:
	v_mul_lo_u32 v1, v17, s12
	v_mul_lo_u32 v26, v16, s13
	v_mad_u64_u32 v[22:23], s[18:19], v16, s12, 0
	v_add3_u32 v23, v23, v26, v1
	s_and_b64 vcc, exec, s[2:3]
	v_lshl_add_u64 v[22:23], s[14:15], 0, v[22:23]
	s_cbranch_vccnz .LBB78_58
; %bb.50:
	global_load_ubyte v1, v[24:25], off
	global_load_ubyte v26, v[22:23], off
	v_mov_b64_e32 v[38:39], 1
	s_waitcnt vmcnt(0)
	v_cmp_eq_u16_e32 vcc, v1, v26
	s_and_saveexec_b64 s[18:19], vcc
	s_cbranch_execz .LBB78_57
; %bb.51:
	s_mov_b64 s[28:29], 1
	s_mov_b64 s[22:23], 0
                                        ; implicit-def: $sgpr26_sgpr27
	s_branch .LBB78_54
.LBB78_52:                              ;   in Loop: Header=BB78_54 Depth=1
	v_lshl_add_u64 v[26:27], v[24:25], 0, s[28:29]
	v_lshl_add_u64 v[28:29], v[22:23], 0, s[28:29]
	global_load_ubyte v1, v[26:27], off
	global_load_ubyte v30, v[28:29], off
	s_add_u32 s30, s28, 1
	s_addc_u32 s31, s29, 0
	s_andn2_b64 s[26:27], s[26:27], exec
	s_waitcnt vmcnt(0)
	v_cmp_ne_u16_e32 vcc, v1, v30
	s_and_b64 s[34:35], vcc, exec
	s_or_b64 s[26:27], s[26:27], s[34:35]
.LBB78_53:                              ;   in Loop: Header=BB78_54 Depth=1
	s_and_b64 s[34:35], exec, s[26:27]
	s_or_b64 s[22:23], s[34:35], s[22:23]
	v_mov_b64_e32 v[26:27], s[28:29]
	s_mov_b64 s[28:29], s[30:31]
	s_andn2_b64 exec, exec, s[22:23]
	s_cbranch_execz .LBB78_56
.LBB78_54:                              ; =>This Inner Loop Header: Depth=1
	s_or_b64 s[26:27], s[26:27], exec
	s_cmp_eq_u64 s[12:13], s[28:29]
	s_cbranch_scc0 .LBB78_52
; %bb.55:                               ;   in Loop: Header=BB78_54 Depth=1
                                        ; implicit-def: $sgpr30_sgpr31
	s_mov_b64 s[28:29], s[12:13]
	s_branch .LBB78_53
.LBB78_56:
	s_or_b64 exec, exec, s[22:23]
	v_cmp_gt_i64_e32 vcc, s[12:13], v[26:27]
	s_mov_b32 s21, 0
	v_mov_b32_e32 v39, s21
	v_cndmask_b32_e64 v38, 0, 1, vcc
.LBB78_57:
	s_or_b64 exec, exec, s[18:19]
.LBB78_58:
	v_mul_lo_u32 v1, v15, s12
	v_mul_lo_u32 v26, v14, s13
	v_mad_u64_u32 v[24:25], s[18:19], v14, s12, 0
	v_add3_u32 v25, v25, v26, v1
	v_mov_b64_e32 v[48:49], 0
	s_and_b64 vcc, exec, s[2:3]
	v_lshl_add_u64 v[24:25], s[14:15], 0, v[24:25]
	v_mov_b64_e32 v[46:47], v[48:49]
	s_cbranch_vccnz .LBB78_67
; %bb.59:
	global_load_ubyte v1, v[22:23], off
	global_load_ubyte v26, v[24:25], off
	v_mov_b64_e32 v[46:47], 1
	s_waitcnt vmcnt(0)
	v_cmp_eq_u16_e32 vcc, v1, v26
	s_and_saveexec_b64 s[18:19], vcc
	s_cbranch_execz .LBB78_66
; %bb.60:
	s_mov_b64 s[28:29], 1
	s_mov_b64 s[22:23], 0
                                        ; implicit-def: $sgpr26_sgpr27
	s_branch .LBB78_63
.LBB78_61:                              ;   in Loop: Header=BB78_63 Depth=1
	v_lshl_add_u64 v[26:27], v[22:23], 0, s[28:29]
	v_lshl_add_u64 v[28:29], v[24:25], 0, s[28:29]
	global_load_ubyte v1, v[26:27], off
	global_load_ubyte v30, v[28:29], off
	s_add_u32 s30, s28, 1
	s_addc_u32 s31, s29, 0
	s_andn2_b64 s[26:27], s[26:27], exec
	s_waitcnt vmcnt(0)
	v_cmp_ne_u16_e32 vcc, v1, v30
	s_and_b64 s[34:35], vcc, exec
	s_or_b64 s[26:27], s[26:27], s[34:35]
.LBB78_62:                              ;   in Loop: Header=BB78_63 Depth=1
	s_and_b64 s[34:35], exec, s[26:27]
	s_or_b64 s[22:23], s[34:35], s[22:23]
	v_mov_b64_e32 v[26:27], s[28:29]
	s_mov_b64 s[28:29], s[30:31]
	s_andn2_b64 exec, exec, s[22:23]
	s_cbranch_execz .LBB78_65
.LBB78_63:                              ; =>This Inner Loop Header: Depth=1
	s_or_b64 s[26:27], s[26:27], exec
	s_cmp_eq_u64 s[12:13], s[28:29]
	s_cbranch_scc0 .LBB78_61
; %bb.64:                               ;   in Loop: Header=BB78_63 Depth=1
                                        ; implicit-def: $sgpr30_sgpr31
	s_mov_b64 s[28:29], s[12:13]
	s_branch .LBB78_62
.LBB78_65:
	s_or_b64 exec, exec, s[22:23]
	v_cmp_gt_i64_e32 vcc, s[12:13], v[26:27]
	s_mov_b32 s21, 0
	v_mov_b32_e32 v47, s21
	v_cndmask_b32_e64 v46, 0, 1, vcc
.LBB78_66:
	s_or_b64 exec, exec, s[18:19]
.LBB78_67:
	v_mul_lo_u32 v1, v13, s12
	v_mul_lo_u32 v26, v12, s13
	v_mad_u64_u32 v[22:23], s[18:19], v12, s12, 0
	v_add3_u32 v23, v23, v26, v1
	s_and_b64 vcc, exec, s[2:3]
	v_lshl_add_u64 v[22:23], s[14:15], 0, v[22:23]
	s_cbranch_vccnz .LBB78_76
; %bb.68:
	global_load_ubyte v1, v[24:25], off
	global_load_ubyte v26, v[22:23], off
	v_mov_b64_e32 v[48:49], 1
	s_waitcnt vmcnt(0)
	v_cmp_eq_u16_e32 vcc, v1, v26
	s_and_saveexec_b64 s[18:19], vcc
	s_cbranch_execz .LBB78_75
; %bb.69:
	s_mov_b64 s[28:29], 1
	s_mov_b64 s[22:23], 0
                                        ; implicit-def: $sgpr26_sgpr27
	s_branch .LBB78_72
.LBB78_70:                              ;   in Loop: Header=BB78_72 Depth=1
	v_lshl_add_u64 v[26:27], v[24:25], 0, s[28:29]
	v_lshl_add_u64 v[28:29], v[22:23], 0, s[28:29]
	global_load_ubyte v1, v[26:27], off
	global_load_ubyte v30, v[28:29], off
	s_add_u32 s30, s28, 1
	s_addc_u32 s31, s29, 0
	s_andn2_b64 s[26:27], s[26:27], exec
	s_waitcnt vmcnt(0)
	v_cmp_ne_u16_e32 vcc, v1, v30
	s_and_b64 s[34:35], vcc, exec
	s_or_b64 s[26:27], s[26:27], s[34:35]
.LBB78_71:                              ;   in Loop: Header=BB78_72 Depth=1
	s_and_b64 s[34:35], exec, s[26:27]
	s_or_b64 s[22:23], s[34:35], s[22:23]
	v_mov_b64_e32 v[26:27], s[28:29]
	s_mov_b64 s[28:29], s[30:31]
	s_andn2_b64 exec, exec, s[22:23]
	s_cbranch_execz .LBB78_74
.LBB78_72:                              ; =>This Inner Loop Header: Depth=1
	s_or_b64 s[26:27], s[26:27], exec
	s_cmp_eq_u64 s[12:13], s[28:29]
	s_cbranch_scc0 .LBB78_70
; %bb.73:                               ;   in Loop: Header=BB78_72 Depth=1
                                        ; implicit-def: $sgpr30_sgpr31
	s_mov_b64 s[28:29], s[12:13]
	s_branch .LBB78_71
.LBB78_74:
	s_or_b64 exec, exec, s[22:23]
	v_cmp_gt_i64_e32 vcc, s[12:13], v[26:27]
	s_mov_b32 s21, 0
	v_mov_b32_e32 v49, s21
	v_cndmask_b32_e64 v48, 0, 1, vcc
.LBB78_75:
	s_or_b64 exec, exec, s[18:19]
.LBB78_76:
	v_mul_lo_u32 v1, v11, s12
	v_mul_lo_u32 v26, v10, s13
	v_mad_u64_u32 v[24:25], s[18:19], v10, s12, 0
	v_add3_u32 v25, v25, v26, v1
	v_mov_b64_e32 v[52:53], 0
	s_and_b64 vcc, exec, s[2:3]
	v_lshl_add_u64 v[24:25], s[14:15], 0, v[24:25]
	v_mov_b64_e32 v[50:51], v[52:53]
	s_cbranch_vccnz .LBB78_85
; %bb.77:
	global_load_ubyte v1, v[22:23], off
	global_load_ubyte v26, v[24:25], off
	v_mov_b64_e32 v[50:51], 1
	s_waitcnt vmcnt(0)
	v_cmp_eq_u16_e32 vcc, v1, v26
	s_and_saveexec_b64 s[18:19], vcc
	s_cbranch_execz .LBB78_84
; %bb.78:
	s_mov_b64 s[28:29], 1
	s_mov_b64 s[22:23], 0
                                        ; implicit-def: $sgpr26_sgpr27
	s_branch .LBB78_81
.LBB78_79:                              ;   in Loop: Header=BB78_81 Depth=1
	v_lshl_add_u64 v[26:27], v[22:23], 0, s[28:29]
	v_lshl_add_u64 v[28:29], v[24:25], 0, s[28:29]
	global_load_ubyte v1, v[26:27], off
	global_load_ubyte v30, v[28:29], off
	s_add_u32 s30, s28, 1
	s_addc_u32 s31, s29, 0
	s_andn2_b64 s[26:27], s[26:27], exec
	s_waitcnt vmcnt(0)
	v_cmp_ne_u16_e32 vcc, v1, v30
	s_and_b64 s[34:35], vcc, exec
	s_or_b64 s[26:27], s[26:27], s[34:35]
.LBB78_80:                              ;   in Loop: Header=BB78_81 Depth=1
	s_and_b64 s[34:35], exec, s[26:27]
	s_or_b64 s[22:23], s[34:35], s[22:23]
	v_mov_b64_e32 v[26:27], s[28:29]
	s_mov_b64 s[28:29], s[30:31]
	s_andn2_b64 exec, exec, s[22:23]
	s_cbranch_execz .LBB78_83
.LBB78_81:                              ; =>This Inner Loop Header: Depth=1
	s_or_b64 s[26:27], s[26:27], exec
	s_cmp_eq_u64 s[12:13], s[28:29]
	s_cbranch_scc0 .LBB78_79
; %bb.82:                               ;   in Loop: Header=BB78_81 Depth=1
                                        ; implicit-def: $sgpr30_sgpr31
	s_mov_b64 s[28:29], s[12:13]
	s_branch .LBB78_80
.LBB78_83:
	s_or_b64 exec, exec, s[22:23]
	v_cmp_gt_i64_e32 vcc, s[12:13], v[26:27]
	s_mov_b32 s21, 0
	v_mov_b32_e32 v51, s21
	v_cndmask_b32_e64 v50, 0, 1, vcc
.LBB78_84:
	s_or_b64 exec, exec, s[18:19]
.LBB78_85:
	v_mul_lo_u32 v1, v9, s12
	v_mul_lo_u32 v26, v8, s13
	v_mad_u64_u32 v[22:23], s[18:19], v8, s12, 0
	v_add3_u32 v23, v23, v26, v1
	s_and_b64 vcc, exec, s[2:3]
	v_lshl_add_u64 v[22:23], s[14:15], 0, v[22:23]
	s_cbranch_vccnz .LBB78_94
; %bb.86:
	global_load_ubyte v1, v[24:25], off
	global_load_ubyte v26, v[22:23], off
	v_mov_b64_e32 v[52:53], 1
	s_waitcnt vmcnt(0)
	v_cmp_eq_u16_e32 vcc, v1, v26
	s_and_saveexec_b64 s[18:19], vcc
	s_cbranch_execz .LBB78_93
; %bb.87:
	s_mov_b64 s[28:29], 1
	s_mov_b64 s[22:23], 0
                                        ; implicit-def: $sgpr26_sgpr27
	s_branch .LBB78_90
.LBB78_88:                              ;   in Loop: Header=BB78_90 Depth=1
	v_lshl_add_u64 v[26:27], v[24:25], 0, s[28:29]
	v_lshl_add_u64 v[28:29], v[22:23], 0, s[28:29]
	global_load_ubyte v1, v[26:27], off
	global_load_ubyte v30, v[28:29], off
	s_add_u32 s30, s28, 1
	s_addc_u32 s31, s29, 0
	s_andn2_b64 s[26:27], s[26:27], exec
	s_waitcnt vmcnt(0)
	v_cmp_ne_u16_e32 vcc, v1, v30
	s_and_b64 s[34:35], vcc, exec
	s_or_b64 s[26:27], s[26:27], s[34:35]
.LBB78_89:                              ;   in Loop: Header=BB78_90 Depth=1
	s_and_b64 s[34:35], exec, s[26:27]
	s_or_b64 s[22:23], s[34:35], s[22:23]
	v_mov_b64_e32 v[26:27], s[28:29]
	s_mov_b64 s[28:29], s[30:31]
	s_andn2_b64 exec, exec, s[22:23]
	s_cbranch_execz .LBB78_92
.LBB78_90:                              ; =>This Inner Loop Header: Depth=1
	s_or_b64 s[26:27], s[26:27], exec
	s_cmp_eq_u64 s[12:13], s[28:29]
	s_cbranch_scc0 .LBB78_88
; %bb.91:                               ;   in Loop: Header=BB78_90 Depth=1
                                        ; implicit-def: $sgpr30_sgpr31
	s_mov_b64 s[28:29], s[12:13]
	s_branch .LBB78_89
.LBB78_92:
	s_or_b64 exec, exec, s[22:23]
	v_cmp_gt_i64_e32 vcc, s[12:13], v[26:27]
	s_mov_b32 s21, 0
	v_mov_b32_e32 v53, s21
	v_cndmask_b32_e64 v52, 0, 1, vcc
.LBB78_93:
	s_or_b64 exec, exec, s[18:19]
.LBB78_94:
	v_mul_lo_u32 v1, v7, s12
	v_mul_lo_u32 v26, v6, s13
	v_mad_u64_u32 v[24:25], s[18:19], v6, s12, 0
	v_add3_u32 v25, v25, v26, v1
	v_mov_b64_e32 v[56:57], 0
	s_and_b64 vcc, exec, s[2:3]
	v_lshl_add_u64 v[24:25], s[14:15], 0, v[24:25]
	v_mov_b64_e32 v[54:55], v[56:57]
	s_cbranch_vccnz .LBB78_103
; %bb.95:
	global_load_ubyte v1, v[22:23], off
	global_load_ubyte v26, v[24:25], off
	v_mov_b64_e32 v[54:55], 1
	s_waitcnt vmcnt(0)
	v_cmp_eq_u16_e32 vcc, v1, v26
	s_and_saveexec_b64 s[18:19], vcc
	s_cbranch_execz .LBB78_102
; %bb.96:
	s_mov_b64 s[28:29], 1
	s_mov_b64 s[22:23], 0
                                        ; implicit-def: $sgpr26_sgpr27
	s_branch .LBB78_99
.LBB78_97:                              ;   in Loop: Header=BB78_99 Depth=1
	v_lshl_add_u64 v[26:27], v[22:23], 0, s[28:29]
	v_lshl_add_u64 v[28:29], v[24:25], 0, s[28:29]
	global_load_ubyte v1, v[26:27], off
	global_load_ubyte v30, v[28:29], off
	s_add_u32 s30, s28, 1
	s_addc_u32 s31, s29, 0
	s_andn2_b64 s[26:27], s[26:27], exec
	s_waitcnt vmcnt(0)
	v_cmp_ne_u16_e32 vcc, v1, v30
	s_and_b64 s[34:35], vcc, exec
	s_or_b64 s[26:27], s[26:27], s[34:35]
.LBB78_98:                              ;   in Loop: Header=BB78_99 Depth=1
	s_and_b64 s[34:35], exec, s[26:27]
	s_or_b64 s[22:23], s[34:35], s[22:23]
	v_mov_b64_e32 v[26:27], s[28:29]
	s_mov_b64 s[28:29], s[30:31]
	s_andn2_b64 exec, exec, s[22:23]
	s_cbranch_execz .LBB78_101
.LBB78_99:                              ; =>This Inner Loop Header: Depth=1
	s_or_b64 s[26:27], s[26:27], exec
	s_cmp_eq_u64 s[12:13], s[28:29]
	s_cbranch_scc0 .LBB78_97
; %bb.100:                              ;   in Loop: Header=BB78_99 Depth=1
                                        ; implicit-def: $sgpr30_sgpr31
	s_mov_b64 s[28:29], s[12:13]
	s_branch .LBB78_98
.LBB78_101:
	s_or_b64 exec, exec, s[22:23]
	v_cmp_gt_i64_e32 vcc, s[12:13], v[26:27]
	s_mov_b32 s21, 0
	v_mov_b32_e32 v55, s21
	v_cndmask_b32_e64 v54, 0, 1, vcc
.LBB78_102:
	s_or_b64 exec, exec, s[18:19]
.LBB78_103:
	v_mul_lo_u32 v1, v5, s12
	v_mul_lo_u32 v26, v4, s13
	v_mad_u64_u32 v[22:23], s[18:19], v4, s12, 0
	v_add3_u32 v23, v23, v26, v1
	s_and_b64 vcc, exec, s[2:3]
	v_lshl_add_u64 v[22:23], s[14:15], 0, v[22:23]
	s_cbranch_vccnz .LBB78_112
; %bb.104:
	global_load_ubyte v1, v[24:25], off
	global_load_ubyte v26, v[22:23], off
	v_mov_b64_e32 v[56:57], 1
	s_waitcnt vmcnt(0)
	v_cmp_eq_u16_e32 vcc, v1, v26
	s_and_saveexec_b64 s[18:19], vcc
	s_cbranch_execz .LBB78_111
; %bb.105:
	s_mov_b64 s[28:29], 1
	s_mov_b64 s[22:23], 0
                                        ; implicit-def: $sgpr26_sgpr27
	s_branch .LBB78_108
.LBB78_106:                             ;   in Loop: Header=BB78_108 Depth=1
	v_lshl_add_u64 v[26:27], v[24:25], 0, s[28:29]
	v_lshl_add_u64 v[28:29], v[22:23], 0, s[28:29]
	global_load_ubyte v1, v[26:27], off
	global_load_ubyte v30, v[28:29], off
	s_add_u32 s30, s28, 1
	s_addc_u32 s31, s29, 0
	s_andn2_b64 s[26:27], s[26:27], exec
	s_waitcnt vmcnt(0)
	v_cmp_ne_u16_e32 vcc, v1, v30
	s_and_b64 s[34:35], vcc, exec
	s_or_b64 s[26:27], s[26:27], s[34:35]
.LBB78_107:                             ;   in Loop: Header=BB78_108 Depth=1
	s_and_b64 s[34:35], exec, s[26:27]
	s_or_b64 s[22:23], s[34:35], s[22:23]
	v_mov_b64_e32 v[26:27], s[28:29]
	s_mov_b64 s[28:29], s[30:31]
	s_andn2_b64 exec, exec, s[22:23]
	s_cbranch_execz .LBB78_110
.LBB78_108:                             ; =>This Inner Loop Header: Depth=1
	s_or_b64 s[26:27], s[26:27], exec
	s_cmp_eq_u64 s[12:13], s[28:29]
	s_cbranch_scc0 .LBB78_106
; %bb.109:                              ;   in Loop: Header=BB78_108 Depth=1
                                        ; implicit-def: $sgpr30_sgpr31
	s_mov_b64 s[28:29], s[12:13]
	s_branch .LBB78_107
.LBB78_110:
	s_or_b64 exec, exec, s[22:23]
	v_cmp_gt_i64_e32 vcc, s[12:13], v[26:27]
	s_mov_b32 s21, 0
	v_mov_b32_e32 v57, s21
	v_cndmask_b32_e64 v56, 0, 1, vcc
.LBB78_111:
	s_or_b64 exec, exec, s[18:19]
.LBB78_112:
	s_and_b64 vcc, exec, s[2:3]
	s_cbranch_vccnz .LBB78_119
; %bb.113:
	v_mov_b64_e32 v[24:25], s[14:15]
	v_mad_u64_u32 v[24:25], s[18:19], v2, s12, v[24:25]
	v_mul_lo_u32 v1, v2, s13
	v_mul_lo_u32 v26, v3, s12
	v_add3_u32 v25, v26, v25, v1
	global_load_ubyte v1, v[22:23], off
	global_load_ubyte v26, v[24:25], off
	v_mov_b64_e32 v[58:59], 1
	s_waitcnt vmcnt(0)
	v_cmp_eq_u16_e32 vcc, v1, v26
	s_and_saveexec_b64 s[18:19], vcc
	s_cbranch_execz .LBB78_121
; %bb.114:
	s_mov_b64 s[28:29], 1
	s_mov_b64 s[22:23], 0
                                        ; implicit-def: $sgpr26_sgpr27
	s_branch .LBB78_117
.LBB78_115:                             ;   in Loop: Header=BB78_117 Depth=1
	v_lshl_add_u64 v[26:27], v[22:23], 0, s[28:29]
	v_lshl_add_u64 v[28:29], v[24:25], 0, s[28:29]
	global_load_ubyte v1, v[26:27], off
	global_load_ubyte v30, v[28:29], off
	s_add_u32 s30, s28, 1
	s_addc_u32 s31, s29, 0
	s_andn2_b64 s[26:27], s[26:27], exec
	s_waitcnt vmcnt(0)
	v_cmp_ne_u16_e32 vcc, v1, v30
	s_and_b64 s[34:35], vcc, exec
	s_or_b64 s[26:27], s[26:27], s[34:35]
.LBB78_116:                             ;   in Loop: Header=BB78_117 Depth=1
	s_and_b64 s[34:35], exec, s[26:27]
	s_or_b64 s[22:23], s[34:35], s[22:23]
	v_mov_b64_e32 v[26:27], s[28:29]
	s_mov_b64 s[28:29], s[30:31]
	s_andn2_b64 exec, exec, s[22:23]
	s_cbranch_execz .LBB78_120
.LBB78_117:                             ; =>This Inner Loop Header: Depth=1
	s_or_b64 s[26:27], s[26:27], exec
	s_cmp_eq_u64 s[12:13], s[28:29]
	s_cbranch_scc0 .LBB78_115
; %bb.118:                              ;   in Loop: Header=BB78_117 Depth=1
                                        ; implicit-def: $sgpr30_sgpr31
	s_mov_b64 s[28:29], s[12:13]
	s_branch .LBB78_116
.LBB78_119:
	v_mov_b64_e32 v[58:59], 0
	s_branch .LBB78_122
.LBB78_120:
	s_or_b64 exec, exec, s[22:23]
	v_cmp_gt_i64_e32 vcc, s[12:13], v[26:27]
	s_mov_b32 s21, 0
	v_mov_b32_e32 v59, s21
	v_cndmask_b32_e64 v58, 0, 1, vcc
.LBB78_121:
	s_or_b64 exec, exec, s[18:19]
.LBB78_122:
	v_cmp_ne_u32_e32 vcc, 0, v0
	s_waitcnt lgkmcnt(0)
	v_mov_b64_e32 v[26:27], s[16:17]
	s_barrier
	s_and_saveexec_b64 s[18:19], vcc
	s_cbranch_execz .LBB78_124
; %bb.123:
	v_add_u32_e32 v1, -8, v40
	ds_read_b64 v[26:27], v1
.LBB78_124:
	s_or_b64 exec, exec, s[18:19]
	s_mov_b64 s[26:27], 0
	s_and_b64 vcc, exec, s[2:3]
	s_mov_b64 s[18:19], 0
	s_cbranch_vccnz .LBB78_133
; %bb.125:
	v_mov_b64_e32 v[24:25], s[14:15]
	v_mad_u64_u32 v[22:23], s[2:3], v2, s12, v[24:25]
	v_mul_lo_u32 v1, v2, s13
	v_mul_lo_u32 v28, v3, s12
	v_add3_u32 v23, v28, v23, v1
	s_waitcnt lgkmcnt(0)
	v_mad_u64_u32 v[24:25], s[2:3], v26, s12, v[24:25]
	v_mul_lo_u32 v1, v26, s13
	v_mul_lo_u32 v26, v27, s12
	v_add3_u32 v25, v26, v25, v1
	global_load_ubyte v1, v[22:23], off
	global_load_ubyte v26, v[24:25], off
	s_mov_b64 s[18:19], -1
	s_waitcnt vmcnt(0)
	v_cmp_eq_u16_e32 vcc, v1, v26
	s_and_saveexec_b64 s[2:3], vcc
	s_cbranch_execz .LBB78_132
; %bb.126:
	s_mov_b64 s[28:29], 1
	s_mov_b64 s[18:19], 0
                                        ; implicit-def: $sgpr22_sgpr23
	s_branch .LBB78_129
.LBB78_127:                             ;   in Loop: Header=BB78_129 Depth=1
	v_lshl_add_u64 v[26:27], v[22:23], 0, s[28:29]
	v_lshl_add_u64 v[28:29], v[24:25], 0, s[28:29]
	global_load_ubyte v1, v[26:27], off
	global_load_ubyte v30, v[28:29], off
	s_add_u32 s30, s28, 1
	s_addc_u32 s31, s29, 0
	s_andn2_b64 s[22:23], s[22:23], exec
	s_waitcnt vmcnt(0)
	v_cmp_ne_u16_e32 vcc, v1, v30
	s_and_b64 s[34:35], vcc, exec
	s_or_b64 s[22:23], s[22:23], s[34:35]
.LBB78_128:                             ;   in Loop: Header=BB78_129 Depth=1
	s_and_b64 s[34:35], exec, s[22:23]
	s_or_b64 s[18:19], s[34:35], s[18:19]
	v_mov_b64_e32 v[26:27], s[28:29]
	s_mov_b64 s[28:29], s[30:31]
	s_andn2_b64 exec, exec, s[18:19]
	s_cbranch_execz .LBB78_131
.LBB78_129:                             ; =>This Inner Loop Header: Depth=1
	s_or_b64 s[22:23], s[22:23], exec
	s_cmp_eq_u64 s[12:13], s[28:29]
	s_cbranch_scc0 .LBB78_127
; %bb.130:                              ;   in Loop: Header=BB78_129 Depth=1
                                        ; implicit-def: $sgpr30_sgpr31
	s_mov_b64 s[28:29], s[12:13]
	s_branch .LBB78_128
.LBB78_131:
	s_or_b64 exec, exec, s[18:19]
	v_cmp_gt_i64_e32 vcc, s[12:13], v[26:27]
	s_orn2_b64 s[18:19], vcc, exec
.LBB78_132:
	s_or_b64 exec, exec, s[2:3]
.LBB78_133:
	s_mov_b64 s[22:23], -1
	s_and_b64 vcc, exec, s[26:27]
	s_cbranch_vccz .LBB78_37
.LBB78_134:
	s_mul_i32 s21, s24, 0xfffff500
	s_add_i32 s21, s21, s10
	v_mad_u32_u24 v22, v0, 11, 10
	v_cmp_gt_i64_e64 s[2:3], s[12:13], 0
	v_cmp_gt_u32_e32 vcc, s21, v22
	v_mul_u32_u24_e32 v1, 11, v0
	v_cndmask_b32_e64 v22, 0, 1, s[2:3]
	v_cmp_ne_u32_e64 s[2:3], 1, v22
	v_mov_b64_e32 v[42:43], v[36:37]
	ds_write_b64 v40, v[36:37]
	s_and_saveexec_b64 s[18:19], vcc
	s_cbranch_execz .LBB78_145
; %bb.135:
	s_and_b64 vcc, exec, s[2:3]
	s_cbranch_vccnz .LBB78_142
; %bb.136:
	v_mov_b64_e32 v[24:25], s[14:15]
	v_mad_u64_u32 v[22:23], s[24:25], v36, s12, v[24:25]
	s_waitcnt lgkmcnt(0)
	v_mul_lo_u32 v26, v36, s13
	v_mul_lo_u32 v27, v37, s12
	v_add3_u32 v23, v27, v23, v26
	v_mad_u64_u32 v[24:25], s[24:25], v20, s12, v[24:25]
	v_mul_lo_u32 v26, v20, s13
	v_mul_lo_u32 v27, v21, s12
	v_add3_u32 v25, v27, v25, v26
	global_load_ubyte v26, v[22:23], off
	global_load_ubyte v27, v[24:25], off
	v_mov_b64_e32 v[42:43], 1
	s_waitcnt vmcnt(0)
	v_cmp_eq_u16_e32 vcc, v26, v27
	s_and_saveexec_b64 s[24:25], vcc
	s_cbranch_execz .LBB78_144
; %bb.137:
	s_mov_b64 s[30:31], 1
	s_mov_b64 s[26:27], 0
                                        ; implicit-def: $sgpr28_sgpr29
	s_branch .LBB78_140
.LBB78_138:                             ;   in Loop: Header=BB78_140 Depth=1
	v_lshl_add_u64 v[26:27], v[22:23], 0, s[30:31]
	v_lshl_add_u64 v[28:29], v[24:25], 0, s[30:31]
	global_load_ubyte v30, v[26:27], off
	global_load_ubyte v31, v[28:29], off
	s_add_u32 s34, s30, 1
	s_addc_u32 s35, s31, 0
	s_andn2_b64 s[28:29], s[28:29], exec
	s_waitcnt vmcnt(0)
	v_cmp_ne_u16_e32 vcc, v30, v31
	s_and_b64 s[36:37], vcc, exec
	s_or_b64 s[28:29], s[28:29], s[36:37]
.LBB78_139:                             ;   in Loop: Header=BB78_140 Depth=1
	s_and_b64 s[36:37], exec, s[28:29]
	s_or_b64 s[26:27], s[36:37], s[26:27]
	v_mov_b64_e32 v[26:27], s[30:31]
	s_mov_b64 s[30:31], s[34:35]
	s_andn2_b64 exec, exec, s[26:27]
	s_cbranch_execz .LBB78_143
.LBB78_140:                             ; =>This Inner Loop Header: Depth=1
	s_or_b64 s[28:29], s[28:29], exec
	s_cmp_eq_u64 s[12:13], s[30:31]
	s_cbranch_scc0 .LBB78_138
; %bb.141:                              ;   in Loop: Header=BB78_140 Depth=1
                                        ; implicit-def: $sgpr34_sgpr35
	s_mov_b64 s[30:31], s[12:13]
	s_branch .LBB78_139
.LBB78_142:
	v_mov_b64_e32 v[42:43], 0
	s_branch .LBB78_145
.LBB78_143:
	s_or_b64 exec, exec, s[26:27]
	v_cmp_gt_i64_e32 vcc, s[12:13], v[26:27]
	s_mov_b32 s26, 0
	v_mov_b32_e32 v43, s26
	v_cndmask_b32_e64 v42, 0, 1, vcc
.LBB78_144:
	s_or_b64 exec, exec, s[24:25]
.LBB78_145:
	s_or_b64 exec, exec, s[18:19]
	v_add_u32_e32 v22, 9, v1
	v_cmp_gt_u32_e32 vcc, s21, v22
	v_mov_b64_e32 v[44:45], v[20:21]
	s_and_saveexec_b64 s[18:19], vcc
	s_cbranch_execz .LBB78_156
; %bb.146:
	s_and_b64 vcc, exec, s[2:3]
	s_cbranch_vccnz .LBB78_153
; %bb.147:
	v_mov_b64_e32 v[24:25], s[14:15]
	v_mad_u64_u32 v[22:23], s[24:25], v20, s12, v[24:25]
	s_waitcnt lgkmcnt(0)
	v_mul_lo_u32 v26, v20, s13
	v_mul_lo_u32 v27, v21, s12
	v_add3_u32 v23, v27, v23, v26
	v_mad_u64_u32 v[24:25], s[24:25], v18, s12, v[24:25]
	v_mul_lo_u32 v26, v18, s13
	v_mul_lo_u32 v27, v19, s12
	v_add3_u32 v25, v27, v25, v26
	global_load_ubyte v26, v[22:23], off
	global_load_ubyte v27, v[24:25], off
	v_mov_b64_e32 v[44:45], 1
	s_waitcnt vmcnt(0)
	v_cmp_eq_u16_e32 vcc, v26, v27
	s_and_saveexec_b64 s[24:25], vcc
	s_cbranch_execz .LBB78_155
; %bb.148:
	s_mov_b64 s[30:31], 1
	s_mov_b64 s[26:27], 0
                                        ; implicit-def: $sgpr28_sgpr29
	s_branch .LBB78_151
.LBB78_149:                             ;   in Loop: Header=BB78_151 Depth=1
	v_lshl_add_u64 v[26:27], v[22:23], 0, s[30:31]
	v_lshl_add_u64 v[28:29], v[24:25], 0, s[30:31]
	global_load_ubyte v30, v[26:27], off
	global_load_ubyte v31, v[28:29], off
	s_add_u32 s34, s30, 1
	s_addc_u32 s35, s31, 0
	s_andn2_b64 s[28:29], s[28:29], exec
	s_waitcnt vmcnt(0)
	v_cmp_ne_u16_e32 vcc, v30, v31
	s_and_b64 s[36:37], vcc, exec
	s_or_b64 s[28:29], s[28:29], s[36:37]
.LBB78_150:                             ;   in Loop: Header=BB78_151 Depth=1
	s_and_b64 s[36:37], exec, s[28:29]
	s_or_b64 s[26:27], s[36:37], s[26:27]
	v_mov_b64_e32 v[26:27], s[30:31]
	s_mov_b64 s[30:31], s[34:35]
	s_andn2_b64 exec, exec, s[26:27]
	s_cbranch_execz .LBB78_154
.LBB78_151:                             ; =>This Inner Loop Header: Depth=1
	s_or_b64 s[28:29], s[28:29], exec
	s_cmp_eq_u64 s[12:13], s[30:31]
	s_cbranch_scc0 .LBB78_149
; %bb.152:                              ;   in Loop: Header=BB78_151 Depth=1
                                        ; implicit-def: $sgpr34_sgpr35
	s_mov_b64 s[30:31], s[12:13]
	s_branch .LBB78_150
.LBB78_153:
	v_mov_b64_e32 v[44:45], 0
	s_branch .LBB78_156
.LBB78_154:
	s_or_b64 exec, exec, s[26:27]
	v_cmp_gt_i64_e32 vcc, s[12:13], v[26:27]
	s_mov_b32 s26, 0
	v_mov_b32_e32 v45, s26
	v_cndmask_b32_e64 v44, 0, 1, vcc
.LBB78_155:
	s_or_b64 exec, exec, s[24:25]
.LBB78_156:
	s_or_b64 exec, exec, s[18:19]
	v_add_u32_e32 v22, 8, v1
	v_cmp_gt_u32_e32 vcc, s21, v22
	v_mov_b64_e32 v[38:39], v[18:19]
	s_and_saveexec_b64 s[18:19], vcc
	s_cbranch_execz .LBB78_167
; %bb.157:
	s_and_b64 vcc, exec, s[2:3]
	s_cbranch_vccnz .LBB78_164
; %bb.158:
	v_mov_b64_e32 v[24:25], s[14:15]
	v_mad_u64_u32 v[22:23], s[24:25], v18, s12, v[24:25]
	s_waitcnt lgkmcnt(0)
	v_mul_lo_u32 v26, v18, s13
	v_mul_lo_u32 v27, v19, s12
	v_add3_u32 v23, v27, v23, v26
	v_mad_u64_u32 v[24:25], s[24:25], v16, s12, v[24:25]
	v_mul_lo_u32 v26, v16, s13
	v_mul_lo_u32 v27, v17, s12
	v_add3_u32 v25, v27, v25, v26
	global_load_ubyte v26, v[22:23], off
	global_load_ubyte v27, v[24:25], off
	v_mov_b64_e32 v[38:39], 1
	s_waitcnt vmcnt(0)
	v_cmp_eq_u16_e32 vcc, v26, v27
	s_and_saveexec_b64 s[24:25], vcc
	s_cbranch_execz .LBB78_166
; %bb.159:
	s_mov_b64 s[30:31], 1
	s_mov_b64 s[26:27], 0
                                        ; implicit-def: $sgpr28_sgpr29
	s_branch .LBB78_162
.LBB78_160:                             ;   in Loop: Header=BB78_162 Depth=1
	v_lshl_add_u64 v[26:27], v[22:23], 0, s[30:31]
	v_lshl_add_u64 v[28:29], v[24:25], 0, s[30:31]
	global_load_ubyte v30, v[26:27], off
	global_load_ubyte v31, v[28:29], off
	s_add_u32 s34, s30, 1
	s_addc_u32 s35, s31, 0
	s_andn2_b64 s[28:29], s[28:29], exec
	s_waitcnt vmcnt(0)
	v_cmp_ne_u16_e32 vcc, v30, v31
	s_and_b64 s[36:37], vcc, exec
	s_or_b64 s[28:29], s[28:29], s[36:37]
.LBB78_161:                             ;   in Loop: Header=BB78_162 Depth=1
	s_and_b64 s[36:37], exec, s[28:29]
	s_or_b64 s[26:27], s[36:37], s[26:27]
	v_mov_b64_e32 v[26:27], s[30:31]
	s_mov_b64 s[30:31], s[34:35]
	s_andn2_b64 exec, exec, s[26:27]
	s_cbranch_execz .LBB78_165
.LBB78_162:                             ; =>This Inner Loop Header: Depth=1
	s_or_b64 s[28:29], s[28:29], exec
	s_cmp_eq_u64 s[12:13], s[30:31]
	s_cbranch_scc0 .LBB78_160
; %bb.163:                              ;   in Loop: Header=BB78_162 Depth=1
                                        ; implicit-def: $sgpr34_sgpr35
	s_mov_b64 s[30:31], s[12:13]
	s_branch .LBB78_161
.LBB78_164:
	v_mov_b64_e32 v[38:39], 0
	s_branch .LBB78_167
.LBB78_165:
	s_or_b64 exec, exec, s[26:27]
	v_cmp_gt_i64_e32 vcc, s[12:13], v[26:27]
	s_mov_b32 s26, 0
	v_mov_b32_e32 v39, s26
	v_cndmask_b32_e64 v38, 0, 1, vcc
.LBB78_166:
	s_or_b64 exec, exec, s[24:25]
.LBB78_167:
	s_or_b64 exec, exec, s[18:19]
	v_add_u32_e32 v22, 7, v1
	v_cmp_gt_u32_e32 vcc, s21, v22
	v_mov_b64_e32 v[46:47], v[16:17]
	s_and_saveexec_b64 s[18:19], vcc
	s_cbranch_execz .LBB78_178
; %bb.168:
	s_and_b64 vcc, exec, s[2:3]
	s_cbranch_vccnz .LBB78_175
; %bb.169:
	v_mov_b64_e32 v[24:25], s[14:15]
	v_mad_u64_u32 v[22:23], s[24:25], v16, s12, v[24:25]
	s_waitcnt lgkmcnt(0)
	v_mul_lo_u32 v26, v16, s13
	v_mul_lo_u32 v27, v17, s12
	v_add3_u32 v23, v27, v23, v26
	v_mad_u64_u32 v[24:25], s[24:25], v14, s12, v[24:25]
	v_mul_lo_u32 v26, v14, s13
	v_mul_lo_u32 v27, v15, s12
	v_add3_u32 v25, v27, v25, v26
	global_load_ubyte v26, v[22:23], off
	global_load_ubyte v27, v[24:25], off
	v_mov_b64_e32 v[46:47], 1
	s_waitcnt vmcnt(0)
	v_cmp_eq_u16_e32 vcc, v26, v27
	s_and_saveexec_b64 s[24:25], vcc
	s_cbranch_execz .LBB78_177
; %bb.170:
	s_mov_b64 s[30:31], 1
	s_mov_b64 s[26:27], 0
                                        ; implicit-def: $sgpr28_sgpr29
	s_branch .LBB78_173
.LBB78_171:                             ;   in Loop: Header=BB78_173 Depth=1
	v_lshl_add_u64 v[26:27], v[22:23], 0, s[30:31]
	v_lshl_add_u64 v[28:29], v[24:25], 0, s[30:31]
	global_load_ubyte v30, v[26:27], off
	global_load_ubyte v31, v[28:29], off
	s_add_u32 s34, s30, 1
	s_addc_u32 s35, s31, 0
	s_andn2_b64 s[28:29], s[28:29], exec
	s_waitcnt vmcnt(0)
	v_cmp_ne_u16_e32 vcc, v30, v31
	s_and_b64 s[36:37], vcc, exec
	s_or_b64 s[28:29], s[28:29], s[36:37]
.LBB78_172:                             ;   in Loop: Header=BB78_173 Depth=1
	s_and_b64 s[36:37], exec, s[28:29]
	s_or_b64 s[26:27], s[36:37], s[26:27]
	v_mov_b64_e32 v[26:27], s[30:31]
	s_mov_b64 s[30:31], s[34:35]
	s_andn2_b64 exec, exec, s[26:27]
	s_cbranch_execz .LBB78_176
.LBB78_173:                             ; =>This Inner Loop Header: Depth=1
	s_or_b64 s[28:29], s[28:29], exec
	s_cmp_eq_u64 s[12:13], s[30:31]
	s_cbranch_scc0 .LBB78_171
; %bb.174:                              ;   in Loop: Header=BB78_173 Depth=1
                                        ; implicit-def: $sgpr34_sgpr35
	s_mov_b64 s[30:31], s[12:13]
	s_branch .LBB78_172
.LBB78_175:
	v_mov_b64_e32 v[46:47], 0
	s_branch .LBB78_178
.LBB78_176:
	s_or_b64 exec, exec, s[26:27]
	v_cmp_gt_i64_e32 vcc, s[12:13], v[26:27]
	s_mov_b32 s26, 0
	v_mov_b32_e32 v47, s26
	v_cndmask_b32_e64 v46, 0, 1, vcc
.LBB78_177:
	s_or_b64 exec, exec, s[24:25]
.LBB78_178:
	s_or_b64 exec, exec, s[18:19]
	v_add_u32_e32 v22, 6, v1
	v_cmp_gt_u32_e32 vcc, s21, v22
	v_mov_b64_e32 v[48:49], v[14:15]
	s_and_saveexec_b64 s[18:19], vcc
	s_cbranch_execz .LBB78_189
; %bb.179:
	s_and_b64 vcc, exec, s[2:3]
	s_cbranch_vccnz .LBB78_186
; %bb.180:
	v_mov_b64_e32 v[24:25], s[14:15]
	v_mad_u64_u32 v[22:23], s[24:25], v14, s12, v[24:25]
	s_waitcnt lgkmcnt(0)
	v_mul_lo_u32 v26, v14, s13
	v_mul_lo_u32 v27, v15, s12
	v_add3_u32 v23, v27, v23, v26
	v_mad_u64_u32 v[24:25], s[24:25], v12, s12, v[24:25]
	v_mul_lo_u32 v26, v12, s13
	v_mul_lo_u32 v27, v13, s12
	v_add3_u32 v25, v27, v25, v26
	global_load_ubyte v26, v[22:23], off
	global_load_ubyte v27, v[24:25], off
	v_mov_b64_e32 v[48:49], 1
	s_waitcnt vmcnt(0)
	v_cmp_eq_u16_e32 vcc, v26, v27
	s_and_saveexec_b64 s[24:25], vcc
	s_cbranch_execz .LBB78_188
; %bb.181:
	s_mov_b64 s[30:31], 1
	s_mov_b64 s[26:27], 0
                                        ; implicit-def: $sgpr28_sgpr29
	s_branch .LBB78_184
.LBB78_182:                             ;   in Loop: Header=BB78_184 Depth=1
	v_lshl_add_u64 v[26:27], v[22:23], 0, s[30:31]
	v_lshl_add_u64 v[28:29], v[24:25], 0, s[30:31]
	global_load_ubyte v30, v[26:27], off
	global_load_ubyte v31, v[28:29], off
	s_add_u32 s34, s30, 1
	s_addc_u32 s35, s31, 0
	s_andn2_b64 s[28:29], s[28:29], exec
	s_waitcnt vmcnt(0)
	v_cmp_ne_u16_e32 vcc, v30, v31
	s_and_b64 s[36:37], vcc, exec
	s_or_b64 s[28:29], s[28:29], s[36:37]
.LBB78_183:                             ;   in Loop: Header=BB78_184 Depth=1
	s_and_b64 s[36:37], exec, s[28:29]
	s_or_b64 s[26:27], s[36:37], s[26:27]
	v_mov_b64_e32 v[26:27], s[30:31]
	s_mov_b64 s[30:31], s[34:35]
	s_andn2_b64 exec, exec, s[26:27]
	s_cbranch_execz .LBB78_187
.LBB78_184:                             ; =>This Inner Loop Header: Depth=1
	s_or_b64 s[28:29], s[28:29], exec
	s_cmp_eq_u64 s[12:13], s[30:31]
	s_cbranch_scc0 .LBB78_182
; %bb.185:                              ;   in Loop: Header=BB78_184 Depth=1
                                        ; implicit-def: $sgpr34_sgpr35
	s_mov_b64 s[30:31], s[12:13]
	s_branch .LBB78_183
.LBB78_186:
	v_mov_b64_e32 v[48:49], 0
	s_branch .LBB78_189
.LBB78_187:
	s_or_b64 exec, exec, s[26:27]
	v_cmp_gt_i64_e32 vcc, s[12:13], v[26:27]
	s_mov_b32 s26, 0
	v_mov_b32_e32 v49, s26
	v_cndmask_b32_e64 v48, 0, 1, vcc
.LBB78_188:
	s_or_b64 exec, exec, s[24:25]
.LBB78_189:
	s_or_b64 exec, exec, s[18:19]
	v_add_u32_e32 v22, 5, v1
	v_cmp_gt_u32_e32 vcc, s21, v22
	v_mov_b64_e32 v[50:51], v[12:13]
	s_and_saveexec_b64 s[18:19], vcc
	s_cbranch_execz .LBB78_200
; %bb.190:
	s_and_b64 vcc, exec, s[2:3]
	s_cbranch_vccnz .LBB78_197
; %bb.191:
	v_mov_b64_e32 v[24:25], s[14:15]
	v_mad_u64_u32 v[22:23], s[24:25], v12, s12, v[24:25]
	s_waitcnt lgkmcnt(0)
	v_mul_lo_u32 v26, v12, s13
	v_mul_lo_u32 v27, v13, s12
	v_add3_u32 v23, v27, v23, v26
	v_mad_u64_u32 v[24:25], s[24:25], v10, s12, v[24:25]
	v_mul_lo_u32 v26, v10, s13
	v_mul_lo_u32 v27, v11, s12
	v_add3_u32 v25, v27, v25, v26
	global_load_ubyte v26, v[22:23], off
	global_load_ubyte v27, v[24:25], off
	v_mov_b64_e32 v[50:51], 1
	s_waitcnt vmcnt(0)
	v_cmp_eq_u16_e32 vcc, v26, v27
	s_and_saveexec_b64 s[24:25], vcc
	s_cbranch_execz .LBB78_199
; %bb.192:
	s_mov_b64 s[30:31], 1
	s_mov_b64 s[26:27], 0
                                        ; implicit-def: $sgpr28_sgpr29
	s_branch .LBB78_195
.LBB78_193:                             ;   in Loop: Header=BB78_195 Depth=1
	v_lshl_add_u64 v[26:27], v[22:23], 0, s[30:31]
	v_lshl_add_u64 v[28:29], v[24:25], 0, s[30:31]
	global_load_ubyte v30, v[26:27], off
	global_load_ubyte v31, v[28:29], off
	s_add_u32 s34, s30, 1
	s_addc_u32 s35, s31, 0
	s_andn2_b64 s[28:29], s[28:29], exec
	s_waitcnt vmcnt(0)
	v_cmp_ne_u16_e32 vcc, v30, v31
	s_and_b64 s[36:37], vcc, exec
	s_or_b64 s[28:29], s[28:29], s[36:37]
.LBB78_194:                             ;   in Loop: Header=BB78_195 Depth=1
	s_and_b64 s[36:37], exec, s[28:29]
	s_or_b64 s[26:27], s[36:37], s[26:27]
	v_mov_b64_e32 v[26:27], s[30:31]
	s_mov_b64 s[30:31], s[34:35]
	s_andn2_b64 exec, exec, s[26:27]
	s_cbranch_execz .LBB78_198
.LBB78_195:                             ; =>This Inner Loop Header: Depth=1
	s_or_b64 s[28:29], s[28:29], exec
	s_cmp_eq_u64 s[12:13], s[30:31]
	s_cbranch_scc0 .LBB78_193
; %bb.196:                              ;   in Loop: Header=BB78_195 Depth=1
                                        ; implicit-def: $sgpr34_sgpr35
	s_mov_b64 s[30:31], s[12:13]
	s_branch .LBB78_194
.LBB78_197:
	v_mov_b64_e32 v[50:51], 0
	s_branch .LBB78_200
.LBB78_198:
	s_or_b64 exec, exec, s[26:27]
	v_cmp_gt_i64_e32 vcc, s[12:13], v[26:27]
	s_mov_b32 s26, 0
	v_mov_b32_e32 v51, s26
	v_cndmask_b32_e64 v50, 0, 1, vcc
.LBB78_199:
	s_or_b64 exec, exec, s[24:25]
.LBB78_200:
	s_or_b64 exec, exec, s[18:19]
	v_add_u32_e32 v22, 4, v1
	v_cmp_gt_u32_e32 vcc, s21, v22
	v_mov_b64_e32 v[52:53], v[10:11]
	s_and_saveexec_b64 s[18:19], vcc
	s_cbranch_execz .LBB78_211
; %bb.201:
	s_and_b64 vcc, exec, s[2:3]
	s_cbranch_vccnz .LBB78_208
; %bb.202:
	v_mov_b64_e32 v[24:25], s[14:15]
	v_mad_u64_u32 v[22:23], s[24:25], v10, s12, v[24:25]
	s_waitcnt lgkmcnt(0)
	v_mul_lo_u32 v26, v10, s13
	v_mul_lo_u32 v27, v11, s12
	v_add3_u32 v23, v27, v23, v26
	v_mad_u64_u32 v[24:25], s[24:25], v8, s12, v[24:25]
	v_mul_lo_u32 v26, v8, s13
	v_mul_lo_u32 v27, v9, s12
	v_add3_u32 v25, v27, v25, v26
	global_load_ubyte v26, v[22:23], off
	global_load_ubyte v27, v[24:25], off
	v_mov_b64_e32 v[52:53], 1
	s_waitcnt vmcnt(0)
	v_cmp_eq_u16_e32 vcc, v26, v27
	s_and_saveexec_b64 s[24:25], vcc
	s_cbranch_execz .LBB78_210
; %bb.203:
	s_mov_b64 s[30:31], 1
	s_mov_b64 s[26:27], 0
                                        ; implicit-def: $sgpr28_sgpr29
	s_branch .LBB78_206
.LBB78_204:                             ;   in Loop: Header=BB78_206 Depth=1
	v_lshl_add_u64 v[26:27], v[22:23], 0, s[30:31]
	v_lshl_add_u64 v[28:29], v[24:25], 0, s[30:31]
	global_load_ubyte v30, v[26:27], off
	global_load_ubyte v31, v[28:29], off
	s_add_u32 s34, s30, 1
	s_addc_u32 s35, s31, 0
	s_andn2_b64 s[28:29], s[28:29], exec
	s_waitcnt vmcnt(0)
	v_cmp_ne_u16_e32 vcc, v30, v31
	s_and_b64 s[36:37], vcc, exec
	s_or_b64 s[28:29], s[28:29], s[36:37]
.LBB78_205:                             ;   in Loop: Header=BB78_206 Depth=1
	s_and_b64 s[36:37], exec, s[28:29]
	s_or_b64 s[26:27], s[36:37], s[26:27]
	v_mov_b64_e32 v[26:27], s[30:31]
	s_mov_b64 s[30:31], s[34:35]
	s_andn2_b64 exec, exec, s[26:27]
	s_cbranch_execz .LBB78_209
.LBB78_206:                             ; =>This Inner Loop Header: Depth=1
	s_or_b64 s[28:29], s[28:29], exec
	s_cmp_eq_u64 s[12:13], s[30:31]
	s_cbranch_scc0 .LBB78_204
; %bb.207:                              ;   in Loop: Header=BB78_206 Depth=1
                                        ; implicit-def: $sgpr34_sgpr35
	s_mov_b64 s[30:31], s[12:13]
	s_branch .LBB78_205
.LBB78_208:
	v_mov_b64_e32 v[52:53], 0
	s_branch .LBB78_211
.LBB78_209:
	s_or_b64 exec, exec, s[26:27]
	v_cmp_gt_i64_e32 vcc, s[12:13], v[26:27]
	s_mov_b32 s26, 0
	v_mov_b32_e32 v53, s26
	v_cndmask_b32_e64 v52, 0, 1, vcc
.LBB78_210:
	s_or_b64 exec, exec, s[24:25]
.LBB78_211:
	s_or_b64 exec, exec, s[18:19]
	v_add_u32_e32 v22, 3, v1
	v_cmp_gt_u32_e32 vcc, s21, v22
	v_mov_b64_e32 v[54:55], v[8:9]
	s_and_saveexec_b64 s[18:19], vcc
	s_cbranch_execz .LBB78_222
; %bb.212:
	s_and_b64 vcc, exec, s[2:3]
	s_cbranch_vccnz .LBB78_219
; %bb.213:
	v_mov_b64_e32 v[24:25], s[14:15]
	v_mad_u64_u32 v[22:23], s[24:25], v8, s12, v[24:25]
	s_waitcnt lgkmcnt(0)
	v_mul_lo_u32 v26, v8, s13
	v_mul_lo_u32 v27, v9, s12
	v_add3_u32 v23, v27, v23, v26
	v_mad_u64_u32 v[24:25], s[24:25], v6, s12, v[24:25]
	v_mul_lo_u32 v26, v6, s13
	v_mul_lo_u32 v27, v7, s12
	v_add3_u32 v25, v27, v25, v26
	global_load_ubyte v26, v[22:23], off
	global_load_ubyte v27, v[24:25], off
	v_mov_b64_e32 v[54:55], 1
	s_waitcnt vmcnt(0)
	v_cmp_eq_u16_e32 vcc, v26, v27
	s_and_saveexec_b64 s[24:25], vcc
	s_cbranch_execz .LBB78_221
; %bb.214:
	s_mov_b64 s[30:31], 1
	s_mov_b64 s[26:27], 0
                                        ; implicit-def: $sgpr28_sgpr29
	s_branch .LBB78_217
.LBB78_215:                             ;   in Loop: Header=BB78_217 Depth=1
	v_lshl_add_u64 v[26:27], v[22:23], 0, s[30:31]
	v_lshl_add_u64 v[28:29], v[24:25], 0, s[30:31]
	global_load_ubyte v30, v[26:27], off
	global_load_ubyte v31, v[28:29], off
	s_add_u32 s34, s30, 1
	s_addc_u32 s35, s31, 0
	s_andn2_b64 s[28:29], s[28:29], exec
	s_waitcnt vmcnt(0)
	v_cmp_ne_u16_e32 vcc, v30, v31
	s_and_b64 s[36:37], vcc, exec
	s_or_b64 s[28:29], s[28:29], s[36:37]
.LBB78_216:                             ;   in Loop: Header=BB78_217 Depth=1
	s_and_b64 s[36:37], exec, s[28:29]
	s_or_b64 s[26:27], s[36:37], s[26:27]
	v_mov_b64_e32 v[26:27], s[30:31]
	s_mov_b64 s[30:31], s[34:35]
	s_andn2_b64 exec, exec, s[26:27]
	s_cbranch_execz .LBB78_220
.LBB78_217:                             ; =>This Inner Loop Header: Depth=1
	s_or_b64 s[28:29], s[28:29], exec
	s_cmp_eq_u64 s[12:13], s[30:31]
	s_cbranch_scc0 .LBB78_215
; %bb.218:                              ;   in Loop: Header=BB78_217 Depth=1
                                        ; implicit-def: $sgpr34_sgpr35
	s_mov_b64 s[30:31], s[12:13]
	s_branch .LBB78_216
.LBB78_219:
	v_mov_b64_e32 v[54:55], 0
	s_branch .LBB78_222
.LBB78_220:
	s_or_b64 exec, exec, s[26:27]
	v_cmp_gt_i64_e32 vcc, s[12:13], v[26:27]
	s_mov_b32 s26, 0
	v_mov_b32_e32 v55, s26
	v_cndmask_b32_e64 v54, 0, 1, vcc
.LBB78_221:
	s_or_b64 exec, exec, s[24:25]
.LBB78_222:
	s_or_b64 exec, exec, s[18:19]
	v_add_u32_e32 v22, 2, v1
	v_cmp_gt_u32_e32 vcc, s21, v22
	v_mov_b64_e32 v[56:57], v[6:7]
	s_and_saveexec_b64 s[18:19], vcc
	s_cbranch_execz .LBB78_233
; %bb.223:
	s_and_b64 vcc, exec, s[2:3]
	s_cbranch_vccnz .LBB78_230
; %bb.224:
	v_mov_b64_e32 v[24:25], s[14:15]
	v_mad_u64_u32 v[22:23], s[24:25], v6, s12, v[24:25]
	s_waitcnt lgkmcnt(0)
	v_mul_lo_u32 v26, v6, s13
	v_mul_lo_u32 v27, v7, s12
	v_add3_u32 v23, v27, v23, v26
	v_mad_u64_u32 v[24:25], s[24:25], v4, s12, v[24:25]
	v_mul_lo_u32 v26, v4, s13
	v_mul_lo_u32 v27, v5, s12
	v_add3_u32 v25, v27, v25, v26
	global_load_ubyte v26, v[22:23], off
	global_load_ubyte v27, v[24:25], off
	v_mov_b64_e32 v[56:57], 1
	s_waitcnt vmcnt(0)
	v_cmp_eq_u16_e32 vcc, v26, v27
	s_and_saveexec_b64 s[24:25], vcc
	s_cbranch_execz .LBB78_232
; %bb.225:
	s_mov_b64 s[30:31], 1
	s_mov_b64 s[26:27], 0
                                        ; implicit-def: $sgpr28_sgpr29
	s_branch .LBB78_228
.LBB78_226:                             ;   in Loop: Header=BB78_228 Depth=1
	v_lshl_add_u64 v[26:27], v[22:23], 0, s[30:31]
	v_lshl_add_u64 v[28:29], v[24:25], 0, s[30:31]
	global_load_ubyte v30, v[26:27], off
	global_load_ubyte v31, v[28:29], off
	s_add_u32 s34, s30, 1
	s_addc_u32 s35, s31, 0
	s_andn2_b64 s[28:29], s[28:29], exec
	s_waitcnt vmcnt(0)
	v_cmp_ne_u16_e32 vcc, v30, v31
	s_and_b64 s[36:37], vcc, exec
	s_or_b64 s[28:29], s[28:29], s[36:37]
.LBB78_227:                             ;   in Loop: Header=BB78_228 Depth=1
	s_and_b64 s[36:37], exec, s[28:29]
	s_or_b64 s[26:27], s[36:37], s[26:27]
	v_mov_b64_e32 v[26:27], s[30:31]
	s_mov_b64 s[30:31], s[34:35]
	s_andn2_b64 exec, exec, s[26:27]
	s_cbranch_execz .LBB78_231
.LBB78_228:                             ; =>This Inner Loop Header: Depth=1
	s_or_b64 s[28:29], s[28:29], exec
	s_cmp_eq_u64 s[12:13], s[30:31]
	s_cbranch_scc0 .LBB78_226
; %bb.229:                              ;   in Loop: Header=BB78_228 Depth=1
                                        ; implicit-def: $sgpr34_sgpr35
	s_mov_b64 s[30:31], s[12:13]
	s_branch .LBB78_227
.LBB78_230:
	v_mov_b64_e32 v[56:57], 0
	s_branch .LBB78_233
.LBB78_231:
	s_or_b64 exec, exec, s[26:27]
	v_cmp_gt_i64_e32 vcc, s[12:13], v[26:27]
	s_mov_b32 s26, 0
	v_mov_b32_e32 v57, s26
	v_cndmask_b32_e64 v56, 0, 1, vcc
.LBB78_232:
	s_or_b64 exec, exec, s[24:25]
.LBB78_233:
	s_or_b64 exec, exec, s[18:19]
	v_add_u32_e32 v22, 1, v1
	v_cmp_gt_u32_e32 vcc, s21, v22
	v_mov_b64_e32 v[58:59], v[4:5]
	s_and_saveexec_b64 s[18:19], vcc
	s_cbranch_execz .LBB78_244
; %bb.234:
	s_and_b64 vcc, exec, s[2:3]
	s_cbranch_vccnz .LBB78_241
; %bb.235:
	v_mov_b64_e32 v[24:25], s[14:15]
	v_mad_u64_u32 v[22:23], s[24:25], v4, s12, v[24:25]
	s_waitcnt lgkmcnt(0)
	v_mul_lo_u32 v26, v4, s13
	v_mul_lo_u32 v27, v5, s12
	v_add3_u32 v23, v27, v23, v26
	v_mad_u64_u32 v[24:25], s[24:25], v2, s12, v[24:25]
	v_mul_lo_u32 v26, v2, s13
	v_mul_lo_u32 v27, v3, s12
	v_add3_u32 v25, v27, v25, v26
	global_load_ubyte v26, v[22:23], off
	global_load_ubyte v27, v[24:25], off
	v_mov_b64_e32 v[58:59], 1
	s_waitcnt vmcnt(0)
	v_cmp_eq_u16_e32 vcc, v26, v27
	s_and_saveexec_b64 s[24:25], vcc
	s_cbranch_execz .LBB78_243
; %bb.236:
	s_mov_b64 s[30:31], 1
	s_mov_b64 s[26:27], 0
                                        ; implicit-def: $sgpr28_sgpr29
	s_branch .LBB78_239
.LBB78_237:                             ;   in Loop: Header=BB78_239 Depth=1
	v_lshl_add_u64 v[26:27], v[22:23], 0, s[30:31]
	v_lshl_add_u64 v[28:29], v[24:25], 0, s[30:31]
	global_load_ubyte v30, v[26:27], off
	global_load_ubyte v31, v[28:29], off
	s_add_u32 s34, s30, 1
	s_addc_u32 s35, s31, 0
	s_andn2_b64 s[28:29], s[28:29], exec
	s_waitcnt vmcnt(0)
	v_cmp_ne_u16_e32 vcc, v30, v31
	s_and_b64 s[36:37], vcc, exec
	s_or_b64 s[28:29], s[28:29], s[36:37]
.LBB78_238:                             ;   in Loop: Header=BB78_239 Depth=1
	s_and_b64 s[36:37], exec, s[28:29]
	s_or_b64 s[26:27], s[36:37], s[26:27]
	v_mov_b64_e32 v[26:27], s[30:31]
	s_mov_b64 s[30:31], s[34:35]
	s_andn2_b64 exec, exec, s[26:27]
	s_cbranch_execz .LBB78_242
.LBB78_239:                             ; =>This Inner Loop Header: Depth=1
	s_or_b64 s[28:29], s[28:29], exec
	s_cmp_eq_u64 s[12:13], s[30:31]
	s_cbranch_scc0 .LBB78_237
; %bb.240:                              ;   in Loop: Header=BB78_239 Depth=1
                                        ; implicit-def: $sgpr34_sgpr35
	s_mov_b64 s[30:31], s[12:13]
	s_branch .LBB78_238
.LBB78_241:
	v_mov_b64_e32 v[58:59], 0
	s_branch .LBB78_244
.LBB78_242:
	s_or_b64 exec, exec, s[26:27]
	v_cmp_gt_i64_e32 vcc, s[12:13], v[26:27]
	s_mov_b32 s26, 0
	v_mov_b32_e32 v59, s26
	v_cndmask_b32_e64 v58, 0, 1, vcc
.LBB78_243:
	s_or_b64 exec, exec, s[24:25]
.LBB78_244:
	s_or_b64 exec, exec, s[18:19]
	v_cmp_ne_u32_e32 vcc, 0, v0
	s_waitcnt lgkmcnt(0)
	v_mov_b64_e32 v[26:27], s[16:17]
	s_barrier
	s_and_saveexec_b64 s[16:17], vcc
	s_cbranch_execz .LBB78_246
; %bb.245:
	v_add_u32_e32 v22, -8, v40
	ds_read_b64 v[26:27], v22
.LBB78_246:
	s_or_b64 exec, exec, s[16:17]
	v_cmp_gt_u32_e32 vcc, s21, v1
                                        ; implicit-def: $sgpr18_sgpr19
	s_and_saveexec_b64 s[16:17], vcc
	s_cbranch_execz .LBB78_258
; %bb.247:
	s_and_b64 vcc, exec, s[2:3]
	s_cbranch_vccnz .LBB78_254
; %bb.248:
	v_mov_b64_e32 v[24:25], s[14:15]
	v_mad_u64_u32 v[22:23], s[2:3], v2, s12, v[24:25]
	v_mul_lo_u32 v1, v2, s13
	v_mul_lo_u32 v28, v3, s12
	v_add3_u32 v23, v28, v23, v1
	s_waitcnt lgkmcnt(0)
	v_mad_u64_u32 v[24:25], s[2:3], v26, s12, v[24:25]
	v_mul_lo_u32 v1, v26, s13
	v_mul_lo_u32 v26, v27, s12
	v_add3_u32 v25, v26, v25, v1
	global_load_ubyte v1, v[22:23], off
	global_load_ubyte v26, v[24:25], off
	s_mov_b64 s[18:19], -1
	s_waitcnt vmcnt(0)
	v_cmp_eq_u16_e32 vcc, v1, v26
	s_and_saveexec_b64 s[2:3], vcc
	s_cbranch_execz .LBB78_256
; %bb.249:
	s_mov_b64 s[26:27], 1
	s_mov_b64 s[18:19], 0
                                        ; implicit-def: $sgpr24_sgpr25
	s_branch .LBB78_252
.LBB78_250:                             ;   in Loop: Header=BB78_252 Depth=1
	v_lshl_add_u64 v[26:27], v[22:23], 0, s[26:27]
	v_lshl_add_u64 v[28:29], v[24:25], 0, s[26:27]
	global_load_ubyte v1, v[26:27], off
	global_load_ubyte v30, v[28:29], off
	s_add_u32 s28, s26, 1
	s_addc_u32 s29, s27, 0
	s_andn2_b64 s[24:25], s[24:25], exec
	s_waitcnt vmcnt(0)
	v_cmp_ne_u16_e32 vcc, v1, v30
	s_and_b64 s[30:31], vcc, exec
	s_or_b64 s[24:25], s[24:25], s[30:31]
.LBB78_251:                             ;   in Loop: Header=BB78_252 Depth=1
	s_and_b64 s[30:31], exec, s[24:25]
	s_or_b64 s[18:19], s[30:31], s[18:19]
	v_mov_b64_e32 v[26:27], s[26:27]
	s_mov_b64 s[26:27], s[28:29]
	s_andn2_b64 exec, exec, s[18:19]
	s_cbranch_execz .LBB78_255
.LBB78_252:                             ; =>This Inner Loop Header: Depth=1
	s_or_b64 s[24:25], s[24:25], exec
	s_cmp_eq_u64 s[12:13], s[26:27]
	s_cbranch_scc0 .LBB78_250
; %bb.253:                              ;   in Loop: Header=BB78_252 Depth=1
                                        ; implicit-def: $sgpr28_sgpr29
	s_mov_b64 s[26:27], s[12:13]
	s_branch .LBB78_251
.LBB78_254:
	s_mov_b64 s[18:19], 0
	s_branch .LBB78_257
.LBB78_255:
	s_or_b64 exec, exec, s[18:19]
	v_cmp_gt_i64_e32 vcc, s[12:13], v[26:27]
	s_orn2_b64 s[18:19], vcc, exec
.LBB78_256:
	s_or_b64 exec, exec, s[2:3]
.LBB78_257:
	s_and_b64 s[18:19], s[18:19], exec
	s_or_b64 s[22:23], s[22:23], exec
.LBB78_258:
	s_or_b64 exec, exec, s[16:17]
	v_mov_b64_e32 v[60:61], v[44:45]
	v_mov_b64_e32 v[22:23], v[38:39]
	;; [unrolled: 1-line block ×8, first 2 shown]
	s_waitcnt lgkmcnt(0)
	v_mov_b64_e32 v[26:27], v[46:47]
	s_branch .LBB78_488
.LBB78_259:
	s_cmp_lg_u64 s[4:5], 1
	s_cbranch_scc0 .LBB78_267
; %bb.260:
	v_mul_lo_u32 v1, v21, s12
	v_mul_lo_u32 v24, v20, s13
	s_waitcnt lgkmcnt(0)
	v_mad_u64_u32 v[22:23], s[16:17], v20, s12, 0
	v_mov_b64_e32 v[38:39], 0
	v_cmp_lt_i64_e64 s[2:3], s[12:13], 1
	v_add3_u32 v23, v23, v24, v1
	v_cmp_gt_i64_e64 s[4:5], s[12:13], 0
	s_and_b64 vcc, exec, s[2:3]
	v_lshl_add_u64 v[22:23], s[14:15], 0, v[22:23]
	v_mov_b64_e32 v[42:43], v[38:39]
	ds_write_b64 v40, v[36:37]
	s_cbranch_vccnz .LBB78_270
; %bb.261:
	v_mov_b64_e32 v[24:25], s[14:15]
	v_mad_u64_u32 v[24:25], s[2:3], v36, s12, v[24:25]
	v_mul_lo_u32 v1, v36, s13
	v_mul_lo_u32 v26, v37, s12
	v_add3_u32 v25, v26, v25, v1
	global_load_ubyte v1, v[24:25], off
	global_load_ubyte v26, v[22:23], off
	v_mov_b64_e32 v[42:43], 1
	s_waitcnt vmcnt(0)
	v_cmp_eq_u16_e32 vcc, v1, v26
	s_and_saveexec_b64 s[2:3], vcc
	s_cbranch_execz .LBB78_269
; %bb.262:
	s_mov_b64 s[24:25], 1
	s_mov_b64 s[16:17], 0
                                        ; implicit-def: $sgpr18_sgpr19
	s_branch .LBB78_265
.LBB78_263:                             ;   in Loop: Header=BB78_265 Depth=1
	v_lshl_add_u64 v[26:27], v[24:25], 0, s[24:25]
	v_lshl_add_u64 v[28:29], v[22:23], 0, s[24:25]
	global_load_ubyte v1, v[26:27], off
	global_load_ubyte v30, v[28:29], off
	s_add_u32 s26, s24, 1
	s_addc_u32 s27, s25, 0
	s_andn2_b64 s[18:19], s[18:19], exec
	s_waitcnt vmcnt(0)
	v_cmp_ne_u16_e32 vcc, v1, v30
	s_and_b64 s[28:29], vcc, exec
	s_or_b64 s[18:19], s[18:19], s[28:29]
.LBB78_264:                             ;   in Loop: Header=BB78_265 Depth=1
	s_and_b64 s[28:29], exec, s[18:19]
	s_or_b64 s[16:17], s[28:29], s[16:17]
	v_mov_b64_e32 v[26:27], s[24:25]
	s_mov_b64 s[24:25], s[26:27]
	s_andn2_b64 exec, exec, s[16:17]
	s_cbranch_execz .LBB78_268
.LBB78_265:                             ; =>This Inner Loop Header: Depth=1
	s_or_b64 s[18:19], s[18:19], exec
	s_cmp_eq_u64 s[12:13], s[24:25]
	s_cbranch_scc0 .LBB78_263
; %bb.266:                              ;   in Loop: Header=BB78_265 Depth=1
                                        ; implicit-def: $sgpr26_sgpr27
	s_mov_b64 s[24:25], s[12:13]
	s_branch .LBB78_264
.LBB78_267:
                                        ; implicit-def: $vgpr22_vgpr23_vgpr24_vgpr25
                                        ; implicit-def: $sgpr18_sgpr19
                                        ; implicit-def: $vgpr42_vgpr43
                                        ; implicit-def: $vgpr44_vgpr45
                                        ; implicit-def: $vgpr38_vgpr39
                                        ; implicit-def: $vgpr58_vgpr59
                                        ; implicit-def: $vgpr56_vgpr57
                                        ; implicit-def: $vgpr54_vgpr55
                                        ; implicit-def: $vgpr52_vgpr53
                                        ; implicit-def: $vgpr50_vgpr51
                                        ; implicit-def: $vgpr48_vgpr49
                                        ; implicit-def: $vgpr46_vgpr47
                                        ; implicit-def: $vgpr60_vgpr61
                                        ; implicit-def: $vgpr68_vgpr69
                                        ; implicit-def: $vgpr62_vgpr63
                                        ; implicit-def: $vgpr64_vgpr65
                                        ; implicit-def: $vgpr66_vgpr67
                                        ; implicit-def: $vgpr24_vgpr25_vgpr26_vgpr27
                                        ; implicit-def: $vgpr28_vgpr29_vgpr30_vgpr31
                                        ; implicit-def: $vgpr32_vgpr33_vgpr34_vgpr35
	s_cbranch_execnz .LBB78_365
	s_branch .LBB78_488
.LBB78_268:
	s_or_b64 exec, exec, s[16:17]
	v_cmp_gt_i64_e32 vcc, s[12:13], v[26:27]
	s_mov_b32 s16, 0
	v_mov_b32_e32 v43, s16
	v_cndmask_b32_e64 v42, 0, 1, vcc
.LBB78_269:
	s_or_b64 exec, exec, s[2:3]
.LBB78_270:
	v_mul_lo_u32 v1, v19, s12
	v_mul_lo_u32 v26, v18, s13
	v_mad_u64_u32 v[24:25], s[2:3], v18, s12, 0
	v_add3_u32 v25, v25, v26, v1
	v_cndmask_b32_e64 v1, 0, 1, s[4:5]
	v_cmp_ne_u32_e64 s[2:3], 1, v1
	s_andn2_b64 vcc, exec, s[4:5]
	v_lshl_add_u64 v[24:25], s[14:15], 0, v[24:25]
	v_mov_b64_e32 v[44:45], v[38:39]
	s_cbranch_vccnz .LBB78_279
; %bb.271:
	global_load_ubyte v1, v[22:23], off
	global_load_ubyte v26, v[24:25], off
	v_mov_b64_e32 v[44:45], 1
	s_waitcnt vmcnt(0)
	v_cmp_eq_u16_e32 vcc, v1, v26
	s_and_saveexec_b64 s[4:5], vcc
	s_cbranch_execz .LBB78_278
; %bb.272:
	s_mov_b64 s[24:25], 1
	s_mov_b64 s[16:17], 0
                                        ; implicit-def: $sgpr18_sgpr19
	s_branch .LBB78_275
.LBB78_273:                             ;   in Loop: Header=BB78_275 Depth=1
	v_lshl_add_u64 v[26:27], v[22:23], 0, s[24:25]
	v_lshl_add_u64 v[28:29], v[24:25], 0, s[24:25]
	global_load_ubyte v1, v[26:27], off
	global_load_ubyte v30, v[28:29], off
	s_add_u32 s26, s24, 1
	s_addc_u32 s27, s25, 0
	s_andn2_b64 s[18:19], s[18:19], exec
	s_waitcnt vmcnt(0)
	v_cmp_ne_u16_e32 vcc, v1, v30
	s_and_b64 s[28:29], vcc, exec
	s_or_b64 s[18:19], s[18:19], s[28:29]
.LBB78_274:                             ;   in Loop: Header=BB78_275 Depth=1
	s_and_b64 s[28:29], exec, s[18:19]
	s_or_b64 s[16:17], s[28:29], s[16:17]
	v_mov_b64_e32 v[26:27], s[24:25]
	s_mov_b64 s[24:25], s[26:27]
	s_andn2_b64 exec, exec, s[16:17]
	s_cbranch_execz .LBB78_277
.LBB78_275:                             ; =>This Inner Loop Header: Depth=1
	s_or_b64 s[18:19], s[18:19], exec
	s_cmp_eq_u64 s[12:13], s[24:25]
	s_cbranch_scc0 .LBB78_273
; %bb.276:                              ;   in Loop: Header=BB78_275 Depth=1
                                        ; implicit-def: $sgpr26_sgpr27
	s_mov_b64 s[24:25], s[12:13]
	s_branch .LBB78_274
.LBB78_277:
	s_or_b64 exec, exec, s[16:17]
	v_cmp_gt_i64_e32 vcc, s[12:13], v[26:27]
	s_mov_b32 s16, 0
	v_mov_b32_e32 v45, s16
	v_cndmask_b32_e64 v44, 0, 1, vcc
.LBB78_278:
	s_or_b64 exec, exec, s[4:5]
.LBB78_279:
	v_mul_lo_u32 v1, v17, s12
	v_mul_lo_u32 v26, v16, s13
	v_mad_u64_u32 v[22:23], s[4:5], v16, s12, 0
	v_add3_u32 v23, v23, v26, v1
	s_and_b64 vcc, exec, s[2:3]
	v_lshl_add_u64 v[22:23], s[14:15], 0, v[22:23]
	s_cbranch_vccnz .LBB78_288
; %bb.280:
	global_load_ubyte v1, v[24:25], off
	global_load_ubyte v26, v[22:23], off
	v_mov_b64_e32 v[38:39], 1
	s_waitcnt vmcnt(0)
	v_cmp_eq_u16_e32 vcc, v1, v26
	s_and_saveexec_b64 s[4:5], vcc
	s_cbranch_execz .LBB78_287
; %bb.281:
	s_mov_b64 s[24:25], 1
	s_mov_b64 s[16:17], 0
                                        ; implicit-def: $sgpr18_sgpr19
	s_branch .LBB78_284
.LBB78_282:                             ;   in Loop: Header=BB78_284 Depth=1
	v_lshl_add_u64 v[26:27], v[24:25], 0, s[24:25]
	v_lshl_add_u64 v[28:29], v[22:23], 0, s[24:25]
	global_load_ubyte v1, v[26:27], off
	global_load_ubyte v30, v[28:29], off
	s_add_u32 s26, s24, 1
	s_addc_u32 s27, s25, 0
	s_andn2_b64 s[18:19], s[18:19], exec
	s_waitcnt vmcnt(0)
	v_cmp_ne_u16_e32 vcc, v1, v30
	s_and_b64 s[28:29], vcc, exec
	s_or_b64 s[18:19], s[18:19], s[28:29]
.LBB78_283:                             ;   in Loop: Header=BB78_284 Depth=1
	s_and_b64 s[28:29], exec, s[18:19]
	s_or_b64 s[16:17], s[28:29], s[16:17]
	v_mov_b64_e32 v[26:27], s[24:25]
	s_mov_b64 s[24:25], s[26:27]
	s_andn2_b64 exec, exec, s[16:17]
	s_cbranch_execz .LBB78_286
.LBB78_284:                             ; =>This Inner Loop Header: Depth=1
	s_or_b64 s[18:19], s[18:19], exec
	s_cmp_eq_u64 s[12:13], s[24:25]
	s_cbranch_scc0 .LBB78_282
; %bb.285:                              ;   in Loop: Header=BB78_284 Depth=1
                                        ; implicit-def: $sgpr26_sgpr27
	s_mov_b64 s[24:25], s[12:13]
	s_branch .LBB78_283
.LBB78_286:
	s_or_b64 exec, exec, s[16:17]
	v_cmp_gt_i64_e32 vcc, s[12:13], v[26:27]
	s_mov_b32 s16, 0
	v_mov_b32_e32 v39, s16
	v_cndmask_b32_e64 v38, 0, 1, vcc
.LBB78_287:
	s_or_b64 exec, exec, s[4:5]
.LBB78_288:
	v_mul_lo_u32 v1, v15, s12
	v_mul_lo_u32 v26, v14, s13
	v_mad_u64_u32 v[24:25], s[4:5], v14, s12, 0
	v_add3_u32 v25, v25, v26, v1
	v_mov_b64_e32 v[48:49], 0
	s_and_b64 vcc, exec, s[2:3]
	v_lshl_add_u64 v[24:25], s[14:15], 0, v[24:25]
	v_mov_b64_e32 v[46:47], v[48:49]
	s_cbranch_vccnz .LBB78_297
; %bb.289:
	global_load_ubyte v1, v[22:23], off
	global_load_ubyte v26, v[24:25], off
	v_mov_b64_e32 v[46:47], 1
	s_waitcnt vmcnt(0)
	v_cmp_eq_u16_e32 vcc, v1, v26
	s_and_saveexec_b64 s[4:5], vcc
	s_cbranch_execz .LBB78_296
; %bb.290:
	s_mov_b64 s[24:25], 1
	s_mov_b64 s[16:17], 0
                                        ; implicit-def: $sgpr18_sgpr19
	s_branch .LBB78_293
.LBB78_291:                             ;   in Loop: Header=BB78_293 Depth=1
	v_lshl_add_u64 v[26:27], v[22:23], 0, s[24:25]
	v_lshl_add_u64 v[28:29], v[24:25], 0, s[24:25]
	global_load_ubyte v1, v[26:27], off
	global_load_ubyte v30, v[28:29], off
	s_add_u32 s26, s24, 1
	s_addc_u32 s27, s25, 0
	s_andn2_b64 s[18:19], s[18:19], exec
	s_waitcnt vmcnt(0)
	v_cmp_ne_u16_e32 vcc, v1, v30
	s_and_b64 s[28:29], vcc, exec
	s_or_b64 s[18:19], s[18:19], s[28:29]
.LBB78_292:                             ;   in Loop: Header=BB78_293 Depth=1
	s_and_b64 s[28:29], exec, s[18:19]
	s_or_b64 s[16:17], s[28:29], s[16:17]
	v_mov_b64_e32 v[26:27], s[24:25]
	s_mov_b64 s[24:25], s[26:27]
	s_andn2_b64 exec, exec, s[16:17]
	s_cbranch_execz .LBB78_295
.LBB78_293:                             ; =>This Inner Loop Header: Depth=1
	s_or_b64 s[18:19], s[18:19], exec
	s_cmp_eq_u64 s[12:13], s[24:25]
	s_cbranch_scc0 .LBB78_291
; %bb.294:                              ;   in Loop: Header=BB78_293 Depth=1
                                        ; implicit-def: $sgpr26_sgpr27
	s_mov_b64 s[24:25], s[12:13]
	s_branch .LBB78_292
.LBB78_295:
	s_or_b64 exec, exec, s[16:17]
	v_cmp_gt_i64_e32 vcc, s[12:13], v[26:27]
	s_mov_b32 s16, 0
	v_mov_b32_e32 v47, s16
	v_cndmask_b32_e64 v46, 0, 1, vcc
.LBB78_296:
	s_or_b64 exec, exec, s[4:5]
.LBB78_297:
	v_mul_lo_u32 v1, v13, s12
	v_mul_lo_u32 v26, v12, s13
	v_mad_u64_u32 v[22:23], s[4:5], v12, s12, 0
	v_add3_u32 v23, v23, v26, v1
	s_and_b64 vcc, exec, s[2:3]
	v_lshl_add_u64 v[22:23], s[14:15], 0, v[22:23]
	s_cbranch_vccnz .LBB78_306
; %bb.298:
	global_load_ubyte v1, v[24:25], off
	global_load_ubyte v26, v[22:23], off
	v_mov_b64_e32 v[48:49], 1
	s_waitcnt vmcnt(0)
	v_cmp_eq_u16_e32 vcc, v1, v26
	s_and_saveexec_b64 s[4:5], vcc
	s_cbranch_execz .LBB78_305
; %bb.299:
	s_mov_b64 s[24:25], 1
	s_mov_b64 s[16:17], 0
                                        ; implicit-def: $sgpr18_sgpr19
	s_branch .LBB78_302
.LBB78_300:                             ;   in Loop: Header=BB78_302 Depth=1
	v_lshl_add_u64 v[26:27], v[24:25], 0, s[24:25]
	v_lshl_add_u64 v[28:29], v[22:23], 0, s[24:25]
	global_load_ubyte v1, v[26:27], off
	global_load_ubyte v30, v[28:29], off
	s_add_u32 s26, s24, 1
	s_addc_u32 s27, s25, 0
	s_andn2_b64 s[18:19], s[18:19], exec
	s_waitcnt vmcnt(0)
	v_cmp_ne_u16_e32 vcc, v1, v30
	s_and_b64 s[28:29], vcc, exec
	s_or_b64 s[18:19], s[18:19], s[28:29]
.LBB78_301:                             ;   in Loop: Header=BB78_302 Depth=1
	s_and_b64 s[28:29], exec, s[18:19]
	s_or_b64 s[16:17], s[28:29], s[16:17]
	v_mov_b64_e32 v[26:27], s[24:25]
	s_mov_b64 s[24:25], s[26:27]
	s_andn2_b64 exec, exec, s[16:17]
	s_cbranch_execz .LBB78_304
.LBB78_302:                             ; =>This Inner Loop Header: Depth=1
	s_or_b64 s[18:19], s[18:19], exec
	s_cmp_eq_u64 s[12:13], s[24:25]
	s_cbranch_scc0 .LBB78_300
; %bb.303:                              ;   in Loop: Header=BB78_302 Depth=1
                                        ; implicit-def: $sgpr26_sgpr27
	s_mov_b64 s[24:25], s[12:13]
	s_branch .LBB78_301
.LBB78_304:
	s_or_b64 exec, exec, s[16:17]
	v_cmp_gt_i64_e32 vcc, s[12:13], v[26:27]
	s_mov_b32 s16, 0
	v_mov_b32_e32 v49, s16
	v_cndmask_b32_e64 v48, 0, 1, vcc
.LBB78_305:
	s_or_b64 exec, exec, s[4:5]
.LBB78_306:
	v_mul_lo_u32 v1, v11, s12
	v_mul_lo_u32 v26, v10, s13
	v_mad_u64_u32 v[24:25], s[4:5], v10, s12, 0
	v_add3_u32 v25, v25, v26, v1
	v_mov_b64_e32 v[52:53], 0
	s_and_b64 vcc, exec, s[2:3]
	v_lshl_add_u64 v[24:25], s[14:15], 0, v[24:25]
	v_mov_b64_e32 v[50:51], v[52:53]
	s_cbranch_vccnz .LBB78_315
; %bb.307:
	global_load_ubyte v1, v[22:23], off
	global_load_ubyte v26, v[24:25], off
	v_mov_b64_e32 v[50:51], 1
	s_waitcnt vmcnt(0)
	v_cmp_eq_u16_e32 vcc, v1, v26
	s_and_saveexec_b64 s[4:5], vcc
	s_cbranch_execz .LBB78_314
; %bb.308:
	s_mov_b64 s[24:25], 1
	s_mov_b64 s[16:17], 0
                                        ; implicit-def: $sgpr18_sgpr19
	s_branch .LBB78_311
.LBB78_309:                             ;   in Loop: Header=BB78_311 Depth=1
	v_lshl_add_u64 v[26:27], v[22:23], 0, s[24:25]
	v_lshl_add_u64 v[28:29], v[24:25], 0, s[24:25]
	global_load_ubyte v1, v[26:27], off
	global_load_ubyte v30, v[28:29], off
	s_add_u32 s26, s24, 1
	s_addc_u32 s27, s25, 0
	s_andn2_b64 s[18:19], s[18:19], exec
	s_waitcnt vmcnt(0)
	v_cmp_ne_u16_e32 vcc, v1, v30
	s_and_b64 s[28:29], vcc, exec
	s_or_b64 s[18:19], s[18:19], s[28:29]
.LBB78_310:                             ;   in Loop: Header=BB78_311 Depth=1
	s_and_b64 s[28:29], exec, s[18:19]
	s_or_b64 s[16:17], s[28:29], s[16:17]
	v_mov_b64_e32 v[26:27], s[24:25]
	s_mov_b64 s[24:25], s[26:27]
	s_andn2_b64 exec, exec, s[16:17]
	s_cbranch_execz .LBB78_313
.LBB78_311:                             ; =>This Inner Loop Header: Depth=1
	s_or_b64 s[18:19], s[18:19], exec
	s_cmp_eq_u64 s[12:13], s[24:25]
	s_cbranch_scc0 .LBB78_309
; %bb.312:                              ;   in Loop: Header=BB78_311 Depth=1
                                        ; implicit-def: $sgpr26_sgpr27
	s_mov_b64 s[24:25], s[12:13]
	s_branch .LBB78_310
.LBB78_313:
	s_or_b64 exec, exec, s[16:17]
	v_cmp_gt_i64_e32 vcc, s[12:13], v[26:27]
	s_mov_b32 s16, 0
	v_mov_b32_e32 v51, s16
	v_cndmask_b32_e64 v50, 0, 1, vcc
.LBB78_314:
	s_or_b64 exec, exec, s[4:5]
.LBB78_315:
	v_mul_lo_u32 v1, v9, s12
	v_mul_lo_u32 v26, v8, s13
	v_mad_u64_u32 v[22:23], s[4:5], v8, s12, 0
	v_add3_u32 v23, v23, v26, v1
	s_and_b64 vcc, exec, s[2:3]
	v_lshl_add_u64 v[22:23], s[14:15], 0, v[22:23]
	s_cbranch_vccnz .LBB78_324
; %bb.316:
	global_load_ubyte v1, v[24:25], off
	global_load_ubyte v26, v[22:23], off
	v_mov_b64_e32 v[52:53], 1
	s_waitcnt vmcnt(0)
	v_cmp_eq_u16_e32 vcc, v1, v26
	s_and_saveexec_b64 s[4:5], vcc
	s_cbranch_execz .LBB78_323
; %bb.317:
	s_mov_b64 s[24:25], 1
	s_mov_b64 s[16:17], 0
                                        ; implicit-def: $sgpr18_sgpr19
	s_branch .LBB78_320
.LBB78_318:                             ;   in Loop: Header=BB78_320 Depth=1
	v_lshl_add_u64 v[26:27], v[24:25], 0, s[24:25]
	v_lshl_add_u64 v[28:29], v[22:23], 0, s[24:25]
	global_load_ubyte v1, v[26:27], off
	global_load_ubyte v30, v[28:29], off
	s_add_u32 s26, s24, 1
	s_addc_u32 s27, s25, 0
	s_andn2_b64 s[18:19], s[18:19], exec
	s_waitcnt vmcnt(0)
	v_cmp_ne_u16_e32 vcc, v1, v30
	s_and_b64 s[28:29], vcc, exec
	s_or_b64 s[18:19], s[18:19], s[28:29]
.LBB78_319:                             ;   in Loop: Header=BB78_320 Depth=1
	s_and_b64 s[28:29], exec, s[18:19]
	s_or_b64 s[16:17], s[28:29], s[16:17]
	v_mov_b64_e32 v[26:27], s[24:25]
	s_mov_b64 s[24:25], s[26:27]
	s_andn2_b64 exec, exec, s[16:17]
	s_cbranch_execz .LBB78_322
.LBB78_320:                             ; =>This Inner Loop Header: Depth=1
	s_or_b64 s[18:19], s[18:19], exec
	s_cmp_eq_u64 s[12:13], s[24:25]
	s_cbranch_scc0 .LBB78_318
; %bb.321:                              ;   in Loop: Header=BB78_320 Depth=1
                                        ; implicit-def: $sgpr26_sgpr27
	s_mov_b64 s[24:25], s[12:13]
	s_branch .LBB78_319
.LBB78_322:
	s_or_b64 exec, exec, s[16:17]
	v_cmp_gt_i64_e32 vcc, s[12:13], v[26:27]
	s_mov_b32 s16, 0
	v_mov_b32_e32 v53, s16
	v_cndmask_b32_e64 v52, 0, 1, vcc
.LBB78_323:
	s_or_b64 exec, exec, s[4:5]
.LBB78_324:
	v_mul_lo_u32 v1, v7, s12
	v_mul_lo_u32 v26, v6, s13
	v_mad_u64_u32 v[24:25], s[4:5], v6, s12, 0
	v_add3_u32 v25, v25, v26, v1
	v_mov_b64_e32 v[56:57], 0
	s_and_b64 vcc, exec, s[2:3]
	v_lshl_add_u64 v[24:25], s[14:15], 0, v[24:25]
	v_mov_b64_e32 v[54:55], v[56:57]
	s_cbranch_vccnz .LBB78_333
; %bb.325:
	global_load_ubyte v1, v[22:23], off
	global_load_ubyte v26, v[24:25], off
	v_mov_b64_e32 v[54:55], 1
	s_waitcnt vmcnt(0)
	v_cmp_eq_u16_e32 vcc, v1, v26
	s_and_saveexec_b64 s[4:5], vcc
	s_cbranch_execz .LBB78_332
; %bb.326:
	s_mov_b64 s[24:25], 1
	s_mov_b64 s[16:17], 0
                                        ; implicit-def: $sgpr18_sgpr19
	s_branch .LBB78_329
.LBB78_327:                             ;   in Loop: Header=BB78_329 Depth=1
	v_lshl_add_u64 v[26:27], v[22:23], 0, s[24:25]
	v_lshl_add_u64 v[28:29], v[24:25], 0, s[24:25]
	global_load_ubyte v1, v[26:27], off
	global_load_ubyte v30, v[28:29], off
	s_add_u32 s26, s24, 1
	s_addc_u32 s27, s25, 0
	s_andn2_b64 s[18:19], s[18:19], exec
	s_waitcnt vmcnt(0)
	v_cmp_ne_u16_e32 vcc, v1, v30
	s_and_b64 s[28:29], vcc, exec
	s_or_b64 s[18:19], s[18:19], s[28:29]
.LBB78_328:                             ;   in Loop: Header=BB78_329 Depth=1
	s_and_b64 s[28:29], exec, s[18:19]
	s_or_b64 s[16:17], s[28:29], s[16:17]
	v_mov_b64_e32 v[26:27], s[24:25]
	s_mov_b64 s[24:25], s[26:27]
	s_andn2_b64 exec, exec, s[16:17]
	s_cbranch_execz .LBB78_331
.LBB78_329:                             ; =>This Inner Loop Header: Depth=1
	s_or_b64 s[18:19], s[18:19], exec
	s_cmp_eq_u64 s[12:13], s[24:25]
	s_cbranch_scc0 .LBB78_327
; %bb.330:                              ;   in Loop: Header=BB78_329 Depth=1
                                        ; implicit-def: $sgpr26_sgpr27
	s_mov_b64 s[24:25], s[12:13]
	s_branch .LBB78_328
.LBB78_331:
	s_or_b64 exec, exec, s[16:17]
	v_cmp_gt_i64_e32 vcc, s[12:13], v[26:27]
	s_mov_b32 s16, 0
	v_mov_b32_e32 v55, s16
	v_cndmask_b32_e64 v54, 0, 1, vcc
.LBB78_332:
	s_or_b64 exec, exec, s[4:5]
.LBB78_333:
	v_mul_lo_u32 v1, v5, s12
	v_mul_lo_u32 v26, v4, s13
	v_mad_u64_u32 v[22:23], s[4:5], v4, s12, 0
	v_add3_u32 v23, v23, v26, v1
	s_and_b64 vcc, exec, s[2:3]
	v_lshl_add_u64 v[22:23], s[14:15], 0, v[22:23]
	s_cbranch_vccnz .LBB78_342
; %bb.334:
	global_load_ubyte v1, v[24:25], off
	global_load_ubyte v26, v[22:23], off
	v_mov_b64_e32 v[56:57], 1
	s_waitcnt vmcnt(0)
	v_cmp_eq_u16_e32 vcc, v1, v26
	s_and_saveexec_b64 s[4:5], vcc
	s_cbranch_execz .LBB78_341
; %bb.335:
	s_mov_b64 s[24:25], 1
	s_mov_b64 s[16:17], 0
                                        ; implicit-def: $sgpr18_sgpr19
	s_branch .LBB78_338
.LBB78_336:                             ;   in Loop: Header=BB78_338 Depth=1
	v_lshl_add_u64 v[26:27], v[24:25], 0, s[24:25]
	v_lshl_add_u64 v[28:29], v[22:23], 0, s[24:25]
	global_load_ubyte v1, v[26:27], off
	global_load_ubyte v30, v[28:29], off
	s_add_u32 s26, s24, 1
	s_addc_u32 s27, s25, 0
	s_andn2_b64 s[18:19], s[18:19], exec
	s_waitcnt vmcnt(0)
	v_cmp_ne_u16_e32 vcc, v1, v30
	s_and_b64 s[28:29], vcc, exec
	s_or_b64 s[18:19], s[18:19], s[28:29]
.LBB78_337:                             ;   in Loop: Header=BB78_338 Depth=1
	s_and_b64 s[28:29], exec, s[18:19]
	s_or_b64 s[16:17], s[28:29], s[16:17]
	v_mov_b64_e32 v[26:27], s[24:25]
	s_mov_b64 s[24:25], s[26:27]
	s_andn2_b64 exec, exec, s[16:17]
	s_cbranch_execz .LBB78_340
.LBB78_338:                             ; =>This Inner Loop Header: Depth=1
	s_or_b64 s[18:19], s[18:19], exec
	s_cmp_eq_u64 s[12:13], s[24:25]
	s_cbranch_scc0 .LBB78_336
; %bb.339:                              ;   in Loop: Header=BB78_338 Depth=1
                                        ; implicit-def: $sgpr26_sgpr27
	s_mov_b64 s[24:25], s[12:13]
	s_branch .LBB78_337
.LBB78_340:
	s_or_b64 exec, exec, s[16:17]
	v_cmp_gt_i64_e32 vcc, s[12:13], v[26:27]
	s_mov_b32 s16, 0
	v_mov_b32_e32 v57, s16
	v_cndmask_b32_e64 v56, 0, 1, vcc
.LBB78_341:
	s_or_b64 exec, exec, s[4:5]
.LBB78_342:
	s_and_b64 vcc, exec, s[2:3]
	s_cbranch_vccnz .LBB78_349
; %bb.343:
	v_mov_b64_e32 v[24:25], s[14:15]
	v_mad_u64_u32 v[24:25], s[4:5], v2, s12, v[24:25]
	v_mul_lo_u32 v1, v2, s13
	v_mul_lo_u32 v26, v3, s12
	v_add3_u32 v25, v26, v25, v1
	global_load_ubyte v1, v[22:23], off
	global_load_ubyte v26, v[24:25], off
	v_mov_b64_e32 v[58:59], 1
	s_waitcnt vmcnt(0)
	v_cmp_eq_u16_e32 vcc, v1, v26
	s_and_saveexec_b64 s[4:5], vcc
	s_cbranch_execz .LBB78_351
; %bb.344:
	s_mov_b64 s[24:25], 1
	s_mov_b64 s[16:17], 0
                                        ; implicit-def: $sgpr18_sgpr19
	s_branch .LBB78_347
.LBB78_345:                             ;   in Loop: Header=BB78_347 Depth=1
	v_lshl_add_u64 v[26:27], v[22:23], 0, s[24:25]
	v_lshl_add_u64 v[28:29], v[24:25], 0, s[24:25]
	global_load_ubyte v1, v[26:27], off
	global_load_ubyte v30, v[28:29], off
	s_add_u32 s26, s24, 1
	s_addc_u32 s27, s25, 0
	s_andn2_b64 s[18:19], s[18:19], exec
	s_waitcnt vmcnt(0)
	v_cmp_ne_u16_e32 vcc, v1, v30
	s_and_b64 s[28:29], vcc, exec
	s_or_b64 s[18:19], s[18:19], s[28:29]
.LBB78_346:                             ;   in Loop: Header=BB78_347 Depth=1
	s_and_b64 s[28:29], exec, s[18:19]
	s_or_b64 s[16:17], s[28:29], s[16:17]
	v_mov_b64_e32 v[26:27], s[24:25]
	s_mov_b64 s[24:25], s[26:27]
	s_andn2_b64 exec, exec, s[16:17]
	s_cbranch_execz .LBB78_350
.LBB78_347:                             ; =>This Inner Loop Header: Depth=1
	s_or_b64 s[18:19], s[18:19], exec
	s_cmp_eq_u64 s[12:13], s[24:25]
	s_cbranch_scc0 .LBB78_345
; %bb.348:                              ;   in Loop: Header=BB78_347 Depth=1
                                        ; implicit-def: $sgpr26_sgpr27
	s_mov_b64 s[24:25], s[12:13]
	s_branch .LBB78_346
.LBB78_349:
	v_mov_b64_e32 v[58:59], 0
	s_branch .LBB78_352
.LBB78_350:
	s_or_b64 exec, exec, s[16:17]
	v_cmp_gt_i64_e32 vcc, s[12:13], v[26:27]
	s_mov_b32 s16, 0
	v_mov_b32_e32 v59, s16
	v_cndmask_b32_e64 v58, 0, 1, vcc
.LBB78_351:
	s_or_b64 exec, exec, s[4:5]
.LBB78_352:
	v_cmp_ne_u32_e32 vcc, 0, v0
	s_waitcnt lgkmcnt(0)
	s_barrier
	s_waitcnt lgkmcnt(0)
                                        ; implicit-def: $sgpr18_sgpr19
	s_and_saveexec_b64 s[4:5], vcc
	s_cbranch_execz .LBB78_364
; %bb.353:
	s_and_b64 vcc, exec, s[2:3]
	s_cbranch_vccnz .LBB78_360
; %bb.354:
	v_add_u32_e32 v1, -8, v40
	ds_read_b64 v[24:25], v1
	v_mov_b64_e32 v[26:27], s[14:15]
	v_mad_u64_u32 v[22:23], s[2:3], v2, s12, v[26:27]
	v_mul_lo_u32 v1, v2, s13
	v_mul_lo_u32 v28, v3, s12
	v_add3_u32 v23, v28, v23, v1
	s_waitcnt lgkmcnt(0)
	v_mul_lo_u32 v1, v24, s13
	v_mul_lo_u32 v28, v25, s12
	v_mad_u64_u32 v[24:25], s[2:3], v24, s12, v[26:27]
	v_add3_u32 v25, v28, v25, v1
	global_load_ubyte v1, v[22:23], off
	global_load_ubyte v26, v[24:25], off
	s_mov_b64 s[16:17], -1
	s_waitcnt vmcnt(0)
	v_cmp_eq_u16_e32 vcc, v1, v26
	s_and_saveexec_b64 s[2:3], vcc
	s_cbranch_execz .LBB78_362
; %bb.355:
	s_mov_b64 s[24:25], 1
	s_mov_b64 s[16:17], 0
                                        ; implicit-def: $sgpr18_sgpr19
	s_branch .LBB78_358
.LBB78_356:                             ;   in Loop: Header=BB78_358 Depth=1
	v_lshl_add_u64 v[26:27], v[22:23], 0, s[24:25]
	v_lshl_add_u64 v[28:29], v[24:25], 0, s[24:25]
	global_load_ubyte v1, v[26:27], off
	global_load_ubyte v30, v[28:29], off
	s_add_u32 s26, s24, 1
	s_addc_u32 s27, s25, 0
	s_andn2_b64 s[18:19], s[18:19], exec
	s_waitcnt vmcnt(0)
	v_cmp_ne_u16_e32 vcc, v1, v30
	s_and_b64 s[28:29], vcc, exec
	s_or_b64 s[18:19], s[18:19], s[28:29]
.LBB78_357:                             ;   in Loop: Header=BB78_358 Depth=1
	s_and_b64 s[28:29], exec, s[18:19]
	s_or_b64 s[16:17], s[28:29], s[16:17]
	v_mov_b64_e32 v[26:27], s[24:25]
	s_mov_b64 s[24:25], s[26:27]
	s_andn2_b64 exec, exec, s[16:17]
	s_cbranch_execz .LBB78_361
.LBB78_358:                             ; =>This Inner Loop Header: Depth=1
	s_or_b64 s[18:19], s[18:19], exec
	s_cmp_eq_u64 s[12:13], s[24:25]
	s_cbranch_scc0 .LBB78_356
; %bb.359:                              ;   in Loop: Header=BB78_358 Depth=1
                                        ; implicit-def: $sgpr26_sgpr27
	s_mov_b64 s[24:25], s[12:13]
	s_branch .LBB78_357
.LBB78_360:
	s_mov_b64 s[16:17], 0
	s_branch .LBB78_363
.LBB78_361:
	s_or_b64 exec, exec, s[16:17]
	v_cmp_gt_i64_e32 vcc, s[12:13], v[26:27]
	s_orn2_b64 s[16:17], vcc, exec
.LBB78_362:
	s_or_b64 exec, exec, s[2:3]
.LBB78_363:
	s_and_b64 s[18:19], s[16:17], exec
	s_or_b64 s[22:23], s[22:23], exec
.LBB78_364:
	s_or_b64 exec, exec, s[4:5]
	v_mov_b64_e32 v[60:61], v[44:45]
	v_mov_b64_e32 v[22:23], v[38:39]
	;; [unrolled: 1-line block ×9, first 2 shown]
	s_branch .LBB78_488
.LBB78_365:
	v_mad_u32_u24 v22, v0, 11, 10
	v_cmp_gt_i64_e64 s[2:3], s[12:13], 0
	v_cmp_gt_u32_e32 vcc, s10, v22
	v_mul_u32_u24_e32 v1, 11, v0
	v_cndmask_b32_e64 v22, 0, 1, s[2:3]
	v_cmp_ne_u32_e64 s[2:3], 1, v22
	ds_write_b64 v40, v[36:37]
	s_and_saveexec_b64 s[4:5], vcc
	s_cbranch_execz .LBB78_376
; %bb.366:
	s_and_b64 vcc, exec, s[2:3]
	s_cbranch_vccnz .LBB78_373
; %bb.367:
	v_mov_b64_e32 v[24:25], s[14:15]
	s_waitcnt lgkmcnt(0)
	v_mad_u64_u32 v[22:23], s[16:17], v36, s12, v[24:25]
	v_mul_lo_u32 v26, v36, s13
	v_mul_lo_u32 v27, v37, s12
	v_add3_u32 v23, v27, v23, v26
	v_mad_u64_u32 v[24:25], s[16:17], v20, s12, v[24:25]
	v_mul_lo_u32 v26, v20, s13
	v_mul_lo_u32 v27, v21, s12
	v_add3_u32 v25, v27, v25, v26
	global_load_ubyte v26, v[22:23], off
	global_load_ubyte v27, v[24:25], off
	v_mov_b64_e32 v[36:37], 1
	s_waitcnt vmcnt(0)
	v_cmp_eq_u16_e32 vcc, v26, v27
	s_and_saveexec_b64 s[16:17], vcc
	s_cbranch_execz .LBB78_375
; %bb.368:
	s_mov_b64 s[26:27], 1
	s_mov_b64 s[18:19], 0
                                        ; implicit-def: $sgpr24_sgpr25
	s_branch .LBB78_371
.LBB78_369:                             ;   in Loop: Header=BB78_371 Depth=1
	v_lshl_add_u64 v[26:27], v[22:23], 0, s[26:27]
	v_lshl_add_u64 v[28:29], v[24:25], 0, s[26:27]
	global_load_ubyte v30, v[26:27], off
	global_load_ubyte v31, v[28:29], off
	s_add_u32 s28, s26, 1
	s_addc_u32 s29, s27, 0
	s_andn2_b64 s[24:25], s[24:25], exec
	s_waitcnt vmcnt(0)
	v_cmp_ne_u16_e32 vcc, v30, v31
	s_and_b64 s[30:31], vcc, exec
	s_or_b64 s[24:25], s[24:25], s[30:31]
.LBB78_370:                             ;   in Loop: Header=BB78_371 Depth=1
	s_and_b64 s[30:31], exec, s[24:25]
	s_or_b64 s[18:19], s[30:31], s[18:19]
	v_mov_b64_e32 v[26:27], s[26:27]
	s_mov_b64 s[26:27], s[28:29]
	s_andn2_b64 exec, exec, s[18:19]
	s_cbranch_execz .LBB78_374
.LBB78_371:                             ; =>This Inner Loop Header: Depth=1
	s_or_b64 s[24:25], s[24:25], exec
	s_cmp_eq_u64 s[12:13], s[26:27]
	s_cbranch_scc0 .LBB78_369
; %bb.372:                              ;   in Loop: Header=BB78_371 Depth=1
                                        ; implicit-def: $sgpr28_sgpr29
	s_mov_b64 s[26:27], s[12:13]
	s_branch .LBB78_370
.LBB78_373:
	v_mov_b64_e32 v[36:37], 0
	s_branch .LBB78_376
.LBB78_374:
	s_or_b64 exec, exec, s[18:19]
	v_cmp_gt_i64_e32 vcc, s[12:13], v[26:27]
	s_mov_b32 s18, 0
	v_mov_b32_e32 v37, s18
	v_cndmask_b32_e64 v36, 0, 1, vcc
.LBB78_375:
	s_or_b64 exec, exec, s[16:17]
.LBB78_376:
	s_or_b64 exec, exec, s[4:5]
	v_add_u32_e32 v22, 9, v1
	v_cmp_gt_u32_e32 vcc, s10, v22
	s_and_saveexec_b64 s[4:5], vcc
	s_cbranch_execz .LBB78_387
; %bb.377:
	s_and_b64 vcc, exec, s[2:3]
	s_cbranch_vccnz .LBB78_384
; %bb.378:
	v_mov_b64_e32 v[24:25], s[14:15]
	s_waitcnt lgkmcnt(0)
	v_mad_u64_u32 v[22:23], s[16:17], v20, s12, v[24:25]
	v_mul_lo_u32 v20, v20, s13
	v_mul_lo_u32 v21, v21, s12
	v_add3_u32 v23, v21, v23, v20
	v_mad_u64_u32 v[24:25], s[16:17], v18, s12, v[24:25]
	v_mul_lo_u32 v20, v18, s13
	v_mul_lo_u32 v21, v19, s12
	v_add3_u32 v25, v21, v25, v20
	global_load_ubyte v20, v[22:23], off
	global_load_ubyte v21, v[24:25], off
	s_waitcnt vmcnt(0)
	v_cmp_eq_u16_e32 vcc, v20, v21
	v_mov_b64_e32 v[20:21], 1
	s_and_saveexec_b64 s[16:17], vcc
	s_cbranch_execz .LBB78_386
; %bb.379:
	s_mov_b64 s[26:27], 1
	s_mov_b64 s[18:19], 0
                                        ; implicit-def: $sgpr24_sgpr25
	s_branch .LBB78_382
.LBB78_380:                             ;   in Loop: Header=BB78_382 Depth=1
	v_lshl_add_u64 v[20:21], v[22:23], 0, s[26:27]
	v_lshl_add_u64 v[26:27], v[24:25], 0, s[26:27]
	global_load_ubyte v28, v[20:21], off
	global_load_ubyte v29, v[26:27], off
	s_add_u32 s28, s26, 1
	s_addc_u32 s29, s27, 0
	s_andn2_b64 s[24:25], s[24:25], exec
	s_waitcnt vmcnt(0)
	v_cmp_ne_u16_e32 vcc, v28, v29
	s_and_b64 s[30:31], vcc, exec
	s_or_b64 s[24:25], s[24:25], s[30:31]
.LBB78_381:                             ;   in Loop: Header=BB78_382 Depth=1
	s_and_b64 s[30:31], exec, s[24:25]
	s_or_b64 s[18:19], s[30:31], s[18:19]
	v_mov_b64_e32 v[20:21], s[26:27]
	s_mov_b64 s[26:27], s[28:29]
	s_andn2_b64 exec, exec, s[18:19]
	s_cbranch_execz .LBB78_385
.LBB78_382:                             ; =>This Inner Loop Header: Depth=1
	s_or_b64 s[24:25], s[24:25], exec
	s_cmp_eq_u64 s[12:13], s[26:27]
	s_cbranch_scc0 .LBB78_380
; %bb.383:                              ;   in Loop: Header=BB78_382 Depth=1
                                        ; implicit-def: $sgpr28_sgpr29
	s_mov_b64 s[26:27], s[12:13]
	s_branch .LBB78_381
.LBB78_384:
	v_mov_b64_e32 v[20:21], 0
	s_branch .LBB78_387
.LBB78_385:
	s_or_b64 exec, exec, s[18:19]
	v_cmp_gt_i64_e32 vcc, s[12:13], v[20:21]
	s_mov_b32 s18, 0
	v_mov_b32_e32 v21, s18
	v_cndmask_b32_e64 v20, 0, 1, vcc
.LBB78_386:
	s_or_b64 exec, exec, s[16:17]
.LBB78_387:
	s_or_b64 exec, exec, s[4:5]
	v_add_u32_e32 v22, 8, v1
	v_cmp_gt_u32_e32 vcc, s10, v22
	s_and_saveexec_b64 s[4:5], vcc
	s_cbranch_execz .LBB78_398
; %bb.388:
	s_and_b64 vcc, exec, s[2:3]
	s_cbranch_vccnz .LBB78_395
; %bb.389:
	v_mov_b64_e32 v[24:25], s[14:15]
	s_waitcnt lgkmcnt(0)
	v_mad_u64_u32 v[22:23], s[16:17], v18, s12, v[24:25]
	v_mul_lo_u32 v18, v18, s13
	v_mul_lo_u32 v19, v19, s12
	v_add3_u32 v23, v19, v23, v18
	v_mad_u64_u32 v[24:25], s[16:17], v16, s12, v[24:25]
	v_mul_lo_u32 v18, v16, s13
	v_mul_lo_u32 v19, v17, s12
	v_add3_u32 v25, v19, v25, v18
	global_load_ubyte v18, v[22:23], off
	global_load_ubyte v19, v[24:25], off
	s_waitcnt vmcnt(0)
	v_cmp_eq_u16_e32 vcc, v18, v19
	v_mov_b64_e32 v[18:19], 1
	s_and_saveexec_b64 s[16:17], vcc
	s_cbranch_execz .LBB78_397
; %bb.390:
	s_mov_b64 s[26:27], 1
	s_mov_b64 s[18:19], 0
                                        ; implicit-def: $sgpr24_sgpr25
	s_branch .LBB78_393
.LBB78_391:                             ;   in Loop: Header=BB78_393 Depth=1
	v_lshl_add_u64 v[18:19], v[22:23], 0, s[26:27]
	v_lshl_add_u64 v[26:27], v[24:25], 0, s[26:27]
	global_load_ubyte v28, v[18:19], off
	global_load_ubyte v29, v[26:27], off
	s_add_u32 s28, s26, 1
	s_addc_u32 s29, s27, 0
	s_andn2_b64 s[24:25], s[24:25], exec
	s_waitcnt vmcnt(0)
	v_cmp_ne_u16_e32 vcc, v28, v29
	s_and_b64 s[30:31], vcc, exec
	s_or_b64 s[24:25], s[24:25], s[30:31]
.LBB78_392:                             ;   in Loop: Header=BB78_393 Depth=1
	s_and_b64 s[30:31], exec, s[24:25]
	s_or_b64 s[18:19], s[30:31], s[18:19]
	v_mov_b64_e32 v[18:19], s[26:27]
	s_mov_b64 s[26:27], s[28:29]
	s_andn2_b64 exec, exec, s[18:19]
	s_cbranch_execz .LBB78_396
.LBB78_393:                             ; =>This Inner Loop Header: Depth=1
	s_or_b64 s[24:25], s[24:25], exec
	s_cmp_eq_u64 s[12:13], s[26:27]
	s_cbranch_scc0 .LBB78_391
; %bb.394:                              ;   in Loop: Header=BB78_393 Depth=1
                                        ; implicit-def: $sgpr28_sgpr29
	s_mov_b64 s[26:27], s[12:13]
	s_branch .LBB78_392
.LBB78_395:
	v_mov_b64_e32 v[18:19], 0
	s_branch .LBB78_398
.LBB78_396:
	s_or_b64 exec, exec, s[18:19]
	v_cmp_gt_i64_e32 vcc, s[12:13], v[18:19]
	s_mov_b32 s18, 0
	v_mov_b32_e32 v19, s18
	v_cndmask_b32_e64 v18, 0, 1, vcc
.LBB78_397:
	s_or_b64 exec, exec, s[16:17]
.LBB78_398:
	s_or_b64 exec, exec, s[4:5]
	v_add_u32_e32 v22, 7, v1
	v_cmp_gt_u32_e32 vcc, s10, v22
	s_and_saveexec_b64 s[4:5], vcc
	s_cbranch_execz .LBB78_409
; %bb.399:
	s_and_b64 vcc, exec, s[2:3]
	s_cbranch_vccnz .LBB78_406
; %bb.400:
	v_mov_b64_e32 v[24:25], s[14:15]
	s_waitcnt lgkmcnt(0)
	v_mad_u64_u32 v[22:23], s[16:17], v16, s12, v[24:25]
	v_mul_lo_u32 v16, v16, s13
	v_mul_lo_u32 v17, v17, s12
	v_add3_u32 v23, v17, v23, v16
	v_mad_u64_u32 v[24:25], s[16:17], v14, s12, v[24:25]
	v_mul_lo_u32 v16, v14, s13
	v_mul_lo_u32 v17, v15, s12
	v_add3_u32 v25, v17, v25, v16
	global_load_ubyte v16, v[22:23], off
	global_load_ubyte v17, v[24:25], off
	s_waitcnt vmcnt(0)
	v_cmp_eq_u16_e32 vcc, v16, v17
	v_mov_b64_e32 v[16:17], 1
	s_and_saveexec_b64 s[16:17], vcc
	s_cbranch_execz .LBB78_408
; %bb.401:
	s_mov_b64 s[26:27], 1
	s_mov_b64 s[18:19], 0
                                        ; implicit-def: $sgpr24_sgpr25
	s_branch .LBB78_404
.LBB78_402:                             ;   in Loop: Header=BB78_404 Depth=1
	v_lshl_add_u64 v[16:17], v[22:23], 0, s[26:27]
	v_lshl_add_u64 v[26:27], v[24:25], 0, s[26:27]
	global_load_ubyte v28, v[16:17], off
	global_load_ubyte v29, v[26:27], off
	s_add_u32 s28, s26, 1
	s_addc_u32 s29, s27, 0
	s_andn2_b64 s[24:25], s[24:25], exec
	s_waitcnt vmcnt(0)
	v_cmp_ne_u16_e32 vcc, v28, v29
	s_and_b64 s[30:31], vcc, exec
	s_or_b64 s[24:25], s[24:25], s[30:31]
.LBB78_403:                             ;   in Loop: Header=BB78_404 Depth=1
	s_and_b64 s[30:31], exec, s[24:25]
	s_or_b64 s[18:19], s[30:31], s[18:19]
	v_mov_b64_e32 v[16:17], s[26:27]
	s_mov_b64 s[26:27], s[28:29]
	s_andn2_b64 exec, exec, s[18:19]
	s_cbranch_execz .LBB78_407
.LBB78_404:                             ; =>This Inner Loop Header: Depth=1
	s_or_b64 s[24:25], s[24:25], exec
	s_cmp_eq_u64 s[12:13], s[26:27]
	s_cbranch_scc0 .LBB78_402
; %bb.405:                              ;   in Loop: Header=BB78_404 Depth=1
                                        ; implicit-def: $sgpr28_sgpr29
	s_mov_b64 s[26:27], s[12:13]
	s_branch .LBB78_403
.LBB78_406:
	v_mov_b64_e32 v[16:17], 0
	s_branch .LBB78_409
.LBB78_407:
	s_or_b64 exec, exec, s[18:19]
	v_cmp_gt_i64_e32 vcc, s[12:13], v[16:17]
	s_mov_b32 s18, 0
	v_mov_b32_e32 v17, s18
	v_cndmask_b32_e64 v16, 0, 1, vcc
.LBB78_408:
	s_or_b64 exec, exec, s[16:17]
.LBB78_409:
	s_or_b64 exec, exec, s[4:5]
	v_add_u32_e32 v22, 6, v1
	v_cmp_gt_u32_e32 vcc, s10, v22
	s_and_saveexec_b64 s[4:5], vcc
	s_cbranch_execz .LBB78_420
; %bb.410:
	s_and_b64 vcc, exec, s[2:3]
	s_cbranch_vccnz .LBB78_417
; %bb.411:
	v_mov_b64_e32 v[24:25], s[14:15]
	s_waitcnt lgkmcnt(0)
	v_mad_u64_u32 v[22:23], s[16:17], v14, s12, v[24:25]
	v_mul_lo_u32 v14, v14, s13
	v_mul_lo_u32 v15, v15, s12
	v_add3_u32 v23, v15, v23, v14
	v_mad_u64_u32 v[24:25], s[16:17], v12, s12, v[24:25]
	v_mul_lo_u32 v14, v12, s13
	v_mul_lo_u32 v15, v13, s12
	v_add3_u32 v25, v15, v25, v14
	global_load_ubyte v14, v[22:23], off
	global_load_ubyte v15, v[24:25], off
	s_waitcnt vmcnt(0)
	v_cmp_eq_u16_e32 vcc, v14, v15
	v_mov_b64_e32 v[14:15], 1
	s_and_saveexec_b64 s[16:17], vcc
	s_cbranch_execz .LBB78_419
; %bb.412:
	s_mov_b64 s[26:27], 1
	s_mov_b64 s[18:19], 0
                                        ; implicit-def: $sgpr24_sgpr25
	s_branch .LBB78_415
.LBB78_413:                             ;   in Loop: Header=BB78_415 Depth=1
	v_lshl_add_u64 v[14:15], v[22:23], 0, s[26:27]
	v_lshl_add_u64 v[26:27], v[24:25], 0, s[26:27]
	global_load_ubyte v28, v[14:15], off
	global_load_ubyte v29, v[26:27], off
	s_add_u32 s28, s26, 1
	s_addc_u32 s29, s27, 0
	s_andn2_b64 s[24:25], s[24:25], exec
	s_waitcnt vmcnt(0)
	v_cmp_ne_u16_e32 vcc, v28, v29
	s_and_b64 s[30:31], vcc, exec
	s_or_b64 s[24:25], s[24:25], s[30:31]
.LBB78_414:                             ;   in Loop: Header=BB78_415 Depth=1
	s_and_b64 s[30:31], exec, s[24:25]
	s_or_b64 s[18:19], s[30:31], s[18:19]
	v_mov_b64_e32 v[14:15], s[26:27]
	s_mov_b64 s[26:27], s[28:29]
	s_andn2_b64 exec, exec, s[18:19]
	s_cbranch_execz .LBB78_418
.LBB78_415:                             ; =>This Inner Loop Header: Depth=1
	s_or_b64 s[24:25], s[24:25], exec
	s_cmp_eq_u64 s[12:13], s[26:27]
	s_cbranch_scc0 .LBB78_413
; %bb.416:                              ;   in Loop: Header=BB78_415 Depth=1
                                        ; implicit-def: $sgpr28_sgpr29
	s_mov_b64 s[26:27], s[12:13]
	s_branch .LBB78_414
.LBB78_417:
	v_mov_b64_e32 v[14:15], 0
	s_branch .LBB78_420
.LBB78_418:
	s_or_b64 exec, exec, s[18:19]
	v_cmp_gt_i64_e32 vcc, s[12:13], v[14:15]
	s_mov_b32 s18, 0
	v_mov_b32_e32 v15, s18
	v_cndmask_b32_e64 v14, 0, 1, vcc
.LBB78_419:
	s_or_b64 exec, exec, s[16:17]
.LBB78_420:
	s_or_b64 exec, exec, s[4:5]
	v_add_u32_e32 v22, 5, v1
	v_cmp_gt_u32_e32 vcc, s10, v22
	s_and_saveexec_b64 s[4:5], vcc
	s_cbranch_execz .LBB78_431
; %bb.421:
	s_and_b64 vcc, exec, s[2:3]
	s_cbranch_vccnz .LBB78_428
; %bb.422:
	v_mov_b64_e32 v[24:25], s[14:15]
	s_waitcnt lgkmcnt(0)
	v_mad_u64_u32 v[22:23], s[16:17], v12, s12, v[24:25]
	v_mul_lo_u32 v12, v12, s13
	v_mul_lo_u32 v13, v13, s12
	v_add3_u32 v23, v13, v23, v12
	v_mad_u64_u32 v[24:25], s[16:17], v10, s12, v[24:25]
	v_mul_lo_u32 v12, v10, s13
	v_mul_lo_u32 v13, v11, s12
	v_add3_u32 v25, v13, v25, v12
	global_load_ubyte v12, v[22:23], off
	global_load_ubyte v13, v[24:25], off
	s_waitcnt vmcnt(0)
	v_cmp_eq_u16_e32 vcc, v12, v13
	v_mov_b64_e32 v[12:13], 1
	s_and_saveexec_b64 s[16:17], vcc
	s_cbranch_execz .LBB78_430
; %bb.423:
	s_mov_b64 s[26:27], 1
	s_mov_b64 s[18:19], 0
                                        ; implicit-def: $sgpr24_sgpr25
	s_branch .LBB78_426
.LBB78_424:                             ;   in Loop: Header=BB78_426 Depth=1
	v_lshl_add_u64 v[12:13], v[22:23], 0, s[26:27]
	v_lshl_add_u64 v[26:27], v[24:25], 0, s[26:27]
	global_load_ubyte v28, v[12:13], off
	global_load_ubyte v29, v[26:27], off
	s_add_u32 s28, s26, 1
	s_addc_u32 s29, s27, 0
	s_andn2_b64 s[24:25], s[24:25], exec
	s_waitcnt vmcnt(0)
	v_cmp_ne_u16_e32 vcc, v28, v29
	s_and_b64 s[30:31], vcc, exec
	s_or_b64 s[24:25], s[24:25], s[30:31]
.LBB78_425:                             ;   in Loop: Header=BB78_426 Depth=1
	s_and_b64 s[30:31], exec, s[24:25]
	s_or_b64 s[18:19], s[30:31], s[18:19]
	v_mov_b64_e32 v[12:13], s[26:27]
	s_mov_b64 s[26:27], s[28:29]
	s_andn2_b64 exec, exec, s[18:19]
	s_cbranch_execz .LBB78_429
.LBB78_426:                             ; =>This Inner Loop Header: Depth=1
	s_or_b64 s[24:25], s[24:25], exec
	s_cmp_eq_u64 s[12:13], s[26:27]
	s_cbranch_scc0 .LBB78_424
; %bb.427:                              ;   in Loop: Header=BB78_426 Depth=1
                                        ; implicit-def: $sgpr28_sgpr29
	s_mov_b64 s[26:27], s[12:13]
	s_branch .LBB78_425
.LBB78_428:
	v_mov_b64_e32 v[12:13], 0
	s_branch .LBB78_431
.LBB78_429:
	s_or_b64 exec, exec, s[18:19]
	v_cmp_gt_i64_e32 vcc, s[12:13], v[12:13]
	s_mov_b32 s18, 0
	v_mov_b32_e32 v13, s18
	v_cndmask_b32_e64 v12, 0, 1, vcc
.LBB78_430:
	s_or_b64 exec, exec, s[16:17]
.LBB78_431:
	s_or_b64 exec, exec, s[4:5]
	v_add_u32_e32 v22, 4, v1
	v_cmp_gt_u32_e32 vcc, s10, v22
	s_and_saveexec_b64 s[4:5], vcc
	s_cbranch_execz .LBB78_442
; %bb.432:
	s_and_b64 vcc, exec, s[2:3]
	s_cbranch_vccnz .LBB78_439
; %bb.433:
	v_mov_b64_e32 v[24:25], s[14:15]
	s_waitcnt lgkmcnt(0)
	v_mad_u64_u32 v[22:23], s[16:17], v10, s12, v[24:25]
	v_mul_lo_u32 v10, v10, s13
	v_mul_lo_u32 v11, v11, s12
	v_add3_u32 v23, v11, v23, v10
	v_mad_u64_u32 v[24:25], s[16:17], v8, s12, v[24:25]
	v_mul_lo_u32 v10, v8, s13
	v_mul_lo_u32 v11, v9, s12
	v_add3_u32 v25, v11, v25, v10
	global_load_ubyte v10, v[22:23], off
	global_load_ubyte v11, v[24:25], off
	s_waitcnt vmcnt(0)
	v_cmp_eq_u16_e32 vcc, v10, v11
	v_mov_b64_e32 v[10:11], 1
	s_and_saveexec_b64 s[16:17], vcc
	s_cbranch_execz .LBB78_441
; %bb.434:
	s_mov_b64 s[26:27], 1
	s_mov_b64 s[18:19], 0
                                        ; implicit-def: $sgpr24_sgpr25
	s_branch .LBB78_437
.LBB78_435:                             ;   in Loop: Header=BB78_437 Depth=1
	v_lshl_add_u64 v[10:11], v[22:23], 0, s[26:27]
	v_lshl_add_u64 v[26:27], v[24:25], 0, s[26:27]
	global_load_ubyte v28, v[10:11], off
	global_load_ubyte v29, v[26:27], off
	s_add_u32 s28, s26, 1
	s_addc_u32 s29, s27, 0
	s_andn2_b64 s[24:25], s[24:25], exec
	s_waitcnt vmcnt(0)
	v_cmp_ne_u16_e32 vcc, v28, v29
	s_and_b64 s[30:31], vcc, exec
	s_or_b64 s[24:25], s[24:25], s[30:31]
.LBB78_436:                             ;   in Loop: Header=BB78_437 Depth=1
	s_and_b64 s[30:31], exec, s[24:25]
	s_or_b64 s[18:19], s[30:31], s[18:19]
	v_mov_b64_e32 v[10:11], s[26:27]
	s_mov_b64 s[26:27], s[28:29]
	s_andn2_b64 exec, exec, s[18:19]
	s_cbranch_execz .LBB78_440
.LBB78_437:                             ; =>This Inner Loop Header: Depth=1
	s_or_b64 s[24:25], s[24:25], exec
	s_cmp_eq_u64 s[12:13], s[26:27]
	s_cbranch_scc0 .LBB78_435
; %bb.438:                              ;   in Loop: Header=BB78_437 Depth=1
                                        ; implicit-def: $sgpr28_sgpr29
	s_mov_b64 s[26:27], s[12:13]
	s_branch .LBB78_436
.LBB78_439:
	v_mov_b64_e32 v[10:11], 0
	s_branch .LBB78_442
.LBB78_440:
	s_or_b64 exec, exec, s[18:19]
	v_cmp_gt_i64_e32 vcc, s[12:13], v[10:11]
	s_mov_b32 s18, 0
	v_mov_b32_e32 v11, s18
	v_cndmask_b32_e64 v10, 0, 1, vcc
.LBB78_441:
	s_or_b64 exec, exec, s[16:17]
.LBB78_442:
	s_or_b64 exec, exec, s[4:5]
	v_add_u32_e32 v22, 3, v1
	v_cmp_gt_u32_e32 vcc, s10, v22
	s_and_saveexec_b64 s[4:5], vcc
	s_cbranch_execz .LBB78_453
; %bb.443:
	s_and_b64 vcc, exec, s[2:3]
	s_cbranch_vccnz .LBB78_450
; %bb.444:
	v_mov_b64_e32 v[24:25], s[14:15]
	s_waitcnt lgkmcnt(0)
	v_mad_u64_u32 v[22:23], s[16:17], v8, s12, v[24:25]
	v_mul_lo_u32 v8, v8, s13
	v_mul_lo_u32 v9, v9, s12
	v_add3_u32 v23, v9, v23, v8
	v_mad_u64_u32 v[24:25], s[16:17], v6, s12, v[24:25]
	v_mul_lo_u32 v8, v6, s13
	v_mul_lo_u32 v9, v7, s12
	v_add3_u32 v25, v9, v25, v8
	global_load_ubyte v8, v[22:23], off
	global_load_ubyte v9, v[24:25], off
	s_waitcnt vmcnt(0)
	v_cmp_eq_u16_e32 vcc, v8, v9
	v_mov_b64_e32 v[8:9], 1
	s_and_saveexec_b64 s[16:17], vcc
	s_cbranch_execz .LBB78_452
; %bb.445:
	s_mov_b64 s[26:27], 1
	s_mov_b64 s[18:19], 0
                                        ; implicit-def: $sgpr24_sgpr25
	s_branch .LBB78_448
.LBB78_446:                             ;   in Loop: Header=BB78_448 Depth=1
	v_lshl_add_u64 v[8:9], v[22:23], 0, s[26:27]
	v_lshl_add_u64 v[26:27], v[24:25], 0, s[26:27]
	global_load_ubyte v28, v[8:9], off
	global_load_ubyte v29, v[26:27], off
	s_add_u32 s28, s26, 1
	s_addc_u32 s29, s27, 0
	s_andn2_b64 s[24:25], s[24:25], exec
	s_waitcnt vmcnt(0)
	v_cmp_ne_u16_e32 vcc, v28, v29
	s_and_b64 s[30:31], vcc, exec
	s_or_b64 s[24:25], s[24:25], s[30:31]
.LBB78_447:                             ;   in Loop: Header=BB78_448 Depth=1
	s_and_b64 s[30:31], exec, s[24:25]
	s_or_b64 s[18:19], s[30:31], s[18:19]
	v_mov_b64_e32 v[8:9], s[26:27]
	s_mov_b64 s[26:27], s[28:29]
	s_andn2_b64 exec, exec, s[18:19]
	s_cbranch_execz .LBB78_451
.LBB78_448:                             ; =>This Inner Loop Header: Depth=1
	s_or_b64 s[24:25], s[24:25], exec
	s_cmp_eq_u64 s[12:13], s[26:27]
	s_cbranch_scc0 .LBB78_446
; %bb.449:                              ;   in Loop: Header=BB78_448 Depth=1
                                        ; implicit-def: $sgpr28_sgpr29
	s_mov_b64 s[26:27], s[12:13]
	s_branch .LBB78_447
.LBB78_450:
	v_mov_b64_e32 v[8:9], 0
	s_branch .LBB78_453
.LBB78_451:
	s_or_b64 exec, exec, s[18:19]
	v_cmp_gt_i64_e32 vcc, s[12:13], v[8:9]
	s_mov_b32 s18, 0
	v_mov_b32_e32 v9, s18
	v_cndmask_b32_e64 v8, 0, 1, vcc
.LBB78_452:
	s_or_b64 exec, exec, s[16:17]
.LBB78_453:
	s_or_b64 exec, exec, s[4:5]
	v_add_u32_e32 v22, 2, v1
	v_cmp_gt_u32_e32 vcc, s10, v22
	s_and_saveexec_b64 s[4:5], vcc
	s_cbranch_execz .LBB78_464
; %bb.454:
	s_and_b64 vcc, exec, s[2:3]
	s_cbranch_vccnz .LBB78_461
; %bb.455:
	v_mov_b64_e32 v[24:25], s[14:15]
	s_waitcnt lgkmcnt(0)
	v_mad_u64_u32 v[22:23], s[16:17], v6, s12, v[24:25]
	v_mul_lo_u32 v6, v6, s13
	v_mul_lo_u32 v7, v7, s12
	v_add3_u32 v23, v7, v23, v6
	v_mad_u64_u32 v[24:25], s[16:17], v4, s12, v[24:25]
	v_mul_lo_u32 v6, v4, s13
	v_mul_lo_u32 v7, v5, s12
	v_add3_u32 v25, v7, v25, v6
	global_load_ubyte v6, v[22:23], off
	global_load_ubyte v7, v[24:25], off
	s_waitcnt vmcnt(0)
	v_cmp_eq_u16_e32 vcc, v6, v7
	v_mov_b64_e32 v[6:7], 1
	s_and_saveexec_b64 s[16:17], vcc
	s_cbranch_execz .LBB78_463
; %bb.456:
	s_mov_b64 s[26:27], 1
	s_mov_b64 s[18:19], 0
                                        ; implicit-def: $sgpr24_sgpr25
	s_branch .LBB78_459
.LBB78_457:                             ;   in Loop: Header=BB78_459 Depth=1
	v_lshl_add_u64 v[6:7], v[22:23], 0, s[26:27]
	v_lshl_add_u64 v[26:27], v[24:25], 0, s[26:27]
	global_load_ubyte v28, v[6:7], off
	global_load_ubyte v29, v[26:27], off
	s_add_u32 s28, s26, 1
	s_addc_u32 s29, s27, 0
	s_andn2_b64 s[24:25], s[24:25], exec
	s_waitcnt vmcnt(0)
	v_cmp_ne_u16_e32 vcc, v28, v29
	s_and_b64 s[30:31], vcc, exec
	s_or_b64 s[24:25], s[24:25], s[30:31]
.LBB78_458:                             ;   in Loop: Header=BB78_459 Depth=1
	s_and_b64 s[30:31], exec, s[24:25]
	s_or_b64 s[18:19], s[30:31], s[18:19]
	v_mov_b64_e32 v[6:7], s[26:27]
	s_mov_b64 s[26:27], s[28:29]
	s_andn2_b64 exec, exec, s[18:19]
	s_cbranch_execz .LBB78_462
.LBB78_459:                             ; =>This Inner Loop Header: Depth=1
	s_or_b64 s[24:25], s[24:25], exec
	s_cmp_eq_u64 s[12:13], s[26:27]
	s_cbranch_scc0 .LBB78_457
; %bb.460:                              ;   in Loop: Header=BB78_459 Depth=1
                                        ; implicit-def: $sgpr28_sgpr29
	s_mov_b64 s[26:27], s[12:13]
	s_branch .LBB78_458
.LBB78_461:
	v_mov_b64_e32 v[6:7], 0
	s_branch .LBB78_464
.LBB78_462:
	s_or_b64 exec, exec, s[18:19]
	v_cmp_gt_i64_e32 vcc, s[12:13], v[6:7]
	s_mov_b32 s18, 0
	v_mov_b32_e32 v7, s18
	v_cndmask_b32_e64 v6, 0, 1, vcc
.LBB78_463:
	s_or_b64 exec, exec, s[16:17]
.LBB78_464:
	s_or_b64 exec, exec, s[4:5]
	v_add_u32_e32 v22, 1, v1
	v_cmp_gt_u32_e32 vcc, s10, v22
	s_and_saveexec_b64 s[4:5], vcc
	s_cbranch_execz .LBB78_475
; %bb.465:
	s_and_b64 vcc, exec, s[2:3]
	s_cbranch_vccnz .LBB78_472
; %bb.466:
	v_mov_b64_e32 v[24:25], s[14:15]
	s_waitcnt lgkmcnt(0)
	v_mad_u64_u32 v[22:23], s[16:17], v4, s12, v[24:25]
	v_mul_lo_u32 v4, v4, s13
	v_mul_lo_u32 v5, v5, s12
	v_add3_u32 v23, v5, v23, v4
	v_mad_u64_u32 v[24:25], s[16:17], v2, s12, v[24:25]
	v_mul_lo_u32 v4, v2, s13
	v_mul_lo_u32 v5, v3, s12
	v_add3_u32 v25, v5, v25, v4
	global_load_ubyte v4, v[22:23], off
	global_load_ubyte v5, v[24:25], off
	s_waitcnt vmcnt(0)
	v_cmp_eq_u16_e32 vcc, v4, v5
	v_mov_b64_e32 v[4:5], 1
	s_and_saveexec_b64 s[16:17], vcc
	s_cbranch_execz .LBB78_474
; %bb.467:
	s_mov_b64 s[26:27], 1
	s_mov_b64 s[18:19], 0
                                        ; implicit-def: $sgpr24_sgpr25
	s_branch .LBB78_470
.LBB78_468:                             ;   in Loop: Header=BB78_470 Depth=1
	v_lshl_add_u64 v[4:5], v[22:23], 0, s[26:27]
	v_lshl_add_u64 v[26:27], v[24:25], 0, s[26:27]
	global_load_ubyte v28, v[4:5], off
	global_load_ubyte v29, v[26:27], off
	s_add_u32 s28, s26, 1
	s_addc_u32 s29, s27, 0
	s_andn2_b64 s[24:25], s[24:25], exec
	s_waitcnt vmcnt(0)
	v_cmp_ne_u16_e32 vcc, v28, v29
	s_and_b64 s[30:31], vcc, exec
	s_or_b64 s[24:25], s[24:25], s[30:31]
.LBB78_469:                             ;   in Loop: Header=BB78_470 Depth=1
	s_and_b64 s[30:31], exec, s[24:25]
	s_or_b64 s[18:19], s[30:31], s[18:19]
	v_mov_b64_e32 v[4:5], s[26:27]
	s_mov_b64 s[26:27], s[28:29]
	s_andn2_b64 exec, exec, s[18:19]
	s_cbranch_execz .LBB78_473
.LBB78_470:                             ; =>This Inner Loop Header: Depth=1
	s_or_b64 s[24:25], s[24:25], exec
	s_cmp_eq_u64 s[12:13], s[26:27]
	s_cbranch_scc0 .LBB78_468
; %bb.471:                              ;   in Loop: Header=BB78_470 Depth=1
                                        ; implicit-def: $sgpr28_sgpr29
	s_mov_b64 s[26:27], s[12:13]
	s_branch .LBB78_469
.LBB78_472:
	v_mov_b64_e32 v[4:5], 0
	s_branch .LBB78_475
.LBB78_473:
	s_or_b64 exec, exec, s[18:19]
	v_cmp_gt_i64_e32 vcc, s[12:13], v[4:5]
	s_mov_b32 s18, 0
	v_mov_b32_e32 v5, s18
	v_cndmask_b32_e64 v4, 0, 1, vcc
.LBB78_474:
	s_or_b64 exec, exec, s[16:17]
.LBB78_475:
	s_or_b64 exec, exec, s[4:5]
	v_cmp_ne_u32_e32 vcc, 0, v0
	v_cmp_gt_u32_e64 s[4:5], s10, v1
	s_waitcnt lgkmcnt(0)
	s_and_b64 s[16:17], vcc, s[4:5]
	s_barrier
	s_waitcnt lgkmcnt(0)
                                        ; implicit-def: $sgpr18_sgpr19
	s_and_saveexec_b64 s[4:5], s[16:17]
	s_cbranch_execz .LBB78_487
; %bb.476:
	s_and_b64 vcc, exec, s[2:3]
	s_cbranch_vccnz .LBB78_483
; %bb.477:
	v_add_u32_e32 v1, -8, v40
	ds_read_b64 v[24:25], v1
	v_mov_b64_e32 v[26:27], s[14:15]
	v_mad_u64_u32 v[22:23], s[2:3], v2, s12, v[26:27]
	v_mul_lo_u32 v1, v2, s13
	v_mul_lo_u32 v2, v3, s12
	v_add3_u32 v23, v2, v23, v1
	s_waitcnt lgkmcnt(0)
	v_mul_lo_u32 v1, v24, s13
	v_mul_lo_u32 v25, v25, s12
	v_mad_u64_u32 v[2:3], s[2:3], v24, s12, v[26:27]
	v_add3_u32 v3, v25, v3, v1
	global_load_ubyte v1, v[22:23], off
	global_load_ubyte v24, v[2:3], off
	s_mov_b64 s[14:15], -1
	s_waitcnt vmcnt(0)
	v_cmp_eq_u16_e32 vcc, v1, v24
	s_and_saveexec_b64 s[2:3], vcc
	s_cbranch_execz .LBB78_485
; %bb.478:
	s_mov_b64 s[18:19], 1
	s_mov_b64 s[14:15], 0
                                        ; implicit-def: $sgpr16_sgpr17
	s_branch .LBB78_481
.LBB78_479:                             ;   in Loop: Header=BB78_481 Depth=1
	v_lshl_add_u64 v[24:25], v[22:23], 0, s[18:19]
	v_lshl_add_u64 v[26:27], v[2:3], 0, s[18:19]
	global_load_ubyte v1, v[24:25], off
	global_load_ubyte v28, v[26:27], off
	s_add_u32 s24, s18, 1
	s_addc_u32 s25, s19, 0
	s_andn2_b64 s[16:17], s[16:17], exec
	s_waitcnt vmcnt(0)
	v_cmp_ne_u16_e32 vcc, v1, v28
	s_and_b64 s[26:27], vcc, exec
	s_or_b64 s[16:17], s[16:17], s[26:27]
.LBB78_480:                             ;   in Loop: Header=BB78_481 Depth=1
	s_and_b64 s[26:27], exec, s[16:17]
	s_or_b64 s[14:15], s[26:27], s[14:15]
	v_mov_b64_e32 v[24:25], s[18:19]
	s_mov_b64 s[18:19], s[24:25]
	s_andn2_b64 exec, exec, s[14:15]
	s_cbranch_execz .LBB78_484
.LBB78_481:                             ; =>This Inner Loop Header: Depth=1
	s_or_b64 s[16:17], s[16:17], exec
	s_cmp_eq_u64 s[12:13], s[18:19]
	s_cbranch_scc0 .LBB78_479
; %bb.482:                              ;   in Loop: Header=BB78_481 Depth=1
                                        ; implicit-def: $sgpr24_sgpr25
	s_mov_b64 s[18:19], s[12:13]
	s_branch .LBB78_480
.LBB78_483:
	s_mov_b64 s[14:15], 0
	s_branch .LBB78_486
.LBB78_484:
	s_or_b64 exec, exec, s[14:15]
	v_cmp_gt_i64_e32 vcc, s[12:13], v[24:25]
	s_orn2_b64 s[14:15], vcc, exec
.LBB78_485:
	s_or_b64 exec, exec, s[2:3]
.LBB78_486:
	s_and_b64 s[18:19], s[14:15], exec
	s_or_b64 s[22:23], s[22:23], exec
.LBB78_487:
	s_or_b64 exec, exec, s[4:5]
	v_mov_b64_e32 v[42:43], v[36:37]
	v_mov_b64_e32 v[44:45], v[20:21]
	;; [unrolled: 1-line block ×19, first 2 shown]
.LBB78_488:
	s_and_saveexec_b64 s[2:3], s[22:23]
	s_cbranch_execz .LBB78_490
; %bb.489:
	s_mov_b32 s4, 0
	v_cndmask_b32_e64 v2, 0, 1, s[18:19]
	v_mov_b32_e32 v3, s4
	s_waitcnt lgkmcnt(0)
	v_mov_b64_e32 v[26:27], v[46:47]
	v_mov_b64_e32 v[66:67], v[48:49]
	;; [unrolled: 1-line block ×9, first 2 shown]
.LBB78_490:
	s_or_b64 exec, exec, s[2:3]
	s_add_u32 s4, s8, s6
	s_addc_u32 s5, s9, s7
	s_and_b64 vcc, exec, s[0:1]
	s_waitcnt lgkmcnt(0)
	s_barrier
	s_cbranch_vccz .LBB78_512
; %bb.491:
	s_movk_i32 s2, 0x58
	v_mul_u32_u24_e32 v1, 0x58, v0
	v_mov_b32_e32 v4, v68
	v_mov_b32_e32 v5, v69
	v_mul_i32_i24_e32 v24, 0xffffffb0, v0
	ds_write2_b64 v1, v[2:3], v[4:5] offset1:1
	ds_write2_b64 v1, v[62:63], v[34:35] offset0:2 offset1:3
	ds_write2_b64 v1, v[64:65], v[30:31] offset0:4 offset1:5
	;; [unrolled: 1-line block ×4, first 2 shown]
	ds_write_b64 v1, v[42:43] offset:80
	v_mad_u32_u24 v4, v0, s2, v24
	s_waitcnt lgkmcnt(0)
	s_barrier
	ds_read2st64_b64 v[36:39], v4 offset0:4 offset1:8
	ds_read2st64_b64 v[16:19], v4 offset0:12 offset1:16
	;; [unrolled: 1-line block ×5, first 2 shown]
	s_mov_b32 s21, 0
	s_add_i32 s11, s11, s10
	s_lshl_b64 s[0:1], s[20:21], 3
	s_add_u32 s0, s4, s0
	s_addc_u32 s1, s5, s1
	v_mov_b32_e32 v41, 0
	v_lshl_add_u64 v[20:21], s[0:1], 0, v[40:41]
	v_cmp_gt_u32_e32 vcc, s11, v0
	s_and_saveexec_b64 s[0:1], vcc
	s_cbranch_execz .LBB78_493
; %bb.492:
	v_add_u32_e32 v1, v1, v24
	ds_read_b64 v[24:25], v1
	s_waitcnt lgkmcnt(0)
	global_store_dwordx2 v[20:21], v[24:25], off
.LBB78_493:
	s_or_b64 exec, exec, s[0:1]
	v_or_b32_e32 v1, 0x100, v0
	v_cmp_gt_u32_e32 vcc, s11, v1
	s_and_saveexec_b64 s[0:1], vcc
	s_cbranch_execz .LBB78_495
; %bb.494:
	s_waitcnt lgkmcnt(4)
	global_store_dwordx2 v[20:21], v[36:37], off offset:2048
.LBB78_495:
	s_or_b64 exec, exec, s[0:1]
	v_or_b32_e32 v1, 0x200, v0
	v_cmp_gt_u32_e32 vcc, s11, v1
	s_and_saveexec_b64 s[0:1], vcc
	s_cbranch_execz .LBB78_497
; %bb.496:
	v_add_co_u32_e32 v24, vcc, 0x1000, v20
	s_nop 1
	v_addc_co_u32_e32 v25, vcc, 0, v21, vcc
	s_waitcnt lgkmcnt(4)
	global_store_dwordx2 v[24:25], v[38:39], off
.LBB78_497:
	s_or_b64 exec, exec, s[0:1]
	v_or_b32_e32 v1, 0x300, v0
	v_cmp_gt_u32_e32 vcc, s11, v1
	s_and_saveexec_b64 s[0:1], vcc
	s_cbranch_execz .LBB78_499
; %bb.498:
	v_add_co_u32_e32 v24, vcc, 0x1000, v20
	s_nop 1
	v_addc_co_u32_e32 v25, vcc, 0, v21, vcc
	s_waitcnt lgkmcnt(3)
	global_store_dwordx2 v[24:25], v[16:17], off offset:2048
.LBB78_499:
	s_or_b64 exec, exec, s[0:1]
	v_or_b32_e32 v1, 0x400, v0
	v_cmp_gt_u32_e32 vcc, s11, v1
	s_and_saveexec_b64 s[0:1], vcc
	s_cbranch_execz .LBB78_501
; %bb.500:
	s_waitcnt lgkmcnt(3)
	v_add_co_u32_e32 v16, vcc, 0x2000, v20
	s_nop 1
	v_addc_co_u32_e32 v17, vcc, 0, v21, vcc
	global_store_dwordx2 v[16:17], v[18:19], off
.LBB78_501:
	s_or_b64 exec, exec, s[0:1]
	v_or_b32_e32 v1, 0x500, v0
	v_cmp_gt_u32_e32 vcc, s11, v1
	s_and_saveexec_b64 s[0:1], vcc
	s_cbranch_execz .LBB78_503
; %bb.502:
	s_waitcnt lgkmcnt(3)
	v_add_co_u32_e32 v16, vcc, 0x2000, v20
	s_nop 1
	v_addc_co_u32_e32 v17, vcc, 0, v21, vcc
	s_waitcnt lgkmcnt(2)
	global_store_dwordx2 v[16:17], v[12:13], off offset:2048
.LBB78_503:
	s_or_b64 exec, exec, s[0:1]
	v_or_b32_e32 v1, 0x600, v0
	v_cmp_gt_u32_e32 vcc, s11, v1
	s_and_saveexec_b64 s[0:1], vcc
	s_cbranch_execz .LBB78_505
; %bb.504:
	s_waitcnt lgkmcnt(2)
	v_add_co_u32_e32 v12, vcc, 0x3000, v20
	s_nop 1
	v_addc_co_u32_e32 v13, vcc, 0, v21, vcc
	global_store_dwordx2 v[12:13], v[14:15], off
.LBB78_505:
	s_or_b64 exec, exec, s[0:1]
	v_or_b32_e32 v1, 0x700, v0
	v_cmp_gt_u32_e32 vcc, s11, v1
	s_and_saveexec_b64 s[0:1], vcc
	s_cbranch_execz .LBB78_507
; %bb.506:
	s_waitcnt lgkmcnt(2)
	v_add_co_u32_e32 v12, vcc, 0x3000, v20
	s_nop 1
	v_addc_co_u32_e32 v13, vcc, 0, v21, vcc
	s_waitcnt lgkmcnt(1)
	global_store_dwordx2 v[12:13], v[8:9], off offset:2048
.LBB78_507:
	;; [unrolled: 25-line block ×3, first 2 shown]
	s_or_b64 exec, exec, s[0:1]
	v_or_b32_e32 v1, 0xa00, v0
	v_cmp_gt_u32_e64 s[0:1], s11, v1
	s_branch .LBB78_514
.LBB78_512:
	s_mov_b64 s[0:1], 0
                                        ; implicit-def: $vgpr6_vgpr7
                                        ; implicit-def: $vgpr20_vgpr21
	s_cbranch_execz .LBB78_514
; %bb.513:
	s_mov_b32 s21, 0
	s_lshl_b64 s[2:3], s[20:21], 3
	v_mul_u32_u24_e32 v1, 0x58, v0
	s_add_u32 s2, s4, s2
	s_movk_i32 s4, 0x58
	ds_write2_b64 v1, v[2:3], v[68:69] offset1:1
	ds_write2_b64 v1, v[62:63], v[34:35] offset0:2 offset1:3
	ds_write2_b64 v1, v[64:65], v[30:31] offset0:4 offset1:5
	;; [unrolled: 1-line block ×4, first 2 shown]
	ds_write_b64 v1, v[42:43] offset:80
	v_mul_i32_i24_e32 v1, 0xffffffb0, v0
	s_addc_u32 s3, s5, s3
	s_waitcnt lgkmcnt(6)
	v_mad_u32_u24 v4, v0, s4, v1
	v_mov_b32_e32 v41, 0
	s_waitcnt lgkmcnt(0)
	s_barrier
	ds_read2st64_b64 v[0:3], v4 offset1:4
	ds_read2st64_b64 v[8:11], v4 offset0:8 offset1:12
	ds_read2st64_b64 v[12:15], v4 offset0:16 offset1:20
	;; [unrolled: 1-line block ×4, first 2 shown]
	ds_read_b64 v[6:7], v4 offset:20480
	v_lshl_add_u64 v[20:21], s[2:3], 0, v[40:41]
	s_waitcnt lgkmcnt(5)
	global_store_dwordx2 v40, v[0:1], s[2:3]
	global_store_dwordx2 v40, v[2:3], s[2:3] offset:2048
	s_movk_i32 s2, 0x1000
	v_add_co_u32_e32 v0, vcc, s2, v20
	s_movk_i32 s2, 0x2000
	s_nop 0
	v_addc_co_u32_e32 v1, vcc, 0, v21, vcc
	v_add_co_u32_e32 v2, vcc, s2, v20
	s_or_b64 s[0:1], s[0:1], exec
	s_nop 0
	v_addc_co_u32_e32 v3, vcc, 0, v21, vcc
	s_waitcnt lgkmcnt(4)
	global_store_dwordx2 v[2:3], v[8:9], off offset:-4096
	global_store_dwordx2 v[0:1], v[10:11], off offset:2048
	s_waitcnt lgkmcnt(3)
	global_store_dwordx2 v[2:3], v[12:13], off
	global_store_dwordx2 v[2:3], v[14:15], off offset:2048
	v_add_co_u32_e32 v0, vcc, 0x3000, v20
	s_nop 1
	v_addc_co_u32_e32 v1, vcc, 0, v21, vcc
	s_waitcnt lgkmcnt(2)
	global_store_dwordx2 v[0:1], v[16:17], off
	global_store_dwordx2 v[0:1], v[18:19], off offset:2048
	v_add_co_u32_e32 v0, vcc, 0x4000, v20
	s_nop 1
	v_addc_co_u32_e32 v1, vcc, 0, v21, vcc
	s_waitcnt lgkmcnt(1)
	global_store_dwordx2 v[0:1], v[22:23], off
	global_store_dwordx2 v[0:1], v[24:25], off offset:2048
.LBB78_514:
	s_and_saveexec_b64 s[2:3], s[0:1]
	s_cbranch_execnz .LBB78_516
; %bb.515:
	s_endpgm
.LBB78_516:
	v_add_co_u32_e32 v0, vcc, 0x5000, v20
	s_nop 1
	v_addc_co_u32_e32 v1, vcc, 0, v21, vcc
	s_waitcnt lgkmcnt(0)
	global_store_dwordx2 v[0:1], v[6:7], off
	s_endpgm
	.section	.rodata,"a",@progbits
	.p2align	6, 0x0
	.amdhsa_kernel _ZN7rocprim17ROCPRIM_400000_NS6detail17trampoline_kernelINS0_14default_configENS1_35adjacent_difference_config_selectorILb1ElEEZNS1_24adjacent_difference_implIS3_Lb1ELb0EPlS7_ZN2at6native12_GLOBAL__N_124unique_dim_cuda_templateIhEESt5tupleIJNS8_6TensorESD_SD_EERKSD_lbbbEUlllE1_EE10hipError_tPvRmT2_T3_mT4_P12ihipStream_tbEUlT_E_NS1_11comp_targetILNS1_3genE5ELNS1_11target_archE942ELNS1_3gpuE9ELNS1_3repE0EEENS1_30default_config_static_selectorELNS0_4arch9wavefront6targetE1EEEvT1_
		.amdhsa_group_segment_fixed_size 22528
		.amdhsa_private_segment_fixed_size 0
		.amdhsa_kernarg_size 64
		.amdhsa_user_sgpr_count 2
		.amdhsa_user_sgpr_dispatch_ptr 0
		.amdhsa_user_sgpr_queue_ptr 0
		.amdhsa_user_sgpr_kernarg_segment_ptr 1
		.amdhsa_user_sgpr_dispatch_id 0
		.amdhsa_user_sgpr_kernarg_preload_length 0
		.amdhsa_user_sgpr_kernarg_preload_offset 0
		.amdhsa_user_sgpr_private_segment_size 0
		.amdhsa_uses_dynamic_stack 0
		.amdhsa_enable_private_segment 0
		.amdhsa_system_sgpr_workgroup_id_x 1
		.amdhsa_system_sgpr_workgroup_id_y 0
		.amdhsa_system_sgpr_workgroup_id_z 0
		.amdhsa_system_sgpr_workgroup_info 0
		.amdhsa_system_vgpr_workitem_id 0
		.amdhsa_next_free_vgpr 70
		.amdhsa_next_free_sgpr 38
		.amdhsa_accum_offset 72
		.amdhsa_reserve_vcc 1
		.amdhsa_float_round_mode_32 0
		.amdhsa_float_round_mode_16_64 0
		.amdhsa_float_denorm_mode_32 3
		.amdhsa_float_denorm_mode_16_64 3
		.amdhsa_dx10_clamp 1
		.amdhsa_ieee_mode 1
		.amdhsa_fp16_overflow 0
		.amdhsa_tg_split 0
		.amdhsa_exception_fp_ieee_invalid_op 0
		.amdhsa_exception_fp_denorm_src 0
		.amdhsa_exception_fp_ieee_div_zero 0
		.amdhsa_exception_fp_ieee_overflow 0
		.amdhsa_exception_fp_ieee_underflow 0
		.amdhsa_exception_fp_ieee_inexact 0
		.amdhsa_exception_int_div_zero 0
	.end_amdhsa_kernel
	.section	.text._ZN7rocprim17ROCPRIM_400000_NS6detail17trampoline_kernelINS0_14default_configENS1_35adjacent_difference_config_selectorILb1ElEEZNS1_24adjacent_difference_implIS3_Lb1ELb0EPlS7_ZN2at6native12_GLOBAL__N_124unique_dim_cuda_templateIhEESt5tupleIJNS8_6TensorESD_SD_EERKSD_lbbbEUlllE1_EE10hipError_tPvRmT2_T3_mT4_P12ihipStream_tbEUlT_E_NS1_11comp_targetILNS1_3genE5ELNS1_11target_archE942ELNS1_3gpuE9ELNS1_3repE0EEENS1_30default_config_static_selectorELNS0_4arch9wavefront6targetE1EEEvT1_,"axG",@progbits,_ZN7rocprim17ROCPRIM_400000_NS6detail17trampoline_kernelINS0_14default_configENS1_35adjacent_difference_config_selectorILb1ElEEZNS1_24adjacent_difference_implIS3_Lb1ELb0EPlS7_ZN2at6native12_GLOBAL__N_124unique_dim_cuda_templateIhEESt5tupleIJNS8_6TensorESD_SD_EERKSD_lbbbEUlllE1_EE10hipError_tPvRmT2_T3_mT4_P12ihipStream_tbEUlT_E_NS1_11comp_targetILNS1_3genE5ELNS1_11target_archE942ELNS1_3gpuE9ELNS1_3repE0EEENS1_30default_config_static_selectorELNS0_4arch9wavefront6targetE1EEEvT1_,comdat
.Lfunc_end78:
	.size	_ZN7rocprim17ROCPRIM_400000_NS6detail17trampoline_kernelINS0_14default_configENS1_35adjacent_difference_config_selectorILb1ElEEZNS1_24adjacent_difference_implIS3_Lb1ELb0EPlS7_ZN2at6native12_GLOBAL__N_124unique_dim_cuda_templateIhEESt5tupleIJNS8_6TensorESD_SD_EERKSD_lbbbEUlllE1_EE10hipError_tPvRmT2_T3_mT4_P12ihipStream_tbEUlT_E_NS1_11comp_targetILNS1_3genE5ELNS1_11target_archE942ELNS1_3gpuE9ELNS1_3repE0EEENS1_30default_config_static_selectorELNS0_4arch9wavefront6targetE1EEEvT1_, .Lfunc_end78-_ZN7rocprim17ROCPRIM_400000_NS6detail17trampoline_kernelINS0_14default_configENS1_35adjacent_difference_config_selectorILb1ElEEZNS1_24adjacent_difference_implIS3_Lb1ELb0EPlS7_ZN2at6native12_GLOBAL__N_124unique_dim_cuda_templateIhEESt5tupleIJNS8_6TensorESD_SD_EERKSD_lbbbEUlllE1_EE10hipError_tPvRmT2_T3_mT4_P12ihipStream_tbEUlT_E_NS1_11comp_targetILNS1_3genE5ELNS1_11target_archE942ELNS1_3gpuE9ELNS1_3repE0EEENS1_30default_config_static_selectorELNS0_4arch9wavefront6targetE1EEEvT1_
                                        ; -- End function
	.section	.AMDGPU.csdata,"",@progbits
; Kernel info:
; codeLenInByte = 14668
; NumSgprs: 44
; NumVgprs: 70
; NumAgprs: 0
; TotalNumVgprs: 70
; ScratchSize: 0
; MemoryBound: 0
; FloatMode: 240
; IeeeMode: 1
; LDSByteSize: 22528 bytes/workgroup (compile time only)
; SGPRBlocks: 5
; VGPRBlocks: 8
; NumSGPRsForWavesPerEU: 44
; NumVGPRsForWavesPerEU: 70
; AccumOffset: 72
; Occupancy: 2
; WaveLimiterHint : 1
; COMPUTE_PGM_RSRC2:SCRATCH_EN: 0
; COMPUTE_PGM_RSRC2:USER_SGPR: 2
; COMPUTE_PGM_RSRC2:TRAP_HANDLER: 0
; COMPUTE_PGM_RSRC2:TGID_X_EN: 1
; COMPUTE_PGM_RSRC2:TGID_Y_EN: 0
; COMPUTE_PGM_RSRC2:TGID_Z_EN: 0
; COMPUTE_PGM_RSRC2:TIDIG_COMP_CNT: 0
; COMPUTE_PGM_RSRC3_GFX90A:ACCUM_OFFSET: 17
; COMPUTE_PGM_RSRC3_GFX90A:TG_SPLIT: 0
	.section	.text._ZN7rocprim17ROCPRIM_400000_NS6detail17trampoline_kernelINS0_14default_configENS1_35adjacent_difference_config_selectorILb1ElEEZNS1_24adjacent_difference_implIS3_Lb1ELb0EPlS7_ZN2at6native12_GLOBAL__N_124unique_dim_cuda_templateIhEESt5tupleIJNS8_6TensorESD_SD_EERKSD_lbbbEUlllE1_EE10hipError_tPvRmT2_T3_mT4_P12ihipStream_tbEUlT_E_NS1_11comp_targetILNS1_3genE4ELNS1_11target_archE910ELNS1_3gpuE8ELNS1_3repE0EEENS1_30default_config_static_selectorELNS0_4arch9wavefront6targetE1EEEvT1_,"axG",@progbits,_ZN7rocprim17ROCPRIM_400000_NS6detail17trampoline_kernelINS0_14default_configENS1_35adjacent_difference_config_selectorILb1ElEEZNS1_24adjacent_difference_implIS3_Lb1ELb0EPlS7_ZN2at6native12_GLOBAL__N_124unique_dim_cuda_templateIhEESt5tupleIJNS8_6TensorESD_SD_EERKSD_lbbbEUlllE1_EE10hipError_tPvRmT2_T3_mT4_P12ihipStream_tbEUlT_E_NS1_11comp_targetILNS1_3genE4ELNS1_11target_archE910ELNS1_3gpuE8ELNS1_3repE0EEENS1_30default_config_static_selectorELNS0_4arch9wavefront6targetE1EEEvT1_,comdat
	.globl	_ZN7rocprim17ROCPRIM_400000_NS6detail17trampoline_kernelINS0_14default_configENS1_35adjacent_difference_config_selectorILb1ElEEZNS1_24adjacent_difference_implIS3_Lb1ELb0EPlS7_ZN2at6native12_GLOBAL__N_124unique_dim_cuda_templateIhEESt5tupleIJNS8_6TensorESD_SD_EERKSD_lbbbEUlllE1_EE10hipError_tPvRmT2_T3_mT4_P12ihipStream_tbEUlT_E_NS1_11comp_targetILNS1_3genE4ELNS1_11target_archE910ELNS1_3gpuE8ELNS1_3repE0EEENS1_30default_config_static_selectorELNS0_4arch9wavefront6targetE1EEEvT1_ ; -- Begin function _ZN7rocprim17ROCPRIM_400000_NS6detail17trampoline_kernelINS0_14default_configENS1_35adjacent_difference_config_selectorILb1ElEEZNS1_24adjacent_difference_implIS3_Lb1ELb0EPlS7_ZN2at6native12_GLOBAL__N_124unique_dim_cuda_templateIhEESt5tupleIJNS8_6TensorESD_SD_EERKSD_lbbbEUlllE1_EE10hipError_tPvRmT2_T3_mT4_P12ihipStream_tbEUlT_E_NS1_11comp_targetILNS1_3genE4ELNS1_11target_archE910ELNS1_3gpuE8ELNS1_3repE0EEENS1_30default_config_static_selectorELNS0_4arch9wavefront6targetE1EEEvT1_
	.p2align	8
	.type	_ZN7rocprim17ROCPRIM_400000_NS6detail17trampoline_kernelINS0_14default_configENS1_35adjacent_difference_config_selectorILb1ElEEZNS1_24adjacent_difference_implIS3_Lb1ELb0EPlS7_ZN2at6native12_GLOBAL__N_124unique_dim_cuda_templateIhEESt5tupleIJNS8_6TensorESD_SD_EERKSD_lbbbEUlllE1_EE10hipError_tPvRmT2_T3_mT4_P12ihipStream_tbEUlT_E_NS1_11comp_targetILNS1_3genE4ELNS1_11target_archE910ELNS1_3gpuE8ELNS1_3repE0EEENS1_30default_config_static_selectorELNS0_4arch9wavefront6targetE1EEEvT1_,@function
_ZN7rocprim17ROCPRIM_400000_NS6detail17trampoline_kernelINS0_14default_configENS1_35adjacent_difference_config_selectorILb1ElEEZNS1_24adjacent_difference_implIS3_Lb1ELb0EPlS7_ZN2at6native12_GLOBAL__N_124unique_dim_cuda_templateIhEESt5tupleIJNS8_6TensorESD_SD_EERKSD_lbbbEUlllE1_EE10hipError_tPvRmT2_T3_mT4_P12ihipStream_tbEUlT_E_NS1_11comp_targetILNS1_3genE4ELNS1_11target_archE910ELNS1_3gpuE8ELNS1_3repE0EEENS1_30default_config_static_selectorELNS0_4arch9wavefront6targetE1EEEvT1_: ; @_ZN7rocprim17ROCPRIM_400000_NS6detail17trampoline_kernelINS0_14default_configENS1_35adjacent_difference_config_selectorILb1ElEEZNS1_24adjacent_difference_implIS3_Lb1ELb0EPlS7_ZN2at6native12_GLOBAL__N_124unique_dim_cuda_templateIhEESt5tupleIJNS8_6TensorESD_SD_EERKSD_lbbbEUlllE1_EE10hipError_tPvRmT2_T3_mT4_P12ihipStream_tbEUlT_E_NS1_11comp_targetILNS1_3genE4ELNS1_11target_archE910ELNS1_3gpuE8ELNS1_3repE0EEENS1_30default_config_static_selectorELNS0_4arch9wavefront6targetE1EEEvT1_
; %bb.0:
	.section	.rodata,"a",@progbits
	.p2align	6, 0x0
	.amdhsa_kernel _ZN7rocprim17ROCPRIM_400000_NS6detail17trampoline_kernelINS0_14default_configENS1_35adjacent_difference_config_selectorILb1ElEEZNS1_24adjacent_difference_implIS3_Lb1ELb0EPlS7_ZN2at6native12_GLOBAL__N_124unique_dim_cuda_templateIhEESt5tupleIJNS8_6TensorESD_SD_EERKSD_lbbbEUlllE1_EE10hipError_tPvRmT2_T3_mT4_P12ihipStream_tbEUlT_E_NS1_11comp_targetILNS1_3genE4ELNS1_11target_archE910ELNS1_3gpuE8ELNS1_3repE0EEENS1_30default_config_static_selectorELNS0_4arch9wavefront6targetE1EEEvT1_
		.amdhsa_group_segment_fixed_size 0
		.amdhsa_private_segment_fixed_size 0
		.amdhsa_kernarg_size 64
		.amdhsa_user_sgpr_count 2
		.amdhsa_user_sgpr_dispatch_ptr 0
		.amdhsa_user_sgpr_queue_ptr 0
		.amdhsa_user_sgpr_kernarg_segment_ptr 1
		.amdhsa_user_sgpr_dispatch_id 0
		.amdhsa_user_sgpr_kernarg_preload_length 0
		.amdhsa_user_sgpr_kernarg_preload_offset 0
		.amdhsa_user_sgpr_private_segment_size 0
		.amdhsa_uses_dynamic_stack 0
		.amdhsa_enable_private_segment 0
		.amdhsa_system_sgpr_workgroup_id_x 1
		.amdhsa_system_sgpr_workgroup_id_y 0
		.amdhsa_system_sgpr_workgroup_id_z 0
		.amdhsa_system_sgpr_workgroup_info 0
		.amdhsa_system_vgpr_workitem_id 0
		.amdhsa_next_free_vgpr 1
		.amdhsa_next_free_sgpr 0
		.amdhsa_accum_offset 4
		.amdhsa_reserve_vcc 0
		.amdhsa_float_round_mode_32 0
		.amdhsa_float_round_mode_16_64 0
		.amdhsa_float_denorm_mode_32 3
		.amdhsa_float_denorm_mode_16_64 3
		.amdhsa_dx10_clamp 1
		.amdhsa_ieee_mode 1
		.amdhsa_fp16_overflow 0
		.amdhsa_tg_split 0
		.amdhsa_exception_fp_ieee_invalid_op 0
		.amdhsa_exception_fp_denorm_src 0
		.amdhsa_exception_fp_ieee_div_zero 0
		.amdhsa_exception_fp_ieee_overflow 0
		.amdhsa_exception_fp_ieee_underflow 0
		.amdhsa_exception_fp_ieee_inexact 0
		.amdhsa_exception_int_div_zero 0
	.end_amdhsa_kernel
	.section	.text._ZN7rocprim17ROCPRIM_400000_NS6detail17trampoline_kernelINS0_14default_configENS1_35adjacent_difference_config_selectorILb1ElEEZNS1_24adjacent_difference_implIS3_Lb1ELb0EPlS7_ZN2at6native12_GLOBAL__N_124unique_dim_cuda_templateIhEESt5tupleIJNS8_6TensorESD_SD_EERKSD_lbbbEUlllE1_EE10hipError_tPvRmT2_T3_mT4_P12ihipStream_tbEUlT_E_NS1_11comp_targetILNS1_3genE4ELNS1_11target_archE910ELNS1_3gpuE8ELNS1_3repE0EEENS1_30default_config_static_selectorELNS0_4arch9wavefront6targetE1EEEvT1_,"axG",@progbits,_ZN7rocprim17ROCPRIM_400000_NS6detail17trampoline_kernelINS0_14default_configENS1_35adjacent_difference_config_selectorILb1ElEEZNS1_24adjacent_difference_implIS3_Lb1ELb0EPlS7_ZN2at6native12_GLOBAL__N_124unique_dim_cuda_templateIhEESt5tupleIJNS8_6TensorESD_SD_EERKSD_lbbbEUlllE1_EE10hipError_tPvRmT2_T3_mT4_P12ihipStream_tbEUlT_E_NS1_11comp_targetILNS1_3genE4ELNS1_11target_archE910ELNS1_3gpuE8ELNS1_3repE0EEENS1_30default_config_static_selectorELNS0_4arch9wavefront6targetE1EEEvT1_,comdat
.Lfunc_end79:
	.size	_ZN7rocprim17ROCPRIM_400000_NS6detail17trampoline_kernelINS0_14default_configENS1_35adjacent_difference_config_selectorILb1ElEEZNS1_24adjacent_difference_implIS3_Lb1ELb0EPlS7_ZN2at6native12_GLOBAL__N_124unique_dim_cuda_templateIhEESt5tupleIJNS8_6TensorESD_SD_EERKSD_lbbbEUlllE1_EE10hipError_tPvRmT2_T3_mT4_P12ihipStream_tbEUlT_E_NS1_11comp_targetILNS1_3genE4ELNS1_11target_archE910ELNS1_3gpuE8ELNS1_3repE0EEENS1_30default_config_static_selectorELNS0_4arch9wavefront6targetE1EEEvT1_, .Lfunc_end79-_ZN7rocprim17ROCPRIM_400000_NS6detail17trampoline_kernelINS0_14default_configENS1_35adjacent_difference_config_selectorILb1ElEEZNS1_24adjacent_difference_implIS3_Lb1ELb0EPlS7_ZN2at6native12_GLOBAL__N_124unique_dim_cuda_templateIhEESt5tupleIJNS8_6TensorESD_SD_EERKSD_lbbbEUlllE1_EE10hipError_tPvRmT2_T3_mT4_P12ihipStream_tbEUlT_E_NS1_11comp_targetILNS1_3genE4ELNS1_11target_archE910ELNS1_3gpuE8ELNS1_3repE0EEENS1_30default_config_static_selectorELNS0_4arch9wavefront6targetE1EEEvT1_
                                        ; -- End function
	.section	.AMDGPU.csdata,"",@progbits
; Kernel info:
; codeLenInByte = 0
; NumSgprs: 6
; NumVgprs: 0
; NumAgprs: 0
; TotalNumVgprs: 0
; ScratchSize: 0
; MemoryBound: 0
; FloatMode: 240
; IeeeMode: 1
; LDSByteSize: 0 bytes/workgroup (compile time only)
; SGPRBlocks: 0
; VGPRBlocks: 0
; NumSGPRsForWavesPerEU: 6
; NumVGPRsForWavesPerEU: 1
; AccumOffset: 4
; Occupancy: 8
; WaveLimiterHint : 0
; COMPUTE_PGM_RSRC2:SCRATCH_EN: 0
; COMPUTE_PGM_RSRC2:USER_SGPR: 2
; COMPUTE_PGM_RSRC2:TRAP_HANDLER: 0
; COMPUTE_PGM_RSRC2:TGID_X_EN: 1
; COMPUTE_PGM_RSRC2:TGID_Y_EN: 0
; COMPUTE_PGM_RSRC2:TGID_Z_EN: 0
; COMPUTE_PGM_RSRC2:TIDIG_COMP_CNT: 0
; COMPUTE_PGM_RSRC3_GFX90A:ACCUM_OFFSET: 0
; COMPUTE_PGM_RSRC3_GFX90A:TG_SPLIT: 0
	.section	.text._ZN7rocprim17ROCPRIM_400000_NS6detail17trampoline_kernelINS0_14default_configENS1_35adjacent_difference_config_selectorILb1ElEEZNS1_24adjacent_difference_implIS3_Lb1ELb0EPlS7_ZN2at6native12_GLOBAL__N_124unique_dim_cuda_templateIhEESt5tupleIJNS8_6TensorESD_SD_EERKSD_lbbbEUlllE1_EE10hipError_tPvRmT2_T3_mT4_P12ihipStream_tbEUlT_E_NS1_11comp_targetILNS1_3genE3ELNS1_11target_archE908ELNS1_3gpuE7ELNS1_3repE0EEENS1_30default_config_static_selectorELNS0_4arch9wavefront6targetE1EEEvT1_,"axG",@progbits,_ZN7rocprim17ROCPRIM_400000_NS6detail17trampoline_kernelINS0_14default_configENS1_35adjacent_difference_config_selectorILb1ElEEZNS1_24adjacent_difference_implIS3_Lb1ELb0EPlS7_ZN2at6native12_GLOBAL__N_124unique_dim_cuda_templateIhEESt5tupleIJNS8_6TensorESD_SD_EERKSD_lbbbEUlllE1_EE10hipError_tPvRmT2_T3_mT4_P12ihipStream_tbEUlT_E_NS1_11comp_targetILNS1_3genE3ELNS1_11target_archE908ELNS1_3gpuE7ELNS1_3repE0EEENS1_30default_config_static_selectorELNS0_4arch9wavefront6targetE1EEEvT1_,comdat
	.globl	_ZN7rocprim17ROCPRIM_400000_NS6detail17trampoline_kernelINS0_14default_configENS1_35adjacent_difference_config_selectorILb1ElEEZNS1_24adjacent_difference_implIS3_Lb1ELb0EPlS7_ZN2at6native12_GLOBAL__N_124unique_dim_cuda_templateIhEESt5tupleIJNS8_6TensorESD_SD_EERKSD_lbbbEUlllE1_EE10hipError_tPvRmT2_T3_mT4_P12ihipStream_tbEUlT_E_NS1_11comp_targetILNS1_3genE3ELNS1_11target_archE908ELNS1_3gpuE7ELNS1_3repE0EEENS1_30default_config_static_selectorELNS0_4arch9wavefront6targetE1EEEvT1_ ; -- Begin function _ZN7rocprim17ROCPRIM_400000_NS6detail17trampoline_kernelINS0_14default_configENS1_35adjacent_difference_config_selectorILb1ElEEZNS1_24adjacent_difference_implIS3_Lb1ELb0EPlS7_ZN2at6native12_GLOBAL__N_124unique_dim_cuda_templateIhEESt5tupleIJNS8_6TensorESD_SD_EERKSD_lbbbEUlllE1_EE10hipError_tPvRmT2_T3_mT4_P12ihipStream_tbEUlT_E_NS1_11comp_targetILNS1_3genE3ELNS1_11target_archE908ELNS1_3gpuE7ELNS1_3repE0EEENS1_30default_config_static_selectorELNS0_4arch9wavefront6targetE1EEEvT1_
	.p2align	8
	.type	_ZN7rocprim17ROCPRIM_400000_NS6detail17trampoline_kernelINS0_14default_configENS1_35adjacent_difference_config_selectorILb1ElEEZNS1_24adjacent_difference_implIS3_Lb1ELb0EPlS7_ZN2at6native12_GLOBAL__N_124unique_dim_cuda_templateIhEESt5tupleIJNS8_6TensorESD_SD_EERKSD_lbbbEUlllE1_EE10hipError_tPvRmT2_T3_mT4_P12ihipStream_tbEUlT_E_NS1_11comp_targetILNS1_3genE3ELNS1_11target_archE908ELNS1_3gpuE7ELNS1_3repE0EEENS1_30default_config_static_selectorELNS0_4arch9wavefront6targetE1EEEvT1_,@function
_ZN7rocprim17ROCPRIM_400000_NS6detail17trampoline_kernelINS0_14default_configENS1_35adjacent_difference_config_selectorILb1ElEEZNS1_24adjacent_difference_implIS3_Lb1ELb0EPlS7_ZN2at6native12_GLOBAL__N_124unique_dim_cuda_templateIhEESt5tupleIJNS8_6TensorESD_SD_EERKSD_lbbbEUlllE1_EE10hipError_tPvRmT2_T3_mT4_P12ihipStream_tbEUlT_E_NS1_11comp_targetILNS1_3genE3ELNS1_11target_archE908ELNS1_3gpuE7ELNS1_3repE0EEENS1_30default_config_static_selectorELNS0_4arch9wavefront6targetE1EEEvT1_: ; @_ZN7rocprim17ROCPRIM_400000_NS6detail17trampoline_kernelINS0_14default_configENS1_35adjacent_difference_config_selectorILb1ElEEZNS1_24adjacent_difference_implIS3_Lb1ELb0EPlS7_ZN2at6native12_GLOBAL__N_124unique_dim_cuda_templateIhEESt5tupleIJNS8_6TensorESD_SD_EERKSD_lbbbEUlllE1_EE10hipError_tPvRmT2_T3_mT4_P12ihipStream_tbEUlT_E_NS1_11comp_targetILNS1_3genE3ELNS1_11target_archE908ELNS1_3gpuE7ELNS1_3repE0EEENS1_30default_config_static_selectorELNS0_4arch9wavefront6targetE1EEEvT1_
; %bb.0:
	.section	.rodata,"a",@progbits
	.p2align	6, 0x0
	.amdhsa_kernel _ZN7rocprim17ROCPRIM_400000_NS6detail17trampoline_kernelINS0_14default_configENS1_35adjacent_difference_config_selectorILb1ElEEZNS1_24adjacent_difference_implIS3_Lb1ELb0EPlS7_ZN2at6native12_GLOBAL__N_124unique_dim_cuda_templateIhEESt5tupleIJNS8_6TensorESD_SD_EERKSD_lbbbEUlllE1_EE10hipError_tPvRmT2_T3_mT4_P12ihipStream_tbEUlT_E_NS1_11comp_targetILNS1_3genE3ELNS1_11target_archE908ELNS1_3gpuE7ELNS1_3repE0EEENS1_30default_config_static_selectorELNS0_4arch9wavefront6targetE1EEEvT1_
		.amdhsa_group_segment_fixed_size 0
		.amdhsa_private_segment_fixed_size 0
		.amdhsa_kernarg_size 64
		.amdhsa_user_sgpr_count 2
		.amdhsa_user_sgpr_dispatch_ptr 0
		.amdhsa_user_sgpr_queue_ptr 0
		.amdhsa_user_sgpr_kernarg_segment_ptr 1
		.amdhsa_user_sgpr_dispatch_id 0
		.amdhsa_user_sgpr_kernarg_preload_length 0
		.amdhsa_user_sgpr_kernarg_preload_offset 0
		.amdhsa_user_sgpr_private_segment_size 0
		.amdhsa_uses_dynamic_stack 0
		.amdhsa_enable_private_segment 0
		.amdhsa_system_sgpr_workgroup_id_x 1
		.amdhsa_system_sgpr_workgroup_id_y 0
		.amdhsa_system_sgpr_workgroup_id_z 0
		.amdhsa_system_sgpr_workgroup_info 0
		.amdhsa_system_vgpr_workitem_id 0
		.amdhsa_next_free_vgpr 1
		.amdhsa_next_free_sgpr 0
		.amdhsa_accum_offset 4
		.amdhsa_reserve_vcc 0
		.amdhsa_float_round_mode_32 0
		.amdhsa_float_round_mode_16_64 0
		.amdhsa_float_denorm_mode_32 3
		.amdhsa_float_denorm_mode_16_64 3
		.amdhsa_dx10_clamp 1
		.amdhsa_ieee_mode 1
		.amdhsa_fp16_overflow 0
		.amdhsa_tg_split 0
		.amdhsa_exception_fp_ieee_invalid_op 0
		.amdhsa_exception_fp_denorm_src 0
		.amdhsa_exception_fp_ieee_div_zero 0
		.amdhsa_exception_fp_ieee_overflow 0
		.amdhsa_exception_fp_ieee_underflow 0
		.amdhsa_exception_fp_ieee_inexact 0
		.amdhsa_exception_int_div_zero 0
	.end_amdhsa_kernel
	.section	.text._ZN7rocprim17ROCPRIM_400000_NS6detail17trampoline_kernelINS0_14default_configENS1_35adjacent_difference_config_selectorILb1ElEEZNS1_24adjacent_difference_implIS3_Lb1ELb0EPlS7_ZN2at6native12_GLOBAL__N_124unique_dim_cuda_templateIhEESt5tupleIJNS8_6TensorESD_SD_EERKSD_lbbbEUlllE1_EE10hipError_tPvRmT2_T3_mT4_P12ihipStream_tbEUlT_E_NS1_11comp_targetILNS1_3genE3ELNS1_11target_archE908ELNS1_3gpuE7ELNS1_3repE0EEENS1_30default_config_static_selectorELNS0_4arch9wavefront6targetE1EEEvT1_,"axG",@progbits,_ZN7rocprim17ROCPRIM_400000_NS6detail17trampoline_kernelINS0_14default_configENS1_35adjacent_difference_config_selectorILb1ElEEZNS1_24adjacent_difference_implIS3_Lb1ELb0EPlS7_ZN2at6native12_GLOBAL__N_124unique_dim_cuda_templateIhEESt5tupleIJNS8_6TensorESD_SD_EERKSD_lbbbEUlllE1_EE10hipError_tPvRmT2_T3_mT4_P12ihipStream_tbEUlT_E_NS1_11comp_targetILNS1_3genE3ELNS1_11target_archE908ELNS1_3gpuE7ELNS1_3repE0EEENS1_30default_config_static_selectorELNS0_4arch9wavefront6targetE1EEEvT1_,comdat
.Lfunc_end80:
	.size	_ZN7rocprim17ROCPRIM_400000_NS6detail17trampoline_kernelINS0_14default_configENS1_35adjacent_difference_config_selectorILb1ElEEZNS1_24adjacent_difference_implIS3_Lb1ELb0EPlS7_ZN2at6native12_GLOBAL__N_124unique_dim_cuda_templateIhEESt5tupleIJNS8_6TensorESD_SD_EERKSD_lbbbEUlllE1_EE10hipError_tPvRmT2_T3_mT4_P12ihipStream_tbEUlT_E_NS1_11comp_targetILNS1_3genE3ELNS1_11target_archE908ELNS1_3gpuE7ELNS1_3repE0EEENS1_30default_config_static_selectorELNS0_4arch9wavefront6targetE1EEEvT1_, .Lfunc_end80-_ZN7rocprim17ROCPRIM_400000_NS6detail17trampoline_kernelINS0_14default_configENS1_35adjacent_difference_config_selectorILb1ElEEZNS1_24adjacent_difference_implIS3_Lb1ELb0EPlS7_ZN2at6native12_GLOBAL__N_124unique_dim_cuda_templateIhEESt5tupleIJNS8_6TensorESD_SD_EERKSD_lbbbEUlllE1_EE10hipError_tPvRmT2_T3_mT4_P12ihipStream_tbEUlT_E_NS1_11comp_targetILNS1_3genE3ELNS1_11target_archE908ELNS1_3gpuE7ELNS1_3repE0EEENS1_30default_config_static_selectorELNS0_4arch9wavefront6targetE1EEEvT1_
                                        ; -- End function
	.section	.AMDGPU.csdata,"",@progbits
; Kernel info:
; codeLenInByte = 0
; NumSgprs: 6
; NumVgprs: 0
; NumAgprs: 0
; TotalNumVgprs: 0
; ScratchSize: 0
; MemoryBound: 0
; FloatMode: 240
; IeeeMode: 1
; LDSByteSize: 0 bytes/workgroup (compile time only)
; SGPRBlocks: 0
; VGPRBlocks: 0
; NumSGPRsForWavesPerEU: 6
; NumVGPRsForWavesPerEU: 1
; AccumOffset: 4
; Occupancy: 8
; WaveLimiterHint : 0
; COMPUTE_PGM_RSRC2:SCRATCH_EN: 0
; COMPUTE_PGM_RSRC2:USER_SGPR: 2
; COMPUTE_PGM_RSRC2:TRAP_HANDLER: 0
; COMPUTE_PGM_RSRC2:TGID_X_EN: 1
; COMPUTE_PGM_RSRC2:TGID_Y_EN: 0
; COMPUTE_PGM_RSRC2:TGID_Z_EN: 0
; COMPUTE_PGM_RSRC2:TIDIG_COMP_CNT: 0
; COMPUTE_PGM_RSRC3_GFX90A:ACCUM_OFFSET: 0
; COMPUTE_PGM_RSRC3_GFX90A:TG_SPLIT: 0
	.section	.text._ZN7rocprim17ROCPRIM_400000_NS6detail17trampoline_kernelINS0_14default_configENS1_35adjacent_difference_config_selectorILb1ElEEZNS1_24adjacent_difference_implIS3_Lb1ELb0EPlS7_ZN2at6native12_GLOBAL__N_124unique_dim_cuda_templateIhEESt5tupleIJNS8_6TensorESD_SD_EERKSD_lbbbEUlllE1_EE10hipError_tPvRmT2_T3_mT4_P12ihipStream_tbEUlT_E_NS1_11comp_targetILNS1_3genE2ELNS1_11target_archE906ELNS1_3gpuE6ELNS1_3repE0EEENS1_30default_config_static_selectorELNS0_4arch9wavefront6targetE1EEEvT1_,"axG",@progbits,_ZN7rocprim17ROCPRIM_400000_NS6detail17trampoline_kernelINS0_14default_configENS1_35adjacent_difference_config_selectorILb1ElEEZNS1_24adjacent_difference_implIS3_Lb1ELb0EPlS7_ZN2at6native12_GLOBAL__N_124unique_dim_cuda_templateIhEESt5tupleIJNS8_6TensorESD_SD_EERKSD_lbbbEUlllE1_EE10hipError_tPvRmT2_T3_mT4_P12ihipStream_tbEUlT_E_NS1_11comp_targetILNS1_3genE2ELNS1_11target_archE906ELNS1_3gpuE6ELNS1_3repE0EEENS1_30default_config_static_selectorELNS0_4arch9wavefront6targetE1EEEvT1_,comdat
	.globl	_ZN7rocprim17ROCPRIM_400000_NS6detail17trampoline_kernelINS0_14default_configENS1_35adjacent_difference_config_selectorILb1ElEEZNS1_24adjacent_difference_implIS3_Lb1ELb0EPlS7_ZN2at6native12_GLOBAL__N_124unique_dim_cuda_templateIhEESt5tupleIJNS8_6TensorESD_SD_EERKSD_lbbbEUlllE1_EE10hipError_tPvRmT2_T3_mT4_P12ihipStream_tbEUlT_E_NS1_11comp_targetILNS1_3genE2ELNS1_11target_archE906ELNS1_3gpuE6ELNS1_3repE0EEENS1_30default_config_static_selectorELNS0_4arch9wavefront6targetE1EEEvT1_ ; -- Begin function _ZN7rocprim17ROCPRIM_400000_NS6detail17trampoline_kernelINS0_14default_configENS1_35adjacent_difference_config_selectorILb1ElEEZNS1_24adjacent_difference_implIS3_Lb1ELb0EPlS7_ZN2at6native12_GLOBAL__N_124unique_dim_cuda_templateIhEESt5tupleIJNS8_6TensorESD_SD_EERKSD_lbbbEUlllE1_EE10hipError_tPvRmT2_T3_mT4_P12ihipStream_tbEUlT_E_NS1_11comp_targetILNS1_3genE2ELNS1_11target_archE906ELNS1_3gpuE6ELNS1_3repE0EEENS1_30default_config_static_selectorELNS0_4arch9wavefront6targetE1EEEvT1_
	.p2align	8
	.type	_ZN7rocprim17ROCPRIM_400000_NS6detail17trampoline_kernelINS0_14default_configENS1_35adjacent_difference_config_selectorILb1ElEEZNS1_24adjacent_difference_implIS3_Lb1ELb0EPlS7_ZN2at6native12_GLOBAL__N_124unique_dim_cuda_templateIhEESt5tupleIJNS8_6TensorESD_SD_EERKSD_lbbbEUlllE1_EE10hipError_tPvRmT2_T3_mT4_P12ihipStream_tbEUlT_E_NS1_11comp_targetILNS1_3genE2ELNS1_11target_archE906ELNS1_3gpuE6ELNS1_3repE0EEENS1_30default_config_static_selectorELNS0_4arch9wavefront6targetE1EEEvT1_,@function
_ZN7rocprim17ROCPRIM_400000_NS6detail17trampoline_kernelINS0_14default_configENS1_35adjacent_difference_config_selectorILb1ElEEZNS1_24adjacent_difference_implIS3_Lb1ELb0EPlS7_ZN2at6native12_GLOBAL__N_124unique_dim_cuda_templateIhEESt5tupleIJNS8_6TensorESD_SD_EERKSD_lbbbEUlllE1_EE10hipError_tPvRmT2_T3_mT4_P12ihipStream_tbEUlT_E_NS1_11comp_targetILNS1_3genE2ELNS1_11target_archE906ELNS1_3gpuE6ELNS1_3repE0EEENS1_30default_config_static_selectorELNS0_4arch9wavefront6targetE1EEEvT1_: ; @_ZN7rocprim17ROCPRIM_400000_NS6detail17trampoline_kernelINS0_14default_configENS1_35adjacent_difference_config_selectorILb1ElEEZNS1_24adjacent_difference_implIS3_Lb1ELb0EPlS7_ZN2at6native12_GLOBAL__N_124unique_dim_cuda_templateIhEESt5tupleIJNS8_6TensorESD_SD_EERKSD_lbbbEUlllE1_EE10hipError_tPvRmT2_T3_mT4_P12ihipStream_tbEUlT_E_NS1_11comp_targetILNS1_3genE2ELNS1_11target_archE906ELNS1_3gpuE6ELNS1_3repE0EEENS1_30default_config_static_selectorELNS0_4arch9wavefront6targetE1EEEvT1_
; %bb.0:
	.section	.rodata,"a",@progbits
	.p2align	6, 0x0
	.amdhsa_kernel _ZN7rocprim17ROCPRIM_400000_NS6detail17trampoline_kernelINS0_14default_configENS1_35adjacent_difference_config_selectorILb1ElEEZNS1_24adjacent_difference_implIS3_Lb1ELb0EPlS7_ZN2at6native12_GLOBAL__N_124unique_dim_cuda_templateIhEESt5tupleIJNS8_6TensorESD_SD_EERKSD_lbbbEUlllE1_EE10hipError_tPvRmT2_T3_mT4_P12ihipStream_tbEUlT_E_NS1_11comp_targetILNS1_3genE2ELNS1_11target_archE906ELNS1_3gpuE6ELNS1_3repE0EEENS1_30default_config_static_selectorELNS0_4arch9wavefront6targetE1EEEvT1_
		.amdhsa_group_segment_fixed_size 0
		.amdhsa_private_segment_fixed_size 0
		.amdhsa_kernarg_size 64
		.amdhsa_user_sgpr_count 2
		.amdhsa_user_sgpr_dispatch_ptr 0
		.amdhsa_user_sgpr_queue_ptr 0
		.amdhsa_user_sgpr_kernarg_segment_ptr 1
		.amdhsa_user_sgpr_dispatch_id 0
		.amdhsa_user_sgpr_kernarg_preload_length 0
		.amdhsa_user_sgpr_kernarg_preload_offset 0
		.amdhsa_user_sgpr_private_segment_size 0
		.amdhsa_uses_dynamic_stack 0
		.amdhsa_enable_private_segment 0
		.amdhsa_system_sgpr_workgroup_id_x 1
		.amdhsa_system_sgpr_workgroup_id_y 0
		.amdhsa_system_sgpr_workgroup_id_z 0
		.amdhsa_system_sgpr_workgroup_info 0
		.amdhsa_system_vgpr_workitem_id 0
		.amdhsa_next_free_vgpr 1
		.amdhsa_next_free_sgpr 0
		.amdhsa_accum_offset 4
		.amdhsa_reserve_vcc 0
		.amdhsa_float_round_mode_32 0
		.amdhsa_float_round_mode_16_64 0
		.amdhsa_float_denorm_mode_32 3
		.amdhsa_float_denorm_mode_16_64 3
		.amdhsa_dx10_clamp 1
		.amdhsa_ieee_mode 1
		.amdhsa_fp16_overflow 0
		.amdhsa_tg_split 0
		.amdhsa_exception_fp_ieee_invalid_op 0
		.amdhsa_exception_fp_denorm_src 0
		.amdhsa_exception_fp_ieee_div_zero 0
		.amdhsa_exception_fp_ieee_overflow 0
		.amdhsa_exception_fp_ieee_underflow 0
		.amdhsa_exception_fp_ieee_inexact 0
		.amdhsa_exception_int_div_zero 0
	.end_amdhsa_kernel
	.section	.text._ZN7rocprim17ROCPRIM_400000_NS6detail17trampoline_kernelINS0_14default_configENS1_35adjacent_difference_config_selectorILb1ElEEZNS1_24adjacent_difference_implIS3_Lb1ELb0EPlS7_ZN2at6native12_GLOBAL__N_124unique_dim_cuda_templateIhEESt5tupleIJNS8_6TensorESD_SD_EERKSD_lbbbEUlllE1_EE10hipError_tPvRmT2_T3_mT4_P12ihipStream_tbEUlT_E_NS1_11comp_targetILNS1_3genE2ELNS1_11target_archE906ELNS1_3gpuE6ELNS1_3repE0EEENS1_30default_config_static_selectorELNS0_4arch9wavefront6targetE1EEEvT1_,"axG",@progbits,_ZN7rocprim17ROCPRIM_400000_NS6detail17trampoline_kernelINS0_14default_configENS1_35adjacent_difference_config_selectorILb1ElEEZNS1_24adjacent_difference_implIS3_Lb1ELb0EPlS7_ZN2at6native12_GLOBAL__N_124unique_dim_cuda_templateIhEESt5tupleIJNS8_6TensorESD_SD_EERKSD_lbbbEUlllE1_EE10hipError_tPvRmT2_T3_mT4_P12ihipStream_tbEUlT_E_NS1_11comp_targetILNS1_3genE2ELNS1_11target_archE906ELNS1_3gpuE6ELNS1_3repE0EEENS1_30default_config_static_selectorELNS0_4arch9wavefront6targetE1EEEvT1_,comdat
.Lfunc_end81:
	.size	_ZN7rocprim17ROCPRIM_400000_NS6detail17trampoline_kernelINS0_14default_configENS1_35adjacent_difference_config_selectorILb1ElEEZNS1_24adjacent_difference_implIS3_Lb1ELb0EPlS7_ZN2at6native12_GLOBAL__N_124unique_dim_cuda_templateIhEESt5tupleIJNS8_6TensorESD_SD_EERKSD_lbbbEUlllE1_EE10hipError_tPvRmT2_T3_mT4_P12ihipStream_tbEUlT_E_NS1_11comp_targetILNS1_3genE2ELNS1_11target_archE906ELNS1_3gpuE6ELNS1_3repE0EEENS1_30default_config_static_selectorELNS0_4arch9wavefront6targetE1EEEvT1_, .Lfunc_end81-_ZN7rocprim17ROCPRIM_400000_NS6detail17trampoline_kernelINS0_14default_configENS1_35adjacent_difference_config_selectorILb1ElEEZNS1_24adjacent_difference_implIS3_Lb1ELb0EPlS7_ZN2at6native12_GLOBAL__N_124unique_dim_cuda_templateIhEESt5tupleIJNS8_6TensorESD_SD_EERKSD_lbbbEUlllE1_EE10hipError_tPvRmT2_T3_mT4_P12ihipStream_tbEUlT_E_NS1_11comp_targetILNS1_3genE2ELNS1_11target_archE906ELNS1_3gpuE6ELNS1_3repE0EEENS1_30default_config_static_selectorELNS0_4arch9wavefront6targetE1EEEvT1_
                                        ; -- End function
	.section	.AMDGPU.csdata,"",@progbits
; Kernel info:
; codeLenInByte = 0
; NumSgprs: 6
; NumVgprs: 0
; NumAgprs: 0
; TotalNumVgprs: 0
; ScratchSize: 0
; MemoryBound: 0
; FloatMode: 240
; IeeeMode: 1
; LDSByteSize: 0 bytes/workgroup (compile time only)
; SGPRBlocks: 0
; VGPRBlocks: 0
; NumSGPRsForWavesPerEU: 6
; NumVGPRsForWavesPerEU: 1
; AccumOffset: 4
; Occupancy: 8
; WaveLimiterHint : 0
; COMPUTE_PGM_RSRC2:SCRATCH_EN: 0
; COMPUTE_PGM_RSRC2:USER_SGPR: 2
; COMPUTE_PGM_RSRC2:TRAP_HANDLER: 0
; COMPUTE_PGM_RSRC2:TGID_X_EN: 1
; COMPUTE_PGM_RSRC2:TGID_Y_EN: 0
; COMPUTE_PGM_RSRC2:TGID_Z_EN: 0
; COMPUTE_PGM_RSRC2:TIDIG_COMP_CNT: 0
; COMPUTE_PGM_RSRC3_GFX90A:ACCUM_OFFSET: 0
; COMPUTE_PGM_RSRC3_GFX90A:TG_SPLIT: 0
	.section	.text._ZN7rocprim17ROCPRIM_400000_NS6detail17trampoline_kernelINS0_14default_configENS1_35adjacent_difference_config_selectorILb1ElEEZNS1_24adjacent_difference_implIS3_Lb1ELb0EPlS7_ZN2at6native12_GLOBAL__N_124unique_dim_cuda_templateIhEESt5tupleIJNS8_6TensorESD_SD_EERKSD_lbbbEUlllE1_EE10hipError_tPvRmT2_T3_mT4_P12ihipStream_tbEUlT_E_NS1_11comp_targetILNS1_3genE9ELNS1_11target_archE1100ELNS1_3gpuE3ELNS1_3repE0EEENS1_30default_config_static_selectorELNS0_4arch9wavefront6targetE1EEEvT1_,"axG",@progbits,_ZN7rocprim17ROCPRIM_400000_NS6detail17trampoline_kernelINS0_14default_configENS1_35adjacent_difference_config_selectorILb1ElEEZNS1_24adjacent_difference_implIS3_Lb1ELb0EPlS7_ZN2at6native12_GLOBAL__N_124unique_dim_cuda_templateIhEESt5tupleIJNS8_6TensorESD_SD_EERKSD_lbbbEUlllE1_EE10hipError_tPvRmT2_T3_mT4_P12ihipStream_tbEUlT_E_NS1_11comp_targetILNS1_3genE9ELNS1_11target_archE1100ELNS1_3gpuE3ELNS1_3repE0EEENS1_30default_config_static_selectorELNS0_4arch9wavefront6targetE1EEEvT1_,comdat
	.globl	_ZN7rocprim17ROCPRIM_400000_NS6detail17trampoline_kernelINS0_14default_configENS1_35adjacent_difference_config_selectorILb1ElEEZNS1_24adjacent_difference_implIS3_Lb1ELb0EPlS7_ZN2at6native12_GLOBAL__N_124unique_dim_cuda_templateIhEESt5tupleIJNS8_6TensorESD_SD_EERKSD_lbbbEUlllE1_EE10hipError_tPvRmT2_T3_mT4_P12ihipStream_tbEUlT_E_NS1_11comp_targetILNS1_3genE9ELNS1_11target_archE1100ELNS1_3gpuE3ELNS1_3repE0EEENS1_30default_config_static_selectorELNS0_4arch9wavefront6targetE1EEEvT1_ ; -- Begin function _ZN7rocprim17ROCPRIM_400000_NS6detail17trampoline_kernelINS0_14default_configENS1_35adjacent_difference_config_selectorILb1ElEEZNS1_24adjacent_difference_implIS3_Lb1ELb0EPlS7_ZN2at6native12_GLOBAL__N_124unique_dim_cuda_templateIhEESt5tupleIJNS8_6TensorESD_SD_EERKSD_lbbbEUlllE1_EE10hipError_tPvRmT2_T3_mT4_P12ihipStream_tbEUlT_E_NS1_11comp_targetILNS1_3genE9ELNS1_11target_archE1100ELNS1_3gpuE3ELNS1_3repE0EEENS1_30default_config_static_selectorELNS0_4arch9wavefront6targetE1EEEvT1_
	.p2align	8
	.type	_ZN7rocprim17ROCPRIM_400000_NS6detail17trampoline_kernelINS0_14default_configENS1_35adjacent_difference_config_selectorILb1ElEEZNS1_24adjacent_difference_implIS3_Lb1ELb0EPlS7_ZN2at6native12_GLOBAL__N_124unique_dim_cuda_templateIhEESt5tupleIJNS8_6TensorESD_SD_EERKSD_lbbbEUlllE1_EE10hipError_tPvRmT2_T3_mT4_P12ihipStream_tbEUlT_E_NS1_11comp_targetILNS1_3genE9ELNS1_11target_archE1100ELNS1_3gpuE3ELNS1_3repE0EEENS1_30default_config_static_selectorELNS0_4arch9wavefront6targetE1EEEvT1_,@function
_ZN7rocprim17ROCPRIM_400000_NS6detail17trampoline_kernelINS0_14default_configENS1_35adjacent_difference_config_selectorILb1ElEEZNS1_24adjacent_difference_implIS3_Lb1ELb0EPlS7_ZN2at6native12_GLOBAL__N_124unique_dim_cuda_templateIhEESt5tupleIJNS8_6TensorESD_SD_EERKSD_lbbbEUlllE1_EE10hipError_tPvRmT2_T3_mT4_P12ihipStream_tbEUlT_E_NS1_11comp_targetILNS1_3genE9ELNS1_11target_archE1100ELNS1_3gpuE3ELNS1_3repE0EEENS1_30default_config_static_selectorELNS0_4arch9wavefront6targetE1EEEvT1_: ; @_ZN7rocprim17ROCPRIM_400000_NS6detail17trampoline_kernelINS0_14default_configENS1_35adjacent_difference_config_selectorILb1ElEEZNS1_24adjacent_difference_implIS3_Lb1ELb0EPlS7_ZN2at6native12_GLOBAL__N_124unique_dim_cuda_templateIhEESt5tupleIJNS8_6TensorESD_SD_EERKSD_lbbbEUlllE1_EE10hipError_tPvRmT2_T3_mT4_P12ihipStream_tbEUlT_E_NS1_11comp_targetILNS1_3genE9ELNS1_11target_archE1100ELNS1_3gpuE3ELNS1_3repE0EEENS1_30default_config_static_selectorELNS0_4arch9wavefront6targetE1EEEvT1_
; %bb.0:
	.section	.rodata,"a",@progbits
	.p2align	6, 0x0
	.amdhsa_kernel _ZN7rocprim17ROCPRIM_400000_NS6detail17trampoline_kernelINS0_14default_configENS1_35adjacent_difference_config_selectorILb1ElEEZNS1_24adjacent_difference_implIS3_Lb1ELb0EPlS7_ZN2at6native12_GLOBAL__N_124unique_dim_cuda_templateIhEESt5tupleIJNS8_6TensorESD_SD_EERKSD_lbbbEUlllE1_EE10hipError_tPvRmT2_T3_mT4_P12ihipStream_tbEUlT_E_NS1_11comp_targetILNS1_3genE9ELNS1_11target_archE1100ELNS1_3gpuE3ELNS1_3repE0EEENS1_30default_config_static_selectorELNS0_4arch9wavefront6targetE1EEEvT1_
		.amdhsa_group_segment_fixed_size 0
		.amdhsa_private_segment_fixed_size 0
		.amdhsa_kernarg_size 64
		.amdhsa_user_sgpr_count 2
		.amdhsa_user_sgpr_dispatch_ptr 0
		.amdhsa_user_sgpr_queue_ptr 0
		.amdhsa_user_sgpr_kernarg_segment_ptr 1
		.amdhsa_user_sgpr_dispatch_id 0
		.amdhsa_user_sgpr_kernarg_preload_length 0
		.amdhsa_user_sgpr_kernarg_preload_offset 0
		.amdhsa_user_sgpr_private_segment_size 0
		.amdhsa_uses_dynamic_stack 0
		.amdhsa_enable_private_segment 0
		.amdhsa_system_sgpr_workgroup_id_x 1
		.amdhsa_system_sgpr_workgroup_id_y 0
		.amdhsa_system_sgpr_workgroup_id_z 0
		.amdhsa_system_sgpr_workgroup_info 0
		.amdhsa_system_vgpr_workitem_id 0
		.amdhsa_next_free_vgpr 1
		.amdhsa_next_free_sgpr 0
		.amdhsa_accum_offset 4
		.amdhsa_reserve_vcc 0
		.amdhsa_float_round_mode_32 0
		.amdhsa_float_round_mode_16_64 0
		.amdhsa_float_denorm_mode_32 3
		.amdhsa_float_denorm_mode_16_64 3
		.amdhsa_dx10_clamp 1
		.amdhsa_ieee_mode 1
		.amdhsa_fp16_overflow 0
		.amdhsa_tg_split 0
		.amdhsa_exception_fp_ieee_invalid_op 0
		.amdhsa_exception_fp_denorm_src 0
		.amdhsa_exception_fp_ieee_div_zero 0
		.amdhsa_exception_fp_ieee_overflow 0
		.amdhsa_exception_fp_ieee_underflow 0
		.amdhsa_exception_fp_ieee_inexact 0
		.amdhsa_exception_int_div_zero 0
	.end_amdhsa_kernel
	.section	.text._ZN7rocprim17ROCPRIM_400000_NS6detail17trampoline_kernelINS0_14default_configENS1_35adjacent_difference_config_selectorILb1ElEEZNS1_24adjacent_difference_implIS3_Lb1ELb0EPlS7_ZN2at6native12_GLOBAL__N_124unique_dim_cuda_templateIhEESt5tupleIJNS8_6TensorESD_SD_EERKSD_lbbbEUlllE1_EE10hipError_tPvRmT2_T3_mT4_P12ihipStream_tbEUlT_E_NS1_11comp_targetILNS1_3genE9ELNS1_11target_archE1100ELNS1_3gpuE3ELNS1_3repE0EEENS1_30default_config_static_selectorELNS0_4arch9wavefront6targetE1EEEvT1_,"axG",@progbits,_ZN7rocprim17ROCPRIM_400000_NS6detail17trampoline_kernelINS0_14default_configENS1_35adjacent_difference_config_selectorILb1ElEEZNS1_24adjacent_difference_implIS3_Lb1ELb0EPlS7_ZN2at6native12_GLOBAL__N_124unique_dim_cuda_templateIhEESt5tupleIJNS8_6TensorESD_SD_EERKSD_lbbbEUlllE1_EE10hipError_tPvRmT2_T3_mT4_P12ihipStream_tbEUlT_E_NS1_11comp_targetILNS1_3genE9ELNS1_11target_archE1100ELNS1_3gpuE3ELNS1_3repE0EEENS1_30default_config_static_selectorELNS0_4arch9wavefront6targetE1EEEvT1_,comdat
.Lfunc_end82:
	.size	_ZN7rocprim17ROCPRIM_400000_NS6detail17trampoline_kernelINS0_14default_configENS1_35adjacent_difference_config_selectorILb1ElEEZNS1_24adjacent_difference_implIS3_Lb1ELb0EPlS7_ZN2at6native12_GLOBAL__N_124unique_dim_cuda_templateIhEESt5tupleIJNS8_6TensorESD_SD_EERKSD_lbbbEUlllE1_EE10hipError_tPvRmT2_T3_mT4_P12ihipStream_tbEUlT_E_NS1_11comp_targetILNS1_3genE9ELNS1_11target_archE1100ELNS1_3gpuE3ELNS1_3repE0EEENS1_30default_config_static_selectorELNS0_4arch9wavefront6targetE1EEEvT1_, .Lfunc_end82-_ZN7rocprim17ROCPRIM_400000_NS6detail17trampoline_kernelINS0_14default_configENS1_35adjacent_difference_config_selectorILb1ElEEZNS1_24adjacent_difference_implIS3_Lb1ELb0EPlS7_ZN2at6native12_GLOBAL__N_124unique_dim_cuda_templateIhEESt5tupleIJNS8_6TensorESD_SD_EERKSD_lbbbEUlllE1_EE10hipError_tPvRmT2_T3_mT4_P12ihipStream_tbEUlT_E_NS1_11comp_targetILNS1_3genE9ELNS1_11target_archE1100ELNS1_3gpuE3ELNS1_3repE0EEENS1_30default_config_static_selectorELNS0_4arch9wavefront6targetE1EEEvT1_
                                        ; -- End function
	.section	.AMDGPU.csdata,"",@progbits
; Kernel info:
; codeLenInByte = 0
; NumSgprs: 6
; NumVgprs: 0
; NumAgprs: 0
; TotalNumVgprs: 0
; ScratchSize: 0
; MemoryBound: 0
; FloatMode: 240
; IeeeMode: 1
; LDSByteSize: 0 bytes/workgroup (compile time only)
; SGPRBlocks: 0
; VGPRBlocks: 0
; NumSGPRsForWavesPerEU: 6
; NumVGPRsForWavesPerEU: 1
; AccumOffset: 4
; Occupancy: 8
; WaveLimiterHint : 0
; COMPUTE_PGM_RSRC2:SCRATCH_EN: 0
; COMPUTE_PGM_RSRC2:USER_SGPR: 2
; COMPUTE_PGM_RSRC2:TRAP_HANDLER: 0
; COMPUTE_PGM_RSRC2:TGID_X_EN: 1
; COMPUTE_PGM_RSRC2:TGID_Y_EN: 0
; COMPUTE_PGM_RSRC2:TGID_Z_EN: 0
; COMPUTE_PGM_RSRC2:TIDIG_COMP_CNT: 0
; COMPUTE_PGM_RSRC3_GFX90A:ACCUM_OFFSET: 0
; COMPUTE_PGM_RSRC3_GFX90A:TG_SPLIT: 0
	.section	.text._ZN7rocprim17ROCPRIM_400000_NS6detail17trampoline_kernelINS0_14default_configENS1_35adjacent_difference_config_selectorILb1ElEEZNS1_24adjacent_difference_implIS3_Lb1ELb0EPlS7_ZN2at6native12_GLOBAL__N_124unique_dim_cuda_templateIhEESt5tupleIJNS8_6TensorESD_SD_EERKSD_lbbbEUlllE1_EE10hipError_tPvRmT2_T3_mT4_P12ihipStream_tbEUlT_E_NS1_11comp_targetILNS1_3genE8ELNS1_11target_archE1030ELNS1_3gpuE2ELNS1_3repE0EEENS1_30default_config_static_selectorELNS0_4arch9wavefront6targetE1EEEvT1_,"axG",@progbits,_ZN7rocprim17ROCPRIM_400000_NS6detail17trampoline_kernelINS0_14default_configENS1_35adjacent_difference_config_selectorILb1ElEEZNS1_24adjacent_difference_implIS3_Lb1ELb0EPlS7_ZN2at6native12_GLOBAL__N_124unique_dim_cuda_templateIhEESt5tupleIJNS8_6TensorESD_SD_EERKSD_lbbbEUlllE1_EE10hipError_tPvRmT2_T3_mT4_P12ihipStream_tbEUlT_E_NS1_11comp_targetILNS1_3genE8ELNS1_11target_archE1030ELNS1_3gpuE2ELNS1_3repE0EEENS1_30default_config_static_selectorELNS0_4arch9wavefront6targetE1EEEvT1_,comdat
	.globl	_ZN7rocprim17ROCPRIM_400000_NS6detail17trampoline_kernelINS0_14default_configENS1_35adjacent_difference_config_selectorILb1ElEEZNS1_24adjacent_difference_implIS3_Lb1ELb0EPlS7_ZN2at6native12_GLOBAL__N_124unique_dim_cuda_templateIhEESt5tupleIJNS8_6TensorESD_SD_EERKSD_lbbbEUlllE1_EE10hipError_tPvRmT2_T3_mT4_P12ihipStream_tbEUlT_E_NS1_11comp_targetILNS1_3genE8ELNS1_11target_archE1030ELNS1_3gpuE2ELNS1_3repE0EEENS1_30default_config_static_selectorELNS0_4arch9wavefront6targetE1EEEvT1_ ; -- Begin function _ZN7rocprim17ROCPRIM_400000_NS6detail17trampoline_kernelINS0_14default_configENS1_35adjacent_difference_config_selectorILb1ElEEZNS1_24adjacent_difference_implIS3_Lb1ELb0EPlS7_ZN2at6native12_GLOBAL__N_124unique_dim_cuda_templateIhEESt5tupleIJNS8_6TensorESD_SD_EERKSD_lbbbEUlllE1_EE10hipError_tPvRmT2_T3_mT4_P12ihipStream_tbEUlT_E_NS1_11comp_targetILNS1_3genE8ELNS1_11target_archE1030ELNS1_3gpuE2ELNS1_3repE0EEENS1_30default_config_static_selectorELNS0_4arch9wavefront6targetE1EEEvT1_
	.p2align	8
	.type	_ZN7rocprim17ROCPRIM_400000_NS6detail17trampoline_kernelINS0_14default_configENS1_35adjacent_difference_config_selectorILb1ElEEZNS1_24adjacent_difference_implIS3_Lb1ELb0EPlS7_ZN2at6native12_GLOBAL__N_124unique_dim_cuda_templateIhEESt5tupleIJNS8_6TensorESD_SD_EERKSD_lbbbEUlllE1_EE10hipError_tPvRmT2_T3_mT4_P12ihipStream_tbEUlT_E_NS1_11comp_targetILNS1_3genE8ELNS1_11target_archE1030ELNS1_3gpuE2ELNS1_3repE0EEENS1_30default_config_static_selectorELNS0_4arch9wavefront6targetE1EEEvT1_,@function
_ZN7rocprim17ROCPRIM_400000_NS6detail17trampoline_kernelINS0_14default_configENS1_35adjacent_difference_config_selectorILb1ElEEZNS1_24adjacent_difference_implIS3_Lb1ELb0EPlS7_ZN2at6native12_GLOBAL__N_124unique_dim_cuda_templateIhEESt5tupleIJNS8_6TensorESD_SD_EERKSD_lbbbEUlllE1_EE10hipError_tPvRmT2_T3_mT4_P12ihipStream_tbEUlT_E_NS1_11comp_targetILNS1_3genE8ELNS1_11target_archE1030ELNS1_3gpuE2ELNS1_3repE0EEENS1_30default_config_static_selectorELNS0_4arch9wavefront6targetE1EEEvT1_: ; @_ZN7rocprim17ROCPRIM_400000_NS6detail17trampoline_kernelINS0_14default_configENS1_35adjacent_difference_config_selectorILb1ElEEZNS1_24adjacent_difference_implIS3_Lb1ELb0EPlS7_ZN2at6native12_GLOBAL__N_124unique_dim_cuda_templateIhEESt5tupleIJNS8_6TensorESD_SD_EERKSD_lbbbEUlllE1_EE10hipError_tPvRmT2_T3_mT4_P12ihipStream_tbEUlT_E_NS1_11comp_targetILNS1_3genE8ELNS1_11target_archE1030ELNS1_3gpuE2ELNS1_3repE0EEENS1_30default_config_static_selectorELNS0_4arch9wavefront6targetE1EEEvT1_
; %bb.0:
	.section	.rodata,"a",@progbits
	.p2align	6, 0x0
	.amdhsa_kernel _ZN7rocprim17ROCPRIM_400000_NS6detail17trampoline_kernelINS0_14default_configENS1_35adjacent_difference_config_selectorILb1ElEEZNS1_24adjacent_difference_implIS3_Lb1ELb0EPlS7_ZN2at6native12_GLOBAL__N_124unique_dim_cuda_templateIhEESt5tupleIJNS8_6TensorESD_SD_EERKSD_lbbbEUlllE1_EE10hipError_tPvRmT2_T3_mT4_P12ihipStream_tbEUlT_E_NS1_11comp_targetILNS1_3genE8ELNS1_11target_archE1030ELNS1_3gpuE2ELNS1_3repE0EEENS1_30default_config_static_selectorELNS0_4arch9wavefront6targetE1EEEvT1_
		.amdhsa_group_segment_fixed_size 0
		.amdhsa_private_segment_fixed_size 0
		.amdhsa_kernarg_size 64
		.amdhsa_user_sgpr_count 2
		.amdhsa_user_sgpr_dispatch_ptr 0
		.amdhsa_user_sgpr_queue_ptr 0
		.amdhsa_user_sgpr_kernarg_segment_ptr 1
		.amdhsa_user_sgpr_dispatch_id 0
		.amdhsa_user_sgpr_kernarg_preload_length 0
		.amdhsa_user_sgpr_kernarg_preload_offset 0
		.amdhsa_user_sgpr_private_segment_size 0
		.amdhsa_uses_dynamic_stack 0
		.amdhsa_enable_private_segment 0
		.amdhsa_system_sgpr_workgroup_id_x 1
		.amdhsa_system_sgpr_workgroup_id_y 0
		.amdhsa_system_sgpr_workgroup_id_z 0
		.amdhsa_system_sgpr_workgroup_info 0
		.amdhsa_system_vgpr_workitem_id 0
		.amdhsa_next_free_vgpr 1
		.amdhsa_next_free_sgpr 0
		.amdhsa_accum_offset 4
		.amdhsa_reserve_vcc 0
		.amdhsa_float_round_mode_32 0
		.amdhsa_float_round_mode_16_64 0
		.amdhsa_float_denorm_mode_32 3
		.amdhsa_float_denorm_mode_16_64 3
		.amdhsa_dx10_clamp 1
		.amdhsa_ieee_mode 1
		.amdhsa_fp16_overflow 0
		.amdhsa_tg_split 0
		.amdhsa_exception_fp_ieee_invalid_op 0
		.amdhsa_exception_fp_denorm_src 0
		.amdhsa_exception_fp_ieee_div_zero 0
		.amdhsa_exception_fp_ieee_overflow 0
		.amdhsa_exception_fp_ieee_underflow 0
		.amdhsa_exception_fp_ieee_inexact 0
		.amdhsa_exception_int_div_zero 0
	.end_amdhsa_kernel
	.section	.text._ZN7rocprim17ROCPRIM_400000_NS6detail17trampoline_kernelINS0_14default_configENS1_35adjacent_difference_config_selectorILb1ElEEZNS1_24adjacent_difference_implIS3_Lb1ELb0EPlS7_ZN2at6native12_GLOBAL__N_124unique_dim_cuda_templateIhEESt5tupleIJNS8_6TensorESD_SD_EERKSD_lbbbEUlllE1_EE10hipError_tPvRmT2_T3_mT4_P12ihipStream_tbEUlT_E_NS1_11comp_targetILNS1_3genE8ELNS1_11target_archE1030ELNS1_3gpuE2ELNS1_3repE0EEENS1_30default_config_static_selectorELNS0_4arch9wavefront6targetE1EEEvT1_,"axG",@progbits,_ZN7rocprim17ROCPRIM_400000_NS6detail17trampoline_kernelINS0_14default_configENS1_35adjacent_difference_config_selectorILb1ElEEZNS1_24adjacent_difference_implIS3_Lb1ELb0EPlS7_ZN2at6native12_GLOBAL__N_124unique_dim_cuda_templateIhEESt5tupleIJNS8_6TensorESD_SD_EERKSD_lbbbEUlllE1_EE10hipError_tPvRmT2_T3_mT4_P12ihipStream_tbEUlT_E_NS1_11comp_targetILNS1_3genE8ELNS1_11target_archE1030ELNS1_3gpuE2ELNS1_3repE0EEENS1_30default_config_static_selectorELNS0_4arch9wavefront6targetE1EEEvT1_,comdat
.Lfunc_end83:
	.size	_ZN7rocprim17ROCPRIM_400000_NS6detail17trampoline_kernelINS0_14default_configENS1_35adjacent_difference_config_selectorILb1ElEEZNS1_24adjacent_difference_implIS3_Lb1ELb0EPlS7_ZN2at6native12_GLOBAL__N_124unique_dim_cuda_templateIhEESt5tupleIJNS8_6TensorESD_SD_EERKSD_lbbbEUlllE1_EE10hipError_tPvRmT2_T3_mT4_P12ihipStream_tbEUlT_E_NS1_11comp_targetILNS1_3genE8ELNS1_11target_archE1030ELNS1_3gpuE2ELNS1_3repE0EEENS1_30default_config_static_selectorELNS0_4arch9wavefront6targetE1EEEvT1_, .Lfunc_end83-_ZN7rocprim17ROCPRIM_400000_NS6detail17trampoline_kernelINS0_14default_configENS1_35adjacent_difference_config_selectorILb1ElEEZNS1_24adjacent_difference_implIS3_Lb1ELb0EPlS7_ZN2at6native12_GLOBAL__N_124unique_dim_cuda_templateIhEESt5tupleIJNS8_6TensorESD_SD_EERKSD_lbbbEUlllE1_EE10hipError_tPvRmT2_T3_mT4_P12ihipStream_tbEUlT_E_NS1_11comp_targetILNS1_3genE8ELNS1_11target_archE1030ELNS1_3gpuE2ELNS1_3repE0EEENS1_30default_config_static_selectorELNS0_4arch9wavefront6targetE1EEEvT1_
                                        ; -- End function
	.section	.AMDGPU.csdata,"",@progbits
; Kernel info:
; codeLenInByte = 0
; NumSgprs: 6
; NumVgprs: 0
; NumAgprs: 0
; TotalNumVgprs: 0
; ScratchSize: 0
; MemoryBound: 0
; FloatMode: 240
; IeeeMode: 1
; LDSByteSize: 0 bytes/workgroup (compile time only)
; SGPRBlocks: 0
; VGPRBlocks: 0
; NumSGPRsForWavesPerEU: 6
; NumVGPRsForWavesPerEU: 1
; AccumOffset: 4
; Occupancy: 8
; WaveLimiterHint : 0
; COMPUTE_PGM_RSRC2:SCRATCH_EN: 0
; COMPUTE_PGM_RSRC2:USER_SGPR: 2
; COMPUTE_PGM_RSRC2:TRAP_HANDLER: 0
; COMPUTE_PGM_RSRC2:TGID_X_EN: 1
; COMPUTE_PGM_RSRC2:TGID_Y_EN: 0
; COMPUTE_PGM_RSRC2:TGID_Z_EN: 0
; COMPUTE_PGM_RSRC2:TIDIG_COMP_CNT: 0
; COMPUTE_PGM_RSRC3_GFX90A:ACCUM_OFFSET: 0
; COMPUTE_PGM_RSRC3_GFX90A:TG_SPLIT: 0
	.section	.text._ZN7rocprim17ROCPRIM_400000_NS6detail31init_lookback_scan_state_kernelINS1_19lookback_scan_stateIlLb0ELb1EEENS1_16block_id_wrapperIjLb0EEEEEvT_jT0_jPNS7_10value_typeE,"axG",@progbits,_ZN7rocprim17ROCPRIM_400000_NS6detail31init_lookback_scan_state_kernelINS1_19lookback_scan_stateIlLb0ELb1EEENS1_16block_id_wrapperIjLb0EEEEEvT_jT0_jPNS7_10value_typeE,comdat
	.protected	_ZN7rocprim17ROCPRIM_400000_NS6detail31init_lookback_scan_state_kernelINS1_19lookback_scan_stateIlLb0ELb1EEENS1_16block_id_wrapperIjLb0EEEEEvT_jT0_jPNS7_10value_typeE ; -- Begin function _ZN7rocprim17ROCPRIM_400000_NS6detail31init_lookback_scan_state_kernelINS1_19lookback_scan_stateIlLb0ELb1EEENS1_16block_id_wrapperIjLb0EEEEEvT_jT0_jPNS7_10value_typeE
	.globl	_ZN7rocprim17ROCPRIM_400000_NS6detail31init_lookback_scan_state_kernelINS1_19lookback_scan_stateIlLb0ELb1EEENS1_16block_id_wrapperIjLb0EEEEEvT_jT0_jPNS7_10value_typeE
	.p2align	8
	.type	_ZN7rocprim17ROCPRIM_400000_NS6detail31init_lookback_scan_state_kernelINS1_19lookback_scan_stateIlLb0ELb1EEENS1_16block_id_wrapperIjLb0EEEEEvT_jT0_jPNS7_10value_typeE,@function
_ZN7rocprim17ROCPRIM_400000_NS6detail31init_lookback_scan_state_kernelINS1_19lookback_scan_stateIlLb0ELb1EEENS1_16block_id_wrapperIjLb0EEEEEvT_jT0_jPNS7_10value_typeE: ; @_ZN7rocprim17ROCPRIM_400000_NS6detail31init_lookback_scan_state_kernelINS1_19lookback_scan_stateIlLb0ELb1EEENS1_16block_id_wrapperIjLb0EEEEEvT_jT0_jPNS7_10value_typeE
; %bb.0:
	s_load_dword s3, s[0:1], 0x2c
	s_load_dwordx2 s[6:7], s[0:1], 0x18
	s_load_dwordx2 s[4:5], s[0:1], 0x0
	s_load_dword s12, s[0:1], 0x8
	s_waitcnt lgkmcnt(0)
	s_and_b32 s3, s3, 0xffff
	s_mul_i32 s2, s2, s3
	s_cmp_eq_u64 s[6:7], 0
	v_add_u32_e32 v0, s2, v0
	s_cbranch_scc1 .LBB84_8
; %bb.1:
	s_load_dword s2, s[0:1], 0x10
	s_mov_b32 s3, 0
	s_waitcnt lgkmcnt(0)
	s_cmp_lt_u32 s2, s12
	s_cselect_b32 s0, s2, 0
	v_cmp_eq_u32_e32 vcc, s0, v0
	s_and_saveexec_b64 s[0:1], vcc
	s_cbranch_execz .LBB84_7
; %bb.2:
	s_add_i32 s2, s2, 64
	s_lshl_b64 s[2:3], s[2:3], 4
	s_add_u32 s10, s4, s2
	s_addc_u32 s11, s5, s3
	v_mov_b64_e32 v[2:3], s[10:11]
	;;#ASMSTART
	global_load_dwordx4 v[2:5], v[2:3] off sc1	
s_waitcnt vmcnt(0)
	;;#ASMEND
	v_mov_b32_e32 v7, 0
	v_and_b32_e32 v6, 0xff, v4
	s_mov_b64 s[8:9], 0
	v_cmp_eq_u64_e32 vcc, 0, v[6:7]
	s_and_saveexec_b64 s[2:3], vcc
	s_cbranch_execz .LBB84_6
; %bb.3:
	v_mov_b64_e32 v[8:9], s[10:11]
.LBB84_4:                               ; =>This Inner Loop Header: Depth=1
	;;#ASMSTART
	global_load_dwordx4 v[2:5], v[8:9] off sc1	
s_waitcnt vmcnt(0)
	;;#ASMEND
	s_nop 0
	v_and_b32_e32 v6, 0xff, v4
	v_cmp_ne_u64_e32 vcc, 0, v[6:7]
	s_or_b64 s[8:9], vcc, s[8:9]
	s_andn2_b64 exec, exec, s[8:9]
	s_cbranch_execnz .LBB84_4
; %bb.5:
	s_or_b64 exec, exec, s[8:9]
.LBB84_6:
	s_or_b64 exec, exec, s[2:3]
	v_mov_b32_e32 v1, 0
	global_store_dwordx2 v1, v[2:3], s[6:7]
.LBB84_7:
	s_or_b64 exec, exec, s[0:1]
.LBB84_8:
	v_cmp_gt_u32_e32 vcc, s12, v0
	s_and_saveexec_b64 s[0:1], vcc
	s_cbranch_execnz .LBB84_11
; %bb.9:
	s_or_b64 exec, exec, s[0:1]
	v_cmp_gt_u32_e32 vcc, 64, v0
	s_and_saveexec_b64 s[0:1], vcc
	s_cbranch_execnz .LBB84_12
.LBB84_10:
	s_endpgm
.LBB84_11:
	v_add_u32_e32 v2, 64, v0
	v_mov_b32_e32 v3, 0
	v_lshl_add_u64 v[6:7], v[2:3], 4, s[4:5]
	v_mov_b32_e32 v2, v3
	v_mov_b32_e32 v4, v3
	;; [unrolled: 1-line block ×3, first 2 shown]
	global_store_dwordx4 v[6:7], v[2:5], off
	s_or_b64 exec, exec, s[0:1]
	v_cmp_gt_u32_e32 vcc, 64, v0
	s_and_saveexec_b64 s[0:1], vcc
	s_cbranch_execz .LBB84_10
.LBB84_12:
	v_mov_b32_e32 v1, 0
	v_lshl_add_u64 v[4:5], v[0:1], 4, s[4:5]
	v_mov_b32_e32 v2, 0xff
	v_mov_b32_e32 v0, v1
	v_mov_b32_e32 v3, v1
	global_store_dwordx4 v[4:5], v[0:3], off
	s_endpgm
	.section	.rodata,"a",@progbits
	.p2align	6, 0x0
	.amdhsa_kernel _ZN7rocprim17ROCPRIM_400000_NS6detail31init_lookback_scan_state_kernelINS1_19lookback_scan_stateIlLb0ELb1EEENS1_16block_id_wrapperIjLb0EEEEEvT_jT0_jPNS7_10value_typeE
		.amdhsa_group_segment_fixed_size 0
		.amdhsa_private_segment_fixed_size 0
		.amdhsa_kernarg_size 288
		.amdhsa_user_sgpr_count 2
		.amdhsa_user_sgpr_dispatch_ptr 0
		.amdhsa_user_sgpr_queue_ptr 0
		.amdhsa_user_sgpr_kernarg_segment_ptr 1
		.amdhsa_user_sgpr_dispatch_id 0
		.amdhsa_user_sgpr_kernarg_preload_length 0
		.amdhsa_user_sgpr_kernarg_preload_offset 0
		.amdhsa_user_sgpr_private_segment_size 0
		.amdhsa_uses_dynamic_stack 0
		.amdhsa_enable_private_segment 0
		.amdhsa_system_sgpr_workgroup_id_x 1
		.amdhsa_system_sgpr_workgroup_id_y 0
		.amdhsa_system_sgpr_workgroup_id_z 0
		.amdhsa_system_sgpr_workgroup_info 0
		.amdhsa_system_vgpr_workitem_id 0
		.amdhsa_next_free_vgpr 10
		.amdhsa_next_free_sgpr 13
		.amdhsa_accum_offset 12
		.amdhsa_reserve_vcc 1
		.amdhsa_float_round_mode_32 0
		.amdhsa_float_round_mode_16_64 0
		.amdhsa_float_denorm_mode_32 3
		.amdhsa_float_denorm_mode_16_64 3
		.amdhsa_dx10_clamp 1
		.amdhsa_ieee_mode 1
		.amdhsa_fp16_overflow 0
		.amdhsa_tg_split 0
		.amdhsa_exception_fp_ieee_invalid_op 0
		.amdhsa_exception_fp_denorm_src 0
		.amdhsa_exception_fp_ieee_div_zero 0
		.amdhsa_exception_fp_ieee_overflow 0
		.amdhsa_exception_fp_ieee_underflow 0
		.amdhsa_exception_fp_ieee_inexact 0
		.amdhsa_exception_int_div_zero 0
	.end_amdhsa_kernel
	.section	.text._ZN7rocprim17ROCPRIM_400000_NS6detail31init_lookback_scan_state_kernelINS1_19lookback_scan_stateIlLb0ELb1EEENS1_16block_id_wrapperIjLb0EEEEEvT_jT0_jPNS7_10value_typeE,"axG",@progbits,_ZN7rocprim17ROCPRIM_400000_NS6detail31init_lookback_scan_state_kernelINS1_19lookback_scan_stateIlLb0ELb1EEENS1_16block_id_wrapperIjLb0EEEEEvT_jT0_jPNS7_10value_typeE,comdat
.Lfunc_end84:
	.size	_ZN7rocprim17ROCPRIM_400000_NS6detail31init_lookback_scan_state_kernelINS1_19lookback_scan_stateIlLb0ELb1EEENS1_16block_id_wrapperIjLb0EEEEEvT_jT0_jPNS7_10value_typeE, .Lfunc_end84-_ZN7rocprim17ROCPRIM_400000_NS6detail31init_lookback_scan_state_kernelINS1_19lookback_scan_stateIlLb0ELb1EEENS1_16block_id_wrapperIjLb0EEEEEvT_jT0_jPNS7_10value_typeE
                                        ; -- End function
	.section	.AMDGPU.csdata,"",@progbits
; Kernel info:
; codeLenInByte = 356
; NumSgprs: 19
; NumVgprs: 10
; NumAgprs: 0
; TotalNumVgprs: 10
; ScratchSize: 0
; MemoryBound: 0
; FloatMode: 240
; IeeeMode: 1
; LDSByteSize: 0 bytes/workgroup (compile time only)
; SGPRBlocks: 2
; VGPRBlocks: 1
; NumSGPRsForWavesPerEU: 19
; NumVGPRsForWavesPerEU: 10
; AccumOffset: 12
; Occupancy: 8
; WaveLimiterHint : 0
; COMPUTE_PGM_RSRC2:SCRATCH_EN: 0
; COMPUTE_PGM_RSRC2:USER_SGPR: 2
; COMPUTE_PGM_RSRC2:TRAP_HANDLER: 0
; COMPUTE_PGM_RSRC2:TGID_X_EN: 1
; COMPUTE_PGM_RSRC2:TGID_Y_EN: 0
; COMPUTE_PGM_RSRC2:TGID_Z_EN: 0
; COMPUTE_PGM_RSRC2:TIDIG_COMP_CNT: 0
; COMPUTE_PGM_RSRC3_GFX90A:ACCUM_OFFSET: 2
; COMPUTE_PGM_RSRC3_GFX90A:TG_SPLIT: 0
	.section	.text._ZN7rocprim17ROCPRIM_400000_NS6detail17trampoline_kernelINS0_14default_configENS1_20scan_config_selectorIlEEZZNS1_9scan_implILNS1_25lookback_scan_determinismE0ELb0ELb0ES3_PlS8_lN6thrust23THRUST_200600_302600_NS4plusIvEElEEDaPvRmT3_T4_T5_mT6_P12ihipStream_tbENKUlT_T0_E_clISt17integral_constantIbLb0EESQ_EEDaSL_SM_EUlSL_E_NS1_11comp_targetILNS1_3genE0ELNS1_11target_archE4294967295ELNS1_3gpuE0ELNS1_3repE0EEENS1_30default_config_static_selectorELNS0_4arch9wavefront6targetE1EEEvT1_,"axG",@progbits,_ZN7rocprim17ROCPRIM_400000_NS6detail17trampoline_kernelINS0_14default_configENS1_20scan_config_selectorIlEEZZNS1_9scan_implILNS1_25lookback_scan_determinismE0ELb0ELb0ES3_PlS8_lN6thrust23THRUST_200600_302600_NS4plusIvEElEEDaPvRmT3_T4_T5_mT6_P12ihipStream_tbENKUlT_T0_E_clISt17integral_constantIbLb0EESQ_EEDaSL_SM_EUlSL_E_NS1_11comp_targetILNS1_3genE0ELNS1_11target_archE4294967295ELNS1_3gpuE0ELNS1_3repE0EEENS1_30default_config_static_selectorELNS0_4arch9wavefront6targetE1EEEvT1_,comdat
	.protected	_ZN7rocprim17ROCPRIM_400000_NS6detail17trampoline_kernelINS0_14default_configENS1_20scan_config_selectorIlEEZZNS1_9scan_implILNS1_25lookback_scan_determinismE0ELb0ELb0ES3_PlS8_lN6thrust23THRUST_200600_302600_NS4plusIvEElEEDaPvRmT3_T4_T5_mT6_P12ihipStream_tbENKUlT_T0_E_clISt17integral_constantIbLb0EESQ_EEDaSL_SM_EUlSL_E_NS1_11comp_targetILNS1_3genE0ELNS1_11target_archE4294967295ELNS1_3gpuE0ELNS1_3repE0EEENS1_30default_config_static_selectorELNS0_4arch9wavefront6targetE1EEEvT1_ ; -- Begin function _ZN7rocprim17ROCPRIM_400000_NS6detail17trampoline_kernelINS0_14default_configENS1_20scan_config_selectorIlEEZZNS1_9scan_implILNS1_25lookback_scan_determinismE0ELb0ELb0ES3_PlS8_lN6thrust23THRUST_200600_302600_NS4plusIvEElEEDaPvRmT3_T4_T5_mT6_P12ihipStream_tbENKUlT_T0_E_clISt17integral_constantIbLb0EESQ_EEDaSL_SM_EUlSL_E_NS1_11comp_targetILNS1_3genE0ELNS1_11target_archE4294967295ELNS1_3gpuE0ELNS1_3repE0EEENS1_30default_config_static_selectorELNS0_4arch9wavefront6targetE1EEEvT1_
	.globl	_ZN7rocprim17ROCPRIM_400000_NS6detail17trampoline_kernelINS0_14default_configENS1_20scan_config_selectorIlEEZZNS1_9scan_implILNS1_25lookback_scan_determinismE0ELb0ELb0ES3_PlS8_lN6thrust23THRUST_200600_302600_NS4plusIvEElEEDaPvRmT3_T4_T5_mT6_P12ihipStream_tbENKUlT_T0_E_clISt17integral_constantIbLb0EESQ_EEDaSL_SM_EUlSL_E_NS1_11comp_targetILNS1_3genE0ELNS1_11target_archE4294967295ELNS1_3gpuE0ELNS1_3repE0EEENS1_30default_config_static_selectorELNS0_4arch9wavefront6targetE1EEEvT1_
	.p2align	8
	.type	_ZN7rocprim17ROCPRIM_400000_NS6detail17trampoline_kernelINS0_14default_configENS1_20scan_config_selectorIlEEZZNS1_9scan_implILNS1_25lookback_scan_determinismE0ELb0ELb0ES3_PlS8_lN6thrust23THRUST_200600_302600_NS4plusIvEElEEDaPvRmT3_T4_T5_mT6_P12ihipStream_tbENKUlT_T0_E_clISt17integral_constantIbLb0EESQ_EEDaSL_SM_EUlSL_E_NS1_11comp_targetILNS1_3genE0ELNS1_11target_archE4294967295ELNS1_3gpuE0ELNS1_3repE0EEENS1_30default_config_static_selectorELNS0_4arch9wavefront6targetE1EEEvT1_,@function
_ZN7rocprim17ROCPRIM_400000_NS6detail17trampoline_kernelINS0_14default_configENS1_20scan_config_selectorIlEEZZNS1_9scan_implILNS1_25lookback_scan_determinismE0ELb0ELb0ES3_PlS8_lN6thrust23THRUST_200600_302600_NS4plusIvEElEEDaPvRmT3_T4_T5_mT6_P12ihipStream_tbENKUlT_T0_E_clISt17integral_constantIbLb0EESQ_EEDaSL_SM_EUlSL_E_NS1_11comp_targetILNS1_3genE0ELNS1_11target_archE4294967295ELNS1_3gpuE0ELNS1_3repE0EEENS1_30default_config_static_selectorELNS0_4arch9wavefront6targetE1EEEvT1_: ; @_ZN7rocprim17ROCPRIM_400000_NS6detail17trampoline_kernelINS0_14default_configENS1_20scan_config_selectorIlEEZZNS1_9scan_implILNS1_25lookback_scan_determinismE0ELb0ELb0ES3_PlS8_lN6thrust23THRUST_200600_302600_NS4plusIvEElEEDaPvRmT3_T4_T5_mT6_P12ihipStream_tbENKUlT_T0_E_clISt17integral_constantIbLb0EESQ_EEDaSL_SM_EUlSL_E_NS1_11comp_targetILNS1_3genE0ELNS1_11target_archE4294967295ELNS1_3gpuE0ELNS1_3repE0EEENS1_30default_config_static_selectorELNS0_4arch9wavefront6targetE1EEEvT1_
; %bb.0:
	.section	.rodata,"a",@progbits
	.p2align	6, 0x0
	.amdhsa_kernel _ZN7rocprim17ROCPRIM_400000_NS6detail17trampoline_kernelINS0_14default_configENS1_20scan_config_selectorIlEEZZNS1_9scan_implILNS1_25lookback_scan_determinismE0ELb0ELb0ES3_PlS8_lN6thrust23THRUST_200600_302600_NS4plusIvEElEEDaPvRmT3_T4_T5_mT6_P12ihipStream_tbENKUlT_T0_E_clISt17integral_constantIbLb0EESQ_EEDaSL_SM_EUlSL_E_NS1_11comp_targetILNS1_3genE0ELNS1_11target_archE4294967295ELNS1_3gpuE0ELNS1_3repE0EEENS1_30default_config_static_selectorELNS0_4arch9wavefront6targetE1EEEvT1_
		.amdhsa_group_segment_fixed_size 0
		.amdhsa_private_segment_fixed_size 0
		.amdhsa_kernarg_size 104
		.amdhsa_user_sgpr_count 2
		.amdhsa_user_sgpr_dispatch_ptr 0
		.amdhsa_user_sgpr_queue_ptr 0
		.amdhsa_user_sgpr_kernarg_segment_ptr 1
		.amdhsa_user_sgpr_dispatch_id 0
		.amdhsa_user_sgpr_kernarg_preload_length 0
		.amdhsa_user_sgpr_kernarg_preload_offset 0
		.amdhsa_user_sgpr_private_segment_size 0
		.amdhsa_uses_dynamic_stack 0
		.amdhsa_enable_private_segment 0
		.amdhsa_system_sgpr_workgroup_id_x 1
		.amdhsa_system_sgpr_workgroup_id_y 0
		.amdhsa_system_sgpr_workgroup_id_z 0
		.amdhsa_system_sgpr_workgroup_info 0
		.amdhsa_system_vgpr_workitem_id 0
		.amdhsa_next_free_vgpr 1
		.amdhsa_next_free_sgpr 0
		.amdhsa_accum_offset 4
		.amdhsa_reserve_vcc 0
		.amdhsa_float_round_mode_32 0
		.amdhsa_float_round_mode_16_64 0
		.amdhsa_float_denorm_mode_32 3
		.amdhsa_float_denorm_mode_16_64 3
		.amdhsa_dx10_clamp 1
		.amdhsa_ieee_mode 1
		.amdhsa_fp16_overflow 0
		.amdhsa_tg_split 0
		.amdhsa_exception_fp_ieee_invalid_op 0
		.amdhsa_exception_fp_denorm_src 0
		.amdhsa_exception_fp_ieee_div_zero 0
		.amdhsa_exception_fp_ieee_overflow 0
		.amdhsa_exception_fp_ieee_underflow 0
		.amdhsa_exception_fp_ieee_inexact 0
		.amdhsa_exception_int_div_zero 0
	.end_amdhsa_kernel
	.section	.text._ZN7rocprim17ROCPRIM_400000_NS6detail17trampoline_kernelINS0_14default_configENS1_20scan_config_selectorIlEEZZNS1_9scan_implILNS1_25lookback_scan_determinismE0ELb0ELb0ES3_PlS8_lN6thrust23THRUST_200600_302600_NS4plusIvEElEEDaPvRmT3_T4_T5_mT6_P12ihipStream_tbENKUlT_T0_E_clISt17integral_constantIbLb0EESQ_EEDaSL_SM_EUlSL_E_NS1_11comp_targetILNS1_3genE0ELNS1_11target_archE4294967295ELNS1_3gpuE0ELNS1_3repE0EEENS1_30default_config_static_selectorELNS0_4arch9wavefront6targetE1EEEvT1_,"axG",@progbits,_ZN7rocprim17ROCPRIM_400000_NS6detail17trampoline_kernelINS0_14default_configENS1_20scan_config_selectorIlEEZZNS1_9scan_implILNS1_25lookback_scan_determinismE0ELb0ELb0ES3_PlS8_lN6thrust23THRUST_200600_302600_NS4plusIvEElEEDaPvRmT3_T4_T5_mT6_P12ihipStream_tbENKUlT_T0_E_clISt17integral_constantIbLb0EESQ_EEDaSL_SM_EUlSL_E_NS1_11comp_targetILNS1_3genE0ELNS1_11target_archE4294967295ELNS1_3gpuE0ELNS1_3repE0EEENS1_30default_config_static_selectorELNS0_4arch9wavefront6targetE1EEEvT1_,comdat
.Lfunc_end85:
	.size	_ZN7rocprim17ROCPRIM_400000_NS6detail17trampoline_kernelINS0_14default_configENS1_20scan_config_selectorIlEEZZNS1_9scan_implILNS1_25lookback_scan_determinismE0ELb0ELb0ES3_PlS8_lN6thrust23THRUST_200600_302600_NS4plusIvEElEEDaPvRmT3_T4_T5_mT6_P12ihipStream_tbENKUlT_T0_E_clISt17integral_constantIbLb0EESQ_EEDaSL_SM_EUlSL_E_NS1_11comp_targetILNS1_3genE0ELNS1_11target_archE4294967295ELNS1_3gpuE0ELNS1_3repE0EEENS1_30default_config_static_selectorELNS0_4arch9wavefront6targetE1EEEvT1_, .Lfunc_end85-_ZN7rocprim17ROCPRIM_400000_NS6detail17trampoline_kernelINS0_14default_configENS1_20scan_config_selectorIlEEZZNS1_9scan_implILNS1_25lookback_scan_determinismE0ELb0ELb0ES3_PlS8_lN6thrust23THRUST_200600_302600_NS4plusIvEElEEDaPvRmT3_T4_T5_mT6_P12ihipStream_tbENKUlT_T0_E_clISt17integral_constantIbLb0EESQ_EEDaSL_SM_EUlSL_E_NS1_11comp_targetILNS1_3genE0ELNS1_11target_archE4294967295ELNS1_3gpuE0ELNS1_3repE0EEENS1_30default_config_static_selectorELNS0_4arch9wavefront6targetE1EEEvT1_
                                        ; -- End function
	.section	.AMDGPU.csdata,"",@progbits
; Kernel info:
; codeLenInByte = 0
; NumSgprs: 6
; NumVgprs: 0
; NumAgprs: 0
; TotalNumVgprs: 0
; ScratchSize: 0
; MemoryBound: 0
; FloatMode: 240
; IeeeMode: 1
; LDSByteSize: 0 bytes/workgroup (compile time only)
; SGPRBlocks: 0
; VGPRBlocks: 0
; NumSGPRsForWavesPerEU: 6
; NumVGPRsForWavesPerEU: 1
; AccumOffset: 4
; Occupancy: 8
; WaveLimiterHint : 0
; COMPUTE_PGM_RSRC2:SCRATCH_EN: 0
; COMPUTE_PGM_RSRC2:USER_SGPR: 2
; COMPUTE_PGM_RSRC2:TRAP_HANDLER: 0
; COMPUTE_PGM_RSRC2:TGID_X_EN: 1
; COMPUTE_PGM_RSRC2:TGID_Y_EN: 0
; COMPUTE_PGM_RSRC2:TGID_Z_EN: 0
; COMPUTE_PGM_RSRC2:TIDIG_COMP_CNT: 0
; COMPUTE_PGM_RSRC3_GFX90A:ACCUM_OFFSET: 0
; COMPUTE_PGM_RSRC3_GFX90A:TG_SPLIT: 0
	.section	.text._ZN7rocprim17ROCPRIM_400000_NS6detail17trampoline_kernelINS0_14default_configENS1_20scan_config_selectorIlEEZZNS1_9scan_implILNS1_25lookback_scan_determinismE0ELb0ELb0ES3_PlS8_lN6thrust23THRUST_200600_302600_NS4plusIvEElEEDaPvRmT3_T4_T5_mT6_P12ihipStream_tbENKUlT_T0_E_clISt17integral_constantIbLb0EESQ_EEDaSL_SM_EUlSL_E_NS1_11comp_targetILNS1_3genE5ELNS1_11target_archE942ELNS1_3gpuE9ELNS1_3repE0EEENS1_30default_config_static_selectorELNS0_4arch9wavefront6targetE1EEEvT1_,"axG",@progbits,_ZN7rocprim17ROCPRIM_400000_NS6detail17trampoline_kernelINS0_14default_configENS1_20scan_config_selectorIlEEZZNS1_9scan_implILNS1_25lookback_scan_determinismE0ELb0ELb0ES3_PlS8_lN6thrust23THRUST_200600_302600_NS4plusIvEElEEDaPvRmT3_T4_T5_mT6_P12ihipStream_tbENKUlT_T0_E_clISt17integral_constantIbLb0EESQ_EEDaSL_SM_EUlSL_E_NS1_11comp_targetILNS1_3genE5ELNS1_11target_archE942ELNS1_3gpuE9ELNS1_3repE0EEENS1_30default_config_static_selectorELNS0_4arch9wavefront6targetE1EEEvT1_,comdat
	.protected	_ZN7rocprim17ROCPRIM_400000_NS6detail17trampoline_kernelINS0_14default_configENS1_20scan_config_selectorIlEEZZNS1_9scan_implILNS1_25lookback_scan_determinismE0ELb0ELb0ES3_PlS8_lN6thrust23THRUST_200600_302600_NS4plusIvEElEEDaPvRmT3_T4_T5_mT6_P12ihipStream_tbENKUlT_T0_E_clISt17integral_constantIbLb0EESQ_EEDaSL_SM_EUlSL_E_NS1_11comp_targetILNS1_3genE5ELNS1_11target_archE942ELNS1_3gpuE9ELNS1_3repE0EEENS1_30default_config_static_selectorELNS0_4arch9wavefront6targetE1EEEvT1_ ; -- Begin function _ZN7rocprim17ROCPRIM_400000_NS6detail17trampoline_kernelINS0_14default_configENS1_20scan_config_selectorIlEEZZNS1_9scan_implILNS1_25lookback_scan_determinismE0ELb0ELb0ES3_PlS8_lN6thrust23THRUST_200600_302600_NS4plusIvEElEEDaPvRmT3_T4_T5_mT6_P12ihipStream_tbENKUlT_T0_E_clISt17integral_constantIbLb0EESQ_EEDaSL_SM_EUlSL_E_NS1_11comp_targetILNS1_3genE5ELNS1_11target_archE942ELNS1_3gpuE9ELNS1_3repE0EEENS1_30default_config_static_selectorELNS0_4arch9wavefront6targetE1EEEvT1_
	.globl	_ZN7rocprim17ROCPRIM_400000_NS6detail17trampoline_kernelINS0_14default_configENS1_20scan_config_selectorIlEEZZNS1_9scan_implILNS1_25lookback_scan_determinismE0ELb0ELb0ES3_PlS8_lN6thrust23THRUST_200600_302600_NS4plusIvEElEEDaPvRmT3_T4_T5_mT6_P12ihipStream_tbENKUlT_T0_E_clISt17integral_constantIbLb0EESQ_EEDaSL_SM_EUlSL_E_NS1_11comp_targetILNS1_3genE5ELNS1_11target_archE942ELNS1_3gpuE9ELNS1_3repE0EEENS1_30default_config_static_selectorELNS0_4arch9wavefront6targetE1EEEvT1_
	.p2align	8
	.type	_ZN7rocprim17ROCPRIM_400000_NS6detail17trampoline_kernelINS0_14default_configENS1_20scan_config_selectorIlEEZZNS1_9scan_implILNS1_25lookback_scan_determinismE0ELb0ELb0ES3_PlS8_lN6thrust23THRUST_200600_302600_NS4plusIvEElEEDaPvRmT3_T4_T5_mT6_P12ihipStream_tbENKUlT_T0_E_clISt17integral_constantIbLb0EESQ_EEDaSL_SM_EUlSL_E_NS1_11comp_targetILNS1_3genE5ELNS1_11target_archE942ELNS1_3gpuE9ELNS1_3repE0EEENS1_30default_config_static_selectorELNS0_4arch9wavefront6targetE1EEEvT1_,@function
_ZN7rocprim17ROCPRIM_400000_NS6detail17trampoline_kernelINS0_14default_configENS1_20scan_config_selectorIlEEZZNS1_9scan_implILNS1_25lookback_scan_determinismE0ELb0ELb0ES3_PlS8_lN6thrust23THRUST_200600_302600_NS4plusIvEElEEDaPvRmT3_T4_T5_mT6_P12ihipStream_tbENKUlT_T0_E_clISt17integral_constantIbLb0EESQ_EEDaSL_SM_EUlSL_E_NS1_11comp_targetILNS1_3genE5ELNS1_11target_archE942ELNS1_3gpuE9ELNS1_3repE0EEENS1_30default_config_static_selectorELNS0_4arch9wavefront6targetE1EEEvT1_: ; @_ZN7rocprim17ROCPRIM_400000_NS6detail17trampoline_kernelINS0_14default_configENS1_20scan_config_selectorIlEEZZNS1_9scan_implILNS1_25lookback_scan_determinismE0ELb0ELb0ES3_PlS8_lN6thrust23THRUST_200600_302600_NS4plusIvEElEEDaPvRmT3_T4_T5_mT6_P12ihipStream_tbENKUlT_T0_E_clISt17integral_constantIbLb0EESQ_EEDaSL_SM_EUlSL_E_NS1_11comp_targetILNS1_3genE5ELNS1_11target_archE942ELNS1_3gpuE9ELNS1_3repE0EEENS1_30default_config_static_selectorELNS0_4arch9wavefront6targetE1EEEvT1_
; %bb.0:
	s_load_dwordx8 s[16:23], s[0:1], 0x0
	s_load_dword s3, s[0:1], 0x38
	s_mul_i32 s4, s2, 0xf00
	s_mov_b32 s5, 0
	v_lshlrev_b32_e32 v54, 3, v0
	s_waitcnt lgkmcnt(0)
	s_lshl_b64 s[10:11], s[18:19], 3
	s_add_u32 s6, s16, s10
	s_addc_u32 s7, s17, s11
	s_add_i32 s3, s3, -1
	s_mul_i32 s8, s3, 0xf00
	s_sub_u32 s30, s22, s8
	s_subb_u32 s31, s23, 0
	s_cmp_lg_u32 s2, s3
	s_cselect_b64 s[22:23], -1, 0
	s_lshl_b64 s[24:25], s[4:5], 3
	s_add_u32 s6, s6, s24
	s_addc_u32 s7, s7, s25
	s_mov_b64 s[4:5], -1
	s_and_b64 vcc, exec, s[22:23]
	s_cbranch_vccz .LBB86_2
; %bb.1:
	v_mov_b32_e32 v55, 0
	v_lshl_add_u64 v[2:3], s[6:7], 0, v[54:55]
	v_add_co_u32_e32 v8, vcc, 0x1000, v2
	global_load_dwordx2 v[4:5], v54, s[6:7]
	global_load_dwordx2 v[6:7], v54, s[6:7] offset:2048
	v_addc_co_u32_e32 v9, vcc, 0, v3, vcc
	v_add_co_u32_e32 v10, vcc, 0x2000, v2
	s_mov_b64 s[4:5], 0
	s_nop 0
	v_addc_co_u32_e32 v11, vcc, 0, v3, vcc
	global_load_dwordx2 v[12:13], v[8:9], off
	global_load_dwordx2 v[14:15], v[8:9], off offset:2048
	global_load_dwordx2 v[16:17], v[10:11], off
	global_load_dwordx2 v[18:19], v[10:11], off offset:2048
	v_add_co_u32_e32 v8, vcc, 0x3000, v2
	s_nop 1
	v_addc_co_u32_e32 v9, vcc, 0, v3, vcc
	v_add_co_u32_e32 v10, vcc, 0x4000, v2
	s_nop 1
	v_addc_co_u32_e32 v11, vcc, 0, v3, vcc
	global_load_dwordx2 v[20:21], v[8:9], off
	global_load_dwordx2 v[22:23], v[8:9], off offset:2048
	global_load_dwordx2 v[24:25], v[10:11], off
	global_load_dwordx2 v[26:27], v[10:11], off offset:2048
	v_add_co_u32_e32 v8, vcc, 0x5000, v2
	s_nop 1
	v_addc_co_u32_e32 v9, vcc, 0, v3, vcc
	v_add_co_u32_e32 v10, vcc, 0x6000, v2
	s_nop 1
	v_addc_co_u32_e32 v11, vcc, 0, v3, vcc
	global_load_dwordx2 v[28:29], v[8:9], off
	global_load_dwordx2 v[30:31], v[8:9], off offset:2048
	global_load_dwordx2 v[32:33], v[10:11], off
	global_load_dwordx2 v[34:35], v[10:11], off offset:2048
	v_add_co_u32_e32 v2, vcc, 0x7000, v2
	s_nop 1
	v_addc_co_u32_e32 v3, vcc, 0, v3, vcc
	global_load_dwordx2 v[2:3], v[2:3], off
	s_waitcnt vmcnt(13)
	ds_write2st64_b64 v54, v[4:5], v[6:7] offset1:4
	s_waitcnt vmcnt(11)
	ds_write2st64_b64 v54, v[12:13], v[14:15] offset0:8 offset1:12
	s_waitcnt vmcnt(9)
	ds_write2st64_b64 v54, v[16:17], v[18:19] offset0:16 offset1:20
	;; [unrolled: 2-line block ×6, first 2 shown]
	s_waitcnt vmcnt(0)
	ds_write_b64 v54, v[2:3] offset:28672
	s_waitcnt lgkmcnt(0)
	s_barrier
.LBB86_2:
	s_load_dwordx2 s[26:27], s[0:1], 0x30
	s_andn2_b64 vcc, exec, s[4:5]
	v_cmp_gt_u32_e64 s[4:5], s30, v0
	s_cbranch_vccnz .LBB86_34
; %bb.3:
	s_load_dwordx2 s[36:37], s[6:7], 0x0
	s_waitcnt lgkmcnt(0)
	s_mov_b32 s38, s36
	s_mov_b32 s39, s37
	;; [unrolled: 1-line block ×28, first 2 shown]
	v_mov_b64_e32 v[2:3], s[36:37]
	v_mov_b64_e32 v[4:5], s[38:39]
	;; [unrolled: 1-line block ×16, first 2 shown]
	s_and_saveexec_b64 s[8:9], s[4:5]
	s_cbranch_execz .LBB86_5
; %bb.4:
	global_load_dwordx2 v[2:3], v54, s[6:7]
	v_mov_b32_e32 v4, s36
	v_mov_b32_e32 v5, s37
	;; [unrolled: 1-line block ×28, first 2 shown]
.LBB86_5:
	s_or_b64 exec, exec, s[8:9]
	v_or_b32_e32 v1, 0x100, v0
	v_cmp_gt_u32_e32 vcc, s30, v1
	s_and_saveexec_b64 s[4:5], vcc
	s_cbranch_execz .LBB86_7
; %bb.6:
	global_load_dwordx2 v[4:5], v54, s[6:7] offset:2048
.LBB86_7:
	s_or_b64 exec, exec, s[4:5]
	v_or_b32_e32 v1, 0x200, v0
	v_cmp_gt_u32_e32 vcc, s30, v1
	s_and_saveexec_b64 s[4:5], vcc
	s_cbranch_execz .LBB86_9
; %bb.8:
	v_lshlrev_b32_e32 v1, 3, v1
	global_load_dwordx2 v[6:7], v1, s[6:7]
.LBB86_9:
	s_or_b64 exec, exec, s[4:5]
	v_or_b32_e32 v1, 0x300, v0
	v_cmp_gt_u32_e32 vcc, s30, v1
	s_and_saveexec_b64 s[4:5], vcc
	s_cbranch_execz .LBB86_11
; %bb.10:
	v_lshlrev_b32_e32 v1, 3, v1
	global_load_dwordx2 v[8:9], v1, s[6:7]
.LBB86_11:
	s_or_b64 exec, exec, s[4:5]
	v_or_b32_e32 v1, 0x400, v0
	v_cmp_gt_u32_e32 vcc, s30, v1
	s_and_saveexec_b64 s[4:5], vcc
	s_cbranch_execz .LBB86_13
; %bb.12:
	v_lshlrev_b32_e32 v1, 3, v1
	global_load_dwordx2 v[10:11], v1, s[6:7]
.LBB86_13:
	s_or_b64 exec, exec, s[4:5]
	v_or_b32_e32 v1, 0x500, v0
	v_cmp_gt_u32_e32 vcc, s30, v1
	s_and_saveexec_b64 s[4:5], vcc
	s_cbranch_execz .LBB86_15
; %bb.14:
	v_lshlrev_b32_e32 v1, 3, v1
	global_load_dwordx2 v[12:13], v1, s[6:7]
.LBB86_15:
	s_or_b64 exec, exec, s[4:5]
	v_or_b32_e32 v1, 0x600, v0
	v_cmp_gt_u32_e32 vcc, s30, v1
	s_and_saveexec_b64 s[4:5], vcc
	s_cbranch_execz .LBB86_17
; %bb.16:
	v_lshlrev_b32_e32 v1, 3, v1
	global_load_dwordx2 v[14:15], v1, s[6:7]
.LBB86_17:
	s_or_b64 exec, exec, s[4:5]
	v_or_b32_e32 v1, 0x700, v0
	v_cmp_gt_u32_e32 vcc, s30, v1
	s_and_saveexec_b64 s[4:5], vcc
	s_cbranch_execz .LBB86_19
; %bb.18:
	v_lshlrev_b32_e32 v1, 3, v1
	global_load_dwordx2 v[16:17], v1, s[6:7]
.LBB86_19:
	s_or_b64 exec, exec, s[4:5]
	v_or_b32_e32 v1, 0x800, v0
	v_cmp_gt_u32_e32 vcc, s30, v1
	s_and_saveexec_b64 s[4:5], vcc
	s_cbranch_execz .LBB86_21
; %bb.20:
	v_lshlrev_b32_e32 v1, 3, v1
	global_load_dwordx2 v[18:19], v1, s[6:7]
.LBB86_21:
	s_or_b64 exec, exec, s[4:5]
	v_or_b32_e32 v1, 0x900, v0
	v_cmp_gt_u32_e32 vcc, s30, v1
	s_and_saveexec_b64 s[4:5], vcc
	s_cbranch_execz .LBB86_23
; %bb.22:
	v_lshlrev_b32_e32 v1, 3, v1
	global_load_dwordx2 v[20:21], v1, s[6:7]
.LBB86_23:
	s_or_b64 exec, exec, s[4:5]
	v_or_b32_e32 v1, 0xa00, v0
	v_cmp_gt_u32_e32 vcc, s30, v1
	s_and_saveexec_b64 s[4:5], vcc
	s_cbranch_execz .LBB86_25
; %bb.24:
	v_lshlrev_b32_e32 v1, 3, v1
	global_load_dwordx2 v[22:23], v1, s[6:7]
.LBB86_25:
	s_or_b64 exec, exec, s[4:5]
	v_or_b32_e32 v1, 0xb00, v0
	v_cmp_gt_u32_e32 vcc, s30, v1
	s_and_saveexec_b64 s[4:5], vcc
	s_cbranch_execz .LBB86_27
; %bb.26:
	v_lshlrev_b32_e32 v1, 3, v1
	global_load_dwordx2 v[24:25], v1, s[6:7]
.LBB86_27:
	s_or_b64 exec, exec, s[4:5]
	v_or_b32_e32 v1, 0xc00, v0
	v_cmp_gt_u32_e32 vcc, s30, v1
	s_and_saveexec_b64 s[4:5], vcc
	s_cbranch_execz .LBB86_29
; %bb.28:
	v_lshlrev_b32_e32 v1, 3, v1
	global_load_dwordx2 v[26:27], v1, s[6:7]
.LBB86_29:
	s_or_b64 exec, exec, s[4:5]
	v_or_b32_e32 v1, 0xd00, v0
	v_cmp_gt_u32_e32 vcc, s30, v1
	s_and_saveexec_b64 s[4:5], vcc
	s_cbranch_execz .LBB86_31
; %bb.30:
	v_lshlrev_b32_e32 v1, 3, v1
	global_load_dwordx2 v[28:29], v1, s[6:7]
.LBB86_31:
	s_or_b64 exec, exec, s[4:5]
	v_or_b32_e32 v1, 0xe00, v0
	v_cmp_gt_u32_e32 vcc, s30, v1
	s_and_saveexec_b64 s[4:5], vcc
	s_cbranch_execz .LBB86_33
; %bb.32:
	v_lshlrev_b32_e32 v1, 3, v1
	global_load_dwordx2 v[30:31], v1, s[6:7]
.LBB86_33:
	s_or_b64 exec, exec, s[4:5]
	s_waitcnt vmcnt(0)
	ds_write2st64_b64 v54, v[2:3], v[4:5] offset1:4
	ds_write2st64_b64 v54, v[6:7], v[8:9] offset0:8 offset1:12
	ds_write2st64_b64 v54, v[10:11], v[12:13] offset0:16 offset1:20
	;; [unrolled: 1-line block ×6, first 2 shown]
	ds_write_b64 v54, v[30:31] offset:28672
	s_waitcnt lgkmcnt(0)
	s_barrier
.LBB86_34:
	v_mul_u32_u24_e32 v72, 15, v0
	v_lshlrev_b32_e32 v1, 3, v72
	s_waitcnt lgkmcnt(0)
	ds_read2_b64 v[2:5], v1 offset1:1
	ds_read2_b64 v[6:9], v1 offset0:2 offset1:3
	ds_read2_b64 v[10:13], v1 offset0:4 offset1:5
	;; [unrolled: 1-line block ×6, first 2 shown]
	ds_read_b64 v[56:57], v1 offset:112
	s_load_dwordx8 s[12:19], s[0:1], 0x40
	s_cmp_lg_u32 s2, 0
	v_lshrrev_b32_e32 v1, 5, v0
	v_cmp_gt_u32_e32 vcc, 64, v0
	s_waitcnt lgkmcnt(0)
	s_barrier
	s_cbranch_scc0 .LBB86_61
; %bb.35:
	v_lshl_add_u64 v[30:31], v[4:5], 0, v[2:3]
	v_lshl_add_u64 v[30:31], v[30:31], 0, v[6:7]
	;; [unrolled: 1-line block ×14, first 2 shown]
	v_add_lshl_u32 v30, v1, v0, 3
	ds_write_b64 v30, v[34:35]
	s_waitcnt lgkmcnt(0)
	s_barrier
	s_and_saveexec_b64 s[6:7], vcc
	s_cbranch_execz .LBB86_39
; %bb.36:
	v_lshlrev_b32_e32 v30, 2, v0
	v_lshrrev_b32_e32 v31, 3, v0
	v_add_lshl_u32 v42, v31, v30, 3
	ds_read2_b64 v[30:33], v42 offset1:1
	ds_read2_b64 v[38:41], v42 offset0:2 offset1:3
	v_mov_b32_e32 v36, 0
	v_mbcnt_lo_u32_b32 v37, -1, 0
	v_mbcnt_hi_u32_b32 v43, -1, v37
	s_waitcnt lgkmcnt(1)
	v_lshl_add_u64 v[32:33], v[32:33], 0, v[30:31]
	s_waitcnt lgkmcnt(0)
	v_lshl_add_u64 v[32:33], v[32:33], 0, v[38:39]
	v_lshl_add_u64 v[32:33], v[32:33], 0, v[40:41]
	v_mov_b32_e32 v39, v36
	v_and_b32_e32 v44, 15, v43
	v_mov_b32_dpp v38, v32 row_shr:1 row_mask:0xf bank_mask:0xf
	v_mov_b32_dpp v37, v33 row_shr:1 row_mask:0xf bank_mask:0xf
	v_lshl_add_u64 v[38:39], v[32:33], 0, v[38:39]
	v_lshl_add_u64 v[40:41], v[36:37], 0, v[38:39]
	v_cmp_eq_u32_e64 s[0:1], 0, v44
	v_cmp_ne_u32_e64 s[4:5], 0, v43
	s_nop 0
	v_cndmask_b32_e64 v37, v38, v32, s[0:1]
	v_cndmask_b32_e64 v39, v41, v33, s[0:1]
	v_cndmask_b32_e64 v38, v40, v32, s[0:1]
	v_mov_b32_dpp v40, v37 row_shr:2 row_mask:0xf bank_mask:0xf
	v_mov_b32_dpp v41, v39 row_shr:2 row_mask:0xf bank_mask:0xf
	v_lshl_add_u64 v[40:41], v[40:41], 0, v[38:39]
	v_cmp_lt_u32_e64 s[0:1], 1, v44
	s_nop 1
	v_cndmask_b32_e64 v37, v37, v40, s[0:1]
	v_cndmask_b32_e64 v39, v39, v41, s[0:1]
	v_cndmask_b32_e64 v38, v38, v40, s[0:1]
	v_mov_b32_dpp v40, v37 row_shr:4 row_mask:0xf bank_mask:0xf
	v_mov_b32_dpp v41, v39 row_shr:4 row_mask:0xf bank_mask:0xf
	v_lshl_add_u64 v[40:41], v[40:41], 0, v[38:39]
	v_cmp_lt_u32_e64 s[0:1], 3, v44
	;; [unrolled: 8-line block ×3, first 2 shown]
	v_and_b32_e32 v44, 16, v43
	s_nop 0
	v_cndmask_b32_e64 v37, v37, v40, s[0:1]
	v_cndmask_b32_e64 v39, v39, v41, s[0:1]
	v_cndmask_b32_e64 v38, v38, v40, s[0:1]
	v_mov_b32_dpp v40, v37 row_bcast:15 row_mask:0xf bank_mask:0xf
	v_mov_b32_dpp v41, v39 row_bcast:15 row_mask:0xf bank_mask:0xf
	v_lshl_add_u64 v[40:41], v[40:41], 0, v[38:39]
	v_cmp_eq_u32_e64 s[0:1], 0, v44
	s_nop 1
	v_cndmask_b32_e64 v44, v41, v39, s[0:1]
	v_cndmask_b32_e64 v37, v40, v37, s[0:1]
	s_nop 0
	v_mov_b32_dpp v44, v44 row_bcast:31 row_mask:0xf bank_mask:0xf
	v_mov_b32_dpp v37, v37 row_bcast:31 row_mask:0xf bank_mask:0xf
	s_and_saveexec_b64 s[8:9], s[4:5]
; %bb.37:
	v_cndmask_b32_e64 v33, v41, v39, s[0:1]
	v_cndmask_b32_e64 v32, v40, v38, s[0:1]
	v_cmp_lt_u32_e64 s[0:1], 31, v43
	s_nop 1
	v_cndmask_b32_e64 v39, 0, v44, s[0:1]
	v_cndmask_b32_e64 v38, 0, v37, s[0:1]
	v_lshl_add_u64 v[32:33], v[38:39], 0, v[32:33]
; %bb.38:
	s_or_b64 exec, exec, s[8:9]
	v_add_u32_e32 v37, -1, v43
	v_and_b32_e32 v38, 64, v43
	v_cmp_lt_i32_e64 s[0:1], v37, v38
	; wave barrier
	s_nop 1
	v_cndmask_b32_e64 v37, v37, v43, s[0:1]
	v_lshlrev_b32_e32 v37, 2, v37
	ds_bpermute_b32 v32, v37, v32
	ds_bpermute_b32 v37, v37, v33
	v_mov_b32_e32 v33, v36
	v_cmp_eq_u32_e64 s[0:1], 0, v0
	s_waitcnt lgkmcnt(1)
	v_lshl_add_u64 v[30:31], v[30:31], 0, v[32:33]
	s_waitcnt lgkmcnt(0)
	v_lshl_add_u64 v[30:31], v[30:31], 0, v[36:37]
	v_cndmask_b32_e64 v35, v31, v35, s[0:1]
	v_cndmask_b32_e64 v34, v30, v34, s[0:1]
	ds_write_b64 v42, v[34:35]
	; wave barrier
	ds_read2_b64 v[30:33], v42 offset0:1 offset1:2
	ds_read_b64 v[36:37], v42 offset:24
	s_waitcnt lgkmcnt(1)
	v_lshl_add_u64 v[30:31], v[30:31], 0, v[34:35]
	v_lshl_add_u64 v[32:33], v[32:33], 0, v[30:31]
	ds_write2_b64 v42, v[30:31], v[32:33] offset0:1 offset1:2
	s_waitcnt lgkmcnt(1)
	v_lshl_add_u64 v[30:31], v[36:37], 0, v[32:33]
	ds_write_b64 v42, v[30:31] offset:24
.LBB86_39:
	s_or_b64 exec, exec, s[6:7]
	v_cmp_eq_u32_e64 s[0:1], 0, v0
	v_cmp_ne_u32_e64 s[4:5], 0, v0
	v_mov_b64_e32 v[38:39], 0
	s_waitcnt lgkmcnt(0)
	s_barrier
	s_and_saveexec_b64 s[6:7], s[4:5]
	s_cbranch_execz .LBB86_41
; %bb.40:
	v_add_u32_e32 v30, -1, v0
	v_lshrrev_b32_e32 v31, 5, v30
	v_add_lshl_u32 v30, v31, v30, 3
	ds_read_b64 v[38:39], v30
.LBB86_41:
	s_or_b64 exec, exec, s[6:7]
	s_and_saveexec_b64 s[28:29], vcc
	s_cbranch_execz .LBB86_60
; %bb.42:
	v_mov_b32_e32 v33, 0
	ds_read_b64 v[30:31], v33 offset:2096
	v_mbcnt_lo_u32_b32 v32, -1, 0
	v_mbcnt_hi_u32_b32 v44, -1, v32
	s_mov_b32 s9, 0
	v_cmp_eq_u32_e64 s[4:5], 0, v44
	s_and_saveexec_b64 s[6:7], s[4:5]
	s_cbranch_execz .LBB86_44
; %bb.43:
	s_add_i32 s8, s2, 64
	s_lshl_b64 s[8:9], s[8:9], 4
	s_add_u32 s8, s26, s8
	s_addc_u32 s9, s27, s9
	v_mov_b32_e32 v32, 1
	v_mov_b64_e32 v[34:35], s[8:9]
	s_waitcnt lgkmcnt(0)
	;;#ASMSTART
	global_store_dwordx4 v[34:35], v[30:33] off sc1	
s_waitcnt vmcnt(0)
	;;#ASMEND
.LBB86_44:
	s_or_b64 exec, exec, s[6:7]
	v_xad_u32 v40, v44, -1, s2
	v_add_u32_e32 v32, 64, v40
	v_lshl_add_u64 v[42:43], v[32:33], 4, s[26:27]
	;;#ASMSTART
	global_load_dwordx4 v[34:37], v[42:43] off sc1	
s_waitcnt vmcnt(0)
	;;#ASMEND
	s_nop 0
	v_and_b32_e32 v32, 0xff, v35
	v_and_b32_e32 v37, 0xff00, v35
	v_or3_b32 v34, v34, 0, 0
	v_and_b32_e32 v41, 0xff000000, v35
	v_or3_b32 v32, 0, v32, v37
	v_and_b32_e32 v35, 0xff0000, v35
	v_or3_b32 v35, v32, v35, v41
	v_or3_b32 v34, v34, 0, 0
	v_cmp_eq_u16_sdwa s[8:9], v36, v33 src0_sel:BYTE_0 src1_sel:DWORD
	s_and_saveexec_b64 s[6:7], s[8:9]
	s_cbranch_execz .LBB86_48
; %bb.45:
	s_mov_b64 s[8:9], 0
	v_mov_b32_e32 v32, 0
.LBB86_46:                              ; =>This Inner Loop Header: Depth=1
	;;#ASMSTART
	global_load_dwordx4 v[34:37], v[42:43] off sc1	
s_waitcnt vmcnt(0)
	;;#ASMEND
	s_nop 0
	v_cmp_ne_u16_sdwa s[34:35], v36, v32 src0_sel:BYTE_0 src1_sel:DWORD
	s_or_b64 s[8:9], s[34:35], s[8:9]
	s_andn2_b64 exec, exec, s[8:9]
	s_cbranch_execnz .LBB86_46
; %bb.47:
	s_or_b64 exec, exec, s[8:9]
.LBB86_48:
	s_or_b64 exec, exec, s[6:7]
	v_mov_b32_e32 v46, 2
	v_cmp_eq_u16_sdwa s[6:7], v36, v46 src0_sel:BYTE_0 src1_sel:DWORD
	v_lshlrev_b64 v[32:33], v44, -1
	v_and_b32_e32 v47, 63, v44
	v_and_b32_e32 v37, s7, v33
	v_or_b32_e32 v37, 0x80000000, v37
	v_and_b32_e32 v41, s6, v32
	v_ffbl_b32_e32 v37, v37
	v_add_u32_e32 v37, 32, v37
	v_ffbl_b32_e32 v41, v41
	v_cmp_ne_u32_e32 vcc, 63, v47
	v_min_u32_e32 v37, v41, v37
	v_cmp_gt_u32_e64 s[6:7], 62, v47
	v_addc_co_u32_e32 v41, vcc, 0, v44, vcc
	v_lshlrev_b32_e32 v48, 2, v41
	ds_bpermute_b32 v42, v48, v34
	ds_bpermute_b32 v51, v48, v35
	v_mov_b32_e32 v41, 0
	v_mov_b32_e32 v43, v41
	;; [unrolled: 1-line block ×3, first 2 shown]
	s_waitcnt lgkmcnt(1)
	v_lshl_add_u64 v[42:43], v[34:35], 0, v[42:43]
	v_cmp_lt_u32_e32 vcc, v47, v37
	s_waitcnt lgkmcnt(0)
	v_lshl_add_u64 v[50:51], v[50:51], 0, v[42:43]
	v_cmp_gt_u32_e64 s[8:9], 60, v47
	v_cndmask_b32_e32 v45, v34, v42, vcc
	v_cndmask_b32_e64 v42, 0, 1, s[6:7]
	v_lshlrev_b32_e32 v42, 1, v42
	v_cndmask_b32_e32 v43, v35, v51, vcc
	v_add_lshl_u32 v49, v42, v44, 2
	ds_bpermute_b32 v52, v49, v45
	ds_bpermute_b32 v53, v49, v43
	v_cndmask_b32_e32 v42, v34, v50, vcc
	v_add_u32_e32 v50, 2, v47
	v_cndmask_b32_e64 v51, 0, 1, s[8:9]
	v_cmp_gt_u32_e64 s[6:7], v50, v37
	s_waitcnt lgkmcnt(0)
	v_lshl_add_u64 v[52:53], v[52:53], 0, v[42:43]
	v_lshlrev_b32_e32 v51, 2, v51
	v_cndmask_b32_e64 v45, v52, v45, s[6:7]
	v_cndmask_b32_e64 v43, v53, v43, s[6:7]
	v_add_lshl_u32 v51, v51, v44, 2
	ds_bpermute_b32 v58, v51, v45
	ds_bpermute_b32 v59, v51, v43
	v_cmp_gt_u32_e64 s[8:9], 56, v47
	v_cndmask_b32_e64 v42, v52, v42, s[6:7]
	v_add_u32_e32 v52, 4, v47
	v_cndmask_b32_e64 v53, 0, 1, s[8:9]
	s_waitcnt lgkmcnt(0)
	v_lshl_add_u64 v[58:59], v[58:59], 0, v[42:43]
	v_cmp_gt_u32_e64 s[6:7], v52, v37
	v_lshlrev_b32_e32 v53, 3, v53
	v_add_lshl_u32 v53, v53, v44, 2
	v_cndmask_b32_e64 v45, v58, v45, s[6:7]
	v_cndmask_b32_e64 v43, v59, v43, s[6:7]
	ds_bpermute_b32 v60, v53, v45
	ds_bpermute_b32 v61, v53, v43
	v_cmp_gt_u32_e64 s[8:9], 48, v47
	v_cndmask_b32_e64 v42, v58, v42, s[6:7]
	v_add_u32_e32 v55, 8, v47
	v_cndmask_b32_e64 v58, 0, 1, s[8:9]
	s_waitcnt lgkmcnt(0)
	v_lshl_add_u64 v[60:61], v[60:61], 0, v[42:43]
	v_cmp_gt_u32_e64 s[6:7], v55, v37
	v_lshlrev_b32_e32 v58, 4, v58
	v_add_lshl_u32 v58, v58, v44, 2
	v_cndmask_b32_e64 v45, v60, v45, s[6:7]
	v_cndmask_b32_e64 v43, v61, v43, s[6:7]
	;; [unrolled: 13-line block ×3, first 2 shown]
	ds_bpermute_b32 v44, v60, v43
	ds_bpermute_b32 v63, v60, v45
	v_add_u32_e32 v61, 32, v47
	v_cndmask_b32_e64 v42, v62, v42, s[6:7]
	v_cmp_le_u32_e64 s[6:7], v61, v37
	s_waitcnt lgkmcnt(1)
	s_nop 0
	v_cndmask_b32_e64 v45, 0, v44, s[6:7]
	s_waitcnt lgkmcnt(0)
	v_cndmask_b32_e64 v44, 0, v63, s[6:7]
	v_lshl_add_u64 v[42:43], v[44:45], 0, v[42:43]
	v_cndmask_b32_e32 v35, v35, v43, vcc
	v_cndmask_b32_e32 v34, v34, v42, vcc
	s_branch .LBB86_50
.LBB86_49:                              ;   in Loop: Header=BB86_50 Depth=1
	s_or_b64 exec, exec, s[6:7]
	v_cmp_eq_u16_sdwa s[6:7], v36, v46 src0_sel:BYTE_0 src1_sel:DWORD
	v_subrev_u32_e32 v37, 64, v40
	ds_bpermute_b32 v45, v48, v35
	v_and_b32_e32 v40, s7, v33
	v_or_b32_e32 v40, 0x80000000, v40
	v_ffbl_b32_e32 v40, v40
	v_add_u32_e32 v62, 32, v40
	ds_bpermute_b32 v40, v48, v34
	v_and_b32_e32 v44, s6, v32
	v_ffbl_b32_e32 v44, v44
	v_min_u32_e32 v66, v44, v62
	v_mov_b32_e32 v44, v41
	s_waitcnt lgkmcnt(0)
	v_lshl_add_u64 v[62:63], v[34:35], 0, v[40:41]
	v_lshl_add_u64 v[44:45], v[44:45], 0, v[62:63]
	v_cmp_lt_u32_e32 vcc, v47, v66
	v_cmp_gt_u32_e64 s[6:7], v50, v66
	s_nop 0
	v_cndmask_b32_e32 v40, v34, v62, vcc
	v_cndmask_b32_e32 v45, v35, v45, vcc
	ds_bpermute_b32 v62, v49, v40
	ds_bpermute_b32 v63, v49, v45
	v_cndmask_b32_e32 v44, v34, v44, vcc
	s_waitcnt lgkmcnt(0)
	v_lshl_add_u64 v[62:63], v[62:63], 0, v[44:45]
	v_cndmask_b32_e64 v40, v62, v40, s[6:7]
	v_cndmask_b32_e64 v45, v63, v45, s[6:7]
	ds_bpermute_b32 v64, v51, v40
	ds_bpermute_b32 v65, v51, v45
	v_cndmask_b32_e64 v44, v62, v44, s[6:7]
	v_cmp_gt_u32_e64 s[6:7], v52, v66
	s_waitcnt lgkmcnt(0)
	v_lshl_add_u64 v[62:63], v[64:65], 0, v[44:45]
	v_cndmask_b32_e64 v40, v62, v40, s[6:7]
	v_cndmask_b32_e64 v45, v63, v45, s[6:7]
	ds_bpermute_b32 v64, v53, v40
	ds_bpermute_b32 v65, v53, v45
	v_cndmask_b32_e64 v44, v62, v44, s[6:7]
	v_cmp_gt_u32_e64 s[6:7], v55, v66
	;; [unrolled: 8-line block ×3, first 2 shown]
	s_waitcnt lgkmcnt(0)
	v_lshl_add_u64 v[62:63], v[64:65], 0, v[44:45]
	v_cndmask_b32_e64 v40, v62, v40, s[6:7]
	v_cndmask_b32_e64 v45, v63, v45, s[6:7]
	ds_bpermute_b32 v63, v60, v45
	ds_bpermute_b32 v40, v60, v40
	v_cndmask_b32_e64 v44, v62, v44, s[6:7]
	v_cmp_le_u32_e64 s[6:7], v61, v66
	s_waitcnt lgkmcnt(1)
	s_nop 0
	v_cndmask_b32_e64 v63, 0, v63, s[6:7]
	s_waitcnt lgkmcnt(0)
	v_cndmask_b32_e64 v62, 0, v40, s[6:7]
	v_lshl_add_u64 v[44:45], v[62:63], 0, v[44:45]
	v_cndmask_b32_e32 v35, v35, v45, vcc
	v_cndmask_b32_e32 v34, v34, v44, vcc
	v_lshl_add_u64 v[34:35], v[34:35], 0, v[42:43]
	v_mov_b32_e32 v40, v37
.LBB86_50:                              ; =>This Loop Header: Depth=1
                                        ;     Child Loop BB86_53 Depth 2
	v_cmp_ne_u16_sdwa s[6:7], v36, v46 src0_sel:BYTE_0 src1_sel:DWORD
	v_mov_b64_e32 v[42:43], v[34:35]
	s_nop 0
	v_cndmask_b32_e64 v36, 0, 1, s[6:7]
	;;#ASMSTART
	;;#ASMEND
	s_nop 0
	v_cmp_ne_u32_e32 vcc, 0, v36
	s_cmp_lg_u64 vcc, exec
	s_cbranch_scc1 .LBB86_55
; %bb.51:                               ;   in Loop: Header=BB86_50 Depth=1
	v_lshl_add_u64 v[44:45], v[40:41], 4, s[26:27]
	;;#ASMSTART
	global_load_dwordx4 v[34:37], v[44:45] off sc1	
s_waitcnt vmcnt(0)
	;;#ASMEND
	s_nop 0
	v_and_b32_e32 v37, 0xff, v35
	v_and_b32_e32 v62, 0xff00, v35
	v_or3_b32 v34, v34, 0, 0
	v_and_b32_e32 v63, 0xff000000, v35
	v_or3_b32 v37, 0, v37, v62
	;; [unrolled: 2-line block ×3, first 2 shown]
	v_or3_b32 v34, v34, 0, 0
	v_cmp_eq_u16_sdwa s[8:9], v36, v41 src0_sel:BYTE_0 src1_sel:DWORD
	s_and_saveexec_b64 s[6:7], s[8:9]
	s_cbranch_execz .LBB86_49
; %bb.52:                               ;   in Loop: Header=BB86_50 Depth=1
	s_mov_b64 s[8:9], 0
.LBB86_53:                              ;   Parent Loop BB86_50 Depth=1
                                        ; =>  This Inner Loop Header: Depth=2
	;;#ASMSTART
	global_load_dwordx4 v[34:37], v[44:45] off sc1	
s_waitcnt vmcnt(0)
	;;#ASMEND
	s_nop 0
	v_cmp_ne_u16_sdwa s[34:35], v36, v41 src0_sel:BYTE_0 src1_sel:DWORD
	s_or_b64 s[8:9], s[34:35], s[8:9]
	s_andn2_b64 exec, exec, s[8:9]
	s_cbranch_execnz .LBB86_53
; %bb.54:                               ;   in Loop: Header=BB86_50 Depth=1
	s_or_b64 exec, exec, s[8:9]
	s_branch .LBB86_49
.LBB86_55:                              ;   in Loop: Header=BB86_50 Depth=1
                                        ; implicit-def: $vgpr34_vgpr35
                                        ; implicit-def: $vgpr36
	s_cbranch_execz .LBB86_50
; %bb.56:
	s_and_saveexec_b64 s[6:7], s[4:5]
	s_cbranch_execz .LBB86_58
; %bb.57:
	s_add_i32 s2, s2, 64
	s_mov_b32 s3, 0
	s_lshl_b64 s[2:3], s[2:3], 4
	s_add_u32 s2, s26, s2
	s_addc_u32 s3, s27, s3
	v_lshl_add_u64 v[30:31], v[42:43], 0, v[30:31]
	v_mov_b32_e32 v32, 2
	v_mov_b32_e32 v33, 0
	v_mov_b64_e32 v[34:35], s[2:3]
	;;#ASMSTART
	global_store_dwordx4 v[34:35], v[30:33] off sc1	
s_waitcnt vmcnt(0)
	;;#ASMEND
.LBB86_58:
	s_or_b64 exec, exec, s[6:7]
	s_and_b64 exec, exec, s[0:1]
	s_cbranch_execz .LBB86_60
; %bb.59:
	v_mov_b32_e32 v30, 0
	ds_write_b64 v30, v[42:43]
.LBB86_60:
	s_or_b64 exec, exec, s[28:29]
	v_mov_b32_e32 v30, 0
	s_waitcnt lgkmcnt(0)
	s_barrier
	ds_read_b64 v[30:31], v30
	v_lshl_add_u64 v[32:33], v[38:39], 0, v[2:3]
	s_waitcnt lgkmcnt(0)
	v_lshl_add_u64 v[40:41], v[32:33], 0, v[30:31]
	v_lshl_add_u64 v[70:71], v[40:41], 0, v[4:5]
	;; [unrolled: 1-line block ×15, first 2 shown]
	s_branch .LBB86_75
.LBB86_61:
                                        ; implicit-def: $vgpr34_vgpr35_vgpr36_vgpr37
                                        ; implicit-def: $vgpr44_vgpr45_vgpr46_vgpr47
                                        ; implicit-def: $vgpr36_vgpr37_vgpr38_vgpr39
                                        ; implicit-def: $vgpr46_vgpr47_vgpr48_vgpr49
                                        ; implicit-def: $vgpr30_vgpr31
                                        ; implicit-def: $vgpr58_vgpr59
                                        ; implicit-def: $vgpr60_vgpr61
                                        ; implicit-def: $vgpr62_vgpr63
                                        ; implicit-def: $vgpr64_vgpr65
                                        ; implicit-def: $vgpr66_vgpr67
                                        ; implicit-def: $vgpr68_vgpr69
                                        ; implicit-def: $vgpr70_vgpr71
                                        ; implicit-def: $vgpr38_vgpr39_vgpr40_vgpr41
                                        ; implicit-def: $vgpr48_vgpr49_vgpr50_vgpr51
                                        ; implicit-def: $vgpr40_vgpr41_vgpr42_vgpr43
	s_cbranch_execz .LBB86_75
; %bb.62:
	s_cmp_lg_u64 s[16:17], 0
	s_cselect_b64 s[2:3], -1, 0
	v_cmp_eq_u32_e64 s[0:1], 0, v0
	v_cmp_ne_u32_e32 vcc, 0, v0
	s_and_b64 s[4:5], s[0:1], s[2:3]
	v_mov_b64_e32 v[40:41], v[2:3]
	s_and_saveexec_b64 s[2:3], s[4:5]
	s_cbranch_execz .LBB86_64
; %bb.63:
	v_mov_b32_e32 v30, 0
	global_load_dwordx2 v[30:31], v30, s[12:13]
	s_waitcnt vmcnt(0)
	v_lshl_add_u64 v[40:41], v[30:31], 0, v[2:3]
.LBB86_64:
	s_or_b64 exec, exec, s[2:3]
	v_lshl_add_u64 v[70:71], v[4:5], 0, v[40:41]
	v_lshl_add_u64 v[48:49], v[70:71], 0, v[6:7]
	;; [unrolled: 1-line block ×14, first 2 shown]
	v_add_lshl_u32 v1, v1, v0, 3
	v_cmp_gt_u32_e64 s[2:3], 64, v0
	ds_write_b64 v1, v[30:31]
	s_waitcnt lgkmcnt(0)
	s_barrier
	s_and_saveexec_b64 s[6:7], s[2:3]
	s_cbranch_execz .LBB86_68
; %bb.65:
	v_lshlrev_b32_e32 v1, 2, v0
	v_lshrrev_b32_e32 v2, 3, v0
	v_add_lshl_u32 v1, v2, v1, 3
	ds_read2_b64 v[50:53], v1 offset1:1
	ds_read2_b64 v[74:77], v1 offset0:2 offset1:3
	v_mov_b32_e32 v2, 0
	v_mbcnt_lo_u32_b32 v3, -1, 0
	v_mbcnt_hi_u32_b32 v55, -1, v3
	s_waitcnt lgkmcnt(1)
	v_lshl_add_u64 v[32:33], v[52:53], 0, v[50:51]
	s_waitcnt lgkmcnt(0)
	v_lshl_add_u64 v[32:33], v[32:33], 0, v[74:75]
	v_lshl_add_u64 v[32:33], v[32:33], 0, v[76:77]
	v_mov_b32_e32 v43, v2
	v_and_b32_e32 v73, 15, v55
	v_mov_b32_dpp v42, v32 row_shr:1 row_mask:0xf bank_mask:0xf
	v_mov_b32_dpp v3, v33 row_shr:1 row_mask:0xf bank_mask:0xf
	v_lshl_add_u64 v[42:43], v[32:33], 0, v[42:43]
	v_lshl_add_u64 v[52:53], v[2:3], 0, v[42:43]
	v_cmp_eq_u32_e64 s[2:3], 0, v73
	v_cmp_ne_u32_e64 s[4:5], 0, v55
	s_nop 0
	v_cndmask_b32_e64 v3, v42, v32, s[2:3]
	v_cndmask_b32_e64 v43, v53, v33, s[2:3]
	v_cndmask_b32_e64 v42, v52, v32, s[2:3]
	v_mov_b32_dpp v52, v3 row_shr:2 row_mask:0xf bank_mask:0xf
	v_mov_b32_dpp v53, v43 row_shr:2 row_mask:0xf bank_mask:0xf
	v_lshl_add_u64 v[52:53], v[52:53], 0, v[42:43]
	v_cmp_lt_u32_e64 s[2:3], 1, v73
	s_nop 1
	v_cndmask_b32_e64 v3, v3, v52, s[2:3]
	v_cndmask_b32_e64 v43, v43, v53, s[2:3]
	v_cndmask_b32_e64 v42, v42, v52, s[2:3]
	v_mov_b32_dpp v52, v3 row_shr:4 row_mask:0xf bank_mask:0xf
	v_mov_b32_dpp v53, v43 row_shr:4 row_mask:0xf bank_mask:0xf
	v_lshl_add_u64 v[52:53], v[52:53], 0, v[42:43]
	v_cmp_lt_u32_e64 s[2:3], 3, v73
	s_nop 1
	v_cndmask_b32_e64 v3, v3, v52, s[2:3]
	v_cndmask_b32_e64 v43, v43, v53, s[2:3]
	v_cndmask_b32_e64 v42, v42, v52, s[2:3]
	v_mov_b32_dpp v52, v3 row_shr:8 row_mask:0xf bank_mask:0xf
	v_mov_b32_dpp v53, v43 row_shr:8 row_mask:0xf bank_mask:0xf
	v_lshl_add_u64 v[52:53], v[52:53], 0, v[42:43]
	v_cmp_lt_u32_e64 s[2:3], 7, v73
	v_and_b32_e32 v73, 16, v55
	s_nop 0
	v_cndmask_b32_e64 v3, v3, v52, s[2:3]
	v_cndmask_b32_e64 v43, v43, v53, s[2:3]
	;; [unrolled: 1-line block ×3, first 2 shown]
	v_mov_b32_dpp v52, v3 row_bcast:15 row_mask:0xf bank_mask:0xf
	v_mov_b32_dpp v53, v43 row_bcast:15 row_mask:0xf bank_mask:0xf
	v_lshl_add_u64 v[52:53], v[52:53], 0, v[42:43]
	v_cmp_eq_u32_e64 s[2:3], 0, v73
	s_nop 1
	v_cndmask_b32_e64 v73, v53, v43, s[2:3]
	v_cndmask_b32_e64 v3, v52, v3, s[2:3]
	s_nop 0
	v_mov_b32_dpp v73, v73 row_bcast:31 row_mask:0xf bank_mask:0xf
	v_mov_b32_dpp v3, v3 row_bcast:31 row_mask:0xf bank_mask:0xf
	s_and_saveexec_b64 s[8:9], s[4:5]
; %bb.66:
	v_cndmask_b32_e64 v33, v53, v43, s[2:3]
	v_cndmask_b32_e64 v32, v52, v42, s[2:3]
	v_cmp_lt_u32_e64 s[2:3], 31, v55
	s_nop 1
	v_cndmask_b32_e64 v43, 0, v73, s[2:3]
	v_cndmask_b32_e64 v42, 0, v3, s[2:3]
	v_lshl_add_u64 v[32:33], v[42:43], 0, v[32:33]
; %bb.67:
	s_or_b64 exec, exec, s[8:9]
	v_add_u32_e32 v3, -1, v55
	v_and_b32_e32 v42, 64, v55
	v_cmp_lt_i32_e64 s[2:3], v3, v42
	; wave barrier
	s_nop 1
	v_cndmask_b32_e64 v3, v3, v55, s[2:3]
	v_lshlrev_b32_e32 v3, 2, v3
	ds_bpermute_b32 v32, v3, v32
	ds_bpermute_b32 v3, v3, v33
	v_mov_b32_e32 v33, v2
	s_waitcnt lgkmcnt(1)
	v_lshl_add_u64 v[32:33], v[50:51], 0, v[32:33]
	s_waitcnt lgkmcnt(0)
	v_lshl_add_u64 v[2:3], v[32:33], 0, v[2:3]
	v_cndmask_b32_e64 v3, v3, v31, s[0:1]
	v_cndmask_b32_e64 v2, v2, v30, s[0:1]
	ds_write_b64 v1, v[2:3]
	; wave barrier
	ds_read2_b64 v[50:53], v1 offset0:1 offset1:2
	ds_read_b64 v[32:33], v1 offset:24
	s_waitcnt lgkmcnt(1)
	v_lshl_add_u64 v[2:3], v[50:51], 0, v[2:3]
	v_lshl_add_u64 v[42:43], v[52:53], 0, v[2:3]
	ds_write2_b64 v1, v[2:3], v[42:43] offset0:1 offset1:2
	s_waitcnt lgkmcnt(1)
	v_lshl_add_u64 v[2:3], v[32:33], 0, v[42:43]
	ds_write_b64 v1, v[2:3] offset:24
.LBB86_68:
	s_or_b64 exec, exec, s[6:7]
	v_mov_b64_e32 v[2:3], v[30:31]
	s_waitcnt lgkmcnt(0)
	s_barrier
	s_and_saveexec_b64 s[0:1], vcc
	s_cbranch_execz .LBB86_70
; %bb.69:
	v_add_u32_e32 v1, -1, v0
	v_lshrrev_b32_e32 v2, 5, v1
	v_add_lshl_u32 v1, v2, v1, 3
	ds_read_b64 v[2:3], v1
.LBB86_70:
	s_or_b64 exec, exec, s[0:1]
	s_and_saveexec_b64 s[0:1], vcc
	s_cbranch_execz .LBB86_72
; %bb.71:
	s_waitcnt lgkmcnt(0)
	v_lshl_add_u64 v[40:41], v[2:3], 0, v[40:41]
	v_lshl_add_u64 v[70:71], v[40:41], 0, v[4:5]
	;; [unrolled: 1-line block ×15, first 2 shown]
	;;#ASMSTART
	;;#ASMEND
.LBB86_72:
	s_or_b64 exec, exec, s[0:1]
	s_movk_i32 s0, 0xff
	v_cmp_eq_u32_e32 vcc, s0, v0
	s_and_saveexec_b64 s[0:1], vcc
	s_cbranch_execz .LBB86_74
; %bb.73:
	s_add_u32 s2, s26, 0x400
	s_addc_u32 s3, s27, 0
	v_mov_b32_e32 v32, 2
	v_mov_b32_e32 v33, 0
	s_waitcnt lgkmcnt(0)
	v_mov_b64_e32 v[2:3], s[2:3]
	;;#ASMSTART
	global_store_dwordx4 v[2:3], v[30:33] off sc1	
s_waitcnt vmcnt(0)
	;;#ASMEND
.LBB86_74:
	s_or_b64 exec, exec, s[0:1]
.LBB86_75:
	s_add_u32 s0, s20, s10
	s_addc_u32 s1, s21, s11
	s_add_u32 s0, s0, s24
	s_addc_u32 s1, s1, s25
	s_mov_b64 s[2:3], -1
	s_and_b64 vcc, exec, s[22:23]
	s_waitcnt lgkmcnt(0)
	s_barrier
	s_cbranch_vccz .LBB86_77
; %bb.76:
	v_mul_u32_u24_e32 v1, 0x78, v0
	s_movk_i32 s2, 0x78
	ds_write2_b64 v1, v[40:41], v[70:71] offset1:1
	ds_write2_b64 v1, v[48:49], v[68:69] offset0:2 offset1:3
	ds_write2_b64 v1, v[46:47], v[66:67] offset0:4 offset1:5
	;; [unrolled: 1-line block ×6, first 2 shown]
	ds_write_b64 v1, v[30:31] offset:112
	v_mul_i32_i24_e32 v1, 0xffffff90, v0
	v_mad_u32_u24 v1, v0, s2, v1
	v_mov_b32_e32 v55, 0
	s_waitcnt lgkmcnt(0)
	s_barrier
	ds_read2st64_b64 v[2:5], v1 offset1:4
	ds_read2st64_b64 v[6:9], v1 offset0:8 offset1:12
	ds_read2st64_b64 v[10:13], v1 offset0:16 offset1:20
	;; [unrolled: 1-line block ×6, first 2 shown]
	ds_read_b64 v[32:33], v1 offset:28672
	v_lshl_add_u64 v[42:43], s[0:1], 0, v[54:55]
	s_movk_i32 s2, 0x1000
	s_waitcnt lgkmcnt(7)
	global_store_dwordx2 v54, v[2:3], s[0:1]
	global_store_dwordx2 v54, v[4:5], s[0:1] offset:2048
	v_add_co_u32_e32 v2, vcc, s2, v42
	s_movk_i32 s2, 0x2000
	s_nop 0
	v_addc_co_u32_e32 v3, vcc, 0, v43, vcc
	v_add_co_u32_e32 v4, vcc, s2, v42
	s_movk_i32 s2, 0x3000
	s_nop 0
	v_addc_co_u32_e32 v5, vcc, 0, v43, vcc
	s_waitcnt lgkmcnt(6)
	global_store_dwordx2 v[4:5], v[6:7], off offset:-4096
	global_store_dwordx2 v[2:3], v[8:9], off offset:2048
	s_waitcnt lgkmcnt(5)
	global_store_dwordx2 v[4:5], v[10:11], off
	global_store_dwordx2 v[4:5], v[12:13], off offset:2048
	v_add_co_u32_e32 v2, vcc, s2, v42
	s_movk_i32 s2, 0x4000
	s_nop 0
	v_addc_co_u32_e32 v3, vcc, 0, v43, vcc
	v_add_co_u32_e32 v4, vcc, s2, v42
	s_movk_i32 s2, 0x5000
	s_nop 0
	v_addc_co_u32_e32 v5, vcc, 0, v43, vcc
	s_waitcnt lgkmcnt(4)
	global_store_dwordx2 v[4:5], v[14:15], off offset:-4096
	global_store_dwordx2 v[2:3], v[16:17], off offset:2048
	s_waitcnt lgkmcnt(3)
	global_store_dwordx2 v[4:5], v[18:19], off
	global_store_dwordx2 v[4:5], v[20:21], off offset:2048
	v_add_co_u32_e32 v2, vcc, s2, v42
	s_mov_b64 s[2:3], 0
	s_nop 0
	v_addc_co_u32_e32 v3, vcc, 0, v43, vcc
	s_waitcnt lgkmcnt(2)
	global_store_dwordx2 v[2:3], v[22:23], off
	global_store_dwordx2 v[2:3], v[24:25], off offset:2048
	v_add_co_u32_e32 v2, vcc, 0x6000, v42
	s_nop 1
	v_addc_co_u32_e32 v3, vcc, 0, v43, vcc
	s_waitcnt lgkmcnt(1)
	global_store_dwordx2 v[2:3], v[26:27], off
	global_store_dwordx2 v[2:3], v[28:29], off offset:2048
	v_add_co_u32_e32 v2, vcc, 0x7000, v42
	s_nop 1
	v_addc_co_u32_e32 v3, vcc, 0, v43, vcc
	s_waitcnt lgkmcnt(0)
	global_store_dwordx2 v[2:3], v[32:33], off
.LBB86_77:
	s_andn2_b64 vcc, exec, s[2:3]
	s_cbranch_vccnz .LBB86_163
; %bb.78:
	v_mul_u32_u24_e32 v1, 0x78, v0
	s_movk_i32 s2, 0x78
	ds_write2_b64 v1, v[40:41], v[70:71] offset1:1
	ds_write2_b64 v1, v[48:49], v[68:69] offset0:2 offset1:3
	ds_write2_b64 v1, v[46:47], v[66:67] offset0:4 offset1:5
	;; [unrolled: 1-line block ×6, first 2 shown]
	ds_write_b64 v1, v[30:31] offset:112
	v_mul_i32_i24_e32 v1, 0xffffff90, v0
	v_mad_u32_u24 v1, v0, s2, v1
	s_waitcnt lgkmcnt(0)
	s_barrier
	ds_read2st64_b64 v[6:9], v1 offset1:4
	ds_read2st64_b64 v[14:17], v1 offset0:8 offset1:12
	ds_read2st64_b64 v[10:13], v1 offset0:16 offset1:20
	;; [unrolled: 1-line block ×6, first 2 shown]
	ds_read_b64 v[30:31], v1 offset:28672
	v_mov_b32_e32 v55, 0
	v_lshl_add_u64 v[32:33], s[0:1], 0, v[54:55]
	v_cmp_gt_u32_e32 vcc, s30, v0
	s_and_saveexec_b64 s[0:1], vcc
	s_cbranch_execz .LBB86_80
; %bb.79:
	s_waitcnt lgkmcnt(7)
	global_store_dwordx2 v[32:33], v[6:7], off
.LBB86_80:
	s_or_b64 exec, exec, s[0:1]
	v_or_b32_e32 v1, 0x100, v0
	v_cmp_gt_u32_e32 vcc, s30, v1
	s_and_saveexec_b64 s[0:1], vcc
	s_cbranch_execz .LBB86_82
; %bb.81:
	s_waitcnt lgkmcnt(7)
	global_store_dwordx2 v[32:33], v[8:9], off offset:2048
.LBB86_82:
	s_or_b64 exec, exec, s[0:1]
	v_or_b32_e32 v1, 0x200, v0
	v_cmp_gt_u32_e32 vcc, s30, v1
	s_and_saveexec_b64 s[0:1], vcc
	s_cbranch_execz .LBB86_84
; %bb.83:
	v_add_co_u32_e32 v34, vcc, 0x1000, v32
	s_nop 1
	v_addc_co_u32_e32 v35, vcc, 0, v33, vcc
	s_waitcnt lgkmcnt(6)
	global_store_dwordx2 v[34:35], v[14:15], off
.LBB86_84:
	s_or_b64 exec, exec, s[0:1]
	v_or_b32_e32 v1, 0x300, v0
	v_cmp_gt_u32_e32 vcc, s30, v1
	s_and_saveexec_b64 s[0:1], vcc
	s_cbranch_execz .LBB86_86
; %bb.85:
	v_add_co_u32_e32 v34, vcc, 0x1000, v32
	s_nop 1
	v_addc_co_u32_e32 v35, vcc, 0, v33, vcc
	s_waitcnt lgkmcnt(6)
	global_store_dwordx2 v[34:35], v[16:17], off offset:2048
.LBB86_86:
	s_or_b64 exec, exec, s[0:1]
	v_or_b32_e32 v1, 0x400, v0
	v_cmp_gt_u32_e32 vcc, s30, v1
	s_and_saveexec_b64 s[0:1], vcc
	s_cbranch_execz .LBB86_88
; %bb.87:
	v_add_co_u32_e32 v34, vcc, 0x2000, v32
	s_nop 1
	v_addc_co_u32_e32 v35, vcc, 0, v33, vcc
	s_waitcnt lgkmcnt(5)
	global_store_dwordx2 v[34:35], v[10:11], off
.LBB86_88:
	s_or_b64 exec, exec, s[0:1]
	v_or_b32_e32 v1, 0x500, v0
	v_cmp_gt_u32_e32 vcc, s30, v1
	s_and_saveexec_b64 s[0:1], vcc
	s_cbranch_execz .LBB86_90
; %bb.89:
	v_add_co_u32_e32 v34, vcc, 0x2000, v32
	s_nop 1
	v_addc_co_u32_e32 v35, vcc, 0, v33, vcc
	s_waitcnt lgkmcnt(5)
	global_store_dwordx2 v[34:35], v[12:13], off offset:2048
.LBB86_90:
	;; [unrolled: 24-line block ×6, first 2 shown]
	s_or_b64 exec, exec, s[0:1]
	v_or_b32_e32 v1, 0xe00, v0
	v_cmp_gt_u32_e32 vcc, s30, v1
	s_and_saveexec_b64 s[0:1], vcc
	s_cbranch_execz .LBB86_108
; %bb.107:
	v_add_co_u32_e32 v32, vcc, 0x7000, v32
	s_nop 1
	v_addc_co_u32_e32 v33, vcc, 0, v33, vcc
	s_waitcnt lgkmcnt(0)
	global_store_dwordx2 v[32:33], v[30:31], off
.LBB86_108:
	s_or_b64 exec, exec, s[0:1]
	v_cmp_lt_u64_e64 s[0:1], s[18:19], 2
	s_and_b64 vcc, exec, s[0:1]
	s_cbranch_vccnz .LBB86_163
; %bb.109:
	s_add_u32 s0, s30, -1
	s_addc_u32 s1, s31, -1
	s_add_u32 s2, 0, 0x11108400
	s_addc_u32 s3, 0, 49
	s_add_i32 s3, s3, 0x111110e0
	s_mul_hi_u32 s7, s2, -15
	s_sub_i32 s7, s7, s2
	s_mul_i32 s8, s3, -15
	s_mul_i32 s4, s2, -15
	s_add_i32 s7, s7, s8
	s_mul_hi_u32 s5, s3, s4
	s_mul_i32 s6, s3, s4
	s_mul_i32 s9, s2, s7
	s_mul_hi_u32 s4, s2, s4
	s_mul_hi_u32 s8, s2, s7
	s_add_u32 s4, s4, s9
	s_addc_u32 s8, 0, s8
	s_add_u32 s4, s4, s6
	s_mul_hi_u32 s9, s3, s7
	s_addc_u32 s4, s8, s5
	s_addc_u32 s5, s9, 0
	s_mul_i32 s6, s3, s7
	s_add_u32 s4, s4, s6
	v_mov_b32_e32 v32, s4
	s_addc_u32 s5, 0, s5
	v_add_co_u32_e32 v32, vcc, s2, v32
	s_cmp_lg_u64 vcc, 0
	s_addc_u32 s2, s3, s5
	v_readfirstlane_b32 s5, v32
	s_mul_i32 s4, s0, s2
	s_mul_hi_u32 s6, s0, s5
	s_mul_hi_u32 s3, s0, s2
	s_add_u32 s4, s6, s4
	s_addc_u32 s3, 0, s3
	s_mul_hi_u32 s7, s1, s5
	s_mul_i32 s5, s1, s5
	s_add_u32 s4, s4, s5
	s_mul_hi_u32 s6, s1, s2
	s_addc_u32 s3, s3, s7
	s_addc_u32 s4, s6, 0
	s_mul_i32 s2, s1, s2
	s_add_u32 s2, s3, s2
	s_addc_u32 s3, 0, s4
	s_add_u32 s4, s2, 1
	s_addc_u32 s5, s3, 0
	s_add_u32 s6, s2, 2
	s_mul_i32 s8, s3, 15
	s_mul_hi_u32 s9, s2, 15
	s_addc_u32 s7, s3, 0
	s_add_i32 s9, s9, s8
	s_mul_i32 s8, s2, 15
	v_mov_b32_e32 v32, s8
	v_sub_co_u32_e32 v32, vcc, s0, v32
	s_cmp_lg_u64 vcc, 0
	s_subb_u32 s8, s1, s9
	v_subrev_co_u32_e32 v33, vcc, 15, v32
	s_cmp_lg_u64 vcc, 0
	s_subb_u32 s9, s8, 0
	v_readfirstlane_b32 s10, v33
	s_cmp_gt_u32 s10, 14
	s_cselect_b32 s10, -1, 0
	s_cmp_eq_u32 s9, 0
	s_cselect_b32 s9, s10, -1
	s_cmp_lg_u32 s9, 0
	s_cselect_b32 s4, s6, s4
	v_readfirstlane_b32 s6, v32
	s_cselect_b32 s5, s7, s5
	s_cmp_gt_u32 s6, 14
	s_cselect_b32 s6, -1, 0
	s_cmp_eq_u32 s8, 0
	s_cselect_b32 s6, s6, -1
	s_cmp_lg_u32 s6, 0
	v_mov_b32_e32 v1, v55
	s_cselect_b32 s3, s5, s3
	s_cselect_b32 s2, s4, s2
	v_cmp_eq_u64_e32 vcc, s[2:3], v[0:1]
	s_and_saveexec_b64 s[2:3], vcc
	s_cbranch_execz .LBB86_163
; %bb.110:
	v_mul_hi_u32_u24_e32 v1, 15, v0
	v_mov_b32_e32 v32, s1
	v_sub_co_u32_e32 v0, vcc, s0, v72
	s_nop 1
	v_subb_co_u32_e32 v1, vcc, v32, v1, vcc
	v_cmp_lt_i64_e32 vcc, 7, v[0:1]
	s_and_saveexec_b64 s[0:1], vcc
	s_xor_b64 s[0:1], exec, s[0:1]
	s_cbranch_execz .LBB86_136
; %bb.111:
	v_cmp_lt_i64_e32 vcc, 10, v[0:1]
	s_and_saveexec_b64 s[2:3], vcc
	s_xor_b64 s[2:3], exec, s[2:3]
	s_cbranch_execz .LBB86_125
; %bb.112:
	;; [unrolled: 5-line block ×4, first 2 shown]
	v_mov_b32_e32 v0, 0
	s_waitcnt lgkmcnt(0)
	global_store_dwordx2 v0, v[30:31], s[14:15]
                                        ; implicit-def: $vgpr22_vgpr23_vgpr24_vgpr25
.LBB86_115:
	s_andn2_saveexec_b64 s[6:7], s[6:7]
	s_cbranch_execz .LBB86_117
; %bb.116:
	v_mov_b32_e32 v0, 0
	s_waitcnt lgkmcnt(1)
	global_store_dwordx2 v0, v[24:25], s[14:15]
.LBB86_117:
	s_or_b64 exec, exec, s[6:7]
                                        ; implicit-def: $vgpr2_vgpr3_vgpr4_vgpr5
                                        ; implicit-def: $vgpr0_vgpr1
                                        ; implicit-def: $vgpr22_vgpr23_vgpr24_vgpr25
.LBB86_118:
	s_andn2_saveexec_b64 s[4:5], s[4:5]
	s_cbranch_execz .LBB86_124
; %bb.119:
	v_cmp_lt_i64_e32 vcc, 11, v[0:1]
	s_and_saveexec_b64 s[6:7], vcc
	s_xor_b64 s[6:7], exec, s[6:7]
	s_cbranch_execz .LBB86_121
; %bb.120:
	v_mov_b32_e32 v0, 0
	s_waitcnt lgkmcnt(1)
	global_store_dwordx2 v0, v[22:23], s[14:15]
                                        ; implicit-def: $vgpr2_vgpr3_vgpr4_vgpr5
.LBB86_121:
	s_andn2_saveexec_b64 s[6:7], s[6:7]
	s_cbranch_execz .LBB86_123
; %bb.122:
	v_mov_b32_e32 v0, 0
	s_waitcnt lgkmcnt(2)
	global_store_dwordx2 v0, v[4:5], s[14:15]
.LBB86_123:
	s_or_b64 exec, exec, s[6:7]
.LBB86_124:
	s_or_b64 exec, exec, s[4:5]
                                        ; implicit-def: $vgpr18_vgpr19_vgpr20_vgpr21
                                        ; implicit-def: $vgpr0_vgpr1
                                        ; implicit-def: $vgpr2_vgpr3_vgpr4_vgpr5
.LBB86_125:
	s_andn2_saveexec_b64 s[2:3], s[2:3]
	s_cbranch_execz .LBB86_135
; %bb.126:
	v_cmp_lt_i64_e32 vcc, 8, v[0:1]
	s_and_saveexec_b64 s[4:5], vcc
	s_xor_b64 s[4:5], exec, s[4:5]
	s_cbranch_execz .LBB86_132
; %bb.127:
	v_cmp_lt_i64_e32 vcc, 9, v[0:1]
	s_and_saveexec_b64 s[6:7], vcc
	s_xor_b64 s[6:7], exec, s[6:7]
	s_cbranch_execz .LBB86_129
; %bb.128:
	v_mov_b32_e32 v0, 0
	s_waitcnt lgkmcnt(2)
	global_store_dwordx2 v0, v[2:3], s[14:15]
                                        ; implicit-def: $vgpr18_vgpr19_vgpr20_vgpr21
.LBB86_129:
	s_andn2_saveexec_b64 s[6:7], s[6:7]
	s_cbranch_execz .LBB86_131
; %bb.130:
	v_mov_b32_e32 v0, 0
	s_waitcnt lgkmcnt(3)
	global_store_dwordx2 v0, v[20:21], s[14:15]
.LBB86_131:
	s_or_b64 exec, exec, s[6:7]
                                        ; implicit-def: $vgpr18_vgpr19_vgpr20_vgpr21
.LBB86_132:
	s_andn2_saveexec_b64 s[4:5], s[4:5]
	s_cbranch_execz .LBB86_134
; %bb.133:
	v_mov_b32_e32 v0, 0
	s_waitcnt lgkmcnt(3)
	global_store_dwordx2 v0, v[18:19], s[14:15]
.LBB86_134:
	s_or_b64 exec, exec, s[4:5]
.LBB86_135:
	s_or_b64 exec, exec, s[2:3]
                                        ; implicit-def: $vgpr0_vgpr1
                                        ; implicit-def: $vgpr6_vgpr7_vgpr8_vgpr9
                                        ; implicit-def: $vgpr10_vgpr11_vgpr12_vgpr13
                                        ; implicit-def: $vgpr14_vgpr15_vgpr16_vgpr17
                                        ; implicit-def: $vgpr26_vgpr27_vgpr28_vgpr29
.LBB86_136:
	s_andn2_saveexec_b64 s[0:1], s[0:1]
	s_cbranch_execz .LBB86_163
; %bb.137:
	v_cmp_lt_i64_e32 vcc, 3, v[0:1]
	s_and_saveexec_b64 s[0:1], vcc
	s_xor_b64 s[0:1], exec, s[0:1]
	s_cbranch_execz .LBB86_151
; %bb.138:
	v_cmp_lt_i64_e32 vcc, 5, v[0:1]
	s_and_saveexec_b64 s[2:3], vcc
	s_xor_b64 s[2:3], exec, s[2:3]
	;; [unrolled: 5-line block ×3, first 2 shown]
	s_cbranch_execz .LBB86_141
; %bb.140:
	v_mov_b32_e32 v0, 0
	s_waitcnt lgkmcnt(4)
	global_store_dwordx2 v0, v[28:29], s[14:15]
                                        ; implicit-def: $vgpr26_vgpr27_vgpr28_vgpr29
.LBB86_141:
	s_andn2_saveexec_b64 s[4:5], s[4:5]
	s_cbranch_execz .LBB86_143
; %bb.142:
	v_mov_b32_e32 v0, 0
	s_waitcnt lgkmcnt(4)
	global_store_dwordx2 v0, v[26:27], s[14:15]
.LBB86_143:
	s_or_b64 exec, exec, s[4:5]
                                        ; implicit-def: $vgpr10_vgpr11_vgpr12_vgpr13
                                        ; implicit-def: $vgpr0_vgpr1
.LBB86_144:
	s_andn2_saveexec_b64 s[2:3], s[2:3]
	s_cbranch_execz .LBB86_150
; %bb.145:
	v_cmp_lt_i64_e32 vcc, 4, v[0:1]
	s_and_saveexec_b64 s[4:5], vcc
	s_xor_b64 s[4:5], exec, s[4:5]
	s_cbranch_execz .LBB86_147
; %bb.146:
	v_mov_b32_e32 v0, 0
	s_waitcnt lgkmcnt(5)
	global_store_dwordx2 v0, v[12:13], s[14:15]
                                        ; implicit-def: $vgpr10_vgpr11_vgpr12_vgpr13
.LBB86_147:
	s_andn2_saveexec_b64 s[4:5], s[4:5]
	s_cbranch_execz .LBB86_149
; %bb.148:
	v_mov_b32_e32 v0, 0
	s_waitcnt lgkmcnt(5)
	global_store_dwordx2 v0, v[10:11], s[14:15]
.LBB86_149:
	s_or_b64 exec, exec, s[4:5]
.LBB86_150:
	s_or_b64 exec, exec, s[2:3]
                                        ; implicit-def: $vgpr0_vgpr1
                                        ; implicit-def: $vgpr6_vgpr7_vgpr8_vgpr9
                                        ; implicit-def: $vgpr14_vgpr15_vgpr16_vgpr17
.LBB86_151:
	s_andn2_saveexec_b64 s[0:1], s[0:1]
	s_cbranch_execz .LBB86_163
; %bb.152:
	v_cmp_lt_i64_e32 vcc, 1, v[0:1]
	s_and_saveexec_b64 s[0:1], vcc
	s_xor_b64 s[0:1], exec, s[0:1]
	s_cbranch_execz .LBB86_158
; %bb.153:
	v_cmp_lt_i64_e32 vcc, 2, v[0:1]
	s_and_saveexec_b64 s[2:3], vcc
	s_xor_b64 s[2:3], exec, s[2:3]
	s_cbranch_execz .LBB86_155
; %bb.154:
	v_mov_b32_e32 v0, 0
	s_waitcnt lgkmcnt(6)
	global_store_dwordx2 v0, v[16:17], s[14:15]
                                        ; implicit-def: $vgpr14_vgpr15_vgpr16_vgpr17
.LBB86_155:
	s_andn2_saveexec_b64 s[2:3], s[2:3]
	s_cbranch_execz .LBB86_157
; %bb.156:
	v_mov_b32_e32 v0, 0
	s_waitcnt lgkmcnt(6)
	global_store_dwordx2 v0, v[14:15], s[14:15]
.LBB86_157:
	s_or_b64 exec, exec, s[2:3]
                                        ; implicit-def: $vgpr6_vgpr7_vgpr8_vgpr9
                                        ; implicit-def: $vgpr0_vgpr1
.LBB86_158:
	s_andn2_saveexec_b64 s[0:1], s[0:1]
	s_cbranch_execz .LBB86_163
; %bb.159:
	v_cmp_ne_u64_e32 vcc, 1, v[0:1]
	s_and_saveexec_b64 s[0:1], vcc
	s_xor_b64 s[0:1], exec, s[0:1]
	s_cbranch_execz .LBB86_161
; %bb.160:
	v_mov_b32_e32 v0, 0
	s_waitcnt lgkmcnt(7)
	global_store_dwordx2 v0, v[6:7], s[14:15]
                                        ; implicit-def: $vgpr6_vgpr7_vgpr8_vgpr9
.LBB86_161:
	s_andn2_saveexec_b64 s[0:1], s[0:1]
	s_cbranch_execz .LBB86_163
; %bb.162:
	v_mov_b32_e32 v0, 0
	s_waitcnt lgkmcnt(7)
	global_store_dwordx2 v0, v[8:9], s[14:15]
.LBB86_163:
	s_endpgm
	.section	.rodata,"a",@progbits
	.p2align	6, 0x0
	.amdhsa_kernel _ZN7rocprim17ROCPRIM_400000_NS6detail17trampoline_kernelINS0_14default_configENS1_20scan_config_selectorIlEEZZNS1_9scan_implILNS1_25lookback_scan_determinismE0ELb0ELb0ES3_PlS8_lN6thrust23THRUST_200600_302600_NS4plusIvEElEEDaPvRmT3_T4_T5_mT6_P12ihipStream_tbENKUlT_T0_E_clISt17integral_constantIbLb0EESQ_EEDaSL_SM_EUlSL_E_NS1_11comp_targetILNS1_3genE5ELNS1_11target_archE942ELNS1_3gpuE9ELNS1_3repE0EEENS1_30default_config_static_selectorELNS0_4arch9wavefront6targetE1EEEvT1_
		.amdhsa_group_segment_fixed_size 30720
		.amdhsa_private_segment_fixed_size 0
		.amdhsa_kernarg_size 104
		.amdhsa_user_sgpr_count 2
		.amdhsa_user_sgpr_dispatch_ptr 0
		.amdhsa_user_sgpr_queue_ptr 0
		.amdhsa_user_sgpr_kernarg_segment_ptr 1
		.amdhsa_user_sgpr_dispatch_id 0
		.amdhsa_user_sgpr_kernarg_preload_length 0
		.amdhsa_user_sgpr_kernarg_preload_offset 0
		.amdhsa_user_sgpr_private_segment_size 0
		.amdhsa_uses_dynamic_stack 0
		.amdhsa_enable_private_segment 0
		.amdhsa_system_sgpr_workgroup_id_x 1
		.amdhsa_system_sgpr_workgroup_id_y 0
		.amdhsa_system_sgpr_workgroup_id_z 0
		.amdhsa_system_sgpr_workgroup_info 0
		.amdhsa_system_vgpr_workitem_id 0
		.amdhsa_next_free_vgpr 78
		.amdhsa_next_free_sgpr 68
		.amdhsa_accum_offset 80
		.amdhsa_reserve_vcc 1
		.amdhsa_float_round_mode_32 0
		.amdhsa_float_round_mode_16_64 0
		.amdhsa_float_denorm_mode_32 3
		.amdhsa_float_denorm_mode_16_64 3
		.amdhsa_dx10_clamp 1
		.amdhsa_ieee_mode 1
		.amdhsa_fp16_overflow 0
		.amdhsa_tg_split 0
		.amdhsa_exception_fp_ieee_invalid_op 0
		.amdhsa_exception_fp_denorm_src 0
		.amdhsa_exception_fp_ieee_div_zero 0
		.amdhsa_exception_fp_ieee_overflow 0
		.amdhsa_exception_fp_ieee_underflow 0
		.amdhsa_exception_fp_ieee_inexact 0
		.amdhsa_exception_int_div_zero 0
	.end_amdhsa_kernel
	.section	.text._ZN7rocprim17ROCPRIM_400000_NS6detail17trampoline_kernelINS0_14default_configENS1_20scan_config_selectorIlEEZZNS1_9scan_implILNS1_25lookback_scan_determinismE0ELb0ELb0ES3_PlS8_lN6thrust23THRUST_200600_302600_NS4plusIvEElEEDaPvRmT3_T4_T5_mT6_P12ihipStream_tbENKUlT_T0_E_clISt17integral_constantIbLb0EESQ_EEDaSL_SM_EUlSL_E_NS1_11comp_targetILNS1_3genE5ELNS1_11target_archE942ELNS1_3gpuE9ELNS1_3repE0EEENS1_30default_config_static_selectorELNS0_4arch9wavefront6targetE1EEEvT1_,"axG",@progbits,_ZN7rocprim17ROCPRIM_400000_NS6detail17trampoline_kernelINS0_14default_configENS1_20scan_config_selectorIlEEZZNS1_9scan_implILNS1_25lookback_scan_determinismE0ELb0ELb0ES3_PlS8_lN6thrust23THRUST_200600_302600_NS4plusIvEElEEDaPvRmT3_T4_T5_mT6_P12ihipStream_tbENKUlT_T0_E_clISt17integral_constantIbLb0EESQ_EEDaSL_SM_EUlSL_E_NS1_11comp_targetILNS1_3genE5ELNS1_11target_archE942ELNS1_3gpuE9ELNS1_3repE0EEENS1_30default_config_static_selectorELNS0_4arch9wavefront6targetE1EEEvT1_,comdat
.Lfunc_end86:
	.size	_ZN7rocprim17ROCPRIM_400000_NS6detail17trampoline_kernelINS0_14default_configENS1_20scan_config_selectorIlEEZZNS1_9scan_implILNS1_25lookback_scan_determinismE0ELb0ELb0ES3_PlS8_lN6thrust23THRUST_200600_302600_NS4plusIvEElEEDaPvRmT3_T4_T5_mT6_P12ihipStream_tbENKUlT_T0_E_clISt17integral_constantIbLb0EESQ_EEDaSL_SM_EUlSL_E_NS1_11comp_targetILNS1_3genE5ELNS1_11target_archE942ELNS1_3gpuE9ELNS1_3repE0EEENS1_30default_config_static_selectorELNS0_4arch9wavefront6targetE1EEEvT1_, .Lfunc_end86-_ZN7rocprim17ROCPRIM_400000_NS6detail17trampoline_kernelINS0_14default_configENS1_20scan_config_selectorIlEEZZNS1_9scan_implILNS1_25lookback_scan_determinismE0ELb0ELb0ES3_PlS8_lN6thrust23THRUST_200600_302600_NS4plusIvEElEEDaPvRmT3_T4_T5_mT6_P12ihipStream_tbENKUlT_T0_E_clISt17integral_constantIbLb0EESQ_EEDaSL_SM_EUlSL_E_NS1_11comp_targetILNS1_3genE5ELNS1_11target_archE942ELNS1_3gpuE9ELNS1_3repE0EEENS1_30default_config_static_selectorELNS0_4arch9wavefront6targetE1EEEvT1_
                                        ; -- End function
	.section	.AMDGPU.csdata,"",@progbits
; Kernel info:
; codeLenInByte = 7612
; NumSgprs: 74
; NumVgprs: 78
; NumAgprs: 0
; TotalNumVgprs: 78
; ScratchSize: 0
; MemoryBound: 0
; FloatMode: 240
; IeeeMode: 1
; LDSByteSize: 30720 bytes/workgroup (compile time only)
; SGPRBlocks: 9
; VGPRBlocks: 9
; NumSGPRsForWavesPerEU: 74
; NumVGPRsForWavesPerEU: 78
; AccumOffset: 80
; Occupancy: 2
; WaveLimiterHint : 1
; COMPUTE_PGM_RSRC2:SCRATCH_EN: 0
; COMPUTE_PGM_RSRC2:USER_SGPR: 2
; COMPUTE_PGM_RSRC2:TRAP_HANDLER: 0
; COMPUTE_PGM_RSRC2:TGID_X_EN: 1
; COMPUTE_PGM_RSRC2:TGID_Y_EN: 0
; COMPUTE_PGM_RSRC2:TGID_Z_EN: 0
; COMPUTE_PGM_RSRC2:TIDIG_COMP_CNT: 0
; COMPUTE_PGM_RSRC3_GFX90A:ACCUM_OFFSET: 19
; COMPUTE_PGM_RSRC3_GFX90A:TG_SPLIT: 0
	.section	.text._ZN7rocprim17ROCPRIM_400000_NS6detail17trampoline_kernelINS0_14default_configENS1_20scan_config_selectorIlEEZZNS1_9scan_implILNS1_25lookback_scan_determinismE0ELb0ELb0ES3_PlS8_lN6thrust23THRUST_200600_302600_NS4plusIvEElEEDaPvRmT3_T4_T5_mT6_P12ihipStream_tbENKUlT_T0_E_clISt17integral_constantIbLb0EESQ_EEDaSL_SM_EUlSL_E_NS1_11comp_targetILNS1_3genE4ELNS1_11target_archE910ELNS1_3gpuE8ELNS1_3repE0EEENS1_30default_config_static_selectorELNS0_4arch9wavefront6targetE1EEEvT1_,"axG",@progbits,_ZN7rocprim17ROCPRIM_400000_NS6detail17trampoline_kernelINS0_14default_configENS1_20scan_config_selectorIlEEZZNS1_9scan_implILNS1_25lookback_scan_determinismE0ELb0ELb0ES3_PlS8_lN6thrust23THRUST_200600_302600_NS4plusIvEElEEDaPvRmT3_T4_T5_mT6_P12ihipStream_tbENKUlT_T0_E_clISt17integral_constantIbLb0EESQ_EEDaSL_SM_EUlSL_E_NS1_11comp_targetILNS1_3genE4ELNS1_11target_archE910ELNS1_3gpuE8ELNS1_3repE0EEENS1_30default_config_static_selectorELNS0_4arch9wavefront6targetE1EEEvT1_,comdat
	.protected	_ZN7rocprim17ROCPRIM_400000_NS6detail17trampoline_kernelINS0_14default_configENS1_20scan_config_selectorIlEEZZNS1_9scan_implILNS1_25lookback_scan_determinismE0ELb0ELb0ES3_PlS8_lN6thrust23THRUST_200600_302600_NS4plusIvEElEEDaPvRmT3_T4_T5_mT6_P12ihipStream_tbENKUlT_T0_E_clISt17integral_constantIbLb0EESQ_EEDaSL_SM_EUlSL_E_NS1_11comp_targetILNS1_3genE4ELNS1_11target_archE910ELNS1_3gpuE8ELNS1_3repE0EEENS1_30default_config_static_selectorELNS0_4arch9wavefront6targetE1EEEvT1_ ; -- Begin function _ZN7rocprim17ROCPRIM_400000_NS6detail17trampoline_kernelINS0_14default_configENS1_20scan_config_selectorIlEEZZNS1_9scan_implILNS1_25lookback_scan_determinismE0ELb0ELb0ES3_PlS8_lN6thrust23THRUST_200600_302600_NS4plusIvEElEEDaPvRmT3_T4_T5_mT6_P12ihipStream_tbENKUlT_T0_E_clISt17integral_constantIbLb0EESQ_EEDaSL_SM_EUlSL_E_NS1_11comp_targetILNS1_3genE4ELNS1_11target_archE910ELNS1_3gpuE8ELNS1_3repE0EEENS1_30default_config_static_selectorELNS0_4arch9wavefront6targetE1EEEvT1_
	.globl	_ZN7rocprim17ROCPRIM_400000_NS6detail17trampoline_kernelINS0_14default_configENS1_20scan_config_selectorIlEEZZNS1_9scan_implILNS1_25lookback_scan_determinismE0ELb0ELb0ES3_PlS8_lN6thrust23THRUST_200600_302600_NS4plusIvEElEEDaPvRmT3_T4_T5_mT6_P12ihipStream_tbENKUlT_T0_E_clISt17integral_constantIbLb0EESQ_EEDaSL_SM_EUlSL_E_NS1_11comp_targetILNS1_3genE4ELNS1_11target_archE910ELNS1_3gpuE8ELNS1_3repE0EEENS1_30default_config_static_selectorELNS0_4arch9wavefront6targetE1EEEvT1_
	.p2align	8
	.type	_ZN7rocprim17ROCPRIM_400000_NS6detail17trampoline_kernelINS0_14default_configENS1_20scan_config_selectorIlEEZZNS1_9scan_implILNS1_25lookback_scan_determinismE0ELb0ELb0ES3_PlS8_lN6thrust23THRUST_200600_302600_NS4plusIvEElEEDaPvRmT3_T4_T5_mT6_P12ihipStream_tbENKUlT_T0_E_clISt17integral_constantIbLb0EESQ_EEDaSL_SM_EUlSL_E_NS1_11comp_targetILNS1_3genE4ELNS1_11target_archE910ELNS1_3gpuE8ELNS1_3repE0EEENS1_30default_config_static_selectorELNS0_4arch9wavefront6targetE1EEEvT1_,@function
_ZN7rocprim17ROCPRIM_400000_NS6detail17trampoline_kernelINS0_14default_configENS1_20scan_config_selectorIlEEZZNS1_9scan_implILNS1_25lookback_scan_determinismE0ELb0ELb0ES3_PlS8_lN6thrust23THRUST_200600_302600_NS4plusIvEElEEDaPvRmT3_T4_T5_mT6_P12ihipStream_tbENKUlT_T0_E_clISt17integral_constantIbLb0EESQ_EEDaSL_SM_EUlSL_E_NS1_11comp_targetILNS1_3genE4ELNS1_11target_archE910ELNS1_3gpuE8ELNS1_3repE0EEENS1_30default_config_static_selectorELNS0_4arch9wavefront6targetE1EEEvT1_: ; @_ZN7rocprim17ROCPRIM_400000_NS6detail17trampoline_kernelINS0_14default_configENS1_20scan_config_selectorIlEEZZNS1_9scan_implILNS1_25lookback_scan_determinismE0ELb0ELb0ES3_PlS8_lN6thrust23THRUST_200600_302600_NS4plusIvEElEEDaPvRmT3_T4_T5_mT6_P12ihipStream_tbENKUlT_T0_E_clISt17integral_constantIbLb0EESQ_EEDaSL_SM_EUlSL_E_NS1_11comp_targetILNS1_3genE4ELNS1_11target_archE910ELNS1_3gpuE8ELNS1_3repE0EEENS1_30default_config_static_selectorELNS0_4arch9wavefront6targetE1EEEvT1_
; %bb.0:
	.section	.rodata,"a",@progbits
	.p2align	6, 0x0
	.amdhsa_kernel _ZN7rocprim17ROCPRIM_400000_NS6detail17trampoline_kernelINS0_14default_configENS1_20scan_config_selectorIlEEZZNS1_9scan_implILNS1_25lookback_scan_determinismE0ELb0ELb0ES3_PlS8_lN6thrust23THRUST_200600_302600_NS4plusIvEElEEDaPvRmT3_T4_T5_mT6_P12ihipStream_tbENKUlT_T0_E_clISt17integral_constantIbLb0EESQ_EEDaSL_SM_EUlSL_E_NS1_11comp_targetILNS1_3genE4ELNS1_11target_archE910ELNS1_3gpuE8ELNS1_3repE0EEENS1_30default_config_static_selectorELNS0_4arch9wavefront6targetE1EEEvT1_
		.amdhsa_group_segment_fixed_size 0
		.amdhsa_private_segment_fixed_size 0
		.amdhsa_kernarg_size 104
		.amdhsa_user_sgpr_count 2
		.amdhsa_user_sgpr_dispatch_ptr 0
		.amdhsa_user_sgpr_queue_ptr 0
		.amdhsa_user_sgpr_kernarg_segment_ptr 1
		.amdhsa_user_sgpr_dispatch_id 0
		.amdhsa_user_sgpr_kernarg_preload_length 0
		.amdhsa_user_sgpr_kernarg_preload_offset 0
		.amdhsa_user_sgpr_private_segment_size 0
		.amdhsa_uses_dynamic_stack 0
		.amdhsa_enable_private_segment 0
		.amdhsa_system_sgpr_workgroup_id_x 1
		.amdhsa_system_sgpr_workgroup_id_y 0
		.amdhsa_system_sgpr_workgroup_id_z 0
		.amdhsa_system_sgpr_workgroup_info 0
		.amdhsa_system_vgpr_workitem_id 0
		.amdhsa_next_free_vgpr 1
		.amdhsa_next_free_sgpr 0
		.amdhsa_accum_offset 4
		.amdhsa_reserve_vcc 0
		.amdhsa_float_round_mode_32 0
		.amdhsa_float_round_mode_16_64 0
		.amdhsa_float_denorm_mode_32 3
		.amdhsa_float_denorm_mode_16_64 3
		.amdhsa_dx10_clamp 1
		.amdhsa_ieee_mode 1
		.amdhsa_fp16_overflow 0
		.amdhsa_tg_split 0
		.amdhsa_exception_fp_ieee_invalid_op 0
		.amdhsa_exception_fp_denorm_src 0
		.amdhsa_exception_fp_ieee_div_zero 0
		.amdhsa_exception_fp_ieee_overflow 0
		.amdhsa_exception_fp_ieee_underflow 0
		.amdhsa_exception_fp_ieee_inexact 0
		.amdhsa_exception_int_div_zero 0
	.end_amdhsa_kernel
	.section	.text._ZN7rocprim17ROCPRIM_400000_NS6detail17trampoline_kernelINS0_14default_configENS1_20scan_config_selectorIlEEZZNS1_9scan_implILNS1_25lookback_scan_determinismE0ELb0ELb0ES3_PlS8_lN6thrust23THRUST_200600_302600_NS4plusIvEElEEDaPvRmT3_T4_T5_mT6_P12ihipStream_tbENKUlT_T0_E_clISt17integral_constantIbLb0EESQ_EEDaSL_SM_EUlSL_E_NS1_11comp_targetILNS1_3genE4ELNS1_11target_archE910ELNS1_3gpuE8ELNS1_3repE0EEENS1_30default_config_static_selectorELNS0_4arch9wavefront6targetE1EEEvT1_,"axG",@progbits,_ZN7rocprim17ROCPRIM_400000_NS6detail17trampoline_kernelINS0_14default_configENS1_20scan_config_selectorIlEEZZNS1_9scan_implILNS1_25lookback_scan_determinismE0ELb0ELb0ES3_PlS8_lN6thrust23THRUST_200600_302600_NS4plusIvEElEEDaPvRmT3_T4_T5_mT6_P12ihipStream_tbENKUlT_T0_E_clISt17integral_constantIbLb0EESQ_EEDaSL_SM_EUlSL_E_NS1_11comp_targetILNS1_3genE4ELNS1_11target_archE910ELNS1_3gpuE8ELNS1_3repE0EEENS1_30default_config_static_selectorELNS0_4arch9wavefront6targetE1EEEvT1_,comdat
.Lfunc_end87:
	.size	_ZN7rocprim17ROCPRIM_400000_NS6detail17trampoline_kernelINS0_14default_configENS1_20scan_config_selectorIlEEZZNS1_9scan_implILNS1_25lookback_scan_determinismE0ELb0ELb0ES3_PlS8_lN6thrust23THRUST_200600_302600_NS4plusIvEElEEDaPvRmT3_T4_T5_mT6_P12ihipStream_tbENKUlT_T0_E_clISt17integral_constantIbLb0EESQ_EEDaSL_SM_EUlSL_E_NS1_11comp_targetILNS1_3genE4ELNS1_11target_archE910ELNS1_3gpuE8ELNS1_3repE0EEENS1_30default_config_static_selectorELNS0_4arch9wavefront6targetE1EEEvT1_, .Lfunc_end87-_ZN7rocprim17ROCPRIM_400000_NS6detail17trampoline_kernelINS0_14default_configENS1_20scan_config_selectorIlEEZZNS1_9scan_implILNS1_25lookback_scan_determinismE0ELb0ELb0ES3_PlS8_lN6thrust23THRUST_200600_302600_NS4plusIvEElEEDaPvRmT3_T4_T5_mT6_P12ihipStream_tbENKUlT_T0_E_clISt17integral_constantIbLb0EESQ_EEDaSL_SM_EUlSL_E_NS1_11comp_targetILNS1_3genE4ELNS1_11target_archE910ELNS1_3gpuE8ELNS1_3repE0EEENS1_30default_config_static_selectorELNS0_4arch9wavefront6targetE1EEEvT1_
                                        ; -- End function
	.section	.AMDGPU.csdata,"",@progbits
; Kernel info:
; codeLenInByte = 0
; NumSgprs: 6
; NumVgprs: 0
; NumAgprs: 0
; TotalNumVgprs: 0
; ScratchSize: 0
; MemoryBound: 0
; FloatMode: 240
; IeeeMode: 1
; LDSByteSize: 0 bytes/workgroup (compile time only)
; SGPRBlocks: 0
; VGPRBlocks: 0
; NumSGPRsForWavesPerEU: 6
; NumVGPRsForWavesPerEU: 1
; AccumOffset: 4
; Occupancy: 8
; WaveLimiterHint : 0
; COMPUTE_PGM_RSRC2:SCRATCH_EN: 0
; COMPUTE_PGM_RSRC2:USER_SGPR: 2
; COMPUTE_PGM_RSRC2:TRAP_HANDLER: 0
; COMPUTE_PGM_RSRC2:TGID_X_EN: 1
; COMPUTE_PGM_RSRC2:TGID_Y_EN: 0
; COMPUTE_PGM_RSRC2:TGID_Z_EN: 0
; COMPUTE_PGM_RSRC2:TIDIG_COMP_CNT: 0
; COMPUTE_PGM_RSRC3_GFX90A:ACCUM_OFFSET: 0
; COMPUTE_PGM_RSRC3_GFX90A:TG_SPLIT: 0
	.section	.text._ZN7rocprim17ROCPRIM_400000_NS6detail17trampoline_kernelINS0_14default_configENS1_20scan_config_selectorIlEEZZNS1_9scan_implILNS1_25lookback_scan_determinismE0ELb0ELb0ES3_PlS8_lN6thrust23THRUST_200600_302600_NS4plusIvEElEEDaPvRmT3_T4_T5_mT6_P12ihipStream_tbENKUlT_T0_E_clISt17integral_constantIbLb0EESQ_EEDaSL_SM_EUlSL_E_NS1_11comp_targetILNS1_3genE3ELNS1_11target_archE908ELNS1_3gpuE7ELNS1_3repE0EEENS1_30default_config_static_selectorELNS0_4arch9wavefront6targetE1EEEvT1_,"axG",@progbits,_ZN7rocprim17ROCPRIM_400000_NS6detail17trampoline_kernelINS0_14default_configENS1_20scan_config_selectorIlEEZZNS1_9scan_implILNS1_25lookback_scan_determinismE0ELb0ELb0ES3_PlS8_lN6thrust23THRUST_200600_302600_NS4plusIvEElEEDaPvRmT3_T4_T5_mT6_P12ihipStream_tbENKUlT_T0_E_clISt17integral_constantIbLb0EESQ_EEDaSL_SM_EUlSL_E_NS1_11comp_targetILNS1_3genE3ELNS1_11target_archE908ELNS1_3gpuE7ELNS1_3repE0EEENS1_30default_config_static_selectorELNS0_4arch9wavefront6targetE1EEEvT1_,comdat
	.protected	_ZN7rocprim17ROCPRIM_400000_NS6detail17trampoline_kernelINS0_14default_configENS1_20scan_config_selectorIlEEZZNS1_9scan_implILNS1_25lookback_scan_determinismE0ELb0ELb0ES3_PlS8_lN6thrust23THRUST_200600_302600_NS4plusIvEElEEDaPvRmT3_T4_T5_mT6_P12ihipStream_tbENKUlT_T0_E_clISt17integral_constantIbLb0EESQ_EEDaSL_SM_EUlSL_E_NS1_11comp_targetILNS1_3genE3ELNS1_11target_archE908ELNS1_3gpuE7ELNS1_3repE0EEENS1_30default_config_static_selectorELNS0_4arch9wavefront6targetE1EEEvT1_ ; -- Begin function _ZN7rocprim17ROCPRIM_400000_NS6detail17trampoline_kernelINS0_14default_configENS1_20scan_config_selectorIlEEZZNS1_9scan_implILNS1_25lookback_scan_determinismE0ELb0ELb0ES3_PlS8_lN6thrust23THRUST_200600_302600_NS4plusIvEElEEDaPvRmT3_T4_T5_mT6_P12ihipStream_tbENKUlT_T0_E_clISt17integral_constantIbLb0EESQ_EEDaSL_SM_EUlSL_E_NS1_11comp_targetILNS1_3genE3ELNS1_11target_archE908ELNS1_3gpuE7ELNS1_3repE0EEENS1_30default_config_static_selectorELNS0_4arch9wavefront6targetE1EEEvT1_
	.globl	_ZN7rocprim17ROCPRIM_400000_NS6detail17trampoline_kernelINS0_14default_configENS1_20scan_config_selectorIlEEZZNS1_9scan_implILNS1_25lookback_scan_determinismE0ELb0ELb0ES3_PlS8_lN6thrust23THRUST_200600_302600_NS4plusIvEElEEDaPvRmT3_T4_T5_mT6_P12ihipStream_tbENKUlT_T0_E_clISt17integral_constantIbLb0EESQ_EEDaSL_SM_EUlSL_E_NS1_11comp_targetILNS1_3genE3ELNS1_11target_archE908ELNS1_3gpuE7ELNS1_3repE0EEENS1_30default_config_static_selectorELNS0_4arch9wavefront6targetE1EEEvT1_
	.p2align	8
	.type	_ZN7rocprim17ROCPRIM_400000_NS6detail17trampoline_kernelINS0_14default_configENS1_20scan_config_selectorIlEEZZNS1_9scan_implILNS1_25lookback_scan_determinismE0ELb0ELb0ES3_PlS8_lN6thrust23THRUST_200600_302600_NS4plusIvEElEEDaPvRmT3_T4_T5_mT6_P12ihipStream_tbENKUlT_T0_E_clISt17integral_constantIbLb0EESQ_EEDaSL_SM_EUlSL_E_NS1_11comp_targetILNS1_3genE3ELNS1_11target_archE908ELNS1_3gpuE7ELNS1_3repE0EEENS1_30default_config_static_selectorELNS0_4arch9wavefront6targetE1EEEvT1_,@function
_ZN7rocprim17ROCPRIM_400000_NS6detail17trampoline_kernelINS0_14default_configENS1_20scan_config_selectorIlEEZZNS1_9scan_implILNS1_25lookback_scan_determinismE0ELb0ELb0ES3_PlS8_lN6thrust23THRUST_200600_302600_NS4plusIvEElEEDaPvRmT3_T4_T5_mT6_P12ihipStream_tbENKUlT_T0_E_clISt17integral_constantIbLb0EESQ_EEDaSL_SM_EUlSL_E_NS1_11comp_targetILNS1_3genE3ELNS1_11target_archE908ELNS1_3gpuE7ELNS1_3repE0EEENS1_30default_config_static_selectorELNS0_4arch9wavefront6targetE1EEEvT1_: ; @_ZN7rocprim17ROCPRIM_400000_NS6detail17trampoline_kernelINS0_14default_configENS1_20scan_config_selectorIlEEZZNS1_9scan_implILNS1_25lookback_scan_determinismE0ELb0ELb0ES3_PlS8_lN6thrust23THRUST_200600_302600_NS4plusIvEElEEDaPvRmT3_T4_T5_mT6_P12ihipStream_tbENKUlT_T0_E_clISt17integral_constantIbLb0EESQ_EEDaSL_SM_EUlSL_E_NS1_11comp_targetILNS1_3genE3ELNS1_11target_archE908ELNS1_3gpuE7ELNS1_3repE0EEENS1_30default_config_static_selectorELNS0_4arch9wavefront6targetE1EEEvT1_
; %bb.0:
	.section	.rodata,"a",@progbits
	.p2align	6, 0x0
	.amdhsa_kernel _ZN7rocprim17ROCPRIM_400000_NS6detail17trampoline_kernelINS0_14default_configENS1_20scan_config_selectorIlEEZZNS1_9scan_implILNS1_25lookback_scan_determinismE0ELb0ELb0ES3_PlS8_lN6thrust23THRUST_200600_302600_NS4plusIvEElEEDaPvRmT3_T4_T5_mT6_P12ihipStream_tbENKUlT_T0_E_clISt17integral_constantIbLb0EESQ_EEDaSL_SM_EUlSL_E_NS1_11comp_targetILNS1_3genE3ELNS1_11target_archE908ELNS1_3gpuE7ELNS1_3repE0EEENS1_30default_config_static_selectorELNS0_4arch9wavefront6targetE1EEEvT1_
		.amdhsa_group_segment_fixed_size 0
		.amdhsa_private_segment_fixed_size 0
		.amdhsa_kernarg_size 104
		.amdhsa_user_sgpr_count 2
		.amdhsa_user_sgpr_dispatch_ptr 0
		.amdhsa_user_sgpr_queue_ptr 0
		.amdhsa_user_sgpr_kernarg_segment_ptr 1
		.amdhsa_user_sgpr_dispatch_id 0
		.amdhsa_user_sgpr_kernarg_preload_length 0
		.amdhsa_user_sgpr_kernarg_preload_offset 0
		.amdhsa_user_sgpr_private_segment_size 0
		.amdhsa_uses_dynamic_stack 0
		.amdhsa_enable_private_segment 0
		.amdhsa_system_sgpr_workgroup_id_x 1
		.amdhsa_system_sgpr_workgroup_id_y 0
		.amdhsa_system_sgpr_workgroup_id_z 0
		.amdhsa_system_sgpr_workgroup_info 0
		.amdhsa_system_vgpr_workitem_id 0
		.amdhsa_next_free_vgpr 1
		.amdhsa_next_free_sgpr 0
		.amdhsa_accum_offset 4
		.amdhsa_reserve_vcc 0
		.amdhsa_float_round_mode_32 0
		.amdhsa_float_round_mode_16_64 0
		.amdhsa_float_denorm_mode_32 3
		.amdhsa_float_denorm_mode_16_64 3
		.amdhsa_dx10_clamp 1
		.amdhsa_ieee_mode 1
		.amdhsa_fp16_overflow 0
		.amdhsa_tg_split 0
		.amdhsa_exception_fp_ieee_invalid_op 0
		.amdhsa_exception_fp_denorm_src 0
		.amdhsa_exception_fp_ieee_div_zero 0
		.amdhsa_exception_fp_ieee_overflow 0
		.amdhsa_exception_fp_ieee_underflow 0
		.amdhsa_exception_fp_ieee_inexact 0
		.amdhsa_exception_int_div_zero 0
	.end_amdhsa_kernel
	.section	.text._ZN7rocprim17ROCPRIM_400000_NS6detail17trampoline_kernelINS0_14default_configENS1_20scan_config_selectorIlEEZZNS1_9scan_implILNS1_25lookback_scan_determinismE0ELb0ELb0ES3_PlS8_lN6thrust23THRUST_200600_302600_NS4plusIvEElEEDaPvRmT3_T4_T5_mT6_P12ihipStream_tbENKUlT_T0_E_clISt17integral_constantIbLb0EESQ_EEDaSL_SM_EUlSL_E_NS1_11comp_targetILNS1_3genE3ELNS1_11target_archE908ELNS1_3gpuE7ELNS1_3repE0EEENS1_30default_config_static_selectorELNS0_4arch9wavefront6targetE1EEEvT1_,"axG",@progbits,_ZN7rocprim17ROCPRIM_400000_NS6detail17trampoline_kernelINS0_14default_configENS1_20scan_config_selectorIlEEZZNS1_9scan_implILNS1_25lookback_scan_determinismE0ELb0ELb0ES3_PlS8_lN6thrust23THRUST_200600_302600_NS4plusIvEElEEDaPvRmT3_T4_T5_mT6_P12ihipStream_tbENKUlT_T0_E_clISt17integral_constantIbLb0EESQ_EEDaSL_SM_EUlSL_E_NS1_11comp_targetILNS1_3genE3ELNS1_11target_archE908ELNS1_3gpuE7ELNS1_3repE0EEENS1_30default_config_static_selectorELNS0_4arch9wavefront6targetE1EEEvT1_,comdat
.Lfunc_end88:
	.size	_ZN7rocprim17ROCPRIM_400000_NS6detail17trampoline_kernelINS0_14default_configENS1_20scan_config_selectorIlEEZZNS1_9scan_implILNS1_25lookback_scan_determinismE0ELb0ELb0ES3_PlS8_lN6thrust23THRUST_200600_302600_NS4plusIvEElEEDaPvRmT3_T4_T5_mT6_P12ihipStream_tbENKUlT_T0_E_clISt17integral_constantIbLb0EESQ_EEDaSL_SM_EUlSL_E_NS1_11comp_targetILNS1_3genE3ELNS1_11target_archE908ELNS1_3gpuE7ELNS1_3repE0EEENS1_30default_config_static_selectorELNS0_4arch9wavefront6targetE1EEEvT1_, .Lfunc_end88-_ZN7rocprim17ROCPRIM_400000_NS6detail17trampoline_kernelINS0_14default_configENS1_20scan_config_selectorIlEEZZNS1_9scan_implILNS1_25lookback_scan_determinismE0ELb0ELb0ES3_PlS8_lN6thrust23THRUST_200600_302600_NS4plusIvEElEEDaPvRmT3_T4_T5_mT6_P12ihipStream_tbENKUlT_T0_E_clISt17integral_constantIbLb0EESQ_EEDaSL_SM_EUlSL_E_NS1_11comp_targetILNS1_3genE3ELNS1_11target_archE908ELNS1_3gpuE7ELNS1_3repE0EEENS1_30default_config_static_selectorELNS0_4arch9wavefront6targetE1EEEvT1_
                                        ; -- End function
	.section	.AMDGPU.csdata,"",@progbits
; Kernel info:
; codeLenInByte = 0
; NumSgprs: 6
; NumVgprs: 0
; NumAgprs: 0
; TotalNumVgprs: 0
; ScratchSize: 0
; MemoryBound: 0
; FloatMode: 240
; IeeeMode: 1
; LDSByteSize: 0 bytes/workgroup (compile time only)
; SGPRBlocks: 0
; VGPRBlocks: 0
; NumSGPRsForWavesPerEU: 6
; NumVGPRsForWavesPerEU: 1
; AccumOffset: 4
; Occupancy: 8
; WaveLimiterHint : 0
; COMPUTE_PGM_RSRC2:SCRATCH_EN: 0
; COMPUTE_PGM_RSRC2:USER_SGPR: 2
; COMPUTE_PGM_RSRC2:TRAP_HANDLER: 0
; COMPUTE_PGM_RSRC2:TGID_X_EN: 1
; COMPUTE_PGM_RSRC2:TGID_Y_EN: 0
; COMPUTE_PGM_RSRC2:TGID_Z_EN: 0
; COMPUTE_PGM_RSRC2:TIDIG_COMP_CNT: 0
; COMPUTE_PGM_RSRC3_GFX90A:ACCUM_OFFSET: 0
; COMPUTE_PGM_RSRC3_GFX90A:TG_SPLIT: 0
	.section	.text._ZN7rocprim17ROCPRIM_400000_NS6detail17trampoline_kernelINS0_14default_configENS1_20scan_config_selectorIlEEZZNS1_9scan_implILNS1_25lookback_scan_determinismE0ELb0ELb0ES3_PlS8_lN6thrust23THRUST_200600_302600_NS4plusIvEElEEDaPvRmT3_T4_T5_mT6_P12ihipStream_tbENKUlT_T0_E_clISt17integral_constantIbLb0EESQ_EEDaSL_SM_EUlSL_E_NS1_11comp_targetILNS1_3genE2ELNS1_11target_archE906ELNS1_3gpuE6ELNS1_3repE0EEENS1_30default_config_static_selectorELNS0_4arch9wavefront6targetE1EEEvT1_,"axG",@progbits,_ZN7rocprim17ROCPRIM_400000_NS6detail17trampoline_kernelINS0_14default_configENS1_20scan_config_selectorIlEEZZNS1_9scan_implILNS1_25lookback_scan_determinismE0ELb0ELb0ES3_PlS8_lN6thrust23THRUST_200600_302600_NS4plusIvEElEEDaPvRmT3_T4_T5_mT6_P12ihipStream_tbENKUlT_T0_E_clISt17integral_constantIbLb0EESQ_EEDaSL_SM_EUlSL_E_NS1_11comp_targetILNS1_3genE2ELNS1_11target_archE906ELNS1_3gpuE6ELNS1_3repE0EEENS1_30default_config_static_selectorELNS0_4arch9wavefront6targetE1EEEvT1_,comdat
	.protected	_ZN7rocprim17ROCPRIM_400000_NS6detail17trampoline_kernelINS0_14default_configENS1_20scan_config_selectorIlEEZZNS1_9scan_implILNS1_25lookback_scan_determinismE0ELb0ELb0ES3_PlS8_lN6thrust23THRUST_200600_302600_NS4plusIvEElEEDaPvRmT3_T4_T5_mT6_P12ihipStream_tbENKUlT_T0_E_clISt17integral_constantIbLb0EESQ_EEDaSL_SM_EUlSL_E_NS1_11comp_targetILNS1_3genE2ELNS1_11target_archE906ELNS1_3gpuE6ELNS1_3repE0EEENS1_30default_config_static_selectorELNS0_4arch9wavefront6targetE1EEEvT1_ ; -- Begin function _ZN7rocprim17ROCPRIM_400000_NS6detail17trampoline_kernelINS0_14default_configENS1_20scan_config_selectorIlEEZZNS1_9scan_implILNS1_25lookback_scan_determinismE0ELb0ELb0ES3_PlS8_lN6thrust23THRUST_200600_302600_NS4plusIvEElEEDaPvRmT3_T4_T5_mT6_P12ihipStream_tbENKUlT_T0_E_clISt17integral_constantIbLb0EESQ_EEDaSL_SM_EUlSL_E_NS1_11comp_targetILNS1_3genE2ELNS1_11target_archE906ELNS1_3gpuE6ELNS1_3repE0EEENS1_30default_config_static_selectorELNS0_4arch9wavefront6targetE1EEEvT1_
	.globl	_ZN7rocprim17ROCPRIM_400000_NS6detail17trampoline_kernelINS0_14default_configENS1_20scan_config_selectorIlEEZZNS1_9scan_implILNS1_25lookback_scan_determinismE0ELb0ELb0ES3_PlS8_lN6thrust23THRUST_200600_302600_NS4plusIvEElEEDaPvRmT3_T4_T5_mT6_P12ihipStream_tbENKUlT_T0_E_clISt17integral_constantIbLb0EESQ_EEDaSL_SM_EUlSL_E_NS1_11comp_targetILNS1_3genE2ELNS1_11target_archE906ELNS1_3gpuE6ELNS1_3repE0EEENS1_30default_config_static_selectorELNS0_4arch9wavefront6targetE1EEEvT1_
	.p2align	8
	.type	_ZN7rocprim17ROCPRIM_400000_NS6detail17trampoline_kernelINS0_14default_configENS1_20scan_config_selectorIlEEZZNS1_9scan_implILNS1_25lookback_scan_determinismE0ELb0ELb0ES3_PlS8_lN6thrust23THRUST_200600_302600_NS4plusIvEElEEDaPvRmT3_T4_T5_mT6_P12ihipStream_tbENKUlT_T0_E_clISt17integral_constantIbLb0EESQ_EEDaSL_SM_EUlSL_E_NS1_11comp_targetILNS1_3genE2ELNS1_11target_archE906ELNS1_3gpuE6ELNS1_3repE0EEENS1_30default_config_static_selectorELNS0_4arch9wavefront6targetE1EEEvT1_,@function
_ZN7rocprim17ROCPRIM_400000_NS6detail17trampoline_kernelINS0_14default_configENS1_20scan_config_selectorIlEEZZNS1_9scan_implILNS1_25lookback_scan_determinismE0ELb0ELb0ES3_PlS8_lN6thrust23THRUST_200600_302600_NS4plusIvEElEEDaPvRmT3_T4_T5_mT6_P12ihipStream_tbENKUlT_T0_E_clISt17integral_constantIbLb0EESQ_EEDaSL_SM_EUlSL_E_NS1_11comp_targetILNS1_3genE2ELNS1_11target_archE906ELNS1_3gpuE6ELNS1_3repE0EEENS1_30default_config_static_selectorELNS0_4arch9wavefront6targetE1EEEvT1_: ; @_ZN7rocprim17ROCPRIM_400000_NS6detail17trampoline_kernelINS0_14default_configENS1_20scan_config_selectorIlEEZZNS1_9scan_implILNS1_25lookback_scan_determinismE0ELb0ELb0ES3_PlS8_lN6thrust23THRUST_200600_302600_NS4plusIvEElEEDaPvRmT3_T4_T5_mT6_P12ihipStream_tbENKUlT_T0_E_clISt17integral_constantIbLb0EESQ_EEDaSL_SM_EUlSL_E_NS1_11comp_targetILNS1_3genE2ELNS1_11target_archE906ELNS1_3gpuE6ELNS1_3repE0EEENS1_30default_config_static_selectorELNS0_4arch9wavefront6targetE1EEEvT1_
; %bb.0:
	.section	.rodata,"a",@progbits
	.p2align	6, 0x0
	.amdhsa_kernel _ZN7rocprim17ROCPRIM_400000_NS6detail17trampoline_kernelINS0_14default_configENS1_20scan_config_selectorIlEEZZNS1_9scan_implILNS1_25lookback_scan_determinismE0ELb0ELb0ES3_PlS8_lN6thrust23THRUST_200600_302600_NS4plusIvEElEEDaPvRmT3_T4_T5_mT6_P12ihipStream_tbENKUlT_T0_E_clISt17integral_constantIbLb0EESQ_EEDaSL_SM_EUlSL_E_NS1_11comp_targetILNS1_3genE2ELNS1_11target_archE906ELNS1_3gpuE6ELNS1_3repE0EEENS1_30default_config_static_selectorELNS0_4arch9wavefront6targetE1EEEvT1_
		.amdhsa_group_segment_fixed_size 0
		.amdhsa_private_segment_fixed_size 0
		.amdhsa_kernarg_size 104
		.amdhsa_user_sgpr_count 2
		.amdhsa_user_sgpr_dispatch_ptr 0
		.amdhsa_user_sgpr_queue_ptr 0
		.amdhsa_user_sgpr_kernarg_segment_ptr 1
		.amdhsa_user_sgpr_dispatch_id 0
		.amdhsa_user_sgpr_kernarg_preload_length 0
		.amdhsa_user_sgpr_kernarg_preload_offset 0
		.amdhsa_user_sgpr_private_segment_size 0
		.amdhsa_uses_dynamic_stack 0
		.amdhsa_enable_private_segment 0
		.amdhsa_system_sgpr_workgroup_id_x 1
		.amdhsa_system_sgpr_workgroup_id_y 0
		.amdhsa_system_sgpr_workgroup_id_z 0
		.amdhsa_system_sgpr_workgroup_info 0
		.amdhsa_system_vgpr_workitem_id 0
		.amdhsa_next_free_vgpr 1
		.amdhsa_next_free_sgpr 0
		.amdhsa_accum_offset 4
		.amdhsa_reserve_vcc 0
		.amdhsa_float_round_mode_32 0
		.amdhsa_float_round_mode_16_64 0
		.amdhsa_float_denorm_mode_32 3
		.amdhsa_float_denorm_mode_16_64 3
		.amdhsa_dx10_clamp 1
		.amdhsa_ieee_mode 1
		.amdhsa_fp16_overflow 0
		.amdhsa_tg_split 0
		.amdhsa_exception_fp_ieee_invalid_op 0
		.amdhsa_exception_fp_denorm_src 0
		.amdhsa_exception_fp_ieee_div_zero 0
		.amdhsa_exception_fp_ieee_overflow 0
		.amdhsa_exception_fp_ieee_underflow 0
		.amdhsa_exception_fp_ieee_inexact 0
		.amdhsa_exception_int_div_zero 0
	.end_amdhsa_kernel
	.section	.text._ZN7rocprim17ROCPRIM_400000_NS6detail17trampoline_kernelINS0_14default_configENS1_20scan_config_selectorIlEEZZNS1_9scan_implILNS1_25lookback_scan_determinismE0ELb0ELb0ES3_PlS8_lN6thrust23THRUST_200600_302600_NS4plusIvEElEEDaPvRmT3_T4_T5_mT6_P12ihipStream_tbENKUlT_T0_E_clISt17integral_constantIbLb0EESQ_EEDaSL_SM_EUlSL_E_NS1_11comp_targetILNS1_3genE2ELNS1_11target_archE906ELNS1_3gpuE6ELNS1_3repE0EEENS1_30default_config_static_selectorELNS0_4arch9wavefront6targetE1EEEvT1_,"axG",@progbits,_ZN7rocprim17ROCPRIM_400000_NS6detail17trampoline_kernelINS0_14default_configENS1_20scan_config_selectorIlEEZZNS1_9scan_implILNS1_25lookback_scan_determinismE0ELb0ELb0ES3_PlS8_lN6thrust23THRUST_200600_302600_NS4plusIvEElEEDaPvRmT3_T4_T5_mT6_P12ihipStream_tbENKUlT_T0_E_clISt17integral_constantIbLb0EESQ_EEDaSL_SM_EUlSL_E_NS1_11comp_targetILNS1_3genE2ELNS1_11target_archE906ELNS1_3gpuE6ELNS1_3repE0EEENS1_30default_config_static_selectorELNS0_4arch9wavefront6targetE1EEEvT1_,comdat
.Lfunc_end89:
	.size	_ZN7rocprim17ROCPRIM_400000_NS6detail17trampoline_kernelINS0_14default_configENS1_20scan_config_selectorIlEEZZNS1_9scan_implILNS1_25lookback_scan_determinismE0ELb0ELb0ES3_PlS8_lN6thrust23THRUST_200600_302600_NS4plusIvEElEEDaPvRmT3_T4_T5_mT6_P12ihipStream_tbENKUlT_T0_E_clISt17integral_constantIbLb0EESQ_EEDaSL_SM_EUlSL_E_NS1_11comp_targetILNS1_3genE2ELNS1_11target_archE906ELNS1_3gpuE6ELNS1_3repE0EEENS1_30default_config_static_selectorELNS0_4arch9wavefront6targetE1EEEvT1_, .Lfunc_end89-_ZN7rocprim17ROCPRIM_400000_NS6detail17trampoline_kernelINS0_14default_configENS1_20scan_config_selectorIlEEZZNS1_9scan_implILNS1_25lookback_scan_determinismE0ELb0ELb0ES3_PlS8_lN6thrust23THRUST_200600_302600_NS4plusIvEElEEDaPvRmT3_T4_T5_mT6_P12ihipStream_tbENKUlT_T0_E_clISt17integral_constantIbLb0EESQ_EEDaSL_SM_EUlSL_E_NS1_11comp_targetILNS1_3genE2ELNS1_11target_archE906ELNS1_3gpuE6ELNS1_3repE0EEENS1_30default_config_static_selectorELNS0_4arch9wavefront6targetE1EEEvT1_
                                        ; -- End function
	.section	.AMDGPU.csdata,"",@progbits
; Kernel info:
; codeLenInByte = 0
; NumSgprs: 6
; NumVgprs: 0
; NumAgprs: 0
; TotalNumVgprs: 0
; ScratchSize: 0
; MemoryBound: 0
; FloatMode: 240
; IeeeMode: 1
; LDSByteSize: 0 bytes/workgroup (compile time only)
; SGPRBlocks: 0
; VGPRBlocks: 0
; NumSGPRsForWavesPerEU: 6
; NumVGPRsForWavesPerEU: 1
; AccumOffset: 4
; Occupancy: 8
; WaveLimiterHint : 0
; COMPUTE_PGM_RSRC2:SCRATCH_EN: 0
; COMPUTE_PGM_RSRC2:USER_SGPR: 2
; COMPUTE_PGM_RSRC2:TRAP_HANDLER: 0
; COMPUTE_PGM_RSRC2:TGID_X_EN: 1
; COMPUTE_PGM_RSRC2:TGID_Y_EN: 0
; COMPUTE_PGM_RSRC2:TGID_Z_EN: 0
; COMPUTE_PGM_RSRC2:TIDIG_COMP_CNT: 0
; COMPUTE_PGM_RSRC3_GFX90A:ACCUM_OFFSET: 0
; COMPUTE_PGM_RSRC3_GFX90A:TG_SPLIT: 0
	.section	.text._ZN7rocprim17ROCPRIM_400000_NS6detail17trampoline_kernelINS0_14default_configENS1_20scan_config_selectorIlEEZZNS1_9scan_implILNS1_25lookback_scan_determinismE0ELb0ELb0ES3_PlS8_lN6thrust23THRUST_200600_302600_NS4plusIvEElEEDaPvRmT3_T4_T5_mT6_P12ihipStream_tbENKUlT_T0_E_clISt17integral_constantIbLb0EESQ_EEDaSL_SM_EUlSL_E_NS1_11comp_targetILNS1_3genE10ELNS1_11target_archE1201ELNS1_3gpuE5ELNS1_3repE0EEENS1_30default_config_static_selectorELNS0_4arch9wavefront6targetE1EEEvT1_,"axG",@progbits,_ZN7rocprim17ROCPRIM_400000_NS6detail17trampoline_kernelINS0_14default_configENS1_20scan_config_selectorIlEEZZNS1_9scan_implILNS1_25lookback_scan_determinismE0ELb0ELb0ES3_PlS8_lN6thrust23THRUST_200600_302600_NS4plusIvEElEEDaPvRmT3_T4_T5_mT6_P12ihipStream_tbENKUlT_T0_E_clISt17integral_constantIbLb0EESQ_EEDaSL_SM_EUlSL_E_NS1_11comp_targetILNS1_3genE10ELNS1_11target_archE1201ELNS1_3gpuE5ELNS1_3repE0EEENS1_30default_config_static_selectorELNS0_4arch9wavefront6targetE1EEEvT1_,comdat
	.protected	_ZN7rocprim17ROCPRIM_400000_NS6detail17trampoline_kernelINS0_14default_configENS1_20scan_config_selectorIlEEZZNS1_9scan_implILNS1_25lookback_scan_determinismE0ELb0ELb0ES3_PlS8_lN6thrust23THRUST_200600_302600_NS4plusIvEElEEDaPvRmT3_T4_T5_mT6_P12ihipStream_tbENKUlT_T0_E_clISt17integral_constantIbLb0EESQ_EEDaSL_SM_EUlSL_E_NS1_11comp_targetILNS1_3genE10ELNS1_11target_archE1201ELNS1_3gpuE5ELNS1_3repE0EEENS1_30default_config_static_selectorELNS0_4arch9wavefront6targetE1EEEvT1_ ; -- Begin function _ZN7rocprim17ROCPRIM_400000_NS6detail17trampoline_kernelINS0_14default_configENS1_20scan_config_selectorIlEEZZNS1_9scan_implILNS1_25lookback_scan_determinismE0ELb0ELb0ES3_PlS8_lN6thrust23THRUST_200600_302600_NS4plusIvEElEEDaPvRmT3_T4_T5_mT6_P12ihipStream_tbENKUlT_T0_E_clISt17integral_constantIbLb0EESQ_EEDaSL_SM_EUlSL_E_NS1_11comp_targetILNS1_3genE10ELNS1_11target_archE1201ELNS1_3gpuE5ELNS1_3repE0EEENS1_30default_config_static_selectorELNS0_4arch9wavefront6targetE1EEEvT1_
	.globl	_ZN7rocprim17ROCPRIM_400000_NS6detail17trampoline_kernelINS0_14default_configENS1_20scan_config_selectorIlEEZZNS1_9scan_implILNS1_25lookback_scan_determinismE0ELb0ELb0ES3_PlS8_lN6thrust23THRUST_200600_302600_NS4plusIvEElEEDaPvRmT3_T4_T5_mT6_P12ihipStream_tbENKUlT_T0_E_clISt17integral_constantIbLb0EESQ_EEDaSL_SM_EUlSL_E_NS1_11comp_targetILNS1_3genE10ELNS1_11target_archE1201ELNS1_3gpuE5ELNS1_3repE0EEENS1_30default_config_static_selectorELNS0_4arch9wavefront6targetE1EEEvT1_
	.p2align	8
	.type	_ZN7rocprim17ROCPRIM_400000_NS6detail17trampoline_kernelINS0_14default_configENS1_20scan_config_selectorIlEEZZNS1_9scan_implILNS1_25lookback_scan_determinismE0ELb0ELb0ES3_PlS8_lN6thrust23THRUST_200600_302600_NS4plusIvEElEEDaPvRmT3_T4_T5_mT6_P12ihipStream_tbENKUlT_T0_E_clISt17integral_constantIbLb0EESQ_EEDaSL_SM_EUlSL_E_NS1_11comp_targetILNS1_3genE10ELNS1_11target_archE1201ELNS1_3gpuE5ELNS1_3repE0EEENS1_30default_config_static_selectorELNS0_4arch9wavefront6targetE1EEEvT1_,@function
_ZN7rocprim17ROCPRIM_400000_NS6detail17trampoline_kernelINS0_14default_configENS1_20scan_config_selectorIlEEZZNS1_9scan_implILNS1_25lookback_scan_determinismE0ELb0ELb0ES3_PlS8_lN6thrust23THRUST_200600_302600_NS4plusIvEElEEDaPvRmT3_T4_T5_mT6_P12ihipStream_tbENKUlT_T0_E_clISt17integral_constantIbLb0EESQ_EEDaSL_SM_EUlSL_E_NS1_11comp_targetILNS1_3genE10ELNS1_11target_archE1201ELNS1_3gpuE5ELNS1_3repE0EEENS1_30default_config_static_selectorELNS0_4arch9wavefront6targetE1EEEvT1_: ; @_ZN7rocprim17ROCPRIM_400000_NS6detail17trampoline_kernelINS0_14default_configENS1_20scan_config_selectorIlEEZZNS1_9scan_implILNS1_25lookback_scan_determinismE0ELb0ELb0ES3_PlS8_lN6thrust23THRUST_200600_302600_NS4plusIvEElEEDaPvRmT3_T4_T5_mT6_P12ihipStream_tbENKUlT_T0_E_clISt17integral_constantIbLb0EESQ_EEDaSL_SM_EUlSL_E_NS1_11comp_targetILNS1_3genE10ELNS1_11target_archE1201ELNS1_3gpuE5ELNS1_3repE0EEENS1_30default_config_static_selectorELNS0_4arch9wavefront6targetE1EEEvT1_
; %bb.0:
	.section	.rodata,"a",@progbits
	.p2align	6, 0x0
	.amdhsa_kernel _ZN7rocprim17ROCPRIM_400000_NS6detail17trampoline_kernelINS0_14default_configENS1_20scan_config_selectorIlEEZZNS1_9scan_implILNS1_25lookback_scan_determinismE0ELb0ELb0ES3_PlS8_lN6thrust23THRUST_200600_302600_NS4plusIvEElEEDaPvRmT3_T4_T5_mT6_P12ihipStream_tbENKUlT_T0_E_clISt17integral_constantIbLb0EESQ_EEDaSL_SM_EUlSL_E_NS1_11comp_targetILNS1_3genE10ELNS1_11target_archE1201ELNS1_3gpuE5ELNS1_3repE0EEENS1_30default_config_static_selectorELNS0_4arch9wavefront6targetE1EEEvT1_
		.amdhsa_group_segment_fixed_size 0
		.amdhsa_private_segment_fixed_size 0
		.amdhsa_kernarg_size 104
		.amdhsa_user_sgpr_count 2
		.amdhsa_user_sgpr_dispatch_ptr 0
		.amdhsa_user_sgpr_queue_ptr 0
		.amdhsa_user_sgpr_kernarg_segment_ptr 1
		.amdhsa_user_sgpr_dispatch_id 0
		.amdhsa_user_sgpr_kernarg_preload_length 0
		.amdhsa_user_sgpr_kernarg_preload_offset 0
		.amdhsa_user_sgpr_private_segment_size 0
		.amdhsa_uses_dynamic_stack 0
		.amdhsa_enable_private_segment 0
		.amdhsa_system_sgpr_workgroup_id_x 1
		.amdhsa_system_sgpr_workgroup_id_y 0
		.amdhsa_system_sgpr_workgroup_id_z 0
		.amdhsa_system_sgpr_workgroup_info 0
		.amdhsa_system_vgpr_workitem_id 0
		.amdhsa_next_free_vgpr 1
		.amdhsa_next_free_sgpr 0
		.amdhsa_accum_offset 4
		.amdhsa_reserve_vcc 0
		.amdhsa_float_round_mode_32 0
		.amdhsa_float_round_mode_16_64 0
		.amdhsa_float_denorm_mode_32 3
		.amdhsa_float_denorm_mode_16_64 3
		.amdhsa_dx10_clamp 1
		.amdhsa_ieee_mode 1
		.amdhsa_fp16_overflow 0
		.amdhsa_tg_split 0
		.amdhsa_exception_fp_ieee_invalid_op 0
		.amdhsa_exception_fp_denorm_src 0
		.amdhsa_exception_fp_ieee_div_zero 0
		.amdhsa_exception_fp_ieee_overflow 0
		.amdhsa_exception_fp_ieee_underflow 0
		.amdhsa_exception_fp_ieee_inexact 0
		.amdhsa_exception_int_div_zero 0
	.end_amdhsa_kernel
	.section	.text._ZN7rocprim17ROCPRIM_400000_NS6detail17trampoline_kernelINS0_14default_configENS1_20scan_config_selectorIlEEZZNS1_9scan_implILNS1_25lookback_scan_determinismE0ELb0ELb0ES3_PlS8_lN6thrust23THRUST_200600_302600_NS4plusIvEElEEDaPvRmT3_T4_T5_mT6_P12ihipStream_tbENKUlT_T0_E_clISt17integral_constantIbLb0EESQ_EEDaSL_SM_EUlSL_E_NS1_11comp_targetILNS1_3genE10ELNS1_11target_archE1201ELNS1_3gpuE5ELNS1_3repE0EEENS1_30default_config_static_selectorELNS0_4arch9wavefront6targetE1EEEvT1_,"axG",@progbits,_ZN7rocprim17ROCPRIM_400000_NS6detail17trampoline_kernelINS0_14default_configENS1_20scan_config_selectorIlEEZZNS1_9scan_implILNS1_25lookback_scan_determinismE0ELb0ELb0ES3_PlS8_lN6thrust23THRUST_200600_302600_NS4plusIvEElEEDaPvRmT3_T4_T5_mT6_P12ihipStream_tbENKUlT_T0_E_clISt17integral_constantIbLb0EESQ_EEDaSL_SM_EUlSL_E_NS1_11comp_targetILNS1_3genE10ELNS1_11target_archE1201ELNS1_3gpuE5ELNS1_3repE0EEENS1_30default_config_static_selectorELNS0_4arch9wavefront6targetE1EEEvT1_,comdat
.Lfunc_end90:
	.size	_ZN7rocprim17ROCPRIM_400000_NS6detail17trampoline_kernelINS0_14default_configENS1_20scan_config_selectorIlEEZZNS1_9scan_implILNS1_25lookback_scan_determinismE0ELb0ELb0ES3_PlS8_lN6thrust23THRUST_200600_302600_NS4plusIvEElEEDaPvRmT3_T4_T5_mT6_P12ihipStream_tbENKUlT_T0_E_clISt17integral_constantIbLb0EESQ_EEDaSL_SM_EUlSL_E_NS1_11comp_targetILNS1_3genE10ELNS1_11target_archE1201ELNS1_3gpuE5ELNS1_3repE0EEENS1_30default_config_static_selectorELNS0_4arch9wavefront6targetE1EEEvT1_, .Lfunc_end90-_ZN7rocprim17ROCPRIM_400000_NS6detail17trampoline_kernelINS0_14default_configENS1_20scan_config_selectorIlEEZZNS1_9scan_implILNS1_25lookback_scan_determinismE0ELb0ELb0ES3_PlS8_lN6thrust23THRUST_200600_302600_NS4plusIvEElEEDaPvRmT3_T4_T5_mT6_P12ihipStream_tbENKUlT_T0_E_clISt17integral_constantIbLb0EESQ_EEDaSL_SM_EUlSL_E_NS1_11comp_targetILNS1_3genE10ELNS1_11target_archE1201ELNS1_3gpuE5ELNS1_3repE0EEENS1_30default_config_static_selectorELNS0_4arch9wavefront6targetE1EEEvT1_
                                        ; -- End function
	.section	.AMDGPU.csdata,"",@progbits
; Kernel info:
; codeLenInByte = 0
; NumSgprs: 6
; NumVgprs: 0
; NumAgprs: 0
; TotalNumVgprs: 0
; ScratchSize: 0
; MemoryBound: 0
; FloatMode: 240
; IeeeMode: 1
; LDSByteSize: 0 bytes/workgroup (compile time only)
; SGPRBlocks: 0
; VGPRBlocks: 0
; NumSGPRsForWavesPerEU: 6
; NumVGPRsForWavesPerEU: 1
; AccumOffset: 4
; Occupancy: 8
; WaveLimiterHint : 0
; COMPUTE_PGM_RSRC2:SCRATCH_EN: 0
; COMPUTE_PGM_RSRC2:USER_SGPR: 2
; COMPUTE_PGM_RSRC2:TRAP_HANDLER: 0
; COMPUTE_PGM_RSRC2:TGID_X_EN: 1
; COMPUTE_PGM_RSRC2:TGID_Y_EN: 0
; COMPUTE_PGM_RSRC2:TGID_Z_EN: 0
; COMPUTE_PGM_RSRC2:TIDIG_COMP_CNT: 0
; COMPUTE_PGM_RSRC3_GFX90A:ACCUM_OFFSET: 0
; COMPUTE_PGM_RSRC3_GFX90A:TG_SPLIT: 0
	.section	.text._ZN7rocprim17ROCPRIM_400000_NS6detail17trampoline_kernelINS0_14default_configENS1_20scan_config_selectorIlEEZZNS1_9scan_implILNS1_25lookback_scan_determinismE0ELb0ELb0ES3_PlS8_lN6thrust23THRUST_200600_302600_NS4plusIvEElEEDaPvRmT3_T4_T5_mT6_P12ihipStream_tbENKUlT_T0_E_clISt17integral_constantIbLb0EESQ_EEDaSL_SM_EUlSL_E_NS1_11comp_targetILNS1_3genE10ELNS1_11target_archE1200ELNS1_3gpuE4ELNS1_3repE0EEENS1_30default_config_static_selectorELNS0_4arch9wavefront6targetE1EEEvT1_,"axG",@progbits,_ZN7rocprim17ROCPRIM_400000_NS6detail17trampoline_kernelINS0_14default_configENS1_20scan_config_selectorIlEEZZNS1_9scan_implILNS1_25lookback_scan_determinismE0ELb0ELb0ES3_PlS8_lN6thrust23THRUST_200600_302600_NS4plusIvEElEEDaPvRmT3_T4_T5_mT6_P12ihipStream_tbENKUlT_T0_E_clISt17integral_constantIbLb0EESQ_EEDaSL_SM_EUlSL_E_NS1_11comp_targetILNS1_3genE10ELNS1_11target_archE1200ELNS1_3gpuE4ELNS1_3repE0EEENS1_30default_config_static_selectorELNS0_4arch9wavefront6targetE1EEEvT1_,comdat
	.protected	_ZN7rocprim17ROCPRIM_400000_NS6detail17trampoline_kernelINS0_14default_configENS1_20scan_config_selectorIlEEZZNS1_9scan_implILNS1_25lookback_scan_determinismE0ELb0ELb0ES3_PlS8_lN6thrust23THRUST_200600_302600_NS4plusIvEElEEDaPvRmT3_T4_T5_mT6_P12ihipStream_tbENKUlT_T0_E_clISt17integral_constantIbLb0EESQ_EEDaSL_SM_EUlSL_E_NS1_11comp_targetILNS1_3genE10ELNS1_11target_archE1200ELNS1_3gpuE4ELNS1_3repE0EEENS1_30default_config_static_selectorELNS0_4arch9wavefront6targetE1EEEvT1_ ; -- Begin function _ZN7rocprim17ROCPRIM_400000_NS6detail17trampoline_kernelINS0_14default_configENS1_20scan_config_selectorIlEEZZNS1_9scan_implILNS1_25lookback_scan_determinismE0ELb0ELb0ES3_PlS8_lN6thrust23THRUST_200600_302600_NS4plusIvEElEEDaPvRmT3_T4_T5_mT6_P12ihipStream_tbENKUlT_T0_E_clISt17integral_constantIbLb0EESQ_EEDaSL_SM_EUlSL_E_NS1_11comp_targetILNS1_3genE10ELNS1_11target_archE1200ELNS1_3gpuE4ELNS1_3repE0EEENS1_30default_config_static_selectorELNS0_4arch9wavefront6targetE1EEEvT1_
	.globl	_ZN7rocprim17ROCPRIM_400000_NS6detail17trampoline_kernelINS0_14default_configENS1_20scan_config_selectorIlEEZZNS1_9scan_implILNS1_25lookback_scan_determinismE0ELb0ELb0ES3_PlS8_lN6thrust23THRUST_200600_302600_NS4plusIvEElEEDaPvRmT3_T4_T5_mT6_P12ihipStream_tbENKUlT_T0_E_clISt17integral_constantIbLb0EESQ_EEDaSL_SM_EUlSL_E_NS1_11comp_targetILNS1_3genE10ELNS1_11target_archE1200ELNS1_3gpuE4ELNS1_3repE0EEENS1_30default_config_static_selectorELNS0_4arch9wavefront6targetE1EEEvT1_
	.p2align	8
	.type	_ZN7rocprim17ROCPRIM_400000_NS6detail17trampoline_kernelINS0_14default_configENS1_20scan_config_selectorIlEEZZNS1_9scan_implILNS1_25lookback_scan_determinismE0ELb0ELb0ES3_PlS8_lN6thrust23THRUST_200600_302600_NS4plusIvEElEEDaPvRmT3_T4_T5_mT6_P12ihipStream_tbENKUlT_T0_E_clISt17integral_constantIbLb0EESQ_EEDaSL_SM_EUlSL_E_NS1_11comp_targetILNS1_3genE10ELNS1_11target_archE1200ELNS1_3gpuE4ELNS1_3repE0EEENS1_30default_config_static_selectorELNS0_4arch9wavefront6targetE1EEEvT1_,@function
_ZN7rocprim17ROCPRIM_400000_NS6detail17trampoline_kernelINS0_14default_configENS1_20scan_config_selectorIlEEZZNS1_9scan_implILNS1_25lookback_scan_determinismE0ELb0ELb0ES3_PlS8_lN6thrust23THRUST_200600_302600_NS4plusIvEElEEDaPvRmT3_T4_T5_mT6_P12ihipStream_tbENKUlT_T0_E_clISt17integral_constantIbLb0EESQ_EEDaSL_SM_EUlSL_E_NS1_11comp_targetILNS1_3genE10ELNS1_11target_archE1200ELNS1_3gpuE4ELNS1_3repE0EEENS1_30default_config_static_selectorELNS0_4arch9wavefront6targetE1EEEvT1_: ; @_ZN7rocprim17ROCPRIM_400000_NS6detail17trampoline_kernelINS0_14default_configENS1_20scan_config_selectorIlEEZZNS1_9scan_implILNS1_25lookback_scan_determinismE0ELb0ELb0ES3_PlS8_lN6thrust23THRUST_200600_302600_NS4plusIvEElEEDaPvRmT3_T4_T5_mT6_P12ihipStream_tbENKUlT_T0_E_clISt17integral_constantIbLb0EESQ_EEDaSL_SM_EUlSL_E_NS1_11comp_targetILNS1_3genE10ELNS1_11target_archE1200ELNS1_3gpuE4ELNS1_3repE0EEENS1_30default_config_static_selectorELNS0_4arch9wavefront6targetE1EEEvT1_
; %bb.0:
	.section	.rodata,"a",@progbits
	.p2align	6, 0x0
	.amdhsa_kernel _ZN7rocprim17ROCPRIM_400000_NS6detail17trampoline_kernelINS0_14default_configENS1_20scan_config_selectorIlEEZZNS1_9scan_implILNS1_25lookback_scan_determinismE0ELb0ELb0ES3_PlS8_lN6thrust23THRUST_200600_302600_NS4plusIvEElEEDaPvRmT3_T4_T5_mT6_P12ihipStream_tbENKUlT_T0_E_clISt17integral_constantIbLb0EESQ_EEDaSL_SM_EUlSL_E_NS1_11comp_targetILNS1_3genE10ELNS1_11target_archE1200ELNS1_3gpuE4ELNS1_3repE0EEENS1_30default_config_static_selectorELNS0_4arch9wavefront6targetE1EEEvT1_
		.amdhsa_group_segment_fixed_size 0
		.amdhsa_private_segment_fixed_size 0
		.amdhsa_kernarg_size 104
		.amdhsa_user_sgpr_count 2
		.amdhsa_user_sgpr_dispatch_ptr 0
		.amdhsa_user_sgpr_queue_ptr 0
		.amdhsa_user_sgpr_kernarg_segment_ptr 1
		.amdhsa_user_sgpr_dispatch_id 0
		.amdhsa_user_sgpr_kernarg_preload_length 0
		.amdhsa_user_sgpr_kernarg_preload_offset 0
		.amdhsa_user_sgpr_private_segment_size 0
		.amdhsa_uses_dynamic_stack 0
		.amdhsa_enable_private_segment 0
		.amdhsa_system_sgpr_workgroup_id_x 1
		.amdhsa_system_sgpr_workgroup_id_y 0
		.amdhsa_system_sgpr_workgroup_id_z 0
		.amdhsa_system_sgpr_workgroup_info 0
		.amdhsa_system_vgpr_workitem_id 0
		.amdhsa_next_free_vgpr 1
		.amdhsa_next_free_sgpr 0
		.amdhsa_accum_offset 4
		.amdhsa_reserve_vcc 0
		.amdhsa_float_round_mode_32 0
		.amdhsa_float_round_mode_16_64 0
		.amdhsa_float_denorm_mode_32 3
		.amdhsa_float_denorm_mode_16_64 3
		.amdhsa_dx10_clamp 1
		.amdhsa_ieee_mode 1
		.amdhsa_fp16_overflow 0
		.amdhsa_tg_split 0
		.amdhsa_exception_fp_ieee_invalid_op 0
		.amdhsa_exception_fp_denorm_src 0
		.amdhsa_exception_fp_ieee_div_zero 0
		.amdhsa_exception_fp_ieee_overflow 0
		.amdhsa_exception_fp_ieee_underflow 0
		.amdhsa_exception_fp_ieee_inexact 0
		.amdhsa_exception_int_div_zero 0
	.end_amdhsa_kernel
	.section	.text._ZN7rocprim17ROCPRIM_400000_NS6detail17trampoline_kernelINS0_14default_configENS1_20scan_config_selectorIlEEZZNS1_9scan_implILNS1_25lookback_scan_determinismE0ELb0ELb0ES3_PlS8_lN6thrust23THRUST_200600_302600_NS4plusIvEElEEDaPvRmT3_T4_T5_mT6_P12ihipStream_tbENKUlT_T0_E_clISt17integral_constantIbLb0EESQ_EEDaSL_SM_EUlSL_E_NS1_11comp_targetILNS1_3genE10ELNS1_11target_archE1200ELNS1_3gpuE4ELNS1_3repE0EEENS1_30default_config_static_selectorELNS0_4arch9wavefront6targetE1EEEvT1_,"axG",@progbits,_ZN7rocprim17ROCPRIM_400000_NS6detail17trampoline_kernelINS0_14default_configENS1_20scan_config_selectorIlEEZZNS1_9scan_implILNS1_25lookback_scan_determinismE0ELb0ELb0ES3_PlS8_lN6thrust23THRUST_200600_302600_NS4plusIvEElEEDaPvRmT3_T4_T5_mT6_P12ihipStream_tbENKUlT_T0_E_clISt17integral_constantIbLb0EESQ_EEDaSL_SM_EUlSL_E_NS1_11comp_targetILNS1_3genE10ELNS1_11target_archE1200ELNS1_3gpuE4ELNS1_3repE0EEENS1_30default_config_static_selectorELNS0_4arch9wavefront6targetE1EEEvT1_,comdat
.Lfunc_end91:
	.size	_ZN7rocprim17ROCPRIM_400000_NS6detail17trampoline_kernelINS0_14default_configENS1_20scan_config_selectorIlEEZZNS1_9scan_implILNS1_25lookback_scan_determinismE0ELb0ELb0ES3_PlS8_lN6thrust23THRUST_200600_302600_NS4plusIvEElEEDaPvRmT3_T4_T5_mT6_P12ihipStream_tbENKUlT_T0_E_clISt17integral_constantIbLb0EESQ_EEDaSL_SM_EUlSL_E_NS1_11comp_targetILNS1_3genE10ELNS1_11target_archE1200ELNS1_3gpuE4ELNS1_3repE0EEENS1_30default_config_static_selectorELNS0_4arch9wavefront6targetE1EEEvT1_, .Lfunc_end91-_ZN7rocprim17ROCPRIM_400000_NS6detail17trampoline_kernelINS0_14default_configENS1_20scan_config_selectorIlEEZZNS1_9scan_implILNS1_25lookback_scan_determinismE0ELb0ELb0ES3_PlS8_lN6thrust23THRUST_200600_302600_NS4plusIvEElEEDaPvRmT3_T4_T5_mT6_P12ihipStream_tbENKUlT_T0_E_clISt17integral_constantIbLb0EESQ_EEDaSL_SM_EUlSL_E_NS1_11comp_targetILNS1_3genE10ELNS1_11target_archE1200ELNS1_3gpuE4ELNS1_3repE0EEENS1_30default_config_static_selectorELNS0_4arch9wavefront6targetE1EEEvT1_
                                        ; -- End function
	.section	.AMDGPU.csdata,"",@progbits
; Kernel info:
; codeLenInByte = 0
; NumSgprs: 6
; NumVgprs: 0
; NumAgprs: 0
; TotalNumVgprs: 0
; ScratchSize: 0
; MemoryBound: 0
; FloatMode: 240
; IeeeMode: 1
; LDSByteSize: 0 bytes/workgroup (compile time only)
; SGPRBlocks: 0
; VGPRBlocks: 0
; NumSGPRsForWavesPerEU: 6
; NumVGPRsForWavesPerEU: 1
; AccumOffset: 4
; Occupancy: 8
; WaveLimiterHint : 0
; COMPUTE_PGM_RSRC2:SCRATCH_EN: 0
; COMPUTE_PGM_RSRC2:USER_SGPR: 2
; COMPUTE_PGM_RSRC2:TRAP_HANDLER: 0
; COMPUTE_PGM_RSRC2:TGID_X_EN: 1
; COMPUTE_PGM_RSRC2:TGID_Y_EN: 0
; COMPUTE_PGM_RSRC2:TGID_Z_EN: 0
; COMPUTE_PGM_RSRC2:TIDIG_COMP_CNT: 0
; COMPUTE_PGM_RSRC3_GFX90A:ACCUM_OFFSET: 0
; COMPUTE_PGM_RSRC3_GFX90A:TG_SPLIT: 0
	.section	.text._ZN7rocprim17ROCPRIM_400000_NS6detail17trampoline_kernelINS0_14default_configENS1_20scan_config_selectorIlEEZZNS1_9scan_implILNS1_25lookback_scan_determinismE0ELb0ELb0ES3_PlS8_lN6thrust23THRUST_200600_302600_NS4plusIvEElEEDaPvRmT3_T4_T5_mT6_P12ihipStream_tbENKUlT_T0_E_clISt17integral_constantIbLb0EESQ_EEDaSL_SM_EUlSL_E_NS1_11comp_targetILNS1_3genE9ELNS1_11target_archE1100ELNS1_3gpuE3ELNS1_3repE0EEENS1_30default_config_static_selectorELNS0_4arch9wavefront6targetE1EEEvT1_,"axG",@progbits,_ZN7rocprim17ROCPRIM_400000_NS6detail17trampoline_kernelINS0_14default_configENS1_20scan_config_selectorIlEEZZNS1_9scan_implILNS1_25lookback_scan_determinismE0ELb0ELb0ES3_PlS8_lN6thrust23THRUST_200600_302600_NS4plusIvEElEEDaPvRmT3_T4_T5_mT6_P12ihipStream_tbENKUlT_T0_E_clISt17integral_constantIbLb0EESQ_EEDaSL_SM_EUlSL_E_NS1_11comp_targetILNS1_3genE9ELNS1_11target_archE1100ELNS1_3gpuE3ELNS1_3repE0EEENS1_30default_config_static_selectorELNS0_4arch9wavefront6targetE1EEEvT1_,comdat
	.protected	_ZN7rocprim17ROCPRIM_400000_NS6detail17trampoline_kernelINS0_14default_configENS1_20scan_config_selectorIlEEZZNS1_9scan_implILNS1_25lookback_scan_determinismE0ELb0ELb0ES3_PlS8_lN6thrust23THRUST_200600_302600_NS4plusIvEElEEDaPvRmT3_T4_T5_mT6_P12ihipStream_tbENKUlT_T0_E_clISt17integral_constantIbLb0EESQ_EEDaSL_SM_EUlSL_E_NS1_11comp_targetILNS1_3genE9ELNS1_11target_archE1100ELNS1_3gpuE3ELNS1_3repE0EEENS1_30default_config_static_selectorELNS0_4arch9wavefront6targetE1EEEvT1_ ; -- Begin function _ZN7rocprim17ROCPRIM_400000_NS6detail17trampoline_kernelINS0_14default_configENS1_20scan_config_selectorIlEEZZNS1_9scan_implILNS1_25lookback_scan_determinismE0ELb0ELb0ES3_PlS8_lN6thrust23THRUST_200600_302600_NS4plusIvEElEEDaPvRmT3_T4_T5_mT6_P12ihipStream_tbENKUlT_T0_E_clISt17integral_constantIbLb0EESQ_EEDaSL_SM_EUlSL_E_NS1_11comp_targetILNS1_3genE9ELNS1_11target_archE1100ELNS1_3gpuE3ELNS1_3repE0EEENS1_30default_config_static_selectorELNS0_4arch9wavefront6targetE1EEEvT1_
	.globl	_ZN7rocprim17ROCPRIM_400000_NS6detail17trampoline_kernelINS0_14default_configENS1_20scan_config_selectorIlEEZZNS1_9scan_implILNS1_25lookback_scan_determinismE0ELb0ELb0ES3_PlS8_lN6thrust23THRUST_200600_302600_NS4plusIvEElEEDaPvRmT3_T4_T5_mT6_P12ihipStream_tbENKUlT_T0_E_clISt17integral_constantIbLb0EESQ_EEDaSL_SM_EUlSL_E_NS1_11comp_targetILNS1_3genE9ELNS1_11target_archE1100ELNS1_3gpuE3ELNS1_3repE0EEENS1_30default_config_static_selectorELNS0_4arch9wavefront6targetE1EEEvT1_
	.p2align	8
	.type	_ZN7rocprim17ROCPRIM_400000_NS6detail17trampoline_kernelINS0_14default_configENS1_20scan_config_selectorIlEEZZNS1_9scan_implILNS1_25lookback_scan_determinismE0ELb0ELb0ES3_PlS8_lN6thrust23THRUST_200600_302600_NS4plusIvEElEEDaPvRmT3_T4_T5_mT6_P12ihipStream_tbENKUlT_T0_E_clISt17integral_constantIbLb0EESQ_EEDaSL_SM_EUlSL_E_NS1_11comp_targetILNS1_3genE9ELNS1_11target_archE1100ELNS1_3gpuE3ELNS1_3repE0EEENS1_30default_config_static_selectorELNS0_4arch9wavefront6targetE1EEEvT1_,@function
_ZN7rocprim17ROCPRIM_400000_NS6detail17trampoline_kernelINS0_14default_configENS1_20scan_config_selectorIlEEZZNS1_9scan_implILNS1_25lookback_scan_determinismE0ELb0ELb0ES3_PlS8_lN6thrust23THRUST_200600_302600_NS4plusIvEElEEDaPvRmT3_T4_T5_mT6_P12ihipStream_tbENKUlT_T0_E_clISt17integral_constantIbLb0EESQ_EEDaSL_SM_EUlSL_E_NS1_11comp_targetILNS1_3genE9ELNS1_11target_archE1100ELNS1_3gpuE3ELNS1_3repE0EEENS1_30default_config_static_selectorELNS0_4arch9wavefront6targetE1EEEvT1_: ; @_ZN7rocprim17ROCPRIM_400000_NS6detail17trampoline_kernelINS0_14default_configENS1_20scan_config_selectorIlEEZZNS1_9scan_implILNS1_25lookback_scan_determinismE0ELb0ELb0ES3_PlS8_lN6thrust23THRUST_200600_302600_NS4plusIvEElEEDaPvRmT3_T4_T5_mT6_P12ihipStream_tbENKUlT_T0_E_clISt17integral_constantIbLb0EESQ_EEDaSL_SM_EUlSL_E_NS1_11comp_targetILNS1_3genE9ELNS1_11target_archE1100ELNS1_3gpuE3ELNS1_3repE0EEENS1_30default_config_static_selectorELNS0_4arch9wavefront6targetE1EEEvT1_
; %bb.0:
	.section	.rodata,"a",@progbits
	.p2align	6, 0x0
	.amdhsa_kernel _ZN7rocprim17ROCPRIM_400000_NS6detail17trampoline_kernelINS0_14default_configENS1_20scan_config_selectorIlEEZZNS1_9scan_implILNS1_25lookback_scan_determinismE0ELb0ELb0ES3_PlS8_lN6thrust23THRUST_200600_302600_NS4plusIvEElEEDaPvRmT3_T4_T5_mT6_P12ihipStream_tbENKUlT_T0_E_clISt17integral_constantIbLb0EESQ_EEDaSL_SM_EUlSL_E_NS1_11comp_targetILNS1_3genE9ELNS1_11target_archE1100ELNS1_3gpuE3ELNS1_3repE0EEENS1_30default_config_static_selectorELNS0_4arch9wavefront6targetE1EEEvT1_
		.amdhsa_group_segment_fixed_size 0
		.amdhsa_private_segment_fixed_size 0
		.amdhsa_kernarg_size 104
		.amdhsa_user_sgpr_count 2
		.amdhsa_user_sgpr_dispatch_ptr 0
		.amdhsa_user_sgpr_queue_ptr 0
		.amdhsa_user_sgpr_kernarg_segment_ptr 1
		.amdhsa_user_sgpr_dispatch_id 0
		.amdhsa_user_sgpr_kernarg_preload_length 0
		.amdhsa_user_sgpr_kernarg_preload_offset 0
		.amdhsa_user_sgpr_private_segment_size 0
		.amdhsa_uses_dynamic_stack 0
		.amdhsa_enable_private_segment 0
		.amdhsa_system_sgpr_workgroup_id_x 1
		.amdhsa_system_sgpr_workgroup_id_y 0
		.amdhsa_system_sgpr_workgroup_id_z 0
		.amdhsa_system_sgpr_workgroup_info 0
		.amdhsa_system_vgpr_workitem_id 0
		.amdhsa_next_free_vgpr 1
		.amdhsa_next_free_sgpr 0
		.amdhsa_accum_offset 4
		.amdhsa_reserve_vcc 0
		.amdhsa_float_round_mode_32 0
		.amdhsa_float_round_mode_16_64 0
		.amdhsa_float_denorm_mode_32 3
		.amdhsa_float_denorm_mode_16_64 3
		.amdhsa_dx10_clamp 1
		.amdhsa_ieee_mode 1
		.amdhsa_fp16_overflow 0
		.amdhsa_tg_split 0
		.amdhsa_exception_fp_ieee_invalid_op 0
		.amdhsa_exception_fp_denorm_src 0
		.amdhsa_exception_fp_ieee_div_zero 0
		.amdhsa_exception_fp_ieee_overflow 0
		.amdhsa_exception_fp_ieee_underflow 0
		.amdhsa_exception_fp_ieee_inexact 0
		.amdhsa_exception_int_div_zero 0
	.end_amdhsa_kernel
	.section	.text._ZN7rocprim17ROCPRIM_400000_NS6detail17trampoline_kernelINS0_14default_configENS1_20scan_config_selectorIlEEZZNS1_9scan_implILNS1_25lookback_scan_determinismE0ELb0ELb0ES3_PlS8_lN6thrust23THRUST_200600_302600_NS4plusIvEElEEDaPvRmT3_T4_T5_mT6_P12ihipStream_tbENKUlT_T0_E_clISt17integral_constantIbLb0EESQ_EEDaSL_SM_EUlSL_E_NS1_11comp_targetILNS1_3genE9ELNS1_11target_archE1100ELNS1_3gpuE3ELNS1_3repE0EEENS1_30default_config_static_selectorELNS0_4arch9wavefront6targetE1EEEvT1_,"axG",@progbits,_ZN7rocprim17ROCPRIM_400000_NS6detail17trampoline_kernelINS0_14default_configENS1_20scan_config_selectorIlEEZZNS1_9scan_implILNS1_25lookback_scan_determinismE0ELb0ELb0ES3_PlS8_lN6thrust23THRUST_200600_302600_NS4plusIvEElEEDaPvRmT3_T4_T5_mT6_P12ihipStream_tbENKUlT_T0_E_clISt17integral_constantIbLb0EESQ_EEDaSL_SM_EUlSL_E_NS1_11comp_targetILNS1_3genE9ELNS1_11target_archE1100ELNS1_3gpuE3ELNS1_3repE0EEENS1_30default_config_static_selectorELNS0_4arch9wavefront6targetE1EEEvT1_,comdat
.Lfunc_end92:
	.size	_ZN7rocprim17ROCPRIM_400000_NS6detail17trampoline_kernelINS0_14default_configENS1_20scan_config_selectorIlEEZZNS1_9scan_implILNS1_25lookback_scan_determinismE0ELb0ELb0ES3_PlS8_lN6thrust23THRUST_200600_302600_NS4plusIvEElEEDaPvRmT3_T4_T5_mT6_P12ihipStream_tbENKUlT_T0_E_clISt17integral_constantIbLb0EESQ_EEDaSL_SM_EUlSL_E_NS1_11comp_targetILNS1_3genE9ELNS1_11target_archE1100ELNS1_3gpuE3ELNS1_3repE0EEENS1_30default_config_static_selectorELNS0_4arch9wavefront6targetE1EEEvT1_, .Lfunc_end92-_ZN7rocprim17ROCPRIM_400000_NS6detail17trampoline_kernelINS0_14default_configENS1_20scan_config_selectorIlEEZZNS1_9scan_implILNS1_25lookback_scan_determinismE0ELb0ELb0ES3_PlS8_lN6thrust23THRUST_200600_302600_NS4plusIvEElEEDaPvRmT3_T4_T5_mT6_P12ihipStream_tbENKUlT_T0_E_clISt17integral_constantIbLb0EESQ_EEDaSL_SM_EUlSL_E_NS1_11comp_targetILNS1_3genE9ELNS1_11target_archE1100ELNS1_3gpuE3ELNS1_3repE0EEENS1_30default_config_static_selectorELNS0_4arch9wavefront6targetE1EEEvT1_
                                        ; -- End function
	.section	.AMDGPU.csdata,"",@progbits
; Kernel info:
; codeLenInByte = 0
; NumSgprs: 6
; NumVgprs: 0
; NumAgprs: 0
; TotalNumVgprs: 0
; ScratchSize: 0
; MemoryBound: 0
; FloatMode: 240
; IeeeMode: 1
; LDSByteSize: 0 bytes/workgroup (compile time only)
; SGPRBlocks: 0
; VGPRBlocks: 0
; NumSGPRsForWavesPerEU: 6
; NumVGPRsForWavesPerEU: 1
; AccumOffset: 4
; Occupancy: 8
; WaveLimiterHint : 0
; COMPUTE_PGM_RSRC2:SCRATCH_EN: 0
; COMPUTE_PGM_RSRC2:USER_SGPR: 2
; COMPUTE_PGM_RSRC2:TRAP_HANDLER: 0
; COMPUTE_PGM_RSRC2:TGID_X_EN: 1
; COMPUTE_PGM_RSRC2:TGID_Y_EN: 0
; COMPUTE_PGM_RSRC2:TGID_Z_EN: 0
; COMPUTE_PGM_RSRC2:TIDIG_COMP_CNT: 0
; COMPUTE_PGM_RSRC3_GFX90A:ACCUM_OFFSET: 0
; COMPUTE_PGM_RSRC3_GFX90A:TG_SPLIT: 0
	.section	.text._ZN7rocprim17ROCPRIM_400000_NS6detail17trampoline_kernelINS0_14default_configENS1_20scan_config_selectorIlEEZZNS1_9scan_implILNS1_25lookback_scan_determinismE0ELb0ELb0ES3_PlS8_lN6thrust23THRUST_200600_302600_NS4plusIvEElEEDaPvRmT3_T4_T5_mT6_P12ihipStream_tbENKUlT_T0_E_clISt17integral_constantIbLb0EESQ_EEDaSL_SM_EUlSL_E_NS1_11comp_targetILNS1_3genE8ELNS1_11target_archE1030ELNS1_3gpuE2ELNS1_3repE0EEENS1_30default_config_static_selectorELNS0_4arch9wavefront6targetE1EEEvT1_,"axG",@progbits,_ZN7rocprim17ROCPRIM_400000_NS6detail17trampoline_kernelINS0_14default_configENS1_20scan_config_selectorIlEEZZNS1_9scan_implILNS1_25lookback_scan_determinismE0ELb0ELb0ES3_PlS8_lN6thrust23THRUST_200600_302600_NS4plusIvEElEEDaPvRmT3_T4_T5_mT6_P12ihipStream_tbENKUlT_T0_E_clISt17integral_constantIbLb0EESQ_EEDaSL_SM_EUlSL_E_NS1_11comp_targetILNS1_3genE8ELNS1_11target_archE1030ELNS1_3gpuE2ELNS1_3repE0EEENS1_30default_config_static_selectorELNS0_4arch9wavefront6targetE1EEEvT1_,comdat
	.protected	_ZN7rocprim17ROCPRIM_400000_NS6detail17trampoline_kernelINS0_14default_configENS1_20scan_config_selectorIlEEZZNS1_9scan_implILNS1_25lookback_scan_determinismE0ELb0ELb0ES3_PlS8_lN6thrust23THRUST_200600_302600_NS4plusIvEElEEDaPvRmT3_T4_T5_mT6_P12ihipStream_tbENKUlT_T0_E_clISt17integral_constantIbLb0EESQ_EEDaSL_SM_EUlSL_E_NS1_11comp_targetILNS1_3genE8ELNS1_11target_archE1030ELNS1_3gpuE2ELNS1_3repE0EEENS1_30default_config_static_selectorELNS0_4arch9wavefront6targetE1EEEvT1_ ; -- Begin function _ZN7rocprim17ROCPRIM_400000_NS6detail17trampoline_kernelINS0_14default_configENS1_20scan_config_selectorIlEEZZNS1_9scan_implILNS1_25lookback_scan_determinismE0ELb0ELb0ES3_PlS8_lN6thrust23THRUST_200600_302600_NS4plusIvEElEEDaPvRmT3_T4_T5_mT6_P12ihipStream_tbENKUlT_T0_E_clISt17integral_constantIbLb0EESQ_EEDaSL_SM_EUlSL_E_NS1_11comp_targetILNS1_3genE8ELNS1_11target_archE1030ELNS1_3gpuE2ELNS1_3repE0EEENS1_30default_config_static_selectorELNS0_4arch9wavefront6targetE1EEEvT1_
	.globl	_ZN7rocprim17ROCPRIM_400000_NS6detail17trampoline_kernelINS0_14default_configENS1_20scan_config_selectorIlEEZZNS1_9scan_implILNS1_25lookback_scan_determinismE0ELb0ELb0ES3_PlS8_lN6thrust23THRUST_200600_302600_NS4plusIvEElEEDaPvRmT3_T4_T5_mT6_P12ihipStream_tbENKUlT_T0_E_clISt17integral_constantIbLb0EESQ_EEDaSL_SM_EUlSL_E_NS1_11comp_targetILNS1_3genE8ELNS1_11target_archE1030ELNS1_3gpuE2ELNS1_3repE0EEENS1_30default_config_static_selectorELNS0_4arch9wavefront6targetE1EEEvT1_
	.p2align	8
	.type	_ZN7rocprim17ROCPRIM_400000_NS6detail17trampoline_kernelINS0_14default_configENS1_20scan_config_selectorIlEEZZNS1_9scan_implILNS1_25lookback_scan_determinismE0ELb0ELb0ES3_PlS8_lN6thrust23THRUST_200600_302600_NS4plusIvEElEEDaPvRmT3_T4_T5_mT6_P12ihipStream_tbENKUlT_T0_E_clISt17integral_constantIbLb0EESQ_EEDaSL_SM_EUlSL_E_NS1_11comp_targetILNS1_3genE8ELNS1_11target_archE1030ELNS1_3gpuE2ELNS1_3repE0EEENS1_30default_config_static_selectorELNS0_4arch9wavefront6targetE1EEEvT1_,@function
_ZN7rocprim17ROCPRIM_400000_NS6detail17trampoline_kernelINS0_14default_configENS1_20scan_config_selectorIlEEZZNS1_9scan_implILNS1_25lookback_scan_determinismE0ELb0ELb0ES3_PlS8_lN6thrust23THRUST_200600_302600_NS4plusIvEElEEDaPvRmT3_T4_T5_mT6_P12ihipStream_tbENKUlT_T0_E_clISt17integral_constantIbLb0EESQ_EEDaSL_SM_EUlSL_E_NS1_11comp_targetILNS1_3genE8ELNS1_11target_archE1030ELNS1_3gpuE2ELNS1_3repE0EEENS1_30default_config_static_selectorELNS0_4arch9wavefront6targetE1EEEvT1_: ; @_ZN7rocprim17ROCPRIM_400000_NS6detail17trampoline_kernelINS0_14default_configENS1_20scan_config_selectorIlEEZZNS1_9scan_implILNS1_25lookback_scan_determinismE0ELb0ELb0ES3_PlS8_lN6thrust23THRUST_200600_302600_NS4plusIvEElEEDaPvRmT3_T4_T5_mT6_P12ihipStream_tbENKUlT_T0_E_clISt17integral_constantIbLb0EESQ_EEDaSL_SM_EUlSL_E_NS1_11comp_targetILNS1_3genE8ELNS1_11target_archE1030ELNS1_3gpuE2ELNS1_3repE0EEENS1_30default_config_static_selectorELNS0_4arch9wavefront6targetE1EEEvT1_
; %bb.0:
	.section	.rodata,"a",@progbits
	.p2align	6, 0x0
	.amdhsa_kernel _ZN7rocprim17ROCPRIM_400000_NS6detail17trampoline_kernelINS0_14default_configENS1_20scan_config_selectorIlEEZZNS1_9scan_implILNS1_25lookback_scan_determinismE0ELb0ELb0ES3_PlS8_lN6thrust23THRUST_200600_302600_NS4plusIvEElEEDaPvRmT3_T4_T5_mT6_P12ihipStream_tbENKUlT_T0_E_clISt17integral_constantIbLb0EESQ_EEDaSL_SM_EUlSL_E_NS1_11comp_targetILNS1_3genE8ELNS1_11target_archE1030ELNS1_3gpuE2ELNS1_3repE0EEENS1_30default_config_static_selectorELNS0_4arch9wavefront6targetE1EEEvT1_
		.amdhsa_group_segment_fixed_size 0
		.amdhsa_private_segment_fixed_size 0
		.amdhsa_kernarg_size 104
		.amdhsa_user_sgpr_count 2
		.amdhsa_user_sgpr_dispatch_ptr 0
		.amdhsa_user_sgpr_queue_ptr 0
		.amdhsa_user_sgpr_kernarg_segment_ptr 1
		.amdhsa_user_sgpr_dispatch_id 0
		.amdhsa_user_sgpr_kernarg_preload_length 0
		.amdhsa_user_sgpr_kernarg_preload_offset 0
		.amdhsa_user_sgpr_private_segment_size 0
		.amdhsa_uses_dynamic_stack 0
		.amdhsa_enable_private_segment 0
		.amdhsa_system_sgpr_workgroup_id_x 1
		.amdhsa_system_sgpr_workgroup_id_y 0
		.amdhsa_system_sgpr_workgroup_id_z 0
		.amdhsa_system_sgpr_workgroup_info 0
		.amdhsa_system_vgpr_workitem_id 0
		.amdhsa_next_free_vgpr 1
		.amdhsa_next_free_sgpr 0
		.amdhsa_accum_offset 4
		.amdhsa_reserve_vcc 0
		.amdhsa_float_round_mode_32 0
		.amdhsa_float_round_mode_16_64 0
		.amdhsa_float_denorm_mode_32 3
		.amdhsa_float_denorm_mode_16_64 3
		.amdhsa_dx10_clamp 1
		.amdhsa_ieee_mode 1
		.amdhsa_fp16_overflow 0
		.amdhsa_tg_split 0
		.amdhsa_exception_fp_ieee_invalid_op 0
		.amdhsa_exception_fp_denorm_src 0
		.amdhsa_exception_fp_ieee_div_zero 0
		.amdhsa_exception_fp_ieee_overflow 0
		.amdhsa_exception_fp_ieee_underflow 0
		.amdhsa_exception_fp_ieee_inexact 0
		.amdhsa_exception_int_div_zero 0
	.end_amdhsa_kernel
	.section	.text._ZN7rocprim17ROCPRIM_400000_NS6detail17trampoline_kernelINS0_14default_configENS1_20scan_config_selectorIlEEZZNS1_9scan_implILNS1_25lookback_scan_determinismE0ELb0ELb0ES3_PlS8_lN6thrust23THRUST_200600_302600_NS4plusIvEElEEDaPvRmT3_T4_T5_mT6_P12ihipStream_tbENKUlT_T0_E_clISt17integral_constantIbLb0EESQ_EEDaSL_SM_EUlSL_E_NS1_11comp_targetILNS1_3genE8ELNS1_11target_archE1030ELNS1_3gpuE2ELNS1_3repE0EEENS1_30default_config_static_selectorELNS0_4arch9wavefront6targetE1EEEvT1_,"axG",@progbits,_ZN7rocprim17ROCPRIM_400000_NS6detail17trampoline_kernelINS0_14default_configENS1_20scan_config_selectorIlEEZZNS1_9scan_implILNS1_25lookback_scan_determinismE0ELb0ELb0ES3_PlS8_lN6thrust23THRUST_200600_302600_NS4plusIvEElEEDaPvRmT3_T4_T5_mT6_P12ihipStream_tbENKUlT_T0_E_clISt17integral_constantIbLb0EESQ_EEDaSL_SM_EUlSL_E_NS1_11comp_targetILNS1_3genE8ELNS1_11target_archE1030ELNS1_3gpuE2ELNS1_3repE0EEENS1_30default_config_static_selectorELNS0_4arch9wavefront6targetE1EEEvT1_,comdat
.Lfunc_end93:
	.size	_ZN7rocprim17ROCPRIM_400000_NS6detail17trampoline_kernelINS0_14default_configENS1_20scan_config_selectorIlEEZZNS1_9scan_implILNS1_25lookback_scan_determinismE0ELb0ELb0ES3_PlS8_lN6thrust23THRUST_200600_302600_NS4plusIvEElEEDaPvRmT3_T4_T5_mT6_P12ihipStream_tbENKUlT_T0_E_clISt17integral_constantIbLb0EESQ_EEDaSL_SM_EUlSL_E_NS1_11comp_targetILNS1_3genE8ELNS1_11target_archE1030ELNS1_3gpuE2ELNS1_3repE0EEENS1_30default_config_static_selectorELNS0_4arch9wavefront6targetE1EEEvT1_, .Lfunc_end93-_ZN7rocprim17ROCPRIM_400000_NS6detail17trampoline_kernelINS0_14default_configENS1_20scan_config_selectorIlEEZZNS1_9scan_implILNS1_25lookback_scan_determinismE0ELb0ELb0ES3_PlS8_lN6thrust23THRUST_200600_302600_NS4plusIvEElEEDaPvRmT3_T4_T5_mT6_P12ihipStream_tbENKUlT_T0_E_clISt17integral_constantIbLb0EESQ_EEDaSL_SM_EUlSL_E_NS1_11comp_targetILNS1_3genE8ELNS1_11target_archE1030ELNS1_3gpuE2ELNS1_3repE0EEENS1_30default_config_static_selectorELNS0_4arch9wavefront6targetE1EEEvT1_
                                        ; -- End function
	.section	.AMDGPU.csdata,"",@progbits
; Kernel info:
; codeLenInByte = 0
; NumSgprs: 6
; NumVgprs: 0
; NumAgprs: 0
; TotalNumVgprs: 0
; ScratchSize: 0
; MemoryBound: 0
; FloatMode: 240
; IeeeMode: 1
; LDSByteSize: 0 bytes/workgroup (compile time only)
; SGPRBlocks: 0
; VGPRBlocks: 0
; NumSGPRsForWavesPerEU: 6
; NumVGPRsForWavesPerEU: 1
; AccumOffset: 4
; Occupancy: 8
; WaveLimiterHint : 0
; COMPUTE_PGM_RSRC2:SCRATCH_EN: 0
; COMPUTE_PGM_RSRC2:USER_SGPR: 2
; COMPUTE_PGM_RSRC2:TRAP_HANDLER: 0
; COMPUTE_PGM_RSRC2:TGID_X_EN: 1
; COMPUTE_PGM_RSRC2:TGID_Y_EN: 0
; COMPUTE_PGM_RSRC2:TGID_Z_EN: 0
; COMPUTE_PGM_RSRC2:TIDIG_COMP_CNT: 0
; COMPUTE_PGM_RSRC3_GFX90A:ACCUM_OFFSET: 0
; COMPUTE_PGM_RSRC3_GFX90A:TG_SPLIT: 0
	.section	.text._ZN7rocprim17ROCPRIM_400000_NS6detail17trampoline_kernelINS0_14default_configENS1_20scan_config_selectorIlEEZZNS1_9scan_implILNS1_25lookback_scan_determinismE0ELb0ELb0ES3_PlS8_lN6thrust23THRUST_200600_302600_NS4plusIvEElEEDaPvRmT3_T4_T5_mT6_P12ihipStream_tbENKUlT_T0_E_clISt17integral_constantIbLb0EESQ_EEDaSL_SM_EUlSL_E0_NS1_11comp_targetILNS1_3genE0ELNS1_11target_archE4294967295ELNS1_3gpuE0ELNS1_3repE0EEENS1_30default_config_static_selectorELNS0_4arch9wavefront6targetE1EEEvT1_,"axG",@progbits,_ZN7rocprim17ROCPRIM_400000_NS6detail17trampoline_kernelINS0_14default_configENS1_20scan_config_selectorIlEEZZNS1_9scan_implILNS1_25lookback_scan_determinismE0ELb0ELb0ES3_PlS8_lN6thrust23THRUST_200600_302600_NS4plusIvEElEEDaPvRmT3_T4_T5_mT6_P12ihipStream_tbENKUlT_T0_E_clISt17integral_constantIbLb0EESQ_EEDaSL_SM_EUlSL_E0_NS1_11comp_targetILNS1_3genE0ELNS1_11target_archE4294967295ELNS1_3gpuE0ELNS1_3repE0EEENS1_30default_config_static_selectorELNS0_4arch9wavefront6targetE1EEEvT1_,comdat
	.protected	_ZN7rocprim17ROCPRIM_400000_NS6detail17trampoline_kernelINS0_14default_configENS1_20scan_config_selectorIlEEZZNS1_9scan_implILNS1_25lookback_scan_determinismE0ELb0ELb0ES3_PlS8_lN6thrust23THRUST_200600_302600_NS4plusIvEElEEDaPvRmT3_T4_T5_mT6_P12ihipStream_tbENKUlT_T0_E_clISt17integral_constantIbLb0EESQ_EEDaSL_SM_EUlSL_E0_NS1_11comp_targetILNS1_3genE0ELNS1_11target_archE4294967295ELNS1_3gpuE0ELNS1_3repE0EEENS1_30default_config_static_selectorELNS0_4arch9wavefront6targetE1EEEvT1_ ; -- Begin function _ZN7rocprim17ROCPRIM_400000_NS6detail17trampoline_kernelINS0_14default_configENS1_20scan_config_selectorIlEEZZNS1_9scan_implILNS1_25lookback_scan_determinismE0ELb0ELb0ES3_PlS8_lN6thrust23THRUST_200600_302600_NS4plusIvEElEEDaPvRmT3_T4_T5_mT6_P12ihipStream_tbENKUlT_T0_E_clISt17integral_constantIbLb0EESQ_EEDaSL_SM_EUlSL_E0_NS1_11comp_targetILNS1_3genE0ELNS1_11target_archE4294967295ELNS1_3gpuE0ELNS1_3repE0EEENS1_30default_config_static_selectorELNS0_4arch9wavefront6targetE1EEEvT1_
	.globl	_ZN7rocprim17ROCPRIM_400000_NS6detail17trampoline_kernelINS0_14default_configENS1_20scan_config_selectorIlEEZZNS1_9scan_implILNS1_25lookback_scan_determinismE0ELb0ELb0ES3_PlS8_lN6thrust23THRUST_200600_302600_NS4plusIvEElEEDaPvRmT3_T4_T5_mT6_P12ihipStream_tbENKUlT_T0_E_clISt17integral_constantIbLb0EESQ_EEDaSL_SM_EUlSL_E0_NS1_11comp_targetILNS1_3genE0ELNS1_11target_archE4294967295ELNS1_3gpuE0ELNS1_3repE0EEENS1_30default_config_static_selectorELNS0_4arch9wavefront6targetE1EEEvT1_
	.p2align	8
	.type	_ZN7rocprim17ROCPRIM_400000_NS6detail17trampoline_kernelINS0_14default_configENS1_20scan_config_selectorIlEEZZNS1_9scan_implILNS1_25lookback_scan_determinismE0ELb0ELb0ES3_PlS8_lN6thrust23THRUST_200600_302600_NS4plusIvEElEEDaPvRmT3_T4_T5_mT6_P12ihipStream_tbENKUlT_T0_E_clISt17integral_constantIbLb0EESQ_EEDaSL_SM_EUlSL_E0_NS1_11comp_targetILNS1_3genE0ELNS1_11target_archE4294967295ELNS1_3gpuE0ELNS1_3repE0EEENS1_30default_config_static_selectorELNS0_4arch9wavefront6targetE1EEEvT1_,@function
_ZN7rocprim17ROCPRIM_400000_NS6detail17trampoline_kernelINS0_14default_configENS1_20scan_config_selectorIlEEZZNS1_9scan_implILNS1_25lookback_scan_determinismE0ELb0ELb0ES3_PlS8_lN6thrust23THRUST_200600_302600_NS4plusIvEElEEDaPvRmT3_T4_T5_mT6_P12ihipStream_tbENKUlT_T0_E_clISt17integral_constantIbLb0EESQ_EEDaSL_SM_EUlSL_E0_NS1_11comp_targetILNS1_3genE0ELNS1_11target_archE4294967295ELNS1_3gpuE0ELNS1_3repE0EEENS1_30default_config_static_selectorELNS0_4arch9wavefront6targetE1EEEvT1_: ; @_ZN7rocprim17ROCPRIM_400000_NS6detail17trampoline_kernelINS0_14default_configENS1_20scan_config_selectorIlEEZZNS1_9scan_implILNS1_25lookback_scan_determinismE0ELb0ELb0ES3_PlS8_lN6thrust23THRUST_200600_302600_NS4plusIvEElEEDaPvRmT3_T4_T5_mT6_P12ihipStream_tbENKUlT_T0_E_clISt17integral_constantIbLb0EESQ_EEDaSL_SM_EUlSL_E0_NS1_11comp_targetILNS1_3genE0ELNS1_11target_archE4294967295ELNS1_3gpuE0ELNS1_3repE0EEENS1_30default_config_static_selectorELNS0_4arch9wavefront6targetE1EEEvT1_
; %bb.0:
	.section	.rodata,"a",@progbits
	.p2align	6, 0x0
	.amdhsa_kernel _ZN7rocprim17ROCPRIM_400000_NS6detail17trampoline_kernelINS0_14default_configENS1_20scan_config_selectorIlEEZZNS1_9scan_implILNS1_25lookback_scan_determinismE0ELb0ELb0ES3_PlS8_lN6thrust23THRUST_200600_302600_NS4plusIvEElEEDaPvRmT3_T4_T5_mT6_P12ihipStream_tbENKUlT_T0_E_clISt17integral_constantIbLb0EESQ_EEDaSL_SM_EUlSL_E0_NS1_11comp_targetILNS1_3genE0ELNS1_11target_archE4294967295ELNS1_3gpuE0ELNS1_3repE0EEENS1_30default_config_static_selectorELNS0_4arch9wavefront6targetE1EEEvT1_
		.amdhsa_group_segment_fixed_size 0
		.amdhsa_private_segment_fixed_size 0
		.amdhsa_kernarg_size 40
		.amdhsa_user_sgpr_count 2
		.amdhsa_user_sgpr_dispatch_ptr 0
		.amdhsa_user_sgpr_queue_ptr 0
		.amdhsa_user_sgpr_kernarg_segment_ptr 1
		.amdhsa_user_sgpr_dispatch_id 0
		.amdhsa_user_sgpr_kernarg_preload_length 0
		.amdhsa_user_sgpr_kernarg_preload_offset 0
		.amdhsa_user_sgpr_private_segment_size 0
		.amdhsa_uses_dynamic_stack 0
		.amdhsa_enable_private_segment 0
		.amdhsa_system_sgpr_workgroup_id_x 1
		.amdhsa_system_sgpr_workgroup_id_y 0
		.amdhsa_system_sgpr_workgroup_id_z 0
		.amdhsa_system_sgpr_workgroup_info 0
		.amdhsa_system_vgpr_workitem_id 0
		.amdhsa_next_free_vgpr 1
		.amdhsa_next_free_sgpr 0
		.amdhsa_accum_offset 4
		.amdhsa_reserve_vcc 0
		.amdhsa_float_round_mode_32 0
		.amdhsa_float_round_mode_16_64 0
		.amdhsa_float_denorm_mode_32 3
		.amdhsa_float_denorm_mode_16_64 3
		.amdhsa_dx10_clamp 1
		.amdhsa_ieee_mode 1
		.amdhsa_fp16_overflow 0
		.amdhsa_tg_split 0
		.amdhsa_exception_fp_ieee_invalid_op 0
		.amdhsa_exception_fp_denorm_src 0
		.amdhsa_exception_fp_ieee_div_zero 0
		.amdhsa_exception_fp_ieee_overflow 0
		.amdhsa_exception_fp_ieee_underflow 0
		.amdhsa_exception_fp_ieee_inexact 0
		.amdhsa_exception_int_div_zero 0
	.end_amdhsa_kernel
	.section	.text._ZN7rocprim17ROCPRIM_400000_NS6detail17trampoline_kernelINS0_14default_configENS1_20scan_config_selectorIlEEZZNS1_9scan_implILNS1_25lookback_scan_determinismE0ELb0ELb0ES3_PlS8_lN6thrust23THRUST_200600_302600_NS4plusIvEElEEDaPvRmT3_T4_T5_mT6_P12ihipStream_tbENKUlT_T0_E_clISt17integral_constantIbLb0EESQ_EEDaSL_SM_EUlSL_E0_NS1_11comp_targetILNS1_3genE0ELNS1_11target_archE4294967295ELNS1_3gpuE0ELNS1_3repE0EEENS1_30default_config_static_selectorELNS0_4arch9wavefront6targetE1EEEvT1_,"axG",@progbits,_ZN7rocprim17ROCPRIM_400000_NS6detail17trampoline_kernelINS0_14default_configENS1_20scan_config_selectorIlEEZZNS1_9scan_implILNS1_25lookback_scan_determinismE0ELb0ELb0ES3_PlS8_lN6thrust23THRUST_200600_302600_NS4plusIvEElEEDaPvRmT3_T4_T5_mT6_P12ihipStream_tbENKUlT_T0_E_clISt17integral_constantIbLb0EESQ_EEDaSL_SM_EUlSL_E0_NS1_11comp_targetILNS1_3genE0ELNS1_11target_archE4294967295ELNS1_3gpuE0ELNS1_3repE0EEENS1_30default_config_static_selectorELNS0_4arch9wavefront6targetE1EEEvT1_,comdat
.Lfunc_end94:
	.size	_ZN7rocprim17ROCPRIM_400000_NS6detail17trampoline_kernelINS0_14default_configENS1_20scan_config_selectorIlEEZZNS1_9scan_implILNS1_25lookback_scan_determinismE0ELb0ELb0ES3_PlS8_lN6thrust23THRUST_200600_302600_NS4plusIvEElEEDaPvRmT3_T4_T5_mT6_P12ihipStream_tbENKUlT_T0_E_clISt17integral_constantIbLb0EESQ_EEDaSL_SM_EUlSL_E0_NS1_11comp_targetILNS1_3genE0ELNS1_11target_archE4294967295ELNS1_3gpuE0ELNS1_3repE0EEENS1_30default_config_static_selectorELNS0_4arch9wavefront6targetE1EEEvT1_, .Lfunc_end94-_ZN7rocprim17ROCPRIM_400000_NS6detail17trampoline_kernelINS0_14default_configENS1_20scan_config_selectorIlEEZZNS1_9scan_implILNS1_25lookback_scan_determinismE0ELb0ELb0ES3_PlS8_lN6thrust23THRUST_200600_302600_NS4plusIvEElEEDaPvRmT3_T4_T5_mT6_P12ihipStream_tbENKUlT_T0_E_clISt17integral_constantIbLb0EESQ_EEDaSL_SM_EUlSL_E0_NS1_11comp_targetILNS1_3genE0ELNS1_11target_archE4294967295ELNS1_3gpuE0ELNS1_3repE0EEENS1_30default_config_static_selectorELNS0_4arch9wavefront6targetE1EEEvT1_
                                        ; -- End function
	.section	.AMDGPU.csdata,"",@progbits
; Kernel info:
; codeLenInByte = 0
; NumSgprs: 6
; NumVgprs: 0
; NumAgprs: 0
; TotalNumVgprs: 0
; ScratchSize: 0
; MemoryBound: 0
; FloatMode: 240
; IeeeMode: 1
; LDSByteSize: 0 bytes/workgroup (compile time only)
; SGPRBlocks: 0
; VGPRBlocks: 0
; NumSGPRsForWavesPerEU: 6
; NumVGPRsForWavesPerEU: 1
; AccumOffset: 4
; Occupancy: 8
; WaveLimiterHint : 0
; COMPUTE_PGM_RSRC2:SCRATCH_EN: 0
; COMPUTE_PGM_RSRC2:USER_SGPR: 2
; COMPUTE_PGM_RSRC2:TRAP_HANDLER: 0
; COMPUTE_PGM_RSRC2:TGID_X_EN: 1
; COMPUTE_PGM_RSRC2:TGID_Y_EN: 0
; COMPUTE_PGM_RSRC2:TGID_Z_EN: 0
; COMPUTE_PGM_RSRC2:TIDIG_COMP_CNT: 0
; COMPUTE_PGM_RSRC3_GFX90A:ACCUM_OFFSET: 0
; COMPUTE_PGM_RSRC3_GFX90A:TG_SPLIT: 0
	.section	.text._ZN7rocprim17ROCPRIM_400000_NS6detail17trampoline_kernelINS0_14default_configENS1_20scan_config_selectorIlEEZZNS1_9scan_implILNS1_25lookback_scan_determinismE0ELb0ELb0ES3_PlS8_lN6thrust23THRUST_200600_302600_NS4plusIvEElEEDaPvRmT3_T4_T5_mT6_P12ihipStream_tbENKUlT_T0_E_clISt17integral_constantIbLb0EESQ_EEDaSL_SM_EUlSL_E0_NS1_11comp_targetILNS1_3genE5ELNS1_11target_archE942ELNS1_3gpuE9ELNS1_3repE0EEENS1_30default_config_static_selectorELNS0_4arch9wavefront6targetE1EEEvT1_,"axG",@progbits,_ZN7rocprim17ROCPRIM_400000_NS6detail17trampoline_kernelINS0_14default_configENS1_20scan_config_selectorIlEEZZNS1_9scan_implILNS1_25lookback_scan_determinismE0ELb0ELb0ES3_PlS8_lN6thrust23THRUST_200600_302600_NS4plusIvEElEEDaPvRmT3_T4_T5_mT6_P12ihipStream_tbENKUlT_T0_E_clISt17integral_constantIbLb0EESQ_EEDaSL_SM_EUlSL_E0_NS1_11comp_targetILNS1_3genE5ELNS1_11target_archE942ELNS1_3gpuE9ELNS1_3repE0EEENS1_30default_config_static_selectorELNS0_4arch9wavefront6targetE1EEEvT1_,comdat
	.protected	_ZN7rocprim17ROCPRIM_400000_NS6detail17trampoline_kernelINS0_14default_configENS1_20scan_config_selectorIlEEZZNS1_9scan_implILNS1_25lookback_scan_determinismE0ELb0ELb0ES3_PlS8_lN6thrust23THRUST_200600_302600_NS4plusIvEElEEDaPvRmT3_T4_T5_mT6_P12ihipStream_tbENKUlT_T0_E_clISt17integral_constantIbLb0EESQ_EEDaSL_SM_EUlSL_E0_NS1_11comp_targetILNS1_3genE5ELNS1_11target_archE942ELNS1_3gpuE9ELNS1_3repE0EEENS1_30default_config_static_selectorELNS0_4arch9wavefront6targetE1EEEvT1_ ; -- Begin function _ZN7rocprim17ROCPRIM_400000_NS6detail17trampoline_kernelINS0_14default_configENS1_20scan_config_selectorIlEEZZNS1_9scan_implILNS1_25lookback_scan_determinismE0ELb0ELb0ES3_PlS8_lN6thrust23THRUST_200600_302600_NS4plusIvEElEEDaPvRmT3_T4_T5_mT6_P12ihipStream_tbENKUlT_T0_E_clISt17integral_constantIbLb0EESQ_EEDaSL_SM_EUlSL_E0_NS1_11comp_targetILNS1_3genE5ELNS1_11target_archE942ELNS1_3gpuE9ELNS1_3repE0EEENS1_30default_config_static_selectorELNS0_4arch9wavefront6targetE1EEEvT1_
	.globl	_ZN7rocprim17ROCPRIM_400000_NS6detail17trampoline_kernelINS0_14default_configENS1_20scan_config_selectorIlEEZZNS1_9scan_implILNS1_25lookback_scan_determinismE0ELb0ELb0ES3_PlS8_lN6thrust23THRUST_200600_302600_NS4plusIvEElEEDaPvRmT3_T4_T5_mT6_P12ihipStream_tbENKUlT_T0_E_clISt17integral_constantIbLb0EESQ_EEDaSL_SM_EUlSL_E0_NS1_11comp_targetILNS1_3genE5ELNS1_11target_archE942ELNS1_3gpuE9ELNS1_3repE0EEENS1_30default_config_static_selectorELNS0_4arch9wavefront6targetE1EEEvT1_
	.p2align	8
	.type	_ZN7rocprim17ROCPRIM_400000_NS6detail17trampoline_kernelINS0_14default_configENS1_20scan_config_selectorIlEEZZNS1_9scan_implILNS1_25lookback_scan_determinismE0ELb0ELb0ES3_PlS8_lN6thrust23THRUST_200600_302600_NS4plusIvEElEEDaPvRmT3_T4_T5_mT6_P12ihipStream_tbENKUlT_T0_E_clISt17integral_constantIbLb0EESQ_EEDaSL_SM_EUlSL_E0_NS1_11comp_targetILNS1_3genE5ELNS1_11target_archE942ELNS1_3gpuE9ELNS1_3repE0EEENS1_30default_config_static_selectorELNS0_4arch9wavefront6targetE1EEEvT1_,@function
_ZN7rocprim17ROCPRIM_400000_NS6detail17trampoline_kernelINS0_14default_configENS1_20scan_config_selectorIlEEZZNS1_9scan_implILNS1_25lookback_scan_determinismE0ELb0ELb0ES3_PlS8_lN6thrust23THRUST_200600_302600_NS4plusIvEElEEDaPvRmT3_T4_T5_mT6_P12ihipStream_tbENKUlT_T0_E_clISt17integral_constantIbLb0EESQ_EEDaSL_SM_EUlSL_E0_NS1_11comp_targetILNS1_3genE5ELNS1_11target_archE942ELNS1_3gpuE9ELNS1_3repE0EEENS1_30default_config_static_selectorELNS0_4arch9wavefront6targetE1EEEvT1_: ; @_ZN7rocprim17ROCPRIM_400000_NS6detail17trampoline_kernelINS0_14default_configENS1_20scan_config_selectorIlEEZZNS1_9scan_implILNS1_25lookback_scan_determinismE0ELb0ELb0ES3_PlS8_lN6thrust23THRUST_200600_302600_NS4plusIvEElEEDaPvRmT3_T4_T5_mT6_P12ihipStream_tbENKUlT_T0_E_clISt17integral_constantIbLb0EESQ_EEDaSL_SM_EUlSL_E0_NS1_11comp_targetILNS1_3genE5ELNS1_11target_archE942ELNS1_3gpuE9ELNS1_3repE0EEENS1_30default_config_static_selectorELNS0_4arch9wavefront6targetE1EEEvT1_
; %bb.0:
	s_load_dwordx4 s[36:39], s[0:1], 0x0
	v_lshlrev_b32_e32 v34, 3, v0
	s_waitcnt lgkmcnt(0)
	s_load_dwordx2 s[30:31], s[36:37], 0x0
	v_cmp_gt_u32_e32 vcc, s38, v0
	s_waitcnt lgkmcnt(0)
	v_mov_b64_e32 v[2:3], s[30:31]
	s_and_saveexec_b64 s[2:3], vcc
	s_cbranch_execz .LBB95_2
; %bb.1:
	global_load_dwordx2 v[2:3], v34, s[36:37]
.LBB95_2:
	s_or_b64 exec, exec, s[2:3]
	v_or_b32_e32 v1, 0x100, v0
	v_cmp_gt_u32_e64 s[28:29], s38, v1
	v_mov_b64_e32 v[4:5], s[30:31]
	s_and_saveexec_b64 s[2:3], s[28:29]
	s_cbranch_execz .LBB95_4
; %bb.3:
	global_load_dwordx2 v[4:5], v34, s[36:37] offset:2048
.LBB95_4:
	s_or_b64 exec, exec, s[2:3]
	v_or_b32_e32 v1, 0x200, v0
	v_cmp_gt_u32_e64 s[2:3], s38, v1
	v_mov_b64_e32 v[6:7], s[30:31]
	s_and_saveexec_b64 s[4:5], s[2:3]
	s_cbranch_execz .LBB95_6
; %bb.5:
	v_lshlrev_b32_e32 v1, 3, v1
	global_load_dwordx2 v[6:7], v1, s[36:37]
.LBB95_6:
	s_or_b64 exec, exec, s[4:5]
	v_or_b32_e32 v1, 0x300, v0
	v_cmp_gt_u32_e64 s[4:5], s38, v1
	v_mov_b64_e32 v[8:9], s[30:31]
	s_and_saveexec_b64 s[6:7], s[4:5]
	s_cbranch_execz .LBB95_8
; %bb.7:
	v_lshlrev_b32_e32 v1, 3, v1
	global_load_dwordx2 v[8:9], v1, s[36:37]
.LBB95_8:
	;; [unrolled: 10-line block ×13, first 2 shown]
	s_or_b64 exec, exec, s[30:31]
	s_movk_i32 s30, 0x70
	v_mad_u32_u24 v1, v0, s30, v34
	s_waitcnt vmcnt(0)
	ds_write2st64_b64 v34, v[2:3], v[4:5] offset1:4
	ds_write2st64_b64 v34, v[6:7], v[8:9] offset0:8 offset1:12
	ds_write2st64_b64 v34, v[10:11], v[12:13] offset0:16 offset1:20
	;; [unrolled: 1-line block ×6, first 2 shown]
	ds_write_b64 v34, v[30:31] offset:28672
	s_waitcnt lgkmcnt(0)
	s_barrier
	ds_read2_b64 v[2:5], v1 offset1:1
	ds_read2_b64 v[6:9], v1 offset0:2 offset1:3
	ds_read2_b64 v[10:13], v1 offset0:4 offset1:5
	ds_read2_b64 v[14:17], v1 offset0:6 offset1:7
	ds_read2_b64 v[18:21], v1 offset0:8 offset1:9
	ds_read2_b64 v[22:25], v1 offset0:10 offset1:11
	ds_read2_b64 v[26:29], v1 offset0:12 offset1:13
	ds_read_b64 v[64:65], v1 offset:112
	s_waitcnt lgkmcnt(7)
	v_lshl_add_u64 v[62:63], v[4:5], 0, v[2:3]
	s_waitcnt lgkmcnt(6)
	v_lshl_add_u64 v[58:59], v[62:63], 0, v[6:7]
	v_lshl_add_u64 v[60:61], v[58:59], 0, v[8:9]
	s_waitcnt lgkmcnt(5)
	v_lshl_add_u64 v[54:55], v[60:61], 0, v[10:11]
	;; [unrolled: 3-line block ×6, first 2 shown]
	v_lshrrev_b32_e32 v1, 2, v0
	v_lshl_add_u64 v[38:39], v[36:37], 0, v[28:29]
	v_and_b32_e32 v1, 56, v1
	s_waitcnt lgkmcnt(0)
	v_lshl_add_u64 v[40:41], v[38:39], 0, v[64:65]
	v_add_u32_e32 v1, v34, v1
	v_cmp_gt_u32_e64 s[30:31], 64, v0
	s_barrier
	ds_write_b64 v1, v[40:41]
	s_waitcnt lgkmcnt(0)
	s_barrier
	s_and_saveexec_b64 s[36:37], s[30:31]
	s_cbranch_execz .LBB95_34
; %bb.31:
	v_lshlrev_b32_e32 v1, 2, v0
	v_lshrrev_b32_e32 v30, 3, v0
	v_add_lshl_u32 v1, v30, v1, 3
	ds_read2_b64 v[30:33], v1 offset1:1
	ds_read2_b64 v[68:71], v1 offset0:2 offset1:3
	v_mov_b32_e32 v66, 0
	v_mbcnt_lo_u32_b32 v35, -1, 0
	v_mbcnt_hi_u32_b32 v35, -1, v35
	s_waitcnt lgkmcnt(1)
	v_lshl_add_u64 v[32:33], v[32:33], 0, v[30:31]
	s_waitcnt lgkmcnt(0)
	v_lshl_add_u64 v[32:33], v[32:33], 0, v[68:69]
	v_lshl_add_u64 v[32:33], v[32:33], 0, v[70:71]
	v_mov_b32_e32 v69, v66
	v_and_b32_e32 v72, 15, v35
	v_mov_b32_dpp v68, v32 row_shr:1 row_mask:0xf bank_mask:0xf
	v_mov_b32_dpp v67, v33 row_shr:1 row_mask:0xf bank_mask:0xf
	v_lshl_add_u64 v[68:69], v[32:33], 0, v[68:69]
	v_lshl_add_u64 v[70:71], v[66:67], 0, v[68:69]
	v_cmp_eq_u32_e64 s[30:31], 0, v72
	v_cmp_ne_u32_e64 s[34:35], 0, v35
	s_nop 0
	v_cndmask_b32_e64 v67, v68, v32, s[30:31]
	v_cndmask_b32_e64 v69, v71, v33, s[30:31]
	v_cndmask_b32_e64 v68, v70, v32, s[30:31]
	v_mov_b32_dpp v70, v67 row_shr:2 row_mask:0xf bank_mask:0xf
	v_mov_b32_dpp v71, v69 row_shr:2 row_mask:0xf bank_mask:0xf
	v_lshl_add_u64 v[70:71], v[70:71], 0, v[68:69]
	v_cmp_lt_u32_e64 s[30:31], 1, v72
	s_nop 1
	v_cndmask_b32_e64 v67, v67, v70, s[30:31]
	v_cndmask_b32_e64 v69, v69, v71, s[30:31]
	v_cndmask_b32_e64 v68, v68, v70, s[30:31]
	v_mov_b32_dpp v70, v67 row_shr:4 row_mask:0xf bank_mask:0xf
	v_mov_b32_dpp v71, v69 row_shr:4 row_mask:0xf bank_mask:0xf
	v_lshl_add_u64 v[70:71], v[70:71], 0, v[68:69]
	v_cmp_lt_u32_e64 s[30:31], 3, v72
	;; [unrolled: 8-line block ×3, first 2 shown]
	v_and_b32_e32 v72, 16, v35
	s_nop 0
	v_cndmask_b32_e64 v67, v67, v70, s[30:31]
	v_cndmask_b32_e64 v69, v69, v71, s[30:31]
	;; [unrolled: 1-line block ×3, first 2 shown]
	v_mov_b32_dpp v70, v67 row_bcast:15 row_mask:0xf bank_mask:0xf
	v_mov_b32_dpp v71, v69 row_bcast:15 row_mask:0xf bank_mask:0xf
	v_lshl_add_u64 v[70:71], v[70:71], 0, v[68:69]
	v_cmp_eq_u32_e64 s[30:31], 0, v72
	s_nop 1
	v_cndmask_b32_e64 v72, v71, v69, s[30:31]
	v_cndmask_b32_e64 v67, v70, v67, s[30:31]
	s_nop 0
	v_mov_b32_dpp v72, v72 row_bcast:31 row_mask:0xf bank_mask:0xf
	v_mov_b32_dpp v67, v67 row_bcast:31 row_mask:0xf bank_mask:0xf
	s_and_saveexec_b64 s[38:39], s[34:35]
; %bb.32:
	v_cndmask_b32_e64 v33, v71, v69, s[30:31]
	v_cndmask_b32_e64 v32, v70, v68, s[30:31]
	v_cmp_lt_u32_e64 s[30:31], 31, v35
	s_nop 1
	v_cndmask_b32_e64 v69, 0, v72, s[30:31]
	v_cndmask_b32_e64 v68, 0, v67, s[30:31]
	v_lshl_add_u64 v[32:33], v[68:69], 0, v[32:33]
; %bb.33:
	s_or_b64 exec, exec, s[38:39]
	v_add_u32_e32 v67, -1, v35
	v_and_b32_e32 v68, 64, v35
	v_cmp_lt_i32_e64 s[30:31], v67, v68
	; wave barrier
	s_nop 1
	v_cndmask_b32_e64 v35, v67, v35, s[30:31]
	v_lshlrev_b32_e32 v35, 2, v35
	ds_bpermute_b32 v32, v35, v32
	ds_bpermute_b32 v67, v35, v33
	v_mov_b32_e32 v33, v66
	v_cmp_eq_u32_e64 s[30:31], 0, v0
	s_waitcnt lgkmcnt(1)
	v_lshl_add_u64 v[30:31], v[30:31], 0, v[32:33]
	s_waitcnt lgkmcnt(0)
	v_lshl_add_u64 v[30:31], v[30:31], 0, v[66:67]
	v_cndmask_b32_e64 v67, v31, v41, s[30:31]
	v_cndmask_b32_e64 v66, v30, v40, s[30:31]
	ds_write_b64 v1, v[66:67]
	; wave barrier
	ds_read2_b64 v[30:33], v1 offset0:1 offset1:2
	ds_read_b64 v[68:69], v1 offset:24
	s_waitcnt lgkmcnt(1)
	v_lshl_add_u64 v[30:31], v[30:31], 0, v[66:67]
	v_lshl_add_u64 v[32:33], v[32:33], 0, v[30:31]
	ds_write2_b64 v1, v[30:31], v[32:33] offset0:1 offset1:2
	s_waitcnt lgkmcnt(1)
	v_lshl_add_u64 v[30:31], v[68:69], 0, v[32:33]
	ds_write_b64 v1, v[30:31] offset:24
.LBB95_34:
	s_or_b64 exec, exec, s[36:37]
	s_load_dwordx2 s[30:31], s[0:1], 0x20
	v_mul_u32_u24_e32 v1, 0x70, v0
	v_cmp_ne_u32_e64 s[0:1], 0, v0
	v_mov_b64_e32 v[30:31], v[40:41]
	s_waitcnt lgkmcnt(0)
	s_barrier
	s_and_saveexec_b64 s[34:35], s[0:1]
	s_cbranch_execz .LBB95_36
; %bb.35:
	v_add_u32_e32 v0, -1, v0
	v_lshrrev_b32_e32 v30, 5, v0
	v_add_lshl_u32 v0, v30, v0, 3
	ds_read_b64 v[30:31], v0
.LBB95_36:
	s_or_b64 exec, exec, s[34:35]
	s_and_saveexec_b64 s[34:35], s[0:1]
	s_cbranch_execz .LBB95_38
; %bb.37:
	s_waitcnt lgkmcnt(0)
	v_lshl_add_u64 v[2:3], v[30:31], 0, v[2:3]
	v_lshl_add_u64 v[62:63], v[2:3], 0, v[4:5]
	;; [unrolled: 1-line block ×15, first 2 shown]
	;;#ASMSTART
	;;#ASMEND
.LBB95_38:
	s_or_b64 exec, exec, s[34:35]
	v_add_u32_e32 v0, v34, v1
	s_waitcnt lgkmcnt(0)
	s_barrier
	ds_write2_b64 v0, v[2:3], v[62:63] offset1:1
	ds_write2_b64 v0, v[58:59], v[60:61] offset0:2 offset1:3
	ds_write2_b64 v0, v[54:55], v[56:57] offset0:4 offset1:5
	;; [unrolled: 1-line block ×6, first 2 shown]
	ds_write_b64 v0, v[40:41] offset:112
	s_waitcnt lgkmcnt(0)
	s_barrier
	ds_read2st64_b64 v[24:27], v34 offset0:4 offset1:8
	ds_read2st64_b64 v[20:23], v34 offset0:12 offset1:16
	ds_read2st64_b64 v[16:19], v34 offset0:20 offset1:24
	ds_read2st64_b64 v[12:15], v34 offset0:28 offset1:32
	ds_read2st64_b64 v[8:11], v34 offset0:36 offset1:40
	ds_read2st64_b64 v[4:7], v34 offset0:44 offset1:48
	ds_read2st64_b64 v[0:3], v34 offset0:52 offset1:56
	v_mov_b32_e32 v35, 0
	v_lshl_add_u64 v[28:29], s[30:31], 0, v[34:35]
	s_and_saveexec_b64 s[0:1], vcc
	s_cbranch_execnz .LBB95_54
; %bb.39:
	s_or_b64 exec, exec, s[0:1]
	s_and_saveexec_b64 s[0:1], s[28:29]
	s_cbranch_execnz .LBB95_55
.LBB95_40:
	s_or_b64 exec, exec, s[0:1]
	s_and_saveexec_b64 s[0:1], s[2:3]
	s_cbranch_execnz .LBB95_56
.LBB95_41:
	s_or_b64 exec, exec, s[0:1]
	s_and_saveexec_b64 s[0:1], s[4:5]
	s_cbranch_execnz .LBB95_57
.LBB95_42:
	s_or_b64 exec, exec, s[0:1]
	s_and_saveexec_b64 s[0:1], s[6:7]
	s_cbranch_execnz .LBB95_58
.LBB95_43:
	s_or_b64 exec, exec, s[0:1]
	s_and_saveexec_b64 s[0:1], s[8:9]
	s_cbranch_execnz .LBB95_59
.LBB95_44:
	s_or_b64 exec, exec, s[0:1]
	s_and_saveexec_b64 s[0:1], s[10:11]
	s_cbranch_execnz .LBB95_60
.LBB95_45:
	s_or_b64 exec, exec, s[0:1]
	s_and_saveexec_b64 s[0:1], s[12:13]
	s_cbranch_execnz .LBB95_61
.LBB95_46:
	s_or_b64 exec, exec, s[0:1]
	s_and_saveexec_b64 s[0:1], s[14:15]
	s_cbranch_execnz .LBB95_62
.LBB95_47:
	s_or_b64 exec, exec, s[0:1]
	s_and_saveexec_b64 s[0:1], s[16:17]
	s_cbranch_execnz .LBB95_63
.LBB95_48:
	s_or_b64 exec, exec, s[0:1]
	s_and_saveexec_b64 s[0:1], s[18:19]
	s_cbranch_execnz .LBB95_64
.LBB95_49:
	s_or_b64 exec, exec, s[0:1]
	s_and_saveexec_b64 s[0:1], s[20:21]
	s_cbranch_execnz .LBB95_65
.LBB95_50:
	s_or_b64 exec, exec, s[0:1]
	s_and_saveexec_b64 s[0:1], s[22:23]
	s_cbranch_execnz .LBB95_66
.LBB95_51:
	s_or_b64 exec, exec, s[0:1]
	s_and_saveexec_b64 s[0:1], s[24:25]
	s_cbranch_execnz .LBB95_67
.LBB95_52:
	s_or_b64 exec, exec, s[0:1]
	s_and_saveexec_b64 s[0:1], s[26:27]
	s_cbranch_execnz .LBB95_68
.LBB95_53:
	s_endpgm
.LBB95_54:
	ds_read_b64 v[30:31], v34
	s_waitcnt lgkmcnt(0)
	global_store_dwordx2 v[28:29], v[30:31], off
	s_or_b64 exec, exec, s[0:1]
	s_and_saveexec_b64 s[0:1], s[28:29]
	s_cbranch_execz .LBB95_40
.LBB95_55:
	s_waitcnt lgkmcnt(6)
	global_store_dwordx2 v[28:29], v[24:25], off offset:2048
	s_or_b64 exec, exec, s[0:1]
	s_and_saveexec_b64 s[0:1], s[2:3]
	s_cbranch_execz .LBB95_41
.LBB95_56:
	s_waitcnt lgkmcnt(6)
	v_add_co_u32_e32 v24, vcc, 0x1000, v28
	s_nop 1
	v_addc_co_u32_e32 v25, vcc, 0, v29, vcc
	global_store_dwordx2 v[24:25], v[26:27], off
	s_or_b64 exec, exec, s[0:1]
	s_and_saveexec_b64 s[0:1], s[4:5]
	s_cbranch_execz .LBB95_42
.LBB95_57:
	s_waitcnt lgkmcnt(6)
	v_add_co_u32_e32 v24, vcc, 0x1000, v28
	s_nop 1
	v_addc_co_u32_e32 v25, vcc, 0, v29, vcc
	s_waitcnt lgkmcnt(5)
	global_store_dwordx2 v[24:25], v[20:21], off offset:2048
	s_or_b64 exec, exec, s[0:1]
	s_and_saveexec_b64 s[0:1], s[6:7]
	s_cbranch_execz .LBB95_43
.LBB95_58:
	s_waitcnt lgkmcnt(5)
	v_add_co_u32_e32 v20, vcc, 0x2000, v28
	s_nop 1
	v_addc_co_u32_e32 v21, vcc, 0, v29, vcc
	global_store_dwordx2 v[20:21], v[22:23], off
	s_or_b64 exec, exec, s[0:1]
	s_and_saveexec_b64 s[0:1], s[8:9]
	s_cbranch_execz .LBB95_44
.LBB95_59:
	s_waitcnt lgkmcnt(5)
	v_add_co_u32_e32 v20, vcc, 0x2000, v28
	s_nop 1
	v_addc_co_u32_e32 v21, vcc, 0, v29, vcc
	s_waitcnt lgkmcnt(4)
	global_store_dwordx2 v[20:21], v[16:17], off offset:2048
	s_or_b64 exec, exec, s[0:1]
	s_and_saveexec_b64 s[0:1], s[10:11]
	s_cbranch_execz .LBB95_45
.LBB95_60:
	s_waitcnt lgkmcnt(4)
	v_add_co_u32_e32 v16, vcc, 0x3000, v28
	s_nop 1
	v_addc_co_u32_e32 v17, vcc, 0, v29, vcc
	global_store_dwordx2 v[16:17], v[18:19], off
	s_or_b64 exec, exec, s[0:1]
	s_and_saveexec_b64 s[0:1], s[12:13]
	s_cbranch_execz .LBB95_46
.LBB95_61:
	s_waitcnt lgkmcnt(4)
	v_add_co_u32_e32 v16, vcc, 0x3000, v28
	s_nop 1
	v_addc_co_u32_e32 v17, vcc, 0, v29, vcc
	s_waitcnt lgkmcnt(3)
	global_store_dwordx2 v[16:17], v[12:13], off offset:2048
	s_or_b64 exec, exec, s[0:1]
	s_and_saveexec_b64 s[0:1], s[14:15]
	s_cbranch_execz .LBB95_47
.LBB95_62:
	s_waitcnt lgkmcnt(3)
	v_add_co_u32_e32 v12, vcc, 0x4000, v28
	s_nop 1
	v_addc_co_u32_e32 v13, vcc, 0, v29, vcc
	global_store_dwordx2 v[12:13], v[14:15], off
	s_or_b64 exec, exec, s[0:1]
	s_and_saveexec_b64 s[0:1], s[16:17]
	s_cbranch_execz .LBB95_48
.LBB95_63:
	s_waitcnt lgkmcnt(3)
	v_add_co_u32_e32 v12, vcc, 0x4000, v28
	s_nop 1
	v_addc_co_u32_e32 v13, vcc, 0, v29, vcc
	s_waitcnt lgkmcnt(2)
	global_store_dwordx2 v[12:13], v[8:9], off offset:2048
	s_or_b64 exec, exec, s[0:1]
	s_and_saveexec_b64 s[0:1], s[18:19]
	s_cbranch_execz .LBB95_49
.LBB95_64:
	s_waitcnt lgkmcnt(2)
	v_add_co_u32_e32 v8, vcc, 0x5000, v28
	s_nop 1
	v_addc_co_u32_e32 v9, vcc, 0, v29, vcc
	global_store_dwordx2 v[8:9], v[10:11], off
	s_or_b64 exec, exec, s[0:1]
	s_and_saveexec_b64 s[0:1], s[20:21]
	s_cbranch_execz .LBB95_50
.LBB95_65:
	s_waitcnt lgkmcnt(2)
	v_add_co_u32_e32 v8, vcc, 0x5000, v28
	s_nop 1
	v_addc_co_u32_e32 v9, vcc, 0, v29, vcc
	s_waitcnt lgkmcnt(1)
	global_store_dwordx2 v[8:9], v[4:5], off offset:2048
	s_or_b64 exec, exec, s[0:1]
	s_and_saveexec_b64 s[0:1], s[22:23]
	s_cbranch_execz .LBB95_51
.LBB95_66:
	s_waitcnt lgkmcnt(1)
	v_add_co_u32_e32 v4, vcc, 0x6000, v28
	s_nop 1
	v_addc_co_u32_e32 v5, vcc, 0, v29, vcc
	global_store_dwordx2 v[4:5], v[6:7], off
	s_or_b64 exec, exec, s[0:1]
	s_and_saveexec_b64 s[0:1], s[24:25]
	s_cbranch_execz .LBB95_52
.LBB95_67:
	s_waitcnt lgkmcnt(1)
	v_add_co_u32_e32 v4, vcc, 0x6000, v28
	s_nop 1
	v_addc_co_u32_e32 v5, vcc, 0, v29, vcc
	s_waitcnt lgkmcnt(0)
	global_store_dwordx2 v[4:5], v[0:1], off offset:2048
	s_or_b64 exec, exec, s[0:1]
	s_and_saveexec_b64 s[0:1], s[26:27]
	s_cbranch_execz .LBB95_53
.LBB95_68:
	s_waitcnt lgkmcnt(0)
	v_add_co_u32_e32 v0, vcc, 0x7000, v28
	s_nop 1
	v_addc_co_u32_e32 v1, vcc, 0, v29, vcc
	global_store_dwordx2 v[0:1], v[2:3], off
	s_endpgm
	.section	.rodata,"a",@progbits
	.p2align	6, 0x0
	.amdhsa_kernel _ZN7rocprim17ROCPRIM_400000_NS6detail17trampoline_kernelINS0_14default_configENS1_20scan_config_selectorIlEEZZNS1_9scan_implILNS1_25lookback_scan_determinismE0ELb0ELb0ES3_PlS8_lN6thrust23THRUST_200600_302600_NS4plusIvEElEEDaPvRmT3_T4_T5_mT6_P12ihipStream_tbENKUlT_T0_E_clISt17integral_constantIbLb0EESQ_EEDaSL_SM_EUlSL_E0_NS1_11comp_targetILNS1_3genE5ELNS1_11target_archE942ELNS1_3gpuE9ELNS1_3repE0EEENS1_30default_config_static_selectorELNS0_4arch9wavefront6targetE1EEEvT1_
		.amdhsa_group_segment_fixed_size 30720
		.amdhsa_private_segment_fixed_size 0
		.amdhsa_kernarg_size 40
		.amdhsa_user_sgpr_count 2
		.amdhsa_user_sgpr_dispatch_ptr 0
		.amdhsa_user_sgpr_queue_ptr 0
		.amdhsa_user_sgpr_kernarg_segment_ptr 1
		.amdhsa_user_sgpr_dispatch_id 0
		.amdhsa_user_sgpr_kernarg_preload_length 0
		.amdhsa_user_sgpr_kernarg_preload_offset 0
		.amdhsa_user_sgpr_private_segment_size 0
		.amdhsa_uses_dynamic_stack 0
		.amdhsa_enable_private_segment 0
		.amdhsa_system_sgpr_workgroup_id_x 1
		.amdhsa_system_sgpr_workgroup_id_y 0
		.amdhsa_system_sgpr_workgroup_id_z 0
		.amdhsa_system_sgpr_workgroup_info 0
		.amdhsa_system_vgpr_workitem_id 0
		.amdhsa_next_free_vgpr 73
		.amdhsa_next_free_sgpr 40
		.amdhsa_accum_offset 76
		.amdhsa_reserve_vcc 1
		.amdhsa_float_round_mode_32 0
		.amdhsa_float_round_mode_16_64 0
		.amdhsa_float_denorm_mode_32 3
		.amdhsa_float_denorm_mode_16_64 3
		.amdhsa_dx10_clamp 1
		.amdhsa_ieee_mode 1
		.amdhsa_fp16_overflow 0
		.amdhsa_tg_split 0
		.amdhsa_exception_fp_ieee_invalid_op 0
		.amdhsa_exception_fp_denorm_src 0
		.amdhsa_exception_fp_ieee_div_zero 0
		.amdhsa_exception_fp_ieee_overflow 0
		.amdhsa_exception_fp_ieee_underflow 0
		.amdhsa_exception_fp_ieee_inexact 0
		.amdhsa_exception_int_div_zero 0
	.end_amdhsa_kernel
	.section	.text._ZN7rocprim17ROCPRIM_400000_NS6detail17trampoline_kernelINS0_14default_configENS1_20scan_config_selectorIlEEZZNS1_9scan_implILNS1_25lookback_scan_determinismE0ELb0ELb0ES3_PlS8_lN6thrust23THRUST_200600_302600_NS4plusIvEElEEDaPvRmT3_T4_T5_mT6_P12ihipStream_tbENKUlT_T0_E_clISt17integral_constantIbLb0EESQ_EEDaSL_SM_EUlSL_E0_NS1_11comp_targetILNS1_3genE5ELNS1_11target_archE942ELNS1_3gpuE9ELNS1_3repE0EEENS1_30default_config_static_selectorELNS0_4arch9wavefront6targetE1EEEvT1_,"axG",@progbits,_ZN7rocprim17ROCPRIM_400000_NS6detail17trampoline_kernelINS0_14default_configENS1_20scan_config_selectorIlEEZZNS1_9scan_implILNS1_25lookback_scan_determinismE0ELb0ELb0ES3_PlS8_lN6thrust23THRUST_200600_302600_NS4plusIvEElEEDaPvRmT3_T4_T5_mT6_P12ihipStream_tbENKUlT_T0_E_clISt17integral_constantIbLb0EESQ_EEDaSL_SM_EUlSL_E0_NS1_11comp_targetILNS1_3genE5ELNS1_11target_archE942ELNS1_3gpuE9ELNS1_3repE0EEENS1_30default_config_static_selectorELNS0_4arch9wavefront6targetE1EEEvT1_,comdat
.Lfunc_end95:
	.size	_ZN7rocprim17ROCPRIM_400000_NS6detail17trampoline_kernelINS0_14default_configENS1_20scan_config_selectorIlEEZZNS1_9scan_implILNS1_25lookback_scan_determinismE0ELb0ELb0ES3_PlS8_lN6thrust23THRUST_200600_302600_NS4plusIvEElEEDaPvRmT3_T4_T5_mT6_P12ihipStream_tbENKUlT_T0_E_clISt17integral_constantIbLb0EESQ_EEDaSL_SM_EUlSL_E0_NS1_11comp_targetILNS1_3genE5ELNS1_11target_archE942ELNS1_3gpuE9ELNS1_3repE0EEENS1_30default_config_static_selectorELNS0_4arch9wavefront6targetE1EEEvT1_, .Lfunc_end95-_ZN7rocprim17ROCPRIM_400000_NS6detail17trampoline_kernelINS0_14default_configENS1_20scan_config_selectorIlEEZZNS1_9scan_implILNS1_25lookback_scan_determinismE0ELb0ELb0ES3_PlS8_lN6thrust23THRUST_200600_302600_NS4plusIvEElEEDaPvRmT3_T4_T5_mT6_P12ihipStream_tbENKUlT_T0_E_clISt17integral_constantIbLb0EESQ_EEDaSL_SM_EUlSL_E0_NS1_11comp_targetILNS1_3genE5ELNS1_11target_archE942ELNS1_3gpuE9ELNS1_3repE0EEENS1_30default_config_static_selectorELNS0_4arch9wavefront6targetE1EEEvT1_
                                        ; -- End function
	.section	.AMDGPU.csdata,"",@progbits
; Kernel info:
; codeLenInByte = 2804
; NumSgprs: 46
; NumVgprs: 73
; NumAgprs: 0
; TotalNumVgprs: 73
; ScratchSize: 0
; MemoryBound: 0
; FloatMode: 240
; IeeeMode: 1
; LDSByteSize: 30720 bytes/workgroup (compile time only)
; SGPRBlocks: 5
; VGPRBlocks: 9
; NumSGPRsForWavesPerEU: 46
; NumVGPRsForWavesPerEU: 73
; AccumOffset: 76
; Occupancy: 2
; WaveLimiterHint : 0
; COMPUTE_PGM_RSRC2:SCRATCH_EN: 0
; COMPUTE_PGM_RSRC2:USER_SGPR: 2
; COMPUTE_PGM_RSRC2:TRAP_HANDLER: 0
; COMPUTE_PGM_RSRC2:TGID_X_EN: 1
; COMPUTE_PGM_RSRC2:TGID_Y_EN: 0
; COMPUTE_PGM_RSRC2:TGID_Z_EN: 0
; COMPUTE_PGM_RSRC2:TIDIG_COMP_CNT: 0
; COMPUTE_PGM_RSRC3_GFX90A:ACCUM_OFFSET: 18
; COMPUTE_PGM_RSRC3_GFX90A:TG_SPLIT: 0
	.section	.text._ZN7rocprim17ROCPRIM_400000_NS6detail17trampoline_kernelINS0_14default_configENS1_20scan_config_selectorIlEEZZNS1_9scan_implILNS1_25lookback_scan_determinismE0ELb0ELb0ES3_PlS8_lN6thrust23THRUST_200600_302600_NS4plusIvEElEEDaPvRmT3_T4_T5_mT6_P12ihipStream_tbENKUlT_T0_E_clISt17integral_constantIbLb0EESQ_EEDaSL_SM_EUlSL_E0_NS1_11comp_targetILNS1_3genE4ELNS1_11target_archE910ELNS1_3gpuE8ELNS1_3repE0EEENS1_30default_config_static_selectorELNS0_4arch9wavefront6targetE1EEEvT1_,"axG",@progbits,_ZN7rocprim17ROCPRIM_400000_NS6detail17trampoline_kernelINS0_14default_configENS1_20scan_config_selectorIlEEZZNS1_9scan_implILNS1_25lookback_scan_determinismE0ELb0ELb0ES3_PlS8_lN6thrust23THRUST_200600_302600_NS4plusIvEElEEDaPvRmT3_T4_T5_mT6_P12ihipStream_tbENKUlT_T0_E_clISt17integral_constantIbLb0EESQ_EEDaSL_SM_EUlSL_E0_NS1_11comp_targetILNS1_3genE4ELNS1_11target_archE910ELNS1_3gpuE8ELNS1_3repE0EEENS1_30default_config_static_selectorELNS0_4arch9wavefront6targetE1EEEvT1_,comdat
	.protected	_ZN7rocprim17ROCPRIM_400000_NS6detail17trampoline_kernelINS0_14default_configENS1_20scan_config_selectorIlEEZZNS1_9scan_implILNS1_25lookback_scan_determinismE0ELb0ELb0ES3_PlS8_lN6thrust23THRUST_200600_302600_NS4plusIvEElEEDaPvRmT3_T4_T5_mT6_P12ihipStream_tbENKUlT_T0_E_clISt17integral_constantIbLb0EESQ_EEDaSL_SM_EUlSL_E0_NS1_11comp_targetILNS1_3genE4ELNS1_11target_archE910ELNS1_3gpuE8ELNS1_3repE0EEENS1_30default_config_static_selectorELNS0_4arch9wavefront6targetE1EEEvT1_ ; -- Begin function _ZN7rocprim17ROCPRIM_400000_NS6detail17trampoline_kernelINS0_14default_configENS1_20scan_config_selectorIlEEZZNS1_9scan_implILNS1_25lookback_scan_determinismE0ELb0ELb0ES3_PlS8_lN6thrust23THRUST_200600_302600_NS4plusIvEElEEDaPvRmT3_T4_T5_mT6_P12ihipStream_tbENKUlT_T0_E_clISt17integral_constantIbLb0EESQ_EEDaSL_SM_EUlSL_E0_NS1_11comp_targetILNS1_3genE4ELNS1_11target_archE910ELNS1_3gpuE8ELNS1_3repE0EEENS1_30default_config_static_selectorELNS0_4arch9wavefront6targetE1EEEvT1_
	.globl	_ZN7rocprim17ROCPRIM_400000_NS6detail17trampoline_kernelINS0_14default_configENS1_20scan_config_selectorIlEEZZNS1_9scan_implILNS1_25lookback_scan_determinismE0ELb0ELb0ES3_PlS8_lN6thrust23THRUST_200600_302600_NS4plusIvEElEEDaPvRmT3_T4_T5_mT6_P12ihipStream_tbENKUlT_T0_E_clISt17integral_constantIbLb0EESQ_EEDaSL_SM_EUlSL_E0_NS1_11comp_targetILNS1_3genE4ELNS1_11target_archE910ELNS1_3gpuE8ELNS1_3repE0EEENS1_30default_config_static_selectorELNS0_4arch9wavefront6targetE1EEEvT1_
	.p2align	8
	.type	_ZN7rocprim17ROCPRIM_400000_NS6detail17trampoline_kernelINS0_14default_configENS1_20scan_config_selectorIlEEZZNS1_9scan_implILNS1_25lookback_scan_determinismE0ELb0ELb0ES3_PlS8_lN6thrust23THRUST_200600_302600_NS4plusIvEElEEDaPvRmT3_T4_T5_mT6_P12ihipStream_tbENKUlT_T0_E_clISt17integral_constantIbLb0EESQ_EEDaSL_SM_EUlSL_E0_NS1_11comp_targetILNS1_3genE4ELNS1_11target_archE910ELNS1_3gpuE8ELNS1_3repE0EEENS1_30default_config_static_selectorELNS0_4arch9wavefront6targetE1EEEvT1_,@function
_ZN7rocprim17ROCPRIM_400000_NS6detail17trampoline_kernelINS0_14default_configENS1_20scan_config_selectorIlEEZZNS1_9scan_implILNS1_25lookback_scan_determinismE0ELb0ELb0ES3_PlS8_lN6thrust23THRUST_200600_302600_NS4plusIvEElEEDaPvRmT3_T4_T5_mT6_P12ihipStream_tbENKUlT_T0_E_clISt17integral_constantIbLb0EESQ_EEDaSL_SM_EUlSL_E0_NS1_11comp_targetILNS1_3genE4ELNS1_11target_archE910ELNS1_3gpuE8ELNS1_3repE0EEENS1_30default_config_static_selectorELNS0_4arch9wavefront6targetE1EEEvT1_: ; @_ZN7rocprim17ROCPRIM_400000_NS6detail17trampoline_kernelINS0_14default_configENS1_20scan_config_selectorIlEEZZNS1_9scan_implILNS1_25lookback_scan_determinismE0ELb0ELb0ES3_PlS8_lN6thrust23THRUST_200600_302600_NS4plusIvEElEEDaPvRmT3_T4_T5_mT6_P12ihipStream_tbENKUlT_T0_E_clISt17integral_constantIbLb0EESQ_EEDaSL_SM_EUlSL_E0_NS1_11comp_targetILNS1_3genE4ELNS1_11target_archE910ELNS1_3gpuE8ELNS1_3repE0EEENS1_30default_config_static_selectorELNS0_4arch9wavefront6targetE1EEEvT1_
; %bb.0:
	.section	.rodata,"a",@progbits
	.p2align	6, 0x0
	.amdhsa_kernel _ZN7rocprim17ROCPRIM_400000_NS6detail17trampoline_kernelINS0_14default_configENS1_20scan_config_selectorIlEEZZNS1_9scan_implILNS1_25lookback_scan_determinismE0ELb0ELb0ES3_PlS8_lN6thrust23THRUST_200600_302600_NS4plusIvEElEEDaPvRmT3_T4_T5_mT6_P12ihipStream_tbENKUlT_T0_E_clISt17integral_constantIbLb0EESQ_EEDaSL_SM_EUlSL_E0_NS1_11comp_targetILNS1_3genE4ELNS1_11target_archE910ELNS1_3gpuE8ELNS1_3repE0EEENS1_30default_config_static_selectorELNS0_4arch9wavefront6targetE1EEEvT1_
		.amdhsa_group_segment_fixed_size 0
		.amdhsa_private_segment_fixed_size 0
		.amdhsa_kernarg_size 40
		.amdhsa_user_sgpr_count 2
		.amdhsa_user_sgpr_dispatch_ptr 0
		.amdhsa_user_sgpr_queue_ptr 0
		.amdhsa_user_sgpr_kernarg_segment_ptr 1
		.amdhsa_user_sgpr_dispatch_id 0
		.amdhsa_user_sgpr_kernarg_preload_length 0
		.amdhsa_user_sgpr_kernarg_preload_offset 0
		.amdhsa_user_sgpr_private_segment_size 0
		.amdhsa_uses_dynamic_stack 0
		.amdhsa_enable_private_segment 0
		.amdhsa_system_sgpr_workgroup_id_x 1
		.amdhsa_system_sgpr_workgroup_id_y 0
		.amdhsa_system_sgpr_workgroup_id_z 0
		.amdhsa_system_sgpr_workgroup_info 0
		.amdhsa_system_vgpr_workitem_id 0
		.amdhsa_next_free_vgpr 1
		.amdhsa_next_free_sgpr 0
		.amdhsa_accum_offset 4
		.amdhsa_reserve_vcc 0
		.amdhsa_float_round_mode_32 0
		.amdhsa_float_round_mode_16_64 0
		.amdhsa_float_denorm_mode_32 3
		.amdhsa_float_denorm_mode_16_64 3
		.amdhsa_dx10_clamp 1
		.amdhsa_ieee_mode 1
		.amdhsa_fp16_overflow 0
		.amdhsa_tg_split 0
		.amdhsa_exception_fp_ieee_invalid_op 0
		.amdhsa_exception_fp_denorm_src 0
		.amdhsa_exception_fp_ieee_div_zero 0
		.amdhsa_exception_fp_ieee_overflow 0
		.amdhsa_exception_fp_ieee_underflow 0
		.amdhsa_exception_fp_ieee_inexact 0
		.amdhsa_exception_int_div_zero 0
	.end_amdhsa_kernel
	.section	.text._ZN7rocprim17ROCPRIM_400000_NS6detail17trampoline_kernelINS0_14default_configENS1_20scan_config_selectorIlEEZZNS1_9scan_implILNS1_25lookback_scan_determinismE0ELb0ELb0ES3_PlS8_lN6thrust23THRUST_200600_302600_NS4plusIvEElEEDaPvRmT3_T4_T5_mT6_P12ihipStream_tbENKUlT_T0_E_clISt17integral_constantIbLb0EESQ_EEDaSL_SM_EUlSL_E0_NS1_11comp_targetILNS1_3genE4ELNS1_11target_archE910ELNS1_3gpuE8ELNS1_3repE0EEENS1_30default_config_static_selectorELNS0_4arch9wavefront6targetE1EEEvT1_,"axG",@progbits,_ZN7rocprim17ROCPRIM_400000_NS6detail17trampoline_kernelINS0_14default_configENS1_20scan_config_selectorIlEEZZNS1_9scan_implILNS1_25lookback_scan_determinismE0ELb0ELb0ES3_PlS8_lN6thrust23THRUST_200600_302600_NS4plusIvEElEEDaPvRmT3_T4_T5_mT6_P12ihipStream_tbENKUlT_T0_E_clISt17integral_constantIbLb0EESQ_EEDaSL_SM_EUlSL_E0_NS1_11comp_targetILNS1_3genE4ELNS1_11target_archE910ELNS1_3gpuE8ELNS1_3repE0EEENS1_30default_config_static_selectorELNS0_4arch9wavefront6targetE1EEEvT1_,comdat
.Lfunc_end96:
	.size	_ZN7rocprim17ROCPRIM_400000_NS6detail17trampoline_kernelINS0_14default_configENS1_20scan_config_selectorIlEEZZNS1_9scan_implILNS1_25lookback_scan_determinismE0ELb0ELb0ES3_PlS8_lN6thrust23THRUST_200600_302600_NS4plusIvEElEEDaPvRmT3_T4_T5_mT6_P12ihipStream_tbENKUlT_T0_E_clISt17integral_constantIbLb0EESQ_EEDaSL_SM_EUlSL_E0_NS1_11comp_targetILNS1_3genE4ELNS1_11target_archE910ELNS1_3gpuE8ELNS1_3repE0EEENS1_30default_config_static_selectorELNS0_4arch9wavefront6targetE1EEEvT1_, .Lfunc_end96-_ZN7rocprim17ROCPRIM_400000_NS6detail17trampoline_kernelINS0_14default_configENS1_20scan_config_selectorIlEEZZNS1_9scan_implILNS1_25lookback_scan_determinismE0ELb0ELb0ES3_PlS8_lN6thrust23THRUST_200600_302600_NS4plusIvEElEEDaPvRmT3_T4_T5_mT6_P12ihipStream_tbENKUlT_T0_E_clISt17integral_constantIbLb0EESQ_EEDaSL_SM_EUlSL_E0_NS1_11comp_targetILNS1_3genE4ELNS1_11target_archE910ELNS1_3gpuE8ELNS1_3repE0EEENS1_30default_config_static_selectorELNS0_4arch9wavefront6targetE1EEEvT1_
                                        ; -- End function
	.section	.AMDGPU.csdata,"",@progbits
; Kernel info:
; codeLenInByte = 0
; NumSgprs: 6
; NumVgprs: 0
; NumAgprs: 0
; TotalNumVgprs: 0
; ScratchSize: 0
; MemoryBound: 0
; FloatMode: 240
; IeeeMode: 1
; LDSByteSize: 0 bytes/workgroup (compile time only)
; SGPRBlocks: 0
; VGPRBlocks: 0
; NumSGPRsForWavesPerEU: 6
; NumVGPRsForWavesPerEU: 1
; AccumOffset: 4
; Occupancy: 8
; WaveLimiterHint : 0
; COMPUTE_PGM_RSRC2:SCRATCH_EN: 0
; COMPUTE_PGM_RSRC2:USER_SGPR: 2
; COMPUTE_PGM_RSRC2:TRAP_HANDLER: 0
; COMPUTE_PGM_RSRC2:TGID_X_EN: 1
; COMPUTE_PGM_RSRC2:TGID_Y_EN: 0
; COMPUTE_PGM_RSRC2:TGID_Z_EN: 0
; COMPUTE_PGM_RSRC2:TIDIG_COMP_CNT: 0
; COMPUTE_PGM_RSRC3_GFX90A:ACCUM_OFFSET: 0
; COMPUTE_PGM_RSRC3_GFX90A:TG_SPLIT: 0
	.section	.text._ZN7rocprim17ROCPRIM_400000_NS6detail17trampoline_kernelINS0_14default_configENS1_20scan_config_selectorIlEEZZNS1_9scan_implILNS1_25lookback_scan_determinismE0ELb0ELb0ES3_PlS8_lN6thrust23THRUST_200600_302600_NS4plusIvEElEEDaPvRmT3_T4_T5_mT6_P12ihipStream_tbENKUlT_T0_E_clISt17integral_constantIbLb0EESQ_EEDaSL_SM_EUlSL_E0_NS1_11comp_targetILNS1_3genE3ELNS1_11target_archE908ELNS1_3gpuE7ELNS1_3repE0EEENS1_30default_config_static_selectorELNS0_4arch9wavefront6targetE1EEEvT1_,"axG",@progbits,_ZN7rocprim17ROCPRIM_400000_NS6detail17trampoline_kernelINS0_14default_configENS1_20scan_config_selectorIlEEZZNS1_9scan_implILNS1_25lookback_scan_determinismE0ELb0ELb0ES3_PlS8_lN6thrust23THRUST_200600_302600_NS4plusIvEElEEDaPvRmT3_T4_T5_mT6_P12ihipStream_tbENKUlT_T0_E_clISt17integral_constantIbLb0EESQ_EEDaSL_SM_EUlSL_E0_NS1_11comp_targetILNS1_3genE3ELNS1_11target_archE908ELNS1_3gpuE7ELNS1_3repE0EEENS1_30default_config_static_selectorELNS0_4arch9wavefront6targetE1EEEvT1_,comdat
	.protected	_ZN7rocprim17ROCPRIM_400000_NS6detail17trampoline_kernelINS0_14default_configENS1_20scan_config_selectorIlEEZZNS1_9scan_implILNS1_25lookback_scan_determinismE0ELb0ELb0ES3_PlS8_lN6thrust23THRUST_200600_302600_NS4plusIvEElEEDaPvRmT3_T4_T5_mT6_P12ihipStream_tbENKUlT_T0_E_clISt17integral_constantIbLb0EESQ_EEDaSL_SM_EUlSL_E0_NS1_11comp_targetILNS1_3genE3ELNS1_11target_archE908ELNS1_3gpuE7ELNS1_3repE0EEENS1_30default_config_static_selectorELNS0_4arch9wavefront6targetE1EEEvT1_ ; -- Begin function _ZN7rocprim17ROCPRIM_400000_NS6detail17trampoline_kernelINS0_14default_configENS1_20scan_config_selectorIlEEZZNS1_9scan_implILNS1_25lookback_scan_determinismE0ELb0ELb0ES3_PlS8_lN6thrust23THRUST_200600_302600_NS4plusIvEElEEDaPvRmT3_T4_T5_mT6_P12ihipStream_tbENKUlT_T0_E_clISt17integral_constantIbLb0EESQ_EEDaSL_SM_EUlSL_E0_NS1_11comp_targetILNS1_3genE3ELNS1_11target_archE908ELNS1_3gpuE7ELNS1_3repE0EEENS1_30default_config_static_selectorELNS0_4arch9wavefront6targetE1EEEvT1_
	.globl	_ZN7rocprim17ROCPRIM_400000_NS6detail17trampoline_kernelINS0_14default_configENS1_20scan_config_selectorIlEEZZNS1_9scan_implILNS1_25lookback_scan_determinismE0ELb0ELb0ES3_PlS8_lN6thrust23THRUST_200600_302600_NS4plusIvEElEEDaPvRmT3_T4_T5_mT6_P12ihipStream_tbENKUlT_T0_E_clISt17integral_constantIbLb0EESQ_EEDaSL_SM_EUlSL_E0_NS1_11comp_targetILNS1_3genE3ELNS1_11target_archE908ELNS1_3gpuE7ELNS1_3repE0EEENS1_30default_config_static_selectorELNS0_4arch9wavefront6targetE1EEEvT1_
	.p2align	8
	.type	_ZN7rocprim17ROCPRIM_400000_NS6detail17trampoline_kernelINS0_14default_configENS1_20scan_config_selectorIlEEZZNS1_9scan_implILNS1_25lookback_scan_determinismE0ELb0ELb0ES3_PlS8_lN6thrust23THRUST_200600_302600_NS4plusIvEElEEDaPvRmT3_T4_T5_mT6_P12ihipStream_tbENKUlT_T0_E_clISt17integral_constantIbLb0EESQ_EEDaSL_SM_EUlSL_E0_NS1_11comp_targetILNS1_3genE3ELNS1_11target_archE908ELNS1_3gpuE7ELNS1_3repE0EEENS1_30default_config_static_selectorELNS0_4arch9wavefront6targetE1EEEvT1_,@function
_ZN7rocprim17ROCPRIM_400000_NS6detail17trampoline_kernelINS0_14default_configENS1_20scan_config_selectorIlEEZZNS1_9scan_implILNS1_25lookback_scan_determinismE0ELb0ELb0ES3_PlS8_lN6thrust23THRUST_200600_302600_NS4plusIvEElEEDaPvRmT3_T4_T5_mT6_P12ihipStream_tbENKUlT_T0_E_clISt17integral_constantIbLb0EESQ_EEDaSL_SM_EUlSL_E0_NS1_11comp_targetILNS1_3genE3ELNS1_11target_archE908ELNS1_3gpuE7ELNS1_3repE0EEENS1_30default_config_static_selectorELNS0_4arch9wavefront6targetE1EEEvT1_: ; @_ZN7rocprim17ROCPRIM_400000_NS6detail17trampoline_kernelINS0_14default_configENS1_20scan_config_selectorIlEEZZNS1_9scan_implILNS1_25lookback_scan_determinismE0ELb0ELb0ES3_PlS8_lN6thrust23THRUST_200600_302600_NS4plusIvEElEEDaPvRmT3_T4_T5_mT6_P12ihipStream_tbENKUlT_T0_E_clISt17integral_constantIbLb0EESQ_EEDaSL_SM_EUlSL_E0_NS1_11comp_targetILNS1_3genE3ELNS1_11target_archE908ELNS1_3gpuE7ELNS1_3repE0EEENS1_30default_config_static_selectorELNS0_4arch9wavefront6targetE1EEEvT1_
; %bb.0:
	.section	.rodata,"a",@progbits
	.p2align	6, 0x0
	.amdhsa_kernel _ZN7rocprim17ROCPRIM_400000_NS6detail17trampoline_kernelINS0_14default_configENS1_20scan_config_selectorIlEEZZNS1_9scan_implILNS1_25lookback_scan_determinismE0ELb0ELb0ES3_PlS8_lN6thrust23THRUST_200600_302600_NS4plusIvEElEEDaPvRmT3_T4_T5_mT6_P12ihipStream_tbENKUlT_T0_E_clISt17integral_constantIbLb0EESQ_EEDaSL_SM_EUlSL_E0_NS1_11comp_targetILNS1_3genE3ELNS1_11target_archE908ELNS1_3gpuE7ELNS1_3repE0EEENS1_30default_config_static_selectorELNS0_4arch9wavefront6targetE1EEEvT1_
		.amdhsa_group_segment_fixed_size 0
		.amdhsa_private_segment_fixed_size 0
		.amdhsa_kernarg_size 40
		.amdhsa_user_sgpr_count 2
		.amdhsa_user_sgpr_dispatch_ptr 0
		.amdhsa_user_sgpr_queue_ptr 0
		.amdhsa_user_sgpr_kernarg_segment_ptr 1
		.amdhsa_user_sgpr_dispatch_id 0
		.amdhsa_user_sgpr_kernarg_preload_length 0
		.amdhsa_user_sgpr_kernarg_preload_offset 0
		.amdhsa_user_sgpr_private_segment_size 0
		.amdhsa_uses_dynamic_stack 0
		.amdhsa_enable_private_segment 0
		.amdhsa_system_sgpr_workgroup_id_x 1
		.amdhsa_system_sgpr_workgroup_id_y 0
		.amdhsa_system_sgpr_workgroup_id_z 0
		.amdhsa_system_sgpr_workgroup_info 0
		.amdhsa_system_vgpr_workitem_id 0
		.amdhsa_next_free_vgpr 1
		.amdhsa_next_free_sgpr 0
		.amdhsa_accum_offset 4
		.amdhsa_reserve_vcc 0
		.amdhsa_float_round_mode_32 0
		.amdhsa_float_round_mode_16_64 0
		.amdhsa_float_denorm_mode_32 3
		.amdhsa_float_denorm_mode_16_64 3
		.amdhsa_dx10_clamp 1
		.amdhsa_ieee_mode 1
		.amdhsa_fp16_overflow 0
		.amdhsa_tg_split 0
		.amdhsa_exception_fp_ieee_invalid_op 0
		.amdhsa_exception_fp_denorm_src 0
		.amdhsa_exception_fp_ieee_div_zero 0
		.amdhsa_exception_fp_ieee_overflow 0
		.amdhsa_exception_fp_ieee_underflow 0
		.amdhsa_exception_fp_ieee_inexact 0
		.amdhsa_exception_int_div_zero 0
	.end_amdhsa_kernel
	.section	.text._ZN7rocprim17ROCPRIM_400000_NS6detail17trampoline_kernelINS0_14default_configENS1_20scan_config_selectorIlEEZZNS1_9scan_implILNS1_25lookback_scan_determinismE0ELb0ELb0ES3_PlS8_lN6thrust23THRUST_200600_302600_NS4plusIvEElEEDaPvRmT3_T4_T5_mT6_P12ihipStream_tbENKUlT_T0_E_clISt17integral_constantIbLb0EESQ_EEDaSL_SM_EUlSL_E0_NS1_11comp_targetILNS1_3genE3ELNS1_11target_archE908ELNS1_3gpuE7ELNS1_3repE0EEENS1_30default_config_static_selectorELNS0_4arch9wavefront6targetE1EEEvT1_,"axG",@progbits,_ZN7rocprim17ROCPRIM_400000_NS6detail17trampoline_kernelINS0_14default_configENS1_20scan_config_selectorIlEEZZNS1_9scan_implILNS1_25lookback_scan_determinismE0ELb0ELb0ES3_PlS8_lN6thrust23THRUST_200600_302600_NS4plusIvEElEEDaPvRmT3_T4_T5_mT6_P12ihipStream_tbENKUlT_T0_E_clISt17integral_constantIbLb0EESQ_EEDaSL_SM_EUlSL_E0_NS1_11comp_targetILNS1_3genE3ELNS1_11target_archE908ELNS1_3gpuE7ELNS1_3repE0EEENS1_30default_config_static_selectorELNS0_4arch9wavefront6targetE1EEEvT1_,comdat
.Lfunc_end97:
	.size	_ZN7rocprim17ROCPRIM_400000_NS6detail17trampoline_kernelINS0_14default_configENS1_20scan_config_selectorIlEEZZNS1_9scan_implILNS1_25lookback_scan_determinismE0ELb0ELb0ES3_PlS8_lN6thrust23THRUST_200600_302600_NS4plusIvEElEEDaPvRmT3_T4_T5_mT6_P12ihipStream_tbENKUlT_T0_E_clISt17integral_constantIbLb0EESQ_EEDaSL_SM_EUlSL_E0_NS1_11comp_targetILNS1_3genE3ELNS1_11target_archE908ELNS1_3gpuE7ELNS1_3repE0EEENS1_30default_config_static_selectorELNS0_4arch9wavefront6targetE1EEEvT1_, .Lfunc_end97-_ZN7rocprim17ROCPRIM_400000_NS6detail17trampoline_kernelINS0_14default_configENS1_20scan_config_selectorIlEEZZNS1_9scan_implILNS1_25lookback_scan_determinismE0ELb0ELb0ES3_PlS8_lN6thrust23THRUST_200600_302600_NS4plusIvEElEEDaPvRmT3_T4_T5_mT6_P12ihipStream_tbENKUlT_T0_E_clISt17integral_constantIbLb0EESQ_EEDaSL_SM_EUlSL_E0_NS1_11comp_targetILNS1_3genE3ELNS1_11target_archE908ELNS1_3gpuE7ELNS1_3repE0EEENS1_30default_config_static_selectorELNS0_4arch9wavefront6targetE1EEEvT1_
                                        ; -- End function
	.section	.AMDGPU.csdata,"",@progbits
; Kernel info:
; codeLenInByte = 0
; NumSgprs: 6
; NumVgprs: 0
; NumAgprs: 0
; TotalNumVgprs: 0
; ScratchSize: 0
; MemoryBound: 0
; FloatMode: 240
; IeeeMode: 1
; LDSByteSize: 0 bytes/workgroup (compile time only)
; SGPRBlocks: 0
; VGPRBlocks: 0
; NumSGPRsForWavesPerEU: 6
; NumVGPRsForWavesPerEU: 1
; AccumOffset: 4
; Occupancy: 8
; WaveLimiterHint : 0
; COMPUTE_PGM_RSRC2:SCRATCH_EN: 0
; COMPUTE_PGM_RSRC2:USER_SGPR: 2
; COMPUTE_PGM_RSRC2:TRAP_HANDLER: 0
; COMPUTE_PGM_RSRC2:TGID_X_EN: 1
; COMPUTE_PGM_RSRC2:TGID_Y_EN: 0
; COMPUTE_PGM_RSRC2:TGID_Z_EN: 0
; COMPUTE_PGM_RSRC2:TIDIG_COMP_CNT: 0
; COMPUTE_PGM_RSRC3_GFX90A:ACCUM_OFFSET: 0
; COMPUTE_PGM_RSRC3_GFX90A:TG_SPLIT: 0
	.section	.text._ZN7rocprim17ROCPRIM_400000_NS6detail17trampoline_kernelINS0_14default_configENS1_20scan_config_selectorIlEEZZNS1_9scan_implILNS1_25lookback_scan_determinismE0ELb0ELb0ES3_PlS8_lN6thrust23THRUST_200600_302600_NS4plusIvEElEEDaPvRmT3_T4_T5_mT6_P12ihipStream_tbENKUlT_T0_E_clISt17integral_constantIbLb0EESQ_EEDaSL_SM_EUlSL_E0_NS1_11comp_targetILNS1_3genE2ELNS1_11target_archE906ELNS1_3gpuE6ELNS1_3repE0EEENS1_30default_config_static_selectorELNS0_4arch9wavefront6targetE1EEEvT1_,"axG",@progbits,_ZN7rocprim17ROCPRIM_400000_NS6detail17trampoline_kernelINS0_14default_configENS1_20scan_config_selectorIlEEZZNS1_9scan_implILNS1_25lookback_scan_determinismE0ELb0ELb0ES3_PlS8_lN6thrust23THRUST_200600_302600_NS4plusIvEElEEDaPvRmT3_T4_T5_mT6_P12ihipStream_tbENKUlT_T0_E_clISt17integral_constantIbLb0EESQ_EEDaSL_SM_EUlSL_E0_NS1_11comp_targetILNS1_3genE2ELNS1_11target_archE906ELNS1_3gpuE6ELNS1_3repE0EEENS1_30default_config_static_selectorELNS0_4arch9wavefront6targetE1EEEvT1_,comdat
	.protected	_ZN7rocprim17ROCPRIM_400000_NS6detail17trampoline_kernelINS0_14default_configENS1_20scan_config_selectorIlEEZZNS1_9scan_implILNS1_25lookback_scan_determinismE0ELb0ELb0ES3_PlS8_lN6thrust23THRUST_200600_302600_NS4plusIvEElEEDaPvRmT3_T4_T5_mT6_P12ihipStream_tbENKUlT_T0_E_clISt17integral_constantIbLb0EESQ_EEDaSL_SM_EUlSL_E0_NS1_11comp_targetILNS1_3genE2ELNS1_11target_archE906ELNS1_3gpuE6ELNS1_3repE0EEENS1_30default_config_static_selectorELNS0_4arch9wavefront6targetE1EEEvT1_ ; -- Begin function _ZN7rocprim17ROCPRIM_400000_NS6detail17trampoline_kernelINS0_14default_configENS1_20scan_config_selectorIlEEZZNS1_9scan_implILNS1_25lookback_scan_determinismE0ELb0ELb0ES3_PlS8_lN6thrust23THRUST_200600_302600_NS4plusIvEElEEDaPvRmT3_T4_T5_mT6_P12ihipStream_tbENKUlT_T0_E_clISt17integral_constantIbLb0EESQ_EEDaSL_SM_EUlSL_E0_NS1_11comp_targetILNS1_3genE2ELNS1_11target_archE906ELNS1_3gpuE6ELNS1_3repE0EEENS1_30default_config_static_selectorELNS0_4arch9wavefront6targetE1EEEvT1_
	.globl	_ZN7rocprim17ROCPRIM_400000_NS6detail17trampoline_kernelINS0_14default_configENS1_20scan_config_selectorIlEEZZNS1_9scan_implILNS1_25lookback_scan_determinismE0ELb0ELb0ES3_PlS8_lN6thrust23THRUST_200600_302600_NS4plusIvEElEEDaPvRmT3_T4_T5_mT6_P12ihipStream_tbENKUlT_T0_E_clISt17integral_constantIbLb0EESQ_EEDaSL_SM_EUlSL_E0_NS1_11comp_targetILNS1_3genE2ELNS1_11target_archE906ELNS1_3gpuE6ELNS1_3repE0EEENS1_30default_config_static_selectorELNS0_4arch9wavefront6targetE1EEEvT1_
	.p2align	8
	.type	_ZN7rocprim17ROCPRIM_400000_NS6detail17trampoline_kernelINS0_14default_configENS1_20scan_config_selectorIlEEZZNS1_9scan_implILNS1_25lookback_scan_determinismE0ELb0ELb0ES3_PlS8_lN6thrust23THRUST_200600_302600_NS4plusIvEElEEDaPvRmT3_T4_T5_mT6_P12ihipStream_tbENKUlT_T0_E_clISt17integral_constantIbLb0EESQ_EEDaSL_SM_EUlSL_E0_NS1_11comp_targetILNS1_3genE2ELNS1_11target_archE906ELNS1_3gpuE6ELNS1_3repE0EEENS1_30default_config_static_selectorELNS0_4arch9wavefront6targetE1EEEvT1_,@function
_ZN7rocprim17ROCPRIM_400000_NS6detail17trampoline_kernelINS0_14default_configENS1_20scan_config_selectorIlEEZZNS1_9scan_implILNS1_25lookback_scan_determinismE0ELb0ELb0ES3_PlS8_lN6thrust23THRUST_200600_302600_NS4plusIvEElEEDaPvRmT3_T4_T5_mT6_P12ihipStream_tbENKUlT_T0_E_clISt17integral_constantIbLb0EESQ_EEDaSL_SM_EUlSL_E0_NS1_11comp_targetILNS1_3genE2ELNS1_11target_archE906ELNS1_3gpuE6ELNS1_3repE0EEENS1_30default_config_static_selectorELNS0_4arch9wavefront6targetE1EEEvT1_: ; @_ZN7rocprim17ROCPRIM_400000_NS6detail17trampoline_kernelINS0_14default_configENS1_20scan_config_selectorIlEEZZNS1_9scan_implILNS1_25lookback_scan_determinismE0ELb0ELb0ES3_PlS8_lN6thrust23THRUST_200600_302600_NS4plusIvEElEEDaPvRmT3_T4_T5_mT6_P12ihipStream_tbENKUlT_T0_E_clISt17integral_constantIbLb0EESQ_EEDaSL_SM_EUlSL_E0_NS1_11comp_targetILNS1_3genE2ELNS1_11target_archE906ELNS1_3gpuE6ELNS1_3repE0EEENS1_30default_config_static_selectorELNS0_4arch9wavefront6targetE1EEEvT1_
; %bb.0:
	.section	.rodata,"a",@progbits
	.p2align	6, 0x0
	.amdhsa_kernel _ZN7rocprim17ROCPRIM_400000_NS6detail17trampoline_kernelINS0_14default_configENS1_20scan_config_selectorIlEEZZNS1_9scan_implILNS1_25lookback_scan_determinismE0ELb0ELb0ES3_PlS8_lN6thrust23THRUST_200600_302600_NS4plusIvEElEEDaPvRmT3_T4_T5_mT6_P12ihipStream_tbENKUlT_T0_E_clISt17integral_constantIbLb0EESQ_EEDaSL_SM_EUlSL_E0_NS1_11comp_targetILNS1_3genE2ELNS1_11target_archE906ELNS1_3gpuE6ELNS1_3repE0EEENS1_30default_config_static_selectorELNS0_4arch9wavefront6targetE1EEEvT1_
		.amdhsa_group_segment_fixed_size 0
		.amdhsa_private_segment_fixed_size 0
		.amdhsa_kernarg_size 40
		.amdhsa_user_sgpr_count 2
		.amdhsa_user_sgpr_dispatch_ptr 0
		.amdhsa_user_sgpr_queue_ptr 0
		.amdhsa_user_sgpr_kernarg_segment_ptr 1
		.amdhsa_user_sgpr_dispatch_id 0
		.amdhsa_user_sgpr_kernarg_preload_length 0
		.amdhsa_user_sgpr_kernarg_preload_offset 0
		.amdhsa_user_sgpr_private_segment_size 0
		.amdhsa_uses_dynamic_stack 0
		.amdhsa_enable_private_segment 0
		.amdhsa_system_sgpr_workgroup_id_x 1
		.amdhsa_system_sgpr_workgroup_id_y 0
		.amdhsa_system_sgpr_workgroup_id_z 0
		.amdhsa_system_sgpr_workgroup_info 0
		.amdhsa_system_vgpr_workitem_id 0
		.amdhsa_next_free_vgpr 1
		.amdhsa_next_free_sgpr 0
		.amdhsa_accum_offset 4
		.amdhsa_reserve_vcc 0
		.amdhsa_float_round_mode_32 0
		.amdhsa_float_round_mode_16_64 0
		.amdhsa_float_denorm_mode_32 3
		.amdhsa_float_denorm_mode_16_64 3
		.amdhsa_dx10_clamp 1
		.amdhsa_ieee_mode 1
		.amdhsa_fp16_overflow 0
		.amdhsa_tg_split 0
		.amdhsa_exception_fp_ieee_invalid_op 0
		.amdhsa_exception_fp_denorm_src 0
		.amdhsa_exception_fp_ieee_div_zero 0
		.amdhsa_exception_fp_ieee_overflow 0
		.amdhsa_exception_fp_ieee_underflow 0
		.amdhsa_exception_fp_ieee_inexact 0
		.amdhsa_exception_int_div_zero 0
	.end_amdhsa_kernel
	.section	.text._ZN7rocprim17ROCPRIM_400000_NS6detail17trampoline_kernelINS0_14default_configENS1_20scan_config_selectorIlEEZZNS1_9scan_implILNS1_25lookback_scan_determinismE0ELb0ELb0ES3_PlS8_lN6thrust23THRUST_200600_302600_NS4plusIvEElEEDaPvRmT3_T4_T5_mT6_P12ihipStream_tbENKUlT_T0_E_clISt17integral_constantIbLb0EESQ_EEDaSL_SM_EUlSL_E0_NS1_11comp_targetILNS1_3genE2ELNS1_11target_archE906ELNS1_3gpuE6ELNS1_3repE0EEENS1_30default_config_static_selectorELNS0_4arch9wavefront6targetE1EEEvT1_,"axG",@progbits,_ZN7rocprim17ROCPRIM_400000_NS6detail17trampoline_kernelINS0_14default_configENS1_20scan_config_selectorIlEEZZNS1_9scan_implILNS1_25lookback_scan_determinismE0ELb0ELb0ES3_PlS8_lN6thrust23THRUST_200600_302600_NS4plusIvEElEEDaPvRmT3_T4_T5_mT6_P12ihipStream_tbENKUlT_T0_E_clISt17integral_constantIbLb0EESQ_EEDaSL_SM_EUlSL_E0_NS1_11comp_targetILNS1_3genE2ELNS1_11target_archE906ELNS1_3gpuE6ELNS1_3repE0EEENS1_30default_config_static_selectorELNS0_4arch9wavefront6targetE1EEEvT1_,comdat
.Lfunc_end98:
	.size	_ZN7rocprim17ROCPRIM_400000_NS6detail17trampoline_kernelINS0_14default_configENS1_20scan_config_selectorIlEEZZNS1_9scan_implILNS1_25lookback_scan_determinismE0ELb0ELb0ES3_PlS8_lN6thrust23THRUST_200600_302600_NS4plusIvEElEEDaPvRmT3_T4_T5_mT6_P12ihipStream_tbENKUlT_T0_E_clISt17integral_constantIbLb0EESQ_EEDaSL_SM_EUlSL_E0_NS1_11comp_targetILNS1_3genE2ELNS1_11target_archE906ELNS1_3gpuE6ELNS1_3repE0EEENS1_30default_config_static_selectorELNS0_4arch9wavefront6targetE1EEEvT1_, .Lfunc_end98-_ZN7rocprim17ROCPRIM_400000_NS6detail17trampoline_kernelINS0_14default_configENS1_20scan_config_selectorIlEEZZNS1_9scan_implILNS1_25lookback_scan_determinismE0ELb0ELb0ES3_PlS8_lN6thrust23THRUST_200600_302600_NS4plusIvEElEEDaPvRmT3_T4_T5_mT6_P12ihipStream_tbENKUlT_T0_E_clISt17integral_constantIbLb0EESQ_EEDaSL_SM_EUlSL_E0_NS1_11comp_targetILNS1_3genE2ELNS1_11target_archE906ELNS1_3gpuE6ELNS1_3repE0EEENS1_30default_config_static_selectorELNS0_4arch9wavefront6targetE1EEEvT1_
                                        ; -- End function
	.section	.AMDGPU.csdata,"",@progbits
; Kernel info:
; codeLenInByte = 0
; NumSgprs: 6
; NumVgprs: 0
; NumAgprs: 0
; TotalNumVgprs: 0
; ScratchSize: 0
; MemoryBound: 0
; FloatMode: 240
; IeeeMode: 1
; LDSByteSize: 0 bytes/workgroup (compile time only)
; SGPRBlocks: 0
; VGPRBlocks: 0
; NumSGPRsForWavesPerEU: 6
; NumVGPRsForWavesPerEU: 1
; AccumOffset: 4
; Occupancy: 8
; WaveLimiterHint : 0
; COMPUTE_PGM_RSRC2:SCRATCH_EN: 0
; COMPUTE_PGM_RSRC2:USER_SGPR: 2
; COMPUTE_PGM_RSRC2:TRAP_HANDLER: 0
; COMPUTE_PGM_RSRC2:TGID_X_EN: 1
; COMPUTE_PGM_RSRC2:TGID_Y_EN: 0
; COMPUTE_PGM_RSRC2:TGID_Z_EN: 0
; COMPUTE_PGM_RSRC2:TIDIG_COMP_CNT: 0
; COMPUTE_PGM_RSRC3_GFX90A:ACCUM_OFFSET: 0
; COMPUTE_PGM_RSRC3_GFX90A:TG_SPLIT: 0
	.section	.text._ZN7rocprim17ROCPRIM_400000_NS6detail17trampoline_kernelINS0_14default_configENS1_20scan_config_selectorIlEEZZNS1_9scan_implILNS1_25lookback_scan_determinismE0ELb0ELb0ES3_PlS8_lN6thrust23THRUST_200600_302600_NS4plusIvEElEEDaPvRmT3_T4_T5_mT6_P12ihipStream_tbENKUlT_T0_E_clISt17integral_constantIbLb0EESQ_EEDaSL_SM_EUlSL_E0_NS1_11comp_targetILNS1_3genE10ELNS1_11target_archE1201ELNS1_3gpuE5ELNS1_3repE0EEENS1_30default_config_static_selectorELNS0_4arch9wavefront6targetE1EEEvT1_,"axG",@progbits,_ZN7rocprim17ROCPRIM_400000_NS6detail17trampoline_kernelINS0_14default_configENS1_20scan_config_selectorIlEEZZNS1_9scan_implILNS1_25lookback_scan_determinismE0ELb0ELb0ES3_PlS8_lN6thrust23THRUST_200600_302600_NS4plusIvEElEEDaPvRmT3_T4_T5_mT6_P12ihipStream_tbENKUlT_T0_E_clISt17integral_constantIbLb0EESQ_EEDaSL_SM_EUlSL_E0_NS1_11comp_targetILNS1_3genE10ELNS1_11target_archE1201ELNS1_3gpuE5ELNS1_3repE0EEENS1_30default_config_static_selectorELNS0_4arch9wavefront6targetE1EEEvT1_,comdat
	.protected	_ZN7rocprim17ROCPRIM_400000_NS6detail17trampoline_kernelINS0_14default_configENS1_20scan_config_selectorIlEEZZNS1_9scan_implILNS1_25lookback_scan_determinismE0ELb0ELb0ES3_PlS8_lN6thrust23THRUST_200600_302600_NS4plusIvEElEEDaPvRmT3_T4_T5_mT6_P12ihipStream_tbENKUlT_T0_E_clISt17integral_constantIbLb0EESQ_EEDaSL_SM_EUlSL_E0_NS1_11comp_targetILNS1_3genE10ELNS1_11target_archE1201ELNS1_3gpuE5ELNS1_3repE0EEENS1_30default_config_static_selectorELNS0_4arch9wavefront6targetE1EEEvT1_ ; -- Begin function _ZN7rocprim17ROCPRIM_400000_NS6detail17trampoline_kernelINS0_14default_configENS1_20scan_config_selectorIlEEZZNS1_9scan_implILNS1_25lookback_scan_determinismE0ELb0ELb0ES3_PlS8_lN6thrust23THRUST_200600_302600_NS4plusIvEElEEDaPvRmT3_T4_T5_mT6_P12ihipStream_tbENKUlT_T0_E_clISt17integral_constantIbLb0EESQ_EEDaSL_SM_EUlSL_E0_NS1_11comp_targetILNS1_3genE10ELNS1_11target_archE1201ELNS1_3gpuE5ELNS1_3repE0EEENS1_30default_config_static_selectorELNS0_4arch9wavefront6targetE1EEEvT1_
	.globl	_ZN7rocprim17ROCPRIM_400000_NS6detail17trampoline_kernelINS0_14default_configENS1_20scan_config_selectorIlEEZZNS1_9scan_implILNS1_25lookback_scan_determinismE0ELb0ELb0ES3_PlS8_lN6thrust23THRUST_200600_302600_NS4plusIvEElEEDaPvRmT3_T4_T5_mT6_P12ihipStream_tbENKUlT_T0_E_clISt17integral_constantIbLb0EESQ_EEDaSL_SM_EUlSL_E0_NS1_11comp_targetILNS1_3genE10ELNS1_11target_archE1201ELNS1_3gpuE5ELNS1_3repE0EEENS1_30default_config_static_selectorELNS0_4arch9wavefront6targetE1EEEvT1_
	.p2align	8
	.type	_ZN7rocprim17ROCPRIM_400000_NS6detail17trampoline_kernelINS0_14default_configENS1_20scan_config_selectorIlEEZZNS1_9scan_implILNS1_25lookback_scan_determinismE0ELb0ELb0ES3_PlS8_lN6thrust23THRUST_200600_302600_NS4plusIvEElEEDaPvRmT3_T4_T5_mT6_P12ihipStream_tbENKUlT_T0_E_clISt17integral_constantIbLb0EESQ_EEDaSL_SM_EUlSL_E0_NS1_11comp_targetILNS1_3genE10ELNS1_11target_archE1201ELNS1_3gpuE5ELNS1_3repE0EEENS1_30default_config_static_selectorELNS0_4arch9wavefront6targetE1EEEvT1_,@function
_ZN7rocprim17ROCPRIM_400000_NS6detail17trampoline_kernelINS0_14default_configENS1_20scan_config_selectorIlEEZZNS1_9scan_implILNS1_25lookback_scan_determinismE0ELb0ELb0ES3_PlS8_lN6thrust23THRUST_200600_302600_NS4plusIvEElEEDaPvRmT3_T4_T5_mT6_P12ihipStream_tbENKUlT_T0_E_clISt17integral_constantIbLb0EESQ_EEDaSL_SM_EUlSL_E0_NS1_11comp_targetILNS1_3genE10ELNS1_11target_archE1201ELNS1_3gpuE5ELNS1_3repE0EEENS1_30default_config_static_selectorELNS0_4arch9wavefront6targetE1EEEvT1_: ; @_ZN7rocprim17ROCPRIM_400000_NS6detail17trampoline_kernelINS0_14default_configENS1_20scan_config_selectorIlEEZZNS1_9scan_implILNS1_25lookback_scan_determinismE0ELb0ELb0ES3_PlS8_lN6thrust23THRUST_200600_302600_NS4plusIvEElEEDaPvRmT3_T4_T5_mT6_P12ihipStream_tbENKUlT_T0_E_clISt17integral_constantIbLb0EESQ_EEDaSL_SM_EUlSL_E0_NS1_11comp_targetILNS1_3genE10ELNS1_11target_archE1201ELNS1_3gpuE5ELNS1_3repE0EEENS1_30default_config_static_selectorELNS0_4arch9wavefront6targetE1EEEvT1_
; %bb.0:
	.section	.rodata,"a",@progbits
	.p2align	6, 0x0
	.amdhsa_kernel _ZN7rocprim17ROCPRIM_400000_NS6detail17trampoline_kernelINS0_14default_configENS1_20scan_config_selectorIlEEZZNS1_9scan_implILNS1_25lookback_scan_determinismE0ELb0ELb0ES3_PlS8_lN6thrust23THRUST_200600_302600_NS4plusIvEElEEDaPvRmT3_T4_T5_mT6_P12ihipStream_tbENKUlT_T0_E_clISt17integral_constantIbLb0EESQ_EEDaSL_SM_EUlSL_E0_NS1_11comp_targetILNS1_3genE10ELNS1_11target_archE1201ELNS1_3gpuE5ELNS1_3repE0EEENS1_30default_config_static_selectorELNS0_4arch9wavefront6targetE1EEEvT1_
		.amdhsa_group_segment_fixed_size 0
		.amdhsa_private_segment_fixed_size 0
		.amdhsa_kernarg_size 40
		.amdhsa_user_sgpr_count 2
		.amdhsa_user_sgpr_dispatch_ptr 0
		.amdhsa_user_sgpr_queue_ptr 0
		.amdhsa_user_sgpr_kernarg_segment_ptr 1
		.amdhsa_user_sgpr_dispatch_id 0
		.amdhsa_user_sgpr_kernarg_preload_length 0
		.amdhsa_user_sgpr_kernarg_preload_offset 0
		.amdhsa_user_sgpr_private_segment_size 0
		.amdhsa_uses_dynamic_stack 0
		.amdhsa_enable_private_segment 0
		.amdhsa_system_sgpr_workgroup_id_x 1
		.amdhsa_system_sgpr_workgroup_id_y 0
		.amdhsa_system_sgpr_workgroup_id_z 0
		.amdhsa_system_sgpr_workgroup_info 0
		.amdhsa_system_vgpr_workitem_id 0
		.amdhsa_next_free_vgpr 1
		.amdhsa_next_free_sgpr 0
		.amdhsa_accum_offset 4
		.amdhsa_reserve_vcc 0
		.amdhsa_float_round_mode_32 0
		.amdhsa_float_round_mode_16_64 0
		.amdhsa_float_denorm_mode_32 3
		.amdhsa_float_denorm_mode_16_64 3
		.amdhsa_dx10_clamp 1
		.amdhsa_ieee_mode 1
		.amdhsa_fp16_overflow 0
		.amdhsa_tg_split 0
		.amdhsa_exception_fp_ieee_invalid_op 0
		.amdhsa_exception_fp_denorm_src 0
		.amdhsa_exception_fp_ieee_div_zero 0
		.amdhsa_exception_fp_ieee_overflow 0
		.amdhsa_exception_fp_ieee_underflow 0
		.amdhsa_exception_fp_ieee_inexact 0
		.amdhsa_exception_int_div_zero 0
	.end_amdhsa_kernel
	.section	.text._ZN7rocprim17ROCPRIM_400000_NS6detail17trampoline_kernelINS0_14default_configENS1_20scan_config_selectorIlEEZZNS1_9scan_implILNS1_25lookback_scan_determinismE0ELb0ELb0ES3_PlS8_lN6thrust23THRUST_200600_302600_NS4plusIvEElEEDaPvRmT3_T4_T5_mT6_P12ihipStream_tbENKUlT_T0_E_clISt17integral_constantIbLb0EESQ_EEDaSL_SM_EUlSL_E0_NS1_11comp_targetILNS1_3genE10ELNS1_11target_archE1201ELNS1_3gpuE5ELNS1_3repE0EEENS1_30default_config_static_selectorELNS0_4arch9wavefront6targetE1EEEvT1_,"axG",@progbits,_ZN7rocprim17ROCPRIM_400000_NS6detail17trampoline_kernelINS0_14default_configENS1_20scan_config_selectorIlEEZZNS1_9scan_implILNS1_25lookback_scan_determinismE0ELb0ELb0ES3_PlS8_lN6thrust23THRUST_200600_302600_NS4plusIvEElEEDaPvRmT3_T4_T5_mT6_P12ihipStream_tbENKUlT_T0_E_clISt17integral_constantIbLb0EESQ_EEDaSL_SM_EUlSL_E0_NS1_11comp_targetILNS1_3genE10ELNS1_11target_archE1201ELNS1_3gpuE5ELNS1_3repE0EEENS1_30default_config_static_selectorELNS0_4arch9wavefront6targetE1EEEvT1_,comdat
.Lfunc_end99:
	.size	_ZN7rocprim17ROCPRIM_400000_NS6detail17trampoline_kernelINS0_14default_configENS1_20scan_config_selectorIlEEZZNS1_9scan_implILNS1_25lookback_scan_determinismE0ELb0ELb0ES3_PlS8_lN6thrust23THRUST_200600_302600_NS4plusIvEElEEDaPvRmT3_T4_T5_mT6_P12ihipStream_tbENKUlT_T0_E_clISt17integral_constantIbLb0EESQ_EEDaSL_SM_EUlSL_E0_NS1_11comp_targetILNS1_3genE10ELNS1_11target_archE1201ELNS1_3gpuE5ELNS1_3repE0EEENS1_30default_config_static_selectorELNS0_4arch9wavefront6targetE1EEEvT1_, .Lfunc_end99-_ZN7rocprim17ROCPRIM_400000_NS6detail17trampoline_kernelINS0_14default_configENS1_20scan_config_selectorIlEEZZNS1_9scan_implILNS1_25lookback_scan_determinismE0ELb0ELb0ES3_PlS8_lN6thrust23THRUST_200600_302600_NS4plusIvEElEEDaPvRmT3_T4_T5_mT6_P12ihipStream_tbENKUlT_T0_E_clISt17integral_constantIbLb0EESQ_EEDaSL_SM_EUlSL_E0_NS1_11comp_targetILNS1_3genE10ELNS1_11target_archE1201ELNS1_3gpuE5ELNS1_3repE0EEENS1_30default_config_static_selectorELNS0_4arch9wavefront6targetE1EEEvT1_
                                        ; -- End function
	.section	.AMDGPU.csdata,"",@progbits
; Kernel info:
; codeLenInByte = 0
; NumSgprs: 6
; NumVgprs: 0
; NumAgprs: 0
; TotalNumVgprs: 0
; ScratchSize: 0
; MemoryBound: 0
; FloatMode: 240
; IeeeMode: 1
; LDSByteSize: 0 bytes/workgroup (compile time only)
; SGPRBlocks: 0
; VGPRBlocks: 0
; NumSGPRsForWavesPerEU: 6
; NumVGPRsForWavesPerEU: 1
; AccumOffset: 4
; Occupancy: 8
; WaveLimiterHint : 0
; COMPUTE_PGM_RSRC2:SCRATCH_EN: 0
; COMPUTE_PGM_RSRC2:USER_SGPR: 2
; COMPUTE_PGM_RSRC2:TRAP_HANDLER: 0
; COMPUTE_PGM_RSRC2:TGID_X_EN: 1
; COMPUTE_PGM_RSRC2:TGID_Y_EN: 0
; COMPUTE_PGM_RSRC2:TGID_Z_EN: 0
; COMPUTE_PGM_RSRC2:TIDIG_COMP_CNT: 0
; COMPUTE_PGM_RSRC3_GFX90A:ACCUM_OFFSET: 0
; COMPUTE_PGM_RSRC3_GFX90A:TG_SPLIT: 0
	.section	.text._ZN7rocprim17ROCPRIM_400000_NS6detail17trampoline_kernelINS0_14default_configENS1_20scan_config_selectorIlEEZZNS1_9scan_implILNS1_25lookback_scan_determinismE0ELb0ELb0ES3_PlS8_lN6thrust23THRUST_200600_302600_NS4plusIvEElEEDaPvRmT3_T4_T5_mT6_P12ihipStream_tbENKUlT_T0_E_clISt17integral_constantIbLb0EESQ_EEDaSL_SM_EUlSL_E0_NS1_11comp_targetILNS1_3genE10ELNS1_11target_archE1200ELNS1_3gpuE4ELNS1_3repE0EEENS1_30default_config_static_selectorELNS0_4arch9wavefront6targetE1EEEvT1_,"axG",@progbits,_ZN7rocprim17ROCPRIM_400000_NS6detail17trampoline_kernelINS0_14default_configENS1_20scan_config_selectorIlEEZZNS1_9scan_implILNS1_25lookback_scan_determinismE0ELb0ELb0ES3_PlS8_lN6thrust23THRUST_200600_302600_NS4plusIvEElEEDaPvRmT3_T4_T5_mT6_P12ihipStream_tbENKUlT_T0_E_clISt17integral_constantIbLb0EESQ_EEDaSL_SM_EUlSL_E0_NS1_11comp_targetILNS1_3genE10ELNS1_11target_archE1200ELNS1_3gpuE4ELNS1_3repE0EEENS1_30default_config_static_selectorELNS0_4arch9wavefront6targetE1EEEvT1_,comdat
	.protected	_ZN7rocprim17ROCPRIM_400000_NS6detail17trampoline_kernelINS0_14default_configENS1_20scan_config_selectorIlEEZZNS1_9scan_implILNS1_25lookback_scan_determinismE0ELb0ELb0ES3_PlS8_lN6thrust23THRUST_200600_302600_NS4plusIvEElEEDaPvRmT3_T4_T5_mT6_P12ihipStream_tbENKUlT_T0_E_clISt17integral_constantIbLb0EESQ_EEDaSL_SM_EUlSL_E0_NS1_11comp_targetILNS1_3genE10ELNS1_11target_archE1200ELNS1_3gpuE4ELNS1_3repE0EEENS1_30default_config_static_selectorELNS0_4arch9wavefront6targetE1EEEvT1_ ; -- Begin function _ZN7rocprim17ROCPRIM_400000_NS6detail17trampoline_kernelINS0_14default_configENS1_20scan_config_selectorIlEEZZNS1_9scan_implILNS1_25lookback_scan_determinismE0ELb0ELb0ES3_PlS8_lN6thrust23THRUST_200600_302600_NS4plusIvEElEEDaPvRmT3_T4_T5_mT6_P12ihipStream_tbENKUlT_T0_E_clISt17integral_constantIbLb0EESQ_EEDaSL_SM_EUlSL_E0_NS1_11comp_targetILNS1_3genE10ELNS1_11target_archE1200ELNS1_3gpuE4ELNS1_3repE0EEENS1_30default_config_static_selectorELNS0_4arch9wavefront6targetE1EEEvT1_
	.globl	_ZN7rocprim17ROCPRIM_400000_NS6detail17trampoline_kernelINS0_14default_configENS1_20scan_config_selectorIlEEZZNS1_9scan_implILNS1_25lookback_scan_determinismE0ELb0ELb0ES3_PlS8_lN6thrust23THRUST_200600_302600_NS4plusIvEElEEDaPvRmT3_T4_T5_mT6_P12ihipStream_tbENKUlT_T0_E_clISt17integral_constantIbLb0EESQ_EEDaSL_SM_EUlSL_E0_NS1_11comp_targetILNS1_3genE10ELNS1_11target_archE1200ELNS1_3gpuE4ELNS1_3repE0EEENS1_30default_config_static_selectorELNS0_4arch9wavefront6targetE1EEEvT1_
	.p2align	8
	.type	_ZN7rocprim17ROCPRIM_400000_NS6detail17trampoline_kernelINS0_14default_configENS1_20scan_config_selectorIlEEZZNS1_9scan_implILNS1_25lookback_scan_determinismE0ELb0ELb0ES3_PlS8_lN6thrust23THRUST_200600_302600_NS4plusIvEElEEDaPvRmT3_T4_T5_mT6_P12ihipStream_tbENKUlT_T0_E_clISt17integral_constantIbLb0EESQ_EEDaSL_SM_EUlSL_E0_NS1_11comp_targetILNS1_3genE10ELNS1_11target_archE1200ELNS1_3gpuE4ELNS1_3repE0EEENS1_30default_config_static_selectorELNS0_4arch9wavefront6targetE1EEEvT1_,@function
_ZN7rocprim17ROCPRIM_400000_NS6detail17trampoline_kernelINS0_14default_configENS1_20scan_config_selectorIlEEZZNS1_9scan_implILNS1_25lookback_scan_determinismE0ELb0ELb0ES3_PlS8_lN6thrust23THRUST_200600_302600_NS4plusIvEElEEDaPvRmT3_T4_T5_mT6_P12ihipStream_tbENKUlT_T0_E_clISt17integral_constantIbLb0EESQ_EEDaSL_SM_EUlSL_E0_NS1_11comp_targetILNS1_3genE10ELNS1_11target_archE1200ELNS1_3gpuE4ELNS1_3repE0EEENS1_30default_config_static_selectorELNS0_4arch9wavefront6targetE1EEEvT1_: ; @_ZN7rocprim17ROCPRIM_400000_NS6detail17trampoline_kernelINS0_14default_configENS1_20scan_config_selectorIlEEZZNS1_9scan_implILNS1_25lookback_scan_determinismE0ELb0ELb0ES3_PlS8_lN6thrust23THRUST_200600_302600_NS4plusIvEElEEDaPvRmT3_T4_T5_mT6_P12ihipStream_tbENKUlT_T0_E_clISt17integral_constantIbLb0EESQ_EEDaSL_SM_EUlSL_E0_NS1_11comp_targetILNS1_3genE10ELNS1_11target_archE1200ELNS1_3gpuE4ELNS1_3repE0EEENS1_30default_config_static_selectorELNS0_4arch9wavefront6targetE1EEEvT1_
; %bb.0:
	.section	.rodata,"a",@progbits
	.p2align	6, 0x0
	.amdhsa_kernel _ZN7rocprim17ROCPRIM_400000_NS6detail17trampoline_kernelINS0_14default_configENS1_20scan_config_selectorIlEEZZNS1_9scan_implILNS1_25lookback_scan_determinismE0ELb0ELb0ES3_PlS8_lN6thrust23THRUST_200600_302600_NS4plusIvEElEEDaPvRmT3_T4_T5_mT6_P12ihipStream_tbENKUlT_T0_E_clISt17integral_constantIbLb0EESQ_EEDaSL_SM_EUlSL_E0_NS1_11comp_targetILNS1_3genE10ELNS1_11target_archE1200ELNS1_3gpuE4ELNS1_3repE0EEENS1_30default_config_static_selectorELNS0_4arch9wavefront6targetE1EEEvT1_
		.amdhsa_group_segment_fixed_size 0
		.amdhsa_private_segment_fixed_size 0
		.amdhsa_kernarg_size 40
		.amdhsa_user_sgpr_count 2
		.amdhsa_user_sgpr_dispatch_ptr 0
		.amdhsa_user_sgpr_queue_ptr 0
		.amdhsa_user_sgpr_kernarg_segment_ptr 1
		.amdhsa_user_sgpr_dispatch_id 0
		.amdhsa_user_sgpr_kernarg_preload_length 0
		.amdhsa_user_sgpr_kernarg_preload_offset 0
		.amdhsa_user_sgpr_private_segment_size 0
		.amdhsa_uses_dynamic_stack 0
		.amdhsa_enable_private_segment 0
		.amdhsa_system_sgpr_workgroup_id_x 1
		.amdhsa_system_sgpr_workgroup_id_y 0
		.amdhsa_system_sgpr_workgroup_id_z 0
		.amdhsa_system_sgpr_workgroup_info 0
		.amdhsa_system_vgpr_workitem_id 0
		.amdhsa_next_free_vgpr 1
		.amdhsa_next_free_sgpr 0
		.amdhsa_accum_offset 4
		.amdhsa_reserve_vcc 0
		.amdhsa_float_round_mode_32 0
		.amdhsa_float_round_mode_16_64 0
		.amdhsa_float_denorm_mode_32 3
		.amdhsa_float_denorm_mode_16_64 3
		.amdhsa_dx10_clamp 1
		.amdhsa_ieee_mode 1
		.amdhsa_fp16_overflow 0
		.amdhsa_tg_split 0
		.amdhsa_exception_fp_ieee_invalid_op 0
		.amdhsa_exception_fp_denorm_src 0
		.amdhsa_exception_fp_ieee_div_zero 0
		.amdhsa_exception_fp_ieee_overflow 0
		.amdhsa_exception_fp_ieee_underflow 0
		.amdhsa_exception_fp_ieee_inexact 0
		.amdhsa_exception_int_div_zero 0
	.end_amdhsa_kernel
	.section	.text._ZN7rocprim17ROCPRIM_400000_NS6detail17trampoline_kernelINS0_14default_configENS1_20scan_config_selectorIlEEZZNS1_9scan_implILNS1_25lookback_scan_determinismE0ELb0ELb0ES3_PlS8_lN6thrust23THRUST_200600_302600_NS4plusIvEElEEDaPvRmT3_T4_T5_mT6_P12ihipStream_tbENKUlT_T0_E_clISt17integral_constantIbLb0EESQ_EEDaSL_SM_EUlSL_E0_NS1_11comp_targetILNS1_3genE10ELNS1_11target_archE1200ELNS1_3gpuE4ELNS1_3repE0EEENS1_30default_config_static_selectorELNS0_4arch9wavefront6targetE1EEEvT1_,"axG",@progbits,_ZN7rocprim17ROCPRIM_400000_NS6detail17trampoline_kernelINS0_14default_configENS1_20scan_config_selectorIlEEZZNS1_9scan_implILNS1_25lookback_scan_determinismE0ELb0ELb0ES3_PlS8_lN6thrust23THRUST_200600_302600_NS4plusIvEElEEDaPvRmT3_T4_T5_mT6_P12ihipStream_tbENKUlT_T0_E_clISt17integral_constantIbLb0EESQ_EEDaSL_SM_EUlSL_E0_NS1_11comp_targetILNS1_3genE10ELNS1_11target_archE1200ELNS1_3gpuE4ELNS1_3repE0EEENS1_30default_config_static_selectorELNS0_4arch9wavefront6targetE1EEEvT1_,comdat
.Lfunc_end100:
	.size	_ZN7rocprim17ROCPRIM_400000_NS6detail17trampoline_kernelINS0_14default_configENS1_20scan_config_selectorIlEEZZNS1_9scan_implILNS1_25lookback_scan_determinismE0ELb0ELb0ES3_PlS8_lN6thrust23THRUST_200600_302600_NS4plusIvEElEEDaPvRmT3_T4_T5_mT6_P12ihipStream_tbENKUlT_T0_E_clISt17integral_constantIbLb0EESQ_EEDaSL_SM_EUlSL_E0_NS1_11comp_targetILNS1_3genE10ELNS1_11target_archE1200ELNS1_3gpuE4ELNS1_3repE0EEENS1_30default_config_static_selectorELNS0_4arch9wavefront6targetE1EEEvT1_, .Lfunc_end100-_ZN7rocprim17ROCPRIM_400000_NS6detail17trampoline_kernelINS0_14default_configENS1_20scan_config_selectorIlEEZZNS1_9scan_implILNS1_25lookback_scan_determinismE0ELb0ELb0ES3_PlS8_lN6thrust23THRUST_200600_302600_NS4plusIvEElEEDaPvRmT3_T4_T5_mT6_P12ihipStream_tbENKUlT_T0_E_clISt17integral_constantIbLb0EESQ_EEDaSL_SM_EUlSL_E0_NS1_11comp_targetILNS1_3genE10ELNS1_11target_archE1200ELNS1_3gpuE4ELNS1_3repE0EEENS1_30default_config_static_selectorELNS0_4arch9wavefront6targetE1EEEvT1_
                                        ; -- End function
	.section	.AMDGPU.csdata,"",@progbits
; Kernel info:
; codeLenInByte = 0
; NumSgprs: 6
; NumVgprs: 0
; NumAgprs: 0
; TotalNumVgprs: 0
; ScratchSize: 0
; MemoryBound: 0
; FloatMode: 240
; IeeeMode: 1
; LDSByteSize: 0 bytes/workgroup (compile time only)
; SGPRBlocks: 0
; VGPRBlocks: 0
; NumSGPRsForWavesPerEU: 6
; NumVGPRsForWavesPerEU: 1
; AccumOffset: 4
; Occupancy: 8
; WaveLimiterHint : 0
; COMPUTE_PGM_RSRC2:SCRATCH_EN: 0
; COMPUTE_PGM_RSRC2:USER_SGPR: 2
; COMPUTE_PGM_RSRC2:TRAP_HANDLER: 0
; COMPUTE_PGM_RSRC2:TGID_X_EN: 1
; COMPUTE_PGM_RSRC2:TGID_Y_EN: 0
; COMPUTE_PGM_RSRC2:TGID_Z_EN: 0
; COMPUTE_PGM_RSRC2:TIDIG_COMP_CNT: 0
; COMPUTE_PGM_RSRC3_GFX90A:ACCUM_OFFSET: 0
; COMPUTE_PGM_RSRC3_GFX90A:TG_SPLIT: 0
	.section	.text._ZN7rocprim17ROCPRIM_400000_NS6detail17trampoline_kernelINS0_14default_configENS1_20scan_config_selectorIlEEZZNS1_9scan_implILNS1_25lookback_scan_determinismE0ELb0ELb0ES3_PlS8_lN6thrust23THRUST_200600_302600_NS4plusIvEElEEDaPvRmT3_T4_T5_mT6_P12ihipStream_tbENKUlT_T0_E_clISt17integral_constantIbLb0EESQ_EEDaSL_SM_EUlSL_E0_NS1_11comp_targetILNS1_3genE9ELNS1_11target_archE1100ELNS1_3gpuE3ELNS1_3repE0EEENS1_30default_config_static_selectorELNS0_4arch9wavefront6targetE1EEEvT1_,"axG",@progbits,_ZN7rocprim17ROCPRIM_400000_NS6detail17trampoline_kernelINS0_14default_configENS1_20scan_config_selectorIlEEZZNS1_9scan_implILNS1_25lookback_scan_determinismE0ELb0ELb0ES3_PlS8_lN6thrust23THRUST_200600_302600_NS4plusIvEElEEDaPvRmT3_T4_T5_mT6_P12ihipStream_tbENKUlT_T0_E_clISt17integral_constantIbLb0EESQ_EEDaSL_SM_EUlSL_E0_NS1_11comp_targetILNS1_3genE9ELNS1_11target_archE1100ELNS1_3gpuE3ELNS1_3repE0EEENS1_30default_config_static_selectorELNS0_4arch9wavefront6targetE1EEEvT1_,comdat
	.protected	_ZN7rocprim17ROCPRIM_400000_NS6detail17trampoline_kernelINS0_14default_configENS1_20scan_config_selectorIlEEZZNS1_9scan_implILNS1_25lookback_scan_determinismE0ELb0ELb0ES3_PlS8_lN6thrust23THRUST_200600_302600_NS4plusIvEElEEDaPvRmT3_T4_T5_mT6_P12ihipStream_tbENKUlT_T0_E_clISt17integral_constantIbLb0EESQ_EEDaSL_SM_EUlSL_E0_NS1_11comp_targetILNS1_3genE9ELNS1_11target_archE1100ELNS1_3gpuE3ELNS1_3repE0EEENS1_30default_config_static_selectorELNS0_4arch9wavefront6targetE1EEEvT1_ ; -- Begin function _ZN7rocprim17ROCPRIM_400000_NS6detail17trampoline_kernelINS0_14default_configENS1_20scan_config_selectorIlEEZZNS1_9scan_implILNS1_25lookback_scan_determinismE0ELb0ELb0ES3_PlS8_lN6thrust23THRUST_200600_302600_NS4plusIvEElEEDaPvRmT3_T4_T5_mT6_P12ihipStream_tbENKUlT_T0_E_clISt17integral_constantIbLb0EESQ_EEDaSL_SM_EUlSL_E0_NS1_11comp_targetILNS1_3genE9ELNS1_11target_archE1100ELNS1_3gpuE3ELNS1_3repE0EEENS1_30default_config_static_selectorELNS0_4arch9wavefront6targetE1EEEvT1_
	.globl	_ZN7rocprim17ROCPRIM_400000_NS6detail17trampoline_kernelINS0_14default_configENS1_20scan_config_selectorIlEEZZNS1_9scan_implILNS1_25lookback_scan_determinismE0ELb0ELb0ES3_PlS8_lN6thrust23THRUST_200600_302600_NS4plusIvEElEEDaPvRmT3_T4_T5_mT6_P12ihipStream_tbENKUlT_T0_E_clISt17integral_constantIbLb0EESQ_EEDaSL_SM_EUlSL_E0_NS1_11comp_targetILNS1_3genE9ELNS1_11target_archE1100ELNS1_3gpuE3ELNS1_3repE0EEENS1_30default_config_static_selectorELNS0_4arch9wavefront6targetE1EEEvT1_
	.p2align	8
	.type	_ZN7rocprim17ROCPRIM_400000_NS6detail17trampoline_kernelINS0_14default_configENS1_20scan_config_selectorIlEEZZNS1_9scan_implILNS1_25lookback_scan_determinismE0ELb0ELb0ES3_PlS8_lN6thrust23THRUST_200600_302600_NS4plusIvEElEEDaPvRmT3_T4_T5_mT6_P12ihipStream_tbENKUlT_T0_E_clISt17integral_constantIbLb0EESQ_EEDaSL_SM_EUlSL_E0_NS1_11comp_targetILNS1_3genE9ELNS1_11target_archE1100ELNS1_3gpuE3ELNS1_3repE0EEENS1_30default_config_static_selectorELNS0_4arch9wavefront6targetE1EEEvT1_,@function
_ZN7rocprim17ROCPRIM_400000_NS6detail17trampoline_kernelINS0_14default_configENS1_20scan_config_selectorIlEEZZNS1_9scan_implILNS1_25lookback_scan_determinismE0ELb0ELb0ES3_PlS8_lN6thrust23THRUST_200600_302600_NS4plusIvEElEEDaPvRmT3_T4_T5_mT6_P12ihipStream_tbENKUlT_T0_E_clISt17integral_constantIbLb0EESQ_EEDaSL_SM_EUlSL_E0_NS1_11comp_targetILNS1_3genE9ELNS1_11target_archE1100ELNS1_3gpuE3ELNS1_3repE0EEENS1_30default_config_static_selectorELNS0_4arch9wavefront6targetE1EEEvT1_: ; @_ZN7rocprim17ROCPRIM_400000_NS6detail17trampoline_kernelINS0_14default_configENS1_20scan_config_selectorIlEEZZNS1_9scan_implILNS1_25lookback_scan_determinismE0ELb0ELb0ES3_PlS8_lN6thrust23THRUST_200600_302600_NS4plusIvEElEEDaPvRmT3_T4_T5_mT6_P12ihipStream_tbENKUlT_T0_E_clISt17integral_constantIbLb0EESQ_EEDaSL_SM_EUlSL_E0_NS1_11comp_targetILNS1_3genE9ELNS1_11target_archE1100ELNS1_3gpuE3ELNS1_3repE0EEENS1_30default_config_static_selectorELNS0_4arch9wavefront6targetE1EEEvT1_
; %bb.0:
	.section	.rodata,"a",@progbits
	.p2align	6, 0x0
	.amdhsa_kernel _ZN7rocprim17ROCPRIM_400000_NS6detail17trampoline_kernelINS0_14default_configENS1_20scan_config_selectorIlEEZZNS1_9scan_implILNS1_25lookback_scan_determinismE0ELb0ELb0ES3_PlS8_lN6thrust23THRUST_200600_302600_NS4plusIvEElEEDaPvRmT3_T4_T5_mT6_P12ihipStream_tbENKUlT_T0_E_clISt17integral_constantIbLb0EESQ_EEDaSL_SM_EUlSL_E0_NS1_11comp_targetILNS1_3genE9ELNS1_11target_archE1100ELNS1_3gpuE3ELNS1_3repE0EEENS1_30default_config_static_selectorELNS0_4arch9wavefront6targetE1EEEvT1_
		.amdhsa_group_segment_fixed_size 0
		.amdhsa_private_segment_fixed_size 0
		.amdhsa_kernarg_size 40
		.amdhsa_user_sgpr_count 2
		.amdhsa_user_sgpr_dispatch_ptr 0
		.amdhsa_user_sgpr_queue_ptr 0
		.amdhsa_user_sgpr_kernarg_segment_ptr 1
		.amdhsa_user_sgpr_dispatch_id 0
		.amdhsa_user_sgpr_kernarg_preload_length 0
		.amdhsa_user_sgpr_kernarg_preload_offset 0
		.amdhsa_user_sgpr_private_segment_size 0
		.amdhsa_uses_dynamic_stack 0
		.amdhsa_enable_private_segment 0
		.amdhsa_system_sgpr_workgroup_id_x 1
		.amdhsa_system_sgpr_workgroup_id_y 0
		.amdhsa_system_sgpr_workgroup_id_z 0
		.amdhsa_system_sgpr_workgroup_info 0
		.amdhsa_system_vgpr_workitem_id 0
		.amdhsa_next_free_vgpr 1
		.amdhsa_next_free_sgpr 0
		.amdhsa_accum_offset 4
		.amdhsa_reserve_vcc 0
		.amdhsa_float_round_mode_32 0
		.amdhsa_float_round_mode_16_64 0
		.amdhsa_float_denorm_mode_32 3
		.amdhsa_float_denorm_mode_16_64 3
		.amdhsa_dx10_clamp 1
		.amdhsa_ieee_mode 1
		.amdhsa_fp16_overflow 0
		.amdhsa_tg_split 0
		.amdhsa_exception_fp_ieee_invalid_op 0
		.amdhsa_exception_fp_denorm_src 0
		.amdhsa_exception_fp_ieee_div_zero 0
		.amdhsa_exception_fp_ieee_overflow 0
		.amdhsa_exception_fp_ieee_underflow 0
		.amdhsa_exception_fp_ieee_inexact 0
		.amdhsa_exception_int_div_zero 0
	.end_amdhsa_kernel
	.section	.text._ZN7rocprim17ROCPRIM_400000_NS6detail17trampoline_kernelINS0_14default_configENS1_20scan_config_selectorIlEEZZNS1_9scan_implILNS1_25lookback_scan_determinismE0ELb0ELb0ES3_PlS8_lN6thrust23THRUST_200600_302600_NS4plusIvEElEEDaPvRmT3_T4_T5_mT6_P12ihipStream_tbENKUlT_T0_E_clISt17integral_constantIbLb0EESQ_EEDaSL_SM_EUlSL_E0_NS1_11comp_targetILNS1_3genE9ELNS1_11target_archE1100ELNS1_3gpuE3ELNS1_3repE0EEENS1_30default_config_static_selectorELNS0_4arch9wavefront6targetE1EEEvT1_,"axG",@progbits,_ZN7rocprim17ROCPRIM_400000_NS6detail17trampoline_kernelINS0_14default_configENS1_20scan_config_selectorIlEEZZNS1_9scan_implILNS1_25lookback_scan_determinismE0ELb0ELb0ES3_PlS8_lN6thrust23THRUST_200600_302600_NS4plusIvEElEEDaPvRmT3_T4_T5_mT6_P12ihipStream_tbENKUlT_T0_E_clISt17integral_constantIbLb0EESQ_EEDaSL_SM_EUlSL_E0_NS1_11comp_targetILNS1_3genE9ELNS1_11target_archE1100ELNS1_3gpuE3ELNS1_3repE0EEENS1_30default_config_static_selectorELNS0_4arch9wavefront6targetE1EEEvT1_,comdat
.Lfunc_end101:
	.size	_ZN7rocprim17ROCPRIM_400000_NS6detail17trampoline_kernelINS0_14default_configENS1_20scan_config_selectorIlEEZZNS1_9scan_implILNS1_25lookback_scan_determinismE0ELb0ELb0ES3_PlS8_lN6thrust23THRUST_200600_302600_NS4plusIvEElEEDaPvRmT3_T4_T5_mT6_P12ihipStream_tbENKUlT_T0_E_clISt17integral_constantIbLb0EESQ_EEDaSL_SM_EUlSL_E0_NS1_11comp_targetILNS1_3genE9ELNS1_11target_archE1100ELNS1_3gpuE3ELNS1_3repE0EEENS1_30default_config_static_selectorELNS0_4arch9wavefront6targetE1EEEvT1_, .Lfunc_end101-_ZN7rocprim17ROCPRIM_400000_NS6detail17trampoline_kernelINS0_14default_configENS1_20scan_config_selectorIlEEZZNS1_9scan_implILNS1_25lookback_scan_determinismE0ELb0ELb0ES3_PlS8_lN6thrust23THRUST_200600_302600_NS4plusIvEElEEDaPvRmT3_T4_T5_mT6_P12ihipStream_tbENKUlT_T0_E_clISt17integral_constantIbLb0EESQ_EEDaSL_SM_EUlSL_E0_NS1_11comp_targetILNS1_3genE9ELNS1_11target_archE1100ELNS1_3gpuE3ELNS1_3repE0EEENS1_30default_config_static_selectorELNS0_4arch9wavefront6targetE1EEEvT1_
                                        ; -- End function
	.section	.AMDGPU.csdata,"",@progbits
; Kernel info:
; codeLenInByte = 0
; NumSgprs: 6
; NumVgprs: 0
; NumAgprs: 0
; TotalNumVgprs: 0
; ScratchSize: 0
; MemoryBound: 0
; FloatMode: 240
; IeeeMode: 1
; LDSByteSize: 0 bytes/workgroup (compile time only)
; SGPRBlocks: 0
; VGPRBlocks: 0
; NumSGPRsForWavesPerEU: 6
; NumVGPRsForWavesPerEU: 1
; AccumOffset: 4
; Occupancy: 8
; WaveLimiterHint : 0
; COMPUTE_PGM_RSRC2:SCRATCH_EN: 0
; COMPUTE_PGM_RSRC2:USER_SGPR: 2
; COMPUTE_PGM_RSRC2:TRAP_HANDLER: 0
; COMPUTE_PGM_RSRC2:TGID_X_EN: 1
; COMPUTE_PGM_RSRC2:TGID_Y_EN: 0
; COMPUTE_PGM_RSRC2:TGID_Z_EN: 0
; COMPUTE_PGM_RSRC2:TIDIG_COMP_CNT: 0
; COMPUTE_PGM_RSRC3_GFX90A:ACCUM_OFFSET: 0
; COMPUTE_PGM_RSRC3_GFX90A:TG_SPLIT: 0
	.section	.text._ZN7rocprim17ROCPRIM_400000_NS6detail17trampoline_kernelINS0_14default_configENS1_20scan_config_selectorIlEEZZNS1_9scan_implILNS1_25lookback_scan_determinismE0ELb0ELb0ES3_PlS8_lN6thrust23THRUST_200600_302600_NS4plusIvEElEEDaPvRmT3_T4_T5_mT6_P12ihipStream_tbENKUlT_T0_E_clISt17integral_constantIbLb0EESQ_EEDaSL_SM_EUlSL_E0_NS1_11comp_targetILNS1_3genE8ELNS1_11target_archE1030ELNS1_3gpuE2ELNS1_3repE0EEENS1_30default_config_static_selectorELNS0_4arch9wavefront6targetE1EEEvT1_,"axG",@progbits,_ZN7rocprim17ROCPRIM_400000_NS6detail17trampoline_kernelINS0_14default_configENS1_20scan_config_selectorIlEEZZNS1_9scan_implILNS1_25lookback_scan_determinismE0ELb0ELb0ES3_PlS8_lN6thrust23THRUST_200600_302600_NS4plusIvEElEEDaPvRmT3_T4_T5_mT6_P12ihipStream_tbENKUlT_T0_E_clISt17integral_constantIbLb0EESQ_EEDaSL_SM_EUlSL_E0_NS1_11comp_targetILNS1_3genE8ELNS1_11target_archE1030ELNS1_3gpuE2ELNS1_3repE0EEENS1_30default_config_static_selectorELNS0_4arch9wavefront6targetE1EEEvT1_,comdat
	.protected	_ZN7rocprim17ROCPRIM_400000_NS6detail17trampoline_kernelINS0_14default_configENS1_20scan_config_selectorIlEEZZNS1_9scan_implILNS1_25lookback_scan_determinismE0ELb0ELb0ES3_PlS8_lN6thrust23THRUST_200600_302600_NS4plusIvEElEEDaPvRmT3_T4_T5_mT6_P12ihipStream_tbENKUlT_T0_E_clISt17integral_constantIbLb0EESQ_EEDaSL_SM_EUlSL_E0_NS1_11comp_targetILNS1_3genE8ELNS1_11target_archE1030ELNS1_3gpuE2ELNS1_3repE0EEENS1_30default_config_static_selectorELNS0_4arch9wavefront6targetE1EEEvT1_ ; -- Begin function _ZN7rocprim17ROCPRIM_400000_NS6detail17trampoline_kernelINS0_14default_configENS1_20scan_config_selectorIlEEZZNS1_9scan_implILNS1_25lookback_scan_determinismE0ELb0ELb0ES3_PlS8_lN6thrust23THRUST_200600_302600_NS4plusIvEElEEDaPvRmT3_T4_T5_mT6_P12ihipStream_tbENKUlT_T0_E_clISt17integral_constantIbLb0EESQ_EEDaSL_SM_EUlSL_E0_NS1_11comp_targetILNS1_3genE8ELNS1_11target_archE1030ELNS1_3gpuE2ELNS1_3repE0EEENS1_30default_config_static_selectorELNS0_4arch9wavefront6targetE1EEEvT1_
	.globl	_ZN7rocprim17ROCPRIM_400000_NS6detail17trampoline_kernelINS0_14default_configENS1_20scan_config_selectorIlEEZZNS1_9scan_implILNS1_25lookback_scan_determinismE0ELb0ELb0ES3_PlS8_lN6thrust23THRUST_200600_302600_NS4plusIvEElEEDaPvRmT3_T4_T5_mT6_P12ihipStream_tbENKUlT_T0_E_clISt17integral_constantIbLb0EESQ_EEDaSL_SM_EUlSL_E0_NS1_11comp_targetILNS1_3genE8ELNS1_11target_archE1030ELNS1_3gpuE2ELNS1_3repE0EEENS1_30default_config_static_selectorELNS0_4arch9wavefront6targetE1EEEvT1_
	.p2align	8
	.type	_ZN7rocprim17ROCPRIM_400000_NS6detail17trampoline_kernelINS0_14default_configENS1_20scan_config_selectorIlEEZZNS1_9scan_implILNS1_25lookback_scan_determinismE0ELb0ELb0ES3_PlS8_lN6thrust23THRUST_200600_302600_NS4plusIvEElEEDaPvRmT3_T4_T5_mT6_P12ihipStream_tbENKUlT_T0_E_clISt17integral_constantIbLb0EESQ_EEDaSL_SM_EUlSL_E0_NS1_11comp_targetILNS1_3genE8ELNS1_11target_archE1030ELNS1_3gpuE2ELNS1_3repE0EEENS1_30default_config_static_selectorELNS0_4arch9wavefront6targetE1EEEvT1_,@function
_ZN7rocprim17ROCPRIM_400000_NS6detail17trampoline_kernelINS0_14default_configENS1_20scan_config_selectorIlEEZZNS1_9scan_implILNS1_25lookback_scan_determinismE0ELb0ELb0ES3_PlS8_lN6thrust23THRUST_200600_302600_NS4plusIvEElEEDaPvRmT3_T4_T5_mT6_P12ihipStream_tbENKUlT_T0_E_clISt17integral_constantIbLb0EESQ_EEDaSL_SM_EUlSL_E0_NS1_11comp_targetILNS1_3genE8ELNS1_11target_archE1030ELNS1_3gpuE2ELNS1_3repE0EEENS1_30default_config_static_selectorELNS0_4arch9wavefront6targetE1EEEvT1_: ; @_ZN7rocprim17ROCPRIM_400000_NS6detail17trampoline_kernelINS0_14default_configENS1_20scan_config_selectorIlEEZZNS1_9scan_implILNS1_25lookback_scan_determinismE0ELb0ELb0ES3_PlS8_lN6thrust23THRUST_200600_302600_NS4plusIvEElEEDaPvRmT3_T4_T5_mT6_P12ihipStream_tbENKUlT_T0_E_clISt17integral_constantIbLb0EESQ_EEDaSL_SM_EUlSL_E0_NS1_11comp_targetILNS1_3genE8ELNS1_11target_archE1030ELNS1_3gpuE2ELNS1_3repE0EEENS1_30default_config_static_selectorELNS0_4arch9wavefront6targetE1EEEvT1_
; %bb.0:
	.section	.rodata,"a",@progbits
	.p2align	6, 0x0
	.amdhsa_kernel _ZN7rocprim17ROCPRIM_400000_NS6detail17trampoline_kernelINS0_14default_configENS1_20scan_config_selectorIlEEZZNS1_9scan_implILNS1_25lookback_scan_determinismE0ELb0ELb0ES3_PlS8_lN6thrust23THRUST_200600_302600_NS4plusIvEElEEDaPvRmT3_T4_T5_mT6_P12ihipStream_tbENKUlT_T0_E_clISt17integral_constantIbLb0EESQ_EEDaSL_SM_EUlSL_E0_NS1_11comp_targetILNS1_3genE8ELNS1_11target_archE1030ELNS1_3gpuE2ELNS1_3repE0EEENS1_30default_config_static_selectorELNS0_4arch9wavefront6targetE1EEEvT1_
		.amdhsa_group_segment_fixed_size 0
		.amdhsa_private_segment_fixed_size 0
		.amdhsa_kernarg_size 40
		.amdhsa_user_sgpr_count 2
		.amdhsa_user_sgpr_dispatch_ptr 0
		.amdhsa_user_sgpr_queue_ptr 0
		.amdhsa_user_sgpr_kernarg_segment_ptr 1
		.amdhsa_user_sgpr_dispatch_id 0
		.amdhsa_user_sgpr_kernarg_preload_length 0
		.amdhsa_user_sgpr_kernarg_preload_offset 0
		.amdhsa_user_sgpr_private_segment_size 0
		.amdhsa_uses_dynamic_stack 0
		.amdhsa_enable_private_segment 0
		.amdhsa_system_sgpr_workgroup_id_x 1
		.amdhsa_system_sgpr_workgroup_id_y 0
		.amdhsa_system_sgpr_workgroup_id_z 0
		.amdhsa_system_sgpr_workgroup_info 0
		.amdhsa_system_vgpr_workitem_id 0
		.amdhsa_next_free_vgpr 1
		.amdhsa_next_free_sgpr 0
		.amdhsa_accum_offset 4
		.amdhsa_reserve_vcc 0
		.amdhsa_float_round_mode_32 0
		.amdhsa_float_round_mode_16_64 0
		.amdhsa_float_denorm_mode_32 3
		.amdhsa_float_denorm_mode_16_64 3
		.amdhsa_dx10_clamp 1
		.amdhsa_ieee_mode 1
		.amdhsa_fp16_overflow 0
		.amdhsa_tg_split 0
		.amdhsa_exception_fp_ieee_invalid_op 0
		.amdhsa_exception_fp_denorm_src 0
		.amdhsa_exception_fp_ieee_div_zero 0
		.amdhsa_exception_fp_ieee_overflow 0
		.amdhsa_exception_fp_ieee_underflow 0
		.amdhsa_exception_fp_ieee_inexact 0
		.amdhsa_exception_int_div_zero 0
	.end_amdhsa_kernel
	.section	.text._ZN7rocprim17ROCPRIM_400000_NS6detail17trampoline_kernelINS0_14default_configENS1_20scan_config_selectorIlEEZZNS1_9scan_implILNS1_25lookback_scan_determinismE0ELb0ELb0ES3_PlS8_lN6thrust23THRUST_200600_302600_NS4plusIvEElEEDaPvRmT3_T4_T5_mT6_P12ihipStream_tbENKUlT_T0_E_clISt17integral_constantIbLb0EESQ_EEDaSL_SM_EUlSL_E0_NS1_11comp_targetILNS1_3genE8ELNS1_11target_archE1030ELNS1_3gpuE2ELNS1_3repE0EEENS1_30default_config_static_selectorELNS0_4arch9wavefront6targetE1EEEvT1_,"axG",@progbits,_ZN7rocprim17ROCPRIM_400000_NS6detail17trampoline_kernelINS0_14default_configENS1_20scan_config_selectorIlEEZZNS1_9scan_implILNS1_25lookback_scan_determinismE0ELb0ELb0ES3_PlS8_lN6thrust23THRUST_200600_302600_NS4plusIvEElEEDaPvRmT3_T4_T5_mT6_P12ihipStream_tbENKUlT_T0_E_clISt17integral_constantIbLb0EESQ_EEDaSL_SM_EUlSL_E0_NS1_11comp_targetILNS1_3genE8ELNS1_11target_archE1030ELNS1_3gpuE2ELNS1_3repE0EEENS1_30default_config_static_selectorELNS0_4arch9wavefront6targetE1EEEvT1_,comdat
.Lfunc_end102:
	.size	_ZN7rocprim17ROCPRIM_400000_NS6detail17trampoline_kernelINS0_14default_configENS1_20scan_config_selectorIlEEZZNS1_9scan_implILNS1_25lookback_scan_determinismE0ELb0ELb0ES3_PlS8_lN6thrust23THRUST_200600_302600_NS4plusIvEElEEDaPvRmT3_T4_T5_mT6_P12ihipStream_tbENKUlT_T0_E_clISt17integral_constantIbLb0EESQ_EEDaSL_SM_EUlSL_E0_NS1_11comp_targetILNS1_3genE8ELNS1_11target_archE1030ELNS1_3gpuE2ELNS1_3repE0EEENS1_30default_config_static_selectorELNS0_4arch9wavefront6targetE1EEEvT1_, .Lfunc_end102-_ZN7rocprim17ROCPRIM_400000_NS6detail17trampoline_kernelINS0_14default_configENS1_20scan_config_selectorIlEEZZNS1_9scan_implILNS1_25lookback_scan_determinismE0ELb0ELb0ES3_PlS8_lN6thrust23THRUST_200600_302600_NS4plusIvEElEEDaPvRmT3_T4_T5_mT6_P12ihipStream_tbENKUlT_T0_E_clISt17integral_constantIbLb0EESQ_EEDaSL_SM_EUlSL_E0_NS1_11comp_targetILNS1_3genE8ELNS1_11target_archE1030ELNS1_3gpuE2ELNS1_3repE0EEENS1_30default_config_static_selectorELNS0_4arch9wavefront6targetE1EEEvT1_
                                        ; -- End function
	.section	.AMDGPU.csdata,"",@progbits
; Kernel info:
; codeLenInByte = 0
; NumSgprs: 6
; NumVgprs: 0
; NumAgprs: 0
; TotalNumVgprs: 0
; ScratchSize: 0
; MemoryBound: 0
; FloatMode: 240
; IeeeMode: 1
; LDSByteSize: 0 bytes/workgroup (compile time only)
; SGPRBlocks: 0
; VGPRBlocks: 0
; NumSGPRsForWavesPerEU: 6
; NumVGPRsForWavesPerEU: 1
; AccumOffset: 4
; Occupancy: 8
; WaveLimiterHint : 0
; COMPUTE_PGM_RSRC2:SCRATCH_EN: 0
; COMPUTE_PGM_RSRC2:USER_SGPR: 2
; COMPUTE_PGM_RSRC2:TRAP_HANDLER: 0
; COMPUTE_PGM_RSRC2:TGID_X_EN: 1
; COMPUTE_PGM_RSRC2:TGID_Y_EN: 0
; COMPUTE_PGM_RSRC2:TGID_Z_EN: 0
; COMPUTE_PGM_RSRC2:TIDIG_COMP_CNT: 0
; COMPUTE_PGM_RSRC3_GFX90A:ACCUM_OFFSET: 0
; COMPUTE_PGM_RSRC3_GFX90A:TG_SPLIT: 0
	.section	.text._ZN7rocprim17ROCPRIM_400000_NS6detail31init_lookback_scan_state_kernelINS1_19lookback_scan_stateIlLb1ELb1EEENS1_16block_id_wrapperIjLb1EEEEEvT_jT0_jPNS7_10value_typeE,"axG",@progbits,_ZN7rocprim17ROCPRIM_400000_NS6detail31init_lookback_scan_state_kernelINS1_19lookback_scan_stateIlLb1ELb1EEENS1_16block_id_wrapperIjLb1EEEEEvT_jT0_jPNS7_10value_typeE,comdat
	.protected	_ZN7rocprim17ROCPRIM_400000_NS6detail31init_lookback_scan_state_kernelINS1_19lookback_scan_stateIlLb1ELb1EEENS1_16block_id_wrapperIjLb1EEEEEvT_jT0_jPNS7_10value_typeE ; -- Begin function _ZN7rocprim17ROCPRIM_400000_NS6detail31init_lookback_scan_state_kernelINS1_19lookback_scan_stateIlLb1ELb1EEENS1_16block_id_wrapperIjLb1EEEEEvT_jT0_jPNS7_10value_typeE
	.globl	_ZN7rocprim17ROCPRIM_400000_NS6detail31init_lookback_scan_state_kernelINS1_19lookback_scan_stateIlLb1ELb1EEENS1_16block_id_wrapperIjLb1EEEEEvT_jT0_jPNS7_10value_typeE
	.p2align	8
	.type	_ZN7rocprim17ROCPRIM_400000_NS6detail31init_lookback_scan_state_kernelINS1_19lookback_scan_stateIlLb1ELb1EEENS1_16block_id_wrapperIjLb1EEEEEvT_jT0_jPNS7_10value_typeE,@function
_ZN7rocprim17ROCPRIM_400000_NS6detail31init_lookback_scan_state_kernelINS1_19lookback_scan_stateIlLb1ELb1EEENS1_16block_id_wrapperIjLb1EEEEEvT_jT0_jPNS7_10value_typeE: ; @_ZN7rocprim17ROCPRIM_400000_NS6detail31init_lookback_scan_state_kernelINS1_19lookback_scan_stateIlLb1ELb1EEENS1_16block_id_wrapperIjLb1EEEEEvT_jT0_jPNS7_10value_typeE
; %bb.0:
	s_load_dword s3, s[0:1], 0x34
	s_load_dwordx2 s[6:7], s[0:1], 0x20
	s_load_dwordx2 s[4:5], s[0:1], 0x0
	s_load_dword s14, s[0:1], 0x8
	s_waitcnt lgkmcnt(0)
	s_and_b32 s3, s3, 0xffff
	s_mul_i32 s2, s2, s3
	s_cmp_eq_u64 s[6:7], 0
	v_add_u32_e32 v0, s2, v0
	s_cbranch_scc1 .LBB103_10
; %bb.1:
	s_load_dword s8, s[0:1], 0x18
	s_mov_b32 s9, 0
	s_waitcnt lgkmcnt(0)
	s_cmp_lt_u32 s8, s14
	s_cselect_b32 s2, s8, 0
	v_cmp_eq_u32_e32 vcc, s2, v0
	s_and_saveexec_b64 s[2:3], vcc
	s_cbranch_execz .LBB103_9
; %bb.2:
	s_add_i32 s8, s8, 64
	s_lshl_b64 s[8:9], s[8:9], 4
	s_add_u32 s12, s4, s8
	s_addc_u32 s13, s5, s9
	v_mov_b64_e32 v[2:3], s[12:13]
	;;#ASMSTART
	global_load_dwordx4 v[2:5], v[2:3] off sc1	
s_waitcnt vmcnt(0)
	;;#ASMEND
	v_mov_b32_e32 v7, 0
	v_and_b32_e32 v6, 0xff, v4
	s_mov_b64 s[10:11], 0
	v_cmp_eq_u64_e32 vcc, 0, v[6:7]
	s_and_saveexec_b64 s[8:9], vcc
	s_cbranch_execz .LBB103_8
; %bb.3:
	s_mov_b32 s15, 1
	v_mov_b64_e32 v[8:9], s[12:13]
.LBB103_4:                              ; =>This Loop Header: Depth=1
                                        ;     Child Loop BB103_5 Depth 2
	s_max_u32 s12, s15, 1
.LBB103_5:                              ;   Parent Loop BB103_4 Depth=1
                                        ; =>  This Inner Loop Header: Depth=2
	s_add_i32 s12, s12, -1
	s_cmp_eq_u32 s12, 0
	s_sleep 1
	s_cbranch_scc0 .LBB103_5
; %bb.6:                                ;   in Loop: Header=BB103_4 Depth=1
	s_cmp_lt_u32 s15, 32
	s_cselect_b64 s[12:13], -1, 0
	s_cmp_lg_u64 s[12:13], 0
	;;#ASMSTART
	global_load_dwordx4 v[2:5], v[8:9] off sc1	
s_waitcnt vmcnt(0)
	;;#ASMEND
	s_addc_u32 s15, s15, 0
	v_and_b32_e32 v6, 0xff, v4
	v_cmp_ne_u64_e32 vcc, 0, v[6:7]
	s_or_b64 s[10:11], vcc, s[10:11]
	s_andn2_b64 exec, exec, s[10:11]
	s_cbranch_execnz .LBB103_4
; %bb.7:
	s_or_b64 exec, exec, s[10:11]
.LBB103_8:
	s_or_b64 exec, exec, s[8:9]
	v_mov_b32_e32 v1, 0
	global_store_dwordx2 v1, v[2:3], s[6:7]
.LBB103_9:
	s_or_b64 exec, exec, s[2:3]
.LBB103_10:
	v_cmp_eq_u32_e32 vcc, 0, v0
	s_and_saveexec_b64 s[2:3], vcc
	s_cbranch_execnz .LBB103_14
; %bb.11:
	s_or_b64 exec, exec, s[2:3]
	v_cmp_gt_u32_e32 vcc, s14, v0
	s_and_saveexec_b64 s[0:1], vcc
	s_cbranch_execnz .LBB103_15
.LBB103_12:
	s_or_b64 exec, exec, s[0:1]
	v_cmp_gt_u32_e32 vcc, 64, v0
	s_and_saveexec_b64 s[0:1], vcc
	s_cbranch_execnz .LBB103_16
.LBB103_13:
	s_endpgm
.LBB103_14:
	s_load_dwordx2 s[0:1], s[0:1], 0x10
	v_mov_b32_e32 v1, 0
	s_waitcnt lgkmcnt(0)
	global_store_dword v1, v1, s[0:1]
	s_or_b64 exec, exec, s[2:3]
	v_cmp_gt_u32_e32 vcc, s14, v0
	s_and_saveexec_b64 s[0:1], vcc
	s_cbranch_execz .LBB103_12
.LBB103_15:
	v_add_u32_e32 v2, 64, v0
	v_mov_b32_e32 v3, 0
	v_lshl_add_u64 v[6:7], v[2:3], 4, s[4:5]
	v_mov_b32_e32 v2, v3
	v_mov_b32_e32 v4, v3
	;; [unrolled: 1-line block ×3, first 2 shown]
	global_store_dwordx4 v[6:7], v[2:5], off
	s_or_b64 exec, exec, s[0:1]
	v_cmp_gt_u32_e32 vcc, 64, v0
	s_and_saveexec_b64 s[0:1], vcc
	s_cbranch_execz .LBB103_13
.LBB103_16:
	v_mov_b32_e32 v1, 0
	v_lshl_add_u64 v[4:5], v[0:1], 4, s[4:5]
	v_mov_b32_e32 v2, 0xff
	v_mov_b32_e32 v0, v1
	;; [unrolled: 1-line block ×3, first 2 shown]
	global_store_dwordx4 v[4:5], v[0:3], off
	s_endpgm
	.section	.rodata,"a",@progbits
	.p2align	6, 0x0
	.amdhsa_kernel _ZN7rocprim17ROCPRIM_400000_NS6detail31init_lookback_scan_state_kernelINS1_19lookback_scan_stateIlLb1ELb1EEENS1_16block_id_wrapperIjLb1EEEEEvT_jT0_jPNS7_10value_typeE
		.amdhsa_group_segment_fixed_size 0
		.amdhsa_private_segment_fixed_size 0
		.amdhsa_kernarg_size 296
		.amdhsa_user_sgpr_count 2
		.amdhsa_user_sgpr_dispatch_ptr 0
		.amdhsa_user_sgpr_queue_ptr 0
		.amdhsa_user_sgpr_kernarg_segment_ptr 1
		.amdhsa_user_sgpr_dispatch_id 0
		.amdhsa_user_sgpr_kernarg_preload_length 0
		.amdhsa_user_sgpr_kernarg_preload_offset 0
		.amdhsa_user_sgpr_private_segment_size 0
		.amdhsa_uses_dynamic_stack 0
		.amdhsa_enable_private_segment 0
		.amdhsa_system_sgpr_workgroup_id_x 1
		.amdhsa_system_sgpr_workgroup_id_y 0
		.amdhsa_system_sgpr_workgroup_id_z 0
		.amdhsa_system_sgpr_workgroup_info 0
		.amdhsa_system_vgpr_workitem_id 0
		.amdhsa_next_free_vgpr 10
		.amdhsa_next_free_sgpr 16
		.amdhsa_accum_offset 12
		.amdhsa_reserve_vcc 1
		.amdhsa_float_round_mode_32 0
		.amdhsa_float_round_mode_16_64 0
		.amdhsa_float_denorm_mode_32 3
		.amdhsa_float_denorm_mode_16_64 3
		.amdhsa_dx10_clamp 1
		.amdhsa_ieee_mode 1
		.amdhsa_fp16_overflow 0
		.amdhsa_tg_split 0
		.amdhsa_exception_fp_ieee_invalid_op 0
		.amdhsa_exception_fp_denorm_src 0
		.amdhsa_exception_fp_ieee_div_zero 0
		.amdhsa_exception_fp_ieee_overflow 0
		.amdhsa_exception_fp_ieee_underflow 0
		.amdhsa_exception_fp_ieee_inexact 0
		.amdhsa_exception_int_div_zero 0
	.end_amdhsa_kernel
	.section	.text._ZN7rocprim17ROCPRIM_400000_NS6detail31init_lookback_scan_state_kernelINS1_19lookback_scan_stateIlLb1ELb1EEENS1_16block_id_wrapperIjLb1EEEEEvT_jT0_jPNS7_10value_typeE,"axG",@progbits,_ZN7rocprim17ROCPRIM_400000_NS6detail31init_lookback_scan_state_kernelINS1_19lookback_scan_stateIlLb1ELb1EEENS1_16block_id_wrapperIjLb1EEEEEvT_jT0_jPNS7_10value_typeE,comdat
.Lfunc_end103:
	.size	_ZN7rocprim17ROCPRIM_400000_NS6detail31init_lookback_scan_state_kernelINS1_19lookback_scan_stateIlLb1ELb1EEENS1_16block_id_wrapperIjLb1EEEEEvT_jT0_jPNS7_10value_typeE, .Lfunc_end103-_ZN7rocprim17ROCPRIM_400000_NS6detail31init_lookback_scan_state_kernelINS1_19lookback_scan_stateIlLb1ELb1EEENS1_16block_id_wrapperIjLb1EEEEEvT_jT0_jPNS7_10value_typeE
                                        ; -- End function
	.section	.AMDGPU.csdata,"",@progbits
; Kernel info:
; codeLenInByte = 448
; NumSgprs: 22
; NumVgprs: 10
; NumAgprs: 0
; TotalNumVgprs: 10
; ScratchSize: 0
; MemoryBound: 0
; FloatMode: 240
; IeeeMode: 1
; LDSByteSize: 0 bytes/workgroup (compile time only)
; SGPRBlocks: 2
; VGPRBlocks: 1
; NumSGPRsForWavesPerEU: 22
; NumVGPRsForWavesPerEU: 10
; AccumOffset: 12
; Occupancy: 8
; WaveLimiterHint : 0
; COMPUTE_PGM_RSRC2:SCRATCH_EN: 0
; COMPUTE_PGM_RSRC2:USER_SGPR: 2
; COMPUTE_PGM_RSRC2:TRAP_HANDLER: 0
; COMPUTE_PGM_RSRC2:TGID_X_EN: 1
; COMPUTE_PGM_RSRC2:TGID_Y_EN: 0
; COMPUTE_PGM_RSRC2:TGID_Z_EN: 0
; COMPUTE_PGM_RSRC2:TIDIG_COMP_CNT: 0
; COMPUTE_PGM_RSRC3_GFX90A:ACCUM_OFFSET: 2
; COMPUTE_PGM_RSRC3_GFX90A:TG_SPLIT: 0
	.section	.text._ZN7rocprim17ROCPRIM_400000_NS6detail17trampoline_kernelINS0_14default_configENS1_20scan_config_selectorIlEEZZNS1_9scan_implILNS1_25lookback_scan_determinismE0ELb0ELb0ES3_PlS8_lN6thrust23THRUST_200600_302600_NS4plusIvEElEEDaPvRmT3_T4_T5_mT6_P12ihipStream_tbENKUlT_T0_E_clISt17integral_constantIbLb1EESQ_EEDaSL_SM_EUlSL_E_NS1_11comp_targetILNS1_3genE0ELNS1_11target_archE4294967295ELNS1_3gpuE0ELNS1_3repE0EEENS1_30default_config_static_selectorELNS0_4arch9wavefront6targetE1EEEvT1_,"axG",@progbits,_ZN7rocprim17ROCPRIM_400000_NS6detail17trampoline_kernelINS0_14default_configENS1_20scan_config_selectorIlEEZZNS1_9scan_implILNS1_25lookback_scan_determinismE0ELb0ELb0ES3_PlS8_lN6thrust23THRUST_200600_302600_NS4plusIvEElEEDaPvRmT3_T4_T5_mT6_P12ihipStream_tbENKUlT_T0_E_clISt17integral_constantIbLb1EESQ_EEDaSL_SM_EUlSL_E_NS1_11comp_targetILNS1_3genE0ELNS1_11target_archE4294967295ELNS1_3gpuE0ELNS1_3repE0EEENS1_30default_config_static_selectorELNS0_4arch9wavefront6targetE1EEEvT1_,comdat
	.protected	_ZN7rocprim17ROCPRIM_400000_NS6detail17trampoline_kernelINS0_14default_configENS1_20scan_config_selectorIlEEZZNS1_9scan_implILNS1_25lookback_scan_determinismE0ELb0ELb0ES3_PlS8_lN6thrust23THRUST_200600_302600_NS4plusIvEElEEDaPvRmT3_T4_T5_mT6_P12ihipStream_tbENKUlT_T0_E_clISt17integral_constantIbLb1EESQ_EEDaSL_SM_EUlSL_E_NS1_11comp_targetILNS1_3genE0ELNS1_11target_archE4294967295ELNS1_3gpuE0ELNS1_3repE0EEENS1_30default_config_static_selectorELNS0_4arch9wavefront6targetE1EEEvT1_ ; -- Begin function _ZN7rocprim17ROCPRIM_400000_NS6detail17trampoline_kernelINS0_14default_configENS1_20scan_config_selectorIlEEZZNS1_9scan_implILNS1_25lookback_scan_determinismE0ELb0ELb0ES3_PlS8_lN6thrust23THRUST_200600_302600_NS4plusIvEElEEDaPvRmT3_T4_T5_mT6_P12ihipStream_tbENKUlT_T0_E_clISt17integral_constantIbLb1EESQ_EEDaSL_SM_EUlSL_E_NS1_11comp_targetILNS1_3genE0ELNS1_11target_archE4294967295ELNS1_3gpuE0ELNS1_3repE0EEENS1_30default_config_static_selectorELNS0_4arch9wavefront6targetE1EEEvT1_
	.globl	_ZN7rocprim17ROCPRIM_400000_NS6detail17trampoline_kernelINS0_14default_configENS1_20scan_config_selectorIlEEZZNS1_9scan_implILNS1_25lookback_scan_determinismE0ELb0ELb0ES3_PlS8_lN6thrust23THRUST_200600_302600_NS4plusIvEElEEDaPvRmT3_T4_T5_mT6_P12ihipStream_tbENKUlT_T0_E_clISt17integral_constantIbLb1EESQ_EEDaSL_SM_EUlSL_E_NS1_11comp_targetILNS1_3genE0ELNS1_11target_archE4294967295ELNS1_3gpuE0ELNS1_3repE0EEENS1_30default_config_static_selectorELNS0_4arch9wavefront6targetE1EEEvT1_
	.p2align	8
	.type	_ZN7rocprim17ROCPRIM_400000_NS6detail17trampoline_kernelINS0_14default_configENS1_20scan_config_selectorIlEEZZNS1_9scan_implILNS1_25lookback_scan_determinismE0ELb0ELb0ES3_PlS8_lN6thrust23THRUST_200600_302600_NS4plusIvEElEEDaPvRmT3_T4_T5_mT6_P12ihipStream_tbENKUlT_T0_E_clISt17integral_constantIbLb1EESQ_EEDaSL_SM_EUlSL_E_NS1_11comp_targetILNS1_3genE0ELNS1_11target_archE4294967295ELNS1_3gpuE0ELNS1_3repE0EEENS1_30default_config_static_selectorELNS0_4arch9wavefront6targetE1EEEvT1_,@function
_ZN7rocprim17ROCPRIM_400000_NS6detail17trampoline_kernelINS0_14default_configENS1_20scan_config_selectorIlEEZZNS1_9scan_implILNS1_25lookback_scan_determinismE0ELb0ELb0ES3_PlS8_lN6thrust23THRUST_200600_302600_NS4plusIvEElEEDaPvRmT3_T4_T5_mT6_P12ihipStream_tbENKUlT_T0_E_clISt17integral_constantIbLb1EESQ_EEDaSL_SM_EUlSL_E_NS1_11comp_targetILNS1_3genE0ELNS1_11target_archE4294967295ELNS1_3gpuE0ELNS1_3repE0EEENS1_30default_config_static_selectorELNS0_4arch9wavefront6targetE1EEEvT1_: ; @_ZN7rocprim17ROCPRIM_400000_NS6detail17trampoline_kernelINS0_14default_configENS1_20scan_config_selectorIlEEZZNS1_9scan_implILNS1_25lookback_scan_determinismE0ELb0ELb0ES3_PlS8_lN6thrust23THRUST_200600_302600_NS4plusIvEElEEDaPvRmT3_T4_T5_mT6_P12ihipStream_tbENKUlT_T0_E_clISt17integral_constantIbLb1EESQ_EEDaSL_SM_EUlSL_E_NS1_11comp_targetILNS1_3genE0ELNS1_11target_archE4294967295ELNS1_3gpuE0ELNS1_3repE0EEENS1_30default_config_static_selectorELNS0_4arch9wavefront6targetE1EEEvT1_
; %bb.0:
	.section	.rodata,"a",@progbits
	.p2align	6, 0x0
	.amdhsa_kernel _ZN7rocprim17ROCPRIM_400000_NS6detail17trampoline_kernelINS0_14default_configENS1_20scan_config_selectorIlEEZZNS1_9scan_implILNS1_25lookback_scan_determinismE0ELb0ELb0ES3_PlS8_lN6thrust23THRUST_200600_302600_NS4plusIvEElEEDaPvRmT3_T4_T5_mT6_P12ihipStream_tbENKUlT_T0_E_clISt17integral_constantIbLb1EESQ_EEDaSL_SM_EUlSL_E_NS1_11comp_targetILNS1_3genE0ELNS1_11target_archE4294967295ELNS1_3gpuE0ELNS1_3repE0EEENS1_30default_config_static_selectorELNS0_4arch9wavefront6targetE1EEEvT1_
		.amdhsa_group_segment_fixed_size 0
		.amdhsa_private_segment_fixed_size 0
		.amdhsa_kernarg_size 104
		.amdhsa_user_sgpr_count 2
		.amdhsa_user_sgpr_dispatch_ptr 0
		.amdhsa_user_sgpr_queue_ptr 0
		.amdhsa_user_sgpr_kernarg_segment_ptr 1
		.amdhsa_user_sgpr_dispatch_id 0
		.amdhsa_user_sgpr_kernarg_preload_length 0
		.amdhsa_user_sgpr_kernarg_preload_offset 0
		.amdhsa_user_sgpr_private_segment_size 0
		.amdhsa_uses_dynamic_stack 0
		.amdhsa_enable_private_segment 0
		.amdhsa_system_sgpr_workgroup_id_x 1
		.amdhsa_system_sgpr_workgroup_id_y 0
		.amdhsa_system_sgpr_workgroup_id_z 0
		.amdhsa_system_sgpr_workgroup_info 0
		.amdhsa_system_vgpr_workitem_id 0
		.amdhsa_next_free_vgpr 1
		.amdhsa_next_free_sgpr 0
		.amdhsa_accum_offset 4
		.amdhsa_reserve_vcc 0
		.amdhsa_float_round_mode_32 0
		.amdhsa_float_round_mode_16_64 0
		.amdhsa_float_denorm_mode_32 3
		.amdhsa_float_denorm_mode_16_64 3
		.amdhsa_dx10_clamp 1
		.amdhsa_ieee_mode 1
		.amdhsa_fp16_overflow 0
		.amdhsa_tg_split 0
		.amdhsa_exception_fp_ieee_invalid_op 0
		.amdhsa_exception_fp_denorm_src 0
		.amdhsa_exception_fp_ieee_div_zero 0
		.amdhsa_exception_fp_ieee_overflow 0
		.amdhsa_exception_fp_ieee_underflow 0
		.amdhsa_exception_fp_ieee_inexact 0
		.amdhsa_exception_int_div_zero 0
	.end_amdhsa_kernel
	.section	.text._ZN7rocprim17ROCPRIM_400000_NS6detail17trampoline_kernelINS0_14default_configENS1_20scan_config_selectorIlEEZZNS1_9scan_implILNS1_25lookback_scan_determinismE0ELb0ELb0ES3_PlS8_lN6thrust23THRUST_200600_302600_NS4plusIvEElEEDaPvRmT3_T4_T5_mT6_P12ihipStream_tbENKUlT_T0_E_clISt17integral_constantIbLb1EESQ_EEDaSL_SM_EUlSL_E_NS1_11comp_targetILNS1_3genE0ELNS1_11target_archE4294967295ELNS1_3gpuE0ELNS1_3repE0EEENS1_30default_config_static_selectorELNS0_4arch9wavefront6targetE1EEEvT1_,"axG",@progbits,_ZN7rocprim17ROCPRIM_400000_NS6detail17trampoline_kernelINS0_14default_configENS1_20scan_config_selectorIlEEZZNS1_9scan_implILNS1_25lookback_scan_determinismE0ELb0ELb0ES3_PlS8_lN6thrust23THRUST_200600_302600_NS4plusIvEElEEDaPvRmT3_T4_T5_mT6_P12ihipStream_tbENKUlT_T0_E_clISt17integral_constantIbLb1EESQ_EEDaSL_SM_EUlSL_E_NS1_11comp_targetILNS1_3genE0ELNS1_11target_archE4294967295ELNS1_3gpuE0ELNS1_3repE0EEENS1_30default_config_static_selectorELNS0_4arch9wavefront6targetE1EEEvT1_,comdat
.Lfunc_end104:
	.size	_ZN7rocprim17ROCPRIM_400000_NS6detail17trampoline_kernelINS0_14default_configENS1_20scan_config_selectorIlEEZZNS1_9scan_implILNS1_25lookback_scan_determinismE0ELb0ELb0ES3_PlS8_lN6thrust23THRUST_200600_302600_NS4plusIvEElEEDaPvRmT3_T4_T5_mT6_P12ihipStream_tbENKUlT_T0_E_clISt17integral_constantIbLb1EESQ_EEDaSL_SM_EUlSL_E_NS1_11comp_targetILNS1_3genE0ELNS1_11target_archE4294967295ELNS1_3gpuE0ELNS1_3repE0EEENS1_30default_config_static_selectorELNS0_4arch9wavefront6targetE1EEEvT1_, .Lfunc_end104-_ZN7rocprim17ROCPRIM_400000_NS6detail17trampoline_kernelINS0_14default_configENS1_20scan_config_selectorIlEEZZNS1_9scan_implILNS1_25lookback_scan_determinismE0ELb0ELb0ES3_PlS8_lN6thrust23THRUST_200600_302600_NS4plusIvEElEEDaPvRmT3_T4_T5_mT6_P12ihipStream_tbENKUlT_T0_E_clISt17integral_constantIbLb1EESQ_EEDaSL_SM_EUlSL_E_NS1_11comp_targetILNS1_3genE0ELNS1_11target_archE4294967295ELNS1_3gpuE0ELNS1_3repE0EEENS1_30default_config_static_selectorELNS0_4arch9wavefront6targetE1EEEvT1_
                                        ; -- End function
	.section	.AMDGPU.csdata,"",@progbits
; Kernel info:
; codeLenInByte = 0
; NumSgprs: 6
; NumVgprs: 0
; NumAgprs: 0
; TotalNumVgprs: 0
; ScratchSize: 0
; MemoryBound: 0
; FloatMode: 240
; IeeeMode: 1
; LDSByteSize: 0 bytes/workgroup (compile time only)
; SGPRBlocks: 0
; VGPRBlocks: 0
; NumSGPRsForWavesPerEU: 6
; NumVGPRsForWavesPerEU: 1
; AccumOffset: 4
; Occupancy: 8
; WaveLimiterHint : 0
; COMPUTE_PGM_RSRC2:SCRATCH_EN: 0
; COMPUTE_PGM_RSRC2:USER_SGPR: 2
; COMPUTE_PGM_RSRC2:TRAP_HANDLER: 0
; COMPUTE_PGM_RSRC2:TGID_X_EN: 1
; COMPUTE_PGM_RSRC2:TGID_Y_EN: 0
; COMPUTE_PGM_RSRC2:TGID_Z_EN: 0
; COMPUTE_PGM_RSRC2:TIDIG_COMP_CNT: 0
; COMPUTE_PGM_RSRC3_GFX90A:ACCUM_OFFSET: 0
; COMPUTE_PGM_RSRC3_GFX90A:TG_SPLIT: 0
	.section	.text._ZN7rocprim17ROCPRIM_400000_NS6detail17trampoline_kernelINS0_14default_configENS1_20scan_config_selectorIlEEZZNS1_9scan_implILNS1_25lookback_scan_determinismE0ELb0ELb0ES3_PlS8_lN6thrust23THRUST_200600_302600_NS4plusIvEElEEDaPvRmT3_T4_T5_mT6_P12ihipStream_tbENKUlT_T0_E_clISt17integral_constantIbLb1EESQ_EEDaSL_SM_EUlSL_E_NS1_11comp_targetILNS1_3genE5ELNS1_11target_archE942ELNS1_3gpuE9ELNS1_3repE0EEENS1_30default_config_static_selectorELNS0_4arch9wavefront6targetE1EEEvT1_,"axG",@progbits,_ZN7rocprim17ROCPRIM_400000_NS6detail17trampoline_kernelINS0_14default_configENS1_20scan_config_selectorIlEEZZNS1_9scan_implILNS1_25lookback_scan_determinismE0ELb0ELb0ES3_PlS8_lN6thrust23THRUST_200600_302600_NS4plusIvEElEEDaPvRmT3_T4_T5_mT6_P12ihipStream_tbENKUlT_T0_E_clISt17integral_constantIbLb1EESQ_EEDaSL_SM_EUlSL_E_NS1_11comp_targetILNS1_3genE5ELNS1_11target_archE942ELNS1_3gpuE9ELNS1_3repE0EEENS1_30default_config_static_selectorELNS0_4arch9wavefront6targetE1EEEvT1_,comdat
	.protected	_ZN7rocprim17ROCPRIM_400000_NS6detail17trampoline_kernelINS0_14default_configENS1_20scan_config_selectorIlEEZZNS1_9scan_implILNS1_25lookback_scan_determinismE0ELb0ELb0ES3_PlS8_lN6thrust23THRUST_200600_302600_NS4plusIvEElEEDaPvRmT3_T4_T5_mT6_P12ihipStream_tbENKUlT_T0_E_clISt17integral_constantIbLb1EESQ_EEDaSL_SM_EUlSL_E_NS1_11comp_targetILNS1_3genE5ELNS1_11target_archE942ELNS1_3gpuE9ELNS1_3repE0EEENS1_30default_config_static_selectorELNS0_4arch9wavefront6targetE1EEEvT1_ ; -- Begin function _ZN7rocprim17ROCPRIM_400000_NS6detail17trampoline_kernelINS0_14default_configENS1_20scan_config_selectorIlEEZZNS1_9scan_implILNS1_25lookback_scan_determinismE0ELb0ELb0ES3_PlS8_lN6thrust23THRUST_200600_302600_NS4plusIvEElEEDaPvRmT3_T4_T5_mT6_P12ihipStream_tbENKUlT_T0_E_clISt17integral_constantIbLb1EESQ_EEDaSL_SM_EUlSL_E_NS1_11comp_targetILNS1_3genE5ELNS1_11target_archE942ELNS1_3gpuE9ELNS1_3repE0EEENS1_30default_config_static_selectorELNS0_4arch9wavefront6targetE1EEEvT1_
	.globl	_ZN7rocprim17ROCPRIM_400000_NS6detail17trampoline_kernelINS0_14default_configENS1_20scan_config_selectorIlEEZZNS1_9scan_implILNS1_25lookback_scan_determinismE0ELb0ELb0ES3_PlS8_lN6thrust23THRUST_200600_302600_NS4plusIvEElEEDaPvRmT3_T4_T5_mT6_P12ihipStream_tbENKUlT_T0_E_clISt17integral_constantIbLb1EESQ_EEDaSL_SM_EUlSL_E_NS1_11comp_targetILNS1_3genE5ELNS1_11target_archE942ELNS1_3gpuE9ELNS1_3repE0EEENS1_30default_config_static_selectorELNS0_4arch9wavefront6targetE1EEEvT1_
	.p2align	8
	.type	_ZN7rocprim17ROCPRIM_400000_NS6detail17trampoline_kernelINS0_14default_configENS1_20scan_config_selectorIlEEZZNS1_9scan_implILNS1_25lookback_scan_determinismE0ELb0ELb0ES3_PlS8_lN6thrust23THRUST_200600_302600_NS4plusIvEElEEDaPvRmT3_T4_T5_mT6_P12ihipStream_tbENKUlT_T0_E_clISt17integral_constantIbLb1EESQ_EEDaSL_SM_EUlSL_E_NS1_11comp_targetILNS1_3genE5ELNS1_11target_archE942ELNS1_3gpuE9ELNS1_3repE0EEENS1_30default_config_static_selectorELNS0_4arch9wavefront6targetE1EEEvT1_,@function
_ZN7rocprim17ROCPRIM_400000_NS6detail17trampoline_kernelINS0_14default_configENS1_20scan_config_selectorIlEEZZNS1_9scan_implILNS1_25lookback_scan_determinismE0ELb0ELb0ES3_PlS8_lN6thrust23THRUST_200600_302600_NS4plusIvEElEEDaPvRmT3_T4_T5_mT6_P12ihipStream_tbENKUlT_T0_E_clISt17integral_constantIbLb1EESQ_EEDaSL_SM_EUlSL_E_NS1_11comp_targetILNS1_3genE5ELNS1_11target_archE942ELNS1_3gpuE9ELNS1_3repE0EEENS1_30default_config_static_selectorELNS0_4arch9wavefront6targetE1EEEvT1_: ; @_ZN7rocprim17ROCPRIM_400000_NS6detail17trampoline_kernelINS0_14default_configENS1_20scan_config_selectorIlEEZZNS1_9scan_implILNS1_25lookback_scan_determinismE0ELb0ELb0ES3_PlS8_lN6thrust23THRUST_200600_302600_NS4plusIvEElEEDaPvRmT3_T4_T5_mT6_P12ihipStream_tbENKUlT_T0_E_clISt17integral_constantIbLb1EESQ_EEDaSL_SM_EUlSL_E_NS1_11comp_targetILNS1_3genE5ELNS1_11target_archE942ELNS1_3gpuE9ELNS1_3repE0EEENS1_30default_config_static_selectorELNS0_4arch9wavefront6targetE1EEEvT1_
; %bb.0:
	s_load_dwordx2 s[10:11], s[0:1], 0x30
	v_cmp_ne_u32_e64 s[6:7], 0, v0
	v_cmp_eq_u32_e64 s[2:3], 0, v0
	s_and_saveexec_b64 s[4:5], s[2:3]
	s_cbranch_execz .LBB105_4
; %bb.1:
	s_mov_b64 s[12:13], exec
	v_mbcnt_lo_u32_b32 v1, s12, 0
	v_mbcnt_hi_u32_b32 v1, s13, v1
	v_cmp_eq_u32_e32 vcc, 0, v1
                                        ; implicit-def: $vgpr2
	s_and_saveexec_b64 s[8:9], vcc
	s_cbranch_execz .LBB105_3
; %bb.2:
	s_load_dwordx2 s[14:15], s[0:1], 0x60
	s_bcnt1_i32_b64 s12, s[12:13]
	v_mov_b32_e32 v2, 0
	v_mov_b32_e32 v3, s12
	s_waitcnt lgkmcnt(0)
	global_atomic_add v2, v2, v3, s[14:15] sc0
.LBB105_3:
	s_or_b64 exec, exec, s[8:9]
	s_waitcnt vmcnt(0)
	v_readfirstlane_b32 s8, v2
	v_mov_b32_e32 v2, 0
	s_nop 0
	v_add_u32_e32 v1, s8, v1
	ds_write_b32 v2, v1
.LBB105_4:
	s_or_b64 exec, exec, s[4:5]
	s_load_dwordx8 s[20:27], s[0:1], 0x0
	s_load_dword s4, s[0:1], 0x38
	s_load_dwordx8 s[12:19], s[0:1], 0x40
	v_mov_b32_e32 v55, 0
	s_waitcnt lgkmcnt(0)
	s_barrier
	ds_read_b32 v1, v55
	s_lshl_b64 s[22:23], s[22:23], 3
	s_add_u32 s5, s20, s22
	s_addc_u32 s8, s21, s23
	s_add_i32 s4, s4, -1
	s_mul_i32 s9, s4, 0xf00
	s_sub_u32 s30, s26, s9
	s_waitcnt lgkmcnt(0)
	v_readfirstlane_b32 s33, v1
	s_subb_u32 s31, s27, 0
	s_mul_i32 s0, s33, 0xf00
	s_mov_b32 s1, 0
	s_cmp_lg_u32 s33, s4
	s_cselect_b64 s[20:21], -1, 0
	s_lshl_b64 s[26:27], s[0:1], 3
	s_add_u32 s4, s5, s26
	s_addc_u32 s5, s8, s27
	s_mov_b64 s[0:1], -1
	s_and_b64 vcc, exec, s[20:21]
	v_lshlrev_b32_e32 v54, 3, v0
	s_barrier
	s_cbranch_vccz .LBB105_6
; %bb.5:
	v_lshl_add_u64 v[2:3], s[4:5], 0, v[54:55]
	v_add_co_u32_e32 v8, vcc, 0x1000, v2
	global_load_dwordx2 v[4:5], v54, s[4:5]
	global_load_dwordx2 v[6:7], v54, s[4:5] offset:2048
	v_addc_co_u32_e32 v9, vcc, 0, v3, vcc
	v_add_co_u32_e32 v10, vcc, 0x2000, v2
	s_mov_b64 s[0:1], 0
	s_nop 0
	v_addc_co_u32_e32 v11, vcc, 0, v3, vcc
	global_load_dwordx2 v[12:13], v[8:9], off
	global_load_dwordx2 v[14:15], v[8:9], off offset:2048
	global_load_dwordx2 v[16:17], v[10:11], off
	global_load_dwordx2 v[18:19], v[10:11], off offset:2048
	v_add_co_u32_e32 v8, vcc, 0x3000, v2
	s_nop 1
	v_addc_co_u32_e32 v9, vcc, 0, v3, vcc
	v_add_co_u32_e32 v10, vcc, 0x4000, v2
	s_nop 1
	v_addc_co_u32_e32 v11, vcc, 0, v3, vcc
	global_load_dwordx2 v[20:21], v[8:9], off
	global_load_dwordx2 v[22:23], v[8:9], off offset:2048
	global_load_dwordx2 v[24:25], v[10:11], off
	global_load_dwordx2 v[26:27], v[10:11], off offset:2048
	v_add_co_u32_e32 v8, vcc, 0x5000, v2
	s_nop 1
	v_addc_co_u32_e32 v9, vcc, 0, v3, vcc
	v_add_co_u32_e32 v10, vcc, 0x6000, v2
	s_nop 1
	v_addc_co_u32_e32 v11, vcc, 0, v3, vcc
	global_load_dwordx2 v[28:29], v[8:9], off
	global_load_dwordx2 v[30:31], v[8:9], off offset:2048
	global_load_dwordx2 v[32:33], v[10:11], off
	global_load_dwordx2 v[34:35], v[10:11], off offset:2048
	v_add_co_u32_e32 v2, vcc, 0x7000, v2
	s_nop 1
	v_addc_co_u32_e32 v3, vcc, 0, v3, vcc
	global_load_dwordx2 v[2:3], v[2:3], off
	s_waitcnt vmcnt(13)
	ds_write2st64_b64 v54, v[4:5], v[6:7] offset1:4
	s_waitcnt vmcnt(11)
	ds_write2st64_b64 v54, v[12:13], v[14:15] offset0:8 offset1:12
	s_waitcnt vmcnt(9)
	ds_write2st64_b64 v54, v[16:17], v[18:19] offset0:16 offset1:20
	;; [unrolled: 2-line block ×6, first 2 shown]
	s_waitcnt vmcnt(0)
	ds_write_b64 v54, v[2:3] offset:28672
	s_waitcnt lgkmcnt(0)
	s_barrier
.LBB105_6:
	s_andn2_b64 vcc, exec, s[0:1]
	v_cmp_gt_u32_e64 s[0:1], s30, v0
	s_cbranch_vccnz .LBB105_38
; %bb.7:
	v_mov_b32_e32 v1, 0
	global_load_dwordx2 v[2:3], v1, s[4:5]
	s_waitcnt vmcnt(0)
	v_mov_b32_e32 v4, v2
	v_mov_b32_e32 v5, v3
	;; [unrolled: 1-line block ×26, first 2 shown]
	v_mov_b64_e32 v[34:35], v[30:31]
	v_mov_b64_e32 v[32:33], v[28:29]
	;; [unrolled: 1-line block ×16, first 2 shown]
	s_and_saveexec_b64 s[8:9], s[0:1]
	s_cbranch_execz .LBB105_9
; %bb.8:
	global_load_dwordx2 v[36:37], v54, s[4:5]
	v_mov_b32_e32 v4, v2
	v_mov_b32_e32 v5, v3
	;; [unrolled: 1-line block ×26, first 2 shown]
	v_mov_b64_e32 v[34:35], v[30:31]
	v_mov_b64_e32 v[32:33], v[28:29]
	;; [unrolled: 1-line block ×16, first 2 shown]
	s_waitcnt vmcnt(0)
	v_mov_b64_e32 v[2:3], v[36:37]
.LBB105_9:
	s_or_b64 exec, exec, s[8:9]
	v_or_b32_e32 v1, 0x100, v0
	v_cmp_gt_u32_e32 vcc, s30, v1
	s_and_saveexec_b64 s[0:1], vcc
	s_cbranch_execz .LBB105_11
; %bb.10:
	global_load_dwordx2 v[6:7], v54, s[4:5] offset:2048
.LBB105_11:
	s_or_b64 exec, exec, s[0:1]
	v_or_b32_e32 v1, 0x200, v0
	v_cmp_gt_u32_e32 vcc, s30, v1
	s_and_saveexec_b64 s[0:1], vcc
	s_cbranch_execz .LBB105_13
; %bb.12:
	v_lshlrev_b32_e32 v1, 3, v1
	global_load_dwordx2 v[8:9], v1, s[4:5]
.LBB105_13:
	s_or_b64 exec, exec, s[0:1]
	v_or_b32_e32 v1, 0x300, v0
	v_cmp_gt_u32_e32 vcc, s30, v1
	s_and_saveexec_b64 s[0:1], vcc
	s_cbranch_execz .LBB105_15
; %bb.14:
	v_lshlrev_b32_e32 v1, 3, v1
	global_load_dwordx2 v[10:11], v1, s[4:5]
.LBB105_15:
	s_or_b64 exec, exec, s[0:1]
	v_or_b32_e32 v1, 0x400, v0
	v_cmp_gt_u32_e32 vcc, s30, v1
	s_and_saveexec_b64 s[0:1], vcc
	s_cbranch_execz .LBB105_17
; %bb.16:
	v_lshlrev_b32_e32 v1, 3, v1
	global_load_dwordx2 v[12:13], v1, s[4:5]
.LBB105_17:
	s_or_b64 exec, exec, s[0:1]
	v_or_b32_e32 v1, 0x500, v0
	v_cmp_gt_u32_e32 vcc, s30, v1
	s_and_saveexec_b64 s[0:1], vcc
	s_cbranch_execz .LBB105_19
; %bb.18:
	v_lshlrev_b32_e32 v1, 3, v1
	global_load_dwordx2 v[14:15], v1, s[4:5]
.LBB105_19:
	s_or_b64 exec, exec, s[0:1]
	v_or_b32_e32 v1, 0x600, v0
	v_cmp_gt_u32_e32 vcc, s30, v1
	s_and_saveexec_b64 s[0:1], vcc
	s_cbranch_execz .LBB105_21
; %bb.20:
	v_lshlrev_b32_e32 v1, 3, v1
	global_load_dwordx2 v[16:17], v1, s[4:5]
.LBB105_21:
	s_or_b64 exec, exec, s[0:1]
	v_or_b32_e32 v1, 0x700, v0
	v_cmp_gt_u32_e32 vcc, s30, v1
	s_and_saveexec_b64 s[0:1], vcc
	s_cbranch_execz .LBB105_23
; %bb.22:
	v_lshlrev_b32_e32 v1, 3, v1
	global_load_dwordx2 v[18:19], v1, s[4:5]
.LBB105_23:
	s_or_b64 exec, exec, s[0:1]
	v_or_b32_e32 v1, 0x800, v0
	v_cmp_gt_u32_e32 vcc, s30, v1
	s_and_saveexec_b64 s[0:1], vcc
	s_cbranch_execz .LBB105_25
; %bb.24:
	v_lshlrev_b32_e32 v1, 3, v1
	global_load_dwordx2 v[20:21], v1, s[4:5]
.LBB105_25:
	s_or_b64 exec, exec, s[0:1]
	v_or_b32_e32 v1, 0x900, v0
	v_cmp_gt_u32_e32 vcc, s30, v1
	s_and_saveexec_b64 s[0:1], vcc
	s_cbranch_execz .LBB105_27
; %bb.26:
	v_lshlrev_b32_e32 v1, 3, v1
	global_load_dwordx2 v[22:23], v1, s[4:5]
.LBB105_27:
	s_or_b64 exec, exec, s[0:1]
	v_or_b32_e32 v1, 0xa00, v0
	v_cmp_gt_u32_e32 vcc, s30, v1
	s_and_saveexec_b64 s[0:1], vcc
	s_cbranch_execz .LBB105_29
; %bb.28:
	v_lshlrev_b32_e32 v1, 3, v1
	global_load_dwordx2 v[24:25], v1, s[4:5]
.LBB105_29:
	s_or_b64 exec, exec, s[0:1]
	v_or_b32_e32 v1, 0xb00, v0
	v_cmp_gt_u32_e32 vcc, s30, v1
	s_and_saveexec_b64 s[0:1], vcc
	s_cbranch_execz .LBB105_31
; %bb.30:
	v_lshlrev_b32_e32 v1, 3, v1
	global_load_dwordx2 v[26:27], v1, s[4:5]
.LBB105_31:
	s_or_b64 exec, exec, s[0:1]
	v_or_b32_e32 v1, 0xc00, v0
	v_cmp_gt_u32_e32 vcc, s30, v1
	s_and_saveexec_b64 s[0:1], vcc
	s_cbranch_execz .LBB105_33
; %bb.32:
	v_lshlrev_b32_e32 v1, 3, v1
	global_load_dwordx2 v[28:29], v1, s[4:5]
.LBB105_33:
	s_or_b64 exec, exec, s[0:1]
	v_or_b32_e32 v1, 0xd00, v0
	v_cmp_gt_u32_e32 vcc, s30, v1
	s_and_saveexec_b64 s[0:1], vcc
	s_cbranch_execz .LBB105_35
; %bb.34:
	v_lshlrev_b32_e32 v1, 3, v1
	global_load_dwordx2 v[30:31], v1, s[4:5]
.LBB105_35:
	s_or_b64 exec, exec, s[0:1]
	v_or_b32_e32 v1, 0xe00, v0
	v_cmp_gt_u32_e32 vcc, s30, v1
	s_and_saveexec_b64 s[0:1], vcc
	s_cbranch_execz .LBB105_37
; %bb.36:
	v_lshlrev_b32_e32 v1, 3, v1
	global_load_dwordx2 v[32:33], v1, s[4:5]
.LBB105_37:
	s_or_b64 exec, exec, s[0:1]
	s_waitcnt vmcnt(0)
	ds_write2st64_b64 v54, v[2:3], v[6:7] offset1:4
	ds_write2st64_b64 v54, v[8:9], v[10:11] offset0:8 offset1:12
	ds_write2st64_b64 v54, v[12:13], v[14:15] offset0:16 offset1:20
	;; [unrolled: 1-line block ×6, first 2 shown]
	ds_write_b64 v54, v[32:33] offset:28672
	s_waitcnt lgkmcnt(0)
	s_barrier
.LBB105_38:
	v_mul_u32_u24_e32 v72, 15, v0
	v_lshlrev_b32_e32 v1, 3, v72
	ds_read2_b64 v[2:5], v1 offset1:1
	ds_read2_b64 v[6:9], v1 offset0:2 offset1:3
	ds_read2_b64 v[10:13], v1 offset0:4 offset1:5
	;; [unrolled: 1-line block ×6, first 2 shown]
	ds_read_b64 v[56:57], v1 offset:112
	s_cmp_lg_u32 s33, 0
	v_lshrrev_b32_e32 v1, 5, v0
	v_cmp_gt_u32_e32 vcc, 64, v0
	s_waitcnt lgkmcnt(0)
	s_barrier
	s_cbranch_scc0 .LBB105_69
; %bb.39:
	v_lshl_add_u64 v[30:31], v[4:5], 0, v[2:3]
	v_lshl_add_u64 v[30:31], v[30:31], 0, v[6:7]
	;; [unrolled: 1-line block ×14, first 2 shown]
	v_add_lshl_u32 v30, v1, v0, 3
	ds_write_b64 v30, v[34:35]
	s_waitcnt lgkmcnt(0)
	s_barrier
	s_and_saveexec_b64 s[8:9], vcc
	s_cbranch_execz .LBB105_43
; %bb.40:
	v_lshlrev_b32_e32 v30, 2, v0
	v_lshrrev_b32_e32 v31, 3, v0
	v_add_lshl_u32 v42, v31, v30, 3
	ds_read2_b64 v[30:33], v42 offset1:1
	ds_read2_b64 v[38:41], v42 offset0:2 offset1:3
	v_mov_b32_e32 v36, 0
	v_mbcnt_lo_u32_b32 v37, -1, 0
	v_mbcnt_hi_u32_b32 v43, -1, v37
	s_waitcnt lgkmcnt(1)
	v_lshl_add_u64 v[32:33], v[32:33], 0, v[30:31]
	s_waitcnt lgkmcnt(0)
	v_lshl_add_u64 v[32:33], v[32:33], 0, v[38:39]
	v_lshl_add_u64 v[32:33], v[32:33], 0, v[40:41]
	v_mov_b32_e32 v39, v36
	v_and_b32_e32 v44, 15, v43
	v_mov_b32_dpp v38, v32 row_shr:1 row_mask:0xf bank_mask:0xf
	v_mov_b32_dpp v37, v33 row_shr:1 row_mask:0xf bank_mask:0xf
	v_lshl_add_u64 v[38:39], v[32:33], 0, v[38:39]
	v_lshl_add_u64 v[40:41], v[36:37], 0, v[38:39]
	v_cmp_eq_u32_e64 s[0:1], 0, v44
	v_cmp_ne_u32_e64 s[4:5], 0, v43
	s_nop 0
	v_cndmask_b32_e64 v37, v38, v32, s[0:1]
	v_cndmask_b32_e64 v39, v41, v33, s[0:1]
	v_cndmask_b32_e64 v38, v40, v32, s[0:1]
	v_mov_b32_dpp v40, v37 row_shr:2 row_mask:0xf bank_mask:0xf
	v_mov_b32_dpp v41, v39 row_shr:2 row_mask:0xf bank_mask:0xf
	v_lshl_add_u64 v[40:41], v[40:41], 0, v[38:39]
	v_cmp_lt_u32_e64 s[0:1], 1, v44
	s_nop 1
	v_cndmask_b32_e64 v37, v37, v40, s[0:1]
	v_cndmask_b32_e64 v39, v39, v41, s[0:1]
	v_cndmask_b32_e64 v38, v38, v40, s[0:1]
	v_mov_b32_dpp v40, v37 row_shr:4 row_mask:0xf bank_mask:0xf
	v_mov_b32_dpp v41, v39 row_shr:4 row_mask:0xf bank_mask:0xf
	v_lshl_add_u64 v[40:41], v[40:41], 0, v[38:39]
	v_cmp_lt_u32_e64 s[0:1], 3, v44
	;; [unrolled: 8-line block ×3, first 2 shown]
	v_and_b32_e32 v44, 16, v43
	s_nop 0
	v_cndmask_b32_e64 v37, v37, v40, s[0:1]
	v_cndmask_b32_e64 v39, v39, v41, s[0:1]
	;; [unrolled: 1-line block ×3, first 2 shown]
	v_mov_b32_dpp v40, v37 row_bcast:15 row_mask:0xf bank_mask:0xf
	v_mov_b32_dpp v41, v39 row_bcast:15 row_mask:0xf bank_mask:0xf
	v_lshl_add_u64 v[40:41], v[40:41], 0, v[38:39]
	v_cmp_eq_u32_e64 s[0:1], 0, v44
	s_nop 1
	v_cndmask_b32_e64 v44, v41, v39, s[0:1]
	v_cndmask_b32_e64 v37, v40, v37, s[0:1]
	s_nop 0
	v_mov_b32_dpp v44, v44 row_bcast:31 row_mask:0xf bank_mask:0xf
	v_mov_b32_dpp v37, v37 row_bcast:31 row_mask:0xf bank_mask:0xf
	s_and_saveexec_b64 s[28:29], s[4:5]
; %bb.41:
	v_cndmask_b32_e64 v33, v41, v39, s[0:1]
	v_cndmask_b32_e64 v32, v40, v38, s[0:1]
	v_cmp_lt_u32_e64 s[0:1], 31, v43
	s_nop 1
	v_cndmask_b32_e64 v39, 0, v44, s[0:1]
	v_cndmask_b32_e64 v38, 0, v37, s[0:1]
	v_lshl_add_u64 v[32:33], v[38:39], 0, v[32:33]
; %bb.42:
	s_or_b64 exec, exec, s[28:29]
	v_add_u32_e32 v37, -1, v43
	v_and_b32_e32 v38, 64, v43
	v_cmp_lt_i32_e64 s[0:1], v37, v38
	; wave barrier
	s_nop 1
	v_cndmask_b32_e64 v37, v37, v43, s[0:1]
	v_lshlrev_b32_e32 v37, 2, v37
	ds_bpermute_b32 v32, v37, v32
	ds_bpermute_b32 v37, v37, v33
	v_mov_b32_e32 v33, v36
	s_waitcnt lgkmcnt(1)
	v_lshl_add_u64 v[30:31], v[30:31], 0, v[32:33]
	s_waitcnt lgkmcnt(0)
	v_lshl_add_u64 v[30:31], v[30:31], 0, v[36:37]
	v_cndmask_b32_e64 v35, v31, v35, s[2:3]
	v_cndmask_b32_e64 v34, v30, v34, s[2:3]
	ds_write_b64 v42, v[34:35]
	; wave barrier
	ds_read2_b64 v[30:33], v42 offset0:1 offset1:2
	ds_read_b64 v[36:37], v42 offset:24
	s_waitcnt lgkmcnt(1)
	v_lshl_add_u64 v[30:31], v[30:31], 0, v[34:35]
	v_lshl_add_u64 v[32:33], v[32:33], 0, v[30:31]
	ds_write2_b64 v42, v[30:31], v[32:33] offset0:1 offset1:2
	s_waitcnt lgkmcnt(1)
	v_lshl_add_u64 v[30:31], v[36:37], 0, v[32:33]
	ds_write_b64 v42, v[30:31] offset:24
.LBB105_43:
	s_or_b64 exec, exec, s[8:9]
	v_mov_b64_e32 v[38:39], 0
	s_waitcnt lgkmcnt(0)
	s_barrier
	s_and_saveexec_b64 s[0:1], s[6:7]
	s_cbranch_execz .LBB105_45
; %bb.44:
	v_add_u32_e32 v30, -1, v0
	v_lshrrev_b32_e32 v31, 5, v30
	v_add_lshl_u32 v30, v31, v30, 3
	ds_read_b64 v[38:39], v30
.LBB105_45:
	s_or_b64 exec, exec, s[0:1]
	s_and_saveexec_b64 s[28:29], vcc
	s_cbranch_execz .LBB105_68
; %bb.46:
	v_mov_b32_e32 v33, 0
	ds_read_b64 v[30:31], v33 offset:2096
	v_mbcnt_lo_u32_b32 v32, -1, 0
	v_mbcnt_hi_u32_b32 v44, -1, v32
	s_mov_b32 s9, 0
	v_cmp_eq_u32_e64 s[4:5], 0, v44
	s_and_saveexec_b64 s[0:1], s[4:5]
	s_cbranch_execz .LBB105_48
; %bb.47:
	s_add_i32 s8, s33, 64
	s_lshl_b64 s[8:9], s[8:9], 4
	s_add_u32 s8, s10, s8
	s_addc_u32 s9, s11, s9
	v_mov_b32_e32 v32, 1
	v_mov_b64_e32 v[34:35], s[8:9]
	s_waitcnt lgkmcnt(0)
	;;#ASMSTART
	global_store_dwordx4 v[34:35], v[30:33] off sc1	
s_waitcnt vmcnt(0)
	;;#ASMEND
.LBB105_48:
	s_or_b64 exec, exec, s[0:1]
	v_xad_u32 v40, v44, -1, s33
	v_add_u32_e32 v32, 64, v40
	v_lshl_add_u64 v[42:43], v[32:33], 4, s[10:11]
	;;#ASMSTART
	global_load_dwordx4 v[34:37], v[42:43] off sc1	
s_waitcnt vmcnt(0)
	;;#ASMEND
	s_nop 0
	v_and_b32_e32 v32, 0xff, v35
	v_and_b32_e32 v37, 0xff00, v35
	v_or3_b32 v34, v34, 0, 0
	v_and_b32_e32 v41, 0xff000000, v35
	v_or3_b32 v32, 0, v32, v37
	;; [unrolled: 2-line block ×3, first 2 shown]
	v_or3_b32 v34, v34, 0, 0
	v_cmp_eq_u16_sdwa s[8:9], v36, v33 src0_sel:BYTE_0 src1_sel:DWORD
	s_and_saveexec_b64 s[0:1], s[8:9]
	s_cbranch_execz .LBB105_54
; %bb.49:
	s_mov_b32 s34, 1
	s_mov_b64 s[8:9], 0
	v_mov_b32_e32 v32, 0
.LBB105_50:                             ; =>This Loop Header: Depth=1
                                        ;     Child Loop BB105_51 Depth 2
	s_max_u32 s35, s34, 1
.LBB105_51:                             ;   Parent Loop BB105_50 Depth=1
                                        ; =>  This Inner Loop Header: Depth=2
	s_add_i32 s35, s35, -1
	s_cmp_eq_u32 s35, 0
	s_sleep 1
	s_cbranch_scc0 .LBB105_51
; %bb.52:                               ;   in Loop: Header=BB105_50 Depth=1
	s_cmp_lt_u32 s34, 32
	s_cselect_b64 s[36:37], -1, 0
	s_cmp_lg_u64 s[36:37], 0
	s_addc_u32 s34, s34, 0
	;;#ASMSTART
	global_load_dwordx4 v[34:37], v[42:43] off sc1	
s_waitcnt vmcnt(0)
	;;#ASMEND
	s_nop 0
	v_cmp_ne_u16_sdwa s[36:37], v36, v32 src0_sel:BYTE_0 src1_sel:DWORD
	s_or_b64 s[8:9], s[36:37], s[8:9]
	s_andn2_b64 exec, exec, s[8:9]
	s_cbranch_execnz .LBB105_50
; %bb.53:
	s_or_b64 exec, exec, s[8:9]
.LBB105_54:
	s_or_b64 exec, exec, s[0:1]
	v_mov_b32_e32 v46, 2
	v_cmp_eq_u16_sdwa s[0:1], v36, v46 src0_sel:BYTE_0 src1_sel:DWORD
	v_lshlrev_b64 v[32:33], v44, -1
	v_and_b32_e32 v47, 63, v44
	v_and_b32_e32 v37, s1, v33
	v_or_b32_e32 v37, 0x80000000, v37
	v_and_b32_e32 v41, s0, v32
	v_ffbl_b32_e32 v37, v37
	v_add_u32_e32 v37, 32, v37
	v_ffbl_b32_e32 v41, v41
	v_cmp_ne_u32_e32 vcc, 63, v47
	v_min_u32_e32 v37, v41, v37
	v_cmp_gt_u32_e64 s[0:1], 62, v47
	v_addc_co_u32_e32 v41, vcc, 0, v44, vcc
	v_lshlrev_b32_e32 v48, 2, v41
	ds_bpermute_b32 v42, v48, v34
	ds_bpermute_b32 v51, v48, v35
	v_mov_b32_e32 v41, 0
	v_mov_b32_e32 v43, v41
	;; [unrolled: 1-line block ×3, first 2 shown]
	s_waitcnt lgkmcnt(1)
	v_lshl_add_u64 v[42:43], v[34:35], 0, v[42:43]
	v_cmp_lt_u32_e32 vcc, v47, v37
	s_waitcnt lgkmcnt(0)
	v_lshl_add_u64 v[50:51], v[50:51], 0, v[42:43]
	v_cmp_gt_u32_e64 s[8:9], 60, v47
	v_cndmask_b32_e32 v45, v34, v42, vcc
	v_cndmask_b32_e64 v42, 0, 1, s[0:1]
	v_lshlrev_b32_e32 v42, 1, v42
	v_cndmask_b32_e32 v43, v35, v51, vcc
	v_add_lshl_u32 v49, v42, v44, 2
	ds_bpermute_b32 v52, v49, v45
	ds_bpermute_b32 v53, v49, v43
	v_cndmask_b32_e32 v42, v34, v50, vcc
	v_add_u32_e32 v50, 2, v47
	v_cndmask_b32_e64 v51, 0, 1, s[8:9]
	v_cmp_gt_u32_e64 s[0:1], v50, v37
	s_waitcnt lgkmcnt(0)
	v_lshl_add_u64 v[52:53], v[52:53], 0, v[42:43]
	v_lshlrev_b32_e32 v51, 2, v51
	v_cndmask_b32_e64 v45, v52, v45, s[0:1]
	v_cndmask_b32_e64 v43, v53, v43, s[0:1]
	v_add_lshl_u32 v51, v51, v44, 2
	ds_bpermute_b32 v58, v51, v45
	ds_bpermute_b32 v59, v51, v43
	v_cmp_gt_u32_e64 s[8:9], 56, v47
	v_cndmask_b32_e64 v42, v52, v42, s[0:1]
	v_add_u32_e32 v52, 4, v47
	v_cndmask_b32_e64 v53, 0, 1, s[8:9]
	s_waitcnt lgkmcnt(0)
	v_lshl_add_u64 v[58:59], v[58:59], 0, v[42:43]
	v_cmp_gt_u32_e64 s[0:1], v52, v37
	v_lshlrev_b32_e32 v53, 3, v53
	v_add_lshl_u32 v53, v53, v44, 2
	v_cndmask_b32_e64 v45, v58, v45, s[0:1]
	v_cndmask_b32_e64 v43, v59, v43, s[0:1]
	ds_bpermute_b32 v60, v53, v45
	ds_bpermute_b32 v61, v53, v43
	v_cmp_gt_u32_e64 s[8:9], 48, v47
	v_cndmask_b32_e64 v42, v58, v42, s[0:1]
	v_add_u32_e32 v55, 8, v47
	v_cndmask_b32_e64 v58, 0, 1, s[8:9]
	s_waitcnt lgkmcnt(0)
	v_lshl_add_u64 v[60:61], v[60:61], 0, v[42:43]
	v_cmp_gt_u32_e64 s[0:1], v55, v37
	v_lshlrev_b32_e32 v58, 4, v58
	v_add_lshl_u32 v58, v58, v44, 2
	v_cndmask_b32_e64 v45, v60, v45, s[0:1]
	v_cndmask_b32_e64 v43, v61, v43, s[0:1]
	;; [unrolled: 13-line block ×3, first 2 shown]
	ds_bpermute_b32 v44, v60, v43
	ds_bpermute_b32 v63, v60, v45
	v_add_u32_e32 v61, 32, v47
	v_cndmask_b32_e64 v42, v62, v42, s[0:1]
	v_cmp_le_u32_e64 s[0:1], v61, v37
	s_waitcnt lgkmcnt(1)
	s_nop 0
	v_cndmask_b32_e64 v45, 0, v44, s[0:1]
	s_waitcnt lgkmcnt(0)
	v_cndmask_b32_e64 v44, 0, v63, s[0:1]
	v_lshl_add_u64 v[42:43], v[44:45], 0, v[42:43]
	v_cndmask_b32_e32 v35, v35, v43, vcc
	v_cndmask_b32_e32 v34, v34, v42, vcc
	s_branch .LBB105_56
.LBB105_55:                             ;   in Loop: Header=BB105_56 Depth=1
	s_or_b64 exec, exec, s[0:1]
	v_cmp_eq_u16_sdwa s[0:1], v36, v46 src0_sel:BYTE_0 src1_sel:DWORD
	v_subrev_u32_e32 v37, 64, v40
	ds_bpermute_b32 v45, v48, v35
	v_and_b32_e32 v40, s1, v33
	v_or_b32_e32 v40, 0x80000000, v40
	v_ffbl_b32_e32 v40, v40
	v_add_u32_e32 v62, 32, v40
	ds_bpermute_b32 v40, v48, v34
	v_and_b32_e32 v44, s0, v32
	v_ffbl_b32_e32 v44, v44
	v_min_u32_e32 v66, v44, v62
	v_mov_b32_e32 v44, v41
	s_waitcnt lgkmcnt(0)
	v_lshl_add_u64 v[62:63], v[34:35], 0, v[40:41]
	v_lshl_add_u64 v[44:45], v[44:45], 0, v[62:63]
	v_cmp_lt_u32_e32 vcc, v47, v66
	v_cmp_gt_u32_e64 s[0:1], v50, v66
	s_nop 0
	v_cndmask_b32_e32 v40, v34, v62, vcc
	v_cndmask_b32_e32 v45, v35, v45, vcc
	ds_bpermute_b32 v62, v49, v40
	ds_bpermute_b32 v63, v49, v45
	v_cndmask_b32_e32 v44, v34, v44, vcc
	s_waitcnt lgkmcnt(0)
	v_lshl_add_u64 v[62:63], v[62:63], 0, v[44:45]
	v_cndmask_b32_e64 v40, v62, v40, s[0:1]
	v_cndmask_b32_e64 v45, v63, v45, s[0:1]
	ds_bpermute_b32 v64, v51, v40
	ds_bpermute_b32 v65, v51, v45
	v_cndmask_b32_e64 v44, v62, v44, s[0:1]
	v_cmp_gt_u32_e64 s[0:1], v52, v66
	s_waitcnt lgkmcnt(0)
	v_lshl_add_u64 v[62:63], v[64:65], 0, v[44:45]
	v_cndmask_b32_e64 v40, v62, v40, s[0:1]
	v_cndmask_b32_e64 v45, v63, v45, s[0:1]
	ds_bpermute_b32 v64, v53, v40
	ds_bpermute_b32 v65, v53, v45
	v_cndmask_b32_e64 v44, v62, v44, s[0:1]
	v_cmp_gt_u32_e64 s[0:1], v55, v66
	;; [unrolled: 8-line block ×3, first 2 shown]
	s_waitcnt lgkmcnt(0)
	v_lshl_add_u64 v[62:63], v[64:65], 0, v[44:45]
	v_cndmask_b32_e64 v40, v62, v40, s[0:1]
	v_cndmask_b32_e64 v45, v63, v45, s[0:1]
	ds_bpermute_b32 v63, v60, v45
	ds_bpermute_b32 v40, v60, v40
	v_cndmask_b32_e64 v44, v62, v44, s[0:1]
	v_cmp_le_u32_e64 s[0:1], v61, v66
	s_waitcnt lgkmcnt(1)
	s_nop 0
	v_cndmask_b32_e64 v63, 0, v63, s[0:1]
	s_waitcnt lgkmcnt(0)
	v_cndmask_b32_e64 v62, 0, v40, s[0:1]
	v_lshl_add_u64 v[44:45], v[62:63], 0, v[44:45]
	v_cndmask_b32_e32 v35, v35, v45, vcc
	v_cndmask_b32_e32 v34, v34, v44, vcc
	v_lshl_add_u64 v[34:35], v[34:35], 0, v[42:43]
	v_mov_b32_e32 v40, v37
.LBB105_56:                             ; =>This Loop Header: Depth=1
                                        ;     Child Loop BB105_59 Depth 2
                                        ;       Child Loop BB105_60 Depth 3
	v_cmp_ne_u16_sdwa s[0:1], v36, v46 src0_sel:BYTE_0 src1_sel:DWORD
	v_mov_b64_e32 v[42:43], v[34:35]
	s_nop 0
	v_cndmask_b32_e64 v36, 0, 1, s[0:1]
	;;#ASMSTART
	;;#ASMEND
	s_nop 0
	v_cmp_ne_u32_e32 vcc, 0, v36
	s_cmp_lg_u64 vcc, exec
	s_cbranch_scc1 .LBB105_63
; %bb.57:                               ;   in Loop: Header=BB105_56 Depth=1
	v_lshl_add_u64 v[44:45], v[40:41], 4, s[10:11]
	;;#ASMSTART
	global_load_dwordx4 v[34:37], v[44:45] off sc1	
s_waitcnt vmcnt(0)
	;;#ASMEND
	s_nop 0
	v_and_b32_e32 v37, 0xff, v35
	v_and_b32_e32 v62, 0xff00, v35
	v_or3_b32 v34, v34, 0, 0
	v_and_b32_e32 v63, 0xff000000, v35
	v_or3_b32 v37, 0, v37, v62
	;; [unrolled: 2-line block ×3, first 2 shown]
	v_or3_b32 v34, v34, 0, 0
	v_cmp_eq_u16_sdwa s[8:9], v36, v41 src0_sel:BYTE_0 src1_sel:DWORD
	s_and_saveexec_b64 s[0:1], s[8:9]
	s_cbranch_execz .LBB105_55
; %bb.58:                               ;   in Loop: Header=BB105_56 Depth=1
	s_mov_b32 s34, 1
	s_mov_b64 s[8:9], 0
.LBB105_59:                             ;   Parent Loop BB105_56 Depth=1
                                        ; =>  This Loop Header: Depth=2
                                        ;       Child Loop BB105_60 Depth 3
	s_max_u32 s35, s34, 1
.LBB105_60:                             ;   Parent Loop BB105_56 Depth=1
                                        ;     Parent Loop BB105_59 Depth=2
                                        ; =>    This Inner Loop Header: Depth=3
	s_add_i32 s35, s35, -1
	s_cmp_eq_u32 s35, 0
	s_sleep 1
	s_cbranch_scc0 .LBB105_60
; %bb.61:                               ;   in Loop: Header=BB105_59 Depth=2
	s_cmp_lt_u32 s34, 32
	s_cselect_b64 s[36:37], -1, 0
	s_cmp_lg_u64 s[36:37], 0
	s_addc_u32 s34, s34, 0
	;;#ASMSTART
	global_load_dwordx4 v[34:37], v[44:45] off sc1	
s_waitcnt vmcnt(0)
	;;#ASMEND
	s_nop 0
	v_cmp_ne_u16_sdwa s[36:37], v36, v41 src0_sel:BYTE_0 src1_sel:DWORD
	s_or_b64 s[8:9], s[36:37], s[8:9]
	s_andn2_b64 exec, exec, s[8:9]
	s_cbranch_execnz .LBB105_59
; %bb.62:                               ;   in Loop: Header=BB105_56 Depth=1
	s_or_b64 exec, exec, s[8:9]
	s_branch .LBB105_55
.LBB105_63:                             ;   in Loop: Header=BB105_56 Depth=1
                                        ; implicit-def: $vgpr34_vgpr35
                                        ; implicit-def: $vgpr36
	s_cbranch_execz .LBB105_56
; %bb.64:
	s_and_saveexec_b64 s[0:1], s[4:5]
	s_cbranch_execz .LBB105_66
; %bb.65:
	s_add_i32 s4, s33, 64
	s_mov_b32 s5, 0
	s_lshl_b64 s[4:5], s[4:5], 4
	s_add_u32 s4, s10, s4
	s_addc_u32 s5, s11, s5
	v_lshl_add_u64 v[30:31], v[42:43], 0, v[30:31]
	v_mov_b32_e32 v32, 2
	v_mov_b32_e32 v33, 0
	v_mov_b64_e32 v[34:35], s[4:5]
	;;#ASMSTART
	global_store_dwordx4 v[34:35], v[30:33] off sc1	
s_waitcnt vmcnt(0)
	;;#ASMEND
.LBB105_66:
	s_or_b64 exec, exec, s[0:1]
	s_and_b64 exec, exec, s[2:3]
	s_cbranch_execz .LBB105_68
; %bb.67:
	v_mov_b32_e32 v30, 0
	ds_write_b64 v30, v[42:43]
.LBB105_68:
	s_or_b64 exec, exec, s[28:29]
	v_mov_b32_e32 v30, 0
	s_waitcnt lgkmcnt(0)
	s_barrier
	ds_read_b64 v[30:31], v30
	v_lshl_add_u64 v[32:33], v[38:39], 0, v[2:3]
	s_waitcnt lgkmcnt(0)
	v_lshl_add_u64 v[40:41], v[32:33], 0, v[30:31]
	v_lshl_add_u64 v[70:71], v[40:41], 0, v[4:5]
	;; [unrolled: 1-line block ×15, first 2 shown]
	s_branch .LBB105_83
.LBB105_69:
                                        ; implicit-def: $vgpr34_vgpr35_vgpr36_vgpr37
                                        ; implicit-def: $vgpr44_vgpr45_vgpr46_vgpr47
                                        ; implicit-def: $vgpr36_vgpr37_vgpr38_vgpr39
                                        ; implicit-def: $vgpr46_vgpr47_vgpr48_vgpr49
                                        ; implicit-def: $vgpr30_vgpr31
                                        ; implicit-def: $vgpr58_vgpr59
                                        ; implicit-def: $vgpr60_vgpr61
                                        ; implicit-def: $vgpr62_vgpr63
                                        ; implicit-def: $vgpr64_vgpr65
                                        ; implicit-def: $vgpr66_vgpr67
                                        ; implicit-def: $vgpr68_vgpr69
                                        ; implicit-def: $vgpr70_vgpr71
                                        ; implicit-def: $vgpr38_vgpr39_vgpr40_vgpr41
                                        ; implicit-def: $vgpr48_vgpr49_vgpr50_vgpr51
                                        ; implicit-def: $vgpr40_vgpr41_vgpr42_vgpr43
	s_cbranch_execz .LBB105_83
; %bb.70:
	s_cmp_lg_u64 s[16:17], 0
	s_cselect_b64 s[0:1], -1, 0
	s_and_b64 s[4:5], s[2:3], s[0:1]
	v_mov_b64_e32 v[40:41], v[2:3]
	s_and_saveexec_b64 s[0:1], s[4:5]
	s_cbranch_execz .LBB105_72
; %bb.71:
	v_mov_b32_e32 v30, 0
	global_load_dwordx2 v[30:31], v30, s[12:13]
	s_waitcnt vmcnt(0)
	v_lshl_add_u64 v[40:41], v[30:31], 0, v[2:3]
.LBB105_72:
	s_or_b64 exec, exec, s[0:1]
	v_lshl_add_u64 v[70:71], v[4:5], 0, v[40:41]
	v_lshl_add_u64 v[48:49], v[70:71], 0, v[6:7]
	;; [unrolled: 1-line block ×14, first 2 shown]
	v_add_lshl_u32 v1, v1, v0, 3
	v_cmp_gt_u32_e32 vcc, 64, v0
	ds_write_b64 v1, v[30:31]
	s_waitcnt lgkmcnt(0)
	s_barrier
	s_and_saveexec_b64 s[4:5], vcc
	s_cbranch_execz .LBB105_76
; %bb.73:
	v_lshlrev_b32_e32 v1, 2, v0
	v_lshrrev_b32_e32 v2, 3, v0
	v_add_lshl_u32 v1, v2, v1, 3
	ds_read2_b64 v[50:53], v1 offset1:1
	ds_read2_b64 v[74:77], v1 offset0:2 offset1:3
	v_mov_b32_e32 v2, 0
	v_mbcnt_lo_u32_b32 v3, -1, 0
	v_mbcnt_hi_u32_b32 v55, -1, v3
	s_waitcnt lgkmcnt(1)
	v_lshl_add_u64 v[32:33], v[52:53], 0, v[50:51]
	s_waitcnt lgkmcnt(0)
	v_lshl_add_u64 v[32:33], v[32:33], 0, v[74:75]
	v_lshl_add_u64 v[32:33], v[32:33], 0, v[76:77]
	v_mov_b32_e32 v43, v2
	v_and_b32_e32 v73, 15, v55
	v_mov_b32_dpp v42, v32 row_shr:1 row_mask:0xf bank_mask:0xf
	v_mov_b32_dpp v3, v33 row_shr:1 row_mask:0xf bank_mask:0xf
	v_lshl_add_u64 v[42:43], v[32:33], 0, v[42:43]
	v_lshl_add_u64 v[52:53], v[2:3], 0, v[42:43]
	v_cmp_eq_u32_e32 vcc, 0, v73
	v_cmp_ne_u32_e64 s[0:1], 0, v55
	s_nop 0
	v_cndmask_b32_e32 v3, v42, v32, vcc
	v_cndmask_b32_e32 v43, v53, v33, vcc
	v_cndmask_b32_e32 v42, v52, v32, vcc
	v_mov_b32_dpp v52, v3 row_shr:2 row_mask:0xf bank_mask:0xf
	v_mov_b32_dpp v53, v43 row_shr:2 row_mask:0xf bank_mask:0xf
	v_lshl_add_u64 v[52:53], v[52:53], 0, v[42:43]
	v_cmp_lt_u32_e32 vcc, 1, v73
	s_nop 1
	v_cndmask_b32_e32 v3, v3, v52, vcc
	v_cndmask_b32_e32 v43, v43, v53, vcc
	v_cndmask_b32_e32 v42, v42, v52, vcc
	v_mov_b32_dpp v52, v3 row_shr:4 row_mask:0xf bank_mask:0xf
	v_mov_b32_dpp v53, v43 row_shr:4 row_mask:0xf bank_mask:0xf
	v_lshl_add_u64 v[52:53], v[52:53], 0, v[42:43]
	v_cmp_lt_u32_e32 vcc, 3, v73
	;; [unrolled: 8-line block ×3, first 2 shown]
	v_and_b32_e32 v73, 16, v55
	s_nop 0
	v_cndmask_b32_e32 v3, v3, v52, vcc
	v_cndmask_b32_e32 v43, v43, v53, vcc
	;; [unrolled: 1-line block ×3, first 2 shown]
	v_mov_b32_dpp v52, v3 row_bcast:15 row_mask:0xf bank_mask:0xf
	v_mov_b32_dpp v53, v43 row_bcast:15 row_mask:0xf bank_mask:0xf
	v_lshl_add_u64 v[52:53], v[52:53], 0, v[42:43]
	v_cmp_eq_u32_e32 vcc, 0, v73
	s_nop 1
	v_cndmask_b32_e32 v73, v53, v43, vcc
	v_cndmask_b32_e32 v3, v52, v3, vcc
	s_nop 0
	v_mov_b32_dpp v73, v73 row_bcast:31 row_mask:0xf bank_mask:0xf
	v_mov_b32_dpp v3, v3 row_bcast:31 row_mask:0xf bank_mask:0xf
	s_and_saveexec_b64 s[8:9], s[0:1]
; %bb.74:
	v_cndmask_b32_e32 v33, v53, v43, vcc
	v_cndmask_b32_e32 v32, v52, v42, vcc
	v_cmp_lt_u32_e32 vcc, 31, v55
	s_nop 1
	v_cndmask_b32_e32 v43, 0, v73, vcc
	v_cndmask_b32_e32 v42, 0, v3, vcc
	v_lshl_add_u64 v[32:33], v[42:43], 0, v[32:33]
; %bb.75:
	s_or_b64 exec, exec, s[8:9]
	v_add_u32_e32 v3, -1, v55
	v_and_b32_e32 v42, 64, v55
	v_cmp_lt_i32_e32 vcc, v3, v42
	; wave barrier
	s_nop 1
	v_cndmask_b32_e32 v3, v3, v55, vcc
	v_lshlrev_b32_e32 v3, 2, v3
	ds_bpermute_b32 v32, v3, v32
	ds_bpermute_b32 v3, v3, v33
	v_mov_b32_e32 v33, v2
	s_waitcnt lgkmcnt(1)
	v_lshl_add_u64 v[32:33], v[50:51], 0, v[32:33]
	s_waitcnt lgkmcnt(0)
	v_lshl_add_u64 v[2:3], v[32:33], 0, v[2:3]
	v_cndmask_b32_e64 v3, v3, v31, s[2:3]
	v_cndmask_b32_e64 v2, v2, v30, s[2:3]
	ds_write_b64 v1, v[2:3]
	; wave barrier
	ds_read2_b64 v[50:53], v1 offset0:1 offset1:2
	ds_read_b64 v[32:33], v1 offset:24
	s_waitcnt lgkmcnt(1)
	v_lshl_add_u64 v[2:3], v[50:51], 0, v[2:3]
	v_lshl_add_u64 v[42:43], v[52:53], 0, v[2:3]
	ds_write2_b64 v1, v[2:3], v[42:43] offset0:1 offset1:2
	s_waitcnt lgkmcnt(1)
	v_lshl_add_u64 v[2:3], v[32:33], 0, v[42:43]
	ds_write_b64 v1, v[2:3] offset:24
.LBB105_76:
	s_or_b64 exec, exec, s[4:5]
	v_mov_b64_e32 v[2:3], v[30:31]
	s_waitcnt lgkmcnt(0)
	s_barrier
	s_and_saveexec_b64 s[0:1], s[6:7]
	s_cbranch_execz .LBB105_78
; %bb.77:
	v_add_u32_e32 v1, -1, v0
	v_lshrrev_b32_e32 v2, 5, v1
	v_add_lshl_u32 v1, v2, v1, 3
	ds_read_b64 v[2:3], v1
.LBB105_78:
	s_or_b64 exec, exec, s[0:1]
	s_and_saveexec_b64 s[0:1], s[6:7]
	s_cbranch_execz .LBB105_80
; %bb.79:
	s_waitcnt lgkmcnt(0)
	v_lshl_add_u64 v[40:41], v[2:3], 0, v[40:41]
	v_lshl_add_u64 v[70:71], v[40:41], 0, v[4:5]
	;; [unrolled: 1-line block ×15, first 2 shown]
	;;#ASMSTART
	;;#ASMEND
.LBB105_80:
	s_or_b64 exec, exec, s[0:1]
	s_movk_i32 s0, 0xff
	v_cmp_eq_u32_e32 vcc, s0, v0
	s_and_saveexec_b64 s[0:1], vcc
	s_cbranch_execz .LBB105_82
; %bb.81:
	s_add_u32 s2, s10, 0x400
	s_addc_u32 s3, s11, 0
	v_mov_b32_e32 v32, 2
	v_mov_b32_e32 v33, 0
	s_waitcnt lgkmcnt(0)
	v_mov_b64_e32 v[2:3], s[2:3]
	;;#ASMSTART
	global_store_dwordx4 v[2:3], v[30:33] off sc1	
s_waitcnt vmcnt(0)
	;;#ASMEND
.LBB105_82:
	s_or_b64 exec, exec, s[0:1]
.LBB105_83:
	s_add_u32 s0, s24, s22
	s_addc_u32 s1, s25, s23
	s_add_u32 s0, s0, s26
	s_addc_u32 s1, s1, s27
	s_mov_b64 s[2:3], -1
	s_and_b64 vcc, exec, s[20:21]
	s_waitcnt lgkmcnt(0)
	s_barrier
	s_cbranch_vccz .LBB105_85
; %bb.84:
	v_mul_u32_u24_e32 v1, 0x78, v0
	s_movk_i32 s2, 0x78
	ds_write2_b64 v1, v[40:41], v[70:71] offset1:1
	ds_write2_b64 v1, v[48:49], v[68:69] offset0:2 offset1:3
	ds_write2_b64 v1, v[46:47], v[66:67] offset0:4 offset1:5
	;; [unrolled: 1-line block ×6, first 2 shown]
	ds_write_b64 v1, v[30:31] offset:112
	v_mul_i32_i24_e32 v1, 0xffffff90, v0
	v_mad_u32_u24 v1, v0, s2, v1
	v_mov_b32_e32 v55, 0
	s_waitcnt lgkmcnt(0)
	s_barrier
	ds_read2st64_b64 v[2:5], v1 offset1:4
	ds_read2st64_b64 v[6:9], v1 offset0:8 offset1:12
	ds_read2st64_b64 v[10:13], v1 offset0:16 offset1:20
	ds_read2st64_b64 v[14:17], v1 offset0:24 offset1:28
	ds_read2st64_b64 v[18:21], v1 offset0:32 offset1:36
	ds_read2st64_b64 v[22:25], v1 offset0:40 offset1:44
	ds_read2st64_b64 v[26:29], v1 offset0:48 offset1:52
	ds_read_b64 v[32:33], v1 offset:28672
	v_lshl_add_u64 v[42:43], s[0:1], 0, v[54:55]
	s_movk_i32 s2, 0x1000
	s_waitcnt lgkmcnt(7)
	global_store_dwordx2 v54, v[2:3], s[0:1]
	global_store_dwordx2 v54, v[4:5], s[0:1] offset:2048
	v_add_co_u32_e32 v2, vcc, s2, v42
	s_movk_i32 s2, 0x2000
	s_nop 0
	v_addc_co_u32_e32 v3, vcc, 0, v43, vcc
	v_add_co_u32_e32 v4, vcc, s2, v42
	s_movk_i32 s2, 0x3000
	s_nop 0
	v_addc_co_u32_e32 v5, vcc, 0, v43, vcc
	s_waitcnt lgkmcnt(6)
	global_store_dwordx2 v[4:5], v[6:7], off offset:-4096
	global_store_dwordx2 v[2:3], v[8:9], off offset:2048
	s_waitcnt lgkmcnt(5)
	global_store_dwordx2 v[4:5], v[10:11], off
	global_store_dwordx2 v[4:5], v[12:13], off offset:2048
	v_add_co_u32_e32 v2, vcc, s2, v42
	s_movk_i32 s2, 0x4000
	s_nop 0
	v_addc_co_u32_e32 v3, vcc, 0, v43, vcc
	v_add_co_u32_e32 v4, vcc, s2, v42
	s_movk_i32 s2, 0x5000
	s_nop 0
	v_addc_co_u32_e32 v5, vcc, 0, v43, vcc
	s_waitcnt lgkmcnt(4)
	global_store_dwordx2 v[4:5], v[14:15], off offset:-4096
	global_store_dwordx2 v[2:3], v[16:17], off offset:2048
	s_waitcnt lgkmcnt(3)
	global_store_dwordx2 v[4:5], v[18:19], off
	global_store_dwordx2 v[4:5], v[20:21], off offset:2048
	v_add_co_u32_e32 v2, vcc, s2, v42
	s_mov_b64 s[2:3], 0
	s_nop 0
	v_addc_co_u32_e32 v3, vcc, 0, v43, vcc
	s_waitcnt lgkmcnt(2)
	global_store_dwordx2 v[2:3], v[22:23], off
	global_store_dwordx2 v[2:3], v[24:25], off offset:2048
	v_add_co_u32_e32 v2, vcc, 0x6000, v42
	s_nop 1
	v_addc_co_u32_e32 v3, vcc, 0, v43, vcc
	s_waitcnt lgkmcnt(1)
	global_store_dwordx2 v[2:3], v[26:27], off
	global_store_dwordx2 v[2:3], v[28:29], off offset:2048
	v_add_co_u32_e32 v2, vcc, 0x7000, v42
	s_nop 1
	v_addc_co_u32_e32 v3, vcc, 0, v43, vcc
	s_waitcnt lgkmcnt(0)
	global_store_dwordx2 v[2:3], v[32:33], off
.LBB105_85:
	s_andn2_b64 vcc, exec, s[2:3]
	s_cbranch_vccnz .LBB105_171
; %bb.86:
	v_mul_u32_u24_e32 v1, 0x78, v0
	s_movk_i32 s2, 0x78
	ds_write2_b64 v1, v[40:41], v[70:71] offset1:1
	ds_write2_b64 v1, v[48:49], v[68:69] offset0:2 offset1:3
	ds_write2_b64 v1, v[46:47], v[66:67] offset0:4 offset1:5
	;; [unrolled: 1-line block ×6, first 2 shown]
	ds_write_b64 v1, v[30:31] offset:112
	v_mul_i32_i24_e32 v1, 0xffffff90, v0
	v_mad_u32_u24 v1, v0, s2, v1
	s_waitcnt lgkmcnt(0)
	s_barrier
	ds_read2st64_b64 v[6:9], v1 offset1:4
	ds_read2st64_b64 v[14:17], v1 offset0:8 offset1:12
	ds_read2st64_b64 v[10:13], v1 offset0:16 offset1:20
	;; [unrolled: 1-line block ×6, first 2 shown]
	ds_read_b64 v[30:31], v1 offset:28672
	v_mov_b32_e32 v55, 0
	v_lshl_add_u64 v[32:33], s[0:1], 0, v[54:55]
	v_cmp_gt_u32_e32 vcc, s30, v0
	s_and_saveexec_b64 s[0:1], vcc
	s_cbranch_execz .LBB105_88
; %bb.87:
	s_waitcnt lgkmcnt(7)
	global_store_dwordx2 v[32:33], v[6:7], off
.LBB105_88:
	s_or_b64 exec, exec, s[0:1]
	v_or_b32_e32 v1, 0x100, v0
	v_cmp_gt_u32_e32 vcc, s30, v1
	s_and_saveexec_b64 s[0:1], vcc
	s_cbranch_execz .LBB105_90
; %bb.89:
	s_waitcnt lgkmcnt(7)
	global_store_dwordx2 v[32:33], v[8:9], off offset:2048
.LBB105_90:
	s_or_b64 exec, exec, s[0:1]
	v_or_b32_e32 v1, 0x200, v0
	v_cmp_gt_u32_e32 vcc, s30, v1
	s_and_saveexec_b64 s[0:1], vcc
	s_cbranch_execz .LBB105_92
; %bb.91:
	v_add_co_u32_e32 v34, vcc, 0x1000, v32
	s_nop 1
	v_addc_co_u32_e32 v35, vcc, 0, v33, vcc
	s_waitcnt lgkmcnt(6)
	global_store_dwordx2 v[34:35], v[14:15], off
.LBB105_92:
	s_or_b64 exec, exec, s[0:1]
	v_or_b32_e32 v1, 0x300, v0
	v_cmp_gt_u32_e32 vcc, s30, v1
	s_and_saveexec_b64 s[0:1], vcc
	s_cbranch_execz .LBB105_94
; %bb.93:
	v_add_co_u32_e32 v34, vcc, 0x1000, v32
	s_nop 1
	v_addc_co_u32_e32 v35, vcc, 0, v33, vcc
	s_waitcnt lgkmcnt(6)
	global_store_dwordx2 v[34:35], v[16:17], off offset:2048
.LBB105_94:
	s_or_b64 exec, exec, s[0:1]
	v_or_b32_e32 v1, 0x400, v0
	v_cmp_gt_u32_e32 vcc, s30, v1
	s_and_saveexec_b64 s[0:1], vcc
	s_cbranch_execz .LBB105_96
; %bb.95:
	v_add_co_u32_e32 v34, vcc, 0x2000, v32
	s_nop 1
	v_addc_co_u32_e32 v35, vcc, 0, v33, vcc
	s_waitcnt lgkmcnt(5)
	global_store_dwordx2 v[34:35], v[10:11], off
.LBB105_96:
	s_or_b64 exec, exec, s[0:1]
	v_or_b32_e32 v1, 0x500, v0
	v_cmp_gt_u32_e32 vcc, s30, v1
	s_and_saveexec_b64 s[0:1], vcc
	s_cbranch_execz .LBB105_98
; %bb.97:
	v_add_co_u32_e32 v34, vcc, 0x2000, v32
	s_nop 1
	v_addc_co_u32_e32 v35, vcc, 0, v33, vcc
	s_waitcnt lgkmcnt(5)
	global_store_dwordx2 v[34:35], v[12:13], off offset:2048
.LBB105_98:
	;; [unrolled: 24-line block ×6, first 2 shown]
	s_or_b64 exec, exec, s[0:1]
	v_or_b32_e32 v1, 0xe00, v0
	v_cmp_gt_u32_e32 vcc, s30, v1
	s_and_saveexec_b64 s[0:1], vcc
	s_cbranch_execz .LBB105_116
; %bb.115:
	v_add_co_u32_e32 v32, vcc, 0x7000, v32
	s_nop 1
	v_addc_co_u32_e32 v33, vcc, 0, v33, vcc
	s_waitcnt lgkmcnt(0)
	global_store_dwordx2 v[32:33], v[30:31], off
.LBB105_116:
	s_or_b64 exec, exec, s[0:1]
	v_cmp_lt_u64_e64 s[0:1], s[18:19], 2
	s_and_b64 vcc, exec, s[0:1]
	s_cbranch_vccnz .LBB105_171
; %bb.117:
	s_add_u32 s0, s30, -1
	s_addc_u32 s1, s31, -1
	s_add_u32 s2, 0, 0x11108400
	s_addc_u32 s3, 0, 49
	s_add_i32 s3, s3, 0x111110e0
	s_mul_hi_u32 s7, s2, -15
	s_sub_i32 s7, s7, s2
	s_mul_i32 s8, s3, -15
	s_mul_i32 s4, s2, -15
	s_add_i32 s7, s7, s8
	s_mul_hi_u32 s5, s3, s4
	s_mul_i32 s6, s3, s4
	s_mul_i32 s9, s2, s7
	s_mul_hi_u32 s4, s2, s4
	s_mul_hi_u32 s8, s2, s7
	s_add_u32 s4, s4, s9
	s_addc_u32 s8, 0, s8
	s_add_u32 s4, s4, s6
	s_mul_hi_u32 s9, s3, s7
	s_addc_u32 s4, s8, s5
	s_addc_u32 s5, s9, 0
	s_mul_i32 s6, s3, s7
	s_add_u32 s4, s4, s6
	v_mov_b32_e32 v32, s4
	s_addc_u32 s5, 0, s5
	v_add_co_u32_e32 v32, vcc, s2, v32
	s_cmp_lg_u64 vcc, 0
	s_addc_u32 s2, s3, s5
	v_readfirstlane_b32 s5, v32
	s_mul_i32 s4, s0, s2
	s_mul_hi_u32 s6, s0, s5
	s_mul_hi_u32 s3, s0, s2
	s_add_u32 s4, s6, s4
	s_addc_u32 s3, 0, s3
	s_mul_hi_u32 s7, s1, s5
	s_mul_i32 s5, s1, s5
	s_add_u32 s4, s4, s5
	s_mul_hi_u32 s6, s1, s2
	s_addc_u32 s3, s3, s7
	s_addc_u32 s4, s6, 0
	s_mul_i32 s2, s1, s2
	s_add_u32 s2, s3, s2
	s_addc_u32 s3, 0, s4
	s_add_u32 s4, s2, 1
	s_addc_u32 s5, s3, 0
	s_add_u32 s6, s2, 2
	s_mul_i32 s8, s3, 15
	s_mul_hi_u32 s9, s2, 15
	s_addc_u32 s7, s3, 0
	s_add_i32 s9, s9, s8
	s_mul_i32 s8, s2, 15
	v_mov_b32_e32 v32, s8
	v_sub_co_u32_e32 v32, vcc, s0, v32
	s_cmp_lg_u64 vcc, 0
	s_subb_u32 s8, s1, s9
	v_subrev_co_u32_e32 v33, vcc, 15, v32
	s_cmp_lg_u64 vcc, 0
	s_subb_u32 s9, s8, 0
	v_readfirstlane_b32 s10, v33
	s_cmp_gt_u32 s10, 14
	s_cselect_b32 s10, -1, 0
	s_cmp_eq_u32 s9, 0
	s_cselect_b32 s9, s10, -1
	s_cmp_lg_u32 s9, 0
	s_cselect_b32 s4, s6, s4
	v_readfirstlane_b32 s6, v32
	s_cselect_b32 s5, s7, s5
	s_cmp_gt_u32 s6, 14
	s_cselect_b32 s6, -1, 0
	s_cmp_eq_u32 s8, 0
	s_cselect_b32 s6, s6, -1
	s_cmp_lg_u32 s6, 0
	v_mov_b32_e32 v1, v55
	s_cselect_b32 s3, s5, s3
	s_cselect_b32 s2, s4, s2
	v_cmp_eq_u64_e32 vcc, s[2:3], v[0:1]
	s_and_saveexec_b64 s[2:3], vcc
	s_cbranch_execz .LBB105_171
; %bb.118:
	v_mul_hi_u32_u24_e32 v1, 15, v0
	v_mov_b32_e32 v32, s1
	v_sub_co_u32_e32 v0, vcc, s0, v72
	s_nop 1
	v_subb_co_u32_e32 v1, vcc, v32, v1, vcc
	v_cmp_lt_i64_e32 vcc, 7, v[0:1]
	s_and_saveexec_b64 s[0:1], vcc
	s_xor_b64 s[0:1], exec, s[0:1]
	s_cbranch_execz .LBB105_144
; %bb.119:
	v_cmp_lt_i64_e32 vcc, 10, v[0:1]
	s_and_saveexec_b64 s[2:3], vcc
	s_xor_b64 s[2:3], exec, s[2:3]
	s_cbranch_execz .LBB105_133
; %bb.120:
	;; [unrolled: 5-line block ×4, first 2 shown]
	v_mov_b32_e32 v0, 0
	s_waitcnt lgkmcnt(0)
	global_store_dwordx2 v0, v[30:31], s[14:15]
                                        ; implicit-def: $vgpr22_vgpr23_vgpr24_vgpr25
.LBB105_123:
	s_andn2_saveexec_b64 s[6:7], s[6:7]
	s_cbranch_execz .LBB105_125
; %bb.124:
	v_mov_b32_e32 v0, 0
	s_waitcnt lgkmcnt(1)
	global_store_dwordx2 v0, v[24:25], s[14:15]
.LBB105_125:
	s_or_b64 exec, exec, s[6:7]
                                        ; implicit-def: $vgpr2_vgpr3_vgpr4_vgpr5
                                        ; implicit-def: $vgpr0_vgpr1
                                        ; implicit-def: $vgpr22_vgpr23_vgpr24_vgpr25
.LBB105_126:
	s_andn2_saveexec_b64 s[4:5], s[4:5]
	s_cbranch_execz .LBB105_132
; %bb.127:
	v_cmp_lt_i64_e32 vcc, 11, v[0:1]
	s_and_saveexec_b64 s[6:7], vcc
	s_xor_b64 s[6:7], exec, s[6:7]
	s_cbranch_execz .LBB105_129
; %bb.128:
	v_mov_b32_e32 v0, 0
	s_waitcnt lgkmcnt(1)
	global_store_dwordx2 v0, v[22:23], s[14:15]
                                        ; implicit-def: $vgpr2_vgpr3_vgpr4_vgpr5
.LBB105_129:
	s_andn2_saveexec_b64 s[6:7], s[6:7]
	s_cbranch_execz .LBB105_131
; %bb.130:
	v_mov_b32_e32 v0, 0
	s_waitcnt lgkmcnt(2)
	global_store_dwordx2 v0, v[4:5], s[14:15]
.LBB105_131:
	s_or_b64 exec, exec, s[6:7]
.LBB105_132:
	s_or_b64 exec, exec, s[4:5]
                                        ; implicit-def: $vgpr18_vgpr19_vgpr20_vgpr21
                                        ; implicit-def: $vgpr0_vgpr1
                                        ; implicit-def: $vgpr2_vgpr3_vgpr4_vgpr5
.LBB105_133:
	s_andn2_saveexec_b64 s[2:3], s[2:3]
	s_cbranch_execz .LBB105_143
; %bb.134:
	v_cmp_lt_i64_e32 vcc, 8, v[0:1]
	s_and_saveexec_b64 s[4:5], vcc
	s_xor_b64 s[4:5], exec, s[4:5]
	s_cbranch_execz .LBB105_140
; %bb.135:
	v_cmp_lt_i64_e32 vcc, 9, v[0:1]
	s_and_saveexec_b64 s[6:7], vcc
	s_xor_b64 s[6:7], exec, s[6:7]
	s_cbranch_execz .LBB105_137
; %bb.136:
	v_mov_b32_e32 v0, 0
	s_waitcnt lgkmcnt(2)
	global_store_dwordx2 v0, v[2:3], s[14:15]
                                        ; implicit-def: $vgpr18_vgpr19_vgpr20_vgpr21
.LBB105_137:
	s_andn2_saveexec_b64 s[6:7], s[6:7]
	s_cbranch_execz .LBB105_139
; %bb.138:
	v_mov_b32_e32 v0, 0
	s_waitcnt lgkmcnt(3)
	global_store_dwordx2 v0, v[20:21], s[14:15]
.LBB105_139:
	s_or_b64 exec, exec, s[6:7]
                                        ; implicit-def: $vgpr18_vgpr19_vgpr20_vgpr21
.LBB105_140:
	s_andn2_saveexec_b64 s[4:5], s[4:5]
	s_cbranch_execz .LBB105_142
; %bb.141:
	v_mov_b32_e32 v0, 0
	s_waitcnt lgkmcnt(3)
	global_store_dwordx2 v0, v[18:19], s[14:15]
.LBB105_142:
	s_or_b64 exec, exec, s[4:5]
.LBB105_143:
	s_or_b64 exec, exec, s[2:3]
                                        ; implicit-def: $vgpr0_vgpr1
                                        ; implicit-def: $vgpr6_vgpr7_vgpr8_vgpr9
                                        ; implicit-def: $vgpr10_vgpr11_vgpr12_vgpr13
                                        ; implicit-def: $vgpr14_vgpr15_vgpr16_vgpr17
                                        ; implicit-def: $vgpr26_vgpr27_vgpr28_vgpr29
.LBB105_144:
	s_andn2_saveexec_b64 s[0:1], s[0:1]
	s_cbranch_execz .LBB105_171
; %bb.145:
	v_cmp_lt_i64_e32 vcc, 3, v[0:1]
	s_and_saveexec_b64 s[0:1], vcc
	s_xor_b64 s[0:1], exec, s[0:1]
	s_cbranch_execz .LBB105_159
; %bb.146:
	v_cmp_lt_i64_e32 vcc, 5, v[0:1]
	s_and_saveexec_b64 s[2:3], vcc
	s_xor_b64 s[2:3], exec, s[2:3]
	;; [unrolled: 5-line block ×3, first 2 shown]
	s_cbranch_execz .LBB105_149
; %bb.148:
	v_mov_b32_e32 v0, 0
	s_waitcnt lgkmcnt(4)
	global_store_dwordx2 v0, v[28:29], s[14:15]
                                        ; implicit-def: $vgpr26_vgpr27_vgpr28_vgpr29
.LBB105_149:
	s_andn2_saveexec_b64 s[4:5], s[4:5]
	s_cbranch_execz .LBB105_151
; %bb.150:
	v_mov_b32_e32 v0, 0
	s_waitcnt lgkmcnt(4)
	global_store_dwordx2 v0, v[26:27], s[14:15]
.LBB105_151:
	s_or_b64 exec, exec, s[4:5]
                                        ; implicit-def: $vgpr10_vgpr11_vgpr12_vgpr13
                                        ; implicit-def: $vgpr0_vgpr1
.LBB105_152:
	s_andn2_saveexec_b64 s[2:3], s[2:3]
	s_cbranch_execz .LBB105_158
; %bb.153:
	v_cmp_lt_i64_e32 vcc, 4, v[0:1]
	s_and_saveexec_b64 s[4:5], vcc
	s_xor_b64 s[4:5], exec, s[4:5]
	s_cbranch_execz .LBB105_155
; %bb.154:
	v_mov_b32_e32 v0, 0
	s_waitcnt lgkmcnt(5)
	global_store_dwordx2 v0, v[12:13], s[14:15]
                                        ; implicit-def: $vgpr10_vgpr11_vgpr12_vgpr13
.LBB105_155:
	s_andn2_saveexec_b64 s[4:5], s[4:5]
	s_cbranch_execz .LBB105_157
; %bb.156:
	v_mov_b32_e32 v0, 0
	s_waitcnt lgkmcnt(5)
	global_store_dwordx2 v0, v[10:11], s[14:15]
.LBB105_157:
	s_or_b64 exec, exec, s[4:5]
.LBB105_158:
	s_or_b64 exec, exec, s[2:3]
                                        ; implicit-def: $vgpr0_vgpr1
                                        ; implicit-def: $vgpr6_vgpr7_vgpr8_vgpr9
                                        ; implicit-def: $vgpr14_vgpr15_vgpr16_vgpr17
.LBB105_159:
	s_andn2_saveexec_b64 s[0:1], s[0:1]
	s_cbranch_execz .LBB105_171
; %bb.160:
	v_cmp_lt_i64_e32 vcc, 1, v[0:1]
	s_and_saveexec_b64 s[0:1], vcc
	s_xor_b64 s[0:1], exec, s[0:1]
	s_cbranch_execz .LBB105_166
; %bb.161:
	v_cmp_lt_i64_e32 vcc, 2, v[0:1]
	s_and_saveexec_b64 s[2:3], vcc
	s_xor_b64 s[2:3], exec, s[2:3]
	s_cbranch_execz .LBB105_163
; %bb.162:
	v_mov_b32_e32 v0, 0
	s_waitcnt lgkmcnt(6)
	global_store_dwordx2 v0, v[16:17], s[14:15]
                                        ; implicit-def: $vgpr14_vgpr15_vgpr16_vgpr17
.LBB105_163:
	s_andn2_saveexec_b64 s[2:3], s[2:3]
	s_cbranch_execz .LBB105_165
; %bb.164:
	v_mov_b32_e32 v0, 0
	s_waitcnt lgkmcnt(6)
	global_store_dwordx2 v0, v[14:15], s[14:15]
.LBB105_165:
	s_or_b64 exec, exec, s[2:3]
                                        ; implicit-def: $vgpr6_vgpr7_vgpr8_vgpr9
                                        ; implicit-def: $vgpr0_vgpr1
.LBB105_166:
	s_andn2_saveexec_b64 s[0:1], s[0:1]
	s_cbranch_execz .LBB105_171
; %bb.167:
	v_cmp_ne_u64_e32 vcc, 1, v[0:1]
	s_and_saveexec_b64 s[0:1], vcc
	s_xor_b64 s[0:1], exec, s[0:1]
	s_cbranch_execz .LBB105_169
; %bb.168:
	v_mov_b32_e32 v0, 0
	s_waitcnt lgkmcnt(7)
	global_store_dwordx2 v0, v[6:7], s[14:15]
                                        ; implicit-def: $vgpr6_vgpr7_vgpr8_vgpr9
.LBB105_169:
	s_andn2_saveexec_b64 s[0:1], s[0:1]
	s_cbranch_execz .LBB105_171
; %bb.170:
	v_mov_b32_e32 v0, 0
	s_waitcnt lgkmcnt(7)
	global_store_dwordx2 v0, v[8:9], s[14:15]
.LBB105_171:
	s_endpgm
	.section	.rodata,"a",@progbits
	.p2align	6, 0x0
	.amdhsa_kernel _ZN7rocprim17ROCPRIM_400000_NS6detail17trampoline_kernelINS0_14default_configENS1_20scan_config_selectorIlEEZZNS1_9scan_implILNS1_25lookback_scan_determinismE0ELb0ELb0ES3_PlS8_lN6thrust23THRUST_200600_302600_NS4plusIvEElEEDaPvRmT3_T4_T5_mT6_P12ihipStream_tbENKUlT_T0_E_clISt17integral_constantIbLb1EESQ_EEDaSL_SM_EUlSL_E_NS1_11comp_targetILNS1_3genE5ELNS1_11target_archE942ELNS1_3gpuE9ELNS1_3repE0EEENS1_30default_config_static_selectorELNS0_4arch9wavefront6targetE1EEEvT1_
		.amdhsa_group_segment_fixed_size 30720
		.amdhsa_private_segment_fixed_size 0
		.amdhsa_kernarg_size 104
		.amdhsa_user_sgpr_count 2
		.amdhsa_user_sgpr_dispatch_ptr 0
		.amdhsa_user_sgpr_queue_ptr 0
		.amdhsa_user_sgpr_kernarg_segment_ptr 1
		.amdhsa_user_sgpr_dispatch_id 0
		.amdhsa_user_sgpr_kernarg_preload_length 0
		.amdhsa_user_sgpr_kernarg_preload_offset 0
		.amdhsa_user_sgpr_private_segment_size 0
		.amdhsa_uses_dynamic_stack 0
		.amdhsa_enable_private_segment 0
		.amdhsa_system_sgpr_workgroup_id_x 1
		.amdhsa_system_sgpr_workgroup_id_y 0
		.amdhsa_system_sgpr_workgroup_id_z 0
		.amdhsa_system_sgpr_workgroup_info 0
		.amdhsa_system_vgpr_workitem_id 0
		.amdhsa_next_free_vgpr 78
		.amdhsa_next_free_sgpr 38
		.amdhsa_accum_offset 80
		.amdhsa_reserve_vcc 1
		.amdhsa_float_round_mode_32 0
		.amdhsa_float_round_mode_16_64 0
		.amdhsa_float_denorm_mode_32 3
		.amdhsa_float_denorm_mode_16_64 3
		.amdhsa_dx10_clamp 1
		.amdhsa_ieee_mode 1
		.amdhsa_fp16_overflow 0
		.amdhsa_tg_split 0
		.amdhsa_exception_fp_ieee_invalid_op 0
		.amdhsa_exception_fp_denorm_src 0
		.amdhsa_exception_fp_ieee_div_zero 0
		.amdhsa_exception_fp_ieee_overflow 0
		.amdhsa_exception_fp_ieee_underflow 0
		.amdhsa_exception_fp_ieee_inexact 0
		.amdhsa_exception_int_div_zero 0
	.end_amdhsa_kernel
	.section	.text._ZN7rocprim17ROCPRIM_400000_NS6detail17trampoline_kernelINS0_14default_configENS1_20scan_config_selectorIlEEZZNS1_9scan_implILNS1_25lookback_scan_determinismE0ELb0ELb0ES3_PlS8_lN6thrust23THRUST_200600_302600_NS4plusIvEElEEDaPvRmT3_T4_T5_mT6_P12ihipStream_tbENKUlT_T0_E_clISt17integral_constantIbLb1EESQ_EEDaSL_SM_EUlSL_E_NS1_11comp_targetILNS1_3genE5ELNS1_11target_archE942ELNS1_3gpuE9ELNS1_3repE0EEENS1_30default_config_static_selectorELNS0_4arch9wavefront6targetE1EEEvT1_,"axG",@progbits,_ZN7rocprim17ROCPRIM_400000_NS6detail17trampoline_kernelINS0_14default_configENS1_20scan_config_selectorIlEEZZNS1_9scan_implILNS1_25lookback_scan_determinismE0ELb0ELb0ES3_PlS8_lN6thrust23THRUST_200600_302600_NS4plusIvEElEEDaPvRmT3_T4_T5_mT6_P12ihipStream_tbENKUlT_T0_E_clISt17integral_constantIbLb1EESQ_EEDaSL_SM_EUlSL_E_NS1_11comp_targetILNS1_3genE5ELNS1_11target_archE942ELNS1_3gpuE9ELNS1_3repE0EEENS1_30default_config_static_selectorELNS0_4arch9wavefront6targetE1EEEvT1_,comdat
.Lfunc_end105:
	.size	_ZN7rocprim17ROCPRIM_400000_NS6detail17trampoline_kernelINS0_14default_configENS1_20scan_config_selectorIlEEZZNS1_9scan_implILNS1_25lookback_scan_determinismE0ELb0ELb0ES3_PlS8_lN6thrust23THRUST_200600_302600_NS4plusIvEElEEDaPvRmT3_T4_T5_mT6_P12ihipStream_tbENKUlT_T0_E_clISt17integral_constantIbLb1EESQ_EEDaSL_SM_EUlSL_E_NS1_11comp_targetILNS1_3genE5ELNS1_11target_archE942ELNS1_3gpuE9ELNS1_3repE0EEENS1_30default_config_static_selectorELNS0_4arch9wavefront6targetE1EEEvT1_, .Lfunc_end105-_ZN7rocprim17ROCPRIM_400000_NS6detail17trampoline_kernelINS0_14default_configENS1_20scan_config_selectorIlEEZZNS1_9scan_implILNS1_25lookback_scan_determinismE0ELb0ELb0ES3_PlS8_lN6thrust23THRUST_200600_302600_NS4plusIvEElEEDaPvRmT3_T4_T5_mT6_P12ihipStream_tbENKUlT_T0_E_clISt17integral_constantIbLb1EESQ_EEDaSL_SM_EUlSL_E_NS1_11comp_targetILNS1_3genE5ELNS1_11target_archE942ELNS1_3gpuE9ELNS1_3repE0EEENS1_30default_config_static_selectorELNS0_4arch9wavefront6targetE1EEEvT1_
                                        ; -- End function
	.section	.AMDGPU.csdata,"",@progbits
; Kernel info:
; codeLenInByte = 7752
; NumSgprs: 44
; NumVgprs: 78
; NumAgprs: 0
; TotalNumVgprs: 78
; ScratchSize: 0
; MemoryBound: 0
; FloatMode: 240
; IeeeMode: 1
; LDSByteSize: 30720 bytes/workgroup (compile time only)
; SGPRBlocks: 5
; VGPRBlocks: 9
; NumSGPRsForWavesPerEU: 44
; NumVGPRsForWavesPerEU: 78
; AccumOffset: 80
; Occupancy: 2
; WaveLimiterHint : 1
; COMPUTE_PGM_RSRC2:SCRATCH_EN: 0
; COMPUTE_PGM_RSRC2:USER_SGPR: 2
; COMPUTE_PGM_RSRC2:TRAP_HANDLER: 0
; COMPUTE_PGM_RSRC2:TGID_X_EN: 1
; COMPUTE_PGM_RSRC2:TGID_Y_EN: 0
; COMPUTE_PGM_RSRC2:TGID_Z_EN: 0
; COMPUTE_PGM_RSRC2:TIDIG_COMP_CNT: 0
; COMPUTE_PGM_RSRC3_GFX90A:ACCUM_OFFSET: 19
; COMPUTE_PGM_RSRC3_GFX90A:TG_SPLIT: 0
	.section	.text._ZN7rocprim17ROCPRIM_400000_NS6detail17trampoline_kernelINS0_14default_configENS1_20scan_config_selectorIlEEZZNS1_9scan_implILNS1_25lookback_scan_determinismE0ELb0ELb0ES3_PlS8_lN6thrust23THRUST_200600_302600_NS4plusIvEElEEDaPvRmT3_T4_T5_mT6_P12ihipStream_tbENKUlT_T0_E_clISt17integral_constantIbLb1EESQ_EEDaSL_SM_EUlSL_E_NS1_11comp_targetILNS1_3genE4ELNS1_11target_archE910ELNS1_3gpuE8ELNS1_3repE0EEENS1_30default_config_static_selectorELNS0_4arch9wavefront6targetE1EEEvT1_,"axG",@progbits,_ZN7rocprim17ROCPRIM_400000_NS6detail17trampoline_kernelINS0_14default_configENS1_20scan_config_selectorIlEEZZNS1_9scan_implILNS1_25lookback_scan_determinismE0ELb0ELb0ES3_PlS8_lN6thrust23THRUST_200600_302600_NS4plusIvEElEEDaPvRmT3_T4_T5_mT6_P12ihipStream_tbENKUlT_T0_E_clISt17integral_constantIbLb1EESQ_EEDaSL_SM_EUlSL_E_NS1_11comp_targetILNS1_3genE4ELNS1_11target_archE910ELNS1_3gpuE8ELNS1_3repE0EEENS1_30default_config_static_selectorELNS0_4arch9wavefront6targetE1EEEvT1_,comdat
	.protected	_ZN7rocprim17ROCPRIM_400000_NS6detail17trampoline_kernelINS0_14default_configENS1_20scan_config_selectorIlEEZZNS1_9scan_implILNS1_25lookback_scan_determinismE0ELb0ELb0ES3_PlS8_lN6thrust23THRUST_200600_302600_NS4plusIvEElEEDaPvRmT3_T4_T5_mT6_P12ihipStream_tbENKUlT_T0_E_clISt17integral_constantIbLb1EESQ_EEDaSL_SM_EUlSL_E_NS1_11comp_targetILNS1_3genE4ELNS1_11target_archE910ELNS1_3gpuE8ELNS1_3repE0EEENS1_30default_config_static_selectorELNS0_4arch9wavefront6targetE1EEEvT1_ ; -- Begin function _ZN7rocprim17ROCPRIM_400000_NS6detail17trampoline_kernelINS0_14default_configENS1_20scan_config_selectorIlEEZZNS1_9scan_implILNS1_25lookback_scan_determinismE0ELb0ELb0ES3_PlS8_lN6thrust23THRUST_200600_302600_NS4plusIvEElEEDaPvRmT3_T4_T5_mT6_P12ihipStream_tbENKUlT_T0_E_clISt17integral_constantIbLb1EESQ_EEDaSL_SM_EUlSL_E_NS1_11comp_targetILNS1_3genE4ELNS1_11target_archE910ELNS1_3gpuE8ELNS1_3repE0EEENS1_30default_config_static_selectorELNS0_4arch9wavefront6targetE1EEEvT1_
	.globl	_ZN7rocprim17ROCPRIM_400000_NS6detail17trampoline_kernelINS0_14default_configENS1_20scan_config_selectorIlEEZZNS1_9scan_implILNS1_25lookback_scan_determinismE0ELb0ELb0ES3_PlS8_lN6thrust23THRUST_200600_302600_NS4plusIvEElEEDaPvRmT3_T4_T5_mT6_P12ihipStream_tbENKUlT_T0_E_clISt17integral_constantIbLb1EESQ_EEDaSL_SM_EUlSL_E_NS1_11comp_targetILNS1_3genE4ELNS1_11target_archE910ELNS1_3gpuE8ELNS1_3repE0EEENS1_30default_config_static_selectorELNS0_4arch9wavefront6targetE1EEEvT1_
	.p2align	8
	.type	_ZN7rocprim17ROCPRIM_400000_NS6detail17trampoline_kernelINS0_14default_configENS1_20scan_config_selectorIlEEZZNS1_9scan_implILNS1_25lookback_scan_determinismE0ELb0ELb0ES3_PlS8_lN6thrust23THRUST_200600_302600_NS4plusIvEElEEDaPvRmT3_T4_T5_mT6_P12ihipStream_tbENKUlT_T0_E_clISt17integral_constantIbLb1EESQ_EEDaSL_SM_EUlSL_E_NS1_11comp_targetILNS1_3genE4ELNS1_11target_archE910ELNS1_3gpuE8ELNS1_3repE0EEENS1_30default_config_static_selectorELNS0_4arch9wavefront6targetE1EEEvT1_,@function
_ZN7rocprim17ROCPRIM_400000_NS6detail17trampoline_kernelINS0_14default_configENS1_20scan_config_selectorIlEEZZNS1_9scan_implILNS1_25lookback_scan_determinismE0ELb0ELb0ES3_PlS8_lN6thrust23THRUST_200600_302600_NS4plusIvEElEEDaPvRmT3_T4_T5_mT6_P12ihipStream_tbENKUlT_T0_E_clISt17integral_constantIbLb1EESQ_EEDaSL_SM_EUlSL_E_NS1_11comp_targetILNS1_3genE4ELNS1_11target_archE910ELNS1_3gpuE8ELNS1_3repE0EEENS1_30default_config_static_selectorELNS0_4arch9wavefront6targetE1EEEvT1_: ; @_ZN7rocprim17ROCPRIM_400000_NS6detail17trampoline_kernelINS0_14default_configENS1_20scan_config_selectorIlEEZZNS1_9scan_implILNS1_25lookback_scan_determinismE0ELb0ELb0ES3_PlS8_lN6thrust23THRUST_200600_302600_NS4plusIvEElEEDaPvRmT3_T4_T5_mT6_P12ihipStream_tbENKUlT_T0_E_clISt17integral_constantIbLb1EESQ_EEDaSL_SM_EUlSL_E_NS1_11comp_targetILNS1_3genE4ELNS1_11target_archE910ELNS1_3gpuE8ELNS1_3repE0EEENS1_30default_config_static_selectorELNS0_4arch9wavefront6targetE1EEEvT1_
; %bb.0:
	.section	.rodata,"a",@progbits
	.p2align	6, 0x0
	.amdhsa_kernel _ZN7rocprim17ROCPRIM_400000_NS6detail17trampoline_kernelINS0_14default_configENS1_20scan_config_selectorIlEEZZNS1_9scan_implILNS1_25lookback_scan_determinismE0ELb0ELb0ES3_PlS8_lN6thrust23THRUST_200600_302600_NS4plusIvEElEEDaPvRmT3_T4_T5_mT6_P12ihipStream_tbENKUlT_T0_E_clISt17integral_constantIbLb1EESQ_EEDaSL_SM_EUlSL_E_NS1_11comp_targetILNS1_3genE4ELNS1_11target_archE910ELNS1_3gpuE8ELNS1_3repE0EEENS1_30default_config_static_selectorELNS0_4arch9wavefront6targetE1EEEvT1_
		.amdhsa_group_segment_fixed_size 0
		.amdhsa_private_segment_fixed_size 0
		.amdhsa_kernarg_size 104
		.amdhsa_user_sgpr_count 2
		.amdhsa_user_sgpr_dispatch_ptr 0
		.amdhsa_user_sgpr_queue_ptr 0
		.amdhsa_user_sgpr_kernarg_segment_ptr 1
		.amdhsa_user_sgpr_dispatch_id 0
		.amdhsa_user_sgpr_kernarg_preload_length 0
		.amdhsa_user_sgpr_kernarg_preload_offset 0
		.amdhsa_user_sgpr_private_segment_size 0
		.amdhsa_uses_dynamic_stack 0
		.amdhsa_enable_private_segment 0
		.amdhsa_system_sgpr_workgroup_id_x 1
		.amdhsa_system_sgpr_workgroup_id_y 0
		.amdhsa_system_sgpr_workgroup_id_z 0
		.amdhsa_system_sgpr_workgroup_info 0
		.amdhsa_system_vgpr_workitem_id 0
		.amdhsa_next_free_vgpr 1
		.amdhsa_next_free_sgpr 0
		.amdhsa_accum_offset 4
		.amdhsa_reserve_vcc 0
		.amdhsa_float_round_mode_32 0
		.amdhsa_float_round_mode_16_64 0
		.amdhsa_float_denorm_mode_32 3
		.amdhsa_float_denorm_mode_16_64 3
		.amdhsa_dx10_clamp 1
		.amdhsa_ieee_mode 1
		.amdhsa_fp16_overflow 0
		.amdhsa_tg_split 0
		.amdhsa_exception_fp_ieee_invalid_op 0
		.amdhsa_exception_fp_denorm_src 0
		.amdhsa_exception_fp_ieee_div_zero 0
		.amdhsa_exception_fp_ieee_overflow 0
		.amdhsa_exception_fp_ieee_underflow 0
		.amdhsa_exception_fp_ieee_inexact 0
		.amdhsa_exception_int_div_zero 0
	.end_amdhsa_kernel
	.section	.text._ZN7rocprim17ROCPRIM_400000_NS6detail17trampoline_kernelINS0_14default_configENS1_20scan_config_selectorIlEEZZNS1_9scan_implILNS1_25lookback_scan_determinismE0ELb0ELb0ES3_PlS8_lN6thrust23THRUST_200600_302600_NS4plusIvEElEEDaPvRmT3_T4_T5_mT6_P12ihipStream_tbENKUlT_T0_E_clISt17integral_constantIbLb1EESQ_EEDaSL_SM_EUlSL_E_NS1_11comp_targetILNS1_3genE4ELNS1_11target_archE910ELNS1_3gpuE8ELNS1_3repE0EEENS1_30default_config_static_selectorELNS0_4arch9wavefront6targetE1EEEvT1_,"axG",@progbits,_ZN7rocprim17ROCPRIM_400000_NS6detail17trampoline_kernelINS0_14default_configENS1_20scan_config_selectorIlEEZZNS1_9scan_implILNS1_25lookback_scan_determinismE0ELb0ELb0ES3_PlS8_lN6thrust23THRUST_200600_302600_NS4plusIvEElEEDaPvRmT3_T4_T5_mT6_P12ihipStream_tbENKUlT_T0_E_clISt17integral_constantIbLb1EESQ_EEDaSL_SM_EUlSL_E_NS1_11comp_targetILNS1_3genE4ELNS1_11target_archE910ELNS1_3gpuE8ELNS1_3repE0EEENS1_30default_config_static_selectorELNS0_4arch9wavefront6targetE1EEEvT1_,comdat
.Lfunc_end106:
	.size	_ZN7rocprim17ROCPRIM_400000_NS6detail17trampoline_kernelINS0_14default_configENS1_20scan_config_selectorIlEEZZNS1_9scan_implILNS1_25lookback_scan_determinismE0ELb0ELb0ES3_PlS8_lN6thrust23THRUST_200600_302600_NS4plusIvEElEEDaPvRmT3_T4_T5_mT6_P12ihipStream_tbENKUlT_T0_E_clISt17integral_constantIbLb1EESQ_EEDaSL_SM_EUlSL_E_NS1_11comp_targetILNS1_3genE4ELNS1_11target_archE910ELNS1_3gpuE8ELNS1_3repE0EEENS1_30default_config_static_selectorELNS0_4arch9wavefront6targetE1EEEvT1_, .Lfunc_end106-_ZN7rocprim17ROCPRIM_400000_NS6detail17trampoline_kernelINS0_14default_configENS1_20scan_config_selectorIlEEZZNS1_9scan_implILNS1_25lookback_scan_determinismE0ELb0ELb0ES3_PlS8_lN6thrust23THRUST_200600_302600_NS4plusIvEElEEDaPvRmT3_T4_T5_mT6_P12ihipStream_tbENKUlT_T0_E_clISt17integral_constantIbLb1EESQ_EEDaSL_SM_EUlSL_E_NS1_11comp_targetILNS1_3genE4ELNS1_11target_archE910ELNS1_3gpuE8ELNS1_3repE0EEENS1_30default_config_static_selectorELNS0_4arch9wavefront6targetE1EEEvT1_
                                        ; -- End function
	.section	.AMDGPU.csdata,"",@progbits
; Kernel info:
; codeLenInByte = 0
; NumSgprs: 6
; NumVgprs: 0
; NumAgprs: 0
; TotalNumVgprs: 0
; ScratchSize: 0
; MemoryBound: 0
; FloatMode: 240
; IeeeMode: 1
; LDSByteSize: 0 bytes/workgroup (compile time only)
; SGPRBlocks: 0
; VGPRBlocks: 0
; NumSGPRsForWavesPerEU: 6
; NumVGPRsForWavesPerEU: 1
; AccumOffset: 4
; Occupancy: 8
; WaveLimiterHint : 0
; COMPUTE_PGM_RSRC2:SCRATCH_EN: 0
; COMPUTE_PGM_RSRC2:USER_SGPR: 2
; COMPUTE_PGM_RSRC2:TRAP_HANDLER: 0
; COMPUTE_PGM_RSRC2:TGID_X_EN: 1
; COMPUTE_PGM_RSRC2:TGID_Y_EN: 0
; COMPUTE_PGM_RSRC2:TGID_Z_EN: 0
; COMPUTE_PGM_RSRC2:TIDIG_COMP_CNT: 0
; COMPUTE_PGM_RSRC3_GFX90A:ACCUM_OFFSET: 0
; COMPUTE_PGM_RSRC3_GFX90A:TG_SPLIT: 0
	.section	.text._ZN7rocprim17ROCPRIM_400000_NS6detail17trampoline_kernelINS0_14default_configENS1_20scan_config_selectorIlEEZZNS1_9scan_implILNS1_25lookback_scan_determinismE0ELb0ELb0ES3_PlS8_lN6thrust23THRUST_200600_302600_NS4plusIvEElEEDaPvRmT3_T4_T5_mT6_P12ihipStream_tbENKUlT_T0_E_clISt17integral_constantIbLb1EESQ_EEDaSL_SM_EUlSL_E_NS1_11comp_targetILNS1_3genE3ELNS1_11target_archE908ELNS1_3gpuE7ELNS1_3repE0EEENS1_30default_config_static_selectorELNS0_4arch9wavefront6targetE1EEEvT1_,"axG",@progbits,_ZN7rocprim17ROCPRIM_400000_NS6detail17trampoline_kernelINS0_14default_configENS1_20scan_config_selectorIlEEZZNS1_9scan_implILNS1_25lookback_scan_determinismE0ELb0ELb0ES3_PlS8_lN6thrust23THRUST_200600_302600_NS4plusIvEElEEDaPvRmT3_T4_T5_mT6_P12ihipStream_tbENKUlT_T0_E_clISt17integral_constantIbLb1EESQ_EEDaSL_SM_EUlSL_E_NS1_11comp_targetILNS1_3genE3ELNS1_11target_archE908ELNS1_3gpuE7ELNS1_3repE0EEENS1_30default_config_static_selectorELNS0_4arch9wavefront6targetE1EEEvT1_,comdat
	.protected	_ZN7rocprim17ROCPRIM_400000_NS6detail17trampoline_kernelINS0_14default_configENS1_20scan_config_selectorIlEEZZNS1_9scan_implILNS1_25lookback_scan_determinismE0ELb0ELb0ES3_PlS8_lN6thrust23THRUST_200600_302600_NS4plusIvEElEEDaPvRmT3_T4_T5_mT6_P12ihipStream_tbENKUlT_T0_E_clISt17integral_constantIbLb1EESQ_EEDaSL_SM_EUlSL_E_NS1_11comp_targetILNS1_3genE3ELNS1_11target_archE908ELNS1_3gpuE7ELNS1_3repE0EEENS1_30default_config_static_selectorELNS0_4arch9wavefront6targetE1EEEvT1_ ; -- Begin function _ZN7rocprim17ROCPRIM_400000_NS6detail17trampoline_kernelINS0_14default_configENS1_20scan_config_selectorIlEEZZNS1_9scan_implILNS1_25lookback_scan_determinismE0ELb0ELb0ES3_PlS8_lN6thrust23THRUST_200600_302600_NS4plusIvEElEEDaPvRmT3_T4_T5_mT6_P12ihipStream_tbENKUlT_T0_E_clISt17integral_constantIbLb1EESQ_EEDaSL_SM_EUlSL_E_NS1_11comp_targetILNS1_3genE3ELNS1_11target_archE908ELNS1_3gpuE7ELNS1_3repE0EEENS1_30default_config_static_selectorELNS0_4arch9wavefront6targetE1EEEvT1_
	.globl	_ZN7rocprim17ROCPRIM_400000_NS6detail17trampoline_kernelINS0_14default_configENS1_20scan_config_selectorIlEEZZNS1_9scan_implILNS1_25lookback_scan_determinismE0ELb0ELb0ES3_PlS8_lN6thrust23THRUST_200600_302600_NS4plusIvEElEEDaPvRmT3_T4_T5_mT6_P12ihipStream_tbENKUlT_T0_E_clISt17integral_constantIbLb1EESQ_EEDaSL_SM_EUlSL_E_NS1_11comp_targetILNS1_3genE3ELNS1_11target_archE908ELNS1_3gpuE7ELNS1_3repE0EEENS1_30default_config_static_selectorELNS0_4arch9wavefront6targetE1EEEvT1_
	.p2align	8
	.type	_ZN7rocprim17ROCPRIM_400000_NS6detail17trampoline_kernelINS0_14default_configENS1_20scan_config_selectorIlEEZZNS1_9scan_implILNS1_25lookback_scan_determinismE0ELb0ELb0ES3_PlS8_lN6thrust23THRUST_200600_302600_NS4plusIvEElEEDaPvRmT3_T4_T5_mT6_P12ihipStream_tbENKUlT_T0_E_clISt17integral_constantIbLb1EESQ_EEDaSL_SM_EUlSL_E_NS1_11comp_targetILNS1_3genE3ELNS1_11target_archE908ELNS1_3gpuE7ELNS1_3repE0EEENS1_30default_config_static_selectorELNS0_4arch9wavefront6targetE1EEEvT1_,@function
_ZN7rocprim17ROCPRIM_400000_NS6detail17trampoline_kernelINS0_14default_configENS1_20scan_config_selectorIlEEZZNS1_9scan_implILNS1_25lookback_scan_determinismE0ELb0ELb0ES3_PlS8_lN6thrust23THRUST_200600_302600_NS4plusIvEElEEDaPvRmT3_T4_T5_mT6_P12ihipStream_tbENKUlT_T0_E_clISt17integral_constantIbLb1EESQ_EEDaSL_SM_EUlSL_E_NS1_11comp_targetILNS1_3genE3ELNS1_11target_archE908ELNS1_3gpuE7ELNS1_3repE0EEENS1_30default_config_static_selectorELNS0_4arch9wavefront6targetE1EEEvT1_: ; @_ZN7rocprim17ROCPRIM_400000_NS6detail17trampoline_kernelINS0_14default_configENS1_20scan_config_selectorIlEEZZNS1_9scan_implILNS1_25lookback_scan_determinismE0ELb0ELb0ES3_PlS8_lN6thrust23THRUST_200600_302600_NS4plusIvEElEEDaPvRmT3_T4_T5_mT6_P12ihipStream_tbENKUlT_T0_E_clISt17integral_constantIbLb1EESQ_EEDaSL_SM_EUlSL_E_NS1_11comp_targetILNS1_3genE3ELNS1_11target_archE908ELNS1_3gpuE7ELNS1_3repE0EEENS1_30default_config_static_selectorELNS0_4arch9wavefront6targetE1EEEvT1_
; %bb.0:
	.section	.rodata,"a",@progbits
	.p2align	6, 0x0
	.amdhsa_kernel _ZN7rocprim17ROCPRIM_400000_NS6detail17trampoline_kernelINS0_14default_configENS1_20scan_config_selectorIlEEZZNS1_9scan_implILNS1_25lookback_scan_determinismE0ELb0ELb0ES3_PlS8_lN6thrust23THRUST_200600_302600_NS4plusIvEElEEDaPvRmT3_T4_T5_mT6_P12ihipStream_tbENKUlT_T0_E_clISt17integral_constantIbLb1EESQ_EEDaSL_SM_EUlSL_E_NS1_11comp_targetILNS1_3genE3ELNS1_11target_archE908ELNS1_3gpuE7ELNS1_3repE0EEENS1_30default_config_static_selectorELNS0_4arch9wavefront6targetE1EEEvT1_
		.amdhsa_group_segment_fixed_size 0
		.amdhsa_private_segment_fixed_size 0
		.amdhsa_kernarg_size 104
		.amdhsa_user_sgpr_count 2
		.amdhsa_user_sgpr_dispatch_ptr 0
		.amdhsa_user_sgpr_queue_ptr 0
		.amdhsa_user_sgpr_kernarg_segment_ptr 1
		.amdhsa_user_sgpr_dispatch_id 0
		.amdhsa_user_sgpr_kernarg_preload_length 0
		.amdhsa_user_sgpr_kernarg_preload_offset 0
		.amdhsa_user_sgpr_private_segment_size 0
		.amdhsa_uses_dynamic_stack 0
		.amdhsa_enable_private_segment 0
		.amdhsa_system_sgpr_workgroup_id_x 1
		.amdhsa_system_sgpr_workgroup_id_y 0
		.amdhsa_system_sgpr_workgroup_id_z 0
		.amdhsa_system_sgpr_workgroup_info 0
		.amdhsa_system_vgpr_workitem_id 0
		.amdhsa_next_free_vgpr 1
		.amdhsa_next_free_sgpr 0
		.amdhsa_accum_offset 4
		.amdhsa_reserve_vcc 0
		.amdhsa_float_round_mode_32 0
		.amdhsa_float_round_mode_16_64 0
		.amdhsa_float_denorm_mode_32 3
		.amdhsa_float_denorm_mode_16_64 3
		.amdhsa_dx10_clamp 1
		.amdhsa_ieee_mode 1
		.amdhsa_fp16_overflow 0
		.amdhsa_tg_split 0
		.amdhsa_exception_fp_ieee_invalid_op 0
		.amdhsa_exception_fp_denorm_src 0
		.amdhsa_exception_fp_ieee_div_zero 0
		.amdhsa_exception_fp_ieee_overflow 0
		.amdhsa_exception_fp_ieee_underflow 0
		.amdhsa_exception_fp_ieee_inexact 0
		.amdhsa_exception_int_div_zero 0
	.end_amdhsa_kernel
	.section	.text._ZN7rocprim17ROCPRIM_400000_NS6detail17trampoline_kernelINS0_14default_configENS1_20scan_config_selectorIlEEZZNS1_9scan_implILNS1_25lookback_scan_determinismE0ELb0ELb0ES3_PlS8_lN6thrust23THRUST_200600_302600_NS4plusIvEElEEDaPvRmT3_T4_T5_mT6_P12ihipStream_tbENKUlT_T0_E_clISt17integral_constantIbLb1EESQ_EEDaSL_SM_EUlSL_E_NS1_11comp_targetILNS1_3genE3ELNS1_11target_archE908ELNS1_3gpuE7ELNS1_3repE0EEENS1_30default_config_static_selectorELNS0_4arch9wavefront6targetE1EEEvT1_,"axG",@progbits,_ZN7rocprim17ROCPRIM_400000_NS6detail17trampoline_kernelINS0_14default_configENS1_20scan_config_selectorIlEEZZNS1_9scan_implILNS1_25lookback_scan_determinismE0ELb0ELb0ES3_PlS8_lN6thrust23THRUST_200600_302600_NS4plusIvEElEEDaPvRmT3_T4_T5_mT6_P12ihipStream_tbENKUlT_T0_E_clISt17integral_constantIbLb1EESQ_EEDaSL_SM_EUlSL_E_NS1_11comp_targetILNS1_3genE3ELNS1_11target_archE908ELNS1_3gpuE7ELNS1_3repE0EEENS1_30default_config_static_selectorELNS0_4arch9wavefront6targetE1EEEvT1_,comdat
.Lfunc_end107:
	.size	_ZN7rocprim17ROCPRIM_400000_NS6detail17trampoline_kernelINS0_14default_configENS1_20scan_config_selectorIlEEZZNS1_9scan_implILNS1_25lookback_scan_determinismE0ELb0ELb0ES3_PlS8_lN6thrust23THRUST_200600_302600_NS4plusIvEElEEDaPvRmT3_T4_T5_mT6_P12ihipStream_tbENKUlT_T0_E_clISt17integral_constantIbLb1EESQ_EEDaSL_SM_EUlSL_E_NS1_11comp_targetILNS1_3genE3ELNS1_11target_archE908ELNS1_3gpuE7ELNS1_3repE0EEENS1_30default_config_static_selectorELNS0_4arch9wavefront6targetE1EEEvT1_, .Lfunc_end107-_ZN7rocprim17ROCPRIM_400000_NS6detail17trampoline_kernelINS0_14default_configENS1_20scan_config_selectorIlEEZZNS1_9scan_implILNS1_25lookback_scan_determinismE0ELb0ELb0ES3_PlS8_lN6thrust23THRUST_200600_302600_NS4plusIvEElEEDaPvRmT3_T4_T5_mT6_P12ihipStream_tbENKUlT_T0_E_clISt17integral_constantIbLb1EESQ_EEDaSL_SM_EUlSL_E_NS1_11comp_targetILNS1_3genE3ELNS1_11target_archE908ELNS1_3gpuE7ELNS1_3repE0EEENS1_30default_config_static_selectorELNS0_4arch9wavefront6targetE1EEEvT1_
                                        ; -- End function
	.section	.AMDGPU.csdata,"",@progbits
; Kernel info:
; codeLenInByte = 0
; NumSgprs: 6
; NumVgprs: 0
; NumAgprs: 0
; TotalNumVgprs: 0
; ScratchSize: 0
; MemoryBound: 0
; FloatMode: 240
; IeeeMode: 1
; LDSByteSize: 0 bytes/workgroup (compile time only)
; SGPRBlocks: 0
; VGPRBlocks: 0
; NumSGPRsForWavesPerEU: 6
; NumVGPRsForWavesPerEU: 1
; AccumOffset: 4
; Occupancy: 8
; WaveLimiterHint : 0
; COMPUTE_PGM_RSRC2:SCRATCH_EN: 0
; COMPUTE_PGM_RSRC2:USER_SGPR: 2
; COMPUTE_PGM_RSRC2:TRAP_HANDLER: 0
; COMPUTE_PGM_RSRC2:TGID_X_EN: 1
; COMPUTE_PGM_RSRC2:TGID_Y_EN: 0
; COMPUTE_PGM_RSRC2:TGID_Z_EN: 0
; COMPUTE_PGM_RSRC2:TIDIG_COMP_CNT: 0
; COMPUTE_PGM_RSRC3_GFX90A:ACCUM_OFFSET: 0
; COMPUTE_PGM_RSRC3_GFX90A:TG_SPLIT: 0
	.section	.text._ZN7rocprim17ROCPRIM_400000_NS6detail17trampoline_kernelINS0_14default_configENS1_20scan_config_selectorIlEEZZNS1_9scan_implILNS1_25lookback_scan_determinismE0ELb0ELb0ES3_PlS8_lN6thrust23THRUST_200600_302600_NS4plusIvEElEEDaPvRmT3_T4_T5_mT6_P12ihipStream_tbENKUlT_T0_E_clISt17integral_constantIbLb1EESQ_EEDaSL_SM_EUlSL_E_NS1_11comp_targetILNS1_3genE2ELNS1_11target_archE906ELNS1_3gpuE6ELNS1_3repE0EEENS1_30default_config_static_selectorELNS0_4arch9wavefront6targetE1EEEvT1_,"axG",@progbits,_ZN7rocprim17ROCPRIM_400000_NS6detail17trampoline_kernelINS0_14default_configENS1_20scan_config_selectorIlEEZZNS1_9scan_implILNS1_25lookback_scan_determinismE0ELb0ELb0ES3_PlS8_lN6thrust23THRUST_200600_302600_NS4plusIvEElEEDaPvRmT3_T4_T5_mT6_P12ihipStream_tbENKUlT_T0_E_clISt17integral_constantIbLb1EESQ_EEDaSL_SM_EUlSL_E_NS1_11comp_targetILNS1_3genE2ELNS1_11target_archE906ELNS1_3gpuE6ELNS1_3repE0EEENS1_30default_config_static_selectorELNS0_4arch9wavefront6targetE1EEEvT1_,comdat
	.protected	_ZN7rocprim17ROCPRIM_400000_NS6detail17trampoline_kernelINS0_14default_configENS1_20scan_config_selectorIlEEZZNS1_9scan_implILNS1_25lookback_scan_determinismE0ELb0ELb0ES3_PlS8_lN6thrust23THRUST_200600_302600_NS4plusIvEElEEDaPvRmT3_T4_T5_mT6_P12ihipStream_tbENKUlT_T0_E_clISt17integral_constantIbLb1EESQ_EEDaSL_SM_EUlSL_E_NS1_11comp_targetILNS1_3genE2ELNS1_11target_archE906ELNS1_3gpuE6ELNS1_3repE0EEENS1_30default_config_static_selectorELNS0_4arch9wavefront6targetE1EEEvT1_ ; -- Begin function _ZN7rocprim17ROCPRIM_400000_NS6detail17trampoline_kernelINS0_14default_configENS1_20scan_config_selectorIlEEZZNS1_9scan_implILNS1_25lookback_scan_determinismE0ELb0ELb0ES3_PlS8_lN6thrust23THRUST_200600_302600_NS4plusIvEElEEDaPvRmT3_T4_T5_mT6_P12ihipStream_tbENKUlT_T0_E_clISt17integral_constantIbLb1EESQ_EEDaSL_SM_EUlSL_E_NS1_11comp_targetILNS1_3genE2ELNS1_11target_archE906ELNS1_3gpuE6ELNS1_3repE0EEENS1_30default_config_static_selectorELNS0_4arch9wavefront6targetE1EEEvT1_
	.globl	_ZN7rocprim17ROCPRIM_400000_NS6detail17trampoline_kernelINS0_14default_configENS1_20scan_config_selectorIlEEZZNS1_9scan_implILNS1_25lookback_scan_determinismE0ELb0ELb0ES3_PlS8_lN6thrust23THRUST_200600_302600_NS4plusIvEElEEDaPvRmT3_T4_T5_mT6_P12ihipStream_tbENKUlT_T0_E_clISt17integral_constantIbLb1EESQ_EEDaSL_SM_EUlSL_E_NS1_11comp_targetILNS1_3genE2ELNS1_11target_archE906ELNS1_3gpuE6ELNS1_3repE0EEENS1_30default_config_static_selectorELNS0_4arch9wavefront6targetE1EEEvT1_
	.p2align	8
	.type	_ZN7rocprim17ROCPRIM_400000_NS6detail17trampoline_kernelINS0_14default_configENS1_20scan_config_selectorIlEEZZNS1_9scan_implILNS1_25lookback_scan_determinismE0ELb0ELb0ES3_PlS8_lN6thrust23THRUST_200600_302600_NS4plusIvEElEEDaPvRmT3_T4_T5_mT6_P12ihipStream_tbENKUlT_T0_E_clISt17integral_constantIbLb1EESQ_EEDaSL_SM_EUlSL_E_NS1_11comp_targetILNS1_3genE2ELNS1_11target_archE906ELNS1_3gpuE6ELNS1_3repE0EEENS1_30default_config_static_selectorELNS0_4arch9wavefront6targetE1EEEvT1_,@function
_ZN7rocprim17ROCPRIM_400000_NS6detail17trampoline_kernelINS0_14default_configENS1_20scan_config_selectorIlEEZZNS1_9scan_implILNS1_25lookback_scan_determinismE0ELb0ELb0ES3_PlS8_lN6thrust23THRUST_200600_302600_NS4plusIvEElEEDaPvRmT3_T4_T5_mT6_P12ihipStream_tbENKUlT_T0_E_clISt17integral_constantIbLb1EESQ_EEDaSL_SM_EUlSL_E_NS1_11comp_targetILNS1_3genE2ELNS1_11target_archE906ELNS1_3gpuE6ELNS1_3repE0EEENS1_30default_config_static_selectorELNS0_4arch9wavefront6targetE1EEEvT1_: ; @_ZN7rocprim17ROCPRIM_400000_NS6detail17trampoline_kernelINS0_14default_configENS1_20scan_config_selectorIlEEZZNS1_9scan_implILNS1_25lookback_scan_determinismE0ELb0ELb0ES3_PlS8_lN6thrust23THRUST_200600_302600_NS4plusIvEElEEDaPvRmT3_T4_T5_mT6_P12ihipStream_tbENKUlT_T0_E_clISt17integral_constantIbLb1EESQ_EEDaSL_SM_EUlSL_E_NS1_11comp_targetILNS1_3genE2ELNS1_11target_archE906ELNS1_3gpuE6ELNS1_3repE0EEENS1_30default_config_static_selectorELNS0_4arch9wavefront6targetE1EEEvT1_
; %bb.0:
	.section	.rodata,"a",@progbits
	.p2align	6, 0x0
	.amdhsa_kernel _ZN7rocprim17ROCPRIM_400000_NS6detail17trampoline_kernelINS0_14default_configENS1_20scan_config_selectorIlEEZZNS1_9scan_implILNS1_25lookback_scan_determinismE0ELb0ELb0ES3_PlS8_lN6thrust23THRUST_200600_302600_NS4plusIvEElEEDaPvRmT3_T4_T5_mT6_P12ihipStream_tbENKUlT_T0_E_clISt17integral_constantIbLb1EESQ_EEDaSL_SM_EUlSL_E_NS1_11comp_targetILNS1_3genE2ELNS1_11target_archE906ELNS1_3gpuE6ELNS1_3repE0EEENS1_30default_config_static_selectorELNS0_4arch9wavefront6targetE1EEEvT1_
		.amdhsa_group_segment_fixed_size 0
		.amdhsa_private_segment_fixed_size 0
		.amdhsa_kernarg_size 104
		.amdhsa_user_sgpr_count 2
		.amdhsa_user_sgpr_dispatch_ptr 0
		.amdhsa_user_sgpr_queue_ptr 0
		.amdhsa_user_sgpr_kernarg_segment_ptr 1
		.amdhsa_user_sgpr_dispatch_id 0
		.amdhsa_user_sgpr_kernarg_preload_length 0
		.amdhsa_user_sgpr_kernarg_preload_offset 0
		.amdhsa_user_sgpr_private_segment_size 0
		.amdhsa_uses_dynamic_stack 0
		.amdhsa_enable_private_segment 0
		.amdhsa_system_sgpr_workgroup_id_x 1
		.amdhsa_system_sgpr_workgroup_id_y 0
		.amdhsa_system_sgpr_workgroup_id_z 0
		.amdhsa_system_sgpr_workgroup_info 0
		.amdhsa_system_vgpr_workitem_id 0
		.amdhsa_next_free_vgpr 1
		.amdhsa_next_free_sgpr 0
		.amdhsa_accum_offset 4
		.amdhsa_reserve_vcc 0
		.amdhsa_float_round_mode_32 0
		.amdhsa_float_round_mode_16_64 0
		.amdhsa_float_denorm_mode_32 3
		.amdhsa_float_denorm_mode_16_64 3
		.amdhsa_dx10_clamp 1
		.amdhsa_ieee_mode 1
		.amdhsa_fp16_overflow 0
		.amdhsa_tg_split 0
		.amdhsa_exception_fp_ieee_invalid_op 0
		.amdhsa_exception_fp_denorm_src 0
		.amdhsa_exception_fp_ieee_div_zero 0
		.amdhsa_exception_fp_ieee_overflow 0
		.amdhsa_exception_fp_ieee_underflow 0
		.amdhsa_exception_fp_ieee_inexact 0
		.amdhsa_exception_int_div_zero 0
	.end_amdhsa_kernel
	.section	.text._ZN7rocprim17ROCPRIM_400000_NS6detail17trampoline_kernelINS0_14default_configENS1_20scan_config_selectorIlEEZZNS1_9scan_implILNS1_25lookback_scan_determinismE0ELb0ELb0ES3_PlS8_lN6thrust23THRUST_200600_302600_NS4plusIvEElEEDaPvRmT3_T4_T5_mT6_P12ihipStream_tbENKUlT_T0_E_clISt17integral_constantIbLb1EESQ_EEDaSL_SM_EUlSL_E_NS1_11comp_targetILNS1_3genE2ELNS1_11target_archE906ELNS1_3gpuE6ELNS1_3repE0EEENS1_30default_config_static_selectorELNS0_4arch9wavefront6targetE1EEEvT1_,"axG",@progbits,_ZN7rocprim17ROCPRIM_400000_NS6detail17trampoline_kernelINS0_14default_configENS1_20scan_config_selectorIlEEZZNS1_9scan_implILNS1_25lookback_scan_determinismE0ELb0ELb0ES3_PlS8_lN6thrust23THRUST_200600_302600_NS4plusIvEElEEDaPvRmT3_T4_T5_mT6_P12ihipStream_tbENKUlT_T0_E_clISt17integral_constantIbLb1EESQ_EEDaSL_SM_EUlSL_E_NS1_11comp_targetILNS1_3genE2ELNS1_11target_archE906ELNS1_3gpuE6ELNS1_3repE0EEENS1_30default_config_static_selectorELNS0_4arch9wavefront6targetE1EEEvT1_,comdat
.Lfunc_end108:
	.size	_ZN7rocprim17ROCPRIM_400000_NS6detail17trampoline_kernelINS0_14default_configENS1_20scan_config_selectorIlEEZZNS1_9scan_implILNS1_25lookback_scan_determinismE0ELb0ELb0ES3_PlS8_lN6thrust23THRUST_200600_302600_NS4plusIvEElEEDaPvRmT3_T4_T5_mT6_P12ihipStream_tbENKUlT_T0_E_clISt17integral_constantIbLb1EESQ_EEDaSL_SM_EUlSL_E_NS1_11comp_targetILNS1_3genE2ELNS1_11target_archE906ELNS1_3gpuE6ELNS1_3repE0EEENS1_30default_config_static_selectorELNS0_4arch9wavefront6targetE1EEEvT1_, .Lfunc_end108-_ZN7rocprim17ROCPRIM_400000_NS6detail17trampoline_kernelINS0_14default_configENS1_20scan_config_selectorIlEEZZNS1_9scan_implILNS1_25lookback_scan_determinismE0ELb0ELb0ES3_PlS8_lN6thrust23THRUST_200600_302600_NS4plusIvEElEEDaPvRmT3_T4_T5_mT6_P12ihipStream_tbENKUlT_T0_E_clISt17integral_constantIbLb1EESQ_EEDaSL_SM_EUlSL_E_NS1_11comp_targetILNS1_3genE2ELNS1_11target_archE906ELNS1_3gpuE6ELNS1_3repE0EEENS1_30default_config_static_selectorELNS0_4arch9wavefront6targetE1EEEvT1_
                                        ; -- End function
	.section	.AMDGPU.csdata,"",@progbits
; Kernel info:
; codeLenInByte = 0
; NumSgprs: 6
; NumVgprs: 0
; NumAgprs: 0
; TotalNumVgprs: 0
; ScratchSize: 0
; MemoryBound: 0
; FloatMode: 240
; IeeeMode: 1
; LDSByteSize: 0 bytes/workgroup (compile time only)
; SGPRBlocks: 0
; VGPRBlocks: 0
; NumSGPRsForWavesPerEU: 6
; NumVGPRsForWavesPerEU: 1
; AccumOffset: 4
; Occupancy: 8
; WaveLimiterHint : 0
; COMPUTE_PGM_RSRC2:SCRATCH_EN: 0
; COMPUTE_PGM_RSRC2:USER_SGPR: 2
; COMPUTE_PGM_RSRC2:TRAP_HANDLER: 0
; COMPUTE_PGM_RSRC2:TGID_X_EN: 1
; COMPUTE_PGM_RSRC2:TGID_Y_EN: 0
; COMPUTE_PGM_RSRC2:TGID_Z_EN: 0
; COMPUTE_PGM_RSRC2:TIDIG_COMP_CNT: 0
; COMPUTE_PGM_RSRC3_GFX90A:ACCUM_OFFSET: 0
; COMPUTE_PGM_RSRC3_GFX90A:TG_SPLIT: 0
	.section	.text._ZN7rocprim17ROCPRIM_400000_NS6detail17trampoline_kernelINS0_14default_configENS1_20scan_config_selectorIlEEZZNS1_9scan_implILNS1_25lookback_scan_determinismE0ELb0ELb0ES3_PlS8_lN6thrust23THRUST_200600_302600_NS4plusIvEElEEDaPvRmT3_T4_T5_mT6_P12ihipStream_tbENKUlT_T0_E_clISt17integral_constantIbLb1EESQ_EEDaSL_SM_EUlSL_E_NS1_11comp_targetILNS1_3genE10ELNS1_11target_archE1201ELNS1_3gpuE5ELNS1_3repE0EEENS1_30default_config_static_selectorELNS0_4arch9wavefront6targetE1EEEvT1_,"axG",@progbits,_ZN7rocprim17ROCPRIM_400000_NS6detail17trampoline_kernelINS0_14default_configENS1_20scan_config_selectorIlEEZZNS1_9scan_implILNS1_25lookback_scan_determinismE0ELb0ELb0ES3_PlS8_lN6thrust23THRUST_200600_302600_NS4plusIvEElEEDaPvRmT3_T4_T5_mT6_P12ihipStream_tbENKUlT_T0_E_clISt17integral_constantIbLb1EESQ_EEDaSL_SM_EUlSL_E_NS1_11comp_targetILNS1_3genE10ELNS1_11target_archE1201ELNS1_3gpuE5ELNS1_3repE0EEENS1_30default_config_static_selectorELNS0_4arch9wavefront6targetE1EEEvT1_,comdat
	.protected	_ZN7rocprim17ROCPRIM_400000_NS6detail17trampoline_kernelINS0_14default_configENS1_20scan_config_selectorIlEEZZNS1_9scan_implILNS1_25lookback_scan_determinismE0ELb0ELb0ES3_PlS8_lN6thrust23THRUST_200600_302600_NS4plusIvEElEEDaPvRmT3_T4_T5_mT6_P12ihipStream_tbENKUlT_T0_E_clISt17integral_constantIbLb1EESQ_EEDaSL_SM_EUlSL_E_NS1_11comp_targetILNS1_3genE10ELNS1_11target_archE1201ELNS1_3gpuE5ELNS1_3repE0EEENS1_30default_config_static_selectorELNS0_4arch9wavefront6targetE1EEEvT1_ ; -- Begin function _ZN7rocprim17ROCPRIM_400000_NS6detail17trampoline_kernelINS0_14default_configENS1_20scan_config_selectorIlEEZZNS1_9scan_implILNS1_25lookback_scan_determinismE0ELb0ELb0ES3_PlS8_lN6thrust23THRUST_200600_302600_NS4plusIvEElEEDaPvRmT3_T4_T5_mT6_P12ihipStream_tbENKUlT_T0_E_clISt17integral_constantIbLb1EESQ_EEDaSL_SM_EUlSL_E_NS1_11comp_targetILNS1_3genE10ELNS1_11target_archE1201ELNS1_3gpuE5ELNS1_3repE0EEENS1_30default_config_static_selectorELNS0_4arch9wavefront6targetE1EEEvT1_
	.globl	_ZN7rocprim17ROCPRIM_400000_NS6detail17trampoline_kernelINS0_14default_configENS1_20scan_config_selectorIlEEZZNS1_9scan_implILNS1_25lookback_scan_determinismE0ELb0ELb0ES3_PlS8_lN6thrust23THRUST_200600_302600_NS4plusIvEElEEDaPvRmT3_T4_T5_mT6_P12ihipStream_tbENKUlT_T0_E_clISt17integral_constantIbLb1EESQ_EEDaSL_SM_EUlSL_E_NS1_11comp_targetILNS1_3genE10ELNS1_11target_archE1201ELNS1_3gpuE5ELNS1_3repE0EEENS1_30default_config_static_selectorELNS0_4arch9wavefront6targetE1EEEvT1_
	.p2align	8
	.type	_ZN7rocprim17ROCPRIM_400000_NS6detail17trampoline_kernelINS0_14default_configENS1_20scan_config_selectorIlEEZZNS1_9scan_implILNS1_25lookback_scan_determinismE0ELb0ELb0ES3_PlS8_lN6thrust23THRUST_200600_302600_NS4plusIvEElEEDaPvRmT3_T4_T5_mT6_P12ihipStream_tbENKUlT_T0_E_clISt17integral_constantIbLb1EESQ_EEDaSL_SM_EUlSL_E_NS1_11comp_targetILNS1_3genE10ELNS1_11target_archE1201ELNS1_3gpuE5ELNS1_3repE0EEENS1_30default_config_static_selectorELNS0_4arch9wavefront6targetE1EEEvT1_,@function
_ZN7rocprim17ROCPRIM_400000_NS6detail17trampoline_kernelINS0_14default_configENS1_20scan_config_selectorIlEEZZNS1_9scan_implILNS1_25lookback_scan_determinismE0ELb0ELb0ES3_PlS8_lN6thrust23THRUST_200600_302600_NS4plusIvEElEEDaPvRmT3_T4_T5_mT6_P12ihipStream_tbENKUlT_T0_E_clISt17integral_constantIbLb1EESQ_EEDaSL_SM_EUlSL_E_NS1_11comp_targetILNS1_3genE10ELNS1_11target_archE1201ELNS1_3gpuE5ELNS1_3repE0EEENS1_30default_config_static_selectorELNS0_4arch9wavefront6targetE1EEEvT1_: ; @_ZN7rocprim17ROCPRIM_400000_NS6detail17trampoline_kernelINS0_14default_configENS1_20scan_config_selectorIlEEZZNS1_9scan_implILNS1_25lookback_scan_determinismE0ELb0ELb0ES3_PlS8_lN6thrust23THRUST_200600_302600_NS4plusIvEElEEDaPvRmT3_T4_T5_mT6_P12ihipStream_tbENKUlT_T0_E_clISt17integral_constantIbLb1EESQ_EEDaSL_SM_EUlSL_E_NS1_11comp_targetILNS1_3genE10ELNS1_11target_archE1201ELNS1_3gpuE5ELNS1_3repE0EEENS1_30default_config_static_selectorELNS0_4arch9wavefront6targetE1EEEvT1_
; %bb.0:
	.section	.rodata,"a",@progbits
	.p2align	6, 0x0
	.amdhsa_kernel _ZN7rocprim17ROCPRIM_400000_NS6detail17trampoline_kernelINS0_14default_configENS1_20scan_config_selectorIlEEZZNS1_9scan_implILNS1_25lookback_scan_determinismE0ELb0ELb0ES3_PlS8_lN6thrust23THRUST_200600_302600_NS4plusIvEElEEDaPvRmT3_T4_T5_mT6_P12ihipStream_tbENKUlT_T0_E_clISt17integral_constantIbLb1EESQ_EEDaSL_SM_EUlSL_E_NS1_11comp_targetILNS1_3genE10ELNS1_11target_archE1201ELNS1_3gpuE5ELNS1_3repE0EEENS1_30default_config_static_selectorELNS0_4arch9wavefront6targetE1EEEvT1_
		.amdhsa_group_segment_fixed_size 0
		.amdhsa_private_segment_fixed_size 0
		.amdhsa_kernarg_size 104
		.amdhsa_user_sgpr_count 2
		.amdhsa_user_sgpr_dispatch_ptr 0
		.amdhsa_user_sgpr_queue_ptr 0
		.amdhsa_user_sgpr_kernarg_segment_ptr 1
		.amdhsa_user_sgpr_dispatch_id 0
		.amdhsa_user_sgpr_kernarg_preload_length 0
		.amdhsa_user_sgpr_kernarg_preload_offset 0
		.amdhsa_user_sgpr_private_segment_size 0
		.amdhsa_uses_dynamic_stack 0
		.amdhsa_enable_private_segment 0
		.amdhsa_system_sgpr_workgroup_id_x 1
		.amdhsa_system_sgpr_workgroup_id_y 0
		.amdhsa_system_sgpr_workgroup_id_z 0
		.amdhsa_system_sgpr_workgroup_info 0
		.amdhsa_system_vgpr_workitem_id 0
		.amdhsa_next_free_vgpr 1
		.amdhsa_next_free_sgpr 0
		.amdhsa_accum_offset 4
		.amdhsa_reserve_vcc 0
		.amdhsa_float_round_mode_32 0
		.amdhsa_float_round_mode_16_64 0
		.amdhsa_float_denorm_mode_32 3
		.amdhsa_float_denorm_mode_16_64 3
		.amdhsa_dx10_clamp 1
		.amdhsa_ieee_mode 1
		.amdhsa_fp16_overflow 0
		.amdhsa_tg_split 0
		.amdhsa_exception_fp_ieee_invalid_op 0
		.amdhsa_exception_fp_denorm_src 0
		.amdhsa_exception_fp_ieee_div_zero 0
		.amdhsa_exception_fp_ieee_overflow 0
		.amdhsa_exception_fp_ieee_underflow 0
		.amdhsa_exception_fp_ieee_inexact 0
		.amdhsa_exception_int_div_zero 0
	.end_amdhsa_kernel
	.section	.text._ZN7rocprim17ROCPRIM_400000_NS6detail17trampoline_kernelINS0_14default_configENS1_20scan_config_selectorIlEEZZNS1_9scan_implILNS1_25lookback_scan_determinismE0ELb0ELb0ES3_PlS8_lN6thrust23THRUST_200600_302600_NS4plusIvEElEEDaPvRmT3_T4_T5_mT6_P12ihipStream_tbENKUlT_T0_E_clISt17integral_constantIbLb1EESQ_EEDaSL_SM_EUlSL_E_NS1_11comp_targetILNS1_3genE10ELNS1_11target_archE1201ELNS1_3gpuE5ELNS1_3repE0EEENS1_30default_config_static_selectorELNS0_4arch9wavefront6targetE1EEEvT1_,"axG",@progbits,_ZN7rocprim17ROCPRIM_400000_NS6detail17trampoline_kernelINS0_14default_configENS1_20scan_config_selectorIlEEZZNS1_9scan_implILNS1_25lookback_scan_determinismE0ELb0ELb0ES3_PlS8_lN6thrust23THRUST_200600_302600_NS4plusIvEElEEDaPvRmT3_T4_T5_mT6_P12ihipStream_tbENKUlT_T0_E_clISt17integral_constantIbLb1EESQ_EEDaSL_SM_EUlSL_E_NS1_11comp_targetILNS1_3genE10ELNS1_11target_archE1201ELNS1_3gpuE5ELNS1_3repE0EEENS1_30default_config_static_selectorELNS0_4arch9wavefront6targetE1EEEvT1_,comdat
.Lfunc_end109:
	.size	_ZN7rocprim17ROCPRIM_400000_NS6detail17trampoline_kernelINS0_14default_configENS1_20scan_config_selectorIlEEZZNS1_9scan_implILNS1_25lookback_scan_determinismE0ELb0ELb0ES3_PlS8_lN6thrust23THRUST_200600_302600_NS4plusIvEElEEDaPvRmT3_T4_T5_mT6_P12ihipStream_tbENKUlT_T0_E_clISt17integral_constantIbLb1EESQ_EEDaSL_SM_EUlSL_E_NS1_11comp_targetILNS1_3genE10ELNS1_11target_archE1201ELNS1_3gpuE5ELNS1_3repE0EEENS1_30default_config_static_selectorELNS0_4arch9wavefront6targetE1EEEvT1_, .Lfunc_end109-_ZN7rocprim17ROCPRIM_400000_NS6detail17trampoline_kernelINS0_14default_configENS1_20scan_config_selectorIlEEZZNS1_9scan_implILNS1_25lookback_scan_determinismE0ELb0ELb0ES3_PlS8_lN6thrust23THRUST_200600_302600_NS4plusIvEElEEDaPvRmT3_T4_T5_mT6_P12ihipStream_tbENKUlT_T0_E_clISt17integral_constantIbLb1EESQ_EEDaSL_SM_EUlSL_E_NS1_11comp_targetILNS1_3genE10ELNS1_11target_archE1201ELNS1_3gpuE5ELNS1_3repE0EEENS1_30default_config_static_selectorELNS0_4arch9wavefront6targetE1EEEvT1_
                                        ; -- End function
	.section	.AMDGPU.csdata,"",@progbits
; Kernel info:
; codeLenInByte = 0
; NumSgprs: 6
; NumVgprs: 0
; NumAgprs: 0
; TotalNumVgprs: 0
; ScratchSize: 0
; MemoryBound: 0
; FloatMode: 240
; IeeeMode: 1
; LDSByteSize: 0 bytes/workgroup (compile time only)
; SGPRBlocks: 0
; VGPRBlocks: 0
; NumSGPRsForWavesPerEU: 6
; NumVGPRsForWavesPerEU: 1
; AccumOffset: 4
; Occupancy: 8
; WaveLimiterHint : 0
; COMPUTE_PGM_RSRC2:SCRATCH_EN: 0
; COMPUTE_PGM_RSRC2:USER_SGPR: 2
; COMPUTE_PGM_RSRC2:TRAP_HANDLER: 0
; COMPUTE_PGM_RSRC2:TGID_X_EN: 1
; COMPUTE_PGM_RSRC2:TGID_Y_EN: 0
; COMPUTE_PGM_RSRC2:TGID_Z_EN: 0
; COMPUTE_PGM_RSRC2:TIDIG_COMP_CNT: 0
; COMPUTE_PGM_RSRC3_GFX90A:ACCUM_OFFSET: 0
; COMPUTE_PGM_RSRC3_GFX90A:TG_SPLIT: 0
	.section	.text._ZN7rocprim17ROCPRIM_400000_NS6detail17trampoline_kernelINS0_14default_configENS1_20scan_config_selectorIlEEZZNS1_9scan_implILNS1_25lookback_scan_determinismE0ELb0ELb0ES3_PlS8_lN6thrust23THRUST_200600_302600_NS4plusIvEElEEDaPvRmT3_T4_T5_mT6_P12ihipStream_tbENKUlT_T0_E_clISt17integral_constantIbLb1EESQ_EEDaSL_SM_EUlSL_E_NS1_11comp_targetILNS1_3genE10ELNS1_11target_archE1200ELNS1_3gpuE4ELNS1_3repE0EEENS1_30default_config_static_selectorELNS0_4arch9wavefront6targetE1EEEvT1_,"axG",@progbits,_ZN7rocprim17ROCPRIM_400000_NS6detail17trampoline_kernelINS0_14default_configENS1_20scan_config_selectorIlEEZZNS1_9scan_implILNS1_25lookback_scan_determinismE0ELb0ELb0ES3_PlS8_lN6thrust23THRUST_200600_302600_NS4plusIvEElEEDaPvRmT3_T4_T5_mT6_P12ihipStream_tbENKUlT_T0_E_clISt17integral_constantIbLb1EESQ_EEDaSL_SM_EUlSL_E_NS1_11comp_targetILNS1_3genE10ELNS1_11target_archE1200ELNS1_3gpuE4ELNS1_3repE0EEENS1_30default_config_static_selectorELNS0_4arch9wavefront6targetE1EEEvT1_,comdat
	.protected	_ZN7rocprim17ROCPRIM_400000_NS6detail17trampoline_kernelINS0_14default_configENS1_20scan_config_selectorIlEEZZNS1_9scan_implILNS1_25lookback_scan_determinismE0ELb0ELb0ES3_PlS8_lN6thrust23THRUST_200600_302600_NS4plusIvEElEEDaPvRmT3_T4_T5_mT6_P12ihipStream_tbENKUlT_T0_E_clISt17integral_constantIbLb1EESQ_EEDaSL_SM_EUlSL_E_NS1_11comp_targetILNS1_3genE10ELNS1_11target_archE1200ELNS1_3gpuE4ELNS1_3repE0EEENS1_30default_config_static_selectorELNS0_4arch9wavefront6targetE1EEEvT1_ ; -- Begin function _ZN7rocprim17ROCPRIM_400000_NS6detail17trampoline_kernelINS0_14default_configENS1_20scan_config_selectorIlEEZZNS1_9scan_implILNS1_25lookback_scan_determinismE0ELb0ELb0ES3_PlS8_lN6thrust23THRUST_200600_302600_NS4plusIvEElEEDaPvRmT3_T4_T5_mT6_P12ihipStream_tbENKUlT_T0_E_clISt17integral_constantIbLb1EESQ_EEDaSL_SM_EUlSL_E_NS1_11comp_targetILNS1_3genE10ELNS1_11target_archE1200ELNS1_3gpuE4ELNS1_3repE0EEENS1_30default_config_static_selectorELNS0_4arch9wavefront6targetE1EEEvT1_
	.globl	_ZN7rocprim17ROCPRIM_400000_NS6detail17trampoline_kernelINS0_14default_configENS1_20scan_config_selectorIlEEZZNS1_9scan_implILNS1_25lookback_scan_determinismE0ELb0ELb0ES3_PlS8_lN6thrust23THRUST_200600_302600_NS4plusIvEElEEDaPvRmT3_T4_T5_mT6_P12ihipStream_tbENKUlT_T0_E_clISt17integral_constantIbLb1EESQ_EEDaSL_SM_EUlSL_E_NS1_11comp_targetILNS1_3genE10ELNS1_11target_archE1200ELNS1_3gpuE4ELNS1_3repE0EEENS1_30default_config_static_selectorELNS0_4arch9wavefront6targetE1EEEvT1_
	.p2align	8
	.type	_ZN7rocprim17ROCPRIM_400000_NS6detail17trampoline_kernelINS0_14default_configENS1_20scan_config_selectorIlEEZZNS1_9scan_implILNS1_25lookback_scan_determinismE0ELb0ELb0ES3_PlS8_lN6thrust23THRUST_200600_302600_NS4plusIvEElEEDaPvRmT3_T4_T5_mT6_P12ihipStream_tbENKUlT_T0_E_clISt17integral_constantIbLb1EESQ_EEDaSL_SM_EUlSL_E_NS1_11comp_targetILNS1_3genE10ELNS1_11target_archE1200ELNS1_3gpuE4ELNS1_3repE0EEENS1_30default_config_static_selectorELNS0_4arch9wavefront6targetE1EEEvT1_,@function
_ZN7rocprim17ROCPRIM_400000_NS6detail17trampoline_kernelINS0_14default_configENS1_20scan_config_selectorIlEEZZNS1_9scan_implILNS1_25lookback_scan_determinismE0ELb0ELb0ES3_PlS8_lN6thrust23THRUST_200600_302600_NS4plusIvEElEEDaPvRmT3_T4_T5_mT6_P12ihipStream_tbENKUlT_T0_E_clISt17integral_constantIbLb1EESQ_EEDaSL_SM_EUlSL_E_NS1_11comp_targetILNS1_3genE10ELNS1_11target_archE1200ELNS1_3gpuE4ELNS1_3repE0EEENS1_30default_config_static_selectorELNS0_4arch9wavefront6targetE1EEEvT1_: ; @_ZN7rocprim17ROCPRIM_400000_NS6detail17trampoline_kernelINS0_14default_configENS1_20scan_config_selectorIlEEZZNS1_9scan_implILNS1_25lookback_scan_determinismE0ELb0ELb0ES3_PlS8_lN6thrust23THRUST_200600_302600_NS4plusIvEElEEDaPvRmT3_T4_T5_mT6_P12ihipStream_tbENKUlT_T0_E_clISt17integral_constantIbLb1EESQ_EEDaSL_SM_EUlSL_E_NS1_11comp_targetILNS1_3genE10ELNS1_11target_archE1200ELNS1_3gpuE4ELNS1_3repE0EEENS1_30default_config_static_selectorELNS0_4arch9wavefront6targetE1EEEvT1_
; %bb.0:
	.section	.rodata,"a",@progbits
	.p2align	6, 0x0
	.amdhsa_kernel _ZN7rocprim17ROCPRIM_400000_NS6detail17trampoline_kernelINS0_14default_configENS1_20scan_config_selectorIlEEZZNS1_9scan_implILNS1_25lookback_scan_determinismE0ELb0ELb0ES3_PlS8_lN6thrust23THRUST_200600_302600_NS4plusIvEElEEDaPvRmT3_T4_T5_mT6_P12ihipStream_tbENKUlT_T0_E_clISt17integral_constantIbLb1EESQ_EEDaSL_SM_EUlSL_E_NS1_11comp_targetILNS1_3genE10ELNS1_11target_archE1200ELNS1_3gpuE4ELNS1_3repE0EEENS1_30default_config_static_selectorELNS0_4arch9wavefront6targetE1EEEvT1_
		.amdhsa_group_segment_fixed_size 0
		.amdhsa_private_segment_fixed_size 0
		.amdhsa_kernarg_size 104
		.amdhsa_user_sgpr_count 2
		.amdhsa_user_sgpr_dispatch_ptr 0
		.amdhsa_user_sgpr_queue_ptr 0
		.amdhsa_user_sgpr_kernarg_segment_ptr 1
		.amdhsa_user_sgpr_dispatch_id 0
		.amdhsa_user_sgpr_kernarg_preload_length 0
		.amdhsa_user_sgpr_kernarg_preload_offset 0
		.amdhsa_user_sgpr_private_segment_size 0
		.amdhsa_uses_dynamic_stack 0
		.amdhsa_enable_private_segment 0
		.amdhsa_system_sgpr_workgroup_id_x 1
		.amdhsa_system_sgpr_workgroup_id_y 0
		.amdhsa_system_sgpr_workgroup_id_z 0
		.amdhsa_system_sgpr_workgroup_info 0
		.amdhsa_system_vgpr_workitem_id 0
		.amdhsa_next_free_vgpr 1
		.amdhsa_next_free_sgpr 0
		.amdhsa_accum_offset 4
		.amdhsa_reserve_vcc 0
		.amdhsa_float_round_mode_32 0
		.amdhsa_float_round_mode_16_64 0
		.amdhsa_float_denorm_mode_32 3
		.amdhsa_float_denorm_mode_16_64 3
		.amdhsa_dx10_clamp 1
		.amdhsa_ieee_mode 1
		.amdhsa_fp16_overflow 0
		.amdhsa_tg_split 0
		.amdhsa_exception_fp_ieee_invalid_op 0
		.amdhsa_exception_fp_denorm_src 0
		.amdhsa_exception_fp_ieee_div_zero 0
		.amdhsa_exception_fp_ieee_overflow 0
		.amdhsa_exception_fp_ieee_underflow 0
		.amdhsa_exception_fp_ieee_inexact 0
		.amdhsa_exception_int_div_zero 0
	.end_amdhsa_kernel
	.section	.text._ZN7rocprim17ROCPRIM_400000_NS6detail17trampoline_kernelINS0_14default_configENS1_20scan_config_selectorIlEEZZNS1_9scan_implILNS1_25lookback_scan_determinismE0ELb0ELb0ES3_PlS8_lN6thrust23THRUST_200600_302600_NS4plusIvEElEEDaPvRmT3_T4_T5_mT6_P12ihipStream_tbENKUlT_T0_E_clISt17integral_constantIbLb1EESQ_EEDaSL_SM_EUlSL_E_NS1_11comp_targetILNS1_3genE10ELNS1_11target_archE1200ELNS1_3gpuE4ELNS1_3repE0EEENS1_30default_config_static_selectorELNS0_4arch9wavefront6targetE1EEEvT1_,"axG",@progbits,_ZN7rocprim17ROCPRIM_400000_NS6detail17trampoline_kernelINS0_14default_configENS1_20scan_config_selectorIlEEZZNS1_9scan_implILNS1_25lookback_scan_determinismE0ELb0ELb0ES3_PlS8_lN6thrust23THRUST_200600_302600_NS4plusIvEElEEDaPvRmT3_T4_T5_mT6_P12ihipStream_tbENKUlT_T0_E_clISt17integral_constantIbLb1EESQ_EEDaSL_SM_EUlSL_E_NS1_11comp_targetILNS1_3genE10ELNS1_11target_archE1200ELNS1_3gpuE4ELNS1_3repE0EEENS1_30default_config_static_selectorELNS0_4arch9wavefront6targetE1EEEvT1_,comdat
.Lfunc_end110:
	.size	_ZN7rocprim17ROCPRIM_400000_NS6detail17trampoline_kernelINS0_14default_configENS1_20scan_config_selectorIlEEZZNS1_9scan_implILNS1_25lookback_scan_determinismE0ELb0ELb0ES3_PlS8_lN6thrust23THRUST_200600_302600_NS4plusIvEElEEDaPvRmT3_T4_T5_mT6_P12ihipStream_tbENKUlT_T0_E_clISt17integral_constantIbLb1EESQ_EEDaSL_SM_EUlSL_E_NS1_11comp_targetILNS1_3genE10ELNS1_11target_archE1200ELNS1_3gpuE4ELNS1_3repE0EEENS1_30default_config_static_selectorELNS0_4arch9wavefront6targetE1EEEvT1_, .Lfunc_end110-_ZN7rocprim17ROCPRIM_400000_NS6detail17trampoline_kernelINS0_14default_configENS1_20scan_config_selectorIlEEZZNS1_9scan_implILNS1_25lookback_scan_determinismE0ELb0ELb0ES3_PlS8_lN6thrust23THRUST_200600_302600_NS4plusIvEElEEDaPvRmT3_T4_T5_mT6_P12ihipStream_tbENKUlT_T0_E_clISt17integral_constantIbLb1EESQ_EEDaSL_SM_EUlSL_E_NS1_11comp_targetILNS1_3genE10ELNS1_11target_archE1200ELNS1_3gpuE4ELNS1_3repE0EEENS1_30default_config_static_selectorELNS0_4arch9wavefront6targetE1EEEvT1_
                                        ; -- End function
	.section	.AMDGPU.csdata,"",@progbits
; Kernel info:
; codeLenInByte = 0
; NumSgprs: 6
; NumVgprs: 0
; NumAgprs: 0
; TotalNumVgprs: 0
; ScratchSize: 0
; MemoryBound: 0
; FloatMode: 240
; IeeeMode: 1
; LDSByteSize: 0 bytes/workgroup (compile time only)
; SGPRBlocks: 0
; VGPRBlocks: 0
; NumSGPRsForWavesPerEU: 6
; NumVGPRsForWavesPerEU: 1
; AccumOffset: 4
; Occupancy: 8
; WaveLimiterHint : 0
; COMPUTE_PGM_RSRC2:SCRATCH_EN: 0
; COMPUTE_PGM_RSRC2:USER_SGPR: 2
; COMPUTE_PGM_RSRC2:TRAP_HANDLER: 0
; COMPUTE_PGM_RSRC2:TGID_X_EN: 1
; COMPUTE_PGM_RSRC2:TGID_Y_EN: 0
; COMPUTE_PGM_RSRC2:TGID_Z_EN: 0
; COMPUTE_PGM_RSRC2:TIDIG_COMP_CNT: 0
; COMPUTE_PGM_RSRC3_GFX90A:ACCUM_OFFSET: 0
; COMPUTE_PGM_RSRC3_GFX90A:TG_SPLIT: 0
	.section	.text._ZN7rocprim17ROCPRIM_400000_NS6detail17trampoline_kernelINS0_14default_configENS1_20scan_config_selectorIlEEZZNS1_9scan_implILNS1_25lookback_scan_determinismE0ELb0ELb0ES3_PlS8_lN6thrust23THRUST_200600_302600_NS4plusIvEElEEDaPvRmT3_T4_T5_mT6_P12ihipStream_tbENKUlT_T0_E_clISt17integral_constantIbLb1EESQ_EEDaSL_SM_EUlSL_E_NS1_11comp_targetILNS1_3genE9ELNS1_11target_archE1100ELNS1_3gpuE3ELNS1_3repE0EEENS1_30default_config_static_selectorELNS0_4arch9wavefront6targetE1EEEvT1_,"axG",@progbits,_ZN7rocprim17ROCPRIM_400000_NS6detail17trampoline_kernelINS0_14default_configENS1_20scan_config_selectorIlEEZZNS1_9scan_implILNS1_25lookback_scan_determinismE0ELb0ELb0ES3_PlS8_lN6thrust23THRUST_200600_302600_NS4plusIvEElEEDaPvRmT3_T4_T5_mT6_P12ihipStream_tbENKUlT_T0_E_clISt17integral_constantIbLb1EESQ_EEDaSL_SM_EUlSL_E_NS1_11comp_targetILNS1_3genE9ELNS1_11target_archE1100ELNS1_3gpuE3ELNS1_3repE0EEENS1_30default_config_static_selectorELNS0_4arch9wavefront6targetE1EEEvT1_,comdat
	.protected	_ZN7rocprim17ROCPRIM_400000_NS6detail17trampoline_kernelINS0_14default_configENS1_20scan_config_selectorIlEEZZNS1_9scan_implILNS1_25lookback_scan_determinismE0ELb0ELb0ES3_PlS8_lN6thrust23THRUST_200600_302600_NS4plusIvEElEEDaPvRmT3_T4_T5_mT6_P12ihipStream_tbENKUlT_T0_E_clISt17integral_constantIbLb1EESQ_EEDaSL_SM_EUlSL_E_NS1_11comp_targetILNS1_3genE9ELNS1_11target_archE1100ELNS1_3gpuE3ELNS1_3repE0EEENS1_30default_config_static_selectorELNS0_4arch9wavefront6targetE1EEEvT1_ ; -- Begin function _ZN7rocprim17ROCPRIM_400000_NS6detail17trampoline_kernelINS0_14default_configENS1_20scan_config_selectorIlEEZZNS1_9scan_implILNS1_25lookback_scan_determinismE0ELb0ELb0ES3_PlS8_lN6thrust23THRUST_200600_302600_NS4plusIvEElEEDaPvRmT3_T4_T5_mT6_P12ihipStream_tbENKUlT_T0_E_clISt17integral_constantIbLb1EESQ_EEDaSL_SM_EUlSL_E_NS1_11comp_targetILNS1_3genE9ELNS1_11target_archE1100ELNS1_3gpuE3ELNS1_3repE0EEENS1_30default_config_static_selectorELNS0_4arch9wavefront6targetE1EEEvT1_
	.globl	_ZN7rocprim17ROCPRIM_400000_NS6detail17trampoline_kernelINS0_14default_configENS1_20scan_config_selectorIlEEZZNS1_9scan_implILNS1_25lookback_scan_determinismE0ELb0ELb0ES3_PlS8_lN6thrust23THRUST_200600_302600_NS4plusIvEElEEDaPvRmT3_T4_T5_mT6_P12ihipStream_tbENKUlT_T0_E_clISt17integral_constantIbLb1EESQ_EEDaSL_SM_EUlSL_E_NS1_11comp_targetILNS1_3genE9ELNS1_11target_archE1100ELNS1_3gpuE3ELNS1_3repE0EEENS1_30default_config_static_selectorELNS0_4arch9wavefront6targetE1EEEvT1_
	.p2align	8
	.type	_ZN7rocprim17ROCPRIM_400000_NS6detail17trampoline_kernelINS0_14default_configENS1_20scan_config_selectorIlEEZZNS1_9scan_implILNS1_25lookback_scan_determinismE0ELb0ELb0ES3_PlS8_lN6thrust23THRUST_200600_302600_NS4plusIvEElEEDaPvRmT3_T4_T5_mT6_P12ihipStream_tbENKUlT_T0_E_clISt17integral_constantIbLb1EESQ_EEDaSL_SM_EUlSL_E_NS1_11comp_targetILNS1_3genE9ELNS1_11target_archE1100ELNS1_3gpuE3ELNS1_3repE0EEENS1_30default_config_static_selectorELNS0_4arch9wavefront6targetE1EEEvT1_,@function
_ZN7rocprim17ROCPRIM_400000_NS6detail17trampoline_kernelINS0_14default_configENS1_20scan_config_selectorIlEEZZNS1_9scan_implILNS1_25lookback_scan_determinismE0ELb0ELb0ES3_PlS8_lN6thrust23THRUST_200600_302600_NS4plusIvEElEEDaPvRmT3_T4_T5_mT6_P12ihipStream_tbENKUlT_T0_E_clISt17integral_constantIbLb1EESQ_EEDaSL_SM_EUlSL_E_NS1_11comp_targetILNS1_3genE9ELNS1_11target_archE1100ELNS1_3gpuE3ELNS1_3repE0EEENS1_30default_config_static_selectorELNS0_4arch9wavefront6targetE1EEEvT1_: ; @_ZN7rocprim17ROCPRIM_400000_NS6detail17trampoline_kernelINS0_14default_configENS1_20scan_config_selectorIlEEZZNS1_9scan_implILNS1_25lookback_scan_determinismE0ELb0ELb0ES3_PlS8_lN6thrust23THRUST_200600_302600_NS4plusIvEElEEDaPvRmT3_T4_T5_mT6_P12ihipStream_tbENKUlT_T0_E_clISt17integral_constantIbLb1EESQ_EEDaSL_SM_EUlSL_E_NS1_11comp_targetILNS1_3genE9ELNS1_11target_archE1100ELNS1_3gpuE3ELNS1_3repE0EEENS1_30default_config_static_selectorELNS0_4arch9wavefront6targetE1EEEvT1_
; %bb.0:
	.section	.rodata,"a",@progbits
	.p2align	6, 0x0
	.amdhsa_kernel _ZN7rocprim17ROCPRIM_400000_NS6detail17trampoline_kernelINS0_14default_configENS1_20scan_config_selectorIlEEZZNS1_9scan_implILNS1_25lookback_scan_determinismE0ELb0ELb0ES3_PlS8_lN6thrust23THRUST_200600_302600_NS4plusIvEElEEDaPvRmT3_T4_T5_mT6_P12ihipStream_tbENKUlT_T0_E_clISt17integral_constantIbLb1EESQ_EEDaSL_SM_EUlSL_E_NS1_11comp_targetILNS1_3genE9ELNS1_11target_archE1100ELNS1_3gpuE3ELNS1_3repE0EEENS1_30default_config_static_selectorELNS0_4arch9wavefront6targetE1EEEvT1_
		.amdhsa_group_segment_fixed_size 0
		.amdhsa_private_segment_fixed_size 0
		.amdhsa_kernarg_size 104
		.amdhsa_user_sgpr_count 2
		.amdhsa_user_sgpr_dispatch_ptr 0
		.amdhsa_user_sgpr_queue_ptr 0
		.amdhsa_user_sgpr_kernarg_segment_ptr 1
		.amdhsa_user_sgpr_dispatch_id 0
		.amdhsa_user_sgpr_kernarg_preload_length 0
		.amdhsa_user_sgpr_kernarg_preload_offset 0
		.amdhsa_user_sgpr_private_segment_size 0
		.amdhsa_uses_dynamic_stack 0
		.amdhsa_enable_private_segment 0
		.amdhsa_system_sgpr_workgroup_id_x 1
		.amdhsa_system_sgpr_workgroup_id_y 0
		.amdhsa_system_sgpr_workgroup_id_z 0
		.amdhsa_system_sgpr_workgroup_info 0
		.amdhsa_system_vgpr_workitem_id 0
		.amdhsa_next_free_vgpr 1
		.amdhsa_next_free_sgpr 0
		.amdhsa_accum_offset 4
		.amdhsa_reserve_vcc 0
		.amdhsa_float_round_mode_32 0
		.amdhsa_float_round_mode_16_64 0
		.amdhsa_float_denorm_mode_32 3
		.amdhsa_float_denorm_mode_16_64 3
		.amdhsa_dx10_clamp 1
		.amdhsa_ieee_mode 1
		.amdhsa_fp16_overflow 0
		.amdhsa_tg_split 0
		.amdhsa_exception_fp_ieee_invalid_op 0
		.amdhsa_exception_fp_denorm_src 0
		.amdhsa_exception_fp_ieee_div_zero 0
		.amdhsa_exception_fp_ieee_overflow 0
		.amdhsa_exception_fp_ieee_underflow 0
		.amdhsa_exception_fp_ieee_inexact 0
		.amdhsa_exception_int_div_zero 0
	.end_amdhsa_kernel
	.section	.text._ZN7rocprim17ROCPRIM_400000_NS6detail17trampoline_kernelINS0_14default_configENS1_20scan_config_selectorIlEEZZNS1_9scan_implILNS1_25lookback_scan_determinismE0ELb0ELb0ES3_PlS8_lN6thrust23THRUST_200600_302600_NS4plusIvEElEEDaPvRmT3_T4_T5_mT6_P12ihipStream_tbENKUlT_T0_E_clISt17integral_constantIbLb1EESQ_EEDaSL_SM_EUlSL_E_NS1_11comp_targetILNS1_3genE9ELNS1_11target_archE1100ELNS1_3gpuE3ELNS1_3repE0EEENS1_30default_config_static_selectorELNS0_4arch9wavefront6targetE1EEEvT1_,"axG",@progbits,_ZN7rocprim17ROCPRIM_400000_NS6detail17trampoline_kernelINS0_14default_configENS1_20scan_config_selectorIlEEZZNS1_9scan_implILNS1_25lookback_scan_determinismE0ELb0ELb0ES3_PlS8_lN6thrust23THRUST_200600_302600_NS4plusIvEElEEDaPvRmT3_T4_T5_mT6_P12ihipStream_tbENKUlT_T0_E_clISt17integral_constantIbLb1EESQ_EEDaSL_SM_EUlSL_E_NS1_11comp_targetILNS1_3genE9ELNS1_11target_archE1100ELNS1_3gpuE3ELNS1_3repE0EEENS1_30default_config_static_selectorELNS0_4arch9wavefront6targetE1EEEvT1_,comdat
.Lfunc_end111:
	.size	_ZN7rocprim17ROCPRIM_400000_NS6detail17trampoline_kernelINS0_14default_configENS1_20scan_config_selectorIlEEZZNS1_9scan_implILNS1_25lookback_scan_determinismE0ELb0ELb0ES3_PlS8_lN6thrust23THRUST_200600_302600_NS4plusIvEElEEDaPvRmT3_T4_T5_mT6_P12ihipStream_tbENKUlT_T0_E_clISt17integral_constantIbLb1EESQ_EEDaSL_SM_EUlSL_E_NS1_11comp_targetILNS1_3genE9ELNS1_11target_archE1100ELNS1_3gpuE3ELNS1_3repE0EEENS1_30default_config_static_selectorELNS0_4arch9wavefront6targetE1EEEvT1_, .Lfunc_end111-_ZN7rocprim17ROCPRIM_400000_NS6detail17trampoline_kernelINS0_14default_configENS1_20scan_config_selectorIlEEZZNS1_9scan_implILNS1_25lookback_scan_determinismE0ELb0ELb0ES3_PlS8_lN6thrust23THRUST_200600_302600_NS4plusIvEElEEDaPvRmT3_T4_T5_mT6_P12ihipStream_tbENKUlT_T0_E_clISt17integral_constantIbLb1EESQ_EEDaSL_SM_EUlSL_E_NS1_11comp_targetILNS1_3genE9ELNS1_11target_archE1100ELNS1_3gpuE3ELNS1_3repE0EEENS1_30default_config_static_selectorELNS0_4arch9wavefront6targetE1EEEvT1_
                                        ; -- End function
	.section	.AMDGPU.csdata,"",@progbits
; Kernel info:
; codeLenInByte = 0
; NumSgprs: 6
; NumVgprs: 0
; NumAgprs: 0
; TotalNumVgprs: 0
; ScratchSize: 0
; MemoryBound: 0
; FloatMode: 240
; IeeeMode: 1
; LDSByteSize: 0 bytes/workgroup (compile time only)
; SGPRBlocks: 0
; VGPRBlocks: 0
; NumSGPRsForWavesPerEU: 6
; NumVGPRsForWavesPerEU: 1
; AccumOffset: 4
; Occupancy: 8
; WaveLimiterHint : 0
; COMPUTE_PGM_RSRC2:SCRATCH_EN: 0
; COMPUTE_PGM_RSRC2:USER_SGPR: 2
; COMPUTE_PGM_RSRC2:TRAP_HANDLER: 0
; COMPUTE_PGM_RSRC2:TGID_X_EN: 1
; COMPUTE_PGM_RSRC2:TGID_Y_EN: 0
; COMPUTE_PGM_RSRC2:TGID_Z_EN: 0
; COMPUTE_PGM_RSRC2:TIDIG_COMP_CNT: 0
; COMPUTE_PGM_RSRC3_GFX90A:ACCUM_OFFSET: 0
; COMPUTE_PGM_RSRC3_GFX90A:TG_SPLIT: 0
	.section	.text._ZN7rocprim17ROCPRIM_400000_NS6detail17trampoline_kernelINS0_14default_configENS1_20scan_config_selectorIlEEZZNS1_9scan_implILNS1_25lookback_scan_determinismE0ELb0ELb0ES3_PlS8_lN6thrust23THRUST_200600_302600_NS4plusIvEElEEDaPvRmT3_T4_T5_mT6_P12ihipStream_tbENKUlT_T0_E_clISt17integral_constantIbLb1EESQ_EEDaSL_SM_EUlSL_E_NS1_11comp_targetILNS1_3genE8ELNS1_11target_archE1030ELNS1_3gpuE2ELNS1_3repE0EEENS1_30default_config_static_selectorELNS0_4arch9wavefront6targetE1EEEvT1_,"axG",@progbits,_ZN7rocprim17ROCPRIM_400000_NS6detail17trampoline_kernelINS0_14default_configENS1_20scan_config_selectorIlEEZZNS1_9scan_implILNS1_25lookback_scan_determinismE0ELb0ELb0ES3_PlS8_lN6thrust23THRUST_200600_302600_NS4plusIvEElEEDaPvRmT3_T4_T5_mT6_P12ihipStream_tbENKUlT_T0_E_clISt17integral_constantIbLb1EESQ_EEDaSL_SM_EUlSL_E_NS1_11comp_targetILNS1_3genE8ELNS1_11target_archE1030ELNS1_3gpuE2ELNS1_3repE0EEENS1_30default_config_static_selectorELNS0_4arch9wavefront6targetE1EEEvT1_,comdat
	.protected	_ZN7rocprim17ROCPRIM_400000_NS6detail17trampoline_kernelINS0_14default_configENS1_20scan_config_selectorIlEEZZNS1_9scan_implILNS1_25lookback_scan_determinismE0ELb0ELb0ES3_PlS8_lN6thrust23THRUST_200600_302600_NS4plusIvEElEEDaPvRmT3_T4_T5_mT6_P12ihipStream_tbENKUlT_T0_E_clISt17integral_constantIbLb1EESQ_EEDaSL_SM_EUlSL_E_NS1_11comp_targetILNS1_3genE8ELNS1_11target_archE1030ELNS1_3gpuE2ELNS1_3repE0EEENS1_30default_config_static_selectorELNS0_4arch9wavefront6targetE1EEEvT1_ ; -- Begin function _ZN7rocprim17ROCPRIM_400000_NS6detail17trampoline_kernelINS0_14default_configENS1_20scan_config_selectorIlEEZZNS1_9scan_implILNS1_25lookback_scan_determinismE0ELb0ELb0ES3_PlS8_lN6thrust23THRUST_200600_302600_NS4plusIvEElEEDaPvRmT3_T4_T5_mT6_P12ihipStream_tbENKUlT_T0_E_clISt17integral_constantIbLb1EESQ_EEDaSL_SM_EUlSL_E_NS1_11comp_targetILNS1_3genE8ELNS1_11target_archE1030ELNS1_3gpuE2ELNS1_3repE0EEENS1_30default_config_static_selectorELNS0_4arch9wavefront6targetE1EEEvT1_
	.globl	_ZN7rocprim17ROCPRIM_400000_NS6detail17trampoline_kernelINS0_14default_configENS1_20scan_config_selectorIlEEZZNS1_9scan_implILNS1_25lookback_scan_determinismE0ELb0ELb0ES3_PlS8_lN6thrust23THRUST_200600_302600_NS4plusIvEElEEDaPvRmT3_T4_T5_mT6_P12ihipStream_tbENKUlT_T0_E_clISt17integral_constantIbLb1EESQ_EEDaSL_SM_EUlSL_E_NS1_11comp_targetILNS1_3genE8ELNS1_11target_archE1030ELNS1_3gpuE2ELNS1_3repE0EEENS1_30default_config_static_selectorELNS0_4arch9wavefront6targetE1EEEvT1_
	.p2align	8
	.type	_ZN7rocprim17ROCPRIM_400000_NS6detail17trampoline_kernelINS0_14default_configENS1_20scan_config_selectorIlEEZZNS1_9scan_implILNS1_25lookback_scan_determinismE0ELb0ELb0ES3_PlS8_lN6thrust23THRUST_200600_302600_NS4plusIvEElEEDaPvRmT3_T4_T5_mT6_P12ihipStream_tbENKUlT_T0_E_clISt17integral_constantIbLb1EESQ_EEDaSL_SM_EUlSL_E_NS1_11comp_targetILNS1_3genE8ELNS1_11target_archE1030ELNS1_3gpuE2ELNS1_3repE0EEENS1_30default_config_static_selectorELNS0_4arch9wavefront6targetE1EEEvT1_,@function
_ZN7rocprim17ROCPRIM_400000_NS6detail17trampoline_kernelINS0_14default_configENS1_20scan_config_selectorIlEEZZNS1_9scan_implILNS1_25lookback_scan_determinismE0ELb0ELb0ES3_PlS8_lN6thrust23THRUST_200600_302600_NS4plusIvEElEEDaPvRmT3_T4_T5_mT6_P12ihipStream_tbENKUlT_T0_E_clISt17integral_constantIbLb1EESQ_EEDaSL_SM_EUlSL_E_NS1_11comp_targetILNS1_3genE8ELNS1_11target_archE1030ELNS1_3gpuE2ELNS1_3repE0EEENS1_30default_config_static_selectorELNS0_4arch9wavefront6targetE1EEEvT1_: ; @_ZN7rocprim17ROCPRIM_400000_NS6detail17trampoline_kernelINS0_14default_configENS1_20scan_config_selectorIlEEZZNS1_9scan_implILNS1_25lookback_scan_determinismE0ELb0ELb0ES3_PlS8_lN6thrust23THRUST_200600_302600_NS4plusIvEElEEDaPvRmT3_T4_T5_mT6_P12ihipStream_tbENKUlT_T0_E_clISt17integral_constantIbLb1EESQ_EEDaSL_SM_EUlSL_E_NS1_11comp_targetILNS1_3genE8ELNS1_11target_archE1030ELNS1_3gpuE2ELNS1_3repE0EEENS1_30default_config_static_selectorELNS0_4arch9wavefront6targetE1EEEvT1_
; %bb.0:
	.section	.rodata,"a",@progbits
	.p2align	6, 0x0
	.amdhsa_kernel _ZN7rocprim17ROCPRIM_400000_NS6detail17trampoline_kernelINS0_14default_configENS1_20scan_config_selectorIlEEZZNS1_9scan_implILNS1_25lookback_scan_determinismE0ELb0ELb0ES3_PlS8_lN6thrust23THRUST_200600_302600_NS4plusIvEElEEDaPvRmT3_T4_T5_mT6_P12ihipStream_tbENKUlT_T0_E_clISt17integral_constantIbLb1EESQ_EEDaSL_SM_EUlSL_E_NS1_11comp_targetILNS1_3genE8ELNS1_11target_archE1030ELNS1_3gpuE2ELNS1_3repE0EEENS1_30default_config_static_selectorELNS0_4arch9wavefront6targetE1EEEvT1_
		.amdhsa_group_segment_fixed_size 0
		.amdhsa_private_segment_fixed_size 0
		.amdhsa_kernarg_size 104
		.amdhsa_user_sgpr_count 2
		.amdhsa_user_sgpr_dispatch_ptr 0
		.amdhsa_user_sgpr_queue_ptr 0
		.amdhsa_user_sgpr_kernarg_segment_ptr 1
		.amdhsa_user_sgpr_dispatch_id 0
		.amdhsa_user_sgpr_kernarg_preload_length 0
		.amdhsa_user_sgpr_kernarg_preload_offset 0
		.amdhsa_user_sgpr_private_segment_size 0
		.amdhsa_uses_dynamic_stack 0
		.amdhsa_enable_private_segment 0
		.amdhsa_system_sgpr_workgroup_id_x 1
		.amdhsa_system_sgpr_workgroup_id_y 0
		.amdhsa_system_sgpr_workgroup_id_z 0
		.amdhsa_system_sgpr_workgroup_info 0
		.amdhsa_system_vgpr_workitem_id 0
		.amdhsa_next_free_vgpr 1
		.amdhsa_next_free_sgpr 0
		.amdhsa_accum_offset 4
		.amdhsa_reserve_vcc 0
		.amdhsa_float_round_mode_32 0
		.amdhsa_float_round_mode_16_64 0
		.amdhsa_float_denorm_mode_32 3
		.amdhsa_float_denorm_mode_16_64 3
		.amdhsa_dx10_clamp 1
		.amdhsa_ieee_mode 1
		.amdhsa_fp16_overflow 0
		.amdhsa_tg_split 0
		.amdhsa_exception_fp_ieee_invalid_op 0
		.amdhsa_exception_fp_denorm_src 0
		.amdhsa_exception_fp_ieee_div_zero 0
		.amdhsa_exception_fp_ieee_overflow 0
		.amdhsa_exception_fp_ieee_underflow 0
		.amdhsa_exception_fp_ieee_inexact 0
		.amdhsa_exception_int_div_zero 0
	.end_amdhsa_kernel
	.section	.text._ZN7rocprim17ROCPRIM_400000_NS6detail17trampoline_kernelINS0_14default_configENS1_20scan_config_selectorIlEEZZNS1_9scan_implILNS1_25lookback_scan_determinismE0ELb0ELb0ES3_PlS8_lN6thrust23THRUST_200600_302600_NS4plusIvEElEEDaPvRmT3_T4_T5_mT6_P12ihipStream_tbENKUlT_T0_E_clISt17integral_constantIbLb1EESQ_EEDaSL_SM_EUlSL_E_NS1_11comp_targetILNS1_3genE8ELNS1_11target_archE1030ELNS1_3gpuE2ELNS1_3repE0EEENS1_30default_config_static_selectorELNS0_4arch9wavefront6targetE1EEEvT1_,"axG",@progbits,_ZN7rocprim17ROCPRIM_400000_NS6detail17trampoline_kernelINS0_14default_configENS1_20scan_config_selectorIlEEZZNS1_9scan_implILNS1_25lookback_scan_determinismE0ELb0ELb0ES3_PlS8_lN6thrust23THRUST_200600_302600_NS4plusIvEElEEDaPvRmT3_T4_T5_mT6_P12ihipStream_tbENKUlT_T0_E_clISt17integral_constantIbLb1EESQ_EEDaSL_SM_EUlSL_E_NS1_11comp_targetILNS1_3genE8ELNS1_11target_archE1030ELNS1_3gpuE2ELNS1_3repE0EEENS1_30default_config_static_selectorELNS0_4arch9wavefront6targetE1EEEvT1_,comdat
.Lfunc_end112:
	.size	_ZN7rocprim17ROCPRIM_400000_NS6detail17trampoline_kernelINS0_14default_configENS1_20scan_config_selectorIlEEZZNS1_9scan_implILNS1_25lookback_scan_determinismE0ELb0ELb0ES3_PlS8_lN6thrust23THRUST_200600_302600_NS4plusIvEElEEDaPvRmT3_T4_T5_mT6_P12ihipStream_tbENKUlT_T0_E_clISt17integral_constantIbLb1EESQ_EEDaSL_SM_EUlSL_E_NS1_11comp_targetILNS1_3genE8ELNS1_11target_archE1030ELNS1_3gpuE2ELNS1_3repE0EEENS1_30default_config_static_selectorELNS0_4arch9wavefront6targetE1EEEvT1_, .Lfunc_end112-_ZN7rocprim17ROCPRIM_400000_NS6detail17trampoline_kernelINS0_14default_configENS1_20scan_config_selectorIlEEZZNS1_9scan_implILNS1_25lookback_scan_determinismE0ELb0ELb0ES3_PlS8_lN6thrust23THRUST_200600_302600_NS4plusIvEElEEDaPvRmT3_T4_T5_mT6_P12ihipStream_tbENKUlT_T0_E_clISt17integral_constantIbLb1EESQ_EEDaSL_SM_EUlSL_E_NS1_11comp_targetILNS1_3genE8ELNS1_11target_archE1030ELNS1_3gpuE2ELNS1_3repE0EEENS1_30default_config_static_selectorELNS0_4arch9wavefront6targetE1EEEvT1_
                                        ; -- End function
	.section	.AMDGPU.csdata,"",@progbits
; Kernel info:
; codeLenInByte = 0
; NumSgprs: 6
; NumVgprs: 0
; NumAgprs: 0
; TotalNumVgprs: 0
; ScratchSize: 0
; MemoryBound: 0
; FloatMode: 240
; IeeeMode: 1
; LDSByteSize: 0 bytes/workgroup (compile time only)
; SGPRBlocks: 0
; VGPRBlocks: 0
; NumSGPRsForWavesPerEU: 6
; NumVGPRsForWavesPerEU: 1
; AccumOffset: 4
; Occupancy: 8
; WaveLimiterHint : 0
; COMPUTE_PGM_RSRC2:SCRATCH_EN: 0
; COMPUTE_PGM_RSRC2:USER_SGPR: 2
; COMPUTE_PGM_RSRC2:TRAP_HANDLER: 0
; COMPUTE_PGM_RSRC2:TGID_X_EN: 1
; COMPUTE_PGM_RSRC2:TGID_Y_EN: 0
; COMPUTE_PGM_RSRC2:TGID_Z_EN: 0
; COMPUTE_PGM_RSRC2:TIDIG_COMP_CNT: 0
; COMPUTE_PGM_RSRC3_GFX90A:ACCUM_OFFSET: 0
; COMPUTE_PGM_RSRC3_GFX90A:TG_SPLIT: 0
	.section	.text._ZN7rocprim17ROCPRIM_400000_NS6detail17trampoline_kernelINS0_14default_configENS1_20scan_config_selectorIlEEZZNS1_9scan_implILNS1_25lookback_scan_determinismE0ELb0ELb0ES3_PlS8_lN6thrust23THRUST_200600_302600_NS4plusIvEElEEDaPvRmT3_T4_T5_mT6_P12ihipStream_tbENKUlT_T0_E_clISt17integral_constantIbLb1EESQ_EEDaSL_SM_EUlSL_E0_NS1_11comp_targetILNS1_3genE0ELNS1_11target_archE4294967295ELNS1_3gpuE0ELNS1_3repE0EEENS1_30default_config_static_selectorELNS0_4arch9wavefront6targetE1EEEvT1_,"axG",@progbits,_ZN7rocprim17ROCPRIM_400000_NS6detail17trampoline_kernelINS0_14default_configENS1_20scan_config_selectorIlEEZZNS1_9scan_implILNS1_25lookback_scan_determinismE0ELb0ELb0ES3_PlS8_lN6thrust23THRUST_200600_302600_NS4plusIvEElEEDaPvRmT3_T4_T5_mT6_P12ihipStream_tbENKUlT_T0_E_clISt17integral_constantIbLb1EESQ_EEDaSL_SM_EUlSL_E0_NS1_11comp_targetILNS1_3genE0ELNS1_11target_archE4294967295ELNS1_3gpuE0ELNS1_3repE0EEENS1_30default_config_static_selectorELNS0_4arch9wavefront6targetE1EEEvT1_,comdat
	.protected	_ZN7rocprim17ROCPRIM_400000_NS6detail17trampoline_kernelINS0_14default_configENS1_20scan_config_selectorIlEEZZNS1_9scan_implILNS1_25lookback_scan_determinismE0ELb0ELb0ES3_PlS8_lN6thrust23THRUST_200600_302600_NS4plusIvEElEEDaPvRmT3_T4_T5_mT6_P12ihipStream_tbENKUlT_T0_E_clISt17integral_constantIbLb1EESQ_EEDaSL_SM_EUlSL_E0_NS1_11comp_targetILNS1_3genE0ELNS1_11target_archE4294967295ELNS1_3gpuE0ELNS1_3repE0EEENS1_30default_config_static_selectorELNS0_4arch9wavefront6targetE1EEEvT1_ ; -- Begin function _ZN7rocprim17ROCPRIM_400000_NS6detail17trampoline_kernelINS0_14default_configENS1_20scan_config_selectorIlEEZZNS1_9scan_implILNS1_25lookback_scan_determinismE0ELb0ELb0ES3_PlS8_lN6thrust23THRUST_200600_302600_NS4plusIvEElEEDaPvRmT3_T4_T5_mT6_P12ihipStream_tbENKUlT_T0_E_clISt17integral_constantIbLb1EESQ_EEDaSL_SM_EUlSL_E0_NS1_11comp_targetILNS1_3genE0ELNS1_11target_archE4294967295ELNS1_3gpuE0ELNS1_3repE0EEENS1_30default_config_static_selectorELNS0_4arch9wavefront6targetE1EEEvT1_
	.globl	_ZN7rocprim17ROCPRIM_400000_NS6detail17trampoline_kernelINS0_14default_configENS1_20scan_config_selectorIlEEZZNS1_9scan_implILNS1_25lookback_scan_determinismE0ELb0ELb0ES3_PlS8_lN6thrust23THRUST_200600_302600_NS4plusIvEElEEDaPvRmT3_T4_T5_mT6_P12ihipStream_tbENKUlT_T0_E_clISt17integral_constantIbLb1EESQ_EEDaSL_SM_EUlSL_E0_NS1_11comp_targetILNS1_3genE0ELNS1_11target_archE4294967295ELNS1_3gpuE0ELNS1_3repE0EEENS1_30default_config_static_selectorELNS0_4arch9wavefront6targetE1EEEvT1_
	.p2align	8
	.type	_ZN7rocprim17ROCPRIM_400000_NS6detail17trampoline_kernelINS0_14default_configENS1_20scan_config_selectorIlEEZZNS1_9scan_implILNS1_25lookback_scan_determinismE0ELb0ELb0ES3_PlS8_lN6thrust23THRUST_200600_302600_NS4plusIvEElEEDaPvRmT3_T4_T5_mT6_P12ihipStream_tbENKUlT_T0_E_clISt17integral_constantIbLb1EESQ_EEDaSL_SM_EUlSL_E0_NS1_11comp_targetILNS1_3genE0ELNS1_11target_archE4294967295ELNS1_3gpuE0ELNS1_3repE0EEENS1_30default_config_static_selectorELNS0_4arch9wavefront6targetE1EEEvT1_,@function
_ZN7rocprim17ROCPRIM_400000_NS6detail17trampoline_kernelINS0_14default_configENS1_20scan_config_selectorIlEEZZNS1_9scan_implILNS1_25lookback_scan_determinismE0ELb0ELb0ES3_PlS8_lN6thrust23THRUST_200600_302600_NS4plusIvEElEEDaPvRmT3_T4_T5_mT6_P12ihipStream_tbENKUlT_T0_E_clISt17integral_constantIbLb1EESQ_EEDaSL_SM_EUlSL_E0_NS1_11comp_targetILNS1_3genE0ELNS1_11target_archE4294967295ELNS1_3gpuE0ELNS1_3repE0EEENS1_30default_config_static_selectorELNS0_4arch9wavefront6targetE1EEEvT1_: ; @_ZN7rocprim17ROCPRIM_400000_NS6detail17trampoline_kernelINS0_14default_configENS1_20scan_config_selectorIlEEZZNS1_9scan_implILNS1_25lookback_scan_determinismE0ELb0ELb0ES3_PlS8_lN6thrust23THRUST_200600_302600_NS4plusIvEElEEDaPvRmT3_T4_T5_mT6_P12ihipStream_tbENKUlT_T0_E_clISt17integral_constantIbLb1EESQ_EEDaSL_SM_EUlSL_E0_NS1_11comp_targetILNS1_3genE0ELNS1_11target_archE4294967295ELNS1_3gpuE0ELNS1_3repE0EEENS1_30default_config_static_selectorELNS0_4arch9wavefront6targetE1EEEvT1_
; %bb.0:
	.section	.rodata,"a",@progbits
	.p2align	6, 0x0
	.amdhsa_kernel _ZN7rocprim17ROCPRIM_400000_NS6detail17trampoline_kernelINS0_14default_configENS1_20scan_config_selectorIlEEZZNS1_9scan_implILNS1_25lookback_scan_determinismE0ELb0ELb0ES3_PlS8_lN6thrust23THRUST_200600_302600_NS4plusIvEElEEDaPvRmT3_T4_T5_mT6_P12ihipStream_tbENKUlT_T0_E_clISt17integral_constantIbLb1EESQ_EEDaSL_SM_EUlSL_E0_NS1_11comp_targetILNS1_3genE0ELNS1_11target_archE4294967295ELNS1_3gpuE0ELNS1_3repE0EEENS1_30default_config_static_selectorELNS0_4arch9wavefront6targetE1EEEvT1_
		.amdhsa_group_segment_fixed_size 0
		.amdhsa_private_segment_fixed_size 0
		.amdhsa_kernarg_size 40
		.amdhsa_user_sgpr_count 2
		.amdhsa_user_sgpr_dispatch_ptr 0
		.amdhsa_user_sgpr_queue_ptr 0
		.amdhsa_user_sgpr_kernarg_segment_ptr 1
		.amdhsa_user_sgpr_dispatch_id 0
		.amdhsa_user_sgpr_kernarg_preload_length 0
		.amdhsa_user_sgpr_kernarg_preload_offset 0
		.amdhsa_user_sgpr_private_segment_size 0
		.amdhsa_uses_dynamic_stack 0
		.amdhsa_enable_private_segment 0
		.amdhsa_system_sgpr_workgroup_id_x 1
		.amdhsa_system_sgpr_workgroup_id_y 0
		.amdhsa_system_sgpr_workgroup_id_z 0
		.amdhsa_system_sgpr_workgroup_info 0
		.amdhsa_system_vgpr_workitem_id 0
		.amdhsa_next_free_vgpr 1
		.amdhsa_next_free_sgpr 0
		.amdhsa_accum_offset 4
		.amdhsa_reserve_vcc 0
		.amdhsa_float_round_mode_32 0
		.amdhsa_float_round_mode_16_64 0
		.amdhsa_float_denorm_mode_32 3
		.amdhsa_float_denorm_mode_16_64 3
		.amdhsa_dx10_clamp 1
		.amdhsa_ieee_mode 1
		.amdhsa_fp16_overflow 0
		.amdhsa_tg_split 0
		.amdhsa_exception_fp_ieee_invalid_op 0
		.amdhsa_exception_fp_denorm_src 0
		.amdhsa_exception_fp_ieee_div_zero 0
		.amdhsa_exception_fp_ieee_overflow 0
		.amdhsa_exception_fp_ieee_underflow 0
		.amdhsa_exception_fp_ieee_inexact 0
		.amdhsa_exception_int_div_zero 0
	.end_amdhsa_kernel
	.section	.text._ZN7rocprim17ROCPRIM_400000_NS6detail17trampoline_kernelINS0_14default_configENS1_20scan_config_selectorIlEEZZNS1_9scan_implILNS1_25lookback_scan_determinismE0ELb0ELb0ES3_PlS8_lN6thrust23THRUST_200600_302600_NS4plusIvEElEEDaPvRmT3_T4_T5_mT6_P12ihipStream_tbENKUlT_T0_E_clISt17integral_constantIbLb1EESQ_EEDaSL_SM_EUlSL_E0_NS1_11comp_targetILNS1_3genE0ELNS1_11target_archE4294967295ELNS1_3gpuE0ELNS1_3repE0EEENS1_30default_config_static_selectorELNS0_4arch9wavefront6targetE1EEEvT1_,"axG",@progbits,_ZN7rocprim17ROCPRIM_400000_NS6detail17trampoline_kernelINS0_14default_configENS1_20scan_config_selectorIlEEZZNS1_9scan_implILNS1_25lookback_scan_determinismE0ELb0ELb0ES3_PlS8_lN6thrust23THRUST_200600_302600_NS4plusIvEElEEDaPvRmT3_T4_T5_mT6_P12ihipStream_tbENKUlT_T0_E_clISt17integral_constantIbLb1EESQ_EEDaSL_SM_EUlSL_E0_NS1_11comp_targetILNS1_3genE0ELNS1_11target_archE4294967295ELNS1_3gpuE0ELNS1_3repE0EEENS1_30default_config_static_selectorELNS0_4arch9wavefront6targetE1EEEvT1_,comdat
.Lfunc_end113:
	.size	_ZN7rocprim17ROCPRIM_400000_NS6detail17trampoline_kernelINS0_14default_configENS1_20scan_config_selectorIlEEZZNS1_9scan_implILNS1_25lookback_scan_determinismE0ELb0ELb0ES3_PlS8_lN6thrust23THRUST_200600_302600_NS4plusIvEElEEDaPvRmT3_T4_T5_mT6_P12ihipStream_tbENKUlT_T0_E_clISt17integral_constantIbLb1EESQ_EEDaSL_SM_EUlSL_E0_NS1_11comp_targetILNS1_3genE0ELNS1_11target_archE4294967295ELNS1_3gpuE0ELNS1_3repE0EEENS1_30default_config_static_selectorELNS0_4arch9wavefront6targetE1EEEvT1_, .Lfunc_end113-_ZN7rocprim17ROCPRIM_400000_NS6detail17trampoline_kernelINS0_14default_configENS1_20scan_config_selectorIlEEZZNS1_9scan_implILNS1_25lookback_scan_determinismE0ELb0ELb0ES3_PlS8_lN6thrust23THRUST_200600_302600_NS4plusIvEElEEDaPvRmT3_T4_T5_mT6_P12ihipStream_tbENKUlT_T0_E_clISt17integral_constantIbLb1EESQ_EEDaSL_SM_EUlSL_E0_NS1_11comp_targetILNS1_3genE0ELNS1_11target_archE4294967295ELNS1_3gpuE0ELNS1_3repE0EEENS1_30default_config_static_selectorELNS0_4arch9wavefront6targetE1EEEvT1_
                                        ; -- End function
	.section	.AMDGPU.csdata,"",@progbits
; Kernel info:
; codeLenInByte = 0
; NumSgprs: 6
; NumVgprs: 0
; NumAgprs: 0
; TotalNumVgprs: 0
; ScratchSize: 0
; MemoryBound: 0
; FloatMode: 240
; IeeeMode: 1
; LDSByteSize: 0 bytes/workgroup (compile time only)
; SGPRBlocks: 0
; VGPRBlocks: 0
; NumSGPRsForWavesPerEU: 6
; NumVGPRsForWavesPerEU: 1
; AccumOffset: 4
; Occupancy: 8
; WaveLimiterHint : 0
; COMPUTE_PGM_RSRC2:SCRATCH_EN: 0
; COMPUTE_PGM_RSRC2:USER_SGPR: 2
; COMPUTE_PGM_RSRC2:TRAP_HANDLER: 0
; COMPUTE_PGM_RSRC2:TGID_X_EN: 1
; COMPUTE_PGM_RSRC2:TGID_Y_EN: 0
; COMPUTE_PGM_RSRC2:TGID_Z_EN: 0
; COMPUTE_PGM_RSRC2:TIDIG_COMP_CNT: 0
; COMPUTE_PGM_RSRC3_GFX90A:ACCUM_OFFSET: 0
; COMPUTE_PGM_RSRC3_GFX90A:TG_SPLIT: 0
	.section	.text._ZN7rocprim17ROCPRIM_400000_NS6detail17trampoline_kernelINS0_14default_configENS1_20scan_config_selectorIlEEZZNS1_9scan_implILNS1_25lookback_scan_determinismE0ELb0ELb0ES3_PlS8_lN6thrust23THRUST_200600_302600_NS4plusIvEElEEDaPvRmT3_T4_T5_mT6_P12ihipStream_tbENKUlT_T0_E_clISt17integral_constantIbLb1EESQ_EEDaSL_SM_EUlSL_E0_NS1_11comp_targetILNS1_3genE5ELNS1_11target_archE942ELNS1_3gpuE9ELNS1_3repE0EEENS1_30default_config_static_selectorELNS0_4arch9wavefront6targetE1EEEvT1_,"axG",@progbits,_ZN7rocprim17ROCPRIM_400000_NS6detail17trampoline_kernelINS0_14default_configENS1_20scan_config_selectorIlEEZZNS1_9scan_implILNS1_25lookback_scan_determinismE0ELb0ELb0ES3_PlS8_lN6thrust23THRUST_200600_302600_NS4plusIvEElEEDaPvRmT3_T4_T5_mT6_P12ihipStream_tbENKUlT_T0_E_clISt17integral_constantIbLb1EESQ_EEDaSL_SM_EUlSL_E0_NS1_11comp_targetILNS1_3genE5ELNS1_11target_archE942ELNS1_3gpuE9ELNS1_3repE0EEENS1_30default_config_static_selectorELNS0_4arch9wavefront6targetE1EEEvT1_,comdat
	.protected	_ZN7rocprim17ROCPRIM_400000_NS6detail17trampoline_kernelINS0_14default_configENS1_20scan_config_selectorIlEEZZNS1_9scan_implILNS1_25lookback_scan_determinismE0ELb0ELb0ES3_PlS8_lN6thrust23THRUST_200600_302600_NS4plusIvEElEEDaPvRmT3_T4_T5_mT6_P12ihipStream_tbENKUlT_T0_E_clISt17integral_constantIbLb1EESQ_EEDaSL_SM_EUlSL_E0_NS1_11comp_targetILNS1_3genE5ELNS1_11target_archE942ELNS1_3gpuE9ELNS1_3repE0EEENS1_30default_config_static_selectorELNS0_4arch9wavefront6targetE1EEEvT1_ ; -- Begin function _ZN7rocprim17ROCPRIM_400000_NS6detail17trampoline_kernelINS0_14default_configENS1_20scan_config_selectorIlEEZZNS1_9scan_implILNS1_25lookback_scan_determinismE0ELb0ELb0ES3_PlS8_lN6thrust23THRUST_200600_302600_NS4plusIvEElEEDaPvRmT3_T4_T5_mT6_P12ihipStream_tbENKUlT_T0_E_clISt17integral_constantIbLb1EESQ_EEDaSL_SM_EUlSL_E0_NS1_11comp_targetILNS1_3genE5ELNS1_11target_archE942ELNS1_3gpuE9ELNS1_3repE0EEENS1_30default_config_static_selectorELNS0_4arch9wavefront6targetE1EEEvT1_
	.globl	_ZN7rocprim17ROCPRIM_400000_NS6detail17trampoline_kernelINS0_14default_configENS1_20scan_config_selectorIlEEZZNS1_9scan_implILNS1_25lookback_scan_determinismE0ELb0ELb0ES3_PlS8_lN6thrust23THRUST_200600_302600_NS4plusIvEElEEDaPvRmT3_T4_T5_mT6_P12ihipStream_tbENKUlT_T0_E_clISt17integral_constantIbLb1EESQ_EEDaSL_SM_EUlSL_E0_NS1_11comp_targetILNS1_3genE5ELNS1_11target_archE942ELNS1_3gpuE9ELNS1_3repE0EEENS1_30default_config_static_selectorELNS0_4arch9wavefront6targetE1EEEvT1_
	.p2align	8
	.type	_ZN7rocprim17ROCPRIM_400000_NS6detail17trampoline_kernelINS0_14default_configENS1_20scan_config_selectorIlEEZZNS1_9scan_implILNS1_25lookback_scan_determinismE0ELb0ELb0ES3_PlS8_lN6thrust23THRUST_200600_302600_NS4plusIvEElEEDaPvRmT3_T4_T5_mT6_P12ihipStream_tbENKUlT_T0_E_clISt17integral_constantIbLb1EESQ_EEDaSL_SM_EUlSL_E0_NS1_11comp_targetILNS1_3genE5ELNS1_11target_archE942ELNS1_3gpuE9ELNS1_3repE0EEENS1_30default_config_static_selectorELNS0_4arch9wavefront6targetE1EEEvT1_,@function
_ZN7rocprim17ROCPRIM_400000_NS6detail17trampoline_kernelINS0_14default_configENS1_20scan_config_selectorIlEEZZNS1_9scan_implILNS1_25lookback_scan_determinismE0ELb0ELb0ES3_PlS8_lN6thrust23THRUST_200600_302600_NS4plusIvEElEEDaPvRmT3_T4_T5_mT6_P12ihipStream_tbENKUlT_T0_E_clISt17integral_constantIbLb1EESQ_EEDaSL_SM_EUlSL_E0_NS1_11comp_targetILNS1_3genE5ELNS1_11target_archE942ELNS1_3gpuE9ELNS1_3repE0EEENS1_30default_config_static_selectorELNS0_4arch9wavefront6targetE1EEEvT1_: ; @_ZN7rocprim17ROCPRIM_400000_NS6detail17trampoline_kernelINS0_14default_configENS1_20scan_config_selectorIlEEZZNS1_9scan_implILNS1_25lookback_scan_determinismE0ELb0ELb0ES3_PlS8_lN6thrust23THRUST_200600_302600_NS4plusIvEElEEDaPvRmT3_T4_T5_mT6_P12ihipStream_tbENKUlT_T0_E_clISt17integral_constantIbLb1EESQ_EEDaSL_SM_EUlSL_E0_NS1_11comp_targetILNS1_3genE5ELNS1_11target_archE942ELNS1_3gpuE9ELNS1_3repE0EEENS1_30default_config_static_selectorELNS0_4arch9wavefront6targetE1EEEvT1_
; %bb.0:
	s_load_dwordx4 s[36:39], s[0:1], 0x0
	v_lshlrev_b32_e32 v34, 3, v0
	s_waitcnt lgkmcnt(0)
	s_load_dwordx2 s[30:31], s[36:37], 0x0
	v_cmp_gt_u32_e32 vcc, s38, v0
	s_waitcnt lgkmcnt(0)
	v_mov_b64_e32 v[2:3], s[30:31]
	s_and_saveexec_b64 s[2:3], vcc
	s_cbranch_execz .LBB114_2
; %bb.1:
	global_load_dwordx2 v[2:3], v34, s[36:37]
.LBB114_2:
	s_or_b64 exec, exec, s[2:3]
	v_or_b32_e32 v1, 0x100, v0
	v_cmp_gt_u32_e64 s[28:29], s38, v1
	v_mov_b64_e32 v[4:5], s[30:31]
	s_and_saveexec_b64 s[2:3], s[28:29]
	s_cbranch_execz .LBB114_4
; %bb.3:
	global_load_dwordx2 v[4:5], v34, s[36:37] offset:2048
.LBB114_4:
	s_or_b64 exec, exec, s[2:3]
	v_or_b32_e32 v1, 0x200, v0
	v_cmp_gt_u32_e64 s[2:3], s38, v1
	v_mov_b64_e32 v[6:7], s[30:31]
	s_and_saveexec_b64 s[4:5], s[2:3]
	s_cbranch_execz .LBB114_6
; %bb.5:
	v_lshlrev_b32_e32 v1, 3, v1
	global_load_dwordx2 v[6:7], v1, s[36:37]
.LBB114_6:
	s_or_b64 exec, exec, s[4:5]
	v_or_b32_e32 v1, 0x300, v0
	v_cmp_gt_u32_e64 s[4:5], s38, v1
	v_mov_b64_e32 v[8:9], s[30:31]
	s_and_saveexec_b64 s[6:7], s[4:5]
	s_cbranch_execz .LBB114_8
; %bb.7:
	v_lshlrev_b32_e32 v1, 3, v1
	global_load_dwordx2 v[8:9], v1, s[36:37]
.LBB114_8:
	;; [unrolled: 10-line block ×13, first 2 shown]
	s_or_b64 exec, exec, s[30:31]
	s_movk_i32 s30, 0x70
	v_mad_u32_u24 v1, v0, s30, v34
	s_waitcnt vmcnt(0)
	ds_write2st64_b64 v34, v[2:3], v[4:5] offset1:4
	ds_write2st64_b64 v34, v[6:7], v[8:9] offset0:8 offset1:12
	ds_write2st64_b64 v34, v[10:11], v[12:13] offset0:16 offset1:20
	;; [unrolled: 1-line block ×6, first 2 shown]
	ds_write_b64 v34, v[30:31] offset:28672
	s_waitcnt lgkmcnt(0)
	s_barrier
	ds_read2_b64 v[2:5], v1 offset1:1
	ds_read2_b64 v[6:9], v1 offset0:2 offset1:3
	ds_read2_b64 v[10:13], v1 offset0:4 offset1:5
	;; [unrolled: 1-line block ×6, first 2 shown]
	ds_read_b64 v[64:65], v1 offset:112
	s_waitcnt lgkmcnt(7)
	v_lshl_add_u64 v[62:63], v[4:5], 0, v[2:3]
	s_waitcnt lgkmcnt(6)
	v_lshl_add_u64 v[58:59], v[62:63], 0, v[6:7]
	v_lshl_add_u64 v[60:61], v[58:59], 0, v[8:9]
	s_waitcnt lgkmcnt(5)
	v_lshl_add_u64 v[54:55], v[60:61], 0, v[10:11]
	;; [unrolled: 3-line block ×6, first 2 shown]
	v_lshrrev_b32_e32 v1, 2, v0
	v_lshl_add_u64 v[38:39], v[36:37], 0, v[28:29]
	v_and_b32_e32 v1, 56, v1
	s_waitcnt lgkmcnt(0)
	v_lshl_add_u64 v[40:41], v[38:39], 0, v[64:65]
	v_add_u32_e32 v1, v34, v1
	v_cmp_gt_u32_e64 s[30:31], 64, v0
	s_barrier
	ds_write_b64 v1, v[40:41]
	s_waitcnt lgkmcnt(0)
	s_barrier
	s_and_saveexec_b64 s[36:37], s[30:31]
	s_cbranch_execz .LBB114_34
; %bb.31:
	v_lshlrev_b32_e32 v1, 2, v0
	v_lshrrev_b32_e32 v30, 3, v0
	v_add_lshl_u32 v1, v30, v1, 3
	ds_read2_b64 v[30:33], v1 offset1:1
	ds_read2_b64 v[68:71], v1 offset0:2 offset1:3
	v_mov_b32_e32 v66, 0
	v_mbcnt_lo_u32_b32 v35, -1, 0
	v_mbcnt_hi_u32_b32 v35, -1, v35
	s_waitcnt lgkmcnt(1)
	v_lshl_add_u64 v[32:33], v[32:33], 0, v[30:31]
	s_waitcnt lgkmcnt(0)
	v_lshl_add_u64 v[32:33], v[32:33], 0, v[68:69]
	v_lshl_add_u64 v[32:33], v[32:33], 0, v[70:71]
	v_mov_b32_e32 v69, v66
	v_and_b32_e32 v72, 15, v35
	v_mov_b32_dpp v68, v32 row_shr:1 row_mask:0xf bank_mask:0xf
	v_mov_b32_dpp v67, v33 row_shr:1 row_mask:0xf bank_mask:0xf
	v_lshl_add_u64 v[68:69], v[32:33], 0, v[68:69]
	v_lshl_add_u64 v[70:71], v[66:67], 0, v[68:69]
	v_cmp_eq_u32_e64 s[30:31], 0, v72
	v_cmp_ne_u32_e64 s[34:35], 0, v35
	s_nop 0
	v_cndmask_b32_e64 v67, v68, v32, s[30:31]
	v_cndmask_b32_e64 v69, v71, v33, s[30:31]
	v_cndmask_b32_e64 v68, v70, v32, s[30:31]
	v_mov_b32_dpp v70, v67 row_shr:2 row_mask:0xf bank_mask:0xf
	v_mov_b32_dpp v71, v69 row_shr:2 row_mask:0xf bank_mask:0xf
	v_lshl_add_u64 v[70:71], v[70:71], 0, v[68:69]
	v_cmp_lt_u32_e64 s[30:31], 1, v72
	s_nop 1
	v_cndmask_b32_e64 v67, v67, v70, s[30:31]
	v_cndmask_b32_e64 v69, v69, v71, s[30:31]
	v_cndmask_b32_e64 v68, v68, v70, s[30:31]
	v_mov_b32_dpp v70, v67 row_shr:4 row_mask:0xf bank_mask:0xf
	v_mov_b32_dpp v71, v69 row_shr:4 row_mask:0xf bank_mask:0xf
	v_lshl_add_u64 v[70:71], v[70:71], 0, v[68:69]
	v_cmp_lt_u32_e64 s[30:31], 3, v72
	;; [unrolled: 8-line block ×3, first 2 shown]
	v_and_b32_e32 v72, 16, v35
	s_nop 0
	v_cndmask_b32_e64 v67, v67, v70, s[30:31]
	v_cndmask_b32_e64 v69, v69, v71, s[30:31]
	;; [unrolled: 1-line block ×3, first 2 shown]
	v_mov_b32_dpp v70, v67 row_bcast:15 row_mask:0xf bank_mask:0xf
	v_mov_b32_dpp v71, v69 row_bcast:15 row_mask:0xf bank_mask:0xf
	v_lshl_add_u64 v[70:71], v[70:71], 0, v[68:69]
	v_cmp_eq_u32_e64 s[30:31], 0, v72
	s_nop 1
	v_cndmask_b32_e64 v72, v71, v69, s[30:31]
	v_cndmask_b32_e64 v67, v70, v67, s[30:31]
	s_nop 0
	v_mov_b32_dpp v72, v72 row_bcast:31 row_mask:0xf bank_mask:0xf
	v_mov_b32_dpp v67, v67 row_bcast:31 row_mask:0xf bank_mask:0xf
	s_and_saveexec_b64 s[38:39], s[34:35]
; %bb.32:
	v_cndmask_b32_e64 v33, v71, v69, s[30:31]
	v_cndmask_b32_e64 v32, v70, v68, s[30:31]
	v_cmp_lt_u32_e64 s[30:31], 31, v35
	s_nop 1
	v_cndmask_b32_e64 v69, 0, v72, s[30:31]
	v_cndmask_b32_e64 v68, 0, v67, s[30:31]
	v_lshl_add_u64 v[32:33], v[68:69], 0, v[32:33]
; %bb.33:
	s_or_b64 exec, exec, s[38:39]
	v_add_u32_e32 v67, -1, v35
	v_and_b32_e32 v68, 64, v35
	v_cmp_lt_i32_e64 s[30:31], v67, v68
	; wave barrier
	s_nop 1
	v_cndmask_b32_e64 v35, v67, v35, s[30:31]
	v_lshlrev_b32_e32 v35, 2, v35
	ds_bpermute_b32 v32, v35, v32
	ds_bpermute_b32 v67, v35, v33
	v_mov_b32_e32 v33, v66
	v_cmp_eq_u32_e64 s[30:31], 0, v0
	s_waitcnt lgkmcnt(1)
	v_lshl_add_u64 v[30:31], v[30:31], 0, v[32:33]
	s_waitcnt lgkmcnt(0)
	v_lshl_add_u64 v[30:31], v[30:31], 0, v[66:67]
	v_cndmask_b32_e64 v67, v31, v41, s[30:31]
	v_cndmask_b32_e64 v66, v30, v40, s[30:31]
	ds_write_b64 v1, v[66:67]
	; wave barrier
	ds_read2_b64 v[30:33], v1 offset0:1 offset1:2
	ds_read_b64 v[68:69], v1 offset:24
	s_waitcnt lgkmcnt(1)
	v_lshl_add_u64 v[30:31], v[30:31], 0, v[66:67]
	v_lshl_add_u64 v[32:33], v[32:33], 0, v[30:31]
	ds_write2_b64 v1, v[30:31], v[32:33] offset0:1 offset1:2
	s_waitcnt lgkmcnt(1)
	v_lshl_add_u64 v[30:31], v[68:69], 0, v[32:33]
	ds_write_b64 v1, v[30:31] offset:24
.LBB114_34:
	s_or_b64 exec, exec, s[36:37]
	s_load_dwordx2 s[30:31], s[0:1], 0x20
	v_mul_u32_u24_e32 v1, 0x70, v0
	v_cmp_ne_u32_e64 s[0:1], 0, v0
	v_mov_b64_e32 v[30:31], v[40:41]
	s_waitcnt lgkmcnt(0)
	s_barrier
	s_and_saveexec_b64 s[34:35], s[0:1]
	s_cbranch_execz .LBB114_36
; %bb.35:
	v_add_u32_e32 v0, -1, v0
	v_lshrrev_b32_e32 v30, 5, v0
	v_add_lshl_u32 v0, v30, v0, 3
	ds_read_b64 v[30:31], v0
.LBB114_36:
	s_or_b64 exec, exec, s[34:35]
	s_and_saveexec_b64 s[34:35], s[0:1]
	s_cbranch_execz .LBB114_38
; %bb.37:
	s_waitcnt lgkmcnt(0)
	v_lshl_add_u64 v[2:3], v[30:31], 0, v[2:3]
	v_lshl_add_u64 v[62:63], v[2:3], 0, v[4:5]
	v_lshl_add_u64 v[58:59], v[62:63], 0, v[6:7]
	v_lshl_add_u64 v[60:61], v[58:59], 0, v[8:9]
	v_lshl_add_u64 v[54:55], v[60:61], 0, v[10:11]
	v_lshl_add_u64 v[56:57], v[54:55], 0, v[12:13]
	v_lshl_add_u64 v[50:51], v[56:57], 0, v[14:15]
	v_lshl_add_u64 v[52:53], v[50:51], 0, v[16:17]
	v_lshl_add_u64 v[46:47], v[52:53], 0, v[18:19]
	v_lshl_add_u64 v[48:49], v[46:47], 0, v[20:21]
	v_lshl_add_u64 v[42:43], v[48:49], 0, v[22:23]
	v_lshl_add_u64 v[44:45], v[42:43], 0, v[24:25]
	v_lshl_add_u64 v[36:37], v[44:45], 0, v[26:27]
	v_lshl_add_u64 v[38:39], v[36:37], 0, v[28:29]
	v_lshl_add_u64 v[40:41], v[38:39], 0, v[64:65]
	;;#ASMSTART
	;;#ASMEND
.LBB114_38:
	s_or_b64 exec, exec, s[34:35]
	v_add_u32_e32 v0, v34, v1
	s_waitcnt lgkmcnt(0)
	s_barrier
	ds_write2_b64 v0, v[2:3], v[62:63] offset1:1
	ds_write2_b64 v0, v[58:59], v[60:61] offset0:2 offset1:3
	ds_write2_b64 v0, v[54:55], v[56:57] offset0:4 offset1:5
	;; [unrolled: 1-line block ×6, first 2 shown]
	ds_write_b64 v0, v[40:41] offset:112
	s_waitcnt lgkmcnt(0)
	s_barrier
	ds_read2st64_b64 v[24:27], v34 offset0:4 offset1:8
	ds_read2st64_b64 v[20:23], v34 offset0:12 offset1:16
	;; [unrolled: 1-line block ×7, first 2 shown]
	v_mov_b32_e32 v35, 0
	v_lshl_add_u64 v[28:29], s[30:31], 0, v[34:35]
	s_and_saveexec_b64 s[0:1], vcc
	s_cbranch_execnz .LBB114_54
; %bb.39:
	s_or_b64 exec, exec, s[0:1]
	s_and_saveexec_b64 s[0:1], s[28:29]
	s_cbranch_execnz .LBB114_55
.LBB114_40:
	s_or_b64 exec, exec, s[0:1]
	s_and_saveexec_b64 s[0:1], s[2:3]
	s_cbranch_execnz .LBB114_56
.LBB114_41:
	s_or_b64 exec, exec, s[0:1]
	s_and_saveexec_b64 s[0:1], s[4:5]
	s_cbranch_execnz .LBB114_57
.LBB114_42:
	s_or_b64 exec, exec, s[0:1]
	s_and_saveexec_b64 s[0:1], s[6:7]
	s_cbranch_execnz .LBB114_58
.LBB114_43:
	s_or_b64 exec, exec, s[0:1]
	s_and_saveexec_b64 s[0:1], s[8:9]
	s_cbranch_execnz .LBB114_59
.LBB114_44:
	s_or_b64 exec, exec, s[0:1]
	s_and_saveexec_b64 s[0:1], s[10:11]
	s_cbranch_execnz .LBB114_60
.LBB114_45:
	s_or_b64 exec, exec, s[0:1]
	s_and_saveexec_b64 s[0:1], s[12:13]
	s_cbranch_execnz .LBB114_61
.LBB114_46:
	s_or_b64 exec, exec, s[0:1]
	s_and_saveexec_b64 s[0:1], s[14:15]
	s_cbranch_execnz .LBB114_62
.LBB114_47:
	s_or_b64 exec, exec, s[0:1]
	s_and_saveexec_b64 s[0:1], s[16:17]
	s_cbranch_execnz .LBB114_63
.LBB114_48:
	s_or_b64 exec, exec, s[0:1]
	s_and_saveexec_b64 s[0:1], s[18:19]
	s_cbranch_execnz .LBB114_64
.LBB114_49:
	s_or_b64 exec, exec, s[0:1]
	s_and_saveexec_b64 s[0:1], s[20:21]
	s_cbranch_execnz .LBB114_65
.LBB114_50:
	s_or_b64 exec, exec, s[0:1]
	s_and_saveexec_b64 s[0:1], s[22:23]
	s_cbranch_execnz .LBB114_66
.LBB114_51:
	s_or_b64 exec, exec, s[0:1]
	s_and_saveexec_b64 s[0:1], s[24:25]
	s_cbranch_execnz .LBB114_67
.LBB114_52:
	s_or_b64 exec, exec, s[0:1]
	s_and_saveexec_b64 s[0:1], s[26:27]
	s_cbranch_execnz .LBB114_68
.LBB114_53:
	s_endpgm
.LBB114_54:
	ds_read_b64 v[30:31], v34
	s_waitcnt lgkmcnt(0)
	global_store_dwordx2 v[28:29], v[30:31], off
	s_or_b64 exec, exec, s[0:1]
	s_and_saveexec_b64 s[0:1], s[28:29]
	s_cbranch_execz .LBB114_40
.LBB114_55:
	s_waitcnt lgkmcnt(6)
	global_store_dwordx2 v[28:29], v[24:25], off offset:2048
	s_or_b64 exec, exec, s[0:1]
	s_and_saveexec_b64 s[0:1], s[2:3]
	s_cbranch_execz .LBB114_41
.LBB114_56:
	s_waitcnt lgkmcnt(6)
	v_add_co_u32_e32 v24, vcc, 0x1000, v28
	s_nop 1
	v_addc_co_u32_e32 v25, vcc, 0, v29, vcc
	global_store_dwordx2 v[24:25], v[26:27], off
	s_or_b64 exec, exec, s[0:1]
	s_and_saveexec_b64 s[0:1], s[4:5]
	s_cbranch_execz .LBB114_42
.LBB114_57:
	s_waitcnt lgkmcnt(6)
	v_add_co_u32_e32 v24, vcc, 0x1000, v28
	s_nop 1
	v_addc_co_u32_e32 v25, vcc, 0, v29, vcc
	s_waitcnt lgkmcnt(5)
	global_store_dwordx2 v[24:25], v[20:21], off offset:2048
	s_or_b64 exec, exec, s[0:1]
	s_and_saveexec_b64 s[0:1], s[6:7]
	s_cbranch_execz .LBB114_43
.LBB114_58:
	s_waitcnt lgkmcnt(5)
	v_add_co_u32_e32 v20, vcc, 0x2000, v28
	s_nop 1
	v_addc_co_u32_e32 v21, vcc, 0, v29, vcc
	global_store_dwordx2 v[20:21], v[22:23], off
	s_or_b64 exec, exec, s[0:1]
	s_and_saveexec_b64 s[0:1], s[8:9]
	s_cbranch_execz .LBB114_44
.LBB114_59:
	s_waitcnt lgkmcnt(5)
	v_add_co_u32_e32 v20, vcc, 0x2000, v28
	s_nop 1
	v_addc_co_u32_e32 v21, vcc, 0, v29, vcc
	s_waitcnt lgkmcnt(4)
	global_store_dwordx2 v[20:21], v[16:17], off offset:2048
	s_or_b64 exec, exec, s[0:1]
	s_and_saveexec_b64 s[0:1], s[10:11]
	s_cbranch_execz .LBB114_45
.LBB114_60:
	s_waitcnt lgkmcnt(4)
	v_add_co_u32_e32 v16, vcc, 0x3000, v28
	s_nop 1
	v_addc_co_u32_e32 v17, vcc, 0, v29, vcc
	global_store_dwordx2 v[16:17], v[18:19], off
	s_or_b64 exec, exec, s[0:1]
	s_and_saveexec_b64 s[0:1], s[12:13]
	s_cbranch_execz .LBB114_46
.LBB114_61:
	s_waitcnt lgkmcnt(4)
	v_add_co_u32_e32 v16, vcc, 0x3000, v28
	s_nop 1
	v_addc_co_u32_e32 v17, vcc, 0, v29, vcc
	s_waitcnt lgkmcnt(3)
	global_store_dwordx2 v[16:17], v[12:13], off offset:2048
	s_or_b64 exec, exec, s[0:1]
	s_and_saveexec_b64 s[0:1], s[14:15]
	s_cbranch_execz .LBB114_47
.LBB114_62:
	s_waitcnt lgkmcnt(3)
	v_add_co_u32_e32 v12, vcc, 0x4000, v28
	s_nop 1
	v_addc_co_u32_e32 v13, vcc, 0, v29, vcc
	global_store_dwordx2 v[12:13], v[14:15], off
	s_or_b64 exec, exec, s[0:1]
	s_and_saveexec_b64 s[0:1], s[16:17]
	s_cbranch_execz .LBB114_48
.LBB114_63:
	s_waitcnt lgkmcnt(3)
	v_add_co_u32_e32 v12, vcc, 0x4000, v28
	s_nop 1
	v_addc_co_u32_e32 v13, vcc, 0, v29, vcc
	s_waitcnt lgkmcnt(2)
	global_store_dwordx2 v[12:13], v[8:9], off offset:2048
	s_or_b64 exec, exec, s[0:1]
	s_and_saveexec_b64 s[0:1], s[18:19]
	s_cbranch_execz .LBB114_49
.LBB114_64:
	s_waitcnt lgkmcnt(2)
	v_add_co_u32_e32 v8, vcc, 0x5000, v28
	s_nop 1
	v_addc_co_u32_e32 v9, vcc, 0, v29, vcc
	global_store_dwordx2 v[8:9], v[10:11], off
	s_or_b64 exec, exec, s[0:1]
	s_and_saveexec_b64 s[0:1], s[20:21]
	s_cbranch_execz .LBB114_50
.LBB114_65:
	s_waitcnt lgkmcnt(2)
	v_add_co_u32_e32 v8, vcc, 0x5000, v28
	s_nop 1
	v_addc_co_u32_e32 v9, vcc, 0, v29, vcc
	s_waitcnt lgkmcnt(1)
	global_store_dwordx2 v[8:9], v[4:5], off offset:2048
	s_or_b64 exec, exec, s[0:1]
	s_and_saveexec_b64 s[0:1], s[22:23]
	s_cbranch_execz .LBB114_51
.LBB114_66:
	s_waitcnt lgkmcnt(1)
	v_add_co_u32_e32 v4, vcc, 0x6000, v28
	s_nop 1
	v_addc_co_u32_e32 v5, vcc, 0, v29, vcc
	global_store_dwordx2 v[4:5], v[6:7], off
	s_or_b64 exec, exec, s[0:1]
	s_and_saveexec_b64 s[0:1], s[24:25]
	s_cbranch_execz .LBB114_52
.LBB114_67:
	s_waitcnt lgkmcnt(1)
	v_add_co_u32_e32 v4, vcc, 0x6000, v28
	s_nop 1
	v_addc_co_u32_e32 v5, vcc, 0, v29, vcc
	s_waitcnt lgkmcnt(0)
	global_store_dwordx2 v[4:5], v[0:1], off offset:2048
	s_or_b64 exec, exec, s[0:1]
	s_and_saveexec_b64 s[0:1], s[26:27]
	s_cbranch_execz .LBB114_53
.LBB114_68:
	s_waitcnt lgkmcnt(0)
	v_add_co_u32_e32 v0, vcc, 0x7000, v28
	s_nop 1
	v_addc_co_u32_e32 v1, vcc, 0, v29, vcc
	global_store_dwordx2 v[0:1], v[2:3], off
	s_endpgm
	.section	.rodata,"a",@progbits
	.p2align	6, 0x0
	.amdhsa_kernel _ZN7rocprim17ROCPRIM_400000_NS6detail17trampoline_kernelINS0_14default_configENS1_20scan_config_selectorIlEEZZNS1_9scan_implILNS1_25lookback_scan_determinismE0ELb0ELb0ES3_PlS8_lN6thrust23THRUST_200600_302600_NS4plusIvEElEEDaPvRmT3_T4_T5_mT6_P12ihipStream_tbENKUlT_T0_E_clISt17integral_constantIbLb1EESQ_EEDaSL_SM_EUlSL_E0_NS1_11comp_targetILNS1_3genE5ELNS1_11target_archE942ELNS1_3gpuE9ELNS1_3repE0EEENS1_30default_config_static_selectorELNS0_4arch9wavefront6targetE1EEEvT1_
		.amdhsa_group_segment_fixed_size 30720
		.amdhsa_private_segment_fixed_size 0
		.amdhsa_kernarg_size 40
		.amdhsa_user_sgpr_count 2
		.amdhsa_user_sgpr_dispatch_ptr 0
		.amdhsa_user_sgpr_queue_ptr 0
		.amdhsa_user_sgpr_kernarg_segment_ptr 1
		.amdhsa_user_sgpr_dispatch_id 0
		.amdhsa_user_sgpr_kernarg_preload_length 0
		.amdhsa_user_sgpr_kernarg_preload_offset 0
		.amdhsa_user_sgpr_private_segment_size 0
		.amdhsa_uses_dynamic_stack 0
		.amdhsa_enable_private_segment 0
		.amdhsa_system_sgpr_workgroup_id_x 1
		.amdhsa_system_sgpr_workgroup_id_y 0
		.amdhsa_system_sgpr_workgroup_id_z 0
		.amdhsa_system_sgpr_workgroup_info 0
		.amdhsa_system_vgpr_workitem_id 0
		.amdhsa_next_free_vgpr 73
		.amdhsa_next_free_sgpr 40
		.amdhsa_accum_offset 76
		.amdhsa_reserve_vcc 1
		.amdhsa_float_round_mode_32 0
		.amdhsa_float_round_mode_16_64 0
		.amdhsa_float_denorm_mode_32 3
		.amdhsa_float_denorm_mode_16_64 3
		.amdhsa_dx10_clamp 1
		.amdhsa_ieee_mode 1
		.amdhsa_fp16_overflow 0
		.amdhsa_tg_split 0
		.amdhsa_exception_fp_ieee_invalid_op 0
		.amdhsa_exception_fp_denorm_src 0
		.amdhsa_exception_fp_ieee_div_zero 0
		.amdhsa_exception_fp_ieee_overflow 0
		.amdhsa_exception_fp_ieee_underflow 0
		.amdhsa_exception_fp_ieee_inexact 0
		.amdhsa_exception_int_div_zero 0
	.end_amdhsa_kernel
	.section	.text._ZN7rocprim17ROCPRIM_400000_NS6detail17trampoline_kernelINS0_14default_configENS1_20scan_config_selectorIlEEZZNS1_9scan_implILNS1_25lookback_scan_determinismE0ELb0ELb0ES3_PlS8_lN6thrust23THRUST_200600_302600_NS4plusIvEElEEDaPvRmT3_T4_T5_mT6_P12ihipStream_tbENKUlT_T0_E_clISt17integral_constantIbLb1EESQ_EEDaSL_SM_EUlSL_E0_NS1_11comp_targetILNS1_3genE5ELNS1_11target_archE942ELNS1_3gpuE9ELNS1_3repE0EEENS1_30default_config_static_selectorELNS0_4arch9wavefront6targetE1EEEvT1_,"axG",@progbits,_ZN7rocprim17ROCPRIM_400000_NS6detail17trampoline_kernelINS0_14default_configENS1_20scan_config_selectorIlEEZZNS1_9scan_implILNS1_25lookback_scan_determinismE0ELb0ELb0ES3_PlS8_lN6thrust23THRUST_200600_302600_NS4plusIvEElEEDaPvRmT3_T4_T5_mT6_P12ihipStream_tbENKUlT_T0_E_clISt17integral_constantIbLb1EESQ_EEDaSL_SM_EUlSL_E0_NS1_11comp_targetILNS1_3genE5ELNS1_11target_archE942ELNS1_3gpuE9ELNS1_3repE0EEENS1_30default_config_static_selectorELNS0_4arch9wavefront6targetE1EEEvT1_,comdat
.Lfunc_end114:
	.size	_ZN7rocprim17ROCPRIM_400000_NS6detail17trampoline_kernelINS0_14default_configENS1_20scan_config_selectorIlEEZZNS1_9scan_implILNS1_25lookback_scan_determinismE0ELb0ELb0ES3_PlS8_lN6thrust23THRUST_200600_302600_NS4plusIvEElEEDaPvRmT3_T4_T5_mT6_P12ihipStream_tbENKUlT_T0_E_clISt17integral_constantIbLb1EESQ_EEDaSL_SM_EUlSL_E0_NS1_11comp_targetILNS1_3genE5ELNS1_11target_archE942ELNS1_3gpuE9ELNS1_3repE0EEENS1_30default_config_static_selectorELNS0_4arch9wavefront6targetE1EEEvT1_, .Lfunc_end114-_ZN7rocprim17ROCPRIM_400000_NS6detail17trampoline_kernelINS0_14default_configENS1_20scan_config_selectorIlEEZZNS1_9scan_implILNS1_25lookback_scan_determinismE0ELb0ELb0ES3_PlS8_lN6thrust23THRUST_200600_302600_NS4plusIvEElEEDaPvRmT3_T4_T5_mT6_P12ihipStream_tbENKUlT_T0_E_clISt17integral_constantIbLb1EESQ_EEDaSL_SM_EUlSL_E0_NS1_11comp_targetILNS1_3genE5ELNS1_11target_archE942ELNS1_3gpuE9ELNS1_3repE0EEENS1_30default_config_static_selectorELNS0_4arch9wavefront6targetE1EEEvT1_
                                        ; -- End function
	.section	.AMDGPU.csdata,"",@progbits
; Kernel info:
; codeLenInByte = 2804
; NumSgprs: 46
; NumVgprs: 73
; NumAgprs: 0
; TotalNumVgprs: 73
; ScratchSize: 0
; MemoryBound: 0
; FloatMode: 240
; IeeeMode: 1
; LDSByteSize: 30720 bytes/workgroup (compile time only)
; SGPRBlocks: 5
; VGPRBlocks: 9
; NumSGPRsForWavesPerEU: 46
; NumVGPRsForWavesPerEU: 73
; AccumOffset: 76
; Occupancy: 2
; WaveLimiterHint : 0
; COMPUTE_PGM_RSRC2:SCRATCH_EN: 0
; COMPUTE_PGM_RSRC2:USER_SGPR: 2
; COMPUTE_PGM_RSRC2:TRAP_HANDLER: 0
; COMPUTE_PGM_RSRC2:TGID_X_EN: 1
; COMPUTE_PGM_RSRC2:TGID_Y_EN: 0
; COMPUTE_PGM_RSRC2:TGID_Z_EN: 0
; COMPUTE_PGM_RSRC2:TIDIG_COMP_CNT: 0
; COMPUTE_PGM_RSRC3_GFX90A:ACCUM_OFFSET: 18
; COMPUTE_PGM_RSRC3_GFX90A:TG_SPLIT: 0
	.section	.text._ZN7rocprim17ROCPRIM_400000_NS6detail17trampoline_kernelINS0_14default_configENS1_20scan_config_selectorIlEEZZNS1_9scan_implILNS1_25lookback_scan_determinismE0ELb0ELb0ES3_PlS8_lN6thrust23THRUST_200600_302600_NS4plusIvEElEEDaPvRmT3_T4_T5_mT6_P12ihipStream_tbENKUlT_T0_E_clISt17integral_constantIbLb1EESQ_EEDaSL_SM_EUlSL_E0_NS1_11comp_targetILNS1_3genE4ELNS1_11target_archE910ELNS1_3gpuE8ELNS1_3repE0EEENS1_30default_config_static_selectorELNS0_4arch9wavefront6targetE1EEEvT1_,"axG",@progbits,_ZN7rocprim17ROCPRIM_400000_NS6detail17trampoline_kernelINS0_14default_configENS1_20scan_config_selectorIlEEZZNS1_9scan_implILNS1_25lookback_scan_determinismE0ELb0ELb0ES3_PlS8_lN6thrust23THRUST_200600_302600_NS4plusIvEElEEDaPvRmT3_T4_T5_mT6_P12ihipStream_tbENKUlT_T0_E_clISt17integral_constantIbLb1EESQ_EEDaSL_SM_EUlSL_E0_NS1_11comp_targetILNS1_3genE4ELNS1_11target_archE910ELNS1_3gpuE8ELNS1_3repE0EEENS1_30default_config_static_selectorELNS0_4arch9wavefront6targetE1EEEvT1_,comdat
	.protected	_ZN7rocprim17ROCPRIM_400000_NS6detail17trampoline_kernelINS0_14default_configENS1_20scan_config_selectorIlEEZZNS1_9scan_implILNS1_25lookback_scan_determinismE0ELb0ELb0ES3_PlS8_lN6thrust23THRUST_200600_302600_NS4plusIvEElEEDaPvRmT3_T4_T5_mT6_P12ihipStream_tbENKUlT_T0_E_clISt17integral_constantIbLb1EESQ_EEDaSL_SM_EUlSL_E0_NS1_11comp_targetILNS1_3genE4ELNS1_11target_archE910ELNS1_3gpuE8ELNS1_3repE0EEENS1_30default_config_static_selectorELNS0_4arch9wavefront6targetE1EEEvT1_ ; -- Begin function _ZN7rocprim17ROCPRIM_400000_NS6detail17trampoline_kernelINS0_14default_configENS1_20scan_config_selectorIlEEZZNS1_9scan_implILNS1_25lookback_scan_determinismE0ELb0ELb0ES3_PlS8_lN6thrust23THRUST_200600_302600_NS4plusIvEElEEDaPvRmT3_T4_T5_mT6_P12ihipStream_tbENKUlT_T0_E_clISt17integral_constantIbLb1EESQ_EEDaSL_SM_EUlSL_E0_NS1_11comp_targetILNS1_3genE4ELNS1_11target_archE910ELNS1_3gpuE8ELNS1_3repE0EEENS1_30default_config_static_selectorELNS0_4arch9wavefront6targetE1EEEvT1_
	.globl	_ZN7rocprim17ROCPRIM_400000_NS6detail17trampoline_kernelINS0_14default_configENS1_20scan_config_selectorIlEEZZNS1_9scan_implILNS1_25lookback_scan_determinismE0ELb0ELb0ES3_PlS8_lN6thrust23THRUST_200600_302600_NS4plusIvEElEEDaPvRmT3_T4_T5_mT6_P12ihipStream_tbENKUlT_T0_E_clISt17integral_constantIbLb1EESQ_EEDaSL_SM_EUlSL_E0_NS1_11comp_targetILNS1_3genE4ELNS1_11target_archE910ELNS1_3gpuE8ELNS1_3repE0EEENS1_30default_config_static_selectorELNS0_4arch9wavefront6targetE1EEEvT1_
	.p2align	8
	.type	_ZN7rocprim17ROCPRIM_400000_NS6detail17trampoline_kernelINS0_14default_configENS1_20scan_config_selectorIlEEZZNS1_9scan_implILNS1_25lookback_scan_determinismE0ELb0ELb0ES3_PlS8_lN6thrust23THRUST_200600_302600_NS4plusIvEElEEDaPvRmT3_T4_T5_mT6_P12ihipStream_tbENKUlT_T0_E_clISt17integral_constantIbLb1EESQ_EEDaSL_SM_EUlSL_E0_NS1_11comp_targetILNS1_3genE4ELNS1_11target_archE910ELNS1_3gpuE8ELNS1_3repE0EEENS1_30default_config_static_selectorELNS0_4arch9wavefront6targetE1EEEvT1_,@function
_ZN7rocprim17ROCPRIM_400000_NS6detail17trampoline_kernelINS0_14default_configENS1_20scan_config_selectorIlEEZZNS1_9scan_implILNS1_25lookback_scan_determinismE0ELb0ELb0ES3_PlS8_lN6thrust23THRUST_200600_302600_NS4plusIvEElEEDaPvRmT3_T4_T5_mT6_P12ihipStream_tbENKUlT_T0_E_clISt17integral_constantIbLb1EESQ_EEDaSL_SM_EUlSL_E0_NS1_11comp_targetILNS1_3genE4ELNS1_11target_archE910ELNS1_3gpuE8ELNS1_3repE0EEENS1_30default_config_static_selectorELNS0_4arch9wavefront6targetE1EEEvT1_: ; @_ZN7rocprim17ROCPRIM_400000_NS6detail17trampoline_kernelINS0_14default_configENS1_20scan_config_selectorIlEEZZNS1_9scan_implILNS1_25lookback_scan_determinismE0ELb0ELb0ES3_PlS8_lN6thrust23THRUST_200600_302600_NS4plusIvEElEEDaPvRmT3_T4_T5_mT6_P12ihipStream_tbENKUlT_T0_E_clISt17integral_constantIbLb1EESQ_EEDaSL_SM_EUlSL_E0_NS1_11comp_targetILNS1_3genE4ELNS1_11target_archE910ELNS1_3gpuE8ELNS1_3repE0EEENS1_30default_config_static_selectorELNS0_4arch9wavefront6targetE1EEEvT1_
; %bb.0:
	.section	.rodata,"a",@progbits
	.p2align	6, 0x0
	.amdhsa_kernel _ZN7rocprim17ROCPRIM_400000_NS6detail17trampoline_kernelINS0_14default_configENS1_20scan_config_selectorIlEEZZNS1_9scan_implILNS1_25lookback_scan_determinismE0ELb0ELb0ES3_PlS8_lN6thrust23THRUST_200600_302600_NS4plusIvEElEEDaPvRmT3_T4_T5_mT6_P12ihipStream_tbENKUlT_T0_E_clISt17integral_constantIbLb1EESQ_EEDaSL_SM_EUlSL_E0_NS1_11comp_targetILNS1_3genE4ELNS1_11target_archE910ELNS1_3gpuE8ELNS1_3repE0EEENS1_30default_config_static_selectorELNS0_4arch9wavefront6targetE1EEEvT1_
		.amdhsa_group_segment_fixed_size 0
		.amdhsa_private_segment_fixed_size 0
		.amdhsa_kernarg_size 40
		.amdhsa_user_sgpr_count 2
		.amdhsa_user_sgpr_dispatch_ptr 0
		.amdhsa_user_sgpr_queue_ptr 0
		.amdhsa_user_sgpr_kernarg_segment_ptr 1
		.amdhsa_user_sgpr_dispatch_id 0
		.amdhsa_user_sgpr_kernarg_preload_length 0
		.amdhsa_user_sgpr_kernarg_preload_offset 0
		.amdhsa_user_sgpr_private_segment_size 0
		.amdhsa_uses_dynamic_stack 0
		.amdhsa_enable_private_segment 0
		.amdhsa_system_sgpr_workgroup_id_x 1
		.amdhsa_system_sgpr_workgroup_id_y 0
		.amdhsa_system_sgpr_workgroup_id_z 0
		.amdhsa_system_sgpr_workgroup_info 0
		.amdhsa_system_vgpr_workitem_id 0
		.amdhsa_next_free_vgpr 1
		.amdhsa_next_free_sgpr 0
		.amdhsa_accum_offset 4
		.amdhsa_reserve_vcc 0
		.amdhsa_float_round_mode_32 0
		.amdhsa_float_round_mode_16_64 0
		.amdhsa_float_denorm_mode_32 3
		.amdhsa_float_denorm_mode_16_64 3
		.amdhsa_dx10_clamp 1
		.amdhsa_ieee_mode 1
		.amdhsa_fp16_overflow 0
		.amdhsa_tg_split 0
		.amdhsa_exception_fp_ieee_invalid_op 0
		.amdhsa_exception_fp_denorm_src 0
		.amdhsa_exception_fp_ieee_div_zero 0
		.amdhsa_exception_fp_ieee_overflow 0
		.amdhsa_exception_fp_ieee_underflow 0
		.amdhsa_exception_fp_ieee_inexact 0
		.amdhsa_exception_int_div_zero 0
	.end_amdhsa_kernel
	.section	.text._ZN7rocprim17ROCPRIM_400000_NS6detail17trampoline_kernelINS0_14default_configENS1_20scan_config_selectorIlEEZZNS1_9scan_implILNS1_25lookback_scan_determinismE0ELb0ELb0ES3_PlS8_lN6thrust23THRUST_200600_302600_NS4plusIvEElEEDaPvRmT3_T4_T5_mT6_P12ihipStream_tbENKUlT_T0_E_clISt17integral_constantIbLb1EESQ_EEDaSL_SM_EUlSL_E0_NS1_11comp_targetILNS1_3genE4ELNS1_11target_archE910ELNS1_3gpuE8ELNS1_3repE0EEENS1_30default_config_static_selectorELNS0_4arch9wavefront6targetE1EEEvT1_,"axG",@progbits,_ZN7rocprim17ROCPRIM_400000_NS6detail17trampoline_kernelINS0_14default_configENS1_20scan_config_selectorIlEEZZNS1_9scan_implILNS1_25lookback_scan_determinismE0ELb0ELb0ES3_PlS8_lN6thrust23THRUST_200600_302600_NS4plusIvEElEEDaPvRmT3_T4_T5_mT6_P12ihipStream_tbENKUlT_T0_E_clISt17integral_constantIbLb1EESQ_EEDaSL_SM_EUlSL_E0_NS1_11comp_targetILNS1_3genE4ELNS1_11target_archE910ELNS1_3gpuE8ELNS1_3repE0EEENS1_30default_config_static_selectorELNS0_4arch9wavefront6targetE1EEEvT1_,comdat
.Lfunc_end115:
	.size	_ZN7rocprim17ROCPRIM_400000_NS6detail17trampoline_kernelINS0_14default_configENS1_20scan_config_selectorIlEEZZNS1_9scan_implILNS1_25lookback_scan_determinismE0ELb0ELb0ES3_PlS8_lN6thrust23THRUST_200600_302600_NS4plusIvEElEEDaPvRmT3_T4_T5_mT6_P12ihipStream_tbENKUlT_T0_E_clISt17integral_constantIbLb1EESQ_EEDaSL_SM_EUlSL_E0_NS1_11comp_targetILNS1_3genE4ELNS1_11target_archE910ELNS1_3gpuE8ELNS1_3repE0EEENS1_30default_config_static_selectorELNS0_4arch9wavefront6targetE1EEEvT1_, .Lfunc_end115-_ZN7rocprim17ROCPRIM_400000_NS6detail17trampoline_kernelINS0_14default_configENS1_20scan_config_selectorIlEEZZNS1_9scan_implILNS1_25lookback_scan_determinismE0ELb0ELb0ES3_PlS8_lN6thrust23THRUST_200600_302600_NS4plusIvEElEEDaPvRmT3_T4_T5_mT6_P12ihipStream_tbENKUlT_T0_E_clISt17integral_constantIbLb1EESQ_EEDaSL_SM_EUlSL_E0_NS1_11comp_targetILNS1_3genE4ELNS1_11target_archE910ELNS1_3gpuE8ELNS1_3repE0EEENS1_30default_config_static_selectorELNS0_4arch9wavefront6targetE1EEEvT1_
                                        ; -- End function
	.section	.AMDGPU.csdata,"",@progbits
; Kernel info:
; codeLenInByte = 0
; NumSgprs: 6
; NumVgprs: 0
; NumAgprs: 0
; TotalNumVgprs: 0
; ScratchSize: 0
; MemoryBound: 0
; FloatMode: 240
; IeeeMode: 1
; LDSByteSize: 0 bytes/workgroup (compile time only)
; SGPRBlocks: 0
; VGPRBlocks: 0
; NumSGPRsForWavesPerEU: 6
; NumVGPRsForWavesPerEU: 1
; AccumOffset: 4
; Occupancy: 8
; WaveLimiterHint : 0
; COMPUTE_PGM_RSRC2:SCRATCH_EN: 0
; COMPUTE_PGM_RSRC2:USER_SGPR: 2
; COMPUTE_PGM_RSRC2:TRAP_HANDLER: 0
; COMPUTE_PGM_RSRC2:TGID_X_EN: 1
; COMPUTE_PGM_RSRC2:TGID_Y_EN: 0
; COMPUTE_PGM_RSRC2:TGID_Z_EN: 0
; COMPUTE_PGM_RSRC2:TIDIG_COMP_CNT: 0
; COMPUTE_PGM_RSRC3_GFX90A:ACCUM_OFFSET: 0
; COMPUTE_PGM_RSRC3_GFX90A:TG_SPLIT: 0
	.section	.text._ZN7rocprim17ROCPRIM_400000_NS6detail17trampoline_kernelINS0_14default_configENS1_20scan_config_selectorIlEEZZNS1_9scan_implILNS1_25lookback_scan_determinismE0ELb0ELb0ES3_PlS8_lN6thrust23THRUST_200600_302600_NS4plusIvEElEEDaPvRmT3_T4_T5_mT6_P12ihipStream_tbENKUlT_T0_E_clISt17integral_constantIbLb1EESQ_EEDaSL_SM_EUlSL_E0_NS1_11comp_targetILNS1_3genE3ELNS1_11target_archE908ELNS1_3gpuE7ELNS1_3repE0EEENS1_30default_config_static_selectorELNS0_4arch9wavefront6targetE1EEEvT1_,"axG",@progbits,_ZN7rocprim17ROCPRIM_400000_NS6detail17trampoline_kernelINS0_14default_configENS1_20scan_config_selectorIlEEZZNS1_9scan_implILNS1_25lookback_scan_determinismE0ELb0ELb0ES3_PlS8_lN6thrust23THRUST_200600_302600_NS4plusIvEElEEDaPvRmT3_T4_T5_mT6_P12ihipStream_tbENKUlT_T0_E_clISt17integral_constantIbLb1EESQ_EEDaSL_SM_EUlSL_E0_NS1_11comp_targetILNS1_3genE3ELNS1_11target_archE908ELNS1_3gpuE7ELNS1_3repE0EEENS1_30default_config_static_selectorELNS0_4arch9wavefront6targetE1EEEvT1_,comdat
	.protected	_ZN7rocprim17ROCPRIM_400000_NS6detail17trampoline_kernelINS0_14default_configENS1_20scan_config_selectorIlEEZZNS1_9scan_implILNS1_25lookback_scan_determinismE0ELb0ELb0ES3_PlS8_lN6thrust23THRUST_200600_302600_NS4plusIvEElEEDaPvRmT3_T4_T5_mT6_P12ihipStream_tbENKUlT_T0_E_clISt17integral_constantIbLb1EESQ_EEDaSL_SM_EUlSL_E0_NS1_11comp_targetILNS1_3genE3ELNS1_11target_archE908ELNS1_3gpuE7ELNS1_3repE0EEENS1_30default_config_static_selectorELNS0_4arch9wavefront6targetE1EEEvT1_ ; -- Begin function _ZN7rocprim17ROCPRIM_400000_NS6detail17trampoline_kernelINS0_14default_configENS1_20scan_config_selectorIlEEZZNS1_9scan_implILNS1_25lookback_scan_determinismE0ELb0ELb0ES3_PlS8_lN6thrust23THRUST_200600_302600_NS4plusIvEElEEDaPvRmT3_T4_T5_mT6_P12ihipStream_tbENKUlT_T0_E_clISt17integral_constantIbLb1EESQ_EEDaSL_SM_EUlSL_E0_NS1_11comp_targetILNS1_3genE3ELNS1_11target_archE908ELNS1_3gpuE7ELNS1_3repE0EEENS1_30default_config_static_selectorELNS0_4arch9wavefront6targetE1EEEvT1_
	.globl	_ZN7rocprim17ROCPRIM_400000_NS6detail17trampoline_kernelINS0_14default_configENS1_20scan_config_selectorIlEEZZNS1_9scan_implILNS1_25lookback_scan_determinismE0ELb0ELb0ES3_PlS8_lN6thrust23THRUST_200600_302600_NS4plusIvEElEEDaPvRmT3_T4_T5_mT6_P12ihipStream_tbENKUlT_T0_E_clISt17integral_constantIbLb1EESQ_EEDaSL_SM_EUlSL_E0_NS1_11comp_targetILNS1_3genE3ELNS1_11target_archE908ELNS1_3gpuE7ELNS1_3repE0EEENS1_30default_config_static_selectorELNS0_4arch9wavefront6targetE1EEEvT1_
	.p2align	8
	.type	_ZN7rocprim17ROCPRIM_400000_NS6detail17trampoline_kernelINS0_14default_configENS1_20scan_config_selectorIlEEZZNS1_9scan_implILNS1_25lookback_scan_determinismE0ELb0ELb0ES3_PlS8_lN6thrust23THRUST_200600_302600_NS4plusIvEElEEDaPvRmT3_T4_T5_mT6_P12ihipStream_tbENKUlT_T0_E_clISt17integral_constantIbLb1EESQ_EEDaSL_SM_EUlSL_E0_NS1_11comp_targetILNS1_3genE3ELNS1_11target_archE908ELNS1_3gpuE7ELNS1_3repE0EEENS1_30default_config_static_selectorELNS0_4arch9wavefront6targetE1EEEvT1_,@function
_ZN7rocprim17ROCPRIM_400000_NS6detail17trampoline_kernelINS0_14default_configENS1_20scan_config_selectorIlEEZZNS1_9scan_implILNS1_25lookback_scan_determinismE0ELb0ELb0ES3_PlS8_lN6thrust23THRUST_200600_302600_NS4plusIvEElEEDaPvRmT3_T4_T5_mT6_P12ihipStream_tbENKUlT_T0_E_clISt17integral_constantIbLb1EESQ_EEDaSL_SM_EUlSL_E0_NS1_11comp_targetILNS1_3genE3ELNS1_11target_archE908ELNS1_3gpuE7ELNS1_3repE0EEENS1_30default_config_static_selectorELNS0_4arch9wavefront6targetE1EEEvT1_: ; @_ZN7rocprim17ROCPRIM_400000_NS6detail17trampoline_kernelINS0_14default_configENS1_20scan_config_selectorIlEEZZNS1_9scan_implILNS1_25lookback_scan_determinismE0ELb0ELb0ES3_PlS8_lN6thrust23THRUST_200600_302600_NS4plusIvEElEEDaPvRmT3_T4_T5_mT6_P12ihipStream_tbENKUlT_T0_E_clISt17integral_constantIbLb1EESQ_EEDaSL_SM_EUlSL_E0_NS1_11comp_targetILNS1_3genE3ELNS1_11target_archE908ELNS1_3gpuE7ELNS1_3repE0EEENS1_30default_config_static_selectorELNS0_4arch9wavefront6targetE1EEEvT1_
; %bb.0:
	.section	.rodata,"a",@progbits
	.p2align	6, 0x0
	.amdhsa_kernel _ZN7rocprim17ROCPRIM_400000_NS6detail17trampoline_kernelINS0_14default_configENS1_20scan_config_selectorIlEEZZNS1_9scan_implILNS1_25lookback_scan_determinismE0ELb0ELb0ES3_PlS8_lN6thrust23THRUST_200600_302600_NS4plusIvEElEEDaPvRmT3_T4_T5_mT6_P12ihipStream_tbENKUlT_T0_E_clISt17integral_constantIbLb1EESQ_EEDaSL_SM_EUlSL_E0_NS1_11comp_targetILNS1_3genE3ELNS1_11target_archE908ELNS1_3gpuE7ELNS1_3repE0EEENS1_30default_config_static_selectorELNS0_4arch9wavefront6targetE1EEEvT1_
		.amdhsa_group_segment_fixed_size 0
		.amdhsa_private_segment_fixed_size 0
		.amdhsa_kernarg_size 40
		.amdhsa_user_sgpr_count 2
		.amdhsa_user_sgpr_dispatch_ptr 0
		.amdhsa_user_sgpr_queue_ptr 0
		.amdhsa_user_sgpr_kernarg_segment_ptr 1
		.amdhsa_user_sgpr_dispatch_id 0
		.amdhsa_user_sgpr_kernarg_preload_length 0
		.amdhsa_user_sgpr_kernarg_preload_offset 0
		.amdhsa_user_sgpr_private_segment_size 0
		.amdhsa_uses_dynamic_stack 0
		.amdhsa_enable_private_segment 0
		.amdhsa_system_sgpr_workgroup_id_x 1
		.amdhsa_system_sgpr_workgroup_id_y 0
		.amdhsa_system_sgpr_workgroup_id_z 0
		.amdhsa_system_sgpr_workgroup_info 0
		.amdhsa_system_vgpr_workitem_id 0
		.amdhsa_next_free_vgpr 1
		.amdhsa_next_free_sgpr 0
		.amdhsa_accum_offset 4
		.amdhsa_reserve_vcc 0
		.amdhsa_float_round_mode_32 0
		.amdhsa_float_round_mode_16_64 0
		.amdhsa_float_denorm_mode_32 3
		.amdhsa_float_denorm_mode_16_64 3
		.amdhsa_dx10_clamp 1
		.amdhsa_ieee_mode 1
		.amdhsa_fp16_overflow 0
		.amdhsa_tg_split 0
		.amdhsa_exception_fp_ieee_invalid_op 0
		.amdhsa_exception_fp_denorm_src 0
		.amdhsa_exception_fp_ieee_div_zero 0
		.amdhsa_exception_fp_ieee_overflow 0
		.amdhsa_exception_fp_ieee_underflow 0
		.amdhsa_exception_fp_ieee_inexact 0
		.amdhsa_exception_int_div_zero 0
	.end_amdhsa_kernel
	.section	.text._ZN7rocprim17ROCPRIM_400000_NS6detail17trampoline_kernelINS0_14default_configENS1_20scan_config_selectorIlEEZZNS1_9scan_implILNS1_25lookback_scan_determinismE0ELb0ELb0ES3_PlS8_lN6thrust23THRUST_200600_302600_NS4plusIvEElEEDaPvRmT3_T4_T5_mT6_P12ihipStream_tbENKUlT_T0_E_clISt17integral_constantIbLb1EESQ_EEDaSL_SM_EUlSL_E0_NS1_11comp_targetILNS1_3genE3ELNS1_11target_archE908ELNS1_3gpuE7ELNS1_3repE0EEENS1_30default_config_static_selectorELNS0_4arch9wavefront6targetE1EEEvT1_,"axG",@progbits,_ZN7rocprim17ROCPRIM_400000_NS6detail17trampoline_kernelINS0_14default_configENS1_20scan_config_selectorIlEEZZNS1_9scan_implILNS1_25lookback_scan_determinismE0ELb0ELb0ES3_PlS8_lN6thrust23THRUST_200600_302600_NS4plusIvEElEEDaPvRmT3_T4_T5_mT6_P12ihipStream_tbENKUlT_T0_E_clISt17integral_constantIbLb1EESQ_EEDaSL_SM_EUlSL_E0_NS1_11comp_targetILNS1_3genE3ELNS1_11target_archE908ELNS1_3gpuE7ELNS1_3repE0EEENS1_30default_config_static_selectorELNS0_4arch9wavefront6targetE1EEEvT1_,comdat
.Lfunc_end116:
	.size	_ZN7rocprim17ROCPRIM_400000_NS6detail17trampoline_kernelINS0_14default_configENS1_20scan_config_selectorIlEEZZNS1_9scan_implILNS1_25lookback_scan_determinismE0ELb0ELb0ES3_PlS8_lN6thrust23THRUST_200600_302600_NS4plusIvEElEEDaPvRmT3_T4_T5_mT6_P12ihipStream_tbENKUlT_T0_E_clISt17integral_constantIbLb1EESQ_EEDaSL_SM_EUlSL_E0_NS1_11comp_targetILNS1_3genE3ELNS1_11target_archE908ELNS1_3gpuE7ELNS1_3repE0EEENS1_30default_config_static_selectorELNS0_4arch9wavefront6targetE1EEEvT1_, .Lfunc_end116-_ZN7rocprim17ROCPRIM_400000_NS6detail17trampoline_kernelINS0_14default_configENS1_20scan_config_selectorIlEEZZNS1_9scan_implILNS1_25lookback_scan_determinismE0ELb0ELb0ES3_PlS8_lN6thrust23THRUST_200600_302600_NS4plusIvEElEEDaPvRmT3_T4_T5_mT6_P12ihipStream_tbENKUlT_T0_E_clISt17integral_constantIbLb1EESQ_EEDaSL_SM_EUlSL_E0_NS1_11comp_targetILNS1_3genE3ELNS1_11target_archE908ELNS1_3gpuE7ELNS1_3repE0EEENS1_30default_config_static_selectorELNS0_4arch9wavefront6targetE1EEEvT1_
                                        ; -- End function
	.section	.AMDGPU.csdata,"",@progbits
; Kernel info:
; codeLenInByte = 0
; NumSgprs: 6
; NumVgprs: 0
; NumAgprs: 0
; TotalNumVgprs: 0
; ScratchSize: 0
; MemoryBound: 0
; FloatMode: 240
; IeeeMode: 1
; LDSByteSize: 0 bytes/workgroup (compile time only)
; SGPRBlocks: 0
; VGPRBlocks: 0
; NumSGPRsForWavesPerEU: 6
; NumVGPRsForWavesPerEU: 1
; AccumOffset: 4
; Occupancy: 8
; WaveLimiterHint : 0
; COMPUTE_PGM_RSRC2:SCRATCH_EN: 0
; COMPUTE_PGM_RSRC2:USER_SGPR: 2
; COMPUTE_PGM_RSRC2:TRAP_HANDLER: 0
; COMPUTE_PGM_RSRC2:TGID_X_EN: 1
; COMPUTE_PGM_RSRC2:TGID_Y_EN: 0
; COMPUTE_PGM_RSRC2:TGID_Z_EN: 0
; COMPUTE_PGM_RSRC2:TIDIG_COMP_CNT: 0
; COMPUTE_PGM_RSRC3_GFX90A:ACCUM_OFFSET: 0
; COMPUTE_PGM_RSRC3_GFX90A:TG_SPLIT: 0
	.section	.text._ZN7rocprim17ROCPRIM_400000_NS6detail17trampoline_kernelINS0_14default_configENS1_20scan_config_selectorIlEEZZNS1_9scan_implILNS1_25lookback_scan_determinismE0ELb0ELb0ES3_PlS8_lN6thrust23THRUST_200600_302600_NS4plusIvEElEEDaPvRmT3_T4_T5_mT6_P12ihipStream_tbENKUlT_T0_E_clISt17integral_constantIbLb1EESQ_EEDaSL_SM_EUlSL_E0_NS1_11comp_targetILNS1_3genE2ELNS1_11target_archE906ELNS1_3gpuE6ELNS1_3repE0EEENS1_30default_config_static_selectorELNS0_4arch9wavefront6targetE1EEEvT1_,"axG",@progbits,_ZN7rocprim17ROCPRIM_400000_NS6detail17trampoline_kernelINS0_14default_configENS1_20scan_config_selectorIlEEZZNS1_9scan_implILNS1_25lookback_scan_determinismE0ELb0ELb0ES3_PlS8_lN6thrust23THRUST_200600_302600_NS4plusIvEElEEDaPvRmT3_T4_T5_mT6_P12ihipStream_tbENKUlT_T0_E_clISt17integral_constantIbLb1EESQ_EEDaSL_SM_EUlSL_E0_NS1_11comp_targetILNS1_3genE2ELNS1_11target_archE906ELNS1_3gpuE6ELNS1_3repE0EEENS1_30default_config_static_selectorELNS0_4arch9wavefront6targetE1EEEvT1_,comdat
	.protected	_ZN7rocprim17ROCPRIM_400000_NS6detail17trampoline_kernelINS0_14default_configENS1_20scan_config_selectorIlEEZZNS1_9scan_implILNS1_25lookback_scan_determinismE0ELb0ELb0ES3_PlS8_lN6thrust23THRUST_200600_302600_NS4plusIvEElEEDaPvRmT3_T4_T5_mT6_P12ihipStream_tbENKUlT_T0_E_clISt17integral_constantIbLb1EESQ_EEDaSL_SM_EUlSL_E0_NS1_11comp_targetILNS1_3genE2ELNS1_11target_archE906ELNS1_3gpuE6ELNS1_3repE0EEENS1_30default_config_static_selectorELNS0_4arch9wavefront6targetE1EEEvT1_ ; -- Begin function _ZN7rocprim17ROCPRIM_400000_NS6detail17trampoline_kernelINS0_14default_configENS1_20scan_config_selectorIlEEZZNS1_9scan_implILNS1_25lookback_scan_determinismE0ELb0ELb0ES3_PlS8_lN6thrust23THRUST_200600_302600_NS4plusIvEElEEDaPvRmT3_T4_T5_mT6_P12ihipStream_tbENKUlT_T0_E_clISt17integral_constantIbLb1EESQ_EEDaSL_SM_EUlSL_E0_NS1_11comp_targetILNS1_3genE2ELNS1_11target_archE906ELNS1_3gpuE6ELNS1_3repE0EEENS1_30default_config_static_selectorELNS0_4arch9wavefront6targetE1EEEvT1_
	.globl	_ZN7rocprim17ROCPRIM_400000_NS6detail17trampoline_kernelINS0_14default_configENS1_20scan_config_selectorIlEEZZNS1_9scan_implILNS1_25lookback_scan_determinismE0ELb0ELb0ES3_PlS8_lN6thrust23THRUST_200600_302600_NS4plusIvEElEEDaPvRmT3_T4_T5_mT6_P12ihipStream_tbENKUlT_T0_E_clISt17integral_constantIbLb1EESQ_EEDaSL_SM_EUlSL_E0_NS1_11comp_targetILNS1_3genE2ELNS1_11target_archE906ELNS1_3gpuE6ELNS1_3repE0EEENS1_30default_config_static_selectorELNS0_4arch9wavefront6targetE1EEEvT1_
	.p2align	8
	.type	_ZN7rocprim17ROCPRIM_400000_NS6detail17trampoline_kernelINS0_14default_configENS1_20scan_config_selectorIlEEZZNS1_9scan_implILNS1_25lookback_scan_determinismE0ELb0ELb0ES3_PlS8_lN6thrust23THRUST_200600_302600_NS4plusIvEElEEDaPvRmT3_T4_T5_mT6_P12ihipStream_tbENKUlT_T0_E_clISt17integral_constantIbLb1EESQ_EEDaSL_SM_EUlSL_E0_NS1_11comp_targetILNS1_3genE2ELNS1_11target_archE906ELNS1_3gpuE6ELNS1_3repE0EEENS1_30default_config_static_selectorELNS0_4arch9wavefront6targetE1EEEvT1_,@function
_ZN7rocprim17ROCPRIM_400000_NS6detail17trampoline_kernelINS0_14default_configENS1_20scan_config_selectorIlEEZZNS1_9scan_implILNS1_25lookback_scan_determinismE0ELb0ELb0ES3_PlS8_lN6thrust23THRUST_200600_302600_NS4plusIvEElEEDaPvRmT3_T4_T5_mT6_P12ihipStream_tbENKUlT_T0_E_clISt17integral_constantIbLb1EESQ_EEDaSL_SM_EUlSL_E0_NS1_11comp_targetILNS1_3genE2ELNS1_11target_archE906ELNS1_3gpuE6ELNS1_3repE0EEENS1_30default_config_static_selectorELNS0_4arch9wavefront6targetE1EEEvT1_: ; @_ZN7rocprim17ROCPRIM_400000_NS6detail17trampoline_kernelINS0_14default_configENS1_20scan_config_selectorIlEEZZNS1_9scan_implILNS1_25lookback_scan_determinismE0ELb0ELb0ES3_PlS8_lN6thrust23THRUST_200600_302600_NS4plusIvEElEEDaPvRmT3_T4_T5_mT6_P12ihipStream_tbENKUlT_T0_E_clISt17integral_constantIbLb1EESQ_EEDaSL_SM_EUlSL_E0_NS1_11comp_targetILNS1_3genE2ELNS1_11target_archE906ELNS1_3gpuE6ELNS1_3repE0EEENS1_30default_config_static_selectorELNS0_4arch9wavefront6targetE1EEEvT1_
; %bb.0:
	.section	.rodata,"a",@progbits
	.p2align	6, 0x0
	.amdhsa_kernel _ZN7rocprim17ROCPRIM_400000_NS6detail17trampoline_kernelINS0_14default_configENS1_20scan_config_selectorIlEEZZNS1_9scan_implILNS1_25lookback_scan_determinismE0ELb0ELb0ES3_PlS8_lN6thrust23THRUST_200600_302600_NS4plusIvEElEEDaPvRmT3_T4_T5_mT6_P12ihipStream_tbENKUlT_T0_E_clISt17integral_constantIbLb1EESQ_EEDaSL_SM_EUlSL_E0_NS1_11comp_targetILNS1_3genE2ELNS1_11target_archE906ELNS1_3gpuE6ELNS1_3repE0EEENS1_30default_config_static_selectorELNS0_4arch9wavefront6targetE1EEEvT1_
		.amdhsa_group_segment_fixed_size 0
		.amdhsa_private_segment_fixed_size 0
		.amdhsa_kernarg_size 40
		.amdhsa_user_sgpr_count 2
		.amdhsa_user_sgpr_dispatch_ptr 0
		.amdhsa_user_sgpr_queue_ptr 0
		.amdhsa_user_sgpr_kernarg_segment_ptr 1
		.amdhsa_user_sgpr_dispatch_id 0
		.amdhsa_user_sgpr_kernarg_preload_length 0
		.amdhsa_user_sgpr_kernarg_preload_offset 0
		.amdhsa_user_sgpr_private_segment_size 0
		.amdhsa_uses_dynamic_stack 0
		.amdhsa_enable_private_segment 0
		.amdhsa_system_sgpr_workgroup_id_x 1
		.amdhsa_system_sgpr_workgroup_id_y 0
		.amdhsa_system_sgpr_workgroup_id_z 0
		.amdhsa_system_sgpr_workgroup_info 0
		.amdhsa_system_vgpr_workitem_id 0
		.amdhsa_next_free_vgpr 1
		.amdhsa_next_free_sgpr 0
		.amdhsa_accum_offset 4
		.amdhsa_reserve_vcc 0
		.amdhsa_float_round_mode_32 0
		.amdhsa_float_round_mode_16_64 0
		.amdhsa_float_denorm_mode_32 3
		.amdhsa_float_denorm_mode_16_64 3
		.amdhsa_dx10_clamp 1
		.amdhsa_ieee_mode 1
		.amdhsa_fp16_overflow 0
		.amdhsa_tg_split 0
		.amdhsa_exception_fp_ieee_invalid_op 0
		.amdhsa_exception_fp_denorm_src 0
		.amdhsa_exception_fp_ieee_div_zero 0
		.amdhsa_exception_fp_ieee_overflow 0
		.amdhsa_exception_fp_ieee_underflow 0
		.amdhsa_exception_fp_ieee_inexact 0
		.amdhsa_exception_int_div_zero 0
	.end_amdhsa_kernel
	.section	.text._ZN7rocprim17ROCPRIM_400000_NS6detail17trampoline_kernelINS0_14default_configENS1_20scan_config_selectorIlEEZZNS1_9scan_implILNS1_25lookback_scan_determinismE0ELb0ELb0ES3_PlS8_lN6thrust23THRUST_200600_302600_NS4plusIvEElEEDaPvRmT3_T4_T5_mT6_P12ihipStream_tbENKUlT_T0_E_clISt17integral_constantIbLb1EESQ_EEDaSL_SM_EUlSL_E0_NS1_11comp_targetILNS1_3genE2ELNS1_11target_archE906ELNS1_3gpuE6ELNS1_3repE0EEENS1_30default_config_static_selectorELNS0_4arch9wavefront6targetE1EEEvT1_,"axG",@progbits,_ZN7rocprim17ROCPRIM_400000_NS6detail17trampoline_kernelINS0_14default_configENS1_20scan_config_selectorIlEEZZNS1_9scan_implILNS1_25lookback_scan_determinismE0ELb0ELb0ES3_PlS8_lN6thrust23THRUST_200600_302600_NS4plusIvEElEEDaPvRmT3_T4_T5_mT6_P12ihipStream_tbENKUlT_T0_E_clISt17integral_constantIbLb1EESQ_EEDaSL_SM_EUlSL_E0_NS1_11comp_targetILNS1_3genE2ELNS1_11target_archE906ELNS1_3gpuE6ELNS1_3repE0EEENS1_30default_config_static_selectorELNS0_4arch9wavefront6targetE1EEEvT1_,comdat
.Lfunc_end117:
	.size	_ZN7rocprim17ROCPRIM_400000_NS6detail17trampoline_kernelINS0_14default_configENS1_20scan_config_selectorIlEEZZNS1_9scan_implILNS1_25lookback_scan_determinismE0ELb0ELb0ES3_PlS8_lN6thrust23THRUST_200600_302600_NS4plusIvEElEEDaPvRmT3_T4_T5_mT6_P12ihipStream_tbENKUlT_T0_E_clISt17integral_constantIbLb1EESQ_EEDaSL_SM_EUlSL_E0_NS1_11comp_targetILNS1_3genE2ELNS1_11target_archE906ELNS1_3gpuE6ELNS1_3repE0EEENS1_30default_config_static_selectorELNS0_4arch9wavefront6targetE1EEEvT1_, .Lfunc_end117-_ZN7rocprim17ROCPRIM_400000_NS6detail17trampoline_kernelINS0_14default_configENS1_20scan_config_selectorIlEEZZNS1_9scan_implILNS1_25lookback_scan_determinismE0ELb0ELb0ES3_PlS8_lN6thrust23THRUST_200600_302600_NS4plusIvEElEEDaPvRmT3_T4_T5_mT6_P12ihipStream_tbENKUlT_T0_E_clISt17integral_constantIbLb1EESQ_EEDaSL_SM_EUlSL_E0_NS1_11comp_targetILNS1_3genE2ELNS1_11target_archE906ELNS1_3gpuE6ELNS1_3repE0EEENS1_30default_config_static_selectorELNS0_4arch9wavefront6targetE1EEEvT1_
                                        ; -- End function
	.section	.AMDGPU.csdata,"",@progbits
; Kernel info:
; codeLenInByte = 0
; NumSgprs: 6
; NumVgprs: 0
; NumAgprs: 0
; TotalNumVgprs: 0
; ScratchSize: 0
; MemoryBound: 0
; FloatMode: 240
; IeeeMode: 1
; LDSByteSize: 0 bytes/workgroup (compile time only)
; SGPRBlocks: 0
; VGPRBlocks: 0
; NumSGPRsForWavesPerEU: 6
; NumVGPRsForWavesPerEU: 1
; AccumOffset: 4
; Occupancy: 8
; WaveLimiterHint : 0
; COMPUTE_PGM_RSRC2:SCRATCH_EN: 0
; COMPUTE_PGM_RSRC2:USER_SGPR: 2
; COMPUTE_PGM_RSRC2:TRAP_HANDLER: 0
; COMPUTE_PGM_RSRC2:TGID_X_EN: 1
; COMPUTE_PGM_RSRC2:TGID_Y_EN: 0
; COMPUTE_PGM_RSRC2:TGID_Z_EN: 0
; COMPUTE_PGM_RSRC2:TIDIG_COMP_CNT: 0
; COMPUTE_PGM_RSRC3_GFX90A:ACCUM_OFFSET: 0
; COMPUTE_PGM_RSRC3_GFX90A:TG_SPLIT: 0
	.section	.text._ZN7rocprim17ROCPRIM_400000_NS6detail17trampoline_kernelINS0_14default_configENS1_20scan_config_selectorIlEEZZNS1_9scan_implILNS1_25lookback_scan_determinismE0ELb0ELb0ES3_PlS8_lN6thrust23THRUST_200600_302600_NS4plusIvEElEEDaPvRmT3_T4_T5_mT6_P12ihipStream_tbENKUlT_T0_E_clISt17integral_constantIbLb1EESQ_EEDaSL_SM_EUlSL_E0_NS1_11comp_targetILNS1_3genE10ELNS1_11target_archE1201ELNS1_3gpuE5ELNS1_3repE0EEENS1_30default_config_static_selectorELNS0_4arch9wavefront6targetE1EEEvT1_,"axG",@progbits,_ZN7rocprim17ROCPRIM_400000_NS6detail17trampoline_kernelINS0_14default_configENS1_20scan_config_selectorIlEEZZNS1_9scan_implILNS1_25lookback_scan_determinismE0ELb0ELb0ES3_PlS8_lN6thrust23THRUST_200600_302600_NS4plusIvEElEEDaPvRmT3_T4_T5_mT6_P12ihipStream_tbENKUlT_T0_E_clISt17integral_constantIbLb1EESQ_EEDaSL_SM_EUlSL_E0_NS1_11comp_targetILNS1_3genE10ELNS1_11target_archE1201ELNS1_3gpuE5ELNS1_3repE0EEENS1_30default_config_static_selectorELNS0_4arch9wavefront6targetE1EEEvT1_,comdat
	.protected	_ZN7rocprim17ROCPRIM_400000_NS6detail17trampoline_kernelINS0_14default_configENS1_20scan_config_selectorIlEEZZNS1_9scan_implILNS1_25lookback_scan_determinismE0ELb0ELb0ES3_PlS8_lN6thrust23THRUST_200600_302600_NS4plusIvEElEEDaPvRmT3_T4_T5_mT6_P12ihipStream_tbENKUlT_T0_E_clISt17integral_constantIbLb1EESQ_EEDaSL_SM_EUlSL_E0_NS1_11comp_targetILNS1_3genE10ELNS1_11target_archE1201ELNS1_3gpuE5ELNS1_3repE0EEENS1_30default_config_static_selectorELNS0_4arch9wavefront6targetE1EEEvT1_ ; -- Begin function _ZN7rocprim17ROCPRIM_400000_NS6detail17trampoline_kernelINS0_14default_configENS1_20scan_config_selectorIlEEZZNS1_9scan_implILNS1_25lookback_scan_determinismE0ELb0ELb0ES3_PlS8_lN6thrust23THRUST_200600_302600_NS4plusIvEElEEDaPvRmT3_T4_T5_mT6_P12ihipStream_tbENKUlT_T0_E_clISt17integral_constantIbLb1EESQ_EEDaSL_SM_EUlSL_E0_NS1_11comp_targetILNS1_3genE10ELNS1_11target_archE1201ELNS1_3gpuE5ELNS1_3repE0EEENS1_30default_config_static_selectorELNS0_4arch9wavefront6targetE1EEEvT1_
	.globl	_ZN7rocprim17ROCPRIM_400000_NS6detail17trampoline_kernelINS0_14default_configENS1_20scan_config_selectorIlEEZZNS1_9scan_implILNS1_25lookback_scan_determinismE0ELb0ELb0ES3_PlS8_lN6thrust23THRUST_200600_302600_NS4plusIvEElEEDaPvRmT3_T4_T5_mT6_P12ihipStream_tbENKUlT_T0_E_clISt17integral_constantIbLb1EESQ_EEDaSL_SM_EUlSL_E0_NS1_11comp_targetILNS1_3genE10ELNS1_11target_archE1201ELNS1_3gpuE5ELNS1_3repE0EEENS1_30default_config_static_selectorELNS0_4arch9wavefront6targetE1EEEvT1_
	.p2align	8
	.type	_ZN7rocprim17ROCPRIM_400000_NS6detail17trampoline_kernelINS0_14default_configENS1_20scan_config_selectorIlEEZZNS1_9scan_implILNS1_25lookback_scan_determinismE0ELb0ELb0ES3_PlS8_lN6thrust23THRUST_200600_302600_NS4plusIvEElEEDaPvRmT3_T4_T5_mT6_P12ihipStream_tbENKUlT_T0_E_clISt17integral_constantIbLb1EESQ_EEDaSL_SM_EUlSL_E0_NS1_11comp_targetILNS1_3genE10ELNS1_11target_archE1201ELNS1_3gpuE5ELNS1_3repE0EEENS1_30default_config_static_selectorELNS0_4arch9wavefront6targetE1EEEvT1_,@function
_ZN7rocprim17ROCPRIM_400000_NS6detail17trampoline_kernelINS0_14default_configENS1_20scan_config_selectorIlEEZZNS1_9scan_implILNS1_25lookback_scan_determinismE0ELb0ELb0ES3_PlS8_lN6thrust23THRUST_200600_302600_NS4plusIvEElEEDaPvRmT3_T4_T5_mT6_P12ihipStream_tbENKUlT_T0_E_clISt17integral_constantIbLb1EESQ_EEDaSL_SM_EUlSL_E0_NS1_11comp_targetILNS1_3genE10ELNS1_11target_archE1201ELNS1_3gpuE5ELNS1_3repE0EEENS1_30default_config_static_selectorELNS0_4arch9wavefront6targetE1EEEvT1_: ; @_ZN7rocprim17ROCPRIM_400000_NS6detail17trampoline_kernelINS0_14default_configENS1_20scan_config_selectorIlEEZZNS1_9scan_implILNS1_25lookback_scan_determinismE0ELb0ELb0ES3_PlS8_lN6thrust23THRUST_200600_302600_NS4plusIvEElEEDaPvRmT3_T4_T5_mT6_P12ihipStream_tbENKUlT_T0_E_clISt17integral_constantIbLb1EESQ_EEDaSL_SM_EUlSL_E0_NS1_11comp_targetILNS1_3genE10ELNS1_11target_archE1201ELNS1_3gpuE5ELNS1_3repE0EEENS1_30default_config_static_selectorELNS0_4arch9wavefront6targetE1EEEvT1_
; %bb.0:
	.section	.rodata,"a",@progbits
	.p2align	6, 0x0
	.amdhsa_kernel _ZN7rocprim17ROCPRIM_400000_NS6detail17trampoline_kernelINS0_14default_configENS1_20scan_config_selectorIlEEZZNS1_9scan_implILNS1_25lookback_scan_determinismE0ELb0ELb0ES3_PlS8_lN6thrust23THRUST_200600_302600_NS4plusIvEElEEDaPvRmT3_T4_T5_mT6_P12ihipStream_tbENKUlT_T0_E_clISt17integral_constantIbLb1EESQ_EEDaSL_SM_EUlSL_E0_NS1_11comp_targetILNS1_3genE10ELNS1_11target_archE1201ELNS1_3gpuE5ELNS1_3repE0EEENS1_30default_config_static_selectorELNS0_4arch9wavefront6targetE1EEEvT1_
		.amdhsa_group_segment_fixed_size 0
		.amdhsa_private_segment_fixed_size 0
		.amdhsa_kernarg_size 40
		.amdhsa_user_sgpr_count 2
		.amdhsa_user_sgpr_dispatch_ptr 0
		.amdhsa_user_sgpr_queue_ptr 0
		.amdhsa_user_sgpr_kernarg_segment_ptr 1
		.amdhsa_user_sgpr_dispatch_id 0
		.amdhsa_user_sgpr_kernarg_preload_length 0
		.amdhsa_user_sgpr_kernarg_preload_offset 0
		.amdhsa_user_sgpr_private_segment_size 0
		.amdhsa_uses_dynamic_stack 0
		.amdhsa_enable_private_segment 0
		.amdhsa_system_sgpr_workgroup_id_x 1
		.amdhsa_system_sgpr_workgroup_id_y 0
		.amdhsa_system_sgpr_workgroup_id_z 0
		.amdhsa_system_sgpr_workgroup_info 0
		.amdhsa_system_vgpr_workitem_id 0
		.amdhsa_next_free_vgpr 1
		.amdhsa_next_free_sgpr 0
		.amdhsa_accum_offset 4
		.amdhsa_reserve_vcc 0
		.amdhsa_float_round_mode_32 0
		.amdhsa_float_round_mode_16_64 0
		.amdhsa_float_denorm_mode_32 3
		.amdhsa_float_denorm_mode_16_64 3
		.amdhsa_dx10_clamp 1
		.amdhsa_ieee_mode 1
		.amdhsa_fp16_overflow 0
		.amdhsa_tg_split 0
		.amdhsa_exception_fp_ieee_invalid_op 0
		.amdhsa_exception_fp_denorm_src 0
		.amdhsa_exception_fp_ieee_div_zero 0
		.amdhsa_exception_fp_ieee_overflow 0
		.amdhsa_exception_fp_ieee_underflow 0
		.amdhsa_exception_fp_ieee_inexact 0
		.amdhsa_exception_int_div_zero 0
	.end_amdhsa_kernel
	.section	.text._ZN7rocprim17ROCPRIM_400000_NS6detail17trampoline_kernelINS0_14default_configENS1_20scan_config_selectorIlEEZZNS1_9scan_implILNS1_25lookback_scan_determinismE0ELb0ELb0ES3_PlS8_lN6thrust23THRUST_200600_302600_NS4plusIvEElEEDaPvRmT3_T4_T5_mT6_P12ihipStream_tbENKUlT_T0_E_clISt17integral_constantIbLb1EESQ_EEDaSL_SM_EUlSL_E0_NS1_11comp_targetILNS1_3genE10ELNS1_11target_archE1201ELNS1_3gpuE5ELNS1_3repE0EEENS1_30default_config_static_selectorELNS0_4arch9wavefront6targetE1EEEvT1_,"axG",@progbits,_ZN7rocprim17ROCPRIM_400000_NS6detail17trampoline_kernelINS0_14default_configENS1_20scan_config_selectorIlEEZZNS1_9scan_implILNS1_25lookback_scan_determinismE0ELb0ELb0ES3_PlS8_lN6thrust23THRUST_200600_302600_NS4plusIvEElEEDaPvRmT3_T4_T5_mT6_P12ihipStream_tbENKUlT_T0_E_clISt17integral_constantIbLb1EESQ_EEDaSL_SM_EUlSL_E0_NS1_11comp_targetILNS1_3genE10ELNS1_11target_archE1201ELNS1_3gpuE5ELNS1_3repE0EEENS1_30default_config_static_selectorELNS0_4arch9wavefront6targetE1EEEvT1_,comdat
.Lfunc_end118:
	.size	_ZN7rocprim17ROCPRIM_400000_NS6detail17trampoline_kernelINS0_14default_configENS1_20scan_config_selectorIlEEZZNS1_9scan_implILNS1_25lookback_scan_determinismE0ELb0ELb0ES3_PlS8_lN6thrust23THRUST_200600_302600_NS4plusIvEElEEDaPvRmT3_T4_T5_mT6_P12ihipStream_tbENKUlT_T0_E_clISt17integral_constantIbLb1EESQ_EEDaSL_SM_EUlSL_E0_NS1_11comp_targetILNS1_3genE10ELNS1_11target_archE1201ELNS1_3gpuE5ELNS1_3repE0EEENS1_30default_config_static_selectorELNS0_4arch9wavefront6targetE1EEEvT1_, .Lfunc_end118-_ZN7rocprim17ROCPRIM_400000_NS6detail17trampoline_kernelINS0_14default_configENS1_20scan_config_selectorIlEEZZNS1_9scan_implILNS1_25lookback_scan_determinismE0ELb0ELb0ES3_PlS8_lN6thrust23THRUST_200600_302600_NS4plusIvEElEEDaPvRmT3_T4_T5_mT6_P12ihipStream_tbENKUlT_T0_E_clISt17integral_constantIbLb1EESQ_EEDaSL_SM_EUlSL_E0_NS1_11comp_targetILNS1_3genE10ELNS1_11target_archE1201ELNS1_3gpuE5ELNS1_3repE0EEENS1_30default_config_static_selectorELNS0_4arch9wavefront6targetE1EEEvT1_
                                        ; -- End function
	.section	.AMDGPU.csdata,"",@progbits
; Kernel info:
; codeLenInByte = 0
; NumSgprs: 6
; NumVgprs: 0
; NumAgprs: 0
; TotalNumVgprs: 0
; ScratchSize: 0
; MemoryBound: 0
; FloatMode: 240
; IeeeMode: 1
; LDSByteSize: 0 bytes/workgroup (compile time only)
; SGPRBlocks: 0
; VGPRBlocks: 0
; NumSGPRsForWavesPerEU: 6
; NumVGPRsForWavesPerEU: 1
; AccumOffset: 4
; Occupancy: 8
; WaveLimiterHint : 0
; COMPUTE_PGM_RSRC2:SCRATCH_EN: 0
; COMPUTE_PGM_RSRC2:USER_SGPR: 2
; COMPUTE_PGM_RSRC2:TRAP_HANDLER: 0
; COMPUTE_PGM_RSRC2:TGID_X_EN: 1
; COMPUTE_PGM_RSRC2:TGID_Y_EN: 0
; COMPUTE_PGM_RSRC2:TGID_Z_EN: 0
; COMPUTE_PGM_RSRC2:TIDIG_COMP_CNT: 0
; COMPUTE_PGM_RSRC3_GFX90A:ACCUM_OFFSET: 0
; COMPUTE_PGM_RSRC3_GFX90A:TG_SPLIT: 0
	.section	.text._ZN7rocprim17ROCPRIM_400000_NS6detail17trampoline_kernelINS0_14default_configENS1_20scan_config_selectorIlEEZZNS1_9scan_implILNS1_25lookback_scan_determinismE0ELb0ELb0ES3_PlS8_lN6thrust23THRUST_200600_302600_NS4plusIvEElEEDaPvRmT3_T4_T5_mT6_P12ihipStream_tbENKUlT_T0_E_clISt17integral_constantIbLb1EESQ_EEDaSL_SM_EUlSL_E0_NS1_11comp_targetILNS1_3genE10ELNS1_11target_archE1200ELNS1_3gpuE4ELNS1_3repE0EEENS1_30default_config_static_selectorELNS0_4arch9wavefront6targetE1EEEvT1_,"axG",@progbits,_ZN7rocprim17ROCPRIM_400000_NS6detail17trampoline_kernelINS0_14default_configENS1_20scan_config_selectorIlEEZZNS1_9scan_implILNS1_25lookback_scan_determinismE0ELb0ELb0ES3_PlS8_lN6thrust23THRUST_200600_302600_NS4plusIvEElEEDaPvRmT3_T4_T5_mT6_P12ihipStream_tbENKUlT_T0_E_clISt17integral_constantIbLb1EESQ_EEDaSL_SM_EUlSL_E0_NS1_11comp_targetILNS1_3genE10ELNS1_11target_archE1200ELNS1_3gpuE4ELNS1_3repE0EEENS1_30default_config_static_selectorELNS0_4arch9wavefront6targetE1EEEvT1_,comdat
	.protected	_ZN7rocprim17ROCPRIM_400000_NS6detail17trampoline_kernelINS0_14default_configENS1_20scan_config_selectorIlEEZZNS1_9scan_implILNS1_25lookback_scan_determinismE0ELb0ELb0ES3_PlS8_lN6thrust23THRUST_200600_302600_NS4plusIvEElEEDaPvRmT3_T4_T5_mT6_P12ihipStream_tbENKUlT_T0_E_clISt17integral_constantIbLb1EESQ_EEDaSL_SM_EUlSL_E0_NS1_11comp_targetILNS1_3genE10ELNS1_11target_archE1200ELNS1_3gpuE4ELNS1_3repE0EEENS1_30default_config_static_selectorELNS0_4arch9wavefront6targetE1EEEvT1_ ; -- Begin function _ZN7rocprim17ROCPRIM_400000_NS6detail17trampoline_kernelINS0_14default_configENS1_20scan_config_selectorIlEEZZNS1_9scan_implILNS1_25lookback_scan_determinismE0ELb0ELb0ES3_PlS8_lN6thrust23THRUST_200600_302600_NS4plusIvEElEEDaPvRmT3_T4_T5_mT6_P12ihipStream_tbENKUlT_T0_E_clISt17integral_constantIbLb1EESQ_EEDaSL_SM_EUlSL_E0_NS1_11comp_targetILNS1_3genE10ELNS1_11target_archE1200ELNS1_3gpuE4ELNS1_3repE0EEENS1_30default_config_static_selectorELNS0_4arch9wavefront6targetE1EEEvT1_
	.globl	_ZN7rocprim17ROCPRIM_400000_NS6detail17trampoline_kernelINS0_14default_configENS1_20scan_config_selectorIlEEZZNS1_9scan_implILNS1_25lookback_scan_determinismE0ELb0ELb0ES3_PlS8_lN6thrust23THRUST_200600_302600_NS4plusIvEElEEDaPvRmT3_T4_T5_mT6_P12ihipStream_tbENKUlT_T0_E_clISt17integral_constantIbLb1EESQ_EEDaSL_SM_EUlSL_E0_NS1_11comp_targetILNS1_3genE10ELNS1_11target_archE1200ELNS1_3gpuE4ELNS1_3repE0EEENS1_30default_config_static_selectorELNS0_4arch9wavefront6targetE1EEEvT1_
	.p2align	8
	.type	_ZN7rocprim17ROCPRIM_400000_NS6detail17trampoline_kernelINS0_14default_configENS1_20scan_config_selectorIlEEZZNS1_9scan_implILNS1_25lookback_scan_determinismE0ELb0ELb0ES3_PlS8_lN6thrust23THRUST_200600_302600_NS4plusIvEElEEDaPvRmT3_T4_T5_mT6_P12ihipStream_tbENKUlT_T0_E_clISt17integral_constantIbLb1EESQ_EEDaSL_SM_EUlSL_E0_NS1_11comp_targetILNS1_3genE10ELNS1_11target_archE1200ELNS1_3gpuE4ELNS1_3repE0EEENS1_30default_config_static_selectorELNS0_4arch9wavefront6targetE1EEEvT1_,@function
_ZN7rocprim17ROCPRIM_400000_NS6detail17trampoline_kernelINS0_14default_configENS1_20scan_config_selectorIlEEZZNS1_9scan_implILNS1_25lookback_scan_determinismE0ELb0ELb0ES3_PlS8_lN6thrust23THRUST_200600_302600_NS4plusIvEElEEDaPvRmT3_T4_T5_mT6_P12ihipStream_tbENKUlT_T0_E_clISt17integral_constantIbLb1EESQ_EEDaSL_SM_EUlSL_E0_NS1_11comp_targetILNS1_3genE10ELNS1_11target_archE1200ELNS1_3gpuE4ELNS1_3repE0EEENS1_30default_config_static_selectorELNS0_4arch9wavefront6targetE1EEEvT1_: ; @_ZN7rocprim17ROCPRIM_400000_NS6detail17trampoline_kernelINS0_14default_configENS1_20scan_config_selectorIlEEZZNS1_9scan_implILNS1_25lookback_scan_determinismE0ELb0ELb0ES3_PlS8_lN6thrust23THRUST_200600_302600_NS4plusIvEElEEDaPvRmT3_T4_T5_mT6_P12ihipStream_tbENKUlT_T0_E_clISt17integral_constantIbLb1EESQ_EEDaSL_SM_EUlSL_E0_NS1_11comp_targetILNS1_3genE10ELNS1_11target_archE1200ELNS1_3gpuE4ELNS1_3repE0EEENS1_30default_config_static_selectorELNS0_4arch9wavefront6targetE1EEEvT1_
; %bb.0:
	.section	.rodata,"a",@progbits
	.p2align	6, 0x0
	.amdhsa_kernel _ZN7rocprim17ROCPRIM_400000_NS6detail17trampoline_kernelINS0_14default_configENS1_20scan_config_selectorIlEEZZNS1_9scan_implILNS1_25lookback_scan_determinismE0ELb0ELb0ES3_PlS8_lN6thrust23THRUST_200600_302600_NS4plusIvEElEEDaPvRmT3_T4_T5_mT6_P12ihipStream_tbENKUlT_T0_E_clISt17integral_constantIbLb1EESQ_EEDaSL_SM_EUlSL_E0_NS1_11comp_targetILNS1_3genE10ELNS1_11target_archE1200ELNS1_3gpuE4ELNS1_3repE0EEENS1_30default_config_static_selectorELNS0_4arch9wavefront6targetE1EEEvT1_
		.amdhsa_group_segment_fixed_size 0
		.amdhsa_private_segment_fixed_size 0
		.amdhsa_kernarg_size 40
		.amdhsa_user_sgpr_count 2
		.amdhsa_user_sgpr_dispatch_ptr 0
		.amdhsa_user_sgpr_queue_ptr 0
		.amdhsa_user_sgpr_kernarg_segment_ptr 1
		.amdhsa_user_sgpr_dispatch_id 0
		.amdhsa_user_sgpr_kernarg_preload_length 0
		.amdhsa_user_sgpr_kernarg_preload_offset 0
		.amdhsa_user_sgpr_private_segment_size 0
		.amdhsa_uses_dynamic_stack 0
		.amdhsa_enable_private_segment 0
		.amdhsa_system_sgpr_workgroup_id_x 1
		.amdhsa_system_sgpr_workgroup_id_y 0
		.amdhsa_system_sgpr_workgroup_id_z 0
		.amdhsa_system_sgpr_workgroup_info 0
		.amdhsa_system_vgpr_workitem_id 0
		.amdhsa_next_free_vgpr 1
		.amdhsa_next_free_sgpr 0
		.amdhsa_accum_offset 4
		.amdhsa_reserve_vcc 0
		.amdhsa_float_round_mode_32 0
		.amdhsa_float_round_mode_16_64 0
		.amdhsa_float_denorm_mode_32 3
		.amdhsa_float_denorm_mode_16_64 3
		.amdhsa_dx10_clamp 1
		.amdhsa_ieee_mode 1
		.amdhsa_fp16_overflow 0
		.amdhsa_tg_split 0
		.amdhsa_exception_fp_ieee_invalid_op 0
		.amdhsa_exception_fp_denorm_src 0
		.amdhsa_exception_fp_ieee_div_zero 0
		.amdhsa_exception_fp_ieee_overflow 0
		.amdhsa_exception_fp_ieee_underflow 0
		.amdhsa_exception_fp_ieee_inexact 0
		.amdhsa_exception_int_div_zero 0
	.end_amdhsa_kernel
	.section	.text._ZN7rocprim17ROCPRIM_400000_NS6detail17trampoline_kernelINS0_14default_configENS1_20scan_config_selectorIlEEZZNS1_9scan_implILNS1_25lookback_scan_determinismE0ELb0ELb0ES3_PlS8_lN6thrust23THRUST_200600_302600_NS4plusIvEElEEDaPvRmT3_T4_T5_mT6_P12ihipStream_tbENKUlT_T0_E_clISt17integral_constantIbLb1EESQ_EEDaSL_SM_EUlSL_E0_NS1_11comp_targetILNS1_3genE10ELNS1_11target_archE1200ELNS1_3gpuE4ELNS1_3repE0EEENS1_30default_config_static_selectorELNS0_4arch9wavefront6targetE1EEEvT1_,"axG",@progbits,_ZN7rocprim17ROCPRIM_400000_NS6detail17trampoline_kernelINS0_14default_configENS1_20scan_config_selectorIlEEZZNS1_9scan_implILNS1_25lookback_scan_determinismE0ELb0ELb0ES3_PlS8_lN6thrust23THRUST_200600_302600_NS4plusIvEElEEDaPvRmT3_T4_T5_mT6_P12ihipStream_tbENKUlT_T0_E_clISt17integral_constantIbLb1EESQ_EEDaSL_SM_EUlSL_E0_NS1_11comp_targetILNS1_3genE10ELNS1_11target_archE1200ELNS1_3gpuE4ELNS1_3repE0EEENS1_30default_config_static_selectorELNS0_4arch9wavefront6targetE1EEEvT1_,comdat
.Lfunc_end119:
	.size	_ZN7rocprim17ROCPRIM_400000_NS6detail17trampoline_kernelINS0_14default_configENS1_20scan_config_selectorIlEEZZNS1_9scan_implILNS1_25lookback_scan_determinismE0ELb0ELb0ES3_PlS8_lN6thrust23THRUST_200600_302600_NS4plusIvEElEEDaPvRmT3_T4_T5_mT6_P12ihipStream_tbENKUlT_T0_E_clISt17integral_constantIbLb1EESQ_EEDaSL_SM_EUlSL_E0_NS1_11comp_targetILNS1_3genE10ELNS1_11target_archE1200ELNS1_3gpuE4ELNS1_3repE0EEENS1_30default_config_static_selectorELNS0_4arch9wavefront6targetE1EEEvT1_, .Lfunc_end119-_ZN7rocprim17ROCPRIM_400000_NS6detail17trampoline_kernelINS0_14default_configENS1_20scan_config_selectorIlEEZZNS1_9scan_implILNS1_25lookback_scan_determinismE0ELb0ELb0ES3_PlS8_lN6thrust23THRUST_200600_302600_NS4plusIvEElEEDaPvRmT3_T4_T5_mT6_P12ihipStream_tbENKUlT_T0_E_clISt17integral_constantIbLb1EESQ_EEDaSL_SM_EUlSL_E0_NS1_11comp_targetILNS1_3genE10ELNS1_11target_archE1200ELNS1_3gpuE4ELNS1_3repE0EEENS1_30default_config_static_selectorELNS0_4arch9wavefront6targetE1EEEvT1_
                                        ; -- End function
	.section	.AMDGPU.csdata,"",@progbits
; Kernel info:
; codeLenInByte = 0
; NumSgprs: 6
; NumVgprs: 0
; NumAgprs: 0
; TotalNumVgprs: 0
; ScratchSize: 0
; MemoryBound: 0
; FloatMode: 240
; IeeeMode: 1
; LDSByteSize: 0 bytes/workgroup (compile time only)
; SGPRBlocks: 0
; VGPRBlocks: 0
; NumSGPRsForWavesPerEU: 6
; NumVGPRsForWavesPerEU: 1
; AccumOffset: 4
; Occupancy: 8
; WaveLimiterHint : 0
; COMPUTE_PGM_RSRC2:SCRATCH_EN: 0
; COMPUTE_PGM_RSRC2:USER_SGPR: 2
; COMPUTE_PGM_RSRC2:TRAP_HANDLER: 0
; COMPUTE_PGM_RSRC2:TGID_X_EN: 1
; COMPUTE_PGM_RSRC2:TGID_Y_EN: 0
; COMPUTE_PGM_RSRC2:TGID_Z_EN: 0
; COMPUTE_PGM_RSRC2:TIDIG_COMP_CNT: 0
; COMPUTE_PGM_RSRC3_GFX90A:ACCUM_OFFSET: 0
; COMPUTE_PGM_RSRC3_GFX90A:TG_SPLIT: 0
	.section	.text._ZN7rocprim17ROCPRIM_400000_NS6detail17trampoline_kernelINS0_14default_configENS1_20scan_config_selectorIlEEZZNS1_9scan_implILNS1_25lookback_scan_determinismE0ELb0ELb0ES3_PlS8_lN6thrust23THRUST_200600_302600_NS4plusIvEElEEDaPvRmT3_T4_T5_mT6_P12ihipStream_tbENKUlT_T0_E_clISt17integral_constantIbLb1EESQ_EEDaSL_SM_EUlSL_E0_NS1_11comp_targetILNS1_3genE9ELNS1_11target_archE1100ELNS1_3gpuE3ELNS1_3repE0EEENS1_30default_config_static_selectorELNS0_4arch9wavefront6targetE1EEEvT1_,"axG",@progbits,_ZN7rocprim17ROCPRIM_400000_NS6detail17trampoline_kernelINS0_14default_configENS1_20scan_config_selectorIlEEZZNS1_9scan_implILNS1_25lookback_scan_determinismE0ELb0ELb0ES3_PlS8_lN6thrust23THRUST_200600_302600_NS4plusIvEElEEDaPvRmT3_T4_T5_mT6_P12ihipStream_tbENKUlT_T0_E_clISt17integral_constantIbLb1EESQ_EEDaSL_SM_EUlSL_E0_NS1_11comp_targetILNS1_3genE9ELNS1_11target_archE1100ELNS1_3gpuE3ELNS1_3repE0EEENS1_30default_config_static_selectorELNS0_4arch9wavefront6targetE1EEEvT1_,comdat
	.protected	_ZN7rocprim17ROCPRIM_400000_NS6detail17trampoline_kernelINS0_14default_configENS1_20scan_config_selectorIlEEZZNS1_9scan_implILNS1_25lookback_scan_determinismE0ELb0ELb0ES3_PlS8_lN6thrust23THRUST_200600_302600_NS4plusIvEElEEDaPvRmT3_T4_T5_mT6_P12ihipStream_tbENKUlT_T0_E_clISt17integral_constantIbLb1EESQ_EEDaSL_SM_EUlSL_E0_NS1_11comp_targetILNS1_3genE9ELNS1_11target_archE1100ELNS1_3gpuE3ELNS1_3repE0EEENS1_30default_config_static_selectorELNS0_4arch9wavefront6targetE1EEEvT1_ ; -- Begin function _ZN7rocprim17ROCPRIM_400000_NS6detail17trampoline_kernelINS0_14default_configENS1_20scan_config_selectorIlEEZZNS1_9scan_implILNS1_25lookback_scan_determinismE0ELb0ELb0ES3_PlS8_lN6thrust23THRUST_200600_302600_NS4plusIvEElEEDaPvRmT3_T4_T5_mT6_P12ihipStream_tbENKUlT_T0_E_clISt17integral_constantIbLb1EESQ_EEDaSL_SM_EUlSL_E0_NS1_11comp_targetILNS1_3genE9ELNS1_11target_archE1100ELNS1_3gpuE3ELNS1_3repE0EEENS1_30default_config_static_selectorELNS0_4arch9wavefront6targetE1EEEvT1_
	.globl	_ZN7rocprim17ROCPRIM_400000_NS6detail17trampoline_kernelINS0_14default_configENS1_20scan_config_selectorIlEEZZNS1_9scan_implILNS1_25lookback_scan_determinismE0ELb0ELb0ES3_PlS8_lN6thrust23THRUST_200600_302600_NS4plusIvEElEEDaPvRmT3_T4_T5_mT6_P12ihipStream_tbENKUlT_T0_E_clISt17integral_constantIbLb1EESQ_EEDaSL_SM_EUlSL_E0_NS1_11comp_targetILNS1_3genE9ELNS1_11target_archE1100ELNS1_3gpuE3ELNS1_3repE0EEENS1_30default_config_static_selectorELNS0_4arch9wavefront6targetE1EEEvT1_
	.p2align	8
	.type	_ZN7rocprim17ROCPRIM_400000_NS6detail17trampoline_kernelINS0_14default_configENS1_20scan_config_selectorIlEEZZNS1_9scan_implILNS1_25lookback_scan_determinismE0ELb0ELb0ES3_PlS8_lN6thrust23THRUST_200600_302600_NS4plusIvEElEEDaPvRmT3_T4_T5_mT6_P12ihipStream_tbENKUlT_T0_E_clISt17integral_constantIbLb1EESQ_EEDaSL_SM_EUlSL_E0_NS1_11comp_targetILNS1_3genE9ELNS1_11target_archE1100ELNS1_3gpuE3ELNS1_3repE0EEENS1_30default_config_static_selectorELNS0_4arch9wavefront6targetE1EEEvT1_,@function
_ZN7rocprim17ROCPRIM_400000_NS6detail17trampoline_kernelINS0_14default_configENS1_20scan_config_selectorIlEEZZNS1_9scan_implILNS1_25lookback_scan_determinismE0ELb0ELb0ES3_PlS8_lN6thrust23THRUST_200600_302600_NS4plusIvEElEEDaPvRmT3_T4_T5_mT6_P12ihipStream_tbENKUlT_T0_E_clISt17integral_constantIbLb1EESQ_EEDaSL_SM_EUlSL_E0_NS1_11comp_targetILNS1_3genE9ELNS1_11target_archE1100ELNS1_3gpuE3ELNS1_3repE0EEENS1_30default_config_static_selectorELNS0_4arch9wavefront6targetE1EEEvT1_: ; @_ZN7rocprim17ROCPRIM_400000_NS6detail17trampoline_kernelINS0_14default_configENS1_20scan_config_selectorIlEEZZNS1_9scan_implILNS1_25lookback_scan_determinismE0ELb0ELb0ES3_PlS8_lN6thrust23THRUST_200600_302600_NS4plusIvEElEEDaPvRmT3_T4_T5_mT6_P12ihipStream_tbENKUlT_T0_E_clISt17integral_constantIbLb1EESQ_EEDaSL_SM_EUlSL_E0_NS1_11comp_targetILNS1_3genE9ELNS1_11target_archE1100ELNS1_3gpuE3ELNS1_3repE0EEENS1_30default_config_static_selectorELNS0_4arch9wavefront6targetE1EEEvT1_
; %bb.0:
	.section	.rodata,"a",@progbits
	.p2align	6, 0x0
	.amdhsa_kernel _ZN7rocprim17ROCPRIM_400000_NS6detail17trampoline_kernelINS0_14default_configENS1_20scan_config_selectorIlEEZZNS1_9scan_implILNS1_25lookback_scan_determinismE0ELb0ELb0ES3_PlS8_lN6thrust23THRUST_200600_302600_NS4plusIvEElEEDaPvRmT3_T4_T5_mT6_P12ihipStream_tbENKUlT_T0_E_clISt17integral_constantIbLb1EESQ_EEDaSL_SM_EUlSL_E0_NS1_11comp_targetILNS1_3genE9ELNS1_11target_archE1100ELNS1_3gpuE3ELNS1_3repE0EEENS1_30default_config_static_selectorELNS0_4arch9wavefront6targetE1EEEvT1_
		.amdhsa_group_segment_fixed_size 0
		.amdhsa_private_segment_fixed_size 0
		.amdhsa_kernarg_size 40
		.amdhsa_user_sgpr_count 2
		.amdhsa_user_sgpr_dispatch_ptr 0
		.amdhsa_user_sgpr_queue_ptr 0
		.amdhsa_user_sgpr_kernarg_segment_ptr 1
		.amdhsa_user_sgpr_dispatch_id 0
		.amdhsa_user_sgpr_kernarg_preload_length 0
		.amdhsa_user_sgpr_kernarg_preload_offset 0
		.amdhsa_user_sgpr_private_segment_size 0
		.amdhsa_uses_dynamic_stack 0
		.amdhsa_enable_private_segment 0
		.amdhsa_system_sgpr_workgroup_id_x 1
		.amdhsa_system_sgpr_workgroup_id_y 0
		.amdhsa_system_sgpr_workgroup_id_z 0
		.amdhsa_system_sgpr_workgroup_info 0
		.amdhsa_system_vgpr_workitem_id 0
		.amdhsa_next_free_vgpr 1
		.amdhsa_next_free_sgpr 0
		.amdhsa_accum_offset 4
		.amdhsa_reserve_vcc 0
		.amdhsa_float_round_mode_32 0
		.amdhsa_float_round_mode_16_64 0
		.amdhsa_float_denorm_mode_32 3
		.amdhsa_float_denorm_mode_16_64 3
		.amdhsa_dx10_clamp 1
		.amdhsa_ieee_mode 1
		.amdhsa_fp16_overflow 0
		.amdhsa_tg_split 0
		.amdhsa_exception_fp_ieee_invalid_op 0
		.amdhsa_exception_fp_denorm_src 0
		.amdhsa_exception_fp_ieee_div_zero 0
		.amdhsa_exception_fp_ieee_overflow 0
		.amdhsa_exception_fp_ieee_underflow 0
		.amdhsa_exception_fp_ieee_inexact 0
		.amdhsa_exception_int_div_zero 0
	.end_amdhsa_kernel
	.section	.text._ZN7rocprim17ROCPRIM_400000_NS6detail17trampoline_kernelINS0_14default_configENS1_20scan_config_selectorIlEEZZNS1_9scan_implILNS1_25lookback_scan_determinismE0ELb0ELb0ES3_PlS8_lN6thrust23THRUST_200600_302600_NS4plusIvEElEEDaPvRmT3_T4_T5_mT6_P12ihipStream_tbENKUlT_T0_E_clISt17integral_constantIbLb1EESQ_EEDaSL_SM_EUlSL_E0_NS1_11comp_targetILNS1_3genE9ELNS1_11target_archE1100ELNS1_3gpuE3ELNS1_3repE0EEENS1_30default_config_static_selectorELNS0_4arch9wavefront6targetE1EEEvT1_,"axG",@progbits,_ZN7rocprim17ROCPRIM_400000_NS6detail17trampoline_kernelINS0_14default_configENS1_20scan_config_selectorIlEEZZNS1_9scan_implILNS1_25lookback_scan_determinismE0ELb0ELb0ES3_PlS8_lN6thrust23THRUST_200600_302600_NS4plusIvEElEEDaPvRmT3_T4_T5_mT6_P12ihipStream_tbENKUlT_T0_E_clISt17integral_constantIbLb1EESQ_EEDaSL_SM_EUlSL_E0_NS1_11comp_targetILNS1_3genE9ELNS1_11target_archE1100ELNS1_3gpuE3ELNS1_3repE0EEENS1_30default_config_static_selectorELNS0_4arch9wavefront6targetE1EEEvT1_,comdat
.Lfunc_end120:
	.size	_ZN7rocprim17ROCPRIM_400000_NS6detail17trampoline_kernelINS0_14default_configENS1_20scan_config_selectorIlEEZZNS1_9scan_implILNS1_25lookback_scan_determinismE0ELb0ELb0ES3_PlS8_lN6thrust23THRUST_200600_302600_NS4plusIvEElEEDaPvRmT3_T4_T5_mT6_P12ihipStream_tbENKUlT_T0_E_clISt17integral_constantIbLb1EESQ_EEDaSL_SM_EUlSL_E0_NS1_11comp_targetILNS1_3genE9ELNS1_11target_archE1100ELNS1_3gpuE3ELNS1_3repE0EEENS1_30default_config_static_selectorELNS0_4arch9wavefront6targetE1EEEvT1_, .Lfunc_end120-_ZN7rocprim17ROCPRIM_400000_NS6detail17trampoline_kernelINS0_14default_configENS1_20scan_config_selectorIlEEZZNS1_9scan_implILNS1_25lookback_scan_determinismE0ELb0ELb0ES3_PlS8_lN6thrust23THRUST_200600_302600_NS4plusIvEElEEDaPvRmT3_T4_T5_mT6_P12ihipStream_tbENKUlT_T0_E_clISt17integral_constantIbLb1EESQ_EEDaSL_SM_EUlSL_E0_NS1_11comp_targetILNS1_3genE9ELNS1_11target_archE1100ELNS1_3gpuE3ELNS1_3repE0EEENS1_30default_config_static_selectorELNS0_4arch9wavefront6targetE1EEEvT1_
                                        ; -- End function
	.section	.AMDGPU.csdata,"",@progbits
; Kernel info:
; codeLenInByte = 0
; NumSgprs: 6
; NumVgprs: 0
; NumAgprs: 0
; TotalNumVgprs: 0
; ScratchSize: 0
; MemoryBound: 0
; FloatMode: 240
; IeeeMode: 1
; LDSByteSize: 0 bytes/workgroup (compile time only)
; SGPRBlocks: 0
; VGPRBlocks: 0
; NumSGPRsForWavesPerEU: 6
; NumVGPRsForWavesPerEU: 1
; AccumOffset: 4
; Occupancy: 8
; WaveLimiterHint : 0
; COMPUTE_PGM_RSRC2:SCRATCH_EN: 0
; COMPUTE_PGM_RSRC2:USER_SGPR: 2
; COMPUTE_PGM_RSRC2:TRAP_HANDLER: 0
; COMPUTE_PGM_RSRC2:TGID_X_EN: 1
; COMPUTE_PGM_RSRC2:TGID_Y_EN: 0
; COMPUTE_PGM_RSRC2:TGID_Z_EN: 0
; COMPUTE_PGM_RSRC2:TIDIG_COMP_CNT: 0
; COMPUTE_PGM_RSRC3_GFX90A:ACCUM_OFFSET: 0
; COMPUTE_PGM_RSRC3_GFX90A:TG_SPLIT: 0
	.section	.text._ZN7rocprim17ROCPRIM_400000_NS6detail17trampoline_kernelINS0_14default_configENS1_20scan_config_selectorIlEEZZNS1_9scan_implILNS1_25lookback_scan_determinismE0ELb0ELb0ES3_PlS8_lN6thrust23THRUST_200600_302600_NS4plusIvEElEEDaPvRmT3_T4_T5_mT6_P12ihipStream_tbENKUlT_T0_E_clISt17integral_constantIbLb1EESQ_EEDaSL_SM_EUlSL_E0_NS1_11comp_targetILNS1_3genE8ELNS1_11target_archE1030ELNS1_3gpuE2ELNS1_3repE0EEENS1_30default_config_static_selectorELNS0_4arch9wavefront6targetE1EEEvT1_,"axG",@progbits,_ZN7rocprim17ROCPRIM_400000_NS6detail17trampoline_kernelINS0_14default_configENS1_20scan_config_selectorIlEEZZNS1_9scan_implILNS1_25lookback_scan_determinismE0ELb0ELb0ES3_PlS8_lN6thrust23THRUST_200600_302600_NS4plusIvEElEEDaPvRmT3_T4_T5_mT6_P12ihipStream_tbENKUlT_T0_E_clISt17integral_constantIbLb1EESQ_EEDaSL_SM_EUlSL_E0_NS1_11comp_targetILNS1_3genE8ELNS1_11target_archE1030ELNS1_3gpuE2ELNS1_3repE0EEENS1_30default_config_static_selectorELNS0_4arch9wavefront6targetE1EEEvT1_,comdat
	.protected	_ZN7rocprim17ROCPRIM_400000_NS6detail17trampoline_kernelINS0_14default_configENS1_20scan_config_selectorIlEEZZNS1_9scan_implILNS1_25lookback_scan_determinismE0ELb0ELb0ES3_PlS8_lN6thrust23THRUST_200600_302600_NS4plusIvEElEEDaPvRmT3_T4_T5_mT6_P12ihipStream_tbENKUlT_T0_E_clISt17integral_constantIbLb1EESQ_EEDaSL_SM_EUlSL_E0_NS1_11comp_targetILNS1_3genE8ELNS1_11target_archE1030ELNS1_3gpuE2ELNS1_3repE0EEENS1_30default_config_static_selectorELNS0_4arch9wavefront6targetE1EEEvT1_ ; -- Begin function _ZN7rocprim17ROCPRIM_400000_NS6detail17trampoline_kernelINS0_14default_configENS1_20scan_config_selectorIlEEZZNS1_9scan_implILNS1_25lookback_scan_determinismE0ELb0ELb0ES3_PlS8_lN6thrust23THRUST_200600_302600_NS4plusIvEElEEDaPvRmT3_T4_T5_mT6_P12ihipStream_tbENKUlT_T0_E_clISt17integral_constantIbLb1EESQ_EEDaSL_SM_EUlSL_E0_NS1_11comp_targetILNS1_3genE8ELNS1_11target_archE1030ELNS1_3gpuE2ELNS1_3repE0EEENS1_30default_config_static_selectorELNS0_4arch9wavefront6targetE1EEEvT1_
	.globl	_ZN7rocprim17ROCPRIM_400000_NS6detail17trampoline_kernelINS0_14default_configENS1_20scan_config_selectorIlEEZZNS1_9scan_implILNS1_25lookback_scan_determinismE0ELb0ELb0ES3_PlS8_lN6thrust23THRUST_200600_302600_NS4plusIvEElEEDaPvRmT3_T4_T5_mT6_P12ihipStream_tbENKUlT_T0_E_clISt17integral_constantIbLb1EESQ_EEDaSL_SM_EUlSL_E0_NS1_11comp_targetILNS1_3genE8ELNS1_11target_archE1030ELNS1_3gpuE2ELNS1_3repE0EEENS1_30default_config_static_selectorELNS0_4arch9wavefront6targetE1EEEvT1_
	.p2align	8
	.type	_ZN7rocprim17ROCPRIM_400000_NS6detail17trampoline_kernelINS0_14default_configENS1_20scan_config_selectorIlEEZZNS1_9scan_implILNS1_25lookback_scan_determinismE0ELb0ELb0ES3_PlS8_lN6thrust23THRUST_200600_302600_NS4plusIvEElEEDaPvRmT3_T4_T5_mT6_P12ihipStream_tbENKUlT_T0_E_clISt17integral_constantIbLb1EESQ_EEDaSL_SM_EUlSL_E0_NS1_11comp_targetILNS1_3genE8ELNS1_11target_archE1030ELNS1_3gpuE2ELNS1_3repE0EEENS1_30default_config_static_selectorELNS0_4arch9wavefront6targetE1EEEvT1_,@function
_ZN7rocprim17ROCPRIM_400000_NS6detail17trampoline_kernelINS0_14default_configENS1_20scan_config_selectorIlEEZZNS1_9scan_implILNS1_25lookback_scan_determinismE0ELb0ELb0ES3_PlS8_lN6thrust23THRUST_200600_302600_NS4plusIvEElEEDaPvRmT3_T4_T5_mT6_P12ihipStream_tbENKUlT_T0_E_clISt17integral_constantIbLb1EESQ_EEDaSL_SM_EUlSL_E0_NS1_11comp_targetILNS1_3genE8ELNS1_11target_archE1030ELNS1_3gpuE2ELNS1_3repE0EEENS1_30default_config_static_selectorELNS0_4arch9wavefront6targetE1EEEvT1_: ; @_ZN7rocprim17ROCPRIM_400000_NS6detail17trampoline_kernelINS0_14default_configENS1_20scan_config_selectorIlEEZZNS1_9scan_implILNS1_25lookback_scan_determinismE0ELb0ELb0ES3_PlS8_lN6thrust23THRUST_200600_302600_NS4plusIvEElEEDaPvRmT3_T4_T5_mT6_P12ihipStream_tbENKUlT_T0_E_clISt17integral_constantIbLb1EESQ_EEDaSL_SM_EUlSL_E0_NS1_11comp_targetILNS1_3genE8ELNS1_11target_archE1030ELNS1_3gpuE2ELNS1_3repE0EEENS1_30default_config_static_selectorELNS0_4arch9wavefront6targetE1EEEvT1_
; %bb.0:
	.section	.rodata,"a",@progbits
	.p2align	6, 0x0
	.amdhsa_kernel _ZN7rocprim17ROCPRIM_400000_NS6detail17trampoline_kernelINS0_14default_configENS1_20scan_config_selectorIlEEZZNS1_9scan_implILNS1_25lookback_scan_determinismE0ELb0ELb0ES3_PlS8_lN6thrust23THRUST_200600_302600_NS4plusIvEElEEDaPvRmT3_T4_T5_mT6_P12ihipStream_tbENKUlT_T0_E_clISt17integral_constantIbLb1EESQ_EEDaSL_SM_EUlSL_E0_NS1_11comp_targetILNS1_3genE8ELNS1_11target_archE1030ELNS1_3gpuE2ELNS1_3repE0EEENS1_30default_config_static_selectorELNS0_4arch9wavefront6targetE1EEEvT1_
		.amdhsa_group_segment_fixed_size 0
		.amdhsa_private_segment_fixed_size 0
		.amdhsa_kernarg_size 40
		.amdhsa_user_sgpr_count 2
		.amdhsa_user_sgpr_dispatch_ptr 0
		.amdhsa_user_sgpr_queue_ptr 0
		.amdhsa_user_sgpr_kernarg_segment_ptr 1
		.amdhsa_user_sgpr_dispatch_id 0
		.amdhsa_user_sgpr_kernarg_preload_length 0
		.amdhsa_user_sgpr_kernarg_preload_offset 0
		.amdhsa_user_sgpr_private_segment_size 0
		.amdhsa_uses_dynamic_stack 0
		.amdhsa_enable_private_segment 0
		.amdhsa_system_sgpr_workgroup_id_x 1
		.amdhsa_system_sgpr_workgroup_id_y 0
		.amdhsa_system_sgpr_workgroup_id_z 0
		.amdhsa_system_sgpr_workgroup_info 0
		.amdhsa_system_vgpr_workitem_id 0
		.amdhsa_next_free_vgpr 1
		.amdhsa_next_free_sgpr 0
		.amdhsa_accum_offset 4
		.amdhsa_reserve_vcc 0
		.amdhsa_float_round_mode_32 0
		.amdhsa_float_round_mode_16_64 0
		.amdhsa_float_denorm_mode_32 3
		.amdhsa_float_denorm_mode_16_64 3
		.amdhsa_dx10_clamp 1
		.amdhsa_ieee_mode 1
		.amdhsa_fp16_overflow 0
		.amdhsa_tg_split 0
		.amdhsa_exception_fp_ieee_invalid_op 0
		.amdhsa_exception_fp_denorm_src 0
		.amdhsa_exception_fp_ieee_div_zero 0
		.amdhsa_exception_fp_ieee_overflow 0
		.amdhsa_exception_fp_ieee_underflow 0
		.amdhsa_exception_fp_ieee_inexact 0
		.amdhsa_exception_int_div_zero 0
	.end_amdhsa_kernel
	.section	.text._ZN7rocprim17ROCPRIM_400000_NS6detail17trampoline_kernelINS0_14default_configENS1_20scan_config_selectorIlEEZZNS1_9scan_implILNS1_25lookback_scan_determinismE0ELb0ELb0ES3_PlS8_lN6thrust23THRUST_200600_302600_NS4plusIvEElEEDaPvRmT3_T4_T5_mT6_P12ihipStream_tbENKUlT_T0_E_clISt17integral_constantIbLb1EESQ_EEDaSL_SM_EUlSL_E0_NS1_11comp_targetILNS1_3genE8ELNS1_11target_archE1030ELNS1_3gpuE2ELNS1_3repE0EEENS1_30default_config_static_selectorELNS0_4arch9wavefront6targetE1EEEvT1_,"axG",@progbits,_ZN7rocprim17ROCPRIM_400000_NS6detail17trampoline_kernelINS0_14default_configENS1_20scan_config_selectorIlEEZZNS1_9scan_implILNS1_25lookback_scan_determinismE0ELb0ELb0ES3_PlS8_lN6thrust23THRUST_200600_302600_NS4plusIvEElEEDaPvRmT3_T4_T5_mT6_P12ihipStream_tbENKUlT_T0_E_clISt17integral_constantIbLb1EESQ_EEDaSL_SM_EUlSL_E0_NS1_11comp_targetILNS1_3genE8ELNS1_11target_archE1030ELNS1_3gpuE2ELNS1_3repE0EEENS1_30default_config_static_selectorELNS0_4arch9wavefront6targetE1EEEvT1_,comdat
.Lfunc_end121:
	.size	_ZN7rocprim17ROCPRIM_400000_NS6detail17trampoline_kernelINS0_14default_configENS1_20scan_config_selectorIlEEZZNS1_9scan_implILNS1_25lookback_scan_determinismE0ELb0ELb0ES3_PlS8_lN6thrust23THRUST_200600_302600_NS4plusIvEElEEDaPvRmT3_T4_T5_mT6_P12ihipStream_tbENKUlT_T0_E_clISt17integral_constantIbLb1EESQ_EEDaSL_SM_EUlSL_E0_NS1_11comp_targetILNS1_3genE8ELNS1_11target_archE1030ELNS1_3gpuE2ELNS1_3repE0EEENS1_30default_config_static_selectorELNS0_4arch9wavefront6targetE1EEEvT1_, .Lfunc_end121-_ZN7rocprim17ROCPRIM_400000_NS6detail17trampoline_kernelINS0_14default_configENS1_20scan_config_selectorIlEEZZNS1_9scan_implILNS1_25lookback_scan_determinismE0ELb0ELb0ES3_PlS8_lN6thrust23THRUST_200600_302600_NS4plusIvEElEEDaPvRmT3_T4_T5_mT6_P12ihipStream_tbENKUlT_T0_E_clISt17integral_constantIbLb1EESQ_EEDaSL_SM_EUlSL_E0_NS1_11comp_targetILNS1_3genE8ELNS1_11target_archE1030ELNS1_3gpuE2ELNS1_3repE0EEENS1_30default_config_static_selectorELNS0_4arch9wavefront6targetE1EEEvT1_
                                        ; -- End function
	.section	.AMDGPU.csdata,"",@progbits
; Kernel info:
; codeLenInByte = 0
; NumSgprs: 6
; NumVgprs: 0
; NumAgprs: 0
; TotalNumVgprs: 0
; ScratchSize: 0
; MemoryBound: 0
; FloatMode: 240
; IeeeMode: 1
; LDSByteSize: 0 bytes/workgroup (compile time only)
; SGPRBlocks: 0
; VGPRBlocks: 0
; NumSGPRsForWavesPerEU: 6
; NumVGPRsForWavesPerEU: 1
; AccumOffset: 4
; Occupancy: 8
; WaveLimiterHint : 0
; COMPUTE_PGM_RSRC2:SCRATCH_EN: 0
; COMPUTE_PGM_RSRC2:USER_SGPR: 2
; COMPUTE_PGM_RSRC2:TRAP_HANDLER: 0
; COMPUTE_PGM_RSRC2:TGID_X_EN: 1
; COMPUTE_PGM_RSRC2:TGID_Y_EN: 0
; COMPUTE_PGM_RSRC2:TGID_Z_EN: 0
; COMPUTE_PGM_RSRC2:TIDIG_COMP_CNT: 0
; COMPUTE_PGM_RSRC3_GFX90A:ACCUM_OFFSET: 0
; COMPUTE_PGM_RSRC3_GFX90A:TG_SPLIT: 0
	.section	.text._ZN7rocprim17ROCPRIM_400000_NS6detail31init_lookback_scan_state_kernelINS1_19lookback_scan_stateIlLb1ELb1EEENS1_16block_id_wrapperIjLb0EEEEEvT_jT0_jPNS7_10value_typeE,"axG",@progbits,_ZN7rocprim17ROCPRIM_400000_NS6detail31init_lookback_scan_state_kernelINS1_19lookback_scan_stateIlLb1ELb1EEENS1_16block_id_wrapperIjLb0EEEEEvT_jT0_jPNS7_10value_typeE,comdat
	.protected	_ZN7rocprim17ROCPRIM_400000_NS6detail31init_lookback_scan_state_kernelINS1_19lookback_scan_stateIlLb1ELb1EEENS1_16block_id_wrapperIjLb0EEEEEvT_jT0_jPNS7_10value_typeE ; -- Begin function _ZN7rocprim17ROCPRIM_400000_NS6detail31init_lookback_scan_state_kernelINS1_19lookback_scan_stateIlLb1ELb1EEENS1_16block_id_wrapperIjLb0EEEEEvT_jT0_jPNS7_10value_typeE
	.globl	_ZN7rocprim17ROCPRIM_400000_NS6detail31init_lookback_scan_state_kernelINS1_19lookback_scan_stateIlLb1ELb1EEENS1_16block_id_wrapperIjLb0EEEEEvT_jT0_jPNS7_10value_typeE
	.p2align	8
	.type	_ZN7rocprim17ROCPRIM_400000_NS6detail31init_lookback_scan_state_kernelINS1_19lookback_scan_stateIlLb1ELb1EEENS1_16block_id_wrapperIjLb0EEEEEvT_jT0_jPNS7_10value_typeE,@function
_ZN7rocprim17ROCPRIM_400000_NS6detail31init_lookback_scan_state_kernelINS1_19lookback_scan_stateIlLb1ELb1EEENS1_16block_id_wrapperIjLb0EEEEEvT_jT0_jPNS7_10value_typeE: ; @_ZN7rocprim17ROCPRIM_400000_NS6detail31init_lookback_scan_state_kernelINS1_19lookback_scan_stateIlLb1ELb1EEENS1_16block_id_wrapperIjLb0EEEEEvT_jT0_jPNS7_10value_typeE
; %bb.0:
	s_load_dword s3, s[0:1], 0x2c
	s_load_dwordx2 s[6:7], s[0:1], 0x18
	s_load_dwordx2 s[4:5], s[0:1], 0x0
	s_load_dword s12, s[0:1], 0x8
	s_waitcnt lgkmcnt(0)
	s_and_b32 s3, s3, 0xffff
	s_mul_i32 s2, s2, s3
	s_cmp_eq_u64 s[6:7], 0
	v_add_u32_e32 v0, s2, v0
	s_cbranch_scc1 .LBB122_10
; %bb.1:
	s_load_dword s2, s[0:1], 0x10
	s_mov_b32 s3, 0
	s_waitcnt lgkmcnt(0)
	s_cmp_lt_u32 s2, s12
	s_cselect_b32 s0, s2, 0
	v_cmp_eq_u32_e32 vcc, s0, v0
	s_and_saveexec_b64 s[0:1], vcc
	s_cbranch_execz .LBB122_9
; %bb.2:
	s_add_i32 s2, s2, 64
	s_lshl_b64 s[2:3], s[2:3], 4
	s_add_u32 s10, s4, s2
	s_addc_u32 s11, s5, s3
	v_mov_b64_e32 v[2:3], s[10:11]
	;;#ASMSTART
	global_load_dwordx4 v[2:5], v[2:3] off sc1	
s_waitcnt vmcnt(0)
	;;#ASMEND
	v_mov_b32_e32 v7, 0
	v_and_b32_e32 v6, 0xff, v4
	s_mov_b64 s[8:9], 0
	v_cmp_eq_u64_e32 vcc, 0, v[6:7]
	s_and_saveexec_b64 s[2:3], vcc
	s_cbranch_execz .LBB122_8
; %bb.3:
	s_mov_b32 s13, 1
	v_mov_b64_e32 v[8:9], s[10:11]
.LBB122_4:                              ; =>This Loop Header: Depth=1
                                        ;     Child Loop BB122_5 Depth 2
	s_max_u32 s10, s13, 1
.LBB122_5:                              ;   Parent Loop BB122_4 Depth=1
                                        ; =>  This Inner Loop Header: Depth=2
	s_add_i32 s10, s10, -1
	s_cmp_eq_u32 s10, 0
	s_sleep 1
	s_cbranch_scc0 .LBB122_5
; %bb.6:                                ;   in Loop: Header=BB122_4 Depth=1
	s_cmp_lt_u32 s13, 32
	s_cselect_b64 s[10:11], -1, 0
	s_cmp_lg_u64 s[10:11], 0
	;;#ASMSTART
	global_load_dwordx4 v[2:5], v[8:9] off sc1	
s_waitcnt vmcnt(0)
	;;#ASMEND
	s_addc_u32 s13, s13, 0
	v_and_b32_e32 v6, 0xff, v4
	v_cmp_ne_u64_e32 vcc, 0, v[6:7]
	s_or_b64 s[8:9], vcc, s[8:9]
	s_andn2_b64 exec, exec, s[8:9]
	s_cbranch_execnz .LBB122_4
; %bb.7:
	s_or_b64 exec, exec, s[8:9]
.LBB122_8:
	s_or_b64 exec, exec, s[2:3]
	v_mov_b32_e32 v1, 0
	global_store_dwordx2 v1, v[2:3], s[6:7]
.LBB122_9:
	s_or_b64 exec, exec, s[0:1]
.LBB122_10:
	v_cmp_gt_u32_e32 vcc, s12, v0
	s_and_saveexec_b64 s[0:1], vcc
	s_cbranch_execnz .LBB122_13
; %bb.11:
	s_or_b64 exec, exec, s[0:1]
	v_cmp_gt_u32_e32 vcc, 64, v0
	s_and_saveexec_b64 s[0:1], vcc
	s_cbranch_execnz .LBB122_14
.LBB122_12:
	s_endpgm
.LBB122_13:
	v_add_u32_e32 v2, 64, v0
	v_mov_b32_e32 v3, 0
	v_lshl_add_u64 v[6:7], v[2:3], 4, s[4:5]
	v_mov_b32_e32 v2, v3
	v_mov_b32_e32 v4, v3
	;; [unrolled: 1-line block ×3, first 2 shown]
	global_store_dwordx4 v[6:7], v[2:5], off
	s_or_b64 exec, exec, s[0:1]
	v_cmp_gt_u32_e32 vcc, 64, v0
	s_and_saveexec_b64 s[0:1], vcc
	s_cbranch_execz .LBB122_12
.LBB122_14:
	v_mov_b32_e32 v1, 0
	v_lshl_add_u64 v[4:5], v[0:1], 4, s[4:5]
	v_mov_b32_e32 v2, 0xff
	v_mov_b32_e32 v0, v1
	;; [unrolled: 1-line block ×3, first 2 shown]
	global_store_dwordx4 v[4:5], v[0:3], off
	s_endpgm
	.section	.rodata,"a",@progbits
	.p2align	6, 0x0
	.amdhsa_kernel _ZN7rocprim17ROCPRIM_400000_NS6detail31init_lookback_scan_state_kernelINS1_19lookback_scan_stateIlLb1ELb1EEENS1_16block_id_wrapperIjLb0EEEEEvT_jT0_jPNS7_10value_typeE
		.amdhsa_group_segment_fixed_size 0
		.amdhsa_private_segment_fixed_size 0
		.amdhsa_kernarg_size 288
		.amdhsa_user_sgpr_count 2
		.amdhsa_user_sgpr_dispatch_ptr 0
		.amdhsa_user_sgpr_queue_ptr 0
		.amdhsa_user_sgpr_kernarg_segment_ptr 1
		.amdhsa_user_sgpr_dispatch_id 0
		.amdhsa_user_sgpr_kernarg_preload_length 0
		.amdhsa_user_sgpr_kernarg_preload_offset 0
		.amdhsa_user_sgpr_private_segment_size 0
		.amdhsa_uses_dynamic_stack 0
		.amdhsa_enable_private_segment 0
		.amdhsa_system_sgpr_workgroup_id_x 1
		.amdhsa_system_sgpr_workgroup_id_y 0
		.amdhsa_system_sgpr_workgroup_id_z 0
		.amdhsa_system_sgpr_workgroup_info 0
		.amdhsa_system_vgpr_workitem_id 0
		.amdhsa_next_free_vgpr 10
		.amdhsa_next_free_sgpr 14
		.amdhsa_accum_offset 12
		.amdhsa_reserve_vcc 1
		.amdhsa_float_round_mode_32 0
		.amdhsa_float_round_mode_16_64 0
		.amdhsa_float_denorm_mode_32 3
		.amdhsa_float_denorm_mode_16_64 3
		.amdhsa_dx10_clamp 1
		.amdhsa_ieee_mode 1
		.amdhsa_fp16_overflow 0
		.amdhsa_tg_split 0
		.amdhsa_exception_fp_ieee_invalid_op 0
		.amdhsa_exception_fp_denorm_src 0
		.amdhsa_exception_fp_ieee_div_zero 0
		.amdhsa_exception_fp_ieee_overflow 0
		.amdhsa_exception_fp_ieee_underflow 0
		.amdhsa_exception_fp_ieee_inexact 0
		.amdhsa_exception_int_div_zero 0
	.end_amdhsa_kernel
	.section	.text._ZN7rocprim17ROCPRIM_400000_NS6detail31init_lookback_scan_state_kernelINS1_19lookback_scan_stateIlLb1ELb1EEENS1_16block_id_wrapperIjLb0EEEEEvT_jT0_jPNS7_10value_typeE,"axG",@progbits,_ZN7rocprim17ROCPRIM_400000_NS6detail31init_lookback_scan_state_kernelINS1_19lookback_scan_stateIlLb1ELb1EEENS1_16block_id_wrapperIjLb0EEEEEvT_jT0_jPNS7_10value_typeE,comdat
.Lfunc_end122:
	.size	_ZN7rocprim17ROCPRIM_400000_NS6detail31init_lookback_scan_state_kernelINS1_19lookback_scan_stateIlLb1ELb1EEENS1_16block_id_wrapperIjLb0EEEEEvT_jT0_jPNS7_10value_typeE, .Lfunc_end122-_ZN7rocprim17ROCPRIM_400000_NS6detail31init_lookback_scan_state_kernelINS1_19lookback_scan_stateIlLb1ELb1EEENS1_16block_id_wrapperIjLb0EEEEEvT_jT0_jPNS7_10value_typeE
                                        ; -- End function
	.section	.AMDGPU.csdata,"",@progbits
; Kernel info:
; codeLenInByte = 392
; NumSgprs: 20
; NumVgprs: 10
; NumAgprs: 0
; TotalNumVgprs: 10
; ScratchSize: 0
; MemoryBound: 0
; FloatMode: 240
; IeeeMode: 1
; LDSByteSize: 0 bytes/workgroup (compile time only)
; SGPRBlocks: 2
; VGPRBlocks: 1
; NumSGPRsForWavesPerEU: 20
; NumVGPRsForWavesPerEU: 10
; AccumOffset: 12
; Occupancy: 8
; WaveLimiterHint : 0
; COMPUTE_PGM_RSRC2:SCRATCH_EN: 0
; COMPUTE_PGM_RSRC2:USER_SGPR: 2
; COMPUTE_PGM_RSRC2:TRAP_HANDLER: 0
; COMPUTE_PGM_RSRC2:TGID_X_EN: 1
; COMPUTE_PGM_RSRC2:TGID_Y_EN: 0
; COMPUTE_PGM_RSRC2:TGID_Z_EN: 0
; COMPUTE_PGM_RSRC2:TIDIG_COMP_CNT: 0
; COMPUTE_PGM_RSRC3_GFX90A:ACCUM_OFFSET: 2
; COMPUTE_PGM_RSRC3_GFX90A:TG_SPLIT: 0
	.section	.text._ZN7rocprim17ROCPRIM_400000_NS6detail17trampoline_kernelINS0_14default_configENS1_20scan_config_selectorIlEEZZNS1_9scan_implILNS1_25lookback_scan_determinismE0ELb0ELb0ES3_PlS8_lN6thrust23THRUST_200600_302600_NS4plusIvEElEEDaPvRmT3_T4_T5_mT6_P12ihipStream_tbENKUlT_T0_E_clISt17integral_constantIbLb1EESP_IbLb0EEEEDaSL_SM_EUlSL_E_NS1_11comp_targetILNS1_3genE0ELNS1_11target_archE4294967295ELNS1_3gpuE0ELNS1_3repE0EEENS1_30default_config_static_selectorELNS0_4arch9wavefront6targetE1EEEvT1_,"axG",@progbits,_ZN7rocprim17ROCPRIM_400000_NS6detail17trampoline_kernelINS0_14default_configENS1_20scan_config_selectorIlEEZZNS1_9scan_implILNS1_25lookback_scan_determinismE0ELb0ELb0ES3_PlS8_lN6thrust23THRUST_200600_302600_NS4plusIvEElEEDaPvRmT3_T4_T5_mT6_P12ihipStream_tbENKUlT_T0_E_clISt17integral_constantIbLb1EESP_IbLb0EEEEDaSL_SM_EUlSL_E_NS1_11comp_targetILNS1_3genE0ELNS1_11target_archE4294967295ELNS1_3gpuE0ELNS1_3repE0EEENS1_30default_config_static_selectorELNS0_4arch9wavefront6targetE1EEEvT1_,comdat
	.protected	_ZN7rocprim17ROCPRIM_400000_NS6detail17trampoline_kernelINS0_14default_configENS1_20scan_config_selectorIlEEZZNS1_9scan_implILNS1_25lookback_scan_determinismE0ELb0ELb0ES3_PlS8_lN6thrust23THRUST_200600_302600_NS4plusIvEElEEDaPvRmT3_T4_T5_mT6_P12ihipStream_tbENKUlT_T0_E_clISt17integral_constantIbLb1EESP_IbLb0EEEEDaSL_SM_EUlSL_E_NS1_11comp_targetILNS1_3genE0ELNS1_11target_archE4294967295ELNS1_3gpuE0ELNS1_3repE0EEENS1_30default_config_static_selectorELNS0_4arch9wavefront6targetE1EEEvT1_ ; -- Begin function _ZN7rocprim17ROCPRIM_400000_NS6detail17trampoline_kernelINS0_14default_configENS1_20scan_config_selectorIlEEZZNS1_9scan_implILNS1_25lookback_scan_determinismE0ELb0ELb0ES3_PlS8_lN6thrust23THRUST_200600_302600_NS4plusIvEElEEDaPvRmT3_T4_T5_mT6_P12ihipStream_tbENKUlT_T0_E_clISt17integral_constantIbLb1EESP_IbLb0EEEEDaSL_SM_EUlSL_E_NS1_11comp_targetILNS1_3genE0ELNS1_11target_archE4294967295ELNS1_3gpuE0ELNS1_3repE0EEENS1_30default_config_static_selectorELNS0_4arch9wavefront6targetE1EEEvT1_
	.globl	_ZN7rocprim17ROCPRIM_400000_NS6detail17trampoline_kernelINS0_14default_configENS1_20scan_config_selectorIlEEZZNS1_9scan_implILNS1_25lookback_scan_determinismE0ELb0ELb0ES3_PlS8_lN6thrust23THRUST_200600_302600_NS4plusIvEElEEDaPvRmT3_T4_T5_mT6_P12ihipStream_tbENKUlT_T0_E_clISt17integral_constantIbLb1EESP_IbLb0EEEEDaSL_SM_EUlSL_E_NS1_11comp_targetILNS1_3genE0ELNS1_11target_archE4294967295ELNS1_3gpuE0ELNS1_3repE0EEENS1_30default_config_static_selectorELNS0_4arch9wavefront6targetE1EEEvT1_
	.p2align	8
	.type	_ZN7rocprim17ROCPRIM_400000_NS6detail17trampoline_kernelINS0_14default_configENS1_20scan_config_selectorIlEEZZNS1_9scan_implILNS1_25lookback_scan_determinismE0ELb0ELb0ES3_PlS8_lN6thrust23THRUST_200600_302600_NS4plusIvEElEEDaPvRmT3_T4_T5_mT6_P12ihipStream_tbENKUlT_T0_E_clISt17integral_constantIbLb1EESP_IbLb0EEEEDaSL_SM_EUlSL_E_NS1_11comp_targetILNS1_3genE0ELNS1_11target_archE4294967295ELNS1_3gpuE0ELNS1_3repE0EEENS1_30default_config_static_selectorELNS0_4arch9wavefront6targetE1EEEvT1_,@function
_ZN7rocprim17ROCPRIM_400000_NS6detail17trampoline_kernelINS0_14default_configENS1_20scan_config_selectorIlEEZZNS1_9scan_implILNS1_25lookback_scan_determinismE0ELb0ELb0ES3_PlS8_lN6thrust23THRUST_200600_302600_NS4plusIvEElEEDaPvRmT3_T4_T5_mT6_P12ihipStream_tbENKUlT_T0_E_clISt17integral_constantIbLb1EESP_IbLb0EEEEDaSL_SM_EUlSL_E_NS1_11comp_targetILNS1_3genE0ELNS1_11target_archE4294967295ELNS1_3gpuE0ELNS1_3repE0EEENS1_30default_config_static_selectorELNS0_4arch9wavefront6targetE1EEEvT1_: ; @_ZN7rocprim17ROCPRIM_400000_NS6detail17trampoline_kernelINS0_14default_configENS1_20scan_config_selectorIlEEZZNS1_9scan_implILNS1_25lookback_scan_determinismE0ELb0ELb0ES3_PlS8_lN6thrust23THRUST_200600_302600_NS4plusIvEElEEDaPvRmT3_T4_T5_mT6_P12ihipStream_tbENKUlT_T0_E_clISt17integral_constantIbLb1EESP_IbLb0EEEEDaSL_SM_EUlSL_E_NS1_11comp_targetILNS1_3genE0ELNS1_11target_archE4294967295ELNS1_3gpuE0ELNS1_3repE0EEENS1_30default_config_static_selectorELNS0_4arch9wavefront6targetE1EEEvT1_
; %bb.0:
	.section	.rodata,"a",@progbits
	.p2align	6, 0x0
	.amdhsa_kernel _ZN7rocprim17ROCPRIM_400000_NS6detail17trampoline_kernelINS0_14default_configENS1_20scan_config_selectorIlEEZZNS1_9scan_implILNS1_25lookback_scan_determinismE0ELb0ELb0ES3_PlS8_lN6thrust23THRUST_200600_302600_NS4plusIvEElEEDaPvRmT3_T4_T5_mT6_P12ihipStream_tbENKUlT_T0_E_clISt17integral_constantIbLb1EESP_IbLb0EEEEDaSL_SM_EUlSL_E_NS1_11comp_targetILNS1_3genE0ELNS1_11target_archE4294967295ELNS1_3gpuE0ELNS1_3repE0EEENS1_30default_config_static_selectorELNS0_4arch9wavefront6targetE1EEEvT1_
		.amdhsa_group_segment_fixed_size 0
		.amdhsa_private_segment_fixed_size 0
		.amdhsa_kernarg_size 104
		.amdhsa_user_sgpr_count 2
		.amdhsa_user_sgpr_dispatch_ptr 0
		.amdhsa_user_sgpr_queue_ptr 0
		.amdhsa_user_sgpr_kernarg_segment_ptr 1
		.amdhsa_user_sgpr_dispatch_id 0
		.amdhsa_user_sgpr_kernarg_preload_length 0
		.amdhsa_user_sgpr_kernarg_preload_offset 0
		.amdhsa_user_sgpr_private_segment_size 0
		.amdhsa_uses_dynamic_stack 0
		.amdhsa_enable_private_segment 0
		.amdhsa_system_sgpr_workgroup_id_x 1
		.amdhsa_system_sgpr_workgroup_id_y 0
		.amdhsa_system_sgpr_workgroup_id_z 0
		.amdhsa_system_sgpr_workgroup_info 0
		.amdhsa_system_vgpr_workitem_id 0
		.amdhsa_next_free_vgpr 1
		.amdhsa_next_free_sgpr 0
		.amdhsa_accum_offset 4
		.amdhsa_reserve_vcc 0
		.amdhsa_float_round_mode_32 0
		.amdhsa_float_round_mode_16_64 0
		.amdhsa_float_denorm_mode_32 3
		.amdhsa_float_denorm_mode_16_64 3
		.amdhsa_dx10_clamp 1
		.amdhsa_ieee_mode 1
		.amdhsa_fp16_overflow 0
		.amdhsa_tg_split 0
		.amdhsa_exception_fp_ieee_invalid_op 0
		.amdhsa_exception_fp_denorm_src 0
		.amdhsa_exception_fp_ieee_div_zero 0
		.amdhsa_exception_fp_ieee_overflow 0
		.amdhsa_exception_fp_ieee_underflow 0
		.amdhsa_exception_fp_ieee_inexact 0
		.amdhsa_exception_int_div_zero 0
	.end_amdhsa_kernel
	.section	.text._ZN7rocprim17ROCPRIM_400000_NS6detail17trampoline_kernelINS0_14default_configENS1_20scan_config_selectorIlEEZZNS1_9scan_implILNS1_25lookback_scan_determinismE0ELb0ELb0ES3_PlS8_lN6thrust23THRUST_200600_302600_NS4plusIvEElEEDaPvRmT3_T4_T5_mT6_P12ihipStream_tbENKUlT_T0_E_clISt17integral_constantIbLb1EESP_IbLb0EEEEDaSL_SM_EUlSL_E_NS1_11comp_targetILNS1_3genE0ELNS1_11target_archE4294967295ELNS1_3gpuE0ELNS1_3repE0EEENS1_30default_config_static_selectorELNS0_4arch9wavefront6targetE1EEEvT1_,"axG",@progbits,_ZN7rocprim17ROCPRIM_400000_NS6detail17trampoline_kernelINS0_14default_configENS1_20scan_config_selectorIlEEZZNS1_9scan_implILNS1_25lookback_scan_determinismE0ELb0ELb0ES3_PlS8_lN6thrust23THRUST_200600_302600_NS4plusIvEElEEDaPvRmT3_T4_T5_mT6_P12ihipStream_tbENKUlT_T0_E_clISt17integral_constantIbLb1EESP_IbLb0EEEEDaSL_SM_EUlSL_E_NS1_11comp_targetILNS1_3genE0ELNS1_11target_archE4294967295ELNS1_3gpuE0ELNS1_3repE0EEENS1_30default_config_static_selectorELNS0_4arch9wavefront6targetE1EEEvT1_,comdat
.Lfunc_end123:
	.size	_ZN7rocprim17ROCPRIM_400000_NS6detail17trampoline_kernelINS0_14default_configENS1_20scan_config_selectorIlEEZZNS1_9scan_implILNS1_25lookback_scan_determinismE0ELb0ELb0ES3_PlS8_lN6thrust23THRUST_200600_302600_NS4plusIvEElEEDaPvRmT3_T4_T5_mT6_P12ihipStream_tbENKUlT_T0_E_clISt17integral_constantIbLb1EESP_IbLb0EEEEDaSL_SM_EUlSL_E_NS1_11comp_targetILNS1_3genE0ELNS1_11target_archE4294967295ELNS1_3gpuE0ELNS1_3repE0EEENS1_30default_config_static_selectorELNS0_4arch9wavefront6targetE1EEEvT1_, .Lfunc_end123-_ZN7rocprim17ROCPRIM_400000_NS6detail17trampoline_kernelINS0_14default_configENS1_20scan_config_selectorIlEEZZNS1_9scan_implILNS1_25lookback_scan_determinismE0ELb0ELb0ES3_PlS8_lN6thrust23THRUST_200600_302600_NS4plusIvEElEEDaPvRmT3_T4_T5_mT6_P12ihipStream_tbENKUlT_T0_E_clISt17integral_constantIbLb1EESP_IbLb0EEEEDaSL_SM_EUlSL_E_NS1_11comp_targetILNS1_3genE0ELNS1_11target_archE4294967295ELNS1_3gpuE0ELNS1_3repE0EEENS1_30default_config_static_selectorELNS0_4arch9wavefront6targetE1EEEvT1_
                                        ; -- End function
	.section	.AMDGPU.csdata,"",@progbits
; Kernel info:
; codeLenInByte = 0
; NumSgprs: 6
; NumVgprs: 0
; NumAgprs: 0
; TotalNumVgprs: 0
; ScratchSize: 0
; MemoryBound: 0
; FloatMode: 240
; IeeeMode: 1
; LDSByteSize: 0 bytes/workgroup (compile time only)
; SGPRBlocks: 0
; VGPRBlocks: 0
; NumSGPRsForWavesPerEU: 6
; NumVGPRsForWavesPerEU: 1
; AccumOffset: 4
; Occupancy: 8
; WaveLimiterHint : 0
; COMPUTE_PGM_RSRC2:SCRATCH_EN: 0
; COMPUTE_PGM_RSRC2:USER_SGPR: 2
; COMPUTE_PGM_RSRC2:TRAP_HANDLER: 0
; COMPUTE_PGM_RSRC2:TGID_X_EN: 1
; COMPUTE_PGM_RSRC2:TGID_Y_EN: 0
; COMPUTE_PGM_RSRC2:TGID_Z_EN: 0
; COMPUTE_PGM_RSRC2:TIDIG_COMP_CNT: 0
; COMPUTE_PGM_RSRC3_GFX90A:ACCUM_OFFSET: 0
; COMPUTE_PGM_RSRC3_GFX90A:TG_SPLIT: 0
	.section	.text._ZN7rocprim17ROCPRIM_400000_NS6detail17trampoline_kernelINS0_14default_configENS1_20scan_config_selectorIlEEZZNS1_9scan_implILNS1_25lookback_scan_determinismE0ELb0ELb0ES3_PlS8_lN6thrust23THRUST_200600_302600_NS4plusIvEElEEDaPvRmT3_T4_T5_mT6_P12ihipStream_tbENKUlT_T0_E_clISt17integral_constantIbLb1EESP_IbLb0EEEEDaSL_SM_EUlSL_E_NS1_11comp_targetILNS1_3genE5ELNS1_11target_archE942ELNS1_3gpuE9ELNS1_3repE0EEENS1_30default_config_static_selectorELNS0_4arch9wavefront6targetE1EEEvT1_,"axG",@progbits,_ZN7rocprim17ROCPRIM_400000_NS6detail17trampoline_kernelINS0_14default_configENS1_20scan_config_selectorIlEEZZNS1_9scan_implILNS1_25lookback_scan_determinismE0ELb0ELb0ES3_PlS8_lN6thrust23THRUST_200600_302600_NS4plusIvEElEEDaPvRmT3_T4_T5_mT6_P12ihipStream_tbENKUlT_T0_E_clISt17integral_constantIbLb1EESP_IbLb0EEEEDaSL_SM_EUlSL_E_NS1_11comp_targetILNS1_3genE5ELNS1_11target_archE942ELNS1_3gpuE9ELNS1_3repE0EEENS1_30default_config_static_selectorELNS0_4arch9wavefront6targetE1EEEvT1_,comdat
	.protected	_ZN7rocprim17ROCPRIM_400000_NS6detail17trampoline_kernelINS0_14default_configENS1_20scan_config_selectorIlEEZZNS1_9scan_implILNS1_25lookback_scan_determinismE0ELb0ELb0ES3_PlS8_lN6thrust23THRUST_200600_302600_NS4plusIvEElEEDaPvRmT3_T4_T5_mT6_P12ihipStream_tbENKUlT_T0_E_clISt17integral_constantIbLb1EESP_IbLb0EEEEDaSL_SM_EUlSL_E_NS1_11comp_targetILNS1_3genE5ELNS1_11target_archE942ELNS1_3gpuE9ELNS1_3repE0EEENS1_30default_config_static_selectorELNS0_4arch9wavefront6targetE1EEEvT1_ ; -- Begin function _ZN7rocprim17ROCPRIM_400000_NS6detail17trampoline_kernelINS0_14default_configENS1_20scan_config_selectorIlEEZZNS1_9scan_implILNS1_25lookback_scan_determinismE0ELb0ELb0ES3_PlS8_lN6thrust23THRUST_200600_302600_NS4plusIvEElEEDaPvRmT3_T4_T5_mT6_P12ihipStream_tbENKUlT_T0_E_clISt17integral_constantIbLb1EESP_IbLb0EEEEDaSL_SM_EUlSL_E_NS1_11comp_targetILNS1_3genE5ELNS1_11target_archE942ELNS1_3gpuE9ELNS1_3repE0EEENS1_30default_config_static_selectorELNS0_4arch9wavefront6targetE1EEEvT1_
	.globl	_ZN7rocprim17ROCPRIM_400000_NS6detail17trampoline_kernelINS0_14default_configENS1_20scan_config_selectorIlEEZZNS1_9scan_implILNS1_25lookback_scan_determinismE0ELb0ELb0ES3_PlS8_lN6thrust23THRUST_200600_302600_NS4plusIvEElEEDaPvRmT3_T4_T5_mT6_P12ihipStream_tbENKUlT_T0_E_clISt17integral_constantIbLb1EESP_IbLb0EEEEDaSL_SM_EUlSL_E_NS1_11comp_targetILNS1_3genE5ELNS1_11target_archE942ELNS1_3gpuE9ELNS1_3repE0EEENS1_30default_config_static_selectorELNS0_4arch9wavefront6targetE1EEEvT1_
	.p2align	8
	.type	_ZN7rocprim17ROCPRIM_400000_NS6detail17trampoline_kernelINS0_14default_configENS1_20scan_config_selectorIlEEZZNS1_9scan_implILNS1_25lookback_scan_determinismE0ELb0ELb0ES3_PlS8_lN6thrust23THRUST_200600_302600_NS4plusIvEElEEDaPvRmT3_T4_T5_mT6_P12ihipStream_tbENKUlT_T0_E_clISt17integral_constantIbLb1EESP_IbLb0EEEEDaSL_SM_EUlSL_E_NS1_11comp_targetILNS1_3genE5ELNS1_11target_archE942ELNS1_3gpuE9ELNS1_3repE0EEENS1_30default_config_static_selectorELNS0_4arch9wavefront6targetE1EEEvT1_,@function
_ZN7rocprim17ROCPRIM_400000_NS6detail17trampoline_kernelINS0_14default_configENS1_20scan_config_selectorIlEEZZNS1_9scan_implILNS1_25lookback_scan_determinismE0ELb0ELb0ES3_PlS8_lN6thrust23THRUST_200600_302600_NS4plusIvEElEEDaPvRmT3_T4_T5_mT6_P12ihipStream_tbENKUlT_T0_E_clISt17integral_constantIbLb1EESP_IbLb0EEEEDaSL_SM_EUlSL_E_NS1_11comp_targetILNS1_3genE5ELNS1_11target_archE942ELNS1_3gpuE9ELNS1_3repE0EEENS1_30default_config_static_selectorELNS0_4arch9wavefront6targetE1EEEvT1_: ; @_ZN7rocprim17ROCPRIM_400000_NS6detail17trampoline_kernelINS0_14default_configENS1_20scan_config_selectorIlEEZZNS1_9scan_implILNS1_25lookback_scan_determinismE0ELb0ELb0ES3_PlS8_lN6thrust23THRUST_200600_302600_NS4plusIvEElEEDaPvRmT3_T4_T5_mT6_P12ihipStream_tbENKUlT_T0_E_clISt17integral_constantIbLb1EESP_IbLb0EEEEDaSL_SM_EUlSL_E_NS1_11comp_targetILNS1_3genE5ELNS1_11target_archE942ELNS1_3gpuE9ELNS1_3repE0EEENS1_30default_config_static_selectorELNS0_4arch9wavefront6targetE1EEEvT1_
; %bb.0:
	s_load_dwordx8 s[16:23], s[0:1], 0x0
	s_load_dword s3, s[0:1], 0x38
	s_mul_i32 s4, s2, 0xf00
	s_mov_b32 s5, 0
	v_lshlrev_b32_e32 v54, 3, v0
	s_waitcnt lgkmcnt(0)
	s_lshl_b64 s[10:11], s[18:19], 3
	s_add_u32 s6, s16, s10
	s_addc_u32 s7, s17, s11
	s_add_i32 s3, s3, -1
	s_mul_i32 s8, s3, 0xf00
	s_sub_u32 s30, s22, s8
	s_subb_u32 s31, s23, 0
	s_cmp_lg_u32 s2, s3
	s_cselect_b64 s[22:23], -1, 0
	s_lshl_b64 s[24:25], s[4:5], 3
	s_add_u32 s6, s6, s24
	s_addc_u32 s7, s7, s25
	s_mov_b64 s[4:5], -1
	s_and_b64 vcc, exec, s[22:23]
	s_cbranch_vccz .LBB124_2
; %bb.1:
	v_mov_b32_e32 v55, 0
	v_lshl_add_u64 v[2:3], s[6:7], 0, v[54:55]
	v_add_co_u32_e32 v8, vcc, 0x1000, v2
	global_load_dwordx2 v[4:5], v54, s[6:7]
	global_load_dwordx2 v[6:7], v54, s[6:7] offset:2048
	v_addc_co_u32_e32 v9, vcc, 0, v3, vcc
	v_add_co_u32_e32 v10, vcc, 0x2000, v2
	s_mov_b64 s[4:5], 0
	s_nop 0
	v_addc_co_u32_e32 v11, vcc, 0, v3, vcc
	global_load_dwordx2 v[12:13], v[8:9], off
	global_load_dwordx2 v[14:15], v[8:9], off offset:2048
	global_load_dwordx2 v[16:17], v[10:11], off
	global_load_dwordx2 v[18:19], v[10:11], off offset:2048
	v_add_co_u32_e32 v8, vcc, 0x3000, v2
	s_nop 1
	v_addc_co_u32_e32 v9, vcc, 0, v3, vcc
	v_add_co_u32_e32 v10, vcc, 0x4000, v2
	s_nop 1
	v_addc_co_u32_e32 v11, vcc, 0, v3, vcc
	global_load_dwordx2 v[20:21], v[8:9], off
	global_load_dwordx2 v[22:23], v[8:9], off offset:2048
	global_load_dwordx2 v[24:25], v[10:11], off
	global_load_dwordx2 v[26:27], v[10:11], off offset:2048
	v_add_co_u32_e32 v8, vcc, 0x5000, v2
	s_nop 1
	v_addc_co_u32_e32 v9, vcc, 0, v3, vcc
	v_add_co_u32_e32 v10, vcc, 0x6000, v2
	s_nop 1
	v_addc_co_u32_e32 v11, vcc, 0, v3, vcc
	global_load_dwordx2 v[28:29], v[8:9], off
	global_load_dwordx2 v[30:31], v[8:9], off offset:2048
	global_load_dwordx2 v[32:33], v[10:11], off
	global_load_dwordx2 v[34:35], v[10:11], off offset:2048
	v_add_co_u32_e32 v2, vcc, 0x7000, v2
	s_nop 1
	v_addc_co_u32_e32 v3, vcc, 0, v3, vcc
	global_load_dwordx2 v[2:3], v[2:3], off
	s_waitcnt vmcnt(13)
	ds_write2st64_b64 v54, v[4:5], v[6:7] offset1:4
	s_waitcnt vmcnt(11)
	ds_write2st64_b64 v54, v[12:13], v[14:15] offset0:8 offset1:12
	s_waitcnt vmcnt(9)
	ds_write2st64_b64 v54, v[16:17], v[18:19] offset0:16 offset1:20
	;; [unrolled: 2-line block ×6, first 2 shown]
	s_waitcnt vmcnt(0)
	ds_write_b64 v54, v[2:3] offset:28672
	s_waitcnt lgkmcnt(0)
	s_barrier
.LBB124_2:
	s_load_dwordx2 s[26:27], s[0:1], 0x30
	s_andn2_b64 vcc, exec, s[4:5]
	v_cmp_gt_u32_e64 s[4:5], s30, v0
	s_cbranch_vccnz .LBB124_34
; %bb.3:
	s_load_dwordx2 s[36:37], s[6:7], 0x0
	s_waitcnt lgkmcnt(0)
	s_mov_b32 s38, s36
	s_mov_b32 s39, s37
	s_mov_b32 s40, s36
	s_mov_b32 s41, s37
	s_mov_b32 s42, s36
	s_mov_b32 s43, s37
	s_mov_b32 s44, s36
	s_mov_b32 s45, s37
	s_mov_b32 s46, s36
	s_mov_b32 s47, s37
	s_mov_b32 s48, s36
	s_mov_b32 s49, s37
	s_mov_b32 s50, s36
	s_mov_b32 s51, s37
	s_mov_b32 s52, s36
	s_mov_b32 s53, s37
	s_mov_b32 s54, s36
	s_mov_b32 s55, s37
	s_mov_b32 s56, s36
	s_mov_b32 s57, s37
	s_mov_b32 s58, s36
	s_mov_b32 s59, s37
	s_mov_b32 s60, s36
	s_mov_b32 s61, s37
	s_mov_b32 s62, s36
	s_mov_b32 s63, s37
	s_mov_b32 s64, s36
	s_mov_b32 s65, s37
	v_mov_b64_e32 v[2:3], s[36:37]
	v_mov_b64_e32 v[4:5], s[38:39]
	;; [unrolled: 1-line block ×16, first 2 shown]
	s_and_saveexec_b64 s[8:9], s[4:5]
	s_cbranch_execz .LBB124_5
; %bb.4:
	global_load_dwordx2 v[2:3], v54, s[6:7]
	v_mov_b32_e32 v4, s36
	v_mov_b32_e32 v5, s37
	;; [unrolled: 1-line block ×28, first 2 shown]
.LBB124_5:
	s_or_b64 exec, exec, s[8:9]
	v_or_b32_e32 v1, 0x100, v0
	v_cmp_gt_u32_e32 vcc, s30, v1
	s_and_saveexec_b64 s[4:5], vcc
	s_cbranch_execz .LBB124_7
; %bb.6:
	global_load_dwordx2 v[4:5], v54, s[6:7] offset:2048
.LBB124_7:
	s_or_b64 exec, exec, s[4:5]
	v_or_b32_e32 v1, 0x200, v0
	v_cmp_gt_u32_e32 vcc, s30, v1
	s_and_saveexec_b64 s[4:5], vcc
	s_cbranch_execz .LBB124_9
; %bb.8:
	v_lshlrev_b32_e32 v1, 3, v1
	global_load_dwordx2 v[6:7], v1, s[6:7]
.LBB124_9:
	s_or_b64 exec, exec, s[4:5]
	v_or_b32_e32 v1, 0x300, v0
	v_cmp_gt_u32_e32 vcc, s30, v1
	s_and_saveexec_b64 s[4:5], vcc
	s_cbranch_execz .LBB124_11
; %bb.10:
	v_lshlrev_b32_e32 v1, 3, v1
	global_load_dwordx2 v[8:9], v1, s[6:7]
.LBB124_11:
	;; [unrolled: 9-line block ×13, first 2 shown]
	s_or_b64 exec, exec, s[4:5]
	s_waitcnt vmcnt(0)
	ds_write2st64_b64 v54, v[2:3], v[4:5] offset1:4
	ds_write2st64_b64 v54, v[6:7], v[8:9] offset0:8 offset1:12
	ds_write2st64_b64 v54, v[10:11], v[12:13] offset0:16 offset1:20
	;; [unrolled: 1-line block ×6, first 2 shown]
	ds_write_b64 v54, v[30:31] offset:28672
	s_waitcnt lgkmcnt(0)
	s_barrier
.LBB124_34:
	v_mul_u32_u24_e32 v72, 15, v0
	v_lshlrev_b32_e32 v1, 3, v72
	s_waitcnt lgkmcnt(0)
	ds_read2_b64 v[2:5], v1 offset1:1
	ds_read2_b64 v[6:9], v1 offset0:2 offset1:3
	ds_read2_b64 v[10:13], v1 offset0:4 offset1:5
	;; [unrolled: 1-line block ×6, first 2 shown]
	ds_read_b64 v[56:57], v1 offset:112
	s_load_dwordx8 s[12:19], s[0:1], 0x40
	s_cmp_lg_u32 s2, 0
	v_lshrrev_b32_e32 v1, 5, v0
	v_cmp_gt_u32_e32 vcc, 64, v0
	s_waitcnt lgkmcnt(0)
	s_barrier
	s_cbranch_scc0 .LBB124_65
; %bb.35:
	v_lshl_add_u64 v[30:31], v[4:5], 0, v[2:3]
	v_lshl_add_u64 v[30:31], v[30:31], 0, v[6:7]
	;; [unrolled: 1-line block ×14, first 2 shown]
	v_add_lshl_u32 v30, v1, v0, 3
	ds_write_b64 v30, v[34:35]
	s_waitcnt lgkmcnt(0)
	s_barrier
	s_and_saveexec_b64 s[6:7], vcc
	s_cbranch_execz .LBB124_39
; %bb.36:
	v_lshlrev_b32_e32 v30, 2, v0
	v_lshrrev_b32_e32 v31, 3, v0
	v_add_lshl_u32 v42, v31, v30, 3
	ds_read2_b64 v[30:33], v42 offset1:1
	ds_read2_b64 v[38:41], v42 offset0:2 offset1:3
	v_mov_b32_e32 v36, 0
	v_mbcnt_lo_u32_b32 v37, -1, 0
	v_mbcnt_hi_u32_b32 v43, -1, v37
	s_waitcnt lgkmcnt(1)
	v_lshl_add_u64 v[32:33], v[32:33], 0, v[30:31]
	s_waitcnt lgkmcnt(0)
	v_lshl_add_u64 v[32:33], v[32:33], 0, v[38:39]
	v_lshl_add_u64 v[32:33], v[32:33], 0, v[40:41]
	v_mov_b32_e32 v39, v36
	v_and_b32_e32 v44, 15, v43
	v_mov_b32_dpp v38, v32 row_shr:1 row_mask:0xf bank_mask:0xf
	v_mov_b32_dpp v37, v33 row_shr:1 row_mask:0xf bank_mask:0xf
	v_lshl_add_u64 v[38:39], v[32:33], 0, v[38:39]
	v_lshl_add_u64 v[40:41], v[36:37], 0, v[38:39]
	v_cmp_eq_u32_e64 s[0:1], 0, v44
	v_cmp_ne_u32_e64 s[4:5], 0, v43
	s_nop 0
	v_cndmask_b32_e64 v37, v38, v32, s[0:1]
	v_cndmask_b32_e64 v39, v41, v33, s[0:1]
	v_cndmask_b32_e64 v38, v40, v32, s[0:1]
	v_mov_b32_dpp v40, v37 row_shr:2 row_mask:0xf bank_mask:0xf
	v_mov_b32_dpp v41, v39 row_shr:2 row_mask:0xf bank_mask:0xf
	v_lshl_add_u64 v[40:41], v[40:41], 0, v[38:39]
	v_cmp_lt_u32_e64 s[0:1], 1, v44
	s_nop 1
	v_cndmask_b32_e64 v37, v37, v40, s[0:1]
	v_cndmask_b32_e64 v39, v39, v41, s[0:1]
	v_cndmask_b32_e64 v38, v38, v40, s[0:1]
	v_mov_b32_dpp v40, v37 row_shr:4 row_mask:0xf bank_mask:0xf
	v_mov_b32_dpp v41, v39 row_shr:4 row_mask:0xf bank_mask:0xf
	v_lshl_add_u64 v[40:41], v[40:41], 0, v[38:39]
	v_cmp_lt_u32_e64 s[0:1], 3, v44
	;; [unrolled: 8-line block ×3, first 2 shown]
	v_and_b32_e32 v44, 16, v43
	s_nop 0
	v_cndmask_b32_e64 v37, v37, v40, s[0:1]
	v_cndmask_b32_e64 v39, v39, v41, s[0:1]
	;; [unrolled: 1-line block ×3, first 2 shown]
	v_mov_b32_dpp v40, v37 row_bcast:15 row_mask:0xf bank_mask:0xf
	v_mov_b32_dpp v41, v39 row_bcast:15 row_mask:0xf bank_mask:0xf
	v_lshl_add_u64 v[40:41], v[40:41], 0, v[38:39]
	v_cmp_eq_u32_e64 s[0:1], 0, v44
	s_nop 1
	v_cndmask_b32_e64 v44, v41, v39, s[0:1]
	v_cndmask_b32_e64 v37, v40, v37, s[0:1]
	s_nop 0
	v_mov_b32_dpp v44, v44 row_bcast:31 row_mask:0xf bank_mask:0xf
	v_mov_b32_dpp v37, v37 row_bcast:31 row_mask:0xf bank_mask:0xf
	s_and_saveexec_b64 s[8:9], s[4:5]
; %bb.37:
	v_cndmask_b32_e64 v33, v41, v39, s[0:1]
	v_cndmask_b32_e64 v32, v40, v38, s[0:1]
	v_cmp_lt_u32_e64 s[0:1], 31, v43
	s_nop 1
	v_cndmask_b32_e64 v39, 0, v44, s[0:1]
	v_cndmask_b32_e64 v38, 0, v37, s[0:1]
	v_lshl_add_u64 v[32:33], v[38:39], 0, v[32:33]
; %bb.38:
	s_or_b64 exec, exec, s[8:9]
	v_add_u32_e32 v37, -1, v43
	v_and_b32_e32 v38, 64, v43
	v_cmp_lt_i32_e64 s[0:1], v37, v38
	; wave barrier
	s_nop 1
	v_cndmask_b32_e64 v37, v37, v43, s[0:1]
	v_lshlrev_b32_e32 v37, 2, v37
	ds_bpermute_b32 v32, v37, v32
	ds_bpermute_b32 v37, v37, v33
	v_mov_b32_e32 v33, v36
	v_cmp_eq_u32_e64 s[0:1], 0, v0
	s_waitcnt lgkmcnt(1)
	v_lshl_add_u64 v[30:31], v[30:31], 0, v[32:33]
	s_waitcnt lgkmcnt(0)
	v_lshl_add_u64 v[30:31], v[30:31], 0, v[36:37]
	v_cndmask_b32_e64 v35, v31, v35, s[0:1]
	v_cndmask_b32_e64 v34, v30, v34, s[0:1]
	ds_write_b64 v42, v[34:35]
	; wave barrier
	ds_read2_b64 v[30:33], v42 offset0:1 offset1:2
	ds_read_b64 v[36:37], v42 offset:24
	s_waitcnt lgkmcnt(1)
	v_lshl_add_u64 v[30:31], v[30:31], 0, v[34:35]
	v_lshl_add_u64 v[32:33], v[32:33], 0, v[30:31]
	ds_write2_b64 v42, v[30:31], v[32:33] offset0:1 offset1:2
	s_waitcnt lgkmcnt(1)
	v_lshl_add_u64 v[30:31], v[36:37], 0, v[32:33]
	ds_write_b64 v42, v[30:31] offset:24
.LBB124_39:
	s_or_b64 exec, exec, s[6:7]
	v_cmp_eq_u32_e64 s[0:1], 0, v0
	v_cmp_ne_u32_e64 s[4:5], 0, v0
	v_mov_b64_e32 v[38:39], 0
	s_waitcnt lgkmcnt(0)
	s_barrier
	s_and_saveexec_b64 s[6:7], s[4:5]
	s_cbranch_execz .LBB124_41
; %bb.40:
	v_add_u32_e32 v30, -1, v0
	v_lshrrev_b32_e32 v31, 5, v30
	v_add_lshl_u32 v30, v31, v30, 3
	ds_read_b64 v[38:39], v30
.LBB124_41:
	s_or_b64 exec, exec, s[6:7]
	s_and_saveexec_b64 s[28:29], vcc
	s_cbranch_execz .LBB124_64
; %bb.42:
	v_mov_b32_e32 v33, 0
	ds_read_b64 v[30:31], v33 offset:2096
	v_mbcnt_lo_u32_b32 v32, -1, 0
	v_mbcnt_hi_u32_b32 v44, -1, v32
	s_mov_b32 s9, 0
	v_cmp_eq_u32_e64 s[4:5], 0, v44
	s_and_saveexec_b64 s[6:7], s[4:5]
	s_cbranch_execz .LBB124_44
; %bb.43:
	s_add_i32 s8, s2, 64
	s_lshl_b64 s[8:9], s[8:9], 4
	s_add_u32 s8, s26, s8
	s_addc_u32 s9, s27, s9
	v_mov_b32_e32 v32, 1
	v_mov_b64_e32 v[34:35], s[8:9]
	s_waitcnt lgkmcnt(0)
	;;#ASMSTART
	global_store_dwordx4 v[34:35], v[30:33] off sc1	
s_waitcnt vmcnt(0)
	;;#ASMEND
.LBB124_44:
	s_or_b64 exec, exec, s[6:7]
	v_xad_u32 v40, v44, -1, s2
	v_add_u32_e32 v32, 64, v40
	v_lshl_add_u64 v[42:43], v[32:33], 4, s[26:27]
	;;#ASMSTART
	global_load_dwordx4 v[34:37], v[42:43] off sc1	
s_waitcnt vmcnt(0)
	;;#ASMEND
	s_nop 0
	v_and_b32_e32 v32, 0xff, v35
	v_and_b32_e32 v37, 0xff00, v35
	v_or3_b32 v34, v34, 0, 0
	v_and_b32_e32 v41, 0xff000000, v35
	v_or3_b32 v32, 0, v32, v37
	;; [unrolled: 2-line block ×3, first 2 shown]
	v_or3_b32 v34, v34, 0, 0
	v_cmp_eq_u16_sdwa s[8:9], v36, v33 src0_sel:BYTE_0 src1_sel:DWORD
	s_and_saveexec_b64 s[6:7], s[8:9]
	s_cbranch_execz .LBB124_50
; %bb.45:
	s_mov_b32 s3, 1
	s_mov_b64 s[8:9], 0
	v_mov_b32_e32 v32, 0
.LBB124_46:                             ; =>This Loop Header: Depth=1
                                        ;     Child Loop BB124_47 Depth 2
	s_max_u32 s33, s3, 1
.LBB124_47:                             ;   Parent Loop BB124_46 Depth=1
                                        ; =>  This Inner Loop Header: Depth=2
	s_add_i32 s33, s33, -1
	s_cmp_eq_u32 s33, 0
	s_sleep 1
	s_cbranch_scc0 .LBB124_47
; %bb.48:                               ;   in Loop: Header=BB124_46 Depth=1
	s_cmp_lt_u32 s3, 32
	s_cselect_b64 s[34:35], -1, 0
	s_cmp_lg_u64 s[34:35], 0
	s_addc_u32 s3, s3, 0
	;;#ASMSTART
	global_load_dwordx4 v[34:37], v[42:43] off sc1	
s_waitcnt vmcnt(0)
	;;#ASMEND
	s_nop 0
	v_cmp_ne_u16_sdwa s[34:35], v36, v32 src0_sel:BYTE_0 src1_sel:DWORD
	s_or_b64 s[8:9], s[34:35], s[8:9]
	s_andn2_b64 exec, exec, s[8:9]
	s_cbranch_execnz .LBB124_46
; %bb.49:
	s_or_b64 exec, exec, s[8:9]
.LBB124_50:
	s_or_b64 exec, exec, s[6:7]
	v_mov_b32_e32 v46, 2
	v_cmp_eq_u16_sdwa s[6:7], v36, v46 src0_sel:BYTE_0 src1_sel:DWORD
	v_lshlrev_b64 v[32:33], v44, -1
	v_and_b32_e32 v47, 63, v44
	v_and_b32_e32 v37, s7, v33
	v_or_b32_e32 v37, 0x80000000, v37
	v_and_b32_e32 v41, s6, v32
	v_ffbl_b32_e32 v37, v37
	v_add_u32_e32 v37, 32, v37
	v_ffbl_b32_e32 v41, v41
	v_cmp_ne_u32_e32 vcc, 63, v47
	v_min_u32_e32 v37, v41, v37
	v_cmp_gt_u32_e64 s[6:7], 62, v47
	v_addc_co_u32_e32 v41, vcc, 0, v44, vcc
	v_lshlrev_b32_e32 v48, 2, v41
	ds_bpermute_b32 v42, v48, v34
	ds_bpermute_b32 v51, v48, v35
	v_mov_b32_e32 v41, 0
	v_mov_b32_e32 v43, v41
	;; [unrolled: 1-line block ×3, first 2 shown]
	s_waitcnt lgkmcnt(1)
	v_lshl_add_u64 v[42:43], v[34:35], 0, v[42:43]
	v_cmp_lt_u32_e32 vcc, v47, v37
	s_waitcnt lgkmcnt(0)
	v_lshl_add_u64 v[50:51], v[50:51], 0, v[42:43]
	v_cmp_gt_u32_e64 s[8:9], 60, v47
	v_cndmask_b32_e32 v45, v34, v42, vcc
	v_cndmask_b32_e64 v42, 0, 1, s[6:7]
	v_lshlrev_b32_e32 v42, 1, v42
	v_cndmask_b32_e32 v43, v35, v51, vcc
	v_add_lshl_u32 v49, v42, v44, 2
	ds_bpermute_b32 v52, v49, v45
	ds_bpermute_b32 v53, v49, v43
	v_cndmask_b32_e32 v42, v34, v50, vcc
	v_add_u32_e32 v50, 2, v47
	v_cndmask_b32_e64 v51, 0, 1, s[8:9]
	v_cmp_gt_u32_e64 s[6:7], v50, v37
	s_waitcnt lgkmcnt(0)
	v_lshl_add_u64 v[52:53], v[52:53], 0, v[42:43]
	v_lshlrev_b32_e32 v51, 2, v51
	v_cndmask_b32_e64 v45, v52, v45, s[6:7]
	v_cndmask_b32_e64 v43, v53, v43, s[6:7]
	v_add_lshl_u32 v51, v51, v44, 2
	ds_bpermute_b32 v58, v51, v45
	ds_bpermute_b32 v59, v51, v43
	v_cmp_gt_u32_e64 s[8:9], 56, v47
	v_cndmask_b32_e64 v42, v52, v42, s[6:7]
	v_add_u32_e32 v52, 4, v47
	v_cndmask_b32_e64 v53, 0, 1, s[8:9]
	s_waitcnt lgkmcnt(0)
	v_lshl_add_u64 v[58:59], v[58:59], 0, v[42:43]
	v_cmp_gt_u32_e64 s[6:7], v52, v37
	v_lshlrev_b32_e32 v53, 3, v53
	v_add_lshl_u32 v53, v53, v44, 2
	v_cndmask_b32_e64 v45, v58, v45, s[6:7]
	v_cndmask_b32_e64 v43, v59, v43, s[6:7]
	ds_bpermute_b32 v60, v53, v45
	ds_bpermute_b32 v61, v53, v43
	v_cmp_gt_u32_e64 s[8:9], 48, v47
	v_cndmask_b32_e64 v42, v58, v42, s[6:7]
	v_add_u32_e32 v55, 8, v47
	v_cndmask_b32_e64 v58, 0, 1, s[8:9]
	s_waitcnt lgkmcnt(0)
	v_lshl_add_u64 v[60:61], v[60:61], 0, v[42:43]
	v_cmp_gt_u32_e64 s[6:7], v55, v37
	v_lshlrev_b32_e32 v58, 4, v58
	v_add_lshl_u32 v58, v58, v44, 2
	v_cndmask_b32_e64 v45, v60, v45, s[6:7]
	v_cndmask_b32_e64 v43, v61, v43, s[6:7]
	;; [unrolled: 13-line block ×3, first 2 shown]
	ds_bpermute_b32 v44, v60, v43
	ds_bpermute_b32 v63, v60, v45
	v_add_u32_e32 v61, 32, v47
	v_cndmask_b32_e64 v42, v62, v42, s[6:7]
	v_cmp_le_u32_e64 s[6:7], v61, v37
	s_waitcnt lgkmcnt(1)
	s_nop 0
	v_cndmask_b32_e64 v45, 0, v44, s[6:7]
	s_waitcnt lgkmcnt(0)
	v_cndmask_b32_e64 v44, 0, v63, s[6:7]
	v_lshl_add_u64 v[42:43], v[44:45], 0, v[42:43]
	v_cndmask_b32_e32 v35, v35, v43, vcc
	v_cndmask_b32_e32 v34, v34, v42, vcc
	s_branch .LBB124_52
.LBB124_51:                             ;   in Loop: Header=BB124_52 Depth=1
	s_or_b64 exec, exec, s[6:7]
	v_cmp_eq_u16_sdwa s[6:7], v36, v46 src0_sel:BYTE_0 src1_sel:DWORD
	v_subrev_u32_e32 v37, 64, v40
	ds_bpermute_b32 v45, v48, v35
	v_and_b32_e32 v40, s7, v33
	v_or_b32_e32 v40, 0x80000000, v40
	v_ffbl_b32_e32 v40, v40
	v_add_u32_e32 v62, 32, v40
	ds_bpermute_b32 v40, v48, v34
	v_and_b32_e32 v44, s6, v32
	v_ffbl_b32_e32 v44, v44
	v_min_u32_e32 v66, v44, v62
	v_mov_b32_e32 v44, v41
	s_waitcnt lgkmcnt(0)
	v_lshl_add_u64 v[62:63], v[34:35], 0, v[40:41]
	v_lshl_add_u64 v[44:45], v[44:45], 0, v[62:63]
	v_cmp_lt_u32_e32 vcc, v47, v66
	v_cmp_gt_u32_e64 s[6:7], v50, v66
	s_nop 0
	v_cndmask_b32_e32 v40, v34, v62, vcc
	v_cndmask_b32_e32 v45, v35, v45, vcc
	ds_bpermute_b32 v62, v49, v40
	ds_bpermute_b32 v63, v49, v45
	v_cndmask_b32_e32 v44, v34, v44, vcc
	s_waitcnt lgkmcnt(0)
	v_lshl_add_u64 v[62:63], v[62:63], 0, v[44:45]
	v_cndmask_b32_e64 v40, v62, v40, s[6:7]
	v_cndmask_b32_e64 v45, v63, v45, s[6:7]
	ds_bpermute_b32 v64, v51, v40
	ds_bpermute_b32 v65, v51, v45
	v_cndmask_b32_e64 v44, v62, v44, s[6:7]
	v_cmp_gt_u32_e64 s[6:7], v52, v66
	s_waitcnt lgkmcnt(0)
	v_lshl_add_u64 v[62:63], v[64:65], 0, v[44:45]
	v_cndmask_b32_e64 v40, v62, v40, s[6:7]
	v_cndmask_b32_e64 v45, v63, v45, s[6:7]
	ds_bpermute_b32 v64, v53, v40
	ds_bpermute_b32 v65, v53, v45
	v_cndmask_b32_e64 v44, v62, v44, s[6:7]
	v_cmp_gt_u32_e64 s[6:7], v55, v66
	;; [unrolled: 8-line block ×3, first 2 shown]
	s_waitcnt lgkmcnt(0)
	v_lshl_add_u64 v[62:63], v[64:65], 0, v[44:45]
	v_cndmask_b32_e64 v40, v62, v40, s[6:7]
	v_cndmask_b32_e64 v45, v63, v45, s[6:7]
	ds_bpermute_b32 v63, v60, v45
	ds_bpermute_b32 v40, v60, v40
	v_cndmask_b32_e64 v44, v62, v44, s[6:7]
	v_cmp_le_u32_e64 s[6:7], v61, v66
	s_waitcnt lgkmcnt(1)
	s_nop 0
	v_cndmask_b32_e64 v63, 0, v63, s[6:7]
	s_waitcnt lgkmcnt(0)
	v_cndmask_b32_e64 v62, 0, v40, s[6:7]
	v_lshl_add_u64 v[44:45], v[62:63], 0, v[44:45]
	v_cndmask_b32_e32 v35, v35, v45, vcc
	v_cndmask_b32_e32 v34, v34, v44, vcc
	v_lshl_add_u64 v[34:35], v[34:35], 0, v[42:43]
	v_mov_b32_e32 v40, v37
.LBB124_52:                             ; =>This Loop Header: Depth=1
                                        ;     Child Loop BB124_55 Depth 2
                                        ;       Child Loop BB124_56 Depth 3
	v_cmp_ne_u16_sdwa s[6:7], v36, v46 src0_sel:BYTE_0 src1_sel:DWORD
	v_mov_b64_e32 v[42:43], v[34:35]
	s_nop 0
	v_cndmask_b32_e64 v36, 0, 1, s[6:7]
	;;#ASMSTART
	;;#ASMEND
	s_nop 0
	v_cmp_ne_u32_e32 vcc, 0, v36
	s_cmp_lg_u64 vcc, exec
	s_cbranch_scc1 .LBB124_59
; %bb.53:                               ;   in Loop: Header=BB124_52 Depth=1
	v_lshl_add_u64 v[44:45], v[40:41], 4, s[26:27]
	;;#ASMSTART
	global_load_dwordx4 v[34:37], v[44:45] off sc1	
s_waitcnt vmcnt(0)
	;;#ASMEND
	s_nop 0
	v_and_b32_e32 v37, 0xff, v35
	v_and_b32_e32 v62, 0xff00, v35
	v_or3_b32 v34, v34, 0, 0
	v_and_b32_e32 v63, 0xff000000, v35
	v_or3_b32 v37, 0, v37, v62
	;; [unrolled: 2-line block ×3, first 2 shown]
	v_or3_b32 v34, v34, 0, 0
	v_cmp_eq_u16_sdwa s[8:9], v36, v41 src0_sel:BYTE_0 src1_sel:DWORD
	s_and_saveexec_b64 s[6:7], s[8:9]
	s_cbranch_execz .LBB124_51
; %bb.54:                               ;   in Loop: Header=BB124_52 Depth=1
	s_mov_b32 s3, 1
	s_mov_b64 s[8:9], 0
.LBB124_55:                             ;   Parent Loop BB124_52 Depth=1
                                        ; =>  This Loop Header: Depth=2
                                        ;       Child Loop BB124_56 Depth 3
	s_max_u32 s33, s3, 1
.LBB124_56:                             ;   Parent Loop BB124_52 Depth=1
                                        ;     Parent Loop BB124_55 Depth=2
                                        ; =>    This Inner Loop Header: Depth=3
	s_add_i32 s33, s33, -1
	s_cmp_eq_u32 s33, 0
	s_sleep 1
	s_cbranch_scc0 .LBB124_56
; %bb.57:                               ;   in Loop: Header=BB124_55 Depth=2
	s_cmp_lt_u32 s3, 32
	s_cselect_b64 s[34:35], -1, 0
	s_cmp_lg_u64 s[34:35], 0
	s_addc_u32 s3, s3, 0
	;;#ASMSTART
	global_load_dwordx4 v[34:37], v[44:45] off sc1	
s_waitcnt vmcnt(0)
	;;#ASMEND
	s_nop 0
	v_cmp_ne_u16_sdwa s[34:35], v36, v41 src0_sel:BYTE_0 src1_sel:DWORD
	s_or_b64 s[8:9], s[34:35], s[8:9]
	s_andn2_b64 exec, exec, s[8:9]
	s_cbranch_execnz .LBB124_55
; %bb.58:                               ;   in Loop: Header=BB124_52 Depth=1
	s_or_b64 exec, exec, s[8:9]
	s_branch .LBB124_51
.LBB124_59:                             ;   in Loop: Header=BB124_52 Depth=1
                                        ; implicit-def: $vgpr34_vgpr35
                                        ; implicit-def: $vgpr36
	s_cbranch_execz .LBB124_52
; %bb.60:
	s_and_saveexec_b64 s[6:7], s[4:5]
	s_cbranch_execz .LBB124_62
; %bb.61:
	s_add_i32 s2, s2, 64
	s_mov_b32 s3, 0
	s_lshl_b64 s[2:3], s[2:3], 4
	s_add_u32 s2, s26, s2
	s_addc_u32 s3, s27, s3
	v_lshl_add_u64 v[30:31], v[42:43], 0, v[30:31]
	v_mov_b32_e32 v32, 2
	v_mov_b32_e32 v33, 0
	v_mov_b64_e32 v[34:35], s[2:3]
	;;#ASMSTART
	global_store_dwordx4 v[34:35], v[30:33] off sc1	
s_waitcnt vmcnt(0)
	;;#ASMEND
.LBB124_62:
	s_or_b64 exec, exec, s[6:7]
	s_and_b64 exec, exec, s[0:1]
	s_cbranch_execz .LBB124_64
; %bb.63:
	v_mov_b32_e32 v30, 0
	ds_write_b64 v30, v[42:43]
.LBB124_64:
	s_or_b64 exec, exec, s[28:29]
	v_mov_b32_e32 v30, 0
	s_waitcnt lgkmcnt(0)
	s_barrier
	ds_read_b64 v[30:31], v30
	v_lshl_add_u64 v[32:33], v[38:39], 0, v[2:3]
	s_waitcnt lgkmcnt(0)
	v_lshl_add_u64 v[40:41], v[32:33], 0, v[30:31]
	v_lshl_add_u64 v[70:71], v[40:41], 0, v[4:5]
	;; [unrolled: 1-line block ×15, first 2 shown]
	s_branch .LBB124_79
.LBB124_65:
                                        ; implicit-def: $vgpr34_vgpr35_vgpr36_vgpr37
                                        ; implicit-def: $vgpr44_vgpr45_vgpr46_vgpr47
                                        ; implicit-def: $vgpr36_vgpr37_vgpr38_vgpr39
                                        ; implicit-def: $vgpr46_vgpr47_vgpr48_vgpr49
                                        ; implicit-def: $vgpr30_vgpr31
                                        ; implicit-def: $vgpr58_vgpr59
                                        ; implicit-def: $vgpr60_vgpr61
                                        ; implicit-def: $vgpr62_vgpr63
                                        ; implicit-def: $vgpr64_vgpr65
                                        ; implicit-def: $vgpr66_vgpr67
                                        ; implicit-def: $vgpr68_vgpr69
                                        ; implicit-def: $vgpr70_vgpr71
                                        ; implicit-def: $vgpr38_vgpr39_vgpr40_vgpr41
                                        ; implicit-def: $vgpr48_vgpr49_vgpr50_vgpr51
                                        ; implicit-def: $vgpr40_vgpr41_vgpr42_vgpr43
	s_cbranch_execz .LBB124_79
; %bb.66:
	s_cmp_lg_u64 s[16:17], 0
	s_cselect_b64 s[2:3], -1, 0
	v_cmp_eq_u32_e64 s[0:1], 0, v0
	v_cmp_ne_u32_e32 vcc, 0, v0
	s_and_b64 s[4:5], s[0:1], s[2:3]
	v_mov_b64_e32 v[40:41], v[2:3]
	s_and_saveexec_b64 s[2:3], s[4:5]
	s_cbranch_execz .LBB124_68
; %bb.67:
	v_mov_b32_e32 v30, 0
	global_load_dwordx2 v[30:31], v30, s[12:13]
	s_waitcnt vmcnt(0)
	v_lshl_add_u64 v[40:41], v[30:31], 0, v[2:3]
.LBB124_68:
	s_or_b64 exec, exec, s[2:3]
	v_lshl_add_u64 v[70:71], v[4:5], 0, v[40:41]
	v_lshl_add_u64 v[48:49], v[70:71], 0, v[6:7]
	v_lshl_add_u64 v[68:69], v[48:49], 0, v[8:9]
	v_lshl_add_u64 v[46:47], v[68:69], 0, v[10:11]
	v_lshl_add_u64 v[66:67], v[46:47], 0, v[12:13]
	v_lshl_add_u64 v[44:45], v[66:67], 0, v[14:15]
	v_lshl_add_u64 v[64:65], v[44:45], 0, v[16:17]
	v_lshl_add_u64 v[38:39], v[64:65], 0, v[18:19]
	v_lshl_add_u64 v[62:63], v[38:39], 0, v[20:21]
	v_lshl_add_u64 v[36:37], v[62:63], 0, v[22:23]
	v_lshl_add_u64 v[60:61], v[36:37], 0, v[24:25]
	v_lshl_add_u64 v[34:35], v[60:61], 0, v[26:27]
	v_lshl_add_u64 v[58:59], v[34:35], 0, v[28:29]
	v_lshl_add_u64 v[30:31], v[58:59], 0, v[56:57]
	v_add_lshl_u32 v1, v1, v0, 3
	v_cmp_gt_u32_e64 s[2:3], 64, v0
	ds_write_b64 v1, v[30:31]
	s_waitcnt lgkmcnt(0)
	s_barrier
	s_and_saveexec_b64 s[6:7], s[2:3]
	s_cbranch_execz .LBB124_72
; %bb.69:
	v_lshlrev_b32_e32 v1, 2, v0
	v_lshrrev_b32_e32 v2, 3, v0
	v_add_lshl_u32 v1, v2, v1, 3
	ds_read2_b64 v[50:53], v1 offset1:1
	ds_read2_b64 v[74:77], v1 offset0:2 offset1:3
	v_mov_b32_e32 v2, 0
	v_mbcnt_lo_u32_b32 v3, -1, 0
	v_mbcnt_hi_u32_b32 v55, -1, v3
	s_waitcnt lgkmcnt(1)
	v_lshl_add_u64 v[32:33], v[52:53], 0, v[50:51]
	s_waitcnt lgkmcnt(0)
	v_lshl_add_u64 v[32:33], v[32:33], 0, v[74:75]
	v_lshl_add_u64 v[32:33], v[32:33], 0, v[76:77]
	v_mov_b32_e32 v43, v2
	v_and_b32_e32 v73, 15, v55
	v_mov_b32_dpp v42, v32 row_shr:1 row_mask:0xf bank_mask:0xf
	v_mov_b32_dpp v3, v33 row_shr:1 row_mask:0xf bank_mask:0xf
	v_lshl_add_u64 v[42:43], v[32:33], 0, v[42:43]
	v_lshl_add_u64 v[52:53], v[2:3], 0, v[42:43]
	v_cmp_eq_u32_e64 s[2:3], 0, v73
	v_cmp_ne_u32_e64 s[4:5], 0, v55
	s_nop 0
	v_cndmask_b32_e64 v3, v42, v32, s[2:3]
	v_cndmask_b32_e64 v43, v53, v33, s[2:3]
	v_cndmask_b32_e64 v42, v52, v32, s[2:3]
	v_mov_b32_dpp v52, v3 row_shr:2 row_mask:0xf bank_mask:0xf
	v_mov_b32_dpp v53, v43 row_shr:2 row_mask:0xf bank_mask:0xf
	v_lshl_add_u64 v[52:53], v[52:53], 0, v[42:43]
	v_cmp_lt_u32_e64 s[2:3], 1, v73
	s_nop 1
	v_cndmask_b32_e64 v3, v3, v52, s[2:3]
	v_cndmask_b32_e64 v43, v43, v53, s[2:3]
	v_cndmask_b32_e64 v42, v42, v52, s[2:3]
	v_mov_b32_dpp v52, v3 row_shr:4 row_mask:0xf bank_mask:0xf
	v_mov_b32_dpp v53, v43 row_shr:4 row_mask:0xf bank_mask:0xf
	v_lshl_add_u64 v[52:53], v[52:53], 0, v[42:43]
	v_cmp_lt_u32_e64 s[2:3], 3, v73
	;; [unrolled: 8-line block ×3, first 2 shown]
	v_and_b32_e32 v73, 16, v55
	s_nop 0
	v_cndmask_b32_e64 v3, v3, v52, s[2:3]
	v_cndmask_b32_e64 v43, v43, v53, s[2:3]
	;; [unrolled: 1-line block ×3, first 2 shown]
	v_mov_b32_dpp v52, v3 row_bcast:15 row_mask:0xf bank_mask:0xf
	v_mov_b32_dpp v53, v43 row_bcast:15 row_mask:0xf bank_mask:0xf
	v_lshl_add_u64 v[52:53], v[52:53], 0, v[42:43]
	v_cmp_eq_u32_e64 s[2:3], 0, v73
	s_nop 1
	v_cndmask_b32_e64 v73, v53, v43, s[2:3]
	v_cndmask_b32_e64 v3, v52, v3, s[2:3]
	s_nop 0
	v_mov_b32_dpp v73, v73 row_bcast:31 row_mask:0xf bank_mask:0xf
	v_mov_b32_dpp v3, v3 row_bcast:31 row_mask:0xf bank_mask:0xf
	s_and_saveexec_b64 s[8:9], s[4:5]
; %bb.70:
	v_cndmask_b32_e64 v33, v53, v43, s[2:3]
	v_cndmask_b32_e64 v32, v52, v42, s[2:3]
	v_cmp_lt_u32_e64 s[2:3], 31, v55
	s_nop 1
	v_cndmask_b32_e64 v43, 0, v73, s[2:3]
	v_cndmask_b32_e64 v42, 0, v3, s[2:3]
	v_lshl_add_u64 v[32:33], v[42:43], 0, v[32:33]
; %bb.71:
	s_or_b64 exec, exec, s[8:9]
	v_add_u32_e32 v3, -1, v55
	v_and_b32_e32 v42, 64, v55
	v_cmp_lt_i32_e64 s[2:3], v3, v42
	; wave barrier
	s_nop 1
	v_cndmask_b32_e64 v3, v3, v55, s[2:3]
	v_lshlrev_b32_e32 v3, 2, v3
	ds_bpermute_b32 v32, v3, v32
	ds_bpermute_b32 v3, v3, v33
	v_mov_b32_e32 v33, v2
	s_waitcnt lgkmcnt(1)
	v_lshl_add_u64 v[32:33], v[50:51], 0, v[32:33]
	s_waitcnt lgkmcnt(0)
	v_lshl_add_u64 v[2:3], v[32:33], 0, v[2:3]
	v_cndmask_b32_e64 v3, v3, v31, s[0:1]
	v_cndmask_b32_e64 v2, v2, v30, s[0:1]
	ds_write_b64 v1, v[2:3]
	; wave barrier
	ds_read2_b64 v[50:53], v1 offset0:1 offset1:2
	ds_read_b64 v[32:33], v1 offset:24
	s_waitcnt lgkmcnt(1)
	v_lshl_add_u64 v[2:3], v[50:51], 0, v[2:3]
	v_lshl_add_u64 v[42:43], v[52:53], 0, v[2:3]
	ds_write2_b64 v1, v[2:3], v[42:43] offset0:1 offset1:2
	s_waitcnt lgkmcnt(1)
	v_lshl_add_u64 v[2:3], v[32:33], 0, v[42:43]
	ds_write_b64 v1, v[2:3] offset:24
.LBB124_72:
	s_or_b64 exec, exec, s[6:7]
	v_mov_b64_e32 v[2:3], v[30:31]
	s_waitcnt lgkmcnt(0)
	s_barrier
	s_and_saveexec_b64 s[0:1], vcc
	s_cbranch_execz .LBB124_74
; %bb.73:
	v_add_u32_e32 v1, -1, v0
	v_lshrrev_b32_e32 v2, 5, v1
	v_add_lshl_u32 v1, v2, v1, 3
	ds_read_b64 v[2:3], v1
.LBB124_74:
	s_or_b64 exec, exec, s[0:1]
	s_and_saveexec_b64 s[0:1], vcc
	s_cbranch_execz .LBB124_76
; %bb.75:
	s_waitcnt lgkmcnt(0)
	v_lshl_add_u64 v[40:41], v[2:3], 0, v[40:41]
	v_lshl_add_u64 v[70:71], v[40:41], 0, v[4:5]
	;; [unrolled: 1-line block ×15, first 2 shown]
	;;#ASMSTART
	;;#ASMEND
.LBB124_76:
	s_or_b64 exec, exec, s[0:1]
	s_movk_i32 s0, 0xff
	v_cmp_eq_u32_e32 vcc, s0, v0
	s_and_saveexec_b64 s[0:1], vcc
	s_cbranch_execz .LBB124_78
; %bb.77:
	s_add_u32 s2, s26, 0x400
	s_addc_u32 s3, s27, 0
	v_mov_b32_e32 v32, 2
	v_mov_b32_e32 v33, 0
	s_waitcnt lgkmcnt(0)
	v_mov_b64_e32 v[2:3], s[2:3]
	;;#ASMSTART
	global_store_dwordx4 v[2:3], v[30:33] off sc1	
s_waitcnt vmcnt(0)
	;;#ASMEND
.LBB124_78:
	s_or_b64 exec, exec, s[0:1]
.LBB124_79:
	s_add_u32 s0, s20, s10
	s_addc_u32 s1, s21, s11
	s_add_u32 s0, s0, s24
	s_addc_u32 s1, s1, s25
	s_mov_b64 s[2:3], -1
	s_and_b64 vcc, exec, s[22:23]
	s_waitcnt lgkmcnt(0)
	s_barrier
	s_cbranch_vccz .LBB124_81
; %bb.80:
	v_mul_u32_u24_e32 v1, 0x78, v0
	s_movk_i32 s2, 0x78
	ds_write2_b64 v1, v[40:41], v[70:71] offset1:1
	ds_write2_b64 v1, v[48:49], v[68:69] offset0:2 offset1:3
	ds_write2_b64 v1, v[46:47], v[66:67] offset0:4 offset1:5
	;; [unrolled: 1-line block ×6, first 2 shown]
	ds_write_b64 v1, v[30:31] offset:112
	v_mul_i32_i24_e32 v1, 0xffffff90, v0
	v_mad_u32_u24 v1, v0, s2, v1
	v_mov_b32_e32 v55, 0
	s_waitcnt lgkmcnt(0)
	s_barrier
	ds_read2st64_b64 v[2:5], v1 offset1:4
	ds_read2st64_b64 v[6:9], v1 offset0:8 offset1:12
	ds_read2st64_b64 v[10:13], v1 offset0:16 offset1:20
	;; [unrolled: 1-line block ×6, first 2 shown]
	ds_read_b64 v[32:33], v1 offset:28672
	v_lshl_add_u64 v[42:43], s[0:1], 0, v[54:55]
	s_movk_i32 s2, 0x1000
	s_waitcnt lgkmcnt(7)
	global_store_dwordx2 v54, v[2:3], s[0:1]
	global_store_dwordx2 v54, v[4:5], s[0:1] offset:2048
	v_add_co_u32_e32 v2, vcc, s2, v42
	s_movk_i32 s2, 0x2000
	s_nop 0
	v_addc_co_u32_e32 v3, vcc, 0, v43, vcc
	v_add_co_u32_e32 v4, vcc, s2, v42
	s_movk_i32 s2, 0x3000
	s_nop 0
	v_addc_co_u32_e32 v5, vcc, 0, v43, vcc
	s_waitcnt lgkmcnt(6)
	global_store_dwordx2 v[4:5], v[6:7], off offset:-4096
	global_store_dwordx2 v[2:3], v[8:9], off offset:2048
	s_waitcnt lgkmcnt(5)
	global_store_dwordx2 v[4:5], v[10:11], off
	global_store_dwordx2 v[4:5], v[12:13], off offset:2048
	v_add_co_u32_e32 v2, vcc, s2, v42
	s_movk_i32 s2, 0x4000
	s_nop 0
	v_addc_co_u32_e32 v3, vcc, 0, v43, vcc
	v_add_co_u32_e32 v4, vcc, s2, v42
	s_movk_i32 s2, 0x5000
	s_nop 0
	v_addc_co_u32_e32 v5, vcc, 0, v43, vcc
	s_waitcnt lgkmcnt(4)
	global_store_dwordx2 v[4:5], v[14:15], off offset:-4096
	global_store_dwordx2 v[2:3], v[16:17], off offset:2048
	s_waitcnt lgkmcnt(3)
	global_store_dwordx2 v[4:5], v[18:19], off
	global_store_dwordx2 v[4:5], v[20:21], off offset:2048
	v_add_co_u32_e32 v2, vcc, s2, v42
	s_mov_b64 s[2:3], 0
	s_nop 0
	v_addc_co_u32_e32 v3, vcc, 0, v43, vcc
	s_waitcnt lgkmcnt(2)
	global_store_dwordx2 v[2:3], v[22:23], off
	global_store_dwordx2 v[2:3], v[24:25], off offset:2048
	v_add_co_u32_e32 v2, vcc, 0x6000, v42
	s_nop 1
	v_addc_co_u32_e32 v3, vcc, 0, v43, vcc
	s_waitcnt lgkmcnt(1)
	global_store_dwordx2 v[2:3], v[26:27], off
	global_store_dwordx2 v[2:3], v[28:29], off offset:2048
	v_add_co_u32_e32 v2, vcc, 0x7000, v42
	s_nop 1
	v_addc_co_u32_e32 v3, vcc, 0, v43, vcc
	s_waitcnt lgkmcnt(0)
	global_store_dwordx2 v[2:3], v[32:33], off
.LBB124_81:
	s_andn2_b64 vcc, exec, s[2:3]
	s_cbranch_vccnz .LBB124_167
; %bb.82:
	v_mul_u32_u24_e32 v1, 0x78, v0
	s_movk_i32 s2, 0x78
	ds_write2_b64 v1, v[40:41], v[70:71] offset1:1
	ds_write2_b64 v1, v[48:49], v[68:69] offset0:2 offset1:3
	ds_write2_b64 v1, v[46:47], v[66:67] offset0:4 offset1:5
	;; [unrolled: 1-line block ×6, first 2 shown]
	ds_write_b64 v1, v[30:31] offset:112
	v_mul_i32_i24_e32 v1, 0xffffff90, v0
	v_mad_u32_u24 v1, v0, s2, v1
	s_waitcnt lgkmcnt(0)
	s_barrier
	ds_read2st64_b64 v[6:9], v1 offset1:4
	ds_read2st64_b64 v[14:17], v1 offset0:8 offset1:12
	ds_read2st64_b64 v[10:13], v1 offset0:16 offset1:20
	ds_read2st64_b64 v[26:29], v1 offset0:24 offset1:28
	ds_read2st64_b64 v[18:21], v1 offset0:32 offset1:36
	ds_read2st64_b64 v[2:5], v1 offset0:40 offset1:44
	ds_read2st64_b64 v[22:25], v1 offset0:48 offset1:52
	ds_read_b64 v[30:31], v1 offset:28672
	v_mov_b32_e32 v55, 0
	v_lshl_add_u64 v[32:33], s[0:1], 0, v[54:55]
	v_cmp_gt_u32_e32 vcc, s30, v0
	s_and_saveexec_b64 s[0:1], vcc
	s_cbranch_execz .LBB124_84
; %bb.83:
	s_waitcnt lgkmcnt(7)
	global_store_dwordx2 v[32:33], v[6:7], off
.LBB124_84:
	s_or_b64 exec, exec, s[0:1]
	v_or_b32_e32 v1, 0x100, v0
	v_cmp_gt_u32_e32 vcc, s30, v1
	s_and_saveexec_b64 s[0:1], vcc
	s_cbranch_execz .LBB124_86
; %bb.85:
	s_waitcnt lgkmcnt(7)
	global_store_dwordx2 v[32:33], v[8:9], off offset:2048
.LBB124_86:
	s_or_b64 exec, exec, s[0:1]
	v_or_b32_e32 v1, 0x200, v0
	v_cmp_gt_u32_e32 vcc, s30, v1
	s_and_saveexec_b64 s[0:1], vcc
	s_cbranch_execz .LBB124_88
; %bb.87:
	v_add_co_u32_e32 v34, vcc, 0x1000, v32
	s_nop 1
	v_addc_co_u32_e32 v35, vcc, 0, v33, vcc
	s_waitcnt lgkmcnt(6)
	global_store_dwordx2 v[34:35], v[14:15], off
.LBB124_88:
	s_or_b64 exec, exec, s[0:1]
	v_or_b32_e32 v1, 0x300, v0
	v_cmp_gt_u32_e32 vcc, s30, v1
	s_and_saveexec_b64 s[0:1], vcc
	s_cbranch_execz .LBB124_90
; %bb.89:
	v_add_co_u32_e32 v34, vcc, 0x1000, v32
	s_nop 1
	v_addc_co_u32_e32 v35, vcc, 0, v33, vcc
	s_waitcnt lgkmcnt(6)
	global_store_dwordx2 v[34:35], v[16:17], off offset:2048
.LBB124_90:
	s_or_b64 exec, exec, s[0:1]
	v_or_b32_e32 v1, 0x400, v0
	v_cmp_gt_u32_e32 vcc, s30, v1
	s_and_saveexec_b64 s[0:1], vcc
	s_cbranch_execz .LBB124_92
; %bb.91:
	v_add_co_u32_e32 v34, vcc, 0x2000, v32
	s_nop 1
	v_addc_co_u32_e32 v35, vcc, 0, v33, vcc
	s_waitcnt lgkmcnt(5)
	global_store_dwordx2 v[34:35], v[10:11], off
.LBB124_92:
	s_or_b64 exec, exec, s[0:1]
	v_or_b32_e32 v1, 0x500, v0
	v_cmp_gt_u32_e32 vcc, s30, v1
	s_and_saveexec_b64 s[0:1], vcc
	s_cbranch_execz .LBB124_94
; %bb.93:
	v_add_co_u32_e32 v34, vcc, 0x2000, v32
	s_nop 1
	v_addc_co_u32_e32 v35, vcc, 0, v33, vcc
	s_waitcnt lgkmcnt(5)
	global_store_dwordx2 v[34:35], v[12:13], off offset:2048
.LBB124_94:
	;; [unrolled: 24-line block ×6, first 2 shown]
	s_or_b64 exec, exec, s[0:1]
	v_or_b32_e32 v1, 0xe00, v0
	v_cmp_gt_u32_e32 vcc, s30, v1
	s_and_saveexec_b64 s[0:1], vcc
	s_cbranch_execz .LBB124_112
; %bb.111:
	v_add_co_u32_e32 v32, vcc, 0x7000, v32
	s_nop 1
	v_addc_co_u32_e32 v33, vcc, 0, v33, vcc
	s_waitcnt lgkmcnt(0)
	global_store_dwordx2 v[32:33], v[30:31], off
.LBB124_112:
	s_or_b64 exec, exec, s[0:1]
	v_cmp_lt_u64_e64 s[0:1], s[18:19], 2
	s_and_b64 vcc, exec, s[0:1]
	s_cbranch_vccnz .LBB124_167
; %bb.113:
	s_add_u32 s0, s30, -1
	s_addc_u32 s1, s31, -1
	s_add_u32 s2, 0, 0x11108400
	s_addc_u32 s3, 0, 49
	s_add_i32 s3, s3, 0x111110e0
	s_mul_hi_u32 s7, s2, -15
	s_sub_i32 s7, s7, s2
	s_mul_i32 s8, s3, -15
	s_mul_i32 s4, s2, -15
	s_add_i32 s7, s7, s8
	s_mul_hi_u32 s5, s3, s4
	s_mul_i32 s6, s3, s4
	s_mul_i32 s9, s2, s7
	s_mul_hi_u32 s4, s2, s4
	s_mul_hi_u32 s8, s2, s7
	s_add_u32 s4, s4, s9
	s_addc_u32 s8, 0, s8
	s_add_u32 s4, s4, s6
	s_mul_hi_u32 s9, s3, s7
	s_addc_u32 s4, s8, s5
	s_addc_u32 s5, s9, 0
	s_mul_i32 s6, s3, s7
	s_add_u32 s4, s4, s6
	v_mov_b32_e32 v32, s4
	s_addc_u32 s5, 0, s5
	v_add_co_u32_e32 v32, vcc, s2, v32
	s_cmp_lg_u64 vcc, 0
	s_addc_u32 s2, s3, s5
	v_readfirstlane_b32 s5, v32
	s_mul_i32 s4, s0, s2
	s_mul_hi_u32 s6, s0, s5
	s_mul_hi_u32 s3, s0, s2
	s_add_u32 s4, s6, s4
	s_addc_u32 s3, 0, s3
	s_mul_hi_u32 s7, s1, s5
	s_mul_i32 s5, s1, s5
	s_add_u32 s4, s4, s5
	s_mul_hi_u32 s6, s1, s2
	s_addc_u32 s3, s3, s7
	s_addc_u32 s4, s6, 0
	s_mul_i32 s2, s1, s2
	s_add_u32 s2, s3, s2
	s_addc_u32 s3, 0, s4
	s_add_u32 s4, s2, 1
	s_addc_u32 s5, s3, 0
	s_add_u32 s6, s2, 2
	s_mul_i32 s8, s3, 15
	s_mul_hi_u32 s9, s2, 15
	s_addc_u32 s7, s3, 0
	s_add_i32 s9, s9, s8
	s_mul_i32 s8, s2, 15
	v_mov_b32_e32 v32, s8
	v_sub_co_u32_e32 v32, vcc, s0, v32
	s_cmp_lg_u64 vcc, 0
	s_subb_u32 s8, s1, s9
	v_subrev_co_u32_e32 v33, vcc, 15, v32
	s_cmp_lg_u64 vcc, 0
	s_subb_u32 s9, s8, 0
	v_readfirstlane_b32 s10, v33
	s_cmp_gt_u32 s10, 14
	s_cselect_b32 s10, -1, 0
	s_cmp_eq_u32 s9, 0
	s_cselect_b32 s9, s10, -1
	s_cmp_lg_u32 s9, 0
	s_cselect_b32 s4, s6, s4
	v_readfirstlane_b32 s6, v32
	s_cselect_b32 s5, s7, s5
	s_cmp_gt_u32 s6, 14
	s_cselect_b32 s6, -1, 0
	s_cmp_eq_u32 s8, 0
	s_cselect_b32 s6, s6, -1
	s_cmp_lg_u32 s6, 0
	v_mov_b32_e32 v1, v55
	s_cselect_b32 s3, s5, s3
	s_cselect_b32 s2, s4, s2
	v_cmp_eq_u64_e32 vcc, s[2:3], v[0:1]
	s_and_saveexec_b64 s[2:3], vcc
	s_cbranch_execz .LBB124_167
; %bb.114:
	v_mul_hi_u32_u24_e32 v1, 15, v0
	v_mov_b32_e32 v32, s1
	v_sub_co_u32_e32 v0, vcc, s0, v72
	s_nop 1
	v_subb_co_u32_e32 v1, vcc, v32, v1, vcc
	v_cmp_lt_i64_e32 vcc, 7, v[0:1]
	s_and_saveexec_b64 s[0:1], vcc
	s_xor_b64 s[0:1], exec, s[0:1]
	s_cbranch_execz .LBB124_140
; %bb.115:
	v_cmp_lt_i64_e32 vcc, 10, v[0:1]
	s_and_saveexec_b64 s[2:3], vcc
	s_xor_b64 s[2:3], exec, s[2:3]
	s_cbranch_execz .LBB124_129
; %bb.116:
	;; [unrolled: 5-line block ×4, first 2 shown]
	v_mov_b32_e32 v0, 0
	s_waitcnt lgkmcnt(0)
	global_store_dwordx2 v0, v[30:31], s[14:15]
                                        ; implicit-def: $vgpr22_vgpr23_vgpr24_vgpr25
.LBB124_119:
	s_andn2_saveexec_b64 s[6:7], s[6:7]
	s_cbranch_execz .LBB124_121
; %bb.120:
	v_mov_b32_e32 v0, 0
	s_waitcnt lgkmcnt(1)
	global_store_dwordx2 v0, v[24:25], s[14:15]
.LBB124_121:
	s_or_b64 exec, exec, s[6:7]
                                        ; implicit-def: $vgpr2_vgpr3_vgpr4_vgpr5
                                        ; implicit-def: $vgpr0_vgpr1
                                        ; implicit-def: $vgpr22_vgpr23_vgpr24_vgpr25
.LBB124_122:
	s_andn2_saveexec_b64 s[4:5], s[4:5]
	s_cbranch_execz .LBB124_128
; %bb.123:
	v_cmp_lt_i64_e32 vcc, 11, v[0:1]
	s_and_saveexec_b64 s[6:7], vcc
	s_xor_b64 s[6:7], exec, s[6:7]
	s_cbranch_execz .LBB124_125
; %bb.124:
	v_mov_b32_e32 v0, 0
	s_waitcnt lgkmcnt(1)
	global_store_dwordx2 v0, v[22:23], s[14:15]
                                        ; implicit-def: $vgpr2_vgpr3_vgpr4_vgpr5
.LBB124_125:
	s_andn2_saveexec_b64 s[6:7], s[6:7]
	s_cbranch_execz .LBB124_127
; %bb.126:
	v_mov_b32_e32 v0, 0
	s_waitcnt lgkmcnt(2)
	global_store_dwordx2 v0, v[4:5], s[14:15]
.LBB124_127:
	s_or_b64 exec, exec, s[6:7]
.LBB124_128:
	s_or_b64 exec, exec, s[4:5]
                                        ; implicit-def: $vgpr18_vgpr19_vgpr20_vgpr21
                                        ; implicit-def: $vgpr0_vgpr1
                                        ; implicit-def: $vgpr2_vgpr3_vgpr4_vgpr5
.LBB124_129:
	s_andn2_saveexec_b64 s[2:3], s[2:3]
	s_cbranch_execz .LBB124_139
; %bb.130:
	v_cmp_lt_i64_e32 vcc, 8, v[0:1]
	s_and_saveexec_b64 s[4:5], vcc
	s_xor_b64 s[4:5], exec, s[4:5]
	s_cbranch_execz .LBB124_136
; %bb.131:
	v_cmp_lt_i64_e32 vcc, 9, v[0:1]
	s_and_saveexec_b64 s[6:7], vcc
	s_xor_b64 s[6:7], exec, s[6:7]
	s_cbranch_execz .LBB124_133
; %bb.132:
	v_mov_b32_e32 v0, 0
	s_waitcnt lgkmcnt(2)
	global_store_dwordx2 v0, v[2:3], s[14:15]
                                        ; implicit-def: $vgpr18_vgpr19_vgpr20_vgpr21
.LBB124_133:
	s_andn2_saveexec_b64 s[6:7], s[6:7]
	s_cbranch_execz .LBB124_135
; %bb.134:
	v_mov_b32_e32 v0, 0
	s_waitcnt lgkmcnt(3)
	global_store_dwordx2 v0, v[20:21], s[14:15]
.LBB124_135:
	s_or_b64 exec, exec, s[6:7]
                                        ; implicit-def: $vgpr18_vgpr19_vgpr20_vgpr21
.LBB124_136:
	s_andn2_saveexec_b64 s[4:5], s[4:5]
	s_cbranch_execz .LBB124_138
; %bb.137:
	v_mov_b32_e32 v0, 0
	s_waitcnt lgkmcnt(3)
	global_store_dwordx2 v0, v[18:19], s[14:15]
.LBB124_138:
	s_or_b64 exec, exec, s[4:5]
.LBB124_139:
	s_or_b64 exec, exec, s[2:3]
                                        ; implicit-def: $vgpr0_vgpr1
                                        ; implicit-def: $vgpr6_vgpr7_vgpr8_vgpr9
                                        ; implicit-def: $vgpr10_vgpr11_vgpr12_vgpr13
                                        ; implicit-def: $vgpr14_vgpr15_vgpr16_vgpr17
                                        ; implicit-def: $vgpr26_vgpr27_vgpr28_vgpr29
.LBB124_140:
	s_andn2_saveexec_b64 s[0:1], s[0:1]
	s_cbranch_execz .LBB124_167
; %bb.141:
	v_cmp_lt_i64_e32 vcc, 3, v[0:1]
	s_and_saveexec_b64 s[0:1], vcc
	s_xor_b64 s[0:1], exec, s[0:1]
	s_cbranch_execz .LBB124_155
; %bb.142:
	v_cmp_lt_i64_e32 vcc, 5, v[0:1]
	s_and_saveexec_b64 s[2:3], vcc
	s_xor_b64 s[2:3], exec, s[2:3]
	s_cbranch_execz .LBB124_148
; %bb.143:
	v_cmp_lt_i64_e32 vcc, 6, v[0:1]
	s_and_saveexec_b64 s[4:5], vcc
	s_xor_b64 s[4:5], exec, s[4:5]
	s_cbranch_execz .LBB124_145
; %bb.144:
	v_mov_b32_e32 v0, 0
	s_waitcnt lgkmcnt(4)
	global_store_dwordx2 v0, v[28:29], s[14:15]
                                        ; implicit-def: $vgpr26_vgpr27_vgpr28_vgpr29
.LBB124_145:
	s_andn2_saveexec_b64 s[4:5], s[4:5]
	s_cbranch_execz .LBB124_147
; %bb.146:
	v_mov_b32_e32 v0, 0
	s_waitcnt lgkmcnt(4)
	global_store_dwordx2 v0, v[26:27], s[14:15]
.LBB124_147:
	s_or_b64 exec, exec, s[4:5]
                                        ; implicit-def: $vgpr10_vgpr11_vgpr12_vgpr13
                                        ; implicit-def: $vgpr0_vgpr1
.LBB124_148:
	s_andn2_saveexec_b64 s[2:3], s[2:3]
	s_cbranch_execz .LBB124_154
; %bb.149:
	v_cmp_lt_i64_e32 vcc, 4, v[0:1]
	s_and_saveexec_b64 s[4:5], vcc
	s_xor_b64 s[4:5], exec, s[4:5]
	s_cbranch_execz .LBB124_151
; %bb.150:
	v_mov_b32_e32 v0, 0
	s_waitcnt lgkmcnt(5)
	global_store_dwordx2 v0, v[12:13], s[14:15]
                                        ; implicit-def: $vgpr10_vgpr11_vgpr12_vgpr13
.LBB124_151:
	s_andn2_saveexec_b64 s[4:5], s[4:5]
	s_cbranch_execz .LBB124_153
; %bb.152:
	v_mov_b32_e32 v0, 0
	s_waitcnt lgkmcnt(5)
	global_store_dwordx2 v0, v[10:11], s[14:15]
.LBB124_153:
	s_or_b64 exec, exec, s[4:5]
.LBB124_154:
	s_or_b64 exec, exec, s[2:3]
                                        ; implicit-def: $vgpr0_vgpr1
                                        ; implicit-def: $vgpr6_vgpr7_vgpr8_vgpr9
                                        ; implicit-def: $vgpr14_vgpr15_vgpr16_vgpr17
.LBB124_155:
	s_andn2_saveexec_b64 s[0:1], s[0:1]
	s_cbranch_execz .LBB124_167
; %bb.156:
	v_cmp_lt_i64_e32 vcc, 1, v[0:1]
	s_and_saveexec_b64 s[0:1], vcc
	s_xor_b64 s[0:1], exec, s[0:1]
	s_cbranch_execz .LBB124_162
; %bb.157:
	v_cmp_lt_i64_e32 vcc, 2, v[0:1]
	s_and_saveexec_b64 s[2:3], vcc
	s_xor_b64 s[2:3], exec, s[2:3]
	s_cbranch_execz .LBB124_159
; %bb.158:
	v_mov_b32_e32 v0, 0
	s_waitcnt lgkmcnt(6)
	global_store_dwordx2 v0, v[16:17], s[14:15]
                                        ; implicit-def: $vgpr14_vgpr15_vgpr16_vgpr17
.LBB124_159:
	s_andn2_saveexec_b64 s[2:3], s[2:3]
	s_cbranch_execz .LBB124_161
; %bb.160:
	v_mov_b32_e32 v0, 0
	s_waitcnt lgkmcnt(6)
	global_store_dwordx2 v0, v[14:15], s[14:15]
.LBB124_161:
	s_or_b64 exec, exec, s[2:3]
                                        ; implicit-def: $vgpr6_vgpr7_vgpr8_vgpr9
                                        ; implicit-def: $vgpr0_vgpr1
.LBB124_162:
	s_andn2_saveexec_b64 s[0:1], s[0:1]
	s_cbranch_execz .LBB124_167
; %bb.163:
	v_cmp_ne_u64_e32 vcc, 1, v[0:1]
	s_and_saveexec_b64 s[0:1], vcc
	s_xor_b64 s[0:1], exec, s[0:1]
	s_cbranch_execz .LBB124_165
; %bb.164:
	v_mov_b32_e32 v0, 0
	s_waitcnt lgkmcnt(7)
	global_store_dwordx2 v0, v[6:7], s[14:15]
                                        ; implicit-def: $vgpr6_vgpr7_vgpr8_vgpr9
.LBB124_165:
	s_andn2_saveexec_b64 s[0:1], s[0:1]
	s_cbranch_execz .LBB124_167
; %bb.166:
	v_mov_b32_e32 v0, 0
	s_waitcnt lgkmcnt(7)
	global_store_dwordx2 v0, v[8:9], s[14:15]
.LBB124_167:
	s_endpgm
	.section	.rodata,"a",@progbits
	.p2align	6, 0x0
	.amdhsa_kernel _ZN7rocprim17ROCPRIM_400000_NS6detail17trampoline_kernelINS0_14default_configENS1_20scan_config_selectorIlEEZZNS1_9scan_implILNS1_25lookback_scan_determinismE0ELb0ELb0ES3_PlS8_lN6thrust23THRUST_200600_302600_NS4plusIvEElEEDaPvRmT3_T4_T5_mT6_P12ihipStream_tbENKUlT_T0_E_clISt17integral_constantIbLb1EESP_IbLb0EEEEDaSL_SM_EUlSL_E_NS1_11comp_targetILNS1_3genE5ELNS1_11target_archE942ELNS1_3gpuE9ELNS1_3repE0EEENS1_30default_config_static_selectorELNS0_4arch9wavefront6targetE1EEEvT1_
		.amdhsa_group_segment_fixed_size 30720
		.amdhsa_private_segment_fixed_size 0
		.amdhsa_kernarg_size 104
		.amdhsa_user_sgpr_count 2
		.amdhsa_user_sgpr_dispatch_ptr 0
		.amdhsa_user_sgpr_queue_ptr 0
		.amdhsa_user_sgpr_kernarg_segment_ptr 1
		.amdhsa_user_sgpr_dispatch_id 0
		.amdhsa_user_sgpr_kernarg_preload_length 0
		.amdhsa_user_sgpr_kernarg_preload_offset 0
		.amdhsa_user_sgpr_private_segment_size 0
		.amdhsa_uses_dynamic_stack 0
		.amdhsa_enable_private_segment 0
		.amdhsa_system_sgpr_workgroup_id_x 1
		.amdhsa_system_sgpr_workgroup_id_y 0
		.amdhsa_system_sgpr_workgroup_id_z 0
		.amdhsa_system_sgpr_workgroup_info 0
		.amdhsa_system_vgpr_workitem_id 0
		.amdhsa_next_free_vgpr 78
		.amdhsa_next_free_sgpr 68
		.amdhsa_accum_offset 80
		.amdhsa_reserve_vcc 1
		.amdhsa_float_round_mode_32 0
		.amdhsa_float_round_mode_16_64 0
		.amdhsa_float_denorm_mode_32 3
		.amdhsa_float_denorm_mode_16_64 3
		.amdhsa_dx10_clamp 1
		.amdhsa_ieee_mode 1
		.amdhsa_fp16_overflow 0
		.amdhsa_tg_split 0
		.amdhsa_exception_fp_ieee_invalid_op 0
		.amdhsa_exception_fp_denorm_src 0
		.amdhsa_exception_fp_ieee_div_zero 0
		.amdhsa_exception_fp_ieee_overflow 0
		.amdhsa_exception_fp_ieee_underflow 0
		.amdhsa_exception_fp_ieee_inexact 0
		.amdhsa_exception_int_div_zero 0
	.end_amdhsa_kernel
	.section	.text._ZN7rocprim17ROCPRIM_400000_NS6detail17trampoline_kernelINS0_14default_configENS1_20scan_config_selectorIlEEZZNS1_9scan_implILNS1_25lookback_scan_determinismE0ELb0ELb0ES3_PlS8_lN6thrust23THRUST_200600_302600_NS4plusIvEElEEDaPvRmT3_T4_T5_mT6_P12ihipStream_tbENKUlT_T0_E_clISt17integral_constantIbLb1EESP_IbLb0EEEEDaSL_SM_EUlSL_E_NS1_11comp_targetILNS1_3genE5ELNS1_11target_archE942ELNS1_3gpuE9ELNS1_3repE0EEENS1_30default_config_static_selectorELNS0_4arch9wavefront6targetE1EEEvT1_,"axG",@progbits,_ZN7rocprim17ROCPRIM_400000_NS6detail17trampoline_kernelINS0_14default_configENS1_20scan_config_selectorIlEEZZNS1_9scan_implILNS1_25lookback_scan_determinismE0ELb0ELb0ES3_PlS8_lN6thrust23THRUST_200600_302600_NS4plusIvEElEEDaPvRmT3_T4_T5_mT6_P12ihipStream_tbENKUlT_T0_E_clISt17integral_constantIbLb1EESP_IbLb0EEEEDaSL_SM_EUlSL_E_NS1_11comp_targetILNS1_3genE5ELNS1_11target_archE942ELNS1_3gpuE9ELNS1_3repE0EEENS1_30default_config_static_selectorELNS0_4arch9wavefront6targetE1EEEvT1_,comdat
.Lfunc_end124:
	.size	_ZN7rocprim17ROCPRIM_400000_NS6detail17trampoline_kernelINS0_14default_configENS1_20scan_config_selectorIlEEZZNS1_9scan_implILNS1_25lookback_scan_determinismE0ELb0ELb0ES3_PlS8_lN6thrust23THRUST_200600_302600_NS4plusIvEElEEDaPvRmT3_T4_T5_mT6_P12ihipStream_tbENKUlT_T0_E_clISt17integral_constantIbLb1EESP_IbLb0EEEEDaSL_SM_EUlSL_E_NS1_11comp_targetILNS1_3genE5ELNS1_11target_archE942ELNS1_3gpuE9ELNS1_3repE0EEENS1_30default_config_static_selectorELNS0_4arch9wavefront6targetE1EEEvT1_, .Lfunc_end124-_ZN7rocprim17ROCPRIM_400000_NS6detail17trampoline_kernelINS0_14default_configENS1_20scan_config_selectorIlEEZZNS1_9scan_implILNS1_25lookback_scan_determinismE0ELb0ELb0ES3_PlS8_lN6thrust23THRUST_200600_302600_NS4plusIvEElEEDaPvRmT3_T4_T5_mT6_P12ihipStream_tbENKUlT_T0_E_clISt17integral_constantIbLb1EESP_IbLb0EEEEDaSL_SM_EUlSL_E_NS1_11comp_targetILNS1_3genE5ELNS1_11target_archE942ELNS1_3gpuE9ELNS1_3repE0EEENS1_30default_config_static_selectorELNS0_4arch9wavefront6targetE1EEEvT1_
                                        ; -- End function
	.section	.AMDGPU.csdata,"",@progbits
; Kernel info:
; codeLenInByte = 7692
; NumSgprs: 74
; NumVgprs: 78
; NumAgprs: 0
; TotalNumVgprs: 78
; ScratchSize: 0
; MemoryBound: 0
; FloatMode: 240
; IeeeMode: 1
; LDSByteSize: 30720 bytes/workgroup (compile time only)
; SGPRBlocks: 9
; VGPRBlocks: 9
; NumSGPRsForWavesPerEU: 74
; NumVGPRsForWavesPerEU: 78
; AccumOffset: 80
; Occupancy: 2
; WaveLimiterHint : 1
; COMPUTE_PGM_RSRC2:SCRATCH_EN: 0
; COMPUTE_PGM_RSRC2:USER_SGPR: 2
; COMPUTE_PGM_RSRC2:TRAP_HANDLER: 0
; COMPUTE_PGM_RSRC2:TGID_X_EN: 1
; COMPUTE_PGM_RSRC2:TGID_Y_EN: 0
; COMPUTE_PGM_RSRC2:TGID_Z_EN: 0
; COMPUTE_PGM_RSRC2:TIDIG_COMP_CNT: 0
; COMPUTE_PGM_RSRC3_GFX90A:ACCUM_OFFSET: 19
; COMPUTE_PGM_RSRC3_GFX90A:TG_SPLIT: 0
	.section	.text._ZN7rocprim17ROCPRIM_400000_NS6detail17trampoline_kernelINS0_14default_configENS1_20scan_config_selectorIlEEZZNS1_9scan_implILNS1_25lookback_scan_determinismE0ELb0ELb0ES3_PlS8_lN6thrust23THRUST_200600_302600_NS4plusIvEElEEDaPvRmT3_T4_T5_mT6_P12ihipStream_tbENKUlT_T0_E_clISt17integral_constantIbLb1EESP_IbLb0EEEEDaSL_SM_EUlSL_E_NS1_11comp_targetILNS1_3genE4ELNS1_11target_archE910ELNS1_3gpuE8ELNS1_3repE0EEENS1_30default_config_static_selectorELNS0_4arch9wavefront6targetE1EEEvT1_,"axG",@progbits,_ZN7rocprim17ROCPRIM_400000_NS6detail17trampoline_kernelINS0_14default_configENS1_20scan_config_selectorIlEEZZNS1_9scan_implILNS1_25lookback_scan_determinismE0ELb0ELb0ES3_PlS8_lN6thrust23THRUST_200600_302600_NS4plusIvEElEEDaPvRmT3_T4_T5_mT6_P12ihipStream_tbENKUlT_T0_E_clISt17integral_constantIbLb1EESP_IbLb0EEEEDaSL_SM_EUlSL_E_NS1_11comp_targetILNS1_3genE4ELNS1_11target_archE910ELNS1_3gpuE8ELNS1_3repE0EEENS1_30default_config_static_selectorELNS0_4arch9wavefront6targetE1EEEvT1_,comdat
	.protected	_ZN7rocprim17ROCPRIM_400000_NS6detail17trampoline_kernelINS0_14default_configENS1_20scan_config_selectorIlEEZZNS1_9scan_implILNS1_25lookback_scan_determinismE0ELb0ELb0ES3_PlS8_lN6thrust23THRUST_200600_302600_NS4plusIvEElEEDaPvRmT3_T4_T5_mT6_P12ihipStream_tbENKUlT_T0_E_clISt17integral_constantIbLb1EESP_IbLb0EEEEDaSL_SM_EUlSL_E_NS1_11comp_targetILNS1_3genE4ELNS1_11target_archE910ELNS1_3gpuE8ELNS1_3repE0EEENS1_30default_config_static_selectorELNS0_4arch9wavefront6targetE1EEEvT1_ ; -- Begin function _ZN7rocprim17ROCPRIM_400000_NS6detail17trampoline_kernelINS0_14default_configENS1_20scan_config_selectorIlEEZZNS1_9scan_implILNS1_25lookback_scan_determinismE0ELb0ELb0ES3_PlS8_lN6thrust23THRUST_200600_302600_NS4plusIvEElEEDaPvRmT3_T4_T5_mT6_P12ihipStream_tbENKUlT_T0_E_clISt17integral_constantIbLb1EESP_IbLb0EEEEDaSL_SM_EUlSL_E_NS1_11comp_targetILNS1_3genE4ELNS1_11target_archE910ELNS1_3gpuE8ELNS1_3repE0EEENS1_30default_config_static_selectorELNS0_4arch9wavefront6targetE1EEEvT1_
	.globl	_ZN7rocprim17ROCPRIM_400000_NS6detail17trampoline_kernelINS0_14default_configENS1_20scan_config_selectorIlEEZZNS1_9scan_implILNS1_25lookback_scan_determinismE0ELb0ELb0ES3_PlS8_lN6thrust23THRUST_200600_302600_NS4plusIvEElEEDaPvRmT3_T4_T5_mT6_P12ihipStream_tbENKUlT_T0_E_clISt17integral_constantIbLb1EESP_IbLb0EEEEDaSL_SM_EUlSL_E_NS1_11comp_targetILNS1_3genE4ELNS1_11target_archE910ELNS1_3gpuE8ELNS1_3repE0EEENS1_30default_config_static_selectorELNS0_4arch9wavefront6targetE1EEEvT1_
	.p2align	8
	.type	_ZN7rocprim17ROCPRIM_400000_NS6detail17trampoline_kernelINS0_14default_configENS1_20scan_config_selectorIlEEZZNS1_9scan_implILNS1_25lookback_scan_determinismE0ELb0ELb0ES3_PlS8_lN6thrust23THRUST_200600_302600_NS4plusIvEElEEDaPvRmT3_T4_T5_mT6_P12ihipStream_tbENKUlT_T0_E_clISt17integral_constantIbLb1EESP_IbLb0EEEEDaSL_SM_EUlSL_E_NS1_11comp_targetILNS1_3genE4ELNS1_11target_archE910ELNS1_3gpuE8ELNS1_3repE0EEENS1_30default_config_static_selectorELNS0_4arch9wavefront6targetE1EEEvT1_,@function
_ZN7rocprim17ROCPRIM_400000_NS6detail17trampoline_kernelINS0_14default_configENS1_20scan_config_selectorIlEEZZNS1_9scan_implILNS1_25lookback_scan_determinismE0ELb0ELb0ES3_PlS8_lN6thrust23THRUST_200600_302600_NS4plusIvEElEEDaPvRmT3_T4_T5_mT6_P12ihipStream_tbENKUlT_T0_E_clISt17integral_constantIbLb1EESP_IbLb0EEEEDaSL_SM_EUlSL_E_NS1_11comp_targetILNS1_3genE4ELNS1_11target_archE910ELNS1_3gpuE8ELNS1_3repE0EEENS1_30default_config_static_selectorELNS0_4arch9wavefront6targetE1EEEvT1_: ; @_ZN7rocprim17ROCPRIM_400000_NS6detail17trampoline_kernelINS0_14default_configENS1_20scan_config_selectorIlEEZZNS1_9scan_implILNS1_25lookback_scan_determinismE0ELb0ELb0ES3_PlS8_lN6thrust23THRUST_200600_302600_NS4plusIvEElEEDaPvRmT3_T4_T5_mT6_P12ihipStream_tbENKUlT_T0_E_clISt17integral_constantIbLb1EESP_IbLb0EEEEDaSL_SM_EUlSL_E_NS1_11comp_targetILNS1_3genE4ELNS1_11target_archE910ELNS1_3gpuE8ELNS1_3repE0EEENS1_30default_config_static_selectorELNS0_4arch9wavefront6targetE1EEEvT1_
; %bb.0:
	.section	.rodata,"a",@progbits
	.p2align	6, 0x0
	.amdhsa_kernel _ZN7rocprim17ROCPRIM_400000_NS6detail17trampoline_kernelINS0_14default_configENS1_20scan_config_selectorIlEEZZNS1_9scan_implILNS1_25lookback_scan_determinismE0ELb0ELb0ES3_PlS8_lN6thrust23THRUST_200600_302600_NS4plusIvEElEEDaPvRmT3_T4_T5_mT6_P12ihipStream_tbENKUlT_T0_E_clISt17integral_constantIbLb1EESP_IbLb0EEEEDaSL_SM_EUlSL_E_NS1_11comp_targetILNS1_3genE4ELNS1_11target_archE910ELNS1_3gpuE8ELNS1_3repE0EEENS1_30default_config_static_selectorELNS0_4arch9wavefront6targetE1EEEvT1_
		.amdhsa_group_segment_fixed_size 0
		.amdhsa_private_segment_fixed_size 0
		.amdhsa_kernarg_size 104
		.amdhsa_user_sgpr_count 2
		.amdhsa_user_sgpr_dispatch_ptr 0
		.amdhsa_user_sgpr_queue_ptr 0
		.amdhsa_user_sgpr_kernarg_segment_ptr 1
		.amdhsa_user_sgpr_dispatch_id 0
		.amdhsa_user_sgpr_kernarg_preload_length 0
		.amdhsa_user_sgpr_kernarg_preload_offset 0
		.amdhsa_user_sgpr_private_segment_size 0
		.amdhsa_uses_dynamic_stack 0
		.amdhsa_enable_private_segment 0
		.amdhsa_system_sgpr_workgroup_id_x 1
		.amdhsa_system_sgpr_workgroup_id_y 0
		.amdhsa_system_sgpr_workgroup_id_z 0
		.amdhsa_system_sgpr_workgroup_info 0
		.amdhsa_system_vgpr_workitem_id 0
		.amdhsa_next_free_vgpr 1
		.amdhsa_next_free_sgpr 0
		.amdhsa_accum_offset 4
		.amdhsa_reserve_vcc 0
		.amdhsa_float_round_mode_32 0
		.amdhsa_float_round_mode_16_64 0
		.amdhsa_float_denorm_mode_32 3
		.amdhsa_float_denorm_mode_16_64 3
		.amdhsa_dx10_clamp 1
		.amdhsa_ieee_mode 1
		.amdhsa_fp16_overflow 0
		.amdhsa_tg_split 0
		.amdhsa_exception_fp_ieee_invalid_op 0
		.amdhsa_exception_fp_denorm_src 0
		.amdhsa_exception_fp_ieee_div_zero 0
		.amdhsa_exception_fp_ieee_overflow 0
		.amdhsa_exception_fp_ieee_underflow 0
		.amdhsa_exception_fp_ieee_inexact 0
		.amdhsa_exception_int_div_zero 0
	.end_amdhsa_kernel
	.section	.text._ZN7rocprim17ROCPRIM_400000_NS6detail17trampoline_kernelINS0_14default_configENS1_20scan_config_selectorIlEEZZNS1_9scan_implILNS1_25lookback_scan_determinismE0ELb0ELb0ES3_PlS8_lN6thrust23THRUST_200600_302600_NS4plusIvEElEEDaPvRmT3_T4_T5_mT6_P12ihipStream_tbENKUlT_T0_E_clISt17integral_constantIbLb1EESP_IbLb0EEEEDaSL_SM_EUlSL_E_NS1_11comp_targetILNS1_3genE4ELNS1_11target_archE910ELNS1_3gpuE8ELNS1_3repE0EEENS1_30default_config_static_selectorELNS0_4arch9wavefront6targetE1EEEvT1_,"axG",@progbits,_ZN7rocprim17ROCPRIM_400000_NS6detail17trampoline_kernelINS0_14default_configENS1_20scan_config_selectorIlEEZZNS1_9scan_implILNS1_25lookback_scan_determinismE0ELb0ELb0ES3_PlS8_lN6thrust23THRUST_200600_302600_NS4plusIvEElEEDaPvRmT3_T4_T5_mT6_P12ihipStream_tbENKUlT_T0_E_clISt17integral_constantIbLb1EESP_IbLb0EEEEDaSL_SM_EUlSL_E_NS1_11comp_targetILNS1_3genE4ELNS1_11target_archE910ELNS1_3gpuE8ELNS1_3repE0EEENS1_30default_config_static_selectorELNS0_4arch9wavefront6targetE1EEEvT1_,comdat
.Lfunc_end125:
	.size	_ZN7rocprim17ROCPRIM_400000_NS6detail17trampoline_kernelINS0_14default_configENS1_20scan_config_selectorIlEEZZNS1_9scan_implILNS1_25lookback_scan_determinismE0ELb0ELb0ES3_PlS8_lN6thrust23THRUST_200600_302600_NS4plusIvEElEEDaPvRmT3_T4_T5_mT6_P12ihipStream_tbENKUlT_T0_E_clISt17integral_constantIbLb1EESP_IbLb0EEEEDaSL_SM_EUlSL_E_NS1_11comp_targetILNS1_3genE4ELNS1_11target_archE910ELNS1_3gpuE8ELNS1_3repE0EEENS1_30default_config_static_selectorELNS0_4arch9wavefront6targetE1EEEvT1_, .Lfunc_end125-_ZN7rocprim17ROCPRIM_400000_NS6detail17trampoline_kernelINS0_14default_configENS1_20scan_config_selectorIlEEZZNS1_9scan_implILNS1_25lookback_scan_determinismE0ELb0ELb0ES3_PlS8_lN6thrust23THRUST_200600_302600_NS4plusIvEElEEDaPvRmT3_T4_T5_mT6_P12ihipStream_tbENKUlT_T0_E_clISt17integral_constantIbLb1EESP_IbLb0EEEEDaSL_SM_EUlSL_E_NS1_11comp_targetILNS1_3genE4ELNS1_11target_archE910ELNS1_3gpuE8ELNS1_3repE0EEENS1_30default_config_static_selectorELNS0_4arch9wavefront6targetE1EEEvT1_
                                        ; -- End function
	.section	.AMDGPU.csdata,"",@progbits
; Kernel info:
; codeLenInByte = 0
; NumSgprs: 6
; NumVgprs: 0
; NumAgprs: 0
; TotalNumVgprs: 0
; ScratchSize: 0
; MemoryBound: 0
; FloatMode: 240
; IeeeMode: 1
; LDSByteSize: 0 bytes/workgroup (compile time only)
; SGPRBlocks: 0
; VGPRBlocks: 0
; NumSGPRsForWavesPerEU: 6
; NumVGPRsForWavesPerEU: 1
; AccumOffset: 4
; Occupancy: 8
; WaveLimiterHint : 0
; COMPUTE_PGM_RSRC2:SCRATCH_EN: 0
; COMPUTE_PGM_RSRC2:USER_SGPR: 2
; COMPUTE_PGM_RSRC2:TRAP_HANDLER: 0
; COMPUTE_PGM_RSRC2:TGID_X_EN: 1
; COMPUTE_PGM_RSRC2:TGID_Y_EN: 0
; COMPUTE_PGM_RSRC2:TGID_Z_EN: 0
; COMPUTE_PGM_RSRC2:TIDIG_COMP_CNT: 0
; COMPUTE_PGM_RSRC3_GFX90A:ACCUM_OFFSET: 0
; COMPUTE_PGM_RSRC3_GFX90A:TG_SPLIT: 0
	.section	.text._ZN7rocprim17ROCPRIM_400000_NS6detail17trampoline_kernelINS0_14default_configENS1_20scan_config_selectorIlEEZZNS1_9scan_implILNS1_25lookback_scan_determinismE0ELb0ELb0ES3_PlS8_lN6thrust23THRUST_200600_302600_NS4plusIvEElEEDaPvRmT3_T4_T5_mT6_P12ihipStream_tbENKUlT_T0_E_clISt17integral_constantIbLb1EESP_IbLb0EEEEDaSL_SM_EUlSL_E_NS1_11comp_targetILNS1_3genE3ELNS1_11target_archE908ELNS1_3gpuE7ELNS1_3repE0EEENS1_30default_config_static_selectorELNS0_4arch9wavefront6targetE1EEEvT1_,"axG",@progbits,_ZN7rocprim17ROCPRIM_400000_NS6detail17trampoline_kernelINS0_14default_configENS1_20scan_config_selectorIlEEZZNS1_9scan_implILNS1_25lookback_scan_determinismE0ELb0ELb0ES3_PlS8_lN6thrust23THRUST_200600_302600_NS4plusIvEElEEDaPvRmT3_T4_T5_mT6_P12ihipStream_tbENKUlT_T0_E_clISt17integral_constantIbLb1EESP_IbLb0EEEEDaSL_SM_EUlSL_E_NS1_11comp_targetILNS1_3genE3ELNS1_11target_archE908ELNS1_3gpuE7ELNS1_3repE0EEENS1_30default_config_static_selectorELNS0_4arch9wavefront6targetE1EEEvT1_,comdat
	.protected	_ZN7rocprim17ROCPRIM_400000_NS6detail17trampoline_kernelINS0_14default_configENS1_20scan_config_selectorIlEEZZNS1_9scan_implILNS1_25lookback_scan_determinismE0ELb0ELb0ES3_PlS8_lN6thrust23THRUST_200600_302600_NS4plusIvEElEEDaPvRmT3_T4_T5_mT6_P12ihipStream_tbENKUlT_T0_E_clISt17integral_constantIbLb1EESP_IbLb0EEEEDaSL_SM_EUlSL_E_NS1_11comp_targetILNS1_3genE3ELNS1_11target_archE908ELNS1_3gpuE7ELNS1_3repE0EEENS1_30default_config_static_selectorELNS0_4arch9wavefront6targetE1EEEvT1_ ; -- Begin function _ZN7rocprim17ROCPRIM_400000_NS6detail17trampoline_kernelINS0_14default_configENS1_20scan_config_selectorIlEEZZNS1_9scan_implILNS1_25lookback_scan_determinismE0ELb0ELb0ES3_PlS8_lN6thrust23THRUST_200600_302600_NS4plusIvEElEEDaPvRmT3_T4_T5_mT6_P12ihipStream_tbENKUlT_T0_E_clISt17integral_constantIbLb1EESP_IbLb0EEEEDaSL_SM_EUlSL_E_NS1_11comp_targetILNS1_3genE3ELNS1_11target_archE908ELNS1_3gpuE7ELNS1_3repE0EEENS1_30default_config_static_selectorELNS0_4arch9wavefront6targetE1EEEvT1_
	.globl	_ZN7rocprim17ROCPRIM_400000_NS6detail17trampoline_kernelINS0_14default_configENS1_20scan_config_selectorIlEEZZNS1_9scan_implILNS1_25lookback_scan_determinismE0ELb0ELb0ES3_PlS8_lN6thrust23THRUST_200600_302600_NS4plusIvEElEEDaPvRmT3_T4_T5_mT6_P12ihipStream_tbENKUlT_T0_E_clISt17integral_constantIbLb1EESP_IbLb0EEEEDaSL_SM_EUlSL_E_NS1_11comp_targetILNS1_3genE3ELNS1_11target_archE908ELNS1_3gpuE7ELNS1_3repE0EEENS1_30default_config_static_selectorELNS0_4arch9wavefront6targetE1EEEvT1_
	.p2align	8
	.type	_ZN7rocprim17ROCPRIM_400000_NS6detail17trampoline_kernelINS0_14default_configENS1_20scan_config_selectorIlEEZZNS1_9scan_implILNS1_25lookback_scan_determinismE0ELb0ELb0ES3_PlS8_lN6thrust23THRUST_200600_302600_NS4plusIvEElEEDaPvRmT3_T4_T5_mT6_P12ihipStream_tbENKUlT_T0_E_clISt17integral_constantIbLb1EESP_IbLb0EEEEDaSL_SM_EUlSL_E_NS1_11comp_targetILNS1_3genE3ELNS1_11target_archE908ELNS1_3gpuE7ELNS1_3repE0EEENS1_30default_config_static_selectorELNS0_4arch9wavefront6targetE1EEEvT1_,@function
_ZN7rocprim17ROCPRIM_400000_NS6detail17trampoline_kernelINS0_14default_configENS1_20scan_config_selectorIlEEZZNS1_9scan_implILNS1_25lookback_scan_determinismE0ELb0ELb0ES3_PlS8_lN6thrust23THRUST_200600_302600_NS4plusIvEElEEDaPvRmT3_T4_T5_mT6_P12ihipStream_tbENKUlT_T0_E_clISt17integral_constantIbLb1EESP_IbLb0EEEEDaSL_SM_EUlSL_E_NS1_11comp_targetILNS1_3genE3ELNS1_11target_archE908ELNS1_3gpuE7ELNS1_3repE0EEENS1_30default_config_static_selectorELNS0_4arch9wavefront6targetE1EEEvT1_: ; @_ZN7rocprim17ROCPRIM_400000_NS6detail17trampoline_kernelINS0_14default_configENS1_20scan_config_selectorIlEEZZNS1_9scan_implILNS1_25lookback_scan_determinismE0ELb0ELb0ES3_PlS8_lN6thrust23THRUST_200600_302600_NS4plusIvEElEEDaPvRmT3_T4_T5_mT6_P12ihipStream_tbENKUlT_T0_E_clISt17integral_constantIbLb1EESP_IbLb0EEEEDaSL_SM_EUlSL_E_NS1_11comp_targetILNS1_3genE3ELNS1_11target_archE908ELNS1_3gpuE7ELNS1_3repE0EEENS1_30default_config_static_selectorELNS0_4arch9wavefront6targetE1EEEvT1_
; %bb.0:
	.section	.rodata,"a",@progbits
	.p2align	6, 0x0
	.amdhsa_kernel _ZN7rocprim17ROCPRIM_400000_NS6detail17trampoline_kernelINS0_14default_configENS1_20scan_config_selectorIlEEZZNS1_9scan_implILNS1_25lookback_scan_determinismE0ELb0ELb0ES3_PlS8_lN6thrust23THRUST_200600_302600_NS4plusIvEElEEDaPvRmT3_T4_T5_mT6_P12ihipStream_tbENKUlT_T0_E_clISt17integral_constantIbLb1EESP_IbLb0EEEEDaSL_SM_EUlSL_E_NS1_11comp_targetILNS1_3genE3ELNS1_11target_archE908ELNS1_3gpuE7ELNS1_3repE0EEENS1_30default_config_static_selectorELNS0_4arch9wavefront6targetE1EEEvT1_
		.amdhsa_group_segment_fixed_size 0
		.amdhsa_private_segment_fixed_size 0
		.amdhsa_kernarg_size 104
		.amdhsa_user_sgpr_count 2
		.amdhsa_user_sgpr_dispatch_ptr 0
		.amdhsa_user_sgpr_queue_ptr 0
		.amdhsa_user_sgpr_kernarg_segment_ptr 1
		.amdhsa_user_sgpr_dispatch_id 0
		.amdhsa_user_sgpr_kernarg_preload_length 0
		.amdhsa_user_sgpr_kernarg_preload_offset 0
		.amdhsa_user_sgpr_private_segment_size 0
		.amdhsa_uses_dynamic_stack 0
		.amdhsa_enable_private_segment 0
		.amdhsa_system_sgpr_workgroup_id_x 1
		.amdhsa_system_sgpr_workgroup_id_y 0
		.amdhsa_system_sgpr_workgroup_id_z 0
		.amdhsa_system_sgpr_workgroup_info 0
		.amdhsa_system_vgpr_workitem_id 0
		.amdhsa_next_free_vgpr 1
		.amdhsa_next_free_sgpr 0
		.amdhsa_accum_offset 4
		.amdhsa_reserve_vcc 0
		.amdhsa_float_round_mode_32 0
		.amdhsa_float_round_mode_16_64 0
		.amdhsa_float_denorm_mode_32 3
		.amdhsa_float_denorm_mode_16_64 3
		.amdhsa_dx10_clamp 1
		.amdhsa_ieee_mode 1
		.amdhsa_fp16_overflow 0
		.amdhsa_tg_split 0
		.amdhsa_exception_fp_ieee_invalid_op 0
		.amdhsa_exception_fp_denorm_src 0
		.amdhsa_exception_fp_ieee_div_zero 0
		.amdhsa_exception_fp_ieee_overflow 0
		.amdhsa_exception_fp_ieee_underflow 0
		.amdhsa_exception_fp_ieee_inexact 0
		.amdhsa_exception_int_div_zero 0
	.end_amdhsa_kernel
	.section	.text._ZN7rocprim17ROCPRIM_400000_NS6detail17trampoline_kernelINS0_14default_configENS1_20scan_config_selectorIlEEZZNS1_9scan_implILNS1_25lookback_scan_determinismE0ELb0ELb0ES3_PlS8_lN6thrust23THRUST_200600_302600_NS4plusIvEElEEDaPvRmT3_T4_T5_mT6_P12ihipStream_tbENKUlT_T0_E_clISt17integral_constantIbLb1EESP_IbLb0EEEEDaSL_SM_EUlSL_E_NS1_11comp_targetILNS1_3genE3ELNS1_11target_archE908ELNS1_3gpuE7ELNS1_3repE0EEENS1_30default_config_static_selectorELNS0_4arch9wavefront6targetE1EEEvT1_,"axG",@progbits,_ZN7rocprim17ROCPRIM_400000_NS6detail17trampoline_kernelINS0_14default_configENS1_20scan_config_selectorIlEEZZNS1_9scan_implILNS1_25lookback_scan_determinismE0ELb0ELb0ES3_PlS8_lN6thrust23THRUST_200600_302600_NS4plusIvEElEEDaPvRmT3_T4_T5_mT6_P12ihipStream_tbENKUlT_T0_E_clISt17integral_constantIbLb1EESP_IbLb0EEEEDaSL_SM_EUlSL_E_NS1_11comp_targetILNS1_3genE3ELNS1_11target_archE908ELNS1_3gpuE7ELNS1_3repE0EEENS1_30default_config_static_selectorELNS0_4arch9wavefront6targetE1EEEvT1_,comdat
.Lfunc_end126:
	.size	_ZN7rocprim17ROCPRIM_400000_NS6detail17trampoline_kernelINS0_14default_configENS1_20scan_config_selectorIlEEZZNS1_9scan_implILNS1_25lookback_scan_determinismE0ELb0ELb0ES3_PlS8_lN6thrust23THRUST_200600_302600_NS4plusIvEElEEDaPvRmT3_T4_T5_mT6_P12ihipStream_tbENKUlT_T0_E_clISt17integral_constantIbLb1EESP_IbLb0EEEEDaSL_SM_EUlSL_E_NS1_11comp_targetILNS1_3genE3ELNS1_11target_archE908ELNS1_3gpuE7ELNS1_3repE0EEENS1_30default_config_static_selectorELNS0_4arch9wavefront6targetE1EEEvT1_, .Lfunc_end126-_ZN7rocprim17ROCPRIM_400000_NS6detail17trampoline_kernelINS0_14default_configENS1_20scan_config_selectorIlEEZZNS1_9scan_implILNS1_25lookback_scan_determinismE0ELb0ELb0ES3_PlS8_lN6thrust23THRUST_200600_302600_NS4plusIvEElEEDaPvRmT3_T4_T5_mT6_P12ihipStream_tbENKUlT_T0_E_clISt17integral_constantIbLb1EESP_IbLb0EEEEDaSL_SM_EUlSL_E_NS1_11comp_targetILNS1_3genE3ELNS1_11target_archE908ELNS1_3gpuE7ELNS1_3repE0EEENS1_30default_config_static_selectorELNS0_4arch9wavefront6targetE1EEEvT1_
                                        ; -- End function
	.section	.AMDGPU.csdata,"",@progbits
; Kernel info:
; codeLenInByte = 0
; NumSgprs: 6
; NumVgprs: 0
; NumAgprs: 0
; TotalNumVgprs: 0
; ScratchSize: 0
; MemoryBound: 0
; FloatMode: 240
; IeeeMode: 1
; LDSByteSize: 0 bytes/workgroup (compile time only)
; SGPRBlocks: 0
; VGPRBlocks: 0
; NumSGPRsForWavesPerEU: 6
; NumVGPRsForWavesPerEU: 1
; AccumOffset: 4
; Occupancy: 8
; WaveLimiterHint : 0
; COMPUTE_PGM_RSRC2:SCRATCH_EN: 0
; COMPUTE_PGM_RSRC2:USER_SGPR: 2
; COMPUTE_PGM_RSRC2:TRAP_HANDLER: 0
; COMPUTE_PGM_RSRC2:TGID_X_EN: 1
; COMPUTE_PGM_RSRC2:TGID_Y_EN: 0
; COMPUTE_PGM_RSRC2:TGID_Z_EN: 0
; COMPUTE_PGM_RSRC2:TIDIG_COMP_CNT: 0
; COMPUTE_PGM_RSRC3_GFX90A:ACCUM_OFFSET: 0
; COMPUTE_PGM_RSRC3_GFX90A:TG_SPLIT: 0
	.section	.text._ZN7rocprim17ROCPRIM_400000_NS6detail17trampoline_kernelINS0_14default_configENS1_20scan_config_selectorIlEEZZNS1_9scan_implILNS1_25lookback_scan_determinismE0ELb0ELb0ES3_PlS8_lN6thrust23THRUST_200600_302600_NS4plusIvEElEEDaPvRmT3_T4_T5_mT6_P12ihipStream_tbENKUlT_T0_E_clISt17integral_constantIbLb1EESP_IbLb0EEEEDaSL_SM_EUlSL_E_NS1_11comp_targetILNS1_3genE2ELNS1_11target_archE906ELNS1_3gpuE6ELNS1_3repE0EEENS1_30default_config_static_selectorELNS0_4arch9wavefront6targetE1EEEvT1_,"axG",@progbits,_ZN7rocprim17ROCPRIM_400000_NS6detail17trampoline_kernelINS0_14default_configENS1_20scan_config_selectorIlEEZZNS1_9scan_implILNS1_25lookback_scan_determinismE0ELb0ELb0ES3_PlS8_lN6thrust23THRUST_200600_302600_NS4plusIvEElEEDaPvRmT3_T4_T5_mT6_P12ihipStream_tbENKUlT_T0_E_clISt17integral_constantIbLb1EESP_IbLb0EEEEDaSL_SM_EUlSL_E_NS1_11comp_targetILNS1_3genE2ELNS1_11target_archE906ELNS1_3gpuE6ELNS1_3repE0EEENS1_30default_config_static_selectorELNS0_4arch9wavefront6targetE1EEEvT1_,comdat
	.protected	_ZN7rocprim17ROCPRIM_400000_NS6detail17trampoline_kernelINS0_14default_configENS1_20scan_config_selectorIlEEZZNS1_9scan_implILNS1_25lookback_scan_determinismE0ELb0ELb0ES3_PlS8_lN6thrust23THRUST_200600_302600_NS4plusIvEElEEDaPvRmT3_T4_T5_mT6_P12ihipStream_tbENKUlT_T0_E_clISt17integral_constantIbLb1EESP_IbLb0EEEEDaSL_SM_EUlSL_E_NS1_11comp_targetILNS1_3genE2ELNS1_11target_archE906ELNS1_3gpuE6ELNS1_3repE0EEENS1_30default_config_static_selectorELNS0_4arch9wavefront6targetE1EEEvT1_ ; -- Begin function _ZN7rocprim17ROCPRIM_400000_NS6detail17trampoline_kernelINS0_14default_configENS1_20scan_config_selectorIlEEZZNS1_9scan_implILNS1_25lookback_scan_determinismE0ELb0ELb0ES3_PlS8_lN6thrust23THRUST_200600_302600_NS4plusIvEElEEDaPvRmT3_T4_T5_mT6_P12ihipStream_tbENKUlT_T0_E_clISt17integral_constantIbLb1EESP_IbLb0EEEEDaSL_SM_EUlSL_E_NS1_11comp_targetILNS1_3genE2ELNS1_11target_archE906ELNS1_3gpuE6ELNS1_3repE0EEENS1_30default_config_static_selectorELNS0_4arch9wavefront6targetE1EEEvT1_
	.globl	_ZN7rocprim17ROCPRIM_400000_NS6detail17trampoline_kernelINS0_14default_configENS1_20scan_config_selectorIlEEZZNS1_9scan_implILNS1_25lookback_scan_determinismE0ELb0ELb0ES3_PlS8_lN6thrust23THRUST_200600_302600_NS4plusIvEElEEDaPvRmT3_T4_T5_mT6_P12ihipStream_tbENKUlT_T0_E_clISt17integral_constantIbLb1EESP_IbLb0EEEEDaSL_SM_EUlSL_E_NS1_11comp_targetILNS1_3genE2ELNS1_11target_archE906ELNS1_3gpuE6ELNS1_3repE0EEENS1_30default_config_static_selectorELNS0_4arch9wavefront6targetE1EEEvT1_
	.p2align	8
	.type	_ZN7rocprim17ROCPRIM_400000_NS6detail17trampoline_kernelINS0_14default_configENS1_20scan_config_selectorIlEEZZNS1_9scan_implILNS1_25lookback_scan_determinismE0ELb0ELb0ES3_PlS8_lN6thrust23THRUST_200600_302600_NS4plusIvEElEEDaPvRmT3_T4_T5_mT6_P12ihipStream_tbENKUlT_T0_E_clISt17integral_constantIbLb1EESP_IbLb0EEEEDaSL_SM_EUlSL_E_NS1_11comp_targetILNS1_3genE2ELNS1_11target_archE906ELNS1_3gpuE6ELNS1_3repE0EEENS1_30default_config_static_selectorELNS0_4arch9wavefront6targetE1EEEvT1_,@function
_ZN7rocprim17ROCPRIM_400000_NS6detail17trampoline_kernelINS0_14default_configENS1_20scan_config_selectorIlEEZZNS1_9scan_implILNS1_25lookback_scan_determinismE0ELb0ELb0ES3_PlS8_lN6thrust23THRUST_200600_302600_NS4plusIvEElEEDaPvRmT3_T4_T5_mT6_P12ihipStream_tbENKUlT_T0_E_clISt17integral_constantIbLb1EESP_IbLb0EEEEDaSL_SM_EUlSL_E_NS1_11comp_targetILNS1_3genE2ELNS1_11target_archE906ELNS1_3gpuE6ELNS1_3repE0EEENS1_30default_config_static_selectorELNS0_4arch9wavefront6targetE1EEEvT1_: ; @_ZN7rocprim17ROCPRIM_400000_NS6detail17trampoline_kernelINS0_14default_configENS1_20scan_config_selectorIlEEZZNS1_9scan_implILNS1_25lookback_scan_determinismE0ELb0ELb0ES3_PlS8_lN6thrust23THRUST_200600_302600_NS4plusIvEElEEDaPvRmT3_T4_T5_mT6_P12ihipStream_tbENKUlT_T0_E_clISt17integral_constantIbLb1EESP_IbLb0EEEEDaSL_SM_EUlSL_E_NS1_11comp_targetILNS1_3genE2ELNS1_11target_archE906ELNS1_3gpuE6ELNS1_3repE0EEENS1_30default_config_static_selectorELNS0_4arch9wavefront6targetE1EEEvT1_
; %bb.0:
	.section	.rodata,"a",@progbits
	.p2align	6, 0x0
	.amdhsa_kernel _ZN7rocprim17ROCPRIM_400000_NS6detail17trampoline_kernelINS0_14default_configENS1_20scan_config_selectorIlEEZZNS1_9scan_implILNS1_25lookback_scan_determinismE0ELb0ELb0ES3_PlS8_lN6thrust23THRUST_200600_302600_NS4plusIvEElEEDaPvRmT3_T4_T5_mT6_P12ihipStream_tbENKUlT_T0_E_clISt17integral_constantIbLb1EESP_IbLb0EEEEDaSL_SM_EUlSL_E_NS1_11comp_targetILNS1_3genE2ELNS1_11target_archE906ELNS1_3gpuE6ELNS1_3repE0EEENS1_30default_config_static_selectorELNS0_4arch9wavefront6targetE1EEEvT1_
		.amdhsa_group_segment_fixed_size 0
		.amdhsa_private_segment_fixed_size 0
		.amdhsa_kernarg_size 104
		.amdhsa_user_sgpr_count 2
		.amdhsa_user_sgpr_dispatch_ptr 0
		.amdhsa_user_sgpr_queue_ptr 0
		.amdhsa_user_sgpr_kernarg_segment_ptr 1
		.amdhsa_user_sgpr_dispatch_id 0
		.amdhsa_user_sgpr_kernarg_preload_length 0
		.amdhsa_user_sgpr_kernarg_preload_offset 0
		.amdhsa_user_sgpr_private_segment_size 0
		.amdhsa_uses_dynamic_stack 0
		.amdhsa_enable_private_segment 0
		.amdhsa_system_sgpr_workgroup_id_x 1
		.amdhsa_system_sgpr_workgroup_id_y 0
		.amdhsa_system_sgpr_workgroup_id_z 0
		.amdhsa_system_sgpr_workgroup_info 0
		.amdhsa_system_vgpr_workitem_id 0
		.amdhsa_next_free_vgpr 1
		.amdhsa_next_free_sgpr 0
		.amdhsa_accum_offset 4
		.amdhsa_reserve_vcc 0
		.amdhsa_float_round_mode_32 0
		.amdhsa_float_round_mode_16_64 0
		.amdhsa_float_denorm_mode_32 3
		.amdhsa_float_denorm_mode_16_64 3
		.amdhsa_dx10_clamp 1
		.amdhsa_ieee_mode 1
		.amdhsa_fp16_overflow 0
		.amdhsa_tg_split 0
		.amdhsa_exception_fp_ieee_invalid_op 0
		.amdhsa_exception_fp_denorm_src 0
		.amdhsa_exception_fp_ieee_div_zero 0
		.amdhsa_exception_fp_ieee_overflow 0
		.amdhsa_exception_fp_ieee_underflow 0
		.amdhsa_exception_fp_ieee_inexact 0
		.amdhsa_exception_int_div_zero 0
	.end_amdhsa_kernel
	.section	.text._ZN7rocprim17ROCPRIM_400000_NS6detail17trampoline_kernelINS0_14default_configENS1_20scan_config_selectorIlEEZZNS1_9scan_implILNS1_25lookback_scan_determinismE0ELb0ELb0ES3_PlS8_lN6thrust23THRUST_200600_302600_NS4plusIvEElEEDaPvRmT3_T4_T5_mT6_P12ihipStream_tbENKUlT_T0_E_clISt17integral_constantIbLb1EESP_IbLb0EEEEDaSL_SM_EUlSL_E_NS1_11comp_targetILNS1_3genE2ELNS1_11target_archE906ELNS1_3gpuE6ELNS1_3repE0EEENS1_30default_config_static_selectorELNS0_4arch9wavefront6targetE1EEEvT1_,"axG",@progbits,_ZN7rocprim17ROCPRIM_400000_NS6detail17trampoline_kernelINS0_14default_configENS1_20scan_config_selectorIlEEZZNS1_9scan_implILNS1_25lookback_scan_determinismE0ELb0ELb0ES3_PlS8_lN6thrust23THRUST_200600_302600_NS4plusIvEElEEDaPvRmT3_T4_T5_mT6_P12ihipStream_tbENKUlT_T0_E_clISt17integral_constantIbLb1EESP_IbLb0EEEEDaSL_SM_EUlSL_E_NS1_11comp_targetILNS1_3genE2ELNS1_11target_archE906ELNS1_3gpuE6ELNS1_3repE0EEENS1_30default_config_static_selectorELNS0_4arch9wavefront6targetE1EEEvT1_,comdat
.Lfunc_end127:
	.size	_ZN7rocprim17ROCPRIM_400000_NS6detail17trampoline_kernelINS0_14default_configENS1_20scan_config_selectorIlEEZZNS1_9scan_implILNS1_25lookback_scan_determinismE0ELb0ELb0ES3_PlS8_lN6thrust23THRUST_200600_302600_NS4plusIvEElEEDaPvRmT3_T4_T5_mT6_P12ihipStream_tbENKUlT_T0_E_clISt17integral_constantIbLb1EESP_IbLb0EEEEDaSL_SM_EUlSL_E_NS1_11comp_targetILNS1_3genE2ELNS1_11target_archE906ELNS1_3gpuE6ELNS1_3repE0EEENS1_30default_config_static_selectorELNS0_4arch9wavefront6targetE1EEEvT1_, .Lfunc_end127-_ZN7rocprim17ROCPRIM_400000_NS6detail17trampoline_kernelINS0_14default_configENS1_20scan_config_selectorIlEEZZNS1_9scan_implILNS1_25lookback_scan_determinismE0ELb0ELb0ES3_PlS8_lN6thrust23THRUST_200600_302600_NS4plusIvEElEEDaPvRmT3_T4_T5_mT6_P12ihipStream_tbENKUlT_T0_E_clISt17integral_constantIbLb1EESP_IbLb0EEEEDaSL_SM_EUlSL_E_NS1_11comp_targetILNS1_3genE2ELNS1_11target_archE906ELNS1_3gpuE6ELNS1_3repE0EEENS1_30default_config_static_selectorELNS0_4arch9wavefront6targetE1EEEvT1_
                                        ; -- End function
	.section	.AMDGPU.csdata,"",@progbits
; Kernel info:
; codeLenInByte = 0
; NumSgprs: 6
; NumVgprs: 0
; NumAgprs: 0
; TotalNumVgprs: 0
; ScratchSize: 0
; MemoryBound: 0
; FloatMode: 240
; IeeeMode: 1
; LDSByteSize: 0 bytes/workgroup (compile time only)
; SGPRBlocks: 0
; VGPRBlocks: 0
; NumSGPRsForWavesPerEU: 6
; NumVGPRsForWavesPerEU: 1
; AccumOffset: 4
; Occupancy: 8
; WaveLimiterHint : 0
; COMPUTE_PGM_RSRC2:SCRATCH_EN: 0
; COMPUTE_PGM_RSRC2:USER_SGPR: 2
; COMPUTE_PGM_RSRC2:TRAP_HANDLER: 0
; COMPUTE_PGM_RSRC2:TGID_X_EN: 1
; COMPUTE_PGM_RSRC2:TGID_Y_EN: 0
; COMPUTE_PGM_RSRC2:TGID_Z_EN: 0
; COMPUTE_PGM_RSRC2:TIDIG_COMP_CNT: 0
; COMPUTE_PGM_RSRC3_GFX90A:ACCUM_OFFSET: 0
; COMPUTE_PGM_RSRC3_GFX90A:TG_SPLIT: 0
	.section	.text._ZN7rocprim17ROCPRIM_400000_NS6detail17trampoline_kernelINS0_14default_configENS1_20scan_config_selectorIlEEZZNS1_9scan_implILNS1_25lookback_scan_determinismE0ELb0ELb0ES3_PlS8_lN6thrust23THRUST_200600_302600_NS4plusIvEElEEDaPvRmT3_T4_T5_mT6_P12ihipStream_tbENKUlT_T0_E_clISt17integral_constantIbLb1EESP_IbLb0EEEEDaSL_SM_EUlSL_E_NS1_11comp_targetILNS1_3genE10ELNS1_11target_archE1201ELNS1_3gpuE5ELNS1_3repE0EEENS1_30default_config_static_selectorELNS0_4arch9wavefront6targetE1EEEvT1_,"axG",@progbits,_ZN7rocprim17ROCPRIM_400000_NS6detail17trampoline_kernelINS0_14default_configENS1_20scan_config_selectorIlEEZZNS1_9scan_implILNS1_25lookback_scan_determinismE0ELb0ELb0ES3_PlS8_lN6thrust23THRUST_200600_302600_NS4plusIvEElEEDaPvRmT3_T4_T5_mT6_P12ihipStream_tbENKUlT_T0_E_clISt17integral_constantIbLb1EESP_IbLb0EEEEDaSL_SM_EUlSL_E_NS1_11comp_targetILNS1_3genE10ELNS1_11target_archE1201ELNS1_3gpuE5ELNS1_3repE0EEENS1_30default_config_static_selectorELNS0_4arch9wavefront6targetE1EEEvT1_,comdat
	.protected	_ZN7rocprim17ROCPRIM_400000_NS6detail17trampoline_kernelINS0_14default_configENS1_20scan_config_selectorIlEEZZNS1_9scan_implILNS1_25lookback_scan_determinismE0ELb0ELb0ES3_PlS8_lN6thrust23THRUST_200600_302600_NS4plusIvEElEEDaPvRmT3_T4_T5_mT6_P12ihipStream_tbENKUlT_T0_E_clISt17integral_constantIbLb1EESP_IbLb0EEEEDaSL_SM_EUlSL_E_NS1_11comp_targetILNS1_3genE10ELNS1_11target_archE1201ELNS1_3gpuE5ELNS1_3repE0EEENS1_30default_config_static_selectorELNS0_4arch9wavefront6targetE1EEEvT1_ ; -- Begin function _ZN7rocprim17ROCPRIM_400000_NS6detail17trampoline_kernelINS0_14default_configENS1_20scan_config_selectorIlEEZZNS1_9scan_implILNS1_25lookback_scan_determinismE0ELb0ELb0ES3_PlS8_lN6thrust23THRUST_200600_302600_NS4plusIvEElEEDaPvRmT3_T4_T5_mT6_P12ihipStream_tbENKUlT_T0_E_clISt17integral_constantIbLb1EESP_IbLb0EEEEDaSL_SM_EUlSL_E_NS1_11comp_targetILNS1_3genE10ELNS1_11target_archE1201ELNS1_3gpuE5ELNS1_3repE0EEENS1_30default_config_static_selectorELNS0_4arch9wavefront6targetE1EEEvT1_
	.globl	_ZN7rocprim17ROCPRIM_400000_NS6detail17trampoline_kernelINS0_14default_configENS1_20scan_config_selectorIlEEZZNS1_9scan_implILNS1_25lookback_scan_determinismE0ELb0ELb0ES3_PlS8_lN6thrust23THRUST_200600_302600_NS4plusIvEElEEDaPvRmT3_T4_T5_mT6_P12ihipStream_tbENKUlT_T0_E_clISt17integral_constantIbLb1EESP_IbLb0EEEEDaSL_SM_EUlSL_E_NS1_11comp_targetILNS1_3genE10ELNS1_11target_archE1201ELNS1_3gpuE5ELNS1_3repE0EEENS1_30default_config_static_selectorELNS0_4arch9wavefront6targetE1EEEvT1_
	.p2align	8
	.type	_ZN7rocprim17ROCPRIM_400000_NS6detail17trampoline_kernelINS0_14default_configENS1_20scan_config_selectorIlEEZZNS1_9scan_implILNS1_25lookback_scan_determinismE0ELb0ELb0ES3_PlS8_lN6thrust23THRUST_200600_302600_NS4plusIvEElEEDaPvRmT3_T4_T5_mT6_P12ihipStream_tbENKUlT_T0_E_clISt17integral_constantIbLb1EESP_IbLb0EEEEDaSL_SM_EUlSL_E_NS1_11comp_targetILNS1_3genE10ELNS1_11target_archE1201ELNS1_3gpuE5ELNS1_3repE0EEENS1_30default_config_static_selectorELNS0_4arch9wavefront6targetE1EEEvT1_,@function
_ZN7rocprim17ROCPRIM_400000_NS6detail17trampoline_kernelINS0_14default_configENS1_20scan_config_selectorIlEEZZNS1_9scan_implILNS1_25lookback_scan_determinismE0ELb0ELb0ES3_PlS8_lN6thrust23THRUST_200600_302600_NS4plusIvEElEEDaPvRmT3_T4_T5_mT6_P12ihipStream_tbENKUlT_T0_E_clISt17integral_constantIbLb1EESP_IbLb0EEEEDaSL_SM_EUlSL_E_NS1_11comp_targetILNS1_3genE10ELNS1_11target_archE1201ELNS1_3gpuE5ELNS1_3repE0EEENS1_30default_config_static_selectorELNS0_4arch9wavefront6targetE1EEEvT1_: ; @_ZN7rocprim17ROCPRIM_400000_NS6detail17trampoline_kernelINS0_14default_configENS1_20scan_config_selectorIlEEZZNS1_9scan_implILNS1_25lookback_scan_determinismE0ELb0ELb0ES3_PlS8_lN6thrust23THRUST_200600_302600_NS4plusIvEElEEDaPvRmT3_T4_T5_mT6_P12ihipStream_tbENKUlT_T0_E_clISt17integral_constantIbLb1EESP_IbLb0EEEEDaSL_SM_EUlSL_E_NS1_11comp_targetILNS1_3genE10ELNS1_11target_archE1201ELNS1_3gpuE5ELNS1_3repE0EEENS1_30default_config_static_selectorELNS0_4arch9wavefront6targetE1EEEvT1_
; %bb.0:
	.section	.rodata,"a",@progbits
	.p2align	6, 0x0
	.amdhsa_kernel _ZN7rocprim17ROCPRIM_400000_NS6detail17trampoline_kernelINS0_14default_configENS1_20scan_config_selectorIlEEZZNS1_9scan_implILNS1_25lookback_scan_determinismE0ELb0ELb0ES3_PlS8_lN6thrust23THRUST_200600_302600_NS4plusIvEElEEDaPvRmT3_T4_T5_mT6_P12ihipStream_tbENKUlT_T0_E_clISt17integral_constantIbLb1EESP_IbLb0EEEEDaSL_SM_EUlSL_E_NS1_11comp_targetILNS1_3genE10ELNS1_11target_archE1201ELNS1_3gpuE5ELNS1_3repE0EEENS1_30default_config_static_selectorELNS0_4arch9wavefront6targetE1EEEvT1_
		.amdhsa_group_segment_fixed_size 0
		.amdhsa_private_segment_fixed_size 0
		.amdhsa_kernarg_size 104
		.amdhsa_user_sgpr_count 2
		.amdhsa_user_sgpr_dispatch_ptr 0
		.amdhsa_user_sgpr_queue_ptr 0
		.amdhsa_user_sgpr_kernarg_segment_ptr 1
		.amdhsa_user_sgpr_dispatch_id 0
		.amdhsa_user_sgpr_kernarg_preload_length 0
		.amdhsa_user_sgpr_kernarg_preload_offset 0
		.amdhsa_user_sgpr_private_segment_size 0
		.amdhsa_uses_dynamic_stack 0
		.amdhsa_enable_private_segment 0
		.amdhsa_system_sgpr_workgroup_id_x 1
		.amdhsa_system_sgpr_workgroup_id_y 0
		.amdhsa_system_sgpr_workgroup_id_z 0
		.amdhsa_system_sgpr_workgroup_info 0
		.amdhsa_system_vgpr_workitem_id 0
		.amdhsa_next_free_vgpr 1
		.amdhsa_next_free_sgpr 0
		.amdhsa_accum_offset 4
		.amdhsa_reserve_vcc 0
		.amdhsa_float_round_mode_32 0
		.amdhsa_float_round_mode_16_64 0
		.amdhsa_float_denorm_mode_32 3
		.amdhsa_float_denorm_mode_16_64 3
		.amdhsa_dx10_clamp 1
		.amdhsa_ieee_mode 1
		.amdhsa_fp16_overflow 0
		.amdhsa_tg_split 0
		.amdhsa_exception_fp_ieee_invalid_op 0
		.amdhsa_exception_fp_denorm_src 0
		.amdhsa_exception_fp_ieee_div_zero 0
		.amdhsa_exception_fp_ieee_overflow 0
		.amdhsa_exception_fp_ieee_underflow 0
		.amdhsa_exception_fp_ieee_inexact 0
		.amdhsa_exception_int_div_zero 0
	.end_amdhsa_kernel
	.section	.text._ZN7rocprim17ROCPRIM_400000_NS6detail17trampoline_kernelINS0_14default_configENS1_20scan_config_selectorIlEEZZNS1_9scan_implILNS1_25lookback_scan_determinismE0ELb0ELb0ES3_PlS8_lN6thrust23THRUST_200600_302600_NS4plusIvEElEEDaPvRmT3_T4_T5_mT6_P12ihipStream_tbENKUlT_T0_E_clISt17integral_constantIbLb1EESP_IbLb0EEEEDaSL_SM_EUlSL_E_NS1_11comp_targetILNS1_3genE10ELNS1_11target_archE1201ELNS1_3gpuE5ELNS1_3repE0EEENS1_30default_config_static_selectorELNS0_4arch9wavefront6targetE1EEEvT1_,"axG",@progbits,_ZN7rocprim17ROCPRIM_400000_NS6detail17trampoline_kernelINS0_14default_configENS1_20scan_config_selectorIlEEZZNS1_9scan_implILNS1_25lookback_scan_determinismE0ELb0ELb0ES3_PlS8_lN6thrust23THRUST_200600_302600_NS4plusIvEElEEDaPvRmT3_T4_T5_mT6_P12ihipStream_tbENKUlT_T0_E_clISt17integral_constantIbLb1EESP_IbLb0EEEEDaSL_SM_EUlSL_E_NS1_11comp_targetILNS1_3genE10ELNS1_11target_archE1201ELNS1_3gpuE5ELNS1_3repE0EEENS1_30default_config_static_selectorELNS0_4arch9wavefront6targetE1EEEvT1_,comdat
.Lfunc_end128:
	.size	_ZN7rocprim17ROCPRIM_400000_NS6detail17trampoline_kernelINS0_14default_configENS1_20scan_config_selectorIlEEZZNS1_9scan_implILNS1_25lookback_scan_determinismE0ELb0ELb0ES3_PlS8_lN6thrust23THRUST_200600_302600_NS4plusIvEElEEDaPvRmT3_T4_T5_mT6_P12ihipStream_tbENKUlT_T0_E_clISt17integral_constantIbLb1EESP_IbLb0EEEEDaSL_SM_EUlSL_E_NS1_11comp_targetILNS1_3genE10ELNS1_11target_archE1201ELNS1_3gpuE5ELNS1_3repE0EEENS1_30default_config_static_selectorELNS0_4arch9wavefront6targetE1EEEvT1_, .Lfunc_end128-_ZN7rocprim17ROCPRIM_400000_NS6detail17trampoline_kernelINS0_14default_configENS1_20scan_config_selectorIlEEZZNS1_9scan_implILNS1_25lookback_scan_determinismE0ELb0ELb0ES3_PlS8_lN6thrust23THRUST_200600_302600_NS4plusIvEElEEDaPvRmT3_T4_T5_mT6_P12ihipStream_tbENKUlT_T0_E_clISt17integral_constantIbLb1EESP_IbLb0EEEEDaSL_SM_EUlSL_E_NS1_11comp_targetILNS1_3genE10ELNS1_11target_archE1201ELNS1_3gpuE5ELNS1_3repE0EEENS1_30default_config_static_selectorELNS0_4arch9wavefront6targetE1EEEvT1_
                                        ; -- End function
	.section	.AMDGPU.csdata,"",@progbits
; Kernel info:
; codeLenInByte = 0
; NumSgprs: 6
; NumVgprs: 0
; NumAgprs: 0
; TotalNumVgprs: 0
; ScratchSize: 0
; MemoryBound: 0
; FloatMode: 240
; IeeeMode: 1
; LDSByteSize: 0 bytes/workgroup (compile time only)
; SGPRBlocks: 0
; VGPRBlocks: 0
; NumSGPRsForWavesPerEU: 6
; NumVGPRsForWavesPerEU: 1
; AccumOffset: 4
; Occupancy: 8
; WaveLimiterHint : 0
; COMPUTE_PGM_RSRC2:SCRATCH_EN: 0
; COMPUTE_PGM_RSRC2:USER_SGPR: 2
; COMPUTE_PGM_RSRC2:TRAP_HANDLER: 0
; COMPUTE_PGM_RSRC2:TGID_X_EN: 1
; COMPUTE_PGM_RSRC2:TGID_Y_EN: 0
; COMPUTE_PGM_RSRC2:TGID_Z_EN: 0
; COMPUTE_PGM_RSRC2:TIDIG_COMP_CNT: 0
; COMPUTE_PGM_RSRC3_GFX90A:ACCUM_OFFSET: 0
; COMPUTE_PGM_RSRC3_GFX90A:TG_SPLIT: 0
	.section	.text._ZN7rocprim17ROCPRIM_400000_NS6detail17trampoline_kernelINS0_14default_configENS1_20scan_config_selectorIlEEZZNS1_9scan_implILNS1_25lookback_scan_determinismE0ELb0ELb0ES3_PlS8_lN6thrust23THRUST_200600_302600_NS4plusIvEElEEDaPvRmT3_T4_T5_mT6_P12ihipStream_tbENKUlT_T0_E_clISt17integral_constantIbLb1EESP_IbLb0EEEEDaSL_SM_EUlSL_E_NS1_11comp_targetILNS1_3genE10ELNS1_11target_archE1200ELNS1_3gpuE4ELNS1_3repE0EEENS1_30default_config_static_selectorELNS0_4arch9wavefront6targetE1EEEvT1_,"axG",@progbits,_ZN7rocprim17ROCPRIM_400000_NS6detail17trampoline_kernelINS0_14default_configENS1_20scan_config_selectorIlEEZZNS1_9scan_implILNS1_25lookback_scan_determinismE0ELb0ELb0ES3_PlS8_lN6thrust23THRUST_200600_302600_NS4plusIvEElEEDaPvRmT3_T4_T5_mT6_P12ihipStream_tbENKUlT_T0_E_clISt17integral_constantIbLb1EESP_IbLb0EEEEDaSL_SM_EUlSL_E_NS1_11comp_targetILNS1_3genE10ELNS1_11target_archE1200ELNS1_3gpuE4ELNS1_3repE0EEENS1_30default_config_static_selectorELNS0_4arch9wavefront6targetE1EEEvT1_,comdat
	.protected	_ZN7rocprim17ROCPRIM_400000_NS6detail17trampoline_kernelINS0_14default_configENS1_20scan_config_selectorIlEEZZNS1_9scan_implILNS1_25lookback_scan_determinismE0ELb0ELb0ES3_PlS8_lN6thrust23THRUST_200600_302600_NS4plusIvEElEEDaPvRmT3_T4_T5_mT6_P12ihipStream_tbENKUlT_T0_E_clISt17integral_constantIbLb1EESP_IbLb0EEEEDaSL_SM_EUlSL_E_NS1_11comp_targetILNS1_3genE10ELNS1_11target_archE1200ELNS1_3gpuE4ELNS1_3repE0EEENS1_30default_config_static_selectorELNS0_4arch9wavefront6targetE1EEEvT1_ ; -- Begin function _ZN7rocprim17ROCPRIM_400000_NS6detail17trampoline_kernelINS0_14default_configENS1_20scan_config_selectorIlEEZZNS1_9scan_implILNS1_25lookback_scan_determinismE0ELb0ELb0ES3_PlS8_lN6thrust23THRUST_200600_302600_NS4plusIvEElEEDaPvRmT3_T4_T5_mT6_P12ihipStream_tbENKUlT_T0_E_clISt17integral_constantIbLb1EESP_IbLb0EEEEDaSL_SM_EUlSL_E_NS1_11comp_targetILNS1_3genE10ELNS1_11target_archE1200ELNS1_3gpuE4ELNS1_3repE0EEENS1_30default_config_static_selectorELNS0_4arch9wavefront6targetE1EEEvT1_
	.globl	_ZN7rocprim17ROCPRIM_400000_NS6detail17trampoline_kernelINS0_14default_configENS1_20scan_config_selectorIlEEZZNS1_9scan_implILNS1_25lookback_scan_determinismE0ELb0ELb0ES3_PlS8_lN6thrust23THRUST_200600_302600_NS4plusIvEElEEDaPvRmT3_T4_T5_mT6_P12ihipStream_tbENKUlT_T0_E_clISt17integral_constantIbLb1EESP_IbLb0EEEEDaSL_SM_EUlSL_E_NS1_11comp_targetILNS1_3genE10ELNS1_11target_archE1200ELNS1_3gpuE4ELNS1_3repE0EEENS1_30default_config_static_selectorELNS0_4arch9wavefront6targetE1EEEvT1_
	.p2align	8
	.type	_ZN7rocprim17ROCPRIM_400000_NS6detail17trampoline_kernelINS0_14default_configENS1_20scan_config_selectorIlEEZZNS1_9scan_implILNS1_25lookback_scan_determinismE0ELb0ELb0ES3_PlS8_lN6thrust23THRUST_200600_302600_NS4plusIvEElEEDaPvRmT3_T4_T5_mT6_P12ihipStream_tbENKUlT_T0_E_clISt17integral_constantIbLb1EESP_IbLb0EEEEDaSL_SM_EUlSL_E_NS1_11comp_targetILNS1_3genE10ELNS1_11target_archE1200ELNS1_3gpuE4ELNS1_3repE0EEENS1_30default_config_static_selectorELNS0_4arch9wavefront6targetE1EEEvT1_,@function
_ZN7rocprim17ROCPRIM_400000_NS6detail17trampoline_kernelINS0_14default_configENS1_20scan_config_selectorIlEEZZNS1_9scan_implILNS1_25lookback_scan_determinismE0ELb0ELb0ES3_PlS8_lN6thrust23THRUST_200600_302600_NS4plusIvEElEEDaPvRmT3_T4_T5_mT6_P12ihipStream_tbENKUlT_T0_E_clISt17integral_constantIbLb1EESP_IbLb0EEEEDaSL_SM_EUlSL_E_NS1_11comp_targetILNS1_3genE10ELNS1_11target_archE1200ELNS1_3gpuE4ELNS1_3repE0EEENS1_30default_config_static_selectorELNS0_4arch9wavefront6targetE1EEEvT1_: ; @_ZN7rocprim17ROCPRIM_400000_NS6detail17trampoline_kernelINS0_14default_configENS1_20scan_config_selectorIlEEZZNS1_9scan_implILNS1_25lookback_scan_determinismE0ELb0ELb0ES3_PlS8_lN6thrust23THRUST_200600_302600_NS4plusIvEElEEDaPvRmT3_T4_T5_mT6_P12ihipStream_tbENKUlT_T0_E_clISt17integral_constantIbLb1EESP_IbLb0EEEEDaSL_SM_EUlSL_E_NS1_11comp_targetILNS1_3genE10ELNS1_11target_archE1200ELNS1_3gpuE4ELNS1_3repE0EEENS1_30default_config_static_selectorELNS0_4arch9wavefront6targetE1EEEvT1_
; %bb.0:
	.section	.rodata,"a",@progbits
	.p2align	6, 0x0
	.amdhsa_kernel _ZN7rocprim17ROCPRIM_400000_NS6detail17trampoline_kernelINS0_14default_configENS1_20scan_config_selectorIlEEZZNS1_9scan_implILNS1_25lookback_scan_determinismE0ELb0ELb0ES3_PlS8_lN6thrust23THRUST_200600_302600_NS4plusIvEElEEDaPvRmT3_T4_T5_mT6_P12ihipStream_tbENKUlT_T0_E_clISt17integral_constantIbLb1EESP_IbLb0EEEEDaSL_SM_EUlSL_E_NS1_11comp_targetILNS1_3genE10ELNS1_11target_archE1200ELNS1_3gpuE4ELNS1_3repE0EEENS1_30default_config_static_selectorELNS0_4arch9wavefront6targetE1EEEvT1_
		.amdhsa_group_segment_fixed_size 0
		.amdhsa_private_segment_fixed_size 0
		.amdhsa_kernarg_size 104
		.amdhsa_user_sgpr_count 2
		.amdhsa_user_sgpr_dispatch_ptr 0
		.amdhsa_user_sgpr_queue_ptr 0
		.amdhsa_user_sgpr_kernarg_segment_ptr 1
		.amdhsa_user_sgpr_dispatch_id 0
		.amdhsa_user_sgpr_kernarg_preload_length 0
		.amdhsa_user_sgpr_kernarg_preload_offset 0
		.amdhsa_user_sgpr_private_segment_size 0
		.amdhsa_uses_dynamic_stack 0
		.amdhsa_enable_private_segment 0
		.amdhsa_system_sgpr_workgroup_id_x 1
		.amdhsa_system_sgpr_workgroup_id_y 0
		.amdhsa_system_sgpr_workgroup_id_z 0
		.amdhsa_system_sgpr_workgroup_info 0
		.amdhsa_system_vgpr_workitem_id 0
		.amdhsa_next_free_vgpr 1
		.amdhsa_next_free_sgpr 0
		.amdhsa_accum_offset 4
		.amdhsa_reserve_vcc 0
		.amdhsa_float_round_mode_32 0
		.amdhsa_float_round_mode_16_64 0
		.amdhsa_float_denorm_mode_32 3
		.amdhsa_float_denorm_mode_16_64 3
		.amdhsa_dx10_clamp 1
		.amdhsa_ieee_mode 1
		.amdhsa_fp16_overflow 0
		.amdhsa_tg_split 0
		.amdhsa_exception_fp_ieee_invalid_op 0
		.amdhsa_exception_fp_denorm_src 0
		.amdhsa_exception_fp_ieee_div_zero 0
		.amdhsa_exception_fp_ieee_overflow 0
		.amdhsa_exception_fp_ieee_underflow 0
		.amdhsa_exception_fp_ieee_inexact 0
		.amdhsa_exception_int_div_zero 0
	.end_amdhsa_kernel
	.section	.text._ZN7rocprim17ROCPRIM_400000_NS6detail17trampoline_kernelINS0_14default_configENS1_20scan_config_selectorIlEEZZNS1_9scan_implILNS1_25lookback_scan_determinismE0ELb0ELb0ES3_PlS8_lN6thrust23THRUST_200600_302600_NS4plusIvEElEEDaPvRmT3_T4_T5_mT6_P12ihipStream_tbENKUlT_T0_E_clISt17integral_constantIbLb1EESP_IbLb0EEEEDaSL_SM_EUlSL_E_NS1_11comp_targetILNS1_3genE10ELNS1_11target_archE1200ELNS1_3gpuE4ELNS1_3repE0EEENS1_30default_config_static_selectorELNS0_4arch9wavefront6targetE1EEEvT1_,"axG",@progbits,_ZN7rocprim17ROCPRIM_400000_NS6detail17trampoline_kernelINS0_14default_configENS1_20scan_config_selectorIlEEZZNS1_9scan_implILNS1_25lookback_scan_determinismE0ELb0ELb0ES3_PlS8_lN6thrust23THRUST_200600_302600_NS4plusIvEElEEDaPvRmT3_T4_T5_mT6_P12ihipStream_tbENKUlT_T0_E_clISt17integral_constantIbLb1EESP_IbLb0EEEEDaSL_SM_EUlSL_E_NS1_11comp_targetILNS1_3genE10ELNS1_11target_archE1200ELNS1_3gpuE4ELNS1_3repE0EEENS1_30default_config_static_selectorELNS0_4arch9wavefront6targetE1EEEvT1_,comdat
.Lfunc_end129:
	.size	_ZN7rocprim17ROCPRIM_400000_NS6detail17trampoline_kernelINS0_14default_configENS1_20scan_config_selectorIlEEZZNS1_9scan_implILNS1_25lookback_scan_determinismE0ELb0ELb0ES3_PlS8_lN6thrust23THRUST_200600_302600_NS4plusIvEElEEDaPvRmT3_T4_T5_mT6_P12ihipStream_tbENKUlT_T0_E_clISt17integral_constantIbLb1EESP_IbLb0EEEEDaSL_SM_EUlSL_E_NS1_11comp_targetILNS1_3genE10ELNS1_11target_archE1200ELNS1_3gpuE4ELNS1_3repE0EEENS1_30default_config_static_selectorELNS0_4arch9wavefront6targetE1EEEvT1_, .Lfunc_end129-_ZN7rocprim17ROCPRIM_400000_NS6detail17trampoline_kernelINS0_14default_configENS1_20scan_config_selectorIlEEZZNS1_9scan_implILNS1_25lookback_scan_determinismE0ELb0ELb0ES3_PlS8_lN6thrust23THRUST_200600_302600_NS4plusIvEElEEDaPvRmT3_T4_T5_mT6_P12ihipStream_tbENKUlT_T0_E_clISt17integral_constantIbLb1EESP_IbLb0EEEEDaSL_SM_EUlSL_E_NS1_11comp_targetILNS1_3genE10ELNS1_11target_archE1200ELNS1_3gpuE4ELNS1_3repE0EEENS1_30default_config_static_selectorELNS0_4arch9wavefront6targetE1EEEvT1_
                                        ; -- End function
	.section	.AMDGPU.csdata,"",@progbits
; Kernel info:
; codeLenInByte = 0
; NumSgprs: 6
; NumVgprs: 0
; NumAgprs: 0
; TotalNumVgprs: 0
; ScratchSize: 0
; MemoryBound: 0
; FloatMode: 240
; IeeeMode: 1
; LDSByteSize: 0 bytes/workgroup (compile time only)
; SGPRBlocks: 0
; VGPRBlocks: 0
; NumSGPRsForWavesPerEU: 6
; NumVGPRsForWavesPerEU: 1
; AccumOffset: 4
; Occupancy: 8
; WaveLimiterHint : 0
; COMPUTE_PGM_RSRC2:SCRATCH_EN: 0
; COMPUTE_PGM_RSRC2:USER_SGPR: 2
; COMPUTE_PGM_RSRC2:TRAP_HANDLER: 0
; COMPUTE_PGM_RSRC2:TGID_X_EN: 1
; COMPUTE_PGM_RSRC2:TGID_Y_EN: 0
; COMPUTE_PGM_RSRC2:TGID_Z_EN: 0
; COMPUTE_PGM_RSRC2:TIDIG_COMP_CNT: 0
; COMPUTE_PGM_RSRC3_GFX90A:ACCUM_OFFSET: 0
; COMPUTE_PGM_RSRC3_GFX90A:TG_SPLIT: 0
	.section	.text._ZN7rocprim17ROCPRIM_400000_NS6detail17trampoline_kernelINS0_14default_configENS1_20scan_config_selectorIlEEZZNS1_9scan_implILNS1_25lookback_scan_determinismE0ELb0ELb0ES3_PlS8_lN6thrust23THRUST_200600_302600_NS4plusIvEElEEDaPvRmT3_T4_T5_mT6_P12ihipStream_tbENKUlT_T0_E_clISt17integral_constantIbLb1EESP_IbLb0EEEEDaSL_SM_EUlSL_E_NS1_11comp_targetILNS1_3genE9ELNS1_11target_archE1100ELNS1_3gpuE3ELNS1_3repE0EEENS1_30default_config_static_selectorELNS0_4arch9wavefront6targetE1EEEvT1_,"axG",@progbits,_ZN7rocprim17ROCPRIM_400000_NS6detail17trampoline_kernelINS0_14default_configENS1_20scan_config_selectorIlEEZZNS1_9scan_implILNS1_25lookback_scan_determinismE0ELb0ELb0ES3_PlS8_lN6thrust23THRUST_200600_302600_NS4plusIvEElEEDaPvRmT3_T4_T5_mT6_P12ihipStream_tbENKUlT_T0_E_clISt17integral_constantIbLb1EESP_IbLb0EEEEDaSL_SM_EUlSL_E_NS1_11comp_targetILNS1_3genE9ELNS1_11target_archE1100ELNS1_3gpuE3ELNS1_3repE0EEENS1_30default_config_static_selectorELNS0_4arch9wavefront6targetE1EEEvT1_,comdat
	.protected	_ZN7rocprim17ROCPRIM_400000_NS6detail17trampoline_kernelINS0_14default_configENS1_20scan_config_selectorIlEEZZNS1_9scan_implILNS1_25lookback_scan_determinismE0ELb0ELb0ES3_PlS8_lN6thrust23THRUST_200600_302600_NS4plusIvEElEEDaPvRmT3_T4_T5_mT6_P12ihipStream_tbENKUlT_T0_E_clISt17integral_constantIbLb1EESP_IbLb0EEEEDaSL_SM_EUlSL_E_NS1_11comp_targetILNS1_3genE9ELNS1_11target_archE1100ELNS1_3gpuE3ELNS1_3repE0EEENS1_30default_config_static_selectorELNS0_4arch9wavefront6targetE1EEEvT1_ ; -- Begin function _ZN7rocprim17ROCPRIM_400000_NS6detail17trampoline_kernelINS0_14default_configENS1_20scan_config_selectorIlEEZZNS1_9scan_implILNS1_25lookback_scan_determinismE0ELb0ELb0ES3_PlS8_lN6thrust23THRUST_200600_302600_NS4plusIvEElEEDaPvRmT3_T4_T5_mT6_P12ihipStream_tbENKUlT_T0_E_clISt17integral_constantIbLb1EESP_IbLb0EEEEDaSL_SM_EUlSL_E_NS1_11comp_targetILNS1_3genE9ELNS1_11target_archE1100ELNS1_3gpuE3ELNS1_3repE0EEENS1_30default_config_static_selectorELNS0_4arch9wavefront6targetE1EEEvT1_
	.globl	_ZN7rocprim17ROCPRIM_400000_NS6detail17trampoline_kernelINS0_14default_configENS1_20scan_config_selectorIlEEZZNS1_9scan_implILNS1_25lookback_scan_determinismE0ELb0ELb0ES3_PlS8_lN6thrust23THRUST_200600_302600_NS4plusIvEElEEDaPvRmT3_T4_T5_mT6_P12ihipStream_tbENKUlT_T0_E_clISt17integral_constantIbLb1EESP_IbLb0EEEEDaSL_SM_EUlSL_E_NS1_11comp_targetILNS1_3genE9ELNS1_11target_archE1100ELNS1_3gpuE3ELNS1_3repE0EEENS1_30default_config_static_selectorELNS0_4arch9wavefront6targetE1EEEvT1_
	.p2align	8
	.type	_ZN7rocprim17ROCPRIM_400000_NS6detail17trampoline_kernelINS0_14default_configENS1_20scan_config_selectorIlEEZZNS1_9scan_implILNS1_25lookback_scan_determinismE0ELb0ELb0ES3_PlS8_lN6thrust23THRUST_200600_302600_NS4plusIvEElEEDaPvRmT3_T4_T5_mT6_P12ihipStream_tbENKUlT_T0_E_clISt17integral_constantIbLb1EESP_IbLb0EEEEDaSL_SM_EUlSL_E_NS1_11comp_targetILNS1_3genE9ELNS1_11target_archE1100ELNS1_3gpuE3ELNS1_3repE0EEENS1_30default_config_static_selectorELNS0_4arch9wavefront6targetE1EEEvT1_,@function
_ZN7rocprim17ROCPRIM_400000_NS6detail17trampoline_kernelINS0_14default_configENS1_20scan_config_selectorIlEEZZNS1_9scan_implILNS1_25lookback_scan_determinismE0ELb0ELb0ES3_PlS8_lN6thrust23THRUST_200600_302600_NS4plusIvEElEEDaPvRmT3_T4_T5_mT6_P12ihipStream_tbENKUlT_T0_E_clISt17integral_constantIbLb1EESP_IbLb0EEEEDaSL_SM_EUlSL_E_NS1_11comp_targetILNS1_3genE9ELNS1_11target_archE1100ELNS1_3gpuE3ELNS1_3repE0EEENS1_30default_config_static_selectorELNS0_4arch9wavefront6targetE1EEEvT1_: ; @_ZN7rocprim17ROCPRIM_400000_NS6detail17trampoline_kernelINS0_14default_configENS1_20scan_config_selectorIlEEZZNS1_9scan_implILNS1_25lookback_scan_determinismE0ELb0ELb0ES3_PlS8_lN6thrust23THRUST_200600_302600_NS4plusIvEElEEDaPvRmT3_T4_T5_mT6_P12ihipStream_tbENKUlT_T0_E_clISt17integral_constantIbLb1EESP_IbLb0EEEEDaSL_SM_EUlSL_E_NS1_11comp_targetILNS1_3genE9ELNS1_11target_archE1100ELNS1_3gpuE3ELNS1_3repE0EEENS1_30default_config_static_selectorELNS0_4arch9wavefront6targetE1EEEvT1_
; %bb.0:
	.section	.rodata,"a",@progbits
	.p2align	6, 0x0
	.amdhsa_kernel _ZN7rocprim17ROCPRIM_400000_NS6detail17trampoline_kernelINS0_14default_configENS1_20scan_config_selectorIlEEZZNS1_9scan_implILNS1_25lookback_scan_determinismE0ELb0ELb0ES3_PlS8_lN6thrust23THRUST_200600_302600_NS4plusIvEElEEDaPvRmT3_T4_T5_mT6_P12ihipStream_tbENKUlT_T0_E_clISt17integral_constantIbLb1EESP_IbLb0EEEEDaSL_SM_EUlSL_E_NS1_11comp_targetILNS1_3genE9ELNS1_11target_archE1100ELNS1_3gpuE3ELNS1_3repE0EEENS1_30default_config_static_selectorELNS0_4arch9wavefront6targetE1EEEvT1_
		.amdhsa_group_segment_fixed_size 0
		.amdhsa_private_segment_fixed_size 0
		.amdhsa_kernarg_size 104
		.amdhsa_user_sgpr_count 2
		.amdhsa_user_sgpr_dispatch_ptr 0
		.amdhsa_user_sgpr_queue_ptr 0
		.amdhsa_user_sgpr_kernarg_segment_ptr 1
		.amdhsa_user_sgpr_dispatch_id 0
		.amdhsa_user_sgpr_kernarg_preload_length 0
		.amdhsa_user_sgpr_kernarg_preload_offset 0
		.amdhsa_user_sgpr_private_segment_size 0
		.amdhsa_uses_dynamic_stack 0
		.amdhsa_enable_private_segment 0
		.amdhsa_system_sgpr_workgroup_id_x 1
		.amdhsa_system_sgpr_workgroup_id_y 0
		.amdhsa_system_sgpr_workgroup_id_z 0
		.amdhsa_system_sgpr_workgroup_info 0
		.amdhsa_system_vgpr_workitem_id 0
		.amdhsa_next_free_vgpr 1
		.amdhsa_next_free_sgpr 0
		.amdhsa_accum_offset 4
		.amdhsa_reserve_vcc 0
		.amdhsa_float_round_mode_32 0
		.amdhsa_float_round_mode_16_64 0
		.amdhsa_float_denorm_mode_32 3
		.amdhsa_float_denorm_mode_16_64 3
		.amdhsa_dx10_clamp 1
		.amdhsa_ieee_mode 1
		.amdhsa_fp16_overflow 0
		.amdhsa_tg_split 0
		.amdhsa_exception_fp_ieee_invalid_op 0
		.amdhsa_exception_fp_denorm_src 0
		.amdhsa_exception_fp_ieee_div_zero 0
		.amdhsa_exception_fp_ieee_overflow 0
		.amdhsa_exception_fp_ieee_underflow 0
		.amdhsa_exception_fp_ieee_inexact 0
		.amdhsa_exception_int_div_zero 0
	.end_amdhsa_kernel
	.section	.text._ZN7rocprim17ROCPRIM_400000_NS6detail17trampoline_kernelINS0_14default_configENS1_20scan_config_selectorIlEEZZNS1_9scan_implILNS1_25lookback_scan_determinismE0ELb0ELb0ES3_PlS8_lN6thrust23THRUST_200600_302600_NS4plusIvEElEEDaPvRmT3_T4_T5_mT6_P12ihipStream_tbENKUlT_T0_E_clISt17integral_constantIbLb1EESP_IbLb0EEEEDaSL_SM_EUlSL_E_NS1_11comp_targetILNS1_3genE9ELNS1_11target_archE1100ELNS1_3gpuE3ELNS1_3repE0EEENS1_30default_config_static_selectorELNS0_4arch9wavefront6targetE1EEEvT1_,"axG",@progbits,_ZN7rocprim17ROCPRIM_400000_NS6detail17trampoline_kernelINS0_14default_configENS1_20scan_config_selectorIlEEZZNS1_9scan_implILNS1_25lookback_scan_determinismE0ELb0ELb0ES3_PlS8_lN6thrust23THRUST_200600_302600_NS4plusIvEElEEDaPvRmT3_T4_T5_mT6_P12ihipStream_tbENKUlT_T0_E_clISt17integral_constantIbLb1EESP_IbLb0EEEEDaSL_SM_EUlSL_E_NS1_11comp_targetILNS1_3genE9ELNS1_11target_archE1100ELNS1_3gpuE3ELNS1_3repE0EEENS1_30default_config_static_selectorELNS0_4arch9wavefront6targetE1EEEvT1_,comdat
.Lfunc_end130:
	.size	_ZN7rocprim17ROCPRIM_400000_NS6detail17trampoline_kernelINS0_14default_configENS1_20scan_config_selectorIlEEZZNS1_9scan_implILNS1_25lookback_scan_determinismE0ELb0ELb0ES3_PlS8_lN6thrust23THRUST_200600_302600_NS4plusIvEElEEDaPvRmT3_T4_T5_mT6_P12ihipStream_tbENKUlT_T0_E_clISt17integral_constantIbLb1EESP_IbLb0EEEEDaSL_SM_EUlSL_E_NS1_11comp_targetILNS1_3genE9ELNS1_11target_archE1100ELNS1_3gpuE3ELNS1_3repE0EEENS1_30default_config_static_selectorELNS0_4arch9wavefront6targetE1EEEvT1_, .Lfunc_end130-_ZN7rocprim17ROCPRIM_400000_NS6detail17trampoline_kernelINS0_14default_configENS1_20scan_config_selectorIlEEZZNS1_9scan_implILNS1_25lookback_scan_determinismE0ELb0ELb0ES3_PlS8_lN6thrust23THRUST_200600_302600_NS4plusIvEElEEDaPvRmT3_T4_T5_mT6_P12ihipStream_tbENKUlT_T0_E_clISt17integral_constantIbLb1EESP_IbLb0EEEEDaSL_SM_EUlSL_E_NS1_11comp_targetILNS1_3genE9ELNS1_11target_archE1100ELNS1_3gpuE3ELNS1_3repE0EEENS1_30default_config_static_selectorELNS0_4arch9wavefront6targetE1EEEvT1_
                                        ; -- End function
	.section	.AMDGPU.csdata,"",@progbits
; Kernel info:
; codeLenInByte = 0
; NumSgprs: 6
; NumVgprs: 0
; NumAgprs: 0
; TotalNumVgprs: 0
; ScratchSize: 0
; MemoryBound: 0
; FloatMode: 240
; IeeeMode: 1
; LDSByteSize: 0 bytes/workgroup (compile time only)
; SGPRBlocks: 0
; VGPRBlocks: 0
; NumSGPRsForWavesPerEU: 6
; NumVGPRsForWavesPerEU: 1
; AccumOffset: 4
; Occupancy: 8
; WaveLimiterHint : 0
; COMPUTE_PGM_RSRC2:SCRATCH_EN: 0
; COMPUTE_PGM_RSRC2:USER_SGPR: 2
; COMPUTE_PGM_RSRC2:TRAP_HANDLER: 0
; COMPUTE_PGM_RSRC2:TGID_X_EN: 1
; COMPUTE_PGM_RSRC2:TGID_Y_EN: 0
; COMPUTE_PGM_RSRC2:TGID_Z_EN: 0
; COMPUTE_PGM_RSRC2:TIDIG_COMP_CNT: 0
; COMPUTE_PGM_RSRC3_GFX90A:ACCUM_OFFSET: 0
; COMPUTE_PGM_RSRC3_GFX90A:TG_SPLIT: 0
	.section	.text._ZN7rocprim17ROCPRIM_400000_NS6detail17trampoline_kernelINS0_14default_configENS1_20scan_config_selectorIlEEZZNS1_9scan_implILNS1_25lookback_scan_determinismE0ELb0ELb0ES3_PlS8_lN6thrust23THRUST_200600_302600_NS4plusIvEElEEDaPvRmT3_T4_T5_mT6_P12ihipStream_tbENKUlT_T0_E_clISt17integral_constantIbLb1EESP_IbLb0EEEEDaSL_SM_EUlSL_E_NS1_11comp_targetILNS1_3genE8ELNS1_11target_archE1030ELNS1_3gpuE2ELNS1_3repE0EEENS1_30default_config_static_selectorELNS0_4arch9wavefront6targetE1EEEvT1_,"axG",@progbits,_ZN7rocprim17ROCPRIM_400000_NS6detail17trampoline_kernelINS0_14default_configENS1_20scan_config_selectorIlEEZZNS1_9scan_implILNS1_25lookback_scan_determinismE0ELb0ELb0ES3_PlS8_lN6thrust23THRUST_200600_302600_NS4plusIvEElEEDaPvRmT3_T4_T5_mT6_P12ihipStream_tbENKUlT_T0_E_clISt17integral_constantIbLb1EESP_IbLb0EEEEDaSL_SM_EUlSL_E_NS1_11comp_targetILNS1_3genE8ELNS1_11target_archE1030ELNS1_3gpuE2ELNS1_3repE0EEENS1_30default_config_static_selectorELNS0_4arch9wavefront6targetE1EEEvT1_,comdat
	.protected	_ZN7rocprim17ROCPRIM_400000_NS6detail17trampoline_kernelINS0_14default_configENS1_20scan_config_selectorIlEEZZNS1_9scan_implILNS1_25lookback_scan_determinismE0ELb0ELb0ES3_PlS8_lN6thrust23THRUST_200600_302600_NS4plusIvEElEEDaPvRmT3_T4_T5_mT6_P12ihipStream_tbENKUlT_T0_E_clISt17integral_constantIbLb1EESP_IbLb0EEEEDaSL_SM_EUlSL_E_NS1_11comp_targetILNS1_3genE8ELNS1_11target_archE1030ELNS1_3gpuE2ELNS1_3repE0EEENS1_30default_config_static_selectorELNS0_4arch9wavefront6targetE1EEEvT1_ ; -- Begin function _ZN7rocprim17ROCPRIM_400000_NS6detail17trampoline_kernelINS0_14default_configENS1_20scan_config_selectorIlEEZZNS1_9scan_implILNS1_25lookback_scan_determinismE0ELb0ELb0ES3_PlS8_lN6thrust23THRUST_200600_302600_NS4plusIvEElEEDaPvRmT3_T4_T5_mT6_P12ihipStream_tbENKUlT_T0_E_clISt17integral_constantIbLb1EESP_IbLb0EEEEDaSL_SM_EUlSL_E_NS1_11comp_targetILNS1_3genE8ELNS1_11target_archE1030ELNS1_3gpuE2ELNS1_3repE0EEENS1_30default_config_static_selectorELNS0_4arch9wavefront6targetE1EEEvT1_
	.globl	_ZN7rocprim17ROCPRIM_400000_NS6detail17trampoline_kernelINS0_14default_configENS1_20scan_config_selectorIlEEZZNS1_9scan_implILNS1_25lookback_scan_determinismE0ELb0ELb0ES3_PlS8_lN6thrust23THRUST_200600_302600_NS4plusIvEElEEDaPvRmT3_T4_T5_mT6_P12ihipStream_tbENKUlT_T0_E_clISt17integral_constantIbLb1EESP_IbLb0EEEEDaSL_SM_EUlSL_E_NS1_11comp_targetILNS1_3genE8ELNS1_11target_archE1030ELNS1_3gpuE2ELNS1_3repE0EEENS1_30default_config_static_selectorELNS0_4arch9wavefront6targetE1EEEvT1_
	.p2align	8
	.type	_ZN7rocprim17ROCPRIM_400000_NS6detail17trampoline_kernelINS0_14default_configENS1_20scan_config_selectorIlEEZZNS1_9scan_implILNS1_25lookback_scan_determinismE0ELb0ELb0ES3_PlS8_lN6thrust23THRUST_200600_302600_NS4plusIvEElEEDaPvRmT3_T4_T5_mT6_P12ihipStream_tbENKUlT_T0_E_clISt17integral_constantIbLb1EESP_IbLb0EEEEDaSL_SM_EUlSL_E_NS1_11comp_targetILNS1_3genE8ELNS1_11target_archE1030ELNS1_3gpuE2ELNS1_3repE0EEENS1_30default_config_static_selectorELNS0_4arch9wavefront6targetE1EEEvT1_,@function
_ZN7rocprim17ROCPRIM_400000_NS6detail17trampoline_kernelINS0_14default_configENS1_20scan_config_selectorIlEEZZNS1_9scan_implILNS1_25lookback_scan_determinismE0ELb0ELb0ES3_PlS8_lN6thrust23THRUST_200600_302600_NS4plusIvEElEEDaPvRmT3_T4_T5_mT6_P12ihipStream_tbENKUlT_T0_E_clISt17integral_constantIbLb1EESP_IbLb0EEEEDaSL_SM_EUlSL_E_NS1_11comp_targetILNS1_3genE8ELNS1_11target_archE1030ELNS1_3gpuE2ELNS1_3repE0EEENS1_30default_config_static_selectorELNS0_4arch9wavefront6targetE1EEEvT1_: ; @_ZN7rocprim17ROCPRIM_400000_NS6detail17trampoline_kernelINS0_14default_configENS1_20scan_config_selectorIlEEZZNS1_9scan_implILNS1_25lookback_scan_determinismE0ELb0ELb0ES3_PlS8_lN6thrust23THRUST_200600_302600_NS4plusIvEElEEDaPvRmT3_T4_T5_mT6_P12ihipStream_tbENKUlT_T0_E_clISt17integral_constantIbLb1EESP_IbLb0EEEEDaSL_SM_EUlSL_E_NS1_11comp_targetILNS1_3genE8ELNS1_11target_archE1030ELNS1_3gpuE2ELNS1_3repE0EEENS1_30default_config_static_selectorELNS0_4arch9wavefront6targetE1EEEvT1_
; %bb.0:
	.section	.rodata,"a",@progbits
	.p2align	6, 0x0
	.amdhsa_kernel _ZN7rocprim17ROCPRIM_400000_NS6detail17trampoline_kernelINS0_14default_configENS1_20scan_config_selectorIlEEZZNS1_9scan_implILNS1_25lookback_scan_determinismE0ELb0ELb0ES3_PlS8_lN6thrust23THRUST_200600_302600_NS4plusIvEElEEDaPvRmT3_T4_T5_mT6_P12ihipStream_tbENKUlT_T0_E_clISt17integral_constantIbLb1EESP_IbLb0EEEEDaSL_SM_EUlSL_E_NS1_11comp_targetILNS1_3genE8ELNS1_11target_archE1030ELNS1_3gpuE2ELNS1_3repE0EEENS1_30default_config_static_selectorELNS0_4arch9wavefront6targetE1EEEvT1_
		.amdhsa_group_segment_fixed_size 0
		.amdhsa_private_segment_fixed_size 0
		.amdhsa_kernarg_size 104
		.amdhsa_user_sgpr_count 2
		.amdhsa_user_sgpr_dispatch_ptr 0
		.amdhsa_user_sgpr_queue_ptr 0
		.amdhsa_user_sgpr_kernarg_segment_ptr 1
		.amdhsa_user_sgpr_dispatch_id 0
		.amdhsa_user_sgpr_kernarg_preload_length 0
		.amdhsa_user_sgpr_kernarg_preload_offset 0
		.amdhsa_user_sgpr_private_segment_size 0
		.amdhsa_uses_dynamic_stack 0
		.amdhsa_enable_private_segment 0
		.amdhsa_system_sgpr_workgroup_id_x 1
		.amdhsa_system_sgpr_workgroup_id_y 0
		.amdhsa_system_sgpr_workgroup_id_z 0
		.amdhsa_system_sgpr_workgroup_info 0
		.amdhsa_system_vgpr_workitem_id 0
		.amdhsa_next_free_vgpr 1
		.amdhsa_next_free_sgpr 0
		.amdhsa_accum_offset 4
		.amdhsa_reserve_vcc 0
		.amdhsa_float_round_mode_32 0
		.amdhsa_float_round_mode_16_64 0
		.amdhsa_float_denorm_mode_32 3
		.amdhsa_float_denorm_mode_16_64 3
		.amdhsa_dx10_clamp 1
		.amdhsa_ieee_mode 1
		.amdhsa_fp16_overflow 0
		.amdhsa_tg_split 0
		.amdhsa_exception_fp_ieee_invalid_op 0
		.amdhsa_exception_fp_denorm_src 0
		.amdhsa_exception_fp_ieee_div_zero 0
		.amdhsa_exception_fp_ieee_overflow 0
		.amdhsa_exception_fp_ieee_underflow 0
		.amdhsa_exception_fp_ieee_inexact 0
		.amdhsa_exception_int_div_zero 0
	.end_amdhsa_kernel
	.section	.text._ZN7rocprim17ROCPRIM_400000_NS6detail17trampoline_kernelINS0_14default_configENS1_20scan_config_selectorIlEEZZNS1_9scan_implILNS1_25lookback_scan_determinismE0ELb0ELb0ES3_PlS8_lN6thrust23THRUST_200600_302600_NS4plusIvEElEEDaPvRmT3_T4_T5_mT6_P12ihipStream_tbENKUlT_T0_E_clISt17integral_constantIbLb1EESP_IbLb0EEEEDaSL_SM_EUlSL_E_NS1_11comp_targetILNS1_3genE8ELNS1_11target_archE1030ELNS1_3gpuE2ELNS1_3repE0EEENS1_30default_config_static_selectorELNS0_4arch9wavefront6targetE1EEEvT1_,"axG",@progbits,_ZN7rocprim17ROCPRIM_400000_NS6detail17trampoline_kernelINS0_14default_configENS1_20scan_config_selectorIlEEZZNS1_9scan_implILNS1_25lookback_scan_determinismE0ELb0ELb0ES3_PlS8_lN6thrust23THRUST_200600_302600_NS4plusIvEElEEDaPvRmT3_T4_T5_mT6_P12ihipStream_tbENKUlT_T0_E_clISt17integral_constantIbLb1EESP_IbLb0EEEEDaSL_SM_EUlSL_E_NS1_11comp_targetILNS1_3genE8ELNS1_11target_archE1030ELNS1_3gpuE2ELNS1_3repE0EEENS1_30default_config_static_selectorELNS0_4arch9wavefront6targetE1EEEvT1_,comdat
.Lfunc_end131:
	.size	_ZN7rocprim17ROCPRIM_400000_NS6detail17trampoline_kernelINS0_14default_configENS1_20scan_config_selectorIlEEZZNS1_9scan_implILNS1_25lookback_scan_determinismE0ELb0ELb0ES3_PlS8_lN6thrust23THRUST_200600_302600_NS4plusIvEElEEDaPvRmT3_T4_T5_mT6_P12ihipStream_tbENKUlT_T0_E_clISt17integral_constantIbLb1EESP_IbLb0EEEEDaSL_SM_EUlSL_E_NS1_11comp_targetILNS1_3genE8ELNS1_11target_archE1030ELNS1_3gpuE2ELNS1_3repE0EEENS1_30default_config_static_selectorELNS0_4arch9wavefront6targetE1EEEvT1_, .Lfunc_end131-_ZN7rocprim17ROCPRIM_400000_NS6detail17trampoline_kernelINS0_14default_configENS1_20scan_config_selectorIlEEZZNS1_9scan_implILNS1_25lookback_scan_determinismE0ELb0ELb0ES3_PlS8_lN6thrust23THRUST_200600_302600_NS4plusIvEElEEDaPvRmT3_T4_T5_mT6_P12ihipStream_tbENKUlT_T0_E_clISt17integral_constantIbLb1EESP_IbLb0EEEEDaSL_SM_EUlSL_E_NS1_11comp_targetILNS1_3genE8ELNS1_11target_archE1030ELNS1_3gpuE2ELNS1_3repE0EEENS1_30default_config_static_selectorELNS0_4arch9wavefront6targetE1EEEvT1_
                                        ; -- End function
	.section	.AMDGPU.csdata,"",@progbits
; Kernel info:
; codeLenInByte = 0
; NumSgprs: 6
; NumVgprs: 0
; NumAgprs: 0
; TotalNumVgprs: 0
; ScratchSize: 0
; MemoryBound: 0
; FloatMode: 240
; IeeeMode: 1
; LDSByteSize: 0 bytes/workgroup (compile time only)
; SGPRBlocks: 0
; VGPRBlocks: 0
; NumSGPRsForWavesPerEU: 6
; NumVGPRsForWavesPerEU: 1
; AccumOffset: 4
; Occupancy: 8
; WaveLimiterHint : 0
; COMPUTE_PGM_RSRC2:SCRATCH_EN: 0
; COMPUTE_PGM_RSRC2:USER_SGPR: 2
; COMPUTE_PGM_RSRC2:TRAP_HANDLER: 0
; COMPUTE_PGM_RSRC2:TGID_X_EN: 1
; COMPUTE_PGM_RSRC2:TGID_Y_EN: 0
; COMPUTE_PGM_RSRC2:TGID_Z_EN: 0
; COMPUTE_PGM_RSRC2:TIDIG_COMP_CNT: 0
; COMPUTE_PGM_RSRC3_GFX90A:ACCUM_OFFSET: 0
; COMPUTE_PGM_RSRC3_GFX90A:TG_SPLIT: 0
	.section	.text._ZN7rocprim17ROCPRIM_400000_NS6detail17trampoline_kernelINS0_14default_configENS1_20scan_config_selectorIlEEZZNS1_9scan_implILNS1_25lookback_scan_determinismE0ELb0ELb0ES3_PlS8_lN6thrust23THRUST_200600_302600_NS4plusIvEElEEDaPvRmT3_T4_T5_mT6_P12ihipStream_tbENKUlT_T0_E_clISt17integral_constantIbLb1EESP_IbLb0EEEEDaSL_SM_EUlSL_E0_NS1_11comp_targetILNS1_3genE0ELNS1_11target_archE4294967295ELNS1_3gpuE0ELNS1_3repE0EEENS1_30default_config_static_selectorELNS0_4arch9wavefront6targetE1EEEvT1_,"axG",@progbits,_ZN7rocprim17ROCPRIM_400000_NS6detail17trampoline_kernelINS0_14default_configENS1_20scan_config_selectorIlEEZZNS1_9scan_implILNS1_25lookback_scan_determinismE0ELb0ELb0ES3_PlS8_lN6thrust23THRUST_200600_302600_NS4plusIvEElEEDaPvRmT3_T4_T5_mT6_P12ihipStream_tbENKUlT_T0_E_clISt17integral_constantIbLb1EESP_IbLb0EEEEDaSL_SM_EUlSL_E0_NS1_11comp_targetILNS1_3genE0ELNS1_11target_archE4294967295ELNS1_3gpuE0ELNS1_3repE0EEENS1_30default_config_static_selectorELNS0_4arch9wavefront6targetE1EEEvT1_,comdat
	.protected	_ZN7rocprim17ROCPRIM_400000_NS6detail17trampoline_kernelINS0_14default_configENS1_20scan_config_selectorIlEEZZNS1_9scan_implILNS1_25lookback_scan_determinismE0ELb0ELb0ES3_PlS8_lN6thrust23THRUST_200600_302600_NS4plusIvEElEEDaPvRmT3_T4_T5_mT6_P12ihipStream_tbENKUlT_T0_E_clISt17integral_constantIbLb1EESP_IbLb0EEEEDaSL_SM_EUlSL_E0_NS1_11comp_targetILNS1_3genE0ELNS1_11target_archE4294967295ELNS1_3gpuE0ELNS1_3repE0EEENS1_30default_config_static_selectorELNS0_4arch9wavefront6targetE1EEEvT1_ ; -- Begin function _ZN7rocprim17ROCPRIM_400000_NS6detail17trampoline_kernelINS0_14default_configENS1_20scan_config_selectorIlEEZZNS1_9scan_implILNS1_25lookback_scan_determinismE0ELb0ELb0ES3_PlS8_lN6thrust23THRUST_200600_302600_NS4plusIvEElEEDaPvRmT3_T4_T5_mT6_P12ihipStream_tbENKUlT_T0_E_clISt17integral_constantIbLb1EESP_IbLb0EEEEDaSL_SM_EUlSL_E0_NS1_11comp_targetILNS1_3genE0ELNS1_11target_archE4294967295ELNS1_3gpuE0ELNS1_3repE0EEENS1_30default_config_static_selectorELNS0_4arch9wavefront6targetE1EEEvT1_
	.globl	_ZN7rocprim17ROCPRIM_400000_NS6detail17trampoline_kernelINS0_14default_configENS1_20scan_config_selectorIlEEZZNS1_9scan_implILNS1_25lookback_scan_determinismE0ELb0ELb0ES3_PlS8_lN6thrust23THRUST_200600_302600_NS4plusIvEElEEDaPvRmT3_T4_T5_mT6_P12ihipStream_tbENKUlT_T0_E_clISt17integral_constantIbLb1EESP_IbLb0EEEEDaSL_SM_EUlSL_E0_NS1_11comp_targetILNS1_3genE0ELNS1_11target_archE4294967295ELNS1_3gpuE0ELNS1_3repE0EEENS1_30default_config_static_selectorELNS0_4arch9wavefront6targetE1EEEvT1_
	.p2align	8
	.type	_ZN7rocprim17ROCPRIM_400000_NS6detail17trampoline_kernelINS0_14default_configENS1_20scan_config_selectorIlEEZZNS1_9scan_implILNS1_25lookback_scan_determinismE0ELb0ELb0ES3_PlS8_lN6thrust23THRUST_200600_302600_NS4plusIvEElEEDaPvRmT3_T4_T5_mT6_P12ihipStream_tbENKUlT_T0_E_clISt17integral_constantIbLb1EESP_IbLb0EEEEDaSL_SM_EUlSL_E0_NS1_11comp_targetILNS1_3genE0ELNS1_11target_archE4294967295ELNS1_3gpuE0ELNS1_3repE0EEENS1_30default_config_static_selectorELNS0_4arch9wavefront6targetE1EEEvT1_,@function
_ZN7rocprim17ROCPRIM_400000_NS6detail17trampoline_kernelINS0_14default_configENS1_20scan_config_selectorIlEEZZNS1_9scan_implILNS1_25lookback_scan_determinismE0ELb0ELb0ES3_PlS8_lN6thrust23THRUST_200600_302600_NS4plusIvEElEEDaPvRmT3_T4_T5_mT6_P12ihipStream_tbENKUlT_T0_E_clISt17integral_constantIbLb1EESP_IbLb0EEEEDaSL_SM_EUlSL_E0_NS1_11comp_targetILNS1_3genE0ELNS1_11target_archE4294967295ELNS1_3gpuE0ELNS1_3repE0EEENS1_30default_config_static_selectorELNS0_4arch9wavefront6targetE1EEEvT1_: ; @_ZN7rocprim17ROCPRIM_400000_NS6detail17trampoline_kernelINS0_14default_configENS1_20scan_config_selectorIlEEZZNS1_9scan_implILNS1_25lookback_scan_determinismE0ELb0ELb0ES3_PlS8_lN6thrust23THRUST_200600_302600_NS4plusIvEElEEDaPvRmT3_T4_T5_mT6_P12ihipStream_tbENKUlT_T0_E_clISt17integral_constantIbLb1EESP_IbLb0EEEEDaSL_SM_EUlSL_E0_NS1_11comp_targetILNS1_3genE0ELNS1_11target_archE4294967295ELNS1_3gpuE0ELNS1_3repE0EEENS1_30default_config_static_selectorELNS0_4arch9wavefront6targetE1EEEvT1_
; %bb.0:
	.section	.rodata,"a",@progbits
	.p2align	6, 0x0
	.amdhsa_kernel _ZN7rocprim17ROCPRIM_400000_NS6detail17trampoline_kernelINS0_14default_configENS1_20scan_config_selectorIlEEZZNS1_9scan_implILNS1_25lookback_scan_determinismE0ELb0ELb0ES3_PlS8_lN6thrust23THRUST_200600_302600_NS4plusIvEElEEDaPvRmT3_T4_T5_mT6_P12ihipStream_tbENKUlT_T0_E_clISt17integral_constantIbLb1EESP_IbLb0EEEEDaSL_SM_EUlSL_E0_NS1_11comp_targetILNS1_3genE0ELNS1_11target_archE4294967295ELNS1_3gpuE0ELNS1_3repE0EEENS1_30default_config_static_selectorELNS0_4arch9wavefront6targetE1EEEvT1_
		.amdhsa_group_segment_fixed_size 0
		.amdhsa_private_segment_fixed_size 0
		.amdhsa_kernarg_size 40
		.amdhsa_user_sgpr_count 2
		.amdhsa_user_sgpr_dispatch_ptr 0
		.amdhsa_user_sgpr_queue_ptr 0
		.amdhsa_user_sgpr_kernarg_segment_ptr 1
		.amdhsa_user_sgpr_dispatch_id 0
		.amdhsa_user_sgpr_kernarg_preload_length 0
		.amdhsa_user_sgpr_kernarg_preload_offset 0
		.amdhsa_user_sgpr_private_segment_size 0
		.amdhsa_uses_dynamic_stack 0
		.amdhsa_enable_private_segment 0
		.amdhsa_system_sgpr_workgroup_id_x 1
		.amdhsa_system_sgpr_workgroup_id_y 0
		.amdhsa_system_sgpr_workgroup_id_z 0
		.amdhsa_system_sgpr_workgroup_info 0
		.amdhsa_system_vgpr_workitem_id 0
		.amdhsa_next_free_vgpr 1
		.amdhsa_next_free_sgpr 0
		.amdhsa_accum_offset 4
		.amdhsa_reserve_vcc 0
		.amdhsa_float_round_mode_32 0
		.amdhsa_float_round_mode_16_64 0
		.amdhsa_float_denorm_mode_32 3
		.amdhsa_float_denorm_mode_16_64 3
		.amdhsa_dx10_clamp 1
		.amdhsa_ieee_mode 1
		.amdhsa_fp16_overflow 0
		.amdhsa_tg_split 0
		.amdhsa_exception_fp_ieee_invalid_op 0
		.amdhsa_exception_fp_denorm_src 0
		.amdhsa_exception_fp_ieee_div_zero 0
		.amdhsa_exception_fp_ieee_overflow 0
		.amdhsa_exception_fp_ieee_underflow 0
		.amdhsa_exception_fp_ieee_inexact 0
		.amdhsa_exception_int_div_zero 0
	.end_amdhsa_kernel
	.section	.text._ZN7rocprim17ROCPRIM_400000_NS6detail17trampoline_kernelINS0_14default_configENS1_20scan_config_selectorIlEEZZNS1_9scan_implILNS1_25lookback_scan_determinismE0ELb0ELb0ES3_PlS8_lN6thrust23THRUST_200600_302600_NS4plusIvEElEEDaPvRmT3_T4_T5_mT6_P12ihipStream_tbENKUlT_T0_E_clISt17integral_constantIbLb1EESP_IbLb0EEEEDaSL_SM_EUlSL_E0_NS1_11comp_targetILNS1_3genE0ELNS1_11target_archE4294967295ELNS1_3gpuE0ELNS1_3repE0EEENS1_30default_config_static_selectorELNS0_4arch9wavefront6targetE1EEEvT1_,"axG",@progbits,_ZN7rocprim17ROCPRIM_400000_NS6detail17trampoline_kernelINS0_14default_configENS1_20scan_config_selectorIlEEZZNS1_9scan_implILNS1_25lookback_scan_determinismE0ELb0ELb0ES3_PlS8_lN6thrust23THRUST_200600_302600_NS4plusIvEElEEDaPvRmT3_T4_T5_mT6_P12ihipStream_tbENKUlT_T0_E_clISt17integral_constantIbLb1EESP_IbLb0EEEEDaSL_SM_EUlSL_E0_NS1_11comp_targetILNS1_3genE0ELNS1_11target_archE4294967295ELNS1_3gpuE0ELNS1_3repE0EEENS1_30default_config_static_selectorELNS0_4arch9wavefront6targetE1EEEvT1_,comdat
.Lfunc_end132:
	.size	_ZN7rocprim17ROCPRIM_400000_NS6detail17trampoline_kernelINS0_14default_configENS1_20scan_config_selectorIlEEZZNS1_9scan_implILNS1_25lookback_scan_determinismE0ELb0ELb0ES3_PlS8_lN6thrust23THRUST_200600_302600_NS4plusIvEElEEDaPvRmT3_T4_T5_mT6_P12ihipStream_tbENKUlT_T0_E_clISt17integral_constantIbLb1EESP_IbLb0EEEEDaSL_SM_EUlSL_E0_NS1_11comp_targetILNS1_3genE0ELNS1_11target_archE4294967295ELNS1_3gpuE0ELNS1_3repE0EEENS1_30default_config_static_selectorELNS0_4arch9wavefront6targetE1EEEvT1_, .Lfunc_end132-_ZN7rocprim17ROCPRIM_400000_NS6detail17trampoline_kernelINS0_14default_configENS1_20scan_config_selectorIlEEZZNS1_9scan_implILNS1_25lookback_scan_determinismE0ELb0ELb0ES3_PlS8_lN6thrust23THRUST_200600_302600_NS4plusIvEElEEDaPvRmT3_T4_T5_mT6_P12ihipStream_tbENKUlT_T0_E_clISt17integral_constantIbLb1EESP_IbLb0EEEEDaSL_SM_EUlSL_E0_NS1_11comp_targetILNS1_3genE0ELNS1_11target_archE4294967295ELNS1_3gpuE0ELNS1_3repE0EEENS1_30default_config_static_selectorELNS0_4arch9wavefront6targetE1EEEvT1_
                                        ; -- End function
	.section	.AMDGPU.csdata,"",@progbits
; Kernel info:
; codeLenInByte = 0
; NumSgprs: 6
; NumVgprs: 0
; NumAgprs: 0
; TotalNumVgprs: 0
; ScratchSize: 0
; MemoryBound: 0
; FloatMode: 240
; IeeeMode: 1
; LDSByteSize: 0 bytes/workgroup (compile time only)
; SGPRBlocks: 0
; VGPRBlocks: 0
; NumSGPRsForWavesPerEU: 6
; NumVGPRsForWavesPerEU: 1
; AccumOffset: 4
; Occupancy: 8
; WaveLimiterHint : 0
; COMPUTE_PGM_RSRC2:SCRATCH_EN: 0
; COMPUTE_PGM_RSRC2:USER_SGPR: 2
; COMPUTE_PGM_RSRC2:TRAP_HANDLER: 0
; COMPUTE_PGM_RSRC2:TGID_X_EN: 1
; COMPUTE_PGM_RSRC2:TGID_Y_EN: 0
; COMPUTE_PGM_RSRC2:TGID_Z_EN: 0
; COMPUTE_PGM_RSRC2:TIDIG_COMP_CNT: 0
; COMPUTE_PGM_RSRC3_GFX90A:ACCUM_OFFSET: 0
; COMPUTE_PGM_RSRC3_GFX90A:TG_SPLIT: 0
	.section	.text._ZN7rocprim17ROCPRIM_400000_NS6detail17trampoline_kernelINS0_14default_configENS1_20scan_config_selectorIlEEZZNS1_9scan_implILNS1_25lookback_scan_determinismE0ELb0ELb0ES3_PlS8_lN6thrust23THRUST_200600_302600_NS4plusIvEElEEDaPvRmT3_T4_T5_mT6_P12ihipStream_tbENKUlT_T0_E_clISt17integral_constantIbLb1EESP_IbLb0EEEEDaSL_SM_EUlSL_E0_NS1_11comp_targetILNS1_3genE5ELNS1_11target_archE942ELNS1_3gpuE9ELNS1_3repE0EEENS1_30default_config_static_selectorELNS0_4arch9wavefront6targetE1EEEvT1_,"axG",@progbits,_ZN7rocprim17ROCPRIM_400000_NS6detail17trampoline_kernelINS0_14default_configENS1_20scan_config_selectorIlEEZZNS1_9scan_implILNS1_25lookback_scan_determinismE0ELb0ELb0ES3_PlS8_lN6thrust23THRUST_200600_302600_NS4plusIvEElEEDaPvRmT3_T4_T5_mT6_P12ihipStream_tbENKUlT_T0_E_clISt17integral_constantIbLb1EESP_IbLb0EEEEDaSL_SM_EUlSL_E0_NS1_11comp_targetILNS1_3genE5ELNS1_11target_archE942ELNS1_3gpuE9ELNS1_3repE0EEENS1_30default_config_static_selectorELNS0_4arch9wavefront6targetE1EEEvT1_,comdat
	.protected	_ZN7rocprim17ROCPRIM_400000_NS6detail17trampoline_kernelINS0_14default_configENS1_20scan_config_selectorIlEEZZNS1_9scan_implILNS1_25lookback_scan_determinismE0ELb0ELb0ES3_PlS8_lN6thrust23THRUST_200600_302600_NS4plusIvEElEEDaPvRmT3_T4_T5_mT6_P12ihipStream_tbENKUlT_T0_E_clISt17integral_constantIbLb1EESP_IbLb0EEEEDaSL_SM_EUlSL_E0_NS1_11comp_targetILNS1_3genE5ELNS1_11target_archE942ELNS1_3gpuE9ELNS1_3repE0EEENS1_30default_config_static_selectorELNS0_4arch9wavefront6targetE1EEEvT1_ ; -- Begin function _ZN7rocprim17ROCPRIM_400000_NS6detail17trampoline_kernelINS0_14default_configENS1_20scan_config_selectorIlEEZZNS1_9scan_implILNS1_25lookback_scan_determinismE0ELb0ELb0ES3_PlS8_lN6thrust23THRUST_200600_302600_NS4plusIvEElEEDaPvRmT3_T4_T5_mT6_P12ihipStream_tbENKUlT_T0_E_clISt17integral_constantIbLb1EESP_IbLb0EEEEDaSL_SM_EUlSL_E0_NS1_11comp_targetILNS1_3genE5ELNS1_11target_archE942ELNS1_3gpuE9ELNS1_3repE0EEENS1_30default_config_static_selectorELNS0_4arch9wavefront6targetE1EEEvT1_
	.globl	_ZN7rocprim17ROCPRIM_400000_NS6detail17trampoline_kernelINS0_14default_configENS1_20scan_config_selectorIlEEZZNS1_9scan_implILNS1_25lookback_scan_determinismE0ELb0ELb0ES3_PlS8_lN6thrust23THRUST_200600_302600_NS4plusIvEElEEDaPvRmT3_T4_T5_mT6_P12ihipStream_tbENKUlT_T0_E_clISt17integral_constantIbLb1EESP_IbLb0EEEEDaSL_SM_EUlSL_E0_NS1_11comp_targetILNS1_3genE5ELNS1_11target_archE942ELNS1_3gpuE9ELNS1_3repE0EEENS1_30default_config_static_selectorELNS0_4arch9wavefront6targetE1EEEvT1_
	.p2align	8
	.type	_ZN7rocprim17ROCPRIM_400000_NS6detail17trampoline_kernelINS0_14default_configENS1_20scan_config_selectorIlEEZZNS1_9scan_implILNS1_25lookback_scan_determinismE0ELb0ELb0ES3_PlS8_lN6thrust23THRUST_200600_302600_NS4plusIvEElEEDaPvRmT3_T4_T5_mT6_P12ihipStream_tbENKUlT_T0_E_clISt17integral_constantIbLb1EESP_IbLb0EEEEDaSL_SM_EUlSL_E0_NS1_11comp_targetILNS1_3genE5ELNS1_11target_archE942ELNS1_3gpuE9ELNS1_3repE0EEENS1_30default_config_static_selectorELNS0_4arch9wavefront6targetE1EEEvT1_,@function
_ZN7rocprim17ROCPRIM_400000_NS6detail17trampoline_kernelINS0_14default_configENS1_20scan_config_selectorIlEEZZNS1_9scan_implILNS1_25lookback_scan_determinismE0ELb0ELb0ES3_PlS8_lN6thrust23THRUST_200600_302600_NS4plusIvEElEEDaPvRmT3_T4_T5_mT6_P12ihipStream_tbENKUlT_T0_E_clISt17integral_constantIbLb1EESP_IbLb0EEEEDaSL_SM_EUlSL_E0_NS1_11comp_targetILNS1_3genE5ELNS1_11target_archE942ELNS1_3gpuE9ELNS1_3repE0EEENS1_30default_config_static_selectorELNS0_4arch9wavefront6targetE1EEEvT1_: ; @_ZN7rocprim17ROCPRIM_400000_NS6detail17trampoline_kernelINS0_14default_configENS1_20scan_config_selectorIlEEZZNS1_9scan_implILNS1_25lookback_scan_determinismE0ELb0ELb0ES3_PlS8_lN6thrust23THRUST_200600_302600_NS4plusIvEElEEDaPvRmT3_T4_T5_mT6_P12ihipStream_tbENKUlT_T0_E_clISt17integral_constantIbLb1EESP_IbLb0EEEEDaSL_SM_EUlSL_E0_NS1_11comp_targetILNS1_3genE5ELNS1_11target_archE942ELNS1_3gpuE9ELNS1_3repE0EEENS1_30default_config_static_selectorELNS0_4arch9wavefront6targetE1EEEvT1_
; %bb.0:
	s_load_dwordx4 s[36:39], s[0:1], 0x0
	v_lshlrev_b32_e32 v34, 3, v0
	s_waitcnt lgkmcnt(0)
	s_load_dwordx2 s[30:31], s[36:37], 0x0
	v_cmp_gt_u32_e32 vcc, s38, v0
	s_waitcnt lgkmcnt(0)
	v_mov_b64_e32 v[2:3], s[30:31]
	s_and_saveexec_b64 s[2:3], vcc
	s_cbranch_execz .LBB133_2
; %bb.1:
	global_load_dwordx2 v[2:3], v34, s[36:37]
.LBB133_2:
	s_or_b64 exec, exec, s[2:3]
	v_or_b32_e32 v1, 0x100, v0
	v_cmp_gt_u32_e64 s[28:29], s38, v1
	v_mov_b64_e32 v[4:5], s[30:31]
	s_and_saveexec_b64 s[2:3], s[28:29]
	s_cbranch_execz .LBB133_4
; %bb.3:
	global_load_dwordx2 v[4:5], v34, s[36:37] offset:2048
.LBB133_4:
	s_or_b64 exec, exec, s[2:3]
	v_or_b32_e32 v1, 0x200, v0
	v_cmp_gt_u32_e64 s[2:3], s38, v1
	v_mov_b64_e32 v[6:7], s[30:31]
	s_and_saveexec_b64 s[4:5], s[2:3]
	s_cbranch_execz .LBB133_6
; %bb.5:
	v_lshlrev_b32_e32 v1, 3, v1
	global_load_dwordx2 v[6:7], v1, s[36:37]
.LBB133_6:
	s_or_b64 exec, exec, s[4:5]
	v_or_b32_e32 v1, 0x300, v0
	v_cmp_gt_u32_e64 s[4:5], s38, v1
	v_mov_b64_e32 v[8:9], s[30:31]
	s_and_saveexec_b64 s[6:7], s[4:5]
	s_cbranch_execz .LBB133_8
; %bb.7:
	v_lshlrev_b32_e32 v1, 3, v1
	global_load_dwordx2 v[8:9], v1, s[36:37]
.LBB133_8:
	;; [unrolled: 10-line block ×13, first 2 shown]
	s_or_b64 exec, exec, s[30:31]
	s_movk_i32 s30, 0x70
	v_mad_u32_u24 v1, v0, s30, v34
	s_waitcnt vmcnt(0)
	ds_write2st64_b64 v34, v[2:3], v[4:5] offset1:4
	ds_write2st64_b64 v34, v[6:7], v[8:9] offset0:8 offset1:12
	ds_write2st64_b64 v34, v[10:11], v[12:13] offset0:16 offset1:20
	;; [unrolled: 1-line block ×6, first 2 shown]
	ds_write_b64 v34, v[30:31] offset:28672
	s_waitcnt lgkmcnt(0)
	s_barrier
	ds_read2_b64 v[2:5], v1 offset1:1
	ds_read2_b64 v[6:9], v1 offset0:2 offset1:3
	ds_read2_b64 v[10:13], v1 offset0:4 offset1:5
	ds_read2_b64 v[14:17], v1 offset0:6 offset1:7
	ds_read2_b64 v[18:21], v1 offset0:8 offset1:9
	ds_read2_b64 v[22:25], v1 offset0:10 offset1:11
	ds_read2_b64 v[26:29], v1 offset0:12 offset1:13
	ds_read_b64 v[64:65], v1 offset:112
	s_waitcnt lgkmcnt(7)
	v_lshl_add_u64 v[62:63], v[4:5], 0, v[2:3]
	s_waitcnt lgkmcnt(6)
	v_lshl_add_u64 v[58:59], v[62:63], 0, v[6:7]
	v_lshl_add_u64 v[60:61], v[58:59], 0, v[8:9]
	s_waitcnt lgkmcnt(5)
	v_lshl_add_u64 v[54:55], v[60:61], 0, v[10:11]
	;; [unrolled: 3-line block ×6, first 2 shown]
	v_lshrrev_b32_e32 v1, 2, v0
	v_lshl_add_u64 v[38:39], v[36:37], 0, v[28:29]
	v_and_b32_e32 v1, 56, v1
	s_waitcnt lgkmcnt(0)
	v_lshl_add_u64 v[40:41], v[38:39], 0, v[64:65]
	v_add_u32_e32 v1, v34, v1
	v_cmp_gt_u32_e64 s[30:31], 64, v0
	s_barrier
	ds_write_b64 v1, v[40:41]
	s_waitcnt lgkmcnt(0)
	s_barrier
	s_and_saveexec_b64 s[36:37], s[30:31]
	s_cbranch_execz .LBB133_34
; %bb.31:
	v_lshlrev_b32_e32 v1, 2, v0
	v_lshrrev_b32_e32 v30, 3, v0
	v_add_lshl_u32 v1, v30, v1, 3
	ds_read2_b64 v[30:33], v1 offset1:1
	ds_read2_b64 v[68:71], v1 offset0:2 offset1:3
	v_mov_b32_e32 v66, 0
	v_mbcnt_lo_u32_b32 v35, -1, 0
	v_mbcnt_hi_u32_b32 v35, -1, v35
	s_waitcnt lgkmcnt(1)
	v_lshl_add_u64 v[32:33], v[32:33], 0, v[30:31]
	s_waitcnt lgkmcnt(0)
	v_lshl_add_u64 v[32:33], v[32:33], 0, v[68:69]
	v_lshl_add_u64 v[32:33], v[32:33], 0, v[70:71]
	v_mov_b32_e32 v69, v66
	v_and_b32_e32 v72, 15, v35
	v_mov_b32_dpp v68, v32 row_shr:1 row_mask:0xf bank_mask:0xf
	v_mov_b32_dpp v67, v33 row_shr:1 row_mask:0xf bank_mask:0xf
	v_lshl_add_u64 v[68:69], v[32:33], 0, v[68:69]
	v_lshl_add_u64 v[70:71], v[66:67], 0, v[68:69]
	v_cmp_eq_u32_e64 s[30:31], 0, v72
	v_cmp_ne_u32_e64 s[34:35], 0, v35
	s_nop 0
	v_cndmask_b32_e64 v67, v68, v32, s[30:31]
	v_cndmask_b32_e64 v69, v71, v33, s[30:31]
	v_cndmask_b32_e64 v68, v70, v32, s[30:31]
	v_mov_b32_dpp v70, v67 row_shr:2 row_mask:0xf bank_mask:0xf
	v_mov_b32_dpp v71, v69 row_shr:2 row_mask:0xf bank_mask:0xf
	v_lshl_add_u64 v[70:71], v[70:71], 0, v[68:69]
	v_cmp_lt_u32_e64 s[30:31], 1, v72
	s_nop 1
	v_cndmask_b32_e64 v67, v67, v70, s[30:31]
	v_cndmask_b32_e64 v69, v69, v71, s[30:31]
	v_cndmask_b32_e64 v68, v68, v70, s[30:31]
	v_mov_b32_dpp v70, v67 row_shr:4 row_mask:0xf bank_mask:0xf
	v_mov_b32_dpp v71, v69 row_shr:4 row_mask:0xf bank_mask:0xf
	v_lshl_add_u64 v[70:71], v[70:71], 0, v[68:69]
	v_cmp_lt_u32_e64 s[30:31], 3, v72
	;; [unrolled: 8-line block ×3, first 2 shown]
	v_and_b32_e32 v72, 16, v35
	s_nop 0
	v_cndmask_b32_e64 v67, v67, v70, s[30:31]
	v_cndmask_b32_e64 v69, v69, v71, s[30:31]
	;; [unrolled: 1-line block ×3, first 2 shown]
	v_mov_b32_dpp v70, v67 row_bcast:15 row_mask:0xf bank_mask:0xf
	v_mov_b32_dpp v71, v69 row_bcast:15 row_mask:0xf bank_mask:0xf
	v_lshl_add_u64 v[70:71], v[70:71], 0, v[68:69]
	v_cmp_eq_u32_e64 s[30:31], 0, v72
	s_nop 1
	v_cndmask_b32_e64 v72, v71, v69, s[30:31]
	v_cndmask_b32_e64 v67, v70, v67, s[30:31]
	s_nop 0
	v_mov_b32_dpp v72, v72 row_bcast:31 row_mask:0xf bank_mask:0xf
	v_mov_b32_dpp v67, v67 row_bcast:31 row_mask:0xf bank_mask:0xf
	s_and_saveexec_b64 s[38:39], s[34:35]
; %bb.32:
	v_cndmask_b32_e64 v33, v71, v69, s[30:31]
	v_cndmask_b32_e64 v32, v70, v68, s[30:31]
	v_cmp_lt_u32_e64 s[30:31], 31, v35
	s_nop 1
	v_cndmask_b32_e64 v69, 0, v72, s[30:31]
	v_cndmask_b32_e64 v68, 0, v67, s[30:31]
	v_lshl_add_u64 v[32:33], v[68:69], 0, v[32:33]
; %bb.33:
	s_or_b64 exec, exec, s[38:39]
	v_add_u32_e32 v67, -1, v35
	v_and_b32_e32 v68, 64, v35
	v_cmp_lt_i32_e64 s[30:31], v67, v68
	; wave barrier
	s_nop 1
	v_cndmask_b32_e64 v35, v67, v35, s[30:31]
	v_lshlrev_b32_e32 v35, 2, v35
	ds_bpermute_b32 v32, v35, v32
	ds_bpermute_b32 v67, v35, v33
	v_mov_b32_e32 v33, v66
	v_cmp_eq_u32_e64 s[30:31], 0, v0
	s_waitcnt lgkmcnt(1)
	v_lshl_add_u64 v[30:31], v[30:31], 0, v[32:33]
	s_waitcnt lgkmcnt(0)
	v_lshl_add_u64 v[30:31], v[30:31], 0, v[66:67]
	v_cndmask_b32_e64 v67, v31, v41, s[30:31]
	v_cndmask_b32_e64 v66, v30, v40, s[30:31]
	ds_write_b64 v1, v[66:67]
	; wave barrier
	ds_read2_b64 v[30:33], v1 offset0:1 offset1:2
	ds_read_b64 v[68:69], v1 offset:24
	s_waitcnt lgkmcnt(1)
	v_lshl_add_u64 v[30:31], v[30:31], 0, v[66:67]
	v_lshl_add_u64 v[32:33], v[32:33], 0, v[30:31]
	ds_write2_b64 v1, v[30:31], v[32:33] offset0:1 offset1:2
	s_waitcnt lgkmcnt(1)
	v_lshl_add_u64 v[30:31], v[68:69], 0, v[32:33]
	ds_write_b64 v1, v[30:31] offset:24
.LBB133_34:
	s_or_b64 exec, exec, s[36:37]
	s_load_dwordx2 s[30:31], s[0:1], 0x20
	v_mul_u32_u24_e32 v1, 0x70, v0
	v_cmp_ne_u32_e64 s[0:1], 0, v0
	v_mov_b64_e32 v[30:31], v[40:41]
	s_waitcnt lgkmcnt(0)
	s_barrier
	s_and_saveexec_b64 s[34:35], s[0:1]
	s_cbranch_execz .LBB133_36
; %bb.35:
	v_add_u32_e32 v0, -1, v0
	v_lshrrev_b32_e32 v30, 5, v0
	v_add_lshl_u32 v0, v30, v0, 3
	ds_read_b64 v[30:31], v0
.LBB133_36:
	s_or_b64 exec, exec, s[34:35]
	s_and_saveexec_b64 s[34:35], s[0:1]
	s_cbranch_execz .LBB133_38
; %bb.37:
	s_waitcnt lgkmcnt(0)
	v_lshl_add_u64 v[2:3], v[30:31], 0, v[2:3]
	v_lshl_add_u64 v[62:63], v[2:3], 0, v[4:5]
	;; [unrolled: 1-line block ×15, first 2 shown]
	;;#ASMSTART
	;;#ASMEND
.LBB133_38:
	s_or_b64 exec, exec, s[34:35]
	v_add_u32_e32 v0, v34, v1
	s_waitcnt lgkmcnt(0)
	s_barrier
	ds_write2_b64 v0, v[2:3], v[62:63] offset1:1
	ds_write2_b64 v0, v[58:59], v[60:61] offset0:2 offset1:3
	ds_write2_b64 v0, v[54:55], v[56:57] offset0:4 offset1:5
	;; [unrolled: 1-line block ×6, first 2 shown]
	ds_write_b64 v0, v[40:41] offset:112
	s_waitcnt lgkmcnt(0)
	s_barrier
	ds_read2st64_b64 v[24:27], v34 offset0:4 offset1:8
	ds_read2st64_b64 v[20:23], v34 offset0:12 offset1:16
	;; [unrolled: 1-line block ×7, first 2 shown]
	v_mov_b32_e32 v35, 0
	v_lshl_add_u64 v[28:29], s[30:31], 0, v[34:35]
	s_and_saveexec_b64 s[0:1], vcc
	s_cbranch_execnz .LBB133_54
; %bb.39:
	s_or_b64 exec, exec, s[0:1]
	s_and_saveexec_b64 s[0:1], s[28:29]
	s_cbranch_execnz .LBB133_55
.LBB133_40:
	s_or_b64 exec, exec, s[0:1]
	s_and_saveexec_b64 s[0:1], s[2:3]
	s_cbranch_execnz .LBB133_56
.LBB133_41:
	s_or_b64 exec, exec, s[0:1]
	s_and_saveexec_b64 s[0:1], s[4:5]
	s_cbranch_execnz .LBB133_57
.LBB133_42:
	s_or_b64 exec, exec, s[0:1]
	s_and_saveexec_b64 s[0:1], s[6:7]
	s_cbranch_execnz .LBB133_58
.LBB133_43:
	s_or_b64 exec, exec, s[0:1]
	s_and_saveexec_b64 s[0:1], s[8:9]
	s_cbranch_execnz .LBB133_59
.LBB133_44:
	s_or_b64 exec, exec, s[0:1]
	s_and_saveexec_b64 s[0:1], s[10:11]
	s_cbranch_execnz .LBB133_60
.LBB133_45:
	s_or_b64 exec, exec, s[0:1]
	s_and_saveexec_b64 s[0:1], s[12:13]
	s_cbranch_execnz .LBB133_61
.LBB133_46:
	s_or_b64 exec, exec, s[0:1]
	s_and_saveexec_b64 s[0:1], s[14:15]
	s_cbranch_execnz .LBB133_62
.LBB133_47:
	s_or_b64 exec, exec, s[0:1]
	s_and_saveexec_b64 s[0:1], s[16:17]
	s_cbranch_execnz .LBB133_63
.LBB133_48:
	s_or_b64 exec, exec, s[0:1]
	s_and_saveexec_b64 s[0:1], s[18:19]
	s_cbranch_execnz .LBB133_64
.LBB133_49:
	s_or_b64 exec, exec, s[0:1]
	s_and_saveexec_b64 s[0:1], s[20:21]
	s_cbranch_execnz .LBB133_65
.LBB133_50:
	s_or_b64 exec, exec, s[0:1]
	s_and_saveexec_b64 s[0:1], s[22:23]
	s_cbranch_execnz .LBB133_66
.LBB133_51:
	s_or_b64 exec, exec, s[0:1]
	s_and_saveexec_b64 s[0:1], s[24:25]
	s_cbranch_execnz .LBB133_67
.LBB133_52:
	s_or_b64 exec, exec, s[0:1]
	s_and_saveexec_b64 s[0:1], s[26:27]
	s_cbranch_execnz .LBB133_68
.LBB133_53:
	s_endpgm
.LBB133_54:
	ds_read_b64 v[30:31], v34
	s_waitcnt lgkmcnt(0)
	global_store_dwordx2 v[28:29], v[30:31], off
	s_or_b64 exec, exec, s[0:1]
	s_and_saveexec_b64 s[0:1], s[28:29]
	s_cbranch_execz .LBB133_40
.LBB133_55:
	s_waitcnt lgkmcnt(6)
	global_store_dwordx2 v[28:29], v[24:25], off offset:2048
	s_or_b64 exec, exec, s[0:1]
	s_and_saveexec_b64 s[0:1], s[2:3]
	s_cbranch_execz .LBB133_41
.LBB133_56:
	s_waitcnt lgkmcnt(6)
	v_add_co_u32_e32 v24, vcc, 0x1000, v28
	s_nop 1
	v_addc_co_u32_e32 v25, vcc, 0, v29, vcc
	global_store_dwordx2 v[24:25], v[26:27], off
	s_or_b64 exec, exec, s[0:1]
	s_and_saveexec_b64 s[0:1], s[4:5]
	s_cbranch_execz .LBB133_42
.LBB133_57:
	s_waitcnt lgkmcnt(6)
	v_add_co_u32_e32 v24, vcc, 0x1000, v28
	s_nop 1
	v_addc_co_u32_e32 v25, vcc, 0, v29, vcc
	s_waitcnt lgkmcnt(5)
	global_store_dwordx2 v[24:25], v[20:21], off offset:2048
	s_or_b64 exec, exec, s[0:1]
	s_and_saveexec_b64 s[0:1], s[6:7]
	s_cbranch_execz .LBB133_43
.LBB133_58:
	s_waitcnt lgkmcnt(5)
	v_add_co_u32_e32 v20, vcc, 0x2000, v28
	s_nop 1
	v_addc_co_u32_e32 v21, vcc, 0, v29, vcc
	global_store_dwordx2 v[20:21], v[22:23], off
	s_or_b64 exec, exec, s[0:1]
	s_and_saveexec_b64 s[0:1], s[8:9]
	s_cbranch_execz .LBB133_44
.LBB133_59:
	s_waitcnt lgkmcnt(5)
	v_add_co_u32_e32 v20, vcc, 0x2000, v28
	s_nop 1
	v_addc_co_u32_e32 v21, vcc, 0, v29, vcc
	s_waitcnt lgkmcnt(4)
	global_store_dwordx2 v[20:21], v[16:17], off offset:2048
	s_or_b64 exec, exec, s[0:1]
	s_and_saveexec_b64 s[0:1], s[10:11]
	s_cbranch_execz .LBB133_45
.LBB133_60:
	s_waitcnt lgkmcnt(4)
	v_add_co_u32_e32 v16, vcc, 0x3000, v28
	s_nop 1
	v_addc_co_u32_e32 v17, vcc, 0, v29, vcc
	global_store_dwordx2 v[16:17], v[18:19], off
	s_or_b64 exec, exec, s[0:1]
	s_and_saveexec_b64 s[0:1], s[12:13]
	s_cbranch_execz .LBB133_46
.LBB133_61:
	s_waitcnt lgkmcnt(4)
	v_add_co_u32_e32 v16, vcc, 0x3000, v28
	s_nop 1
	v_addc_co_u32_e32 v17, vcc, 0, v29, vcc
	s_waitcnt lgkmcnt(3)
	global_store_dwordx2 v[16:17], v[12:13], off offset:2048
	s_or_b64 exec, exec, s[0:1]
	s_and_saveexec_b64 s[0:1], s[14:15]
	s_cbranch_execz .LBB133_47
.LBB133_62:
	s_waitcnt lgkmcnt(3)
	v_add_co_u32_e32 v12, vcc, 0x4000, v28
	s_nop 1
	v_addc_co_u32_e32 v13, vcc, 0, v29, vcc
	global_store_dwordx2 v[12:13], v[14:15], off
	s_or_b64 exec, exec, s[0:1]
	s_and_saveexec_b64 s[0:1], s[16:17]
	s_cbranch_execz .LBB133_48
.LBB133_63:
	s_waitcnt lgkmcnt(3)
	v_add_co_u32_e32 v12, vcc, 0x4000, v28
	s_nop 1
	v_addc_co_u32_e32 v13, vcc, 0, v29, vcc
	s_waitcnt lgkmcnt(2)
	global_store_dwordx2 v[12:13], v[8:9], off offset:2048
	s_or_b64 exec, exec, s[0:1]
	s_and_saveexec_b64 s[0:1], s[18:19]
	s_cbranch_execz .LBB133_49
.LBB133_64:
	s_waitcnt lgkmcnt(2)
	v_add_co_u32_e32 v8, vcc, 0x5000, v28
	s_nop 1
	v_addc_co_u32_e32 v9, vcc, 0, v29, vcc
	global_store_dwordx2 v[8:9], v[10:11], off
	s_or_b64 exec, exec, s[0:1]
	s_and_saveexec_b64 s[0:1], s[20:21]
	s_cbranch_execz .LBB133_50
.LBB133_65:
	s_waitcnt lgkmcnt(2)
	v_add_co_u32_e32 v8, vcc, 0x5000, v28
	s_nop 1
	v_addc_co_u32_e32 v9, vcc, 0, v29, vcc
	s_waitcnt lgkmcnt(1)
	global_store_dwordx2 v[8:9], v[4:5], off offset:2048
	s_or_b64 exec, exec, s[0:1]
	s_and_saveexec_b64 s[0:1], s[22:23]
	s_cbranch_execz .LBB133_51
.LBB133_66:
	s_waitcnt lgkmcnt(1)
	v_add_co_u32_e32 v4, vcc, 0x6000, v28
	s_nop 1
	v_addc_co_u32_e32 v5, vcc, 0, v29, vcc
	global_store_dwordx2 v[4:5], v[6:7], off
	s_or_b64 exec, exec, s[0:1]
	s_and_saveexec_b64 s[0:1], s[24:25]
	s_cbranch_execz .LBB133_52
.LBB133_67:
	s_waitcnt lgkmcnt(1)
	v_add_co_u32_e32 v4, vcc, 0x6000, v28
	s_nop 1
	v_addc_co_u32_e32 v5, vcc, 0, v29, vcc
	s_waitcnt lgkmcnt(0)
	global_store_dwordx2 v[4:5], v[0:1], off offset:2048
	s_or_b64 exec, exec, s[0:1]
	s_and_saveexec_b64 s[0:1], s[26:27]
	s_cbranch_execz .LBB133_53
.LBB133_68:
	s_waitcnt lgkmcnt(0)
	v_add_co_u32_e32 v0, vcc, 0x7000, v28
	s_nop 1
	v_addc_co_u32_e32 v1, vcc, 0, v29, vcc
	global_store_dwordx2 v[0:1], v[2:3], off
	s_endpgm
	.section	.rodata,"a",@progbits
	.p2align	6, 0x0
	.amdhsa_kernel _ZN7rocprim17ROCPRIM_400000_NS6detail17trampoline_kernelINS0_14default_configENS1_20scan_config_selectorIlEEZZNS1_9scan_implILNS1_25lookback_scan_determinismE0ELb0ELb0ES3_PlS8_lN6thrust23THRUST_200600_302600_NS4plusIvEElEEDaPvRmT3_T4_T5_mT6_P12ihipStream_tbENKUlT_T0_E_clISt17integral_constantIbLb1EESP_IbLb0EEEEDaSL_SM_EUlSL_E0_NS1_11comp_targetILNS1_3genE5ELNS1_11target_archE942ELNS1_3gpuE9ELNS1_3repE0EEENS1_30default_config_static_selectorELNS0_4arch9wavefront6targetE1EEEvT1_
		.amdhsa_group_segment_fixed_size 30720
		.amdhsa_private_segment_fixed_size 0
		.amdhsa_kernarg_size 40
		.amdhsa_user_sgpr_count 2
		.amdhsa_user_sgpr_dispatch_ptr 0
		.amdhsa_user_sgpr_queue_ptr 0
		.amdhsa_user_sgpr_kernarg_segment_ptr 1
		.amdhsa_user_sgpr_dispatch_id 0
		.amdhsa_user_sgpr_kernarg_preload_length 0
		.amdhsa_user_sgpr_kernarg_preload_offset 0
		.amdhsa_user_sgpr_private_segment_size 0
		.amdhsa_uses_dynamic_stack 0
		.amdhsa_enable_private_segment 0
		.amdhsa_system_sgpr_workgroup_id_x 1
		.amdhsa_system_sgpr_workgroup_id_y 0
		.amdhsa_system_sgpr_workgroup_id_z 0
		.amdhsa_system_sgpr_workgroup_info 0
		.amdhsa_system_vgpr_workitem_id 0
		.amdhsa_next_free_vgpr 73
		.amdhsa_next_free_sgpr 40
		.amdhsa_accum_offset 76
		.amdhsa_reserve_vcc 1
		.amdhsa_float_round_mode_32 0
		.amdhsa_float_round_mode_16_64 0
		.amdhsa_float_denorm_mode_32 3
		.amdhsa_float_denorm_mode_16_64 3
		.amdhsa_dx10_clamp 1
		.amdhsa_ieee_mode 1
		.amdhsa_fp16_overflow 0
		.amdhsa_tg_split 0
		.amdhsa_exception_fp_ieee_invalid_op 0
		.amdhsa_exception_fp_denorm_src 0
		.amdhsa_exception_fp_ieee_div_zero 0
		.amdhsa_exception_fp_ieee_overflow 0
		.amdhsa_exception_fp_ieee_underflow 0
		.amdhsa_exception_fp_ieee_inexact 0
		.amdhsa_exception_int_div_zero 0
	.end_amdhsa_kernel
	.section	.text._ZN7rocprim17ROCPRIM_400000_NS6detail17trampoline_kernelINS0_14default_configENS1_20scan_config_selectorIlEEZZNS1_9scan_implILNS1_25lookback_scan_determinismE0ELb0ELb0ES3_PlS8_lN6thrust23THRUST_200600_302600_NS4plusIvEElEEDaPvRmT3_T4_T5_mT6_P12ihipStream_tbENKUlT_T0_E_clISt17integral_constantIbLb1EESP_IbLb0EEEEDaSL_SM_EUlSL_E0_NS1_11comp_targetILNS1_3genE5ELNS1_11target_archE942ELNS1_3gpuE9ELNS1_3repE0EEENS1_30default_config_static_selectorELNS0_4arch9wavefront6targetE1EEEvT1_,"axG",@progbits,_ZN7rocprim17ROCPRIM_400000_NS6detail17trampoline_kernelINS0_14default_configENS1_20scan_config_selectorIlEEZZNS1_9scan_implILNS1_25lookback_scan_determinismE0ELb0ELb0ES3_PlS8_lN6thrust23THRUST_200600_302600_NS4plusIvEElEEDaPvRmT3_T4_T5_mT6_P12ihipStream_tbENKUlT_T0_E_clISt17integral_constantIbLb1EESP_IbLb0EEEEDaSL_SM_EUlSL_E0_NS1_11comp_targetILNS1_3genE5ELNS1_11target_archE942ELNS1_3gpuE9ELNS1_3repE0EEENS1_30default_config_static_selectorELNS0_4arch9wavefront6targetE1EEEvT1_,comdat
.Lfunc_end133:
	.size	_ZN7rocprim17ROCPRIM_400000_NS6detail17trampoline_kernelINS0_14default_configENS1_20scan_config_selectorIlEEZZNS1_9scan_implILNS1_25lookback_scan_determinismE0ELb0ELb0ES3_PlS8_lN6thrust23THRUST_200600_302600_NS4plusIvEElEEDaPvRmT3_T4_T5_mT6_P12ihipStream_tbENKUlT_T0_E_clISt17integral_constantIbLb1EESP_IbLb0EEEEDaSL_SM_EUlSL_E0_NS1_11comp_targetILNS1_3genE5ELNS1_11target_archE942ELNS1_3gpuE9ELNS1_3repE0EEENS1_30default_config_static_selectorELNS0_4arch9wavefront6targetE1EEEvT1_, .Lfunc_end133-_ZN7rocprim17ROCPRIM_400000_NS6detail17trampoline_kernelINS0_14default_configENS1_20scan_config_selectorIlEEZZNS1_9scan_implILNS1_25lookback_scan_determinismE0ELb0ELb0ES3_PlS8_lN6thrust23THRUST_200600_302600_NS4plusIvEElEEDaPvRmT3_T4_T5_mT6_P12ihipStream_tbENKUlT_T0_E_clISt17integral_constantIbLb1EESP_IbLb0EEEEDaSL_SM_EUlSL_E0_NS1_11comp_targetILNS1_3genE5ELNS1_11target_archE942ELNS1_3gpuE9ELNS1_3repE0EEENS1_30default_config_static_selectorELNS0_4arch9wavefront6targetE1EEEvT1_
                                        ; -- End function
	.section	.AMDGPU.csdata,"",@progbits
; Kernel info:
; codeLenInByte = 2804
; NumSgprs: 46
; NumVgprs: 73
; NumAgprs: 0
; TotalNumVgprs: 73
; ScratchSize: 0
; MemoryBound: 0
; FloatMode: 240
; IeeeMode: 1
; LDSByteSize: 30720 bytes/workgroup (compile time only)
; SGPRBlocks: 5
; VGPRBlocks: 9
; NumSGPRsForWavesPerEU: 46
; NumVGPRsForWavesPerEU: 73
; AccumOffset: 76
; Occupancy: 2
; WaveLimiterHint : 0
; COMPUTE_PGM_RSRC2:SCRATCH_EN: 0
; COMPUTE_PGM_RSRC2:USER_SGPR: 2
; COMPUTE_PGM_RSRC2:TRAP_HANDLER: 0
; COMPUTE_PGM_RSRC2:TGID_X_EN: 1
; COMPUTE_PGM_RSRC2:TGID_Y_EN: 0
; COMPUTE_PGM_RSRC2:TGID_Z_EN: 0
; COMPUTE_PGM_RSRC2:TIDIG_COMP_CNT: 0
; COMPUTE_PGM_RSRC3_GFX90A:ACCUM_OFFSET: 18
; COMPUTE_PGM_RSRC3_GFX90A:TG_SPLIT: 0
	.section	.text._ZN7rocprim17ROCPRIM_400000_NS6detail17trampoline_kernelINS0_14default_configENS1_20scan_config_selectorIlEEZZNS1_9scan_implILNS1_25lookback_scan_determinismE0ELb0ELb0ES3_PlS8_lN6thrust23THRUST_200600_302600_NS4plusIvEElEEDaPvRmT3_T4_T5_mT6_P12ihipStream_tbENKUlT_T0_E_clISt17integral_constantIbLb1EESP_IbLb0EEEEDaSL_SM_EUlSL_E0_NS1_11comp_targetILNS1_3genE4ELNS1_11target_archE910ELNS1_3gpuE8ELNS1_3repE0EEENS1_30default_config_static_selectorELNS0_4arch9wavefront6targetE1EEEvT1_,"axG",@progbits,_ZN7rocprim17ROCPRIM_400000_NS6detail17trampoline_kernelINS0_14default_configENS1_20scan_config_selectorIlEEZZNS1_9scan_implILNS1_25lookback_scan_determinismE0ELb0ELb0ES3_PlS8_lN6thrust23THRUST_200600_302600_NS4plusIvEElEEDaPvRmT3_T4_T5_mT6_P12ihipStream_tbENKUlT_T0_E_clISt17integral_constantIbLb1EESP_IbLb0EEEEDaSL_SM_EUlSL_E0_NS1_11comp_targetILNS1_3genE4ELNS1_11target_archE910ELNS1_3gpuE8ELNS1_3repE0EEENS1_30default_config_static_selectorELNS0_4arch9wavefront6targetE1EEEvT1_,comdat
	.protected	_ZN7rocprim17ROCPRIM_400000_NS6detail17trampoline_kernelINS0_14default_configENS1_20scan_config_selectorIlEEZZNS1_9scan_implILNS1_25lookback_scan_determinismE0ELb0ELb0ES3_PlS8_lN6thrust23THRUST_200600_302600_NS4plusIvEElEEDaPvRmT3_T4_T5_mT6_P12ihipStream_tbENKUlT_T0_E_clISt17integral_constantIbLb1EESP_IbLb0EEEEDaSL_SM_EUlSL_E0_NS1_11comp_targetILNS1_3genE4ELNS1_11target_archE910ELNS1_3gpuE8ELNS1_3repE0EEENS1_30default_config_static_selectorELNS0_4arch9wavefront6targetE1EEEvT1_ ; -- Begin function _ZN7rocprim17ROCPRIM_400000_NS6detail17trampoline_kernelINS0_14default_configENS1_20scan_config_selectorIlEEZZNS1_9scan_implILNS1_25lookback_scan_determinismE0ELb0ELb0ES3_PlS8_lN6thrust23THRUST_200600_302600_NS4plusIvEElEEDaPvRmT3_T4_T5_mT6_P12ihipStream_tbENKUlT_T0_E_clISt17integral_constantIbLb1EESP_IbLb0EEEEDaSL_SM_EUlSL_E0_NS1_11comp_targetILNS1_3genE4ELNS1_11target_archE910ELNS1_3gpuE8ELNS1_3repE0EEENS1_30default_config_static_selectorELNS0_4arch9wavefront6targetE1EEEvT1_
	.globl	_ZN7rocprim17ROCPRIM_400000_NS6detail17trampoline_kernelINS0_14default_configENS1_20scan_config_selectorIlEEZZNS1_9scan_implILNS1_25lookback_scan_determinismE0ELb0ELb0ES3_PlS8_lN6thrust23THRUST_200600_302600_NS4plusIvEElEEDaPvRmT3_T4_T5_mT6_P12ihipStream_tbENKUlT_T0_E_clISt17integral_constantIbLb1EESP_IbLb0EEEEDaSL_SM_EUlSL_E0_NS1_11comp_targetILNS1_3genE4ELNS1_11target_archE910ELNS1_3gpuE8ELNS1_3repE0EEENS1_30default_config_static_selectorELNS0_4arch9wavefront6targetE1EEEvT1_
	.p2align	8
	.type	_ZN7rocprim17ROCPRIM_400000_NS6detail17trampoline_kernelINS0_14default_configENS1_20scan_config_selectorIlEEZZNS1_9scan_implILNS1_25lookback_scan_determinismE0ELb0ELb0ES3_PlS8_lN6thrust23THRUST_200600_302600_NS4plusIvEElEEDaPvRmT3_T4_T5_mT6_P12ihipStream_tbENKUlT_T0_E_clISt17integral_constantIbLb1EESP_IbLb0EEEEDaSL_SM_EUlSL_E0_NS1_11comp_targetILNS1_3genE4ELNS1_11target_archE910ELNS1_3gpuE8ELNS1_3repE0EEENS1_30default_config_static_selectorELNS0_4arch9wavefront6targetE1EEEvT1_,@function
_ZN7rocprim17ROCPRIM_400000_NS6detail17trampoline_kernelINS0_14default_configENS1_20scan_config_selectorIlEEZZNS1_9scan_implILNS1_25lookback_scan_determinismE0ELb0ELb0ES3_PlS8_lN6thrust23THRUST_200600_302600_NS4plusIvEElEEDaPvRmT3_T4_T5_mT6_P12ihipStream_tbENKUlT_T0_E_clISt17integral_constantIbLb1EESP_IbLb0EEEEDaSL_SM_EUlSL_E0_NS1_11comp_targetILNS1_3genE4ELNS1_11target_archE910ELNS1_3gpuE8ELNS1_3repE0EEENS1_30default_config_static_selectorELNS0_4arch9wavefront6targetE1EEEvT1_: ; @_ZN7rocprim17ROCPRIM_400000_NS6detail17trampoline_kernelINS0_14default_configENS1_20scan_config_selectorIlEEZZNS1_9scan_implILNS1_25lookback_scan_determinismE0ELb0ELb0ES3_PlS8_lN6thrust23THRUST_200600_302600_NS4plusIvEElEEDaPvRmT3_T4_T5_mT6_P12ihipStream_tbENKUlT_T0_E_clISt17integral_constantIbLb1EESP_IbLb0EEEEDaSL_SM_EUlSL_E0_NS1_11comp_targetILNS1_3genE4ELNS1_11target_archE910ELNS1_3gpuE8ELNS1_3repE0EEENS1_30default_config_static_selectorELNS0_4arch9wavefront6targetE1EEEvT1_
; %bb.0:
	.section	.rodata,"a",@progbits
	.p2align	6, 0x0
	.amdhsa_kernel _ZN7rocprim17ROCPRIM_400000_NS6detail17trampoline_kernelINS0_14default_configENS1_20scan_config_selectorIlEEZZNS1_9scan_implILNS1_25lookback_scan_determinismE0ELb0ELb0ES3_PlS8_lN6thrust23THRUST_200600_302600_NS4plusIvEElEEDaPvRmT3_T4_T5_mT6_P12ihipStream_tbENKUlT_T0_E_clISt17integral_constantIbLb1EESP_IbLb0EEEEDaSL_SM_EUlSL_E0_NS1_11comp_targetILNS1_3genE4ELNS1_11target_archE910ELNS1_3gpuE8ELNS1_3repE0EEENS1_30default_config_static_selectorELNS0_4arch9wavefront6targetE1EEEvT1_
		.amdhsa_group_segment_fixed_size 0
		.amdhsa_private_segment_fixed_size 0
		.amdhsa_kernarg_size 40
		.amdhsa_user_sgpr_count 2
		.amdhsa_user_sgpr_dispatch_ptr 0
		.amdhsa_user_sgpr_queue_ptr 0
		.amdhsa_user_sgpr_kernarg_segment_ptr 1
		.amdhsa_user_sgpr_dispatch_id 0
		.amdhsa_user_sgpr_kernarg_preload_length 0
		.amdhsa_user_sgpr_kernarg_preload_offset 0
		.amdhsa_user_sgpr_private_segment_size 0
		.amdhsa_uses_dynamic_stack 0
		.amdhsa_enable_private_segment 0
		.amdhsa_system_sgpr_workgroup_id_x 1
		.amdhsa_system_sgpr_workgroup_id_y 0
		.amdhsa_system_sgpr_workgroup_id_z 0
		.amdhsa_system_sgpr_workgroup_info 0
		.amdhsa_system_vgpr_workitem_id 0
		.amdhsa_next_free_vgpr 1
		.amdhsa_next_free_sgpr 0
		.amdhsa_accum_offset 4
		.amdhsa_reserve_vcc 0
		.amdhsa_float_round_mode_32 0
		.amdhsa_float_round_mode_16_64 0
		.amdhsa_float_denorm_mode_32 3
		.amdhsa_float_denorm_mode_16_64 3
		.amdhsa_dx10_clamp 1
		.amdhsa_ieee_mode 1
		.amdhsa_fp16_overflow 0
		.amdhsa_tg_split 0
		.amdhsa_exception_fp_ieee_invalid_op 0
		.amdhsa_exception_fp_denorm_src 0
		.amdhsa_exception_fp_ieee_div_zero 0
		.amdhsa_exception_fp_ieee_overflow 0
		.amdhsa_exception_fp_ieee_underflow 0
		.amdhsa_exception_fp_ieee_inexact 0
		.amdhsa_exception_int_div_zero 0
	.end_amdhsa_kernel
	.section	.text._ZN7rocprim17ROCPRIM_400000_NS6detail17trampoline_kernelINS0_14default_configENS1_20scan_config_selectorIlEEZZNS1_9scan_implILNS1_25lookback_scan_determinismE0ELb0ELb0ES3_PlS8_lN6thrust23THRUST_200600_302600_NS4plusIvEElEEDaPvRmT3_T4_T5_mT6_P12ihipStream_tbENKUlT_T0_E_clISt17integral_constantIbLb1EESP_IbLb0EEEEDaSL_SM_EUlSL_E0_NS1_11comp_targetILNS1_3genE4ELNS1_11target_archE910ELNS1_3gpuE8ELNS1_3repE0EEENS1_30default_config_static_selectorELNS0_4arch9wavefront6targetE1EEEvT1_,"axG",@progbits,_ZN7rocprim17ROCPRIM_400000_NS6detail17trampoline_kernelINS0_14default_configENS1_20scan_config_selectorIlEEZZNS1_9scan_implILNS1_25lookback_scan_determinismE0ELb0ELb0ES3_PlS8_lN6thrust23THRUST_200600_302600_NS4plusIvEElEEDaPvRmT3_T4_T5_mT6_P12ihipStream_tbENKUlT_T0_E_clISt17integral_constantIbLb1EESP_IbLb0EEEEDaSL_SM_EUlSL_E0_NS1_11comp_targetILNS1_3genE4ELNS1_11target_archE910ELNS1_3gpuE8ELNS1_3repE0EEENS1_30default_config_static_selectorELNS0_4arch9wavefront6targetE1EEEvT1_,comdat
.Lfunc_end134:
	.size	_ZN7rocprim17ROCPRIM_400000_NS6detail17trampoline_kernelINS0_14default_configENS1_20scan_config_selectorIlEEZZNS1_9scan_implILNS1_25lookback_scan_determinismE0ELb0ELb0ES3_PlS8_lN6thrust23THRUST_200600_302600_NS4plusIvEElEEDaPvRmT3_T4_T5_mT6_P12ihipStream_tbENKUlT_T0_E_clISt17integral_constantIbLb1EESP_IbLb0EEEEDaSL_SM_EUlSL_E0_NS1_11comp_targetILNS1_3genE4ELNS1_11target_archE910ELNS1_3gpuE8ELNS1_3repE0EEENS1_30default_config_static_selectorELNS0_4arch9wavefront6targetE1EEEvT1_, .Lfunc_end134-_ZN7rocprim17ROCPRIM_400000_NS6detail17trampoline_kernelINS0_14default_configENS1_20scan_config_selectorIlEEZZNS1_9scan_implILNS1_25lookback_scan_determinismE0ELb0ELb0ES3_PlS8_lN6thrust23THRUST_200600_302600_NS4plusIvEElEEDaPvRmT3_T4_T5_mT6_P12ihipStream_tbENKUlT_T0_E_clISt17integral_constantIbLb1EESP_IbLb0EEEEDaSL_SM_EUlSL_E0_NS1_11comp_targetILNS1_3genE4ELNS1_11target_archE910ELNS1_3gpuE8ELNS1_3repE0EEENS1_30default_config_static_selectorELNS0_4arch9wavefront6targetE1EEEvT1_
                                        ; -- End function
	.section	.AMDGPU.csdata,"",@progbits
; Kernel info:
; codeLenInByte = 0
; NumSgprs: 6
; NumVgprs: 0
; NumAgprs: 0
; TotalNumVgprs: 0
; ScratchSize: 0
; MemoryBound: 0
; FloatMode: 240
; IeeeMode: 1
; LDSByteSize: 0 bytes/workgroup (compile time only)
; SGPRBlocks: 0
; VGPRBlocks: 0
; NumSGPRsForWavesPerEU: 6
; NumVGPRsForWavesPerEU: 1
; AccumOffset: 4
; Occupancy: 8
; WaveLimiterHint : 0
; COMPUTE_PGM_RSRC2:SCRATCH_EN: 0
; COMPUTE_PGM_RSRC2:USER_SGPR: 2
; COMPUTE_PGM_RSRC2:TRAP_HANDLER: 0
; COMPUTE_PGM_RSRC2:TGID_X_EN: 1
; COMPUTE_PGM_RSRC2:TGID_Y_EN: 0
; COMPUTE_PGM_RSRC2:TGID_Z_EN: 0
; COMPUTE_PGM_RSRC2:TIDIG_COMP_CNT: 0
; COMPUTE_PGM_RSRC3_GFX90A:ACCUM_OFFSET: 0
; COMPUTE_PGM_RSRC3_GFX90A:TG_SPLIT: 0
	.section	.text._ZN7rocprim17ROCPRIM_400000_NS6detail17trampoline_kernelINS0_14default_configENS1_20scan_config_selectorIlEEZZNS1_9scan_implILNS1_25lookback_scan_determinismE0ELb0ELb0ES3_PlS8_lN6thrust23THRUST_200600_302600_NS4plusIvEElEEDaPvRmT3_T4_T5_mT6_P12ihipStream_tbENKUlT_T0_E_clISt17integral_constantIbLb1EESP_IbLb0EEEEDaSL_SM_EUlSL_E0_NS1_11comp_targetILNS1_3genE3ELNS1_11target_archE908ELNS1_3gpuE7ELNS1_3repE0EEENS1_30default_config_static_selectorELNS0_4arch9wavefront6targetE1EEEvT1_,"axG",@progbits,_ZN7rocprim17ROCPRIM_400000_NS6detail17trampoline_kernelINS0_14default_configENS1_20scan_config_selectorIlEEZZNS1_9scan_implILNS1_25lookback_scan_determinismE0ELb0ELb0ES3_PlS8_lN6thrust23THRUST_200600_302600_NS4plusIvEElEEDaPvRmT3_T4_T5_mT6_P12ihipStream_tbENKUlT_T0_E_clISt17integral_constantIbLb1EESP_IbLb0EEEEDaSL_SM_EUlSL_E0_NS1_11comp_targetILNS1_3genE3ELNS1_11target_archE908ELNS1_3gpuE7ELNS1_3repE0EEENS1_30default_config_static_selectorELNS0_4arch9wavefront6targetE1EEEvT1_,comdat
	.protected	_ZN7rocprim17ROCPRIM_400000_NS6detail17trampoline_kernelINS0_14default_configENS1_20scan_config_selectorIlEEZZNS1_9scan_implILNS1_25lookback_scan_determinismE0ELb0ELb0ES3_PlS8_lN6thrust23THRUST_200600_302600_NS4plusIvEElEEDaPvRmT3_T4_T5_mT6_P12ihipStream_tbENKUlT_T0_E_clISt17integral_constantIbLb1EESP_IbLb0EEEEDaSL_SM_EUlSL_E0_NS1_11comp_targetILNS1_3genE3ELNS1_11target_archE908ELNS1_3gpuE7ELNS1_3repE0EEENS1_30default_config_static_selectorELNS0_4arch9wavefront6targetE1EEEvT1_ ; -- Begin function _ZN7rocprim17ROCPRIM_400000_NS6detail17trampoline_kernelINS0_14default_configENS1_20scan_config_selectorIlEEZZNS1_9scan_implILNS1_25lookback_scan_determinismE0ELb0ELb0ES3_PlS8_lN6thrust23THRUST_200600_302600_NS4plusIvEElEEDaPvRmT3_T4_T5_mT6_P12ihipStream_tbENKUlT_T0_E_clISt17integral_constantIbLb1EESP_IbLb0EEEEDaSL_SM_EUlSL_E0_NS1_11comp_targetILNS1_3genE3ELNS1_11target_archE908ELNS1_3gpuE7ELNS1_3repE0EEENS1_30default_config_static_selectorELNS0_4arch9wavefront6targetE1EEEvT1_
	.globl	_ZN7rocprim17ROCPRIM_400000_NS6detail17trampoline_kernelINS0_14default_configENS1_20scan_config_selectorIlEEZZNS1_9scan_implILNS1_25lookback_scan_determinismE0ELb0ELb0ES3_PlS8_lN6thrust23THRUST_200600_302600_NS4plusIvEElEEDaPvRmT3_T4_T5_mT6_P12ihipStream_tbENKUlT_T0_E_clISt17integral_constantIbLb1EESP_IbLb0EEEEDaSL_SM_EUlSL_E0_NS1_11comp_targetILNS1_3genE3ELNS1_11target_archE908ELNS1_3gpuE7ELNS1_3repE0EEENS1_30default_config_static_selectorELNS0_4arch9wavefront6targetE1EEEvT1_
	.p2align	8
	.type	_ZN7rocprim17ROCPRIM_400000_NS6detail17trampoline_kernelINS0_14default_configENS1_20scan_config_selectorIlEEZZNS1_9scan_implILNS1_25lookback_scan_determinismE0ELb0ELb0ES3_PlS8_lN6thrust23THRUST_200600_302600_NS4plusIvEElEEDaPvRmT3_T4_T5_mT6_P12ihipStream_tbENKUlT_T0_E_clISt17integral_constantIbLb1EESP_IbLb0EEEEDaSL_SM_EUlSL_E0_NS1_11comp_targetILNS1_3genE3ELNS1_11target_archE908ELNS1_3gpuE7ELNS1_3repE0EEENS1_30default_config_static_selectorELNS0_4arch9wavefront6targetE1EEEvT1_,@function
_ZN7rocprim17ROCPRIM_400000_NS6detail17trampoline_kernelINS0_14default_configENS1_20scan_config_selectorIlEEZZNS1_9scan_implILNS1_25lookback_scan_determinismE0ELb0ELb0ES3_PlS8_lN6thrust23THRUST_200600_302600_NS4plusIvEElEEDaPvRmT3_T4_T5_mT6_P12ihipStream_tbENKUlT_T0_E_clISt17integral_constantIbLb1EESP_IbLb0EEEEDaSL_SM_EUlSL_E0_NS1_11comp_targetILNS1_3genE3ELNS1_11target_archE908ELNS1_3gpuE7ELNS1_3repE0EEENS1_30default_config_static_selectorELNS0_4arch9wavefront6targetE1EEEvT1_: ; @_ZN7rocprim17ROCPRIM_400000_NS6detail17trampoline_kernelINS0_14default_configENS1_20scan_config_selectorIlEEZZNS1_9scan_implILNS1_25lookback_scan_determinismE0ELb0ELb0ES3_PlS8_lN6thrust23THRUST_200600_302600_NS4plusIvEElEEDaPvRmT3_T4_T5_mT6_P12ihipStream_tbENKUlT_T0_E_clISt17integral_constantIbLb1EESP_IbLb0EEEEDaSL_SM_EUlSL_E0_NS1_11comp_targetILNS1_3genE3ELNS1_11target_archE908ELNS1_3gpuE7ELNS1_3repE0EEENS1_30default_config_static_selectorELNS0_4arch9wavefront6targetE1EEEvT1_
; %bb.0:
	.section	.rodata,"a",@progbits
	.p2align	6, 0x0
	.amdhsa_kernel _ZN7rocprim17ROCPRIM_400000_NS6detail17trampoline_kernelINS0_14default_configENS1_20scan_config_selectorIlEEZZNS1_9scan_implILNS1_25lookback_scan_determinismE0ELb0ELb0ES3_PlS8_lN6thrust23THRUST_200600_302600_NS4plusIvEElEEDaPvRmT3_T4_T5_mT6_P12ihipStream_tbENKUlT_T0_E_clISt17integral_constantIbLb1EESP_IbLb0EEEEDaSL_SM_EUlSL_E0_NS1_11comp_targetILNS1_3genE3ELNS1_11target_archE908ELNS1_3gpuE7ELNS1_3repE0EEENS1_30default_config_static_selectorELNS0_4arch9wavefront6targetE1EEEvT1_
		.amdhsa_group_segment_fixed_size 0
		.amdhsa_private_segment_fixed_size 0
		.amdhsa_kernarg_size 40
		.amdhsa_user_sgpr_count 2
		.amdhsa_user_sgpr_dispatch_ptr 0
		.amdhsa_user_sgpr_queue_ptr 0
		.amdhsa_user_sgpr_kernarg_segment_ptr 1
		.amdhsa_user_sgpr_dispatch_id 0
		.amdhsa_user_sgpr_kernarg_preload_length 0
		.amdhsa_user_sgpr_kernarg_preload_offset 0
		.amdhsa_user_sgpr_private_segment_size 0
		.amdhsa_uses_dynamic_stack 0
		.amdhsa_enable_private_segment 0
		.amdhsa_system_sgpr_workgroup_id_x 1
		.amdhsa_system_sgpr_workgroup_id_y 0
		.amdhsa_system_sgpr_workgroup_id_z 0
		.amdhsa_system_sgpr_workgroup_info 0
		.amdhsa_system_vgpr_workitem_id 0
		.amdhsa_next_free_vgpr 1
		.amdhsa_next_free_sgpr 0
		.amdhsa_accum_offset 4
		.amdhsa_reserve_vcc 0
		.amdhsa_float_round_mode_32 0
		.amdhsa_float_round_mode_16_64 0
		.amdhsa_float_denorm_mode_32 3
		.amdhsa_float_denorm_mode_16_64 3
		.amdhsa_dx10_clamp 1
		.amdhsa_ieee_mode 1
		.amdhsa_fp16_overflow 0
		.amdhsa_tg_split 0
		.amdhsa_exception_fp_ieee_invalid_op 0
		.amdhsa_exception_fp_denorm_src 0
		.amdhsa_exception_fp_ieee_div_zero 0
		.amdhsa_exception_fp_ieee_overflow 0
		.amdhsa_exception_fp_ieee_underflow 0
		.amdhsa_exception_fp_ieee_inexact 0
		.amdhsa_exception_int_div_zero 0
	.end_amdhsa_kernel
	.section	.text._ZN7rocprim17ROCPRIM_400000_NS6detail17trampoline_kernelINS0_14default_configENS1_20scan_config_selectorIlEEZZNS1_9scan_implILNS1_25lookback_scan_determinismE0ELb0ELb0ES3_PlS8_lN6thrust23THRUST_200600_302600_NS4plusIvEElEEDaPvRmT3_T4_T5_mT6_P12ihipStream_tbENKUlT_T0_E_clISt17integral_constantIbLb1EESP_IbLb0EEEEDaSL_SM_EUlSL_E0_NS1_11comp_targetILNS1_3genE3ELNS1_11target_archE908ELNS1_3gpuE7ELNS1_3repE0EEENS1_30default_config_static_selectorELNS0_4arch9wavefront6targetE1EEEvT1_,"axG",@progbits,_ZN7rocprim17ROCPRIM_400000_NS6detail17trampoline_kernelINS0_14default_configENS1_20scan_config_selectorIlEEZZNS1_9scan_implILNS1_25lookback_scan_determinismE0ELb0ELb0ES3_PlS8_lN6thrust23THRUST_200600_302600_NS4plusIvEElEEDaPvRmT3_T4_T5_mT6_P12ihipStream_tbENKUlT_T0_E_clISt17integral_constantIbLb1EESP_IbLb0EEEEDaSL_SM_EUlSL_E0_NS1_11comp_targetILNS1_3genE3ELNS1_11target_archE908ELNS1_3gpuE7ELNS1_3repE0EEENS1_30default_config_static_selectorELNS0_4arch9wavefront6targetE1EEEvT1_,comdat
.Lfunc_end135:
	.size	_ZN7rocprim17ROCPRIM_400000_NS6detail17trampoline_kernelINS0_14default_configENS1_20scan_config_selectorIlEEZZNS1_9scan_implILNS1_25lookback_scan_determinismE0ELb0ELb0ES3_PlS8_lN6thrust23THRUST_200600_302600_NS4plusIvEElEEDaPvRmT3_T4_T5_mT6_P12ihipStream_tbENKUlT_T0_E_clISt17integral_constantIbLb1EESP_IbLb0EEEEDaSL_SM_EUlSL_E0_NS1_11comp_targetILNS1_3genE3ELNS1_11target_archE908ELNS1_3gpuE7ELNS1_3repE0EEENS1_30default_config_static_selectorELNS0_4arch9wavefront6targetE1EEEvT1_, .Lfunc_end135-_ZN7rocprim17ROCPRIM_400000_NS6detail17trampoline_kernelINS0_14default_configENS1_20scan_config_selectorIlEEZZNS1_9scan_implILNS1_25lookback_scan_determinismE0ELb0ELb0ES3_PlS8_lN6thrust23THRUST_200600_302600_NS4plusIvEElEEDaPvRmT3_T4_T5_mT6_P12ihipStream_tbENKUlT_T0_E_clISt17integral_constantIbLb1EESP_IbLb0EEEEDaSL_SM_EUlSL_E0_NS1_11comp_targetILNS1_3genE3ELNS1_11target_archE908ELNS1_3gpuE7ELNS1_3repE0EEENS1_30default_config_static_selectorELNS0_4arch9wavefront6targetE1EEEvT1_
                                        ; -- End function
	.section	.AMDGPU.csdata,"",@progbits
; Kernel info:
; codeLenInByte = 0
; NumSgprs: 6
; NumVgprs: 0
; NumAgprs: 0
; TotalNumVgprs: 0
; ScratchSize: 0
; MemoryBound: 0
; FloatMode: 240
; IeeeMode: 1
; LDSByteSize: 0 bytes/workgroup (compile time only)
; SGPRBlocks: 0
; VGPRBlocks: 0
; NumSGPRsForWavesPerEU: 6
; NumVGPRsForWavesPerEU: 1
; AccumOffset: 4
; Occupancy: 8
; WaveLimiterHint : 0
; COMPUTE_PGM_RSRC2:SCRATCH_EN: 0
; COMPUTE_PGM_RSRC2:USER_SGPR: 2
; COMPUTE_PGM_RSRC2:TRAP_HANDLER: 0
; COMPUTE_PGM_RSRC2:TGID_X_EN: 1
; COMPUTE_PGM_RSRC2:TGID_Y_EN: 0
; COMPUTE_PGM_RSRC2:TGID_Z_EN: 0
; COMPUTE_PGM_RSRC2:TIDIG_COMP_CNT: 0
; COMPUTE_PGM_RSRC3_GFX90A:ACCUM_OFFSET: 0
; COMPUTE_PGM_RSRC3_GFX90A:TG_SPLIT: 0
	.section	.text._ZN7rocprim17ROCPRIM_400000_NS6detail17trampoline_kernelINS0_14default_configENS1_20scan_config_selectorIlEEZZNS1_9scan_implILNS1_25lookback_scan_determinismE0ELb0ELb0ES3_PlS8_lN6thrust23THRUST_200600_302600_NS4plusIvEElEEDaPvRmT3_T4_T5_mT6_P12ihipStream_tbENKUlT_T0_E_clISt17integral_constantIbLb1EESP_IbLb0EEEEDaSL_SM_EUlSL_E0_NS1_11comp_targetILNS1_3genE2ELNS1_11target_archE906ELNS1_3gpuE6ELNS1_3repE0EEENS1_30default_config_static_selectorELNS0_4arch9wavefront6targetE1EEEvT1_,"axG",@progbits,_ZN7rocprim17ROCPRIM_400000_NS6detail17trampoline_kernelINS0_14default_configENS1_20scan_config_selectorIlEEZZNS1_9scan_implILNS1_25lookback_scan_determinismE0ELb0ELb0ES3_PlS8_lN6thrust23THRUST_200600_302600_NS4plusIvEElEEDaPvRmT3_T4_T5_mT6_P12ihipStream_tbENKUlT_T0_E_clISt17integral_constantIbLb1EESP_IbLb0EEEEDaSL_SM_EUlSL_E0_NS1_11comp_targetILNS1_3genE2ELNS1_11target_archE906ELNS1_3gpuE6ELNS1_3repE0EEENS1_30default_config_static_selectorELNS0_4arch9wavefront6targetE1EEEvT1_,comdat
	.protected	_ZN7rocprim17ROCPRIM_400000_NS6detail17trampoline_kernelINS0_14default_configENS1_20scan_config_selectorIlEEZZNS1_9scan_implILNS1_25lookback_scan_determinismE0ELb0ELb0ES3_PlS8_lN6thrust23THRUST_200600_302600_NS4plusIvEElEEDaPvRmT3_T4_T5_mT6_P12ihipStream_tbENKUlT_T0_E_clISt17integral_constantIbLb1EESP_IbLb0EEEEDaSL_SM_EUlSL_E0_NS1_11comp_targetILNS1_3genE2ELNS1_11target_archE906ELNS1_3gpuE6ELNS1_3repE0EEENS1_30default_config_static_selectorELNS0_4arch9wavefront6targetE1EEEvT1_ ; -- Begin function _ZN7rocprim17ROCPRIM_400000_NS6detail17trampoline_kernelINS0_14default_configENS1_20scan_config_selectorIlEEZZNS1_9scan_implILNS1_25lookback_scan_determinismE0ELb0ELb0ES3_PlS8_lN6thrust23THRUST_200600_302600_NS4plusIvEElEEDaPvRmT3_T4_T5_mT6_P12ihipStream_tbENKUlT_T0_E_clISt17integral_constantIbLb1EESP_IbLb0EEEEDaSL_SM_EUlSL_E0_NS1_11comp_targetILNS1_3genE2ELNS1_11target_archE906ELNS1_3gpuE6ELNS1_3repE0EEENS1_30default_config_static_selectorELNS0_4arch9wavefront6targetE1EEEvT1_
	.globl	_ZN7rocprim17ROCPRIM_400000_NS6detail17trampoline_kernelINS0_14default_configENS1_20scan_config_selectorIlEEZZNS1_9scan_implILNS1_25lookback_scan_determinismE0ELb0ELb0ES3_PlS8_lN6thrust23THRUST_200600_302600_NS4plusIvEElEEDaPvRmT3_T4_T5_mT6_P12ihipStream_tbENKUlT_T0_E_clISt17integral_constantIbLb1EESP_IbLb0EEEEDaSL_SM_EUlSL_E0_NS1_11comp_targetILNS1_3genE2ELNS1_11target_archE906ELNS1_3gpuE6ELNS1_3repE0EEENS1_30default_config_static_selectorELNS0_4arch9wavefront6targetE1EEEvT1_
	.p2align	8
	.type	_ZN7rocprim17ROCPRIM_400000_NS6detail17trampoline_kernelINS0_14default_configENS1_20scan_config_selectorIlEEZZNS1_9scan_implILNS1_25lookback_scan_determinismE0ELb0ELb0ES3_PlS8_lN6thrust23THRUST_200600_302600_NS4plusIvEElEEDaPvRmT3_T4_T5_mT6_P12ihipStream_tbENKUlT_T0_E_clISt17integral_constantIbLb1EESP_IbLb0EEEEDaSL_SM_EUlSL_E0_NS1_11comp_targetILNS1_3genE2ELNS1_11target_archE906ELNS1_3gpuE6ELNS1_3repE0EEENS1_30default_config_static_selectorELNS0_4arch9wavefront6targetE1EEEvT1_,@function
_ZN7rocprim17ROCPRIM_400000_NS6detail17trampoline_kernelINS0_14default_configENS1_20scan_config_selectorIlEEZZNS1_9scan_implILNS1_25lookback_scan_determinismE0ELb0ELb0ES3_PlS8_lN6thrust23THRUST_200600_302600_NS4plusIvEElEEDaPvRmT3_T4_T5_mT6_P12ihipStream_tbENKUlT_T0_E_clISt17integral_constantIbLb1EESP_IbLb0EEEEDaSL_SM_EUlSL_E0_NS1_11comp_targetILNS1_3genE2ELNS1_11target_archE906ELNS1_3gpuE6ELNS1_3repE0EEENS1_30default_config_static_selectorELNS0_4arch9wavefront6targetE1EEEvT1_: ; @_ZN7rocprim17ROCPRIM_400000_NS6detail17trampoline_kernelINS0_14default_configENS1_20scan_config_selectorIlEEZZNS1_9scan_implILNS1_25lookback_scan_determinismE0ELb0ELb0ES3_PlS8_lN6thrust23THRUST_200600_302600_NS4plusIvEElEEDaPvRmT3_T4_T5_mT6_P12ihipStream_tbENKUlT_T0_E_clISt17integral_constantIbLb1EESP_IbLb0EEEEDaSL_SM_EUlSL_E0_NS1_11comp_targetILNS1_3genE2ELNS1_11target_archE906ELNS1_3gpuE6ELNS1_3repE0EEENS1_30default_config_static_selectorELNS0_4arch9wavefront6targetE1EEEvT1_
; %bb.0:
	.section	.rodata,"a",@progbits
	.p2align	6, 0x0
	.amdhsa_kernel _ZN7rocprim17ROCPRIM_400000_NS6detail17trampoline_kernelINS0_14default_configENS1_20scan_config_selectorIlEEZZNS1_9scan_implILNS1_25lookback_scan_determinismE0ELb0ELb0ES3_PlS8_lN6thrust23THRUST_200600_302600_NS4plusIvEElEEDaPvRmT3_T4_T5_mT6_P12ihipStream_tbENKUlT_T0_E_clISt17integral_constantIbLb1EESP_IbLb0EEEEDaSL_SM_EUlSL_E0_NS1_11comp_targetILNS1_3genE2ELNS1_11target_archE906ELNS1_3gpuE6ELNS1_3repE0EEENS1_30default_config_static_selectorELNS0_4arch9wavefront6targetE1EEEvT1_
		.amdhsa_group_segment_fixed_size 0
		.amdhsa_private_segment_fixed_size 0
		.amdhsa_kernarg_size 40
		.amdhsa_user_sgpr_count 2
		.amdhsa_user_sgpr_dispatch_ptr 0
		.amdhsa_user_sgpr_queue_ptr 0
		.amdhsa_user_sgpr_kernarg_segment_ptr 1
		.amdhsa_user_sgpr_dispatch_id 0
		.amdhsa_user_sgpr_kernarg_preload_length 0
		.amdhsa_user_sgpr_kernarg_preload_offset 0
		.amdhsa_user_sgpr_private_segment_size 0
		.amdhsa_uses_dynamic_stack 0
		.amdhsa_enable_private_segment 0
		.amdhsa_system_sgpr_workgroup_id_x 1
		.amdhsa_system_sgpr_workgroup_id_y 0
		.amdhsa_system_sgpr_workgroup_id_z 0
		.amdhsa_system_sgpr_workgroup_info 0
		.amdhsa_system_vgpr_workitem_id 0
		.amdhsa_next_free_vgpr 1
		.amdhsa_next_free_sgpr 0
		.amdhsa_accum_offset 4
		.amdhsa_reserve_vcc 0
		.amdhsa_float_round_mode_32 0
		.amdhsa_float_round_mode_16_64 0
		.amdhsa_float_denorm_mode_32 3
		.amdhsa_float_denorm_mode_16_64 3
		.amdhsa_dx10_clamp 1
		.amdhsa_ieee_mode 1
		.amdhsa_fp16_overflow 0
		.amdhsa_tg_split 0
		.amdhsa_exception_fp_ieee_invalid_op 0
		.amdhsa_exception_fp_denorm_src 0
		.amdhsa_exception_fp_ieee_div_zero 0
		.amdhsa_exception_fp_ieee_overflow 0
		.amdhsa_exception_fp_ieee_underflow 0
		.amdhsa_exception_fp_ieee_inexact 0
		.amdhsa_exception_int_div_zero 0
	.end_amdhsa_kernel
	.section	.text._ZN7rocprim17ROCPRIM_400000_NS6detail17trampoline_kernelINS0_14default_configENS1_20scan_config_selectorIlEEZZNS1_9scan_implILNS1_25lookback_scan_determinismE0ELb0ELb0ES3_PlS8_lN6thrust23THRUST_200600_302600_NS4plusIvEElEEDaPvRmT3_T4_T5_mT6_P12ihipStream_tbENKUlT_T0_E_clISt17integral_constantIbLb1EESP_IbLb0EEEEDaSL_SM_EUlSL_E0_NS1_11comp_targetILNS1_3genE2ELNS1_11target_archE906ELNS1_3gpuE6ELNS1_3repE0EEENS1_30default_config_static_selectorELNS0_4arch9wavefront6targetE1EEEvT1_,"axG",@progbits,_ZN7rocprim17ROCPRIM_400000_NS6detail17trampoline_kernelINS0_14default_configENS1_20scan_config_selectorIlEEZZNS1_9scan_implILNS1_25lookback_scan_determinismE0ELb0ELb0ES3_PlS8_lN6thrust23THRUST_200600_302600_NS4plusIvEElEEDaPvRmT3_T4_T5_mT6_P12ihipStream_tbENKUlT_T0_E_clISt17integral_constantIbLb1EESP_IbLb0EEEEDaSL_SM_EUlSL_E0_NS1_11comp_targetILNS1_3genE2ELNS1_11target_archE906ELNS1_3gpuE6ELNS1_3repE0EEENS1_30default_config_static_selectorELNS0_4arch9wavefront6targetE1EEEvT1_,comdat
.Lfunc_end136:
	.size	_ZN7rocprim17ROCPRIM_400000_NS6detail17trampoline_kernelINS0_14default_configENS1_20scan_config_selectorIlEEZZNS1_9scan_implILNS1_25lookback_scan_determinismE0ELb0ELb0ES3_PlS8_lN6thrust23THRUST_200600_302600_NS4plusIvEElEEDaPvRmT3_T4_T5_mT6_P12ihipStream_tbENKUlT_T0_E_clISt17integral_constantIbLb1EESP_IbLb0EEEEDaSL_SM_EUlSL_E0_NS1_11comp_targetILNS1_3genE2ELNS1_11target_archE906ELNS1_3gpuE6ELNS1_3repE0EEENS1_30default_config_static_selectorELNS0_4arch9wavefront6targetE1EEEvT1_, .Lfunc_end136-_ZN7rocprim17ROCPRIM_400000_NS6detail17trampoline_kernelINS0_14default_configENS1_20scan_config_selectorIlEEZZNS1_9scan_implILNS1_25lookback_scan_determinismE0ELb0ELb0ES3_PlS8_lN6thrust23THRUST_200600_302600_NS4plusIvEElEEDaPvRmT3_T4_T5_mT6_P12ihipStream_tbENKUlT_T0_E_clISt17integral_constantIbLb1EESP_IbLb0EEEEDaSL_SM_EUlSL_E0_NS1_11comp_targetILNS1_3genE2ELNS1_11target_archE906ELNS1_3gpuE6ELNS1_3repE0EEENS1_30default_config_static_selectorELNS0_4arch9wavefront6targetE1EEEvT1_
                                        ; -- End function
	.section	.AMDGPU.csdata,"",@progbits
; Kernel info:
; codeLenInByte = 0
; NumSgprs: 6
; NumVgprs: 0
; NumAgprs: 0
; TotalNumVgprs: 0
; ScratchSize: 0
; MemoryBound: 0
; FloatMode: 240
; IeeeMode: 1
; LDSByteSize: 0 bytes/workgroup (compile time only)
; SGPRBlocks: 0
; VGPRBlocks: 0
; NumSGPRsForWavesPerEU: 6
; NumVGPRsForWavesPerEU: 1
; AccumOffset: 4
; Occupancy: 8
; WaveLimiterHint : 0
; COMPUTE_PGM_RSRC2:SCRATCH_EN: 0
; COMPUTE_PGM_RSRC2:USER_SGPR: 2
; COMPUTE_PGM_RSRC2:TRAP_HANDLER: 0
; COMPUTE_PGM_RSRC2:TGID_X_EN: 1
; COMPUTE_PGM_RSRC2:TGID_Y_EN: 0
; COMPUTE_PGM_RSRC2:TGID_Z_EN: 0
; COMPUTE_PGM_RSRC2:TIDIG_COMP_CNT: 0
; COMPUTE_PGM_RSRC3_GFX90A:ACCUM_OFFSET: 0
; COMPUTE_PGM_RSRC3_GFX90A:TG_SPLIT: 0
	.section	.text._ZN7rocprim17ROCPRIM_400000_NS6detail17trampoline_kernelINS0_14default_configENS1_20scan_config_selectorIlEEZZNS1_9scan_implILNS1_25lookback_scan_determinismE0ELb0ELb0ES3_PlS8_lN6thrust23THRUST_200600_302600_NS4plusIvEElEEDaPvRmT3_T4_T5_mT6_P12ihipStream_tbENKUlT_T0_E_clISt17integral_constantIbLb1EESP_IbLb0EEEEDaSL_SM_EUlSL_E0_NS1_11comp_targetILNS1_3genE10ELNS1_11target_archE1201ELNS1_3gpuE5ELNS1_3repE0EEENS1_30default_config_static_selectorELNS0_4arch9wavefront6targetE1EEEvT1_,"axG",@progbits,_ZN7rocprim17ROCPRIM_400000_NS6detail17trampoline_kernelINS0_14default_configENS1_20scan_config_selectorIlEEZZNS1_9scan_implILNS1_25lookback_scan_determinismE0ELb0ELb0ES3_PlS8_lN6thrust23THRUST_200600_302600_NS4plusIvEElEEDaPvRmT3_T4_T5_mT6_P12ihipStream_tbENKUlT_T0_E_clISt17integral_constantIbLb1EESP_IbLb0EEEEDaSL_SM_EUlSL_E0_NS1_11comp_targetILNS1_3genE10ELNS1_11target_archE1201ELNS1_3gpuE5ELNS1_3repE0EEENS1_30default_config_static_selectorELNS0_4arch9wavefront6targetE1EEEvT1_,comdat
	.protected	_ZN7rocprim17ROCPRIM_400000_NS6detail17trampoline_kernelINS0_14default_configENS1_20scan_config_selectorIlEEZZNS1_9scan_implILNS1_25lookback_scan_determinismE0ELb0ELb0ES3_PlS8_lN6thrust23THRUST_200600_302600_NS4plusIvEElEEDaPvRmT3_T4_T5_mT6_P12ihipStream_tbENKUlT_T0_E_clISt17integral_constantIbLb1EESP_IbLb0EEEEDaSL_SM_EUlSL_E0_NS1_11comp_targetILNS1_3genE10ELNS1_11target_archE1201ELNS1_3gpuE5ELNS1_3repE0EEENS1_30default_config_static_selectorELNS0_4arch9wavefront6targetE1EEEvT1_ ; -- Begin function _ZN7rocprim17ROCPRIM_400000_NS6detail17trampoline_kernelINS0_14default_configENS1_20scan_config_selectorIlEEZZNS1_9scan_implILNS1_25lookback_scan_determinismE0ELb0ELb0ES3_PlS8_lN6thrust23THRUST_200600_302600_NS4plusIvEElEEDaPvRmT3_T4_T5_mT6_P12ihipStream_tbENKUlT_T0_E_clISt17integral_constantIbLb1EESP_IbLb0EEEEDaSL_SM_EUlSL_E0_NS1_11comp_targetILNS1_3genE10ELNS1_11target_archE1201ELNS1_3gpuE5ELNS1_3repE0EEENS1_30default_config_static_selectorELNS0_4arch9wavefront6targetE1EEEvT1_
	.globl	_ZN7rocprim17ROCPRIM_400000_NS6detail17trampoline_kernelINS0_14default_configENS1_20scan_config_selectorIlEEZZNS1_9scan_implILNS1_25lookback_scan_determinismE0ELb0ELb0ES3_PlS8_lN6thrust23THRUST_200600_302600_NS4plusIvEElEEDaPvRmT3_T4_T5_mT6_P12ihipStream_tbENKUlT_T0_E_clISt17integral_constantIbLb1EESP_IbLb0EEEEDaSL_SM_EUlSL_E0_NS1_11comp_targetILNS1_3genE10ELNS1_11target_archE1201ELNS1_3gpuE5ELNS1_3repE0EEENS1_30default_config_static_selectorELNS0_4arch9wavefront6targetE1EEEvT1_
	.p2align	8
	.type	_ZN7rocprim17ROCPRIM_400000_NS6detail17trampoline_kernelINS0_14default_configENS1_20scan_config_selectorIlEEZZNS1_9scan_implILNS1_25lookback_scan_determinismE0ELb0ELb0ES3_PlS8_lN6thrust23THRUST_200600_302600_NS4plusIvEElEEDaPvRmT3_T4_T5_mT6_P12ihipStream_tbENKUlT_T0_E_clISt17integral_constantIbLb1EESP_IbLb0EEEEDaSL_SM_EUlSL_E0_NS1_11comp_targetILNS1_3genE10ELNS1_11target_archE1201ELNS1_3gpuE5ELNS1_3repE0EEENS1_30default_config_static_selectorELNS0_4arch9wavefront6targetE1EEEvT1_,@function
_ZN7rocprim17ROCPRIM_400000_NS6detail17trampoline_kernelINS0_14default_configENS1_20scan_config_selectorIlEEZZNS1_9scan_implILNS1_25lookback_scan_determinismE0ELb0ELb0ES3_PlS8_lN6thrust23THRUST_200600_302600_NS4plusIvEElEEDaPvRmT3_T4_T5_mT6_P12ihipStream_tbENKUlT_T0_E_clISt17integral_constantIbLb1EESP_IbLb0EEEEDaSL_SM_EUlSL_E0_NS1_11comp_targetILNS1_3genE10ELNS1_11target_archE1201ELNS1_3gpuE5ELNS1_3repE0EEENS1_30default_config_static_selectorELNS0_4arch9wavefront6targetE1EEEvT1_: ; @_ZN7rocprim17ROCPRIM_400000_NS6detail17trampoline_kernelINS0_14default_configENS1_20scan_config_selectorIlEEZZNS1_9scan_implILNS1_25lookback_scan_determinismE0ELb0ELb0ES3_PlS8_lN6thrust23THRUST_200600_302600_NS4plusIvEElEEDaPvRmT3_T4_T5_mT6_P12ihipStream_tbENKUlT_T0_E_clISt17integral_constantIbLb1EESP_IbLb0EEEEDaSL_SM_EUlSL_E0_NS1_11comp_targetILNS1_3genE10ELNS1_11target_archE1201ELNS1_3gpuE5ELNS1_3repE0EEENS1_30default_config_static_selectorELNS0_4arch9wavefront6targetE1EEEvT1_
; %bb.0:
	.section	.rodata,"a",@progbits
	.p2align	6, 0x0
	.amdhsa_kernel _ZN7rocprim17ROCPRIM_400000_NS6detail17trampoline_kernelINS0_14default_configENS1_20scan_config_selectorIlEEZZNS1_9scan_implILNS1_25lookback_scan_determinismE0ELb0ELb0ES3_PlS8_lN6thrust23THRUST_200600_302600_NS4plusIvEElEEDaPvRmT3_T4_T5_mT6_P12ihipStream_tbENKUlT_T0_E_clISt17integral_constantIbLb1EESP_IbLb0EEEEDaSL_SM_EUlSL_E0_NS1_11comp_targetILNS1_3genE10ELNS1_11target_archE1201ELNS1_3gpuE5ELNS1_3repE0EEENS1_30default_config_static_selectorELNS0_4arch9wavefront6targetE1EEEvT1_
		.amdhsa_group_segment_fixed_size 0
		.amdhsa_private_segment_fixed_size 0
		.amdhsa_kernarg_size 40
		.amdhsa_user_sgpr_count 2
		.amdhsa_user_sgpr_dispatch_ptr 0
		.amdhsa_user_sgpr_queue_ptr 0
		.amdhsa_user_sgpr_kernarg_segment_ptr 1
		.amdhsa_user_sgpr_dispatch_id 0
		.amdhsa_user_sgpr_kernarg_preload_length 0
		.amdhsa_user_sgpr_kernarg_preload_offset 0
		.amdhsa_user_sgpr_private_segment_size 0
		.amdhsa_uses_dynamic_stack 0
		.amdhsa_enable_private_segment 0
		.amdhsa_system_sgpr_workgroup_id_x 1
		.amdhsa_system_sgpr_workgroup_id_y 0
		.amdhsa_system_sgpr_workgroup_id_z 0
		.amdhsa_system_sgpr_workgroup_info 0
		.amdhsa_system_vgpr_workitem_id 0
		.amdhsa_next_free_vgpr 1
		.amdhsa_next_free_sgpr 0
		.amdhsa_accum_offset 4
		.amdhsa_reserve_vcc 0
		.amdhsa_float_round_mode_32 0
		.amdhsa_float_round_mode_16_64 0
		.amdhsa_float_denorm_mode_32 3
		.amdhsa_float_denorm_mode_16_64 3
		.amdhsa_dx10_clamp 1
		.amdhsa_ieee_mode 1
		.amdhsa_fp16_overflow 0
		.amdhsa_tg_split 0
		.amdhsa_exception_fp_ieee_invalid_op 0
		.amdhsa_exception_fp_denorm_src 0
		.amdhsa_exception_fp_ieee_div_zero 0
		.amdhsa_exception_fp_ieee_overflow 0
		.amdhsa_exception_fp_ieee_underflow 0
		.amdhsa_exception_fp_ieee_inexact 0
		.amdhsa_exception_int_div_zero 0
	.end_amdhsa_kernel
	.section	.text._ZN7rocprim17ROCPRIM_400000_NS6detail17trampoline_kernelINS0_14default_configENS1_20scan_config_selectorIlEEZZNS1_9scan_implILNS1_25lookback_scan_determinismE0ELb0ELb0ES3_PlS8_lN6thrust23THRUST_200600_302600_NS4plusIvEElEEDaPvRmT3_T4_T5_mT6_P12ihipStream_tbENKUlT_T0_E_clISt17integral_constantIbLb1EESP_IbLb0EEEEDaSL_SM_EUlSL_E0_NS1_11comp_targetILNS1_3genE10ELNS1_11target_archE1201ELNS1_3gpuE5ELNS1_3repE0EEENS1_30default_config_static_selectorELNS0_4arch9wavefront6targetE1EEEvT1_,"axG",@progbits,_ZN7rocprim17ROCPRIM_400000_NS6detail17trampoline_kernelINS0_14default_configENS1_20scan_config_selectorIlEEZZNS1_9scan_implILNS1_25lookback_scan_determinismE0ELb0ELb0ES3_PlS8_lN6thrust23THRUST_200600_302600_NS4plusIvEElEEDaPvRmT3_T4_T5_mT6_P12ihipStream_tbENKUlT_T0_E_clISt17integral_constantIbLb1EESP_IbLb0EEEEDaSL_SM_EUlSL_E0_NS1_11comp_targetILNS1_3genE10ELNS1_11target_archE1201ELNS1_3gpuE5ELNS1_3repE0EEENS1_30default_config_static_selectorELNS0_4arch9wavefront6targetE1EEEvT1_,comdat
.Lfunc_end137:
	.size	_ZN7rocprim17ROCPRIM_400000_NS6detail17trampoline_kernelINS0_14default_configENS1_20scan_config_selectorIlEEZZNS1_9scan_implILNS1_25lookback_scan_determinismE0ELb0ELb0ES3_PlS8_lN6thrust23THRUST_200600_302600_NS4plusIvEElEEDaPvRmT3_T4_T5_mT6_P12ihipStream_tbENKUlT_T0_E_clISt17integral_constantIbLb1EESP_IbLb0EEEEDaSL_SM_EUlSL_E0_NS1_11comp_targetILNS1_3genE10ELNS1_11target_archE1201ELNS1_3gpuE5ELNS1_3repE0EEENS1_30default_config_static_selectorELNS0_4arch9wavefront6targetE1EEEvT1_, .Lfunc_end137-_ZN7rocprim17ROCPRIM_400000_NS6detail17trampoline_kernelINS0_14default_configENS1_20scan_config_selectorIlEEZZNS1_9scan_implILNS1_25lookback_scan_determinismE0ELb0ELb0ES3_PlS8_lN6thrust23THRUST_200600_302600_NS4plusIvEElEEDaPvRmT3_T4_T5_mT6_P12ihipStream_tbENKUlT_T0_E_clISt17integral_constantIbLb1EESP_IbLb0EEEEDaSL_SM_EUlSL_E0_NS1_11comp_targetILNS1_3genE10ELNS1_11target_archE1201ELNS1_3gpuE5ELNS1_3repE0EEENS1_30default_config_static_selectorELNS0_4arch9wavefront6targetE1EEEvT1_
                                        ; -- End function
	.section	.AMDGPU.csdata,"",@progbits
; Kernel info:
; codeLenInByte = 0
; NumSgprs: 6
; NumVgprs: 0
; NumAgprs: 0
; TotalNumVgprs: 0
; ScratchSize: 0
; MemoryBound: 0
; FloatMode: 240
; IeeeMode: 1
; LDSByteSize: 0 bytes/workgroup (compile time only)
; SGPRBlocks: 0
; VGPRBlocks: 0
; NumSGPRsForWavesPerEU: 6
; NumVGPRsForWavesPerEU: 1
; AccumOffset: 4
; Occupancy: 8
; WaveLimiterHint : 0
; COMPUTE_PGM_RSRC2:SCRATCH_EN: 0
; COMPUTE_PGM_RSRC2:USER_SGPR: 2
; COMPUTE_PGM_RSRC2:TRAP_HANDLER: 0
; COMPUTE_PGM_RSRC2:TGID_X_EN: 1
; COMPUTE_PGM_RSRC2:TGID_Y_EN: 0
; COMPUTE_PGM_RSRC2:TGID_Z_EN: 0
; COMPUTE_PGM_RSRC2:TIDIG_COMP_CNT: 0
; COMPUTE_PGM_RSRC3_GFX90A:ACCUM_OFFSET: 0
; COMPUTE_PGM_RSRC3_GFX90A:TG_SPLIT: 0
	.section	.text._ZN7rocprim17ROCPRIM_400000_NS6detail17trampoline_kernelINS0_14default_configENS1_20scan_config_selectorIlEEZZNS1_9scan_implILNS1_25lookback_scan_determinismE0ELb0ELb0ES3_PlS8_lN6thrust23THRUST_200600_302600_NS4plusIvEElEEDaPvRmT3_T4_T5_mT6_P12ihipStream_tbENKUlT_T0_E_clISt17integral_constantIbLb1EESP_IbLb0EEEEDaSL_SM_EUlSL_E0_NS1_11comp_targetILNS1_3genE10ELNS1_11target_archE1200ELNS1_3gpuE4ELNS1_3repE0EEENS1_30default_config_static_selectorELNS0_4arch9wavefront6targetE1EEEvT1_,"axG",@progbits,_ZN7rocprim17ROCPRIM_400000_NS6detail17trampoline_kernelINS0_14default_configENS1_20scan_config_selectorIlEEZZNS1_9scan_implILNS1_25lookback_scan_determinismE0ELb0ELb0ES3_PlS8_lN6thrust23THRUST_200600_302600_NS4plusIvEElEEDaPvRmT3_T4_T5_mT6_P12ihipStream_tbENKUlT_T0_E_clISt17integral_constantIbLb1EESP_IbLb0EEEEDaSL_SM_EUlSL_E0_NS1_11comp_targetILNS1_3genE10ELNS1_11target_archE1200ELNS1_3gpuE4ELNS1_3repE0EEENS1_30default_config_static_selectorELNS0_4arch9wavefront6targetE1EEEvT1_,comdat
	.protected	_ZN7rocprim17ROCPRIM_400000_NS6detail17trampoline_kernelINS0_14default_configENS1_20scan_config_selectorIlEEZZNS1_9scan_implILNS1_25lookback_scan_determinismE0ELb0ELb0ES3_PlS8_lN6thrust23THRUST_200600_302600_NS4plusIvEElEEDaPvRmT3_T4_T5_mT6_P12ihipStream_tbENKUlT_T0_E_clISt17integral_constantIbLb1EESP_IbLb0EEEEDaSL_SM_EUlSL_E0_NS1_11comp_targetILNS1_3genE10ELNS1_11target_archE1200ELNS1_3gpuE4ELNS1_3repE0EEENS1_30default_config_static_selectorELNS0_4arch9wavefront6targetE1EEEvT1_ ; -- Begin function _ZN7rocprim17ROCPRIM_400000_NS6detail17trampoline_kernelINS0_14default_configENS1_20scan_config_selectorIlEEZZNS1_9scan_implILNS1_25lookback_scan_determinismE0ELb0ELb0ES3_PlS8_lN6thrust23THRUST_200600_302600_NS4plusIvEElEEDaPvRmT3_T4_T5_mT6_P12ihipStream_tbENKUlT_T0_E_clISt17integral_constantIbLb1EESP_IbLb0EEEEDaSL_SM_EUlSL_E0_NS1_11comp_targetILNS1_3genE10ELNS1_11target_archE1200ELNS1_3gpuE4ELNS1_3repE0EEENS1_30default_config_static_selectorELNS0_4arch9wavefront6targetE1EEEvT1_
	.globl	_ZN7rocprim17ROCPRIM_400000_NS6detail17trampoline_kernelINS0_14default_configENS1_20scan_config_selectorIlEEZZNS1_9scan_implILNS1_25lookback_scan_determinismE0ELb0ELb0ES3_PlS8_lN6thrust23THRUST_200600_302600_NS4plusIvEElEEDaPvRmT3_T4_T5_mT6_P12ihipStream_tbENKUlT_T0_E_clISt17integral_constantIbLb1EESP_IbLb0EEEEDaSL_SM_EUlSL_E0_NS1_11comp_targetILNS1_3genE10ELNS1_11target_archE1200ELNS1_3gpuE4ELNS1_3repE0EEENS1_30default_config_static_selectorELNS0_4arch9wavefront6targetE1EEEvT1_
	.p2align	8
	.type	_ZN7rocprim17ROCPRIM_400000_NS6detail17trampoline_kernelINS0_14default_configENS1_20scan_config_selectorIlEEZZNS1_9scan_implILNS1_25lookback_scan_determinismE0ELb0ELb0ES3_PlS8_lN6thrust23THRUST_200600_302600_NS4plusIvEElEEDaPvRmT3_T4_T5_mT6_P12ihipStream_tbENKUlT_T0_E_clISt17integral_constantIbLb1EESP_IbLb0EEEEDaSL_SM_EUlSL_E0_NS1_11comp_targetILNS1_3genE10ELNS1_11target_archE1200ELNS1_3gpuE4ELNS1_3repE0EEENS1_30default_config_static_selectorELNS0_4arch9wavefront6targetE1EEEvT1_,@function
_ZN7rocprim17ROCPRIM_400000_NS6detail17trampoline_kernelINS0_14default_configENS1_20scan_config_selectorIlEEZZNS1_9scan_implILNS1_25lookback_scan_determinismE0ELb0ELb0ES3_PlS8_lN6thrust23THRUST_200600_302600_NS4plusIvEElEEDaPvRmT3_T4_T5_mT6_P12ihipStream_tbENKUlT_T0_E_clISt17integral_constantIbLb1EESP_IbLb0EEEEDaSL_SM_EUlSL_E0_NS1_11comp_targetILNS1_3genE10ELNS1_11target_archE1200ELNS1_3gpuE4ELNS1_3repE0EEENS1_30default_config_static_selectorELNS0_4arch9wavefront6targetE1EEEvT1_: ; @_ZN7rocprim17ROCPRIM_400000_NS6detail17trampoline_kernelINS0_14default_configENS1_20scan_config_selectorIlEEZZNS1_9scan_implILNS1_25lookback_scan_determinismE0ELb0ELb0ES3_PlS8_lN6thrust23THRUST_200600_302600_NS4plusIvEElEEDaPvRmT3_T4_T5_mT6_P12ihipStream_tbENKUlT_T0_E_clISt17integral_constantIbLb1EESP_IbLb0EEEEDaSL_SM_EUlSL_E0_NS1_11comp_targetILNS1_3genE10ELNS1_11target_archE1200ELNS1_3gpuE4ELNS1_3repE0EEENS1_30default_config_static_selectorELNS0_4arch9wavefront6targetE1EEEvT1_
; %bb.0:
	.section	.rodata,"a",@progbits
	.p2align	6, 0x0
	.amdhsa_kernel _ZN7rocprim17ROCPRIM_400000_NS6detail17trampoline_kernelINS0_14default_configENS1_20scan_config_selectorIlEEZZNS1_9scan_implILNS1_25lookback_scan_determinismE0ELb0ELb0ES3_PlS8_lN6thrust23THRUST_200600_302600_NS4plusIvEElEEDaPvRmT3_T4_T5_mT6_P12ihipStream_tbENKUlT_T0_E_clISt17integral_constantIbLb1EESP_IbLb0EEEEDaSL_SM_EUlSL_E0_NS1_11comp_targetILNS1_3genE10ELNS1_11target_archE1200ELNS1_3gpuE4ELNS1_3repE0EEENS1_30default_config_static_selectorELNS0_4arch9wavefront6targetE1EEEvT1_
		.amdhsa_group_segment_fixed_size 0
		.amdhsa_private_segment_fixed_size 0
		.amdhsa_kernarg_size 40
		.amdhsa_user_sgpr_count 2
		.amdhsa_user_sgpr_dispatch_ptr 0
		.amdhsa_user_sgpr_queue_ptr 0
		.amdhsa_user_sgpr_kernarg_segment_ptr 1
		.amdhsa_user_sgpr_dispatch_id 0
		.amdhsa_user_sgpr_kernarg_preload_length 0
		.amdhsa_user_sgpr_kernarg_preload_offset 0
		.amdhsa_user_sgpr_private_segment_size 0
		.amdhsa_uses_dynamic_stack 0
		.amdhsa_enable_private_segment 0
		.amdhsa_system_sgpr_workgroup_id_x 1
		.amdhsa_system_sgpr_workgroup_id_y 0
		.amdhsa_system_sgpr_workgroup_id_z 0
		.amdhsa_system_sgpr_workgroup_info 0
		.amdhsa_system_vgpr_workitem_id 0
		.amdhsa_next_free_vgpr 1
		.amdhsa_next_free_sgpr 0
		.amdhsa_accum_offset 4
		.amdhsa_reserve_vcc 0
		.amdhsa_float_round_mode_32 0
		.amdhsa_float_round_mode_16_64 0
		.amdhsa_float_denorm_mode_32 3
		.amdhsa_float_denorm_mode_16_64 3
		.amdhsa_dx10_clamp 1
		.amdhsa_ieee_mode 1
		.amdhsa_fp16_overflow 0
		.amdhsa_tg_split 0
		.amdhsa_exception_fp_ieee_invalid_op 0
		.amdhsa_exception_fp_denorm_src 0
		.amdhsa_exception_fp_ieee_div_zero 0
		.amdhsa_exception_fp_ieee_overflow 0
		.amdhsa_exception_fp_ieee_underflow 0
		.amdhsa_exception_fp_ieee_inexact 0
		.amdhsa_exception_int_div_zero 0
	.end_amdhsa_kernel
	.section	.text._ZN7rocprim17ROCPRIM_400000_NS6detail17trampoline_kernelINS0_14default_configENS1_20scan_config_selectorIlEEZZNS1_9scan_implILNS1_25lookback_scan_determinismE0ELb0ELb0ES3_PlS8_lN6thrust23THRUST_200600_302600_NS4plusIvEElEEDaPvRmT3_T4_T5_mT6_P12ihipStream_tbENKUlT_T0_E_clISt17integral_constantIbLb1EESP_IbLb0EEEEDaSL_SM_EUlSL_E0_NS1_11comp_targetILNS1_3genE10ELNS1_11target_archE1200ELNS1_3gpuE4ELNS1_3repE0EEENS1_30default_config_static_selectorELNS0_4arch9wavefront6targetE1EEEvT1_,"axG",@progbits,_ZN7rocprim17ROCPRIM_400000_NS6detail17trampoline_kernelINS0_14default_configENS1_20scan_config_selectorIlEEZZNS1_9scan_implILNS1_25lookback_scan_determinismE0ELb0ELb0ES3_PlS8_lN6thrust23THRUST_200600_302600_NS4plusIvEElEEDaPvRmT3_T4_T5_mT6_P12ihipStream_tbENKUlT_T0_E_clISt17integral_constantIbLb1EESP_IbLb0EEEEDaSL_SM_EUlSL_E0_NS1_11comp_targetILNS1_3genE10ELNS1_11target_archE1200ELNS1_3gpuE4ELNS1_3repE0EEENS1_30default_config_static_selectorELNS0_4arch9wavefront6targetE1EEEvT1_,comdat
.Lfunc_end138:
	.size	_ZN7rocprim17ROCPRIM_400000_NS6detail17trampoline_kernelINS0_14default_configENS1_20scan_config_selectorIlEEZZNS1_9scan_implILNS1_25lookback_scan_determinismE0ELb0ELb0ES3_PlS8_lN6thrust23THRUST_200600_302600_NS4plusIvEElEEDaPvRmT3_T4_T5_mT6_P12ihipStream_tbENKUlT_T0_E_clISt17integral_constantIbLb1EESP_IbLb0EEEEDaSL_SM_EUlSL_E0_NS1_11comp_targetILNS1_3genE10ELNS1_11target_archE1200ELNS1_3gpuE4ELNS1_3repE0EEENS1_30default_config_static_selectorELNS0_4arch9wavefront6targetE1EEEvT1_, .Lfunc_end138-_ZN7rocprim17ROCPRIM_400000_NS6detail17trampoline_kernelINS0_14default_configENS1_20scan_config_selectorIlEEZZNS1_9scan_implILNS1_25lookback_scan_determinismE0ELb0ELb0ES3_PlS8_lN6thrust23THRUST_200600_302600_NS4plusIvEElEEDaPvRmT3_T4_T5_mT6_P12ihipStream_tbENKUlT_T0_E_clISt17integral_constantIbLb1EESP_IbLb0EEEEDaSL_SM_EUlSL_E0_NS1_11comp_targetILNS1_3genE10ELNS1_11target_archE1200ELNS1_3gpuE4ELNS1_3repE0EEENS1_30default_config_static_selectorELNS0_4arch9wavefront6targetE1EEEvT1_
                                        ; -- End function
	.section	.AMDGPU.csdata,"",@progbits
; Kernel info:
; codeLenInByte = 0
; NumSgprs: 6
; NumVgprs: 0
; NumAgprs: 0
; TotalNumVgprs: 0
; ScratchSize: 0
; MemoryBound: 0
; FloatMode: 240
; IeeeMode: 1
; LDSByteSize: 0 bytes/workgroup (compile time only)
; SGPRBlocks: 0
; VGPRBlocks: 0
; NumSGPRsForWavesPerEU: 6
; NumVGPRsForWavesPerEU: 1
; AccumOffset: 4
; Occupancy: 8
; WaveLimiterHint : 0
; COMPUTE_PGM_RSRC2:SCRATCH_EN: 0
; COMPUTE_PGM_RSRC2:USER_SGPR: 2
; COMPUTE_PGM_RSRC2:TRAP_HANDLER: 0
; COMPUTE_PGM_RSRC2:TGID_X_EN: 1
; COMPUTE_PGM_RSRC2:TGID_Y_EN: 0
; COMPUTE_PGM_RSRC2:TGID_Z_EN: 0
; COMPUTE_PGM_RSRC2:TIDIG_COMP_CNT: 0
; COMPUTE_PGM_RSRC3_GFX90A:ACCUM_OFFSET: 0
; COMPUTE_PGM_RSRC3_GFX90A:TG_SPLIT: 0
	.section	.text._ZN7rocprim17ROCPRIM_400000_NS6detail17trampoline_kernelINS0_14default_configENS1_20scan_config_selectorIlEEZZNS1_9scan_implILNS1_25lookback_scan_determinismE0ELb0ELb0ES3_PlS8_lN6thrust23THRUST_200600_302600_NS4plusIvEElEEDaPvRmT3_T4_T5_mT6_P12ihipStream_tbENKUlT_T0_E_clISt17integral_constantIbLb1EESP_IbLb0EEEEDaSL_SM_EUlSL_E0_NS1_11comp_targetILNS1_3genE9ELNS1_11target_archE1100ELNS1_3gpuE3ELNS1_3repE0EEENS1_30default_config_static_selectorELNS0_4arch9wavefront6targetE1EEEvT1_,"axG",@progbits,_ZN7rocprim17ROCPRIM_400000_NS6detail17trampoline_kernelINS0_14default_configENS1_20scan_config_selectorIlEEZZNS1_9scan_implILNS1_25lookback_scan_determinismE0ELb0ELb0ES3_PlS8_lN6thrust23THRUST_200600_302600_NS4plusIvEElEEDaPvRmT3_T4_T5_mT6_P12ihipStream_tbENKUlT_T0_E_clISt17integral_constantIbLb1EESP_IbLb0EEEEDaSL_SM_EUlSL_E0_NS1_11comp_targetILNS1_3genE9ELNS1_11target_archE1100ELNS1_3gpuE3ELNS1_3repE0EEENS1_30default_config_static_selectorELNS0_4arch9wavefront6targetE1EEEvT1_,comdat
	.protected	_ZN7rocprim17ROCPRIM_400000_NS6detail17trampoline_kernelINS0_14default_configENS1_20scan_config_selectorIlEEZZNS1_9scan_implILNS1_25lookback_scan_determinismE0ELb0ELb0ES3_PlS8_lN6thrust23THRUST_200600_302600_NS4plusIvEElEEDaPvRmT3_T4_T5_mT6_P12ihipStream_tbENKUlT_T0_E_clISt17integral_constantIbLb1EESP_IbLb0EEEEDaSL_SM_EUlSL_E0_NS1_11comp_targetILNS1_3genE9ELNS1_11target_archE1100ELNS1_3gpuE3ELNS1_3repE0EEENS1_30default_config_static_selectorELNS0_4arch9wavefront6targetE1EEEvT1_ ; -- Begin function _ZN7rocprim17ROCPRIM_400000_NS6detail17trampoline_kernelINS0_14default_configENS1_20scan_config_selectorIlEEZZNS1_9scan_implILNS1_25lookback_scan_determinismE0ELb0ELb0ES3_PlS8_lN6thrust23THRUST_200600_302600_NS4plusIvEElEEDaPvRmT3_T4_T5_mT6_P12ihipStream_tbENKUlT_T0_E_clISt17integral_constantIbLb1EESP_IbLb0EEEEDaSL_SM_EUlSL_E0_NS1_11comp_targetILNS1_3genE9ELNS1_11target_archE1100ELNS1_3gpuE3ELNS1_3repE0EEENS1_30default_config_static_selectorELNS0_4arch9wavefront6targetE1EEEvT1_
	.globl	_ZN7rocprim17ROCPRIM_400000_NS6detail17trampoline_kernelINS0_14default_configENS1_20scan_config_selectorIlEEZZNS1_9scan_implILNS1_25lookback_scan_determinismE0ELb0ELb0ES3_PlS8_lN6thrust23THRUST_200600_302600_NS4plusIvEElEEDaPvRmT3_T4_T5_mT6_P12ihipStream_tbENKUlT_T0_E_clISt17integral_constantIbLb1EESP_IbLb0EEEEDaSL_SM_EUlSL_E0_NS1_11comp_targetILNS1_3genE9ELNS1_11target_archE1100ELNS1_3gpuE3ELNS1_3repE0EEENS1_30default_config_static_selectorELNS0_4arch9wavefront6targetE1EEEvT1_
	.p2align	8
	.type	_ZN7rocprim17ROCPRIM_400000_NS6detail17trampoline_kernelINS0_14default_configENS1_20scan_config_selectorIlEEZZNS1_9scan_implILNS1_25lookback_scan_determinismE0ELb0ELb0ES3_PlS8_lN6thrust23THRUST_200600_302600_NS4plusIvEElEEDaPvRmT3_T4_T5_mT6_P12ihipStream_tbENKUlT_T0_E_clISt17integral_constantIbLb1EESP_IbLb0EEEEDaSL_SM_EUlSL_E0_NS1_11comp_targetILNS1_3genE9ELNS1_11target_archE1100ELNS1_3gpuE3ELNS1_3repE0EEENS1_30default_config_static_selectorELNS0_4arch9wavefront6targetE1EEEvT1_,@function
_ZN7rocprim17ROCPRIM_400000_NS6detail17trampoline_kernelINS0_14default_configENS1_20scan_config_selectorIlEEZZNS1_9scan_implILNS1_25lookback_scan_determinismE0ELb0ELb0ES3_PlS8_lN6thrust23THRUST_200600_302600_NS4plusIvEElEEDaPvRmT3_T4_T5_mT6_P12ihipStream_tbENKUlT_T0_E_clISt17integral_constantIbLb1EESP_IbLb0EEEEDaSL_SM_EUlSL_E0_NS1_11comp_targetILNS1_3genE9ELNS1_11target_archE1100ELNS1_3gpuE3ELNS1_3repE0EEENS1_30default_config_static_selectorELNS0_4arch9wavefront6targetE1EEEvT1_: ; @_ZN7rocprim17ROCPRIM_400000_NS6detail17trampoline_kernelINS0_14default_configENS1_20scan_config_selectorIlEEZZNS1_9scan_implILNS1_25lookback_scan_determinismE0ELb0ELb0ES3_PlS8_lN6thrust23THRUST_200600_302600_NS4plusIvEElEEDaPvRmT3_T4_T5_mT6_P12ihipStream_tbENKUlT_T0_E_clISt17integral_constantIbLb1EESP_IbLb0EEEEDaSL_SM_EUlSL_E0_NS1_11comp_targetILNS1_3genE9ELNS1_11target_archE1100ELNS1_3gpuE3ELNS1_3repE0EEENS1_30default_config_static_selectorELNS0_4arch9wavefront6targetE1EEEvT1_
; %bb.0:
	.section	.rodata,"a",@progbits
	.p2align	6, 0x0
	.amdhsa_kernel _ZN7rocprim17ROCPRIM_400000_NS6detail17trampoline_kernelINS0_14default_configENS1_20scan_config_selectorIlEEZZNS1_9scan_implILNS1_25lookback_scan_determinismE0ELb0ELb0ES3_PlS8_lN6thrust23THRUST_200600_302600_NS4plusIvEElEEDaPvRmT3_T4_T5_mT6_P12ihipStream_tbENKUlT_T0_E_clISt17integral_constantIbLb1EESP_IbLb0EEEEDaSL_SM_EUlSL_E0_NS1_11comp_targetILNS1_3genE9ELNS1_11target_archE1100ELNS1_3gpuE3ELNS1_3repE0EEENS1_30default_config_static_selectorELNS0_4arch9wavefront6targetE1EEEvT1_
		.amdhsa_group_segment_fixed_size 0
		.amdhsa_private_segment_fixed_size 0
		.amdhsa_kernarg_size 40
		.amdhsa_user_sgpr_count 2
		.amdhsa_user_sgpr_dispatch_ptr 0
		.amdhsa_user_sgpr_queue_ptr 0
		.amdhsa_user_sgpr_kernarg_segment_ptr 1
		.amdhsa_user_sgpr_dispatch_id 0
		.amdhsa_user_sgpr_kernarg_preload_length 0
		.amdhsa_user_sgpr_kernarg_preload_offset 0
		.amdhsa_user_sgpr_private_segment_size 0
		.amdhsa_uses_dynamic_stack 0
		.amdhsa_enable_private_segment 0
		.amdhsa_system_sgpr_workgroup_id_x 1
		.amdhsa_system_sgpr_workgroup_id_y 0
		.amdhsa_system_sgpr_workgroup_id_z 0
		.amdhsa_system_sgpr_workgroup_info 0
		.amdhsa_system_vgpr_workitem_id 0
		.amdhsa_next_free_vgpr 1
		.amdhsa_next_free_sgpr 0
		.amdhsa_accum_offset 4
		.amdhsa_reserve_vcc 0
		.amdhsa_float_round_mode_32 0
		.amdhsa_float_round_mode_16_64 0
		.amdhsa_float_denorm_mode_32 3
		.amdhsa_float_denorm_mode_16_64 3
		.amdhsa_dx10_clamp 1
		.amdhsa_ieee_mode 1
		.amdhsa_fp16_overflow 0
		.amdhsa_tg_split 0
		.amdhsa_exception_fp_ieee_invalid_op 0
		.amdhsa_exception_fp_denorm_src 0
		.amdhsa_exception_fp_ieee_div_zero 0
		.amdhsa_exception_fp_ieee_overflow 0
		.amdhsa_exception_fp_ieee_underflow 0
		.amdhsa_exception_fp_ieee_inexact 0
		.amdhsa_exception_int_div_zero 0
	.end_amdhsa_kernel
	.section	.text._ZN7rocprim17ROCPRIM_400000_NS6detail17trampoline_kernelINS0_14default_configENS1_20scan_config_selectorIlEEZZNS1_9scan_implILNS1_25lookback_scan_determinismE0ELb0ELb0ES3_PlS8_lN6thrust23THRUST_200600_302600_NS4plusIvEElEEDaPvRmT3_T4_T5_mT6_P12ihipStream_tbENKUlT_T0_E_clISt17integral_constantIbLb1EESP_IbLb0EEEEDaSL_SM_EUlSL_E0_NS1_11comp_targetILNS1_3genE9ELNS1_11target_archE1100ELNS1_3gpuE3ELNS1_3repE0EEENS1_30default_config_static_selectorELNS0_4arch9wavefront6targetE1EEEvT1_,"axG",@progbits,_ZN7rocprim17ROCPRIM_400000_NS6detail17trampoline_kernelINS0_14default_configENS1_20scan_config_selectorIlEEZZNS1_9scan_implILNS1_25lookback_scan_determinismE0ELb0ELb0ES3_PlS8_lN6thrust23THRUST_200600_302600_NS4plusIvEElEEDaPvRmT3_T4_T5_mT6_P12ihipStream_tbENKUlT_T0_E_clISt17integral_constantIbLb1EESP_IbLb0EEEEDaSL_SM_EUlSL_E0_NS1_11comp_targetILNS1_3genE9ELNS1_11target_archE1100ELNS1_3gpuE3ELNS1_3repE0EEENS1_30default_config_static_selectorELNS0_4arch9wavefront6targetE1EEEvT1_,comdat
.Lfunc_end139:
	.size	_ZN7rocprim17ROCPRIM_400000_NS6detail17trampoline_kernelINS0_14default_configENS1_20scan_config_selectorIlEEZZNS1_9scan_implILNS1_25lookback_scan_determinismE0ELb0ELb0ES3_PlS8_lN6thrust23THRUST_200600_302600_NS4plusIvEElEEDaPvRmT3_T4_T5_mT6_P12ihipStream_tbENKUlT_T0_E_clISt17integral_constantIbLb1EESP_IbLb0EEEEDaSL_SM_EUlSL_E0_NS1_11comp_targetILNS1_3genE9ELNS1_11target_archE1100ELNS1_3gpuE3ELNS1_3repE0EEENS1_30default_config_static_selectorELNS0_4arch9wavefront6targetE1EEEvT1_, .Lfunc_end139-_ZN7rocprim17ROCPRIM_400000_NS6detail17trampoline_kernelINS0_14default_configENS1_20scan_config_selectorIlEEZZNS1_9scan_implILNS1_25lookback_scan_determinismE0ELb0ELb0ES3_PlS8_lN6thrust23THRUST_200600_302600_NS4plusIvEElEEDaPvRmT3_T4_T5_mT6_P12ihipStream_tbENKUlT_T0_E_clISt17integral_constantIbLb1EESP_IbLb0EEEEDaSL_SM_EUlSL_E0_NS1_11comp_targetILNS1_3genE9ELNS1_11target_archE1100ELNS1_3gpuE3ELNS1_3repE0EEENS1_30default_config_static_selectorELNS0_4arch9wavefront6targetE1EEEvT1_
                                        ; -- End function
	.section	.AMDGPU.csdata,"",@progbits
; Kernel info:
; codeLenInByte = 0
; NumSgprs: 6
; NumVgprs: 0
; NumAgprs: 0
; TotalNumVgprs: 0
; ScratchSize: 0
; MemoryBound: 0
; FloatMode: 240
; IeeeMode: 1
; LDSByteSize: 0 bytes/workgroup (compile time only)
; SGPRBlocks: 0
; VGPRBlocks: 0
; NumSGPRsForWavesPerEU: 6
; NumVGPRsForWavesPerEU: 1
; AccumOffset: 4
; Occupancy: 8
; WaveLimiterHint : 0
; COMPUTE_PGM_RSRC2:SCRATCH_EN: 0
; COMPUTE_PGM_RSRC2:USER_SGPR: 2
; COMPUTE_PGM_RSRC2:TRAP_HANDLER: 0
; COMPUTE_PGM_RSRC2:TGID_X_EN: 1
; COMPUTE_PGM_RSRC2:TGID_Y_EN: 0
; COMPUTE_PGM_RSRC2:TGID_Z_EN: 0
; COMPUTE_PGM_RSRC2:TIDIG_COMP_CNT: 0
; COMPUTE_PGM_RSRC3_GFX90A:ACCUM_OFFSET: 0
; COMPUTE_PGM_RSRC3_GFX90A:TG_SPLIT: 0
	.section	.text._ZN7rocprim17ROCPRIM_400000_NS6detail17trampoline_kernelINS0_14default_configENS1_20scan_config_selectorIlEEZZNS1_9scan_implILNS1_25lookback_scan_determinismE0ELb0ELb0ES3_PlS8_lN6thrust23THRUST_200600_302600_NS4plusIvEElEEDaPvRmT3_T4_T5_mT6_P12ihipStream_tbENKUlT_T0_E_clISt17integral_constantIbLb1EESP_IbLb0EEEEDaSL_SM_EUlSL_E0_NS1_11comp_targetILNS1_3genE8ELNS1_11target_archE1030ELNS1_3gpuE2ELNS1_3repE0EEENS1_30default_config_static_selectorELNS0_4arch9wavefront6targetE1EEEvT1_,"axG",@progbits,_ZN7rocprim17ROCPRIM_400000_NS6detail17trampoline_kernelINS0_14default_configENS1_20scan_config_selectorIlEEZZNS1_9scan_implILNS1_25lookback_scan_determinismE0ELb0ELb0ES3_PlS8_lN6thrust23THRUST_200600_302600_NS4plusIvEElEEDaPvRmT3_T4_T5_mT6_P12ihipStream_tbENKUlT_T0_E_clISt17integral_constantIbLb1EESP_IbLb0EEEEDaSL_SM_EUlSL_E0_NS1_11comp_targetILNS1_3genE8ELNS1_11target_archE1030ELNS1_3gpuE2ELNS1_3repE0EEENS1_30default_config_static_selectorELNS0_4arch9wavefront6targetE1EEEvT1_,comdat
	.protected	_ZN7rocprim17ROCPRIM_400000_NS6detail17trampoline_kernelINS0_14default_configENS1_20scan_config_selectorIlEEZZNS1_9scan_implILNS1_25lookback_scan_determinismE0ELb0ELb0ES3_PlS8_lN6thrust23THRUST_200600_302600_NS4plusIvEElEEDaPvRmT3_T4_T5_mT6_P12ihipStream_tbENKUlT_T0_E_clISt17integral_constantIbLb1EESP_IbLb0EEEEDaSL_SM_EUlSL_E0_NS1_11comp_targetILNS1_3genE8ELNS1_11target_archE1030ELNS1_3gpuE2ELNS1_3repE0EEENS1_30default_config_static_selectorELNS0_4arch9wavefront6targetE1EEEvT1_ ; -- Begin function _ZN7rocprim17ROCPRIM_400000_NS6detail17trampoline_kernelINS0_14default_configENS1_20scan_config_selectorIlEEZZNS1_9scan_implILNS1_25lookback_scan_determinismE0ELb0ELb0ES3_PlS8_lN6thrust23THRUST_200600_302600_NS4plusIvEElEEDaPvRmT3_T4_T5_mT6_P12ihipStream_tbENKUlT_T0_E_clISt17integral_constantIbLb1EESP_IbLb0EEEEDaSL_SM_EUlSL_E0_NS1_11comp_targetILNS1_3genE8ELNS1_11target_archE1030ELNS1_3gpuE2ELNS1_3repE0EEENS1_30default_config_static_selectorELNS0_4arch9wavefront6targetE1EEEvT1_
	.globl	_ZN7rocprim17ROCPRIM_400000_NS6detail17trampoline_kernelINS0_14default_configENS1_20scan_config_selectorIlEEZZNS1_9scan_implILNS1_25lookback_scan_determinismE0ELb0ELb0ES3_PlS8_lN6thrust23THRUST_200600_302600_NS4plusIvEElEEDaPvRmT3_T4_T5_mT6_P12ihipStream_tbENKUlT_T0_E_clISt17integral_constantIbLb1EESP_IbLb0EEEEDaSL_SM_EUlSL_E0_NS1_11comp_targetILNS1_3genE8ELNS1_11target_archE1030ELNS1_3gpuE2ELNS1_3repE0EEENS1_30default_config_static_selectorELNS0_4arch9wavefront6targetE1EEEvT1_
	.p2align	8
	.type	_ZN7rocprim17ROCPRIM_400000_NS6detail17trampoline_kernelINS0_14default_configENS1_20scan_config_selectorIlEEZZNS1_9scan_implILNS1_25lookback_scan_determinismE0ELb0ELb0ES3_PlS8_lN6thrust23THRUST_200600_302600_NS4plusIvEElEEDaPvRmT3_T4_T5_mT6_P12ihipStream_tbENKUlT_T0_E_clISt17integral_constantIbLb1EESP_IbLb0EEEEDaSL_SM_EUlSL_E0_NS1_11comp_targetILNS1_3genE8ELNS1_11target_archE1030ELNS1_3gpuE2ELNS1_3repE0EEENS1_30default_config_static_selectorELNS0_4arch9wavefront6targetE1EEEvT1_,@function
_ZN7rocprim17ROCPRIM_400000_NS6detail17trampoline_kernelINS0_14default_configENS1_20scan_config_selectorIlEEZZNS1_9scan_implILNS1_25lookback_scan_determinismE0ELb0ELb0ES3_PlS8_lN6thrust23THRUST_200600_302600_NS4plusIvEElEEDaPvRmT3_T4_T5_mT6_P12ihipStream_tbENKUlT_T0_E_clISt17integral_constantIbLb1EESP_IbLb0EEEEDaSL_SM_EUlSL_E0_NS1_11comp_targetILNS1_3genE8ELNS1_11target_archE1030ELNS1_3gpuE2ELNS1_3repE0EEENS1_30default_config_static_selectorELNS0_4arch9wavefront6targetE1EEEvT1_: ; @_ZN7rocprim17ROCPRIM_400000_NS6detail17trampoline_kernelINS0_14default_configENS1_20scan_config_selectorIlEEZZNS1_9scan_implILNS1_25lookback_scan_determinismE0ELb0ELb0ES3_PlS8_lN6thrust23THRUST_200600_302600_NS4plusIvEElEEDaPvRmT3_T4_T5_mT6_P12ihipStream_tbENKUlT_T0_E_clISt17integral_constantIbLb1EESP_IbLb0EEEEDaSL_SM_EUlSL_E0_NS1_11comp_targetILNS1_3genE8ELNS1_11target_archE1030ELNS1_3gpuE2ELNS1_3repE0EEENS1_30default_config_static_selectorELNS0_4arch9wavefront6targetE1EEEvT1_
; %bb.0:
	.section	.rodata,"a",@progbits
	.p2align	6, 0x0
	.amdhsa_kernel _ZN7rocprim17ROCPRIM_400000_NS6detail17trampoline_kernelINS0_14default_configENS1_20scan_config_selectorIlEEZZNS1_9scan_implILNS1_25lookback_scan_determinismE0ELb0ELb0ES3_PlS8_lN6thrust23THRUST_200600_302600_NS4plusIvEElEEDaPvRmT3_T4_T5_mT6_P12ihipStream_tbENKUlT_T0_E_clISt17integral_constantIbLb1EESP_IbLb0EEEEDaSL_SM_EUlSL_E0_NS1_11comp_targetILNS1_3genE8ELNS1_11target_archE1030ELNS1_3gpuE2ELNS1_3repE0EEENS1_30default_config_static_selectorELNS0_4arch9wavefront6targetE1EEEvT1_
		.amdhsa_group_segment_fixed_size 0
		.amdhsa_private_segment_fixed_size 0
		.amdhsa_kernarg_size 40
		.amdhsa_user_sgpr_count 2
		.amdhsa_user_sgpr_dispatch_ptr 0
		.amdhsa_user_sgpr_queue_ptr 0
		.amdhsa_user_sgpr_kernarg_segment_ptr 1
		.amdhsa_user_sgpr_dispatch_id 0
		.amdhsa_user_sgpr_kernarg_preload_length 0
		.amdhsa_user_sgpr_kernarg_preload_offset 0
		.amdhsa_user_sgpr_private_segment_size 0
		.amdhsa_uses_dynamic_stack 0
		.amdhsa_enable_private_segment 0
		.amdhsa_system_sgpr_workgroup_id_x 1
		.amdhsa_system_sgpr_workgroup_id_y 0
		.amdhsa_system_sgpr_workgroup_id_z 0
		.amdhsa_system_sgpr_workgroup_info 0
		.amdhsa_system_vgpr_workitem_id 0
		.amdhsa_next_free_vgpr 1
		.amdhsa_next_free_sgpr 0
		.amdhsa_accum_offset 4
		.amdhsa_reserve_vcc 0
		.amdhsa_float_round_mode_32 0
		.amdhsa_float_round_mode_16_64 0
		.amdhsa_float_denorm_mode_32 3
		.amdhsa_float_denorm_mode_16_64 3
		.amdhsa_dx10_clamp 1
		.amdhsa_ieee_mode 1
		.amdhsa_fp16_overflow 0
		.amdhsa_tg_split 0
		.amdhsa_exception_fp_ieee_invalid_op 0
		.amdhsa_exception_fp_denorm_src 0
		.amdhsa_exception_fp_ieee_div_zero 0
		.amdhsa_exception_fp_ieee_overflow 0
		.amdhsa_exception_fp_ieee_underflow 0
		.amdhsa_exception_fp_ieee_inexact 0
		.amdhsa_exception_int_div_zero 0
	.end_amdhsa_kernel
	.section	.text._ZN7rocprim17ROCPRIM_400000_NS6detail17trampoline_kernelINS0_14default_configENS1_20scan_config_selectorIlEEZZNS1_9scan_implILNS1_25lookback_scan_determinismE0ELb0ELb0ES3_PlS8_lN6thrust23THRUST_200600_302600_NS4plusIvEElEEDaPvRmT3_T4_T5_mT6_P12ihipStream_tbENKUlT_T0_E_clISt17integral_constantIbLb1EESP_IbLb0EEEEDaSL_SM_EUlSL_E0_NS1_11comp_targetILNS1_3genE8ELNS1_11target_archE1030ELNS1_3gpuE2ELNS1_3repE0EEENS1_30default_config_static_selectorELNS0_4arch9wavefront6targetE1EEEvT1_,"axG",@progbits,_ZN7rocprim17ROCPRIM_400000_NS6detail17trampoline_kernelINS0_14default_configENS1_20scan_config_selectorIlEEZZNS1_9scan_implILNS1_25lookback_scan_determinismE0ELb0ELb0ES3_PlS8_lN6thrust23THRUST_200600_302600_NS4plusIvEElEEDaPvRmT3_T4_T5_mT6_P12ihipStream_tbENKUlT_T0_E_clISt17integral_constantIbLb1EESP_IbLb0EEEEDaSL_SM_EUlSL_E0_NS1_11comp_targetILNS1_3genE8ELNS1_11target_archE1030ELNS1_3gpuE2ELNS1_3repE0EEENS1_30default_config_static_selectorELNS0_4arch9wavefront6targetE1EEEvT1_,comdat
.Lfunc_end140:
	.size	_ZN7rocprim17ROCPRIM_400000_NS6detail17trampoline_kernelINS0_14default_configENS1_20scan_config_selectorIlEEZZNS1_9scan_implILNS1_25lookback_scan_determinismE0ELb0ELb0ES3_PlS8_lN6thrust23THRUST_200600_302600_NS4plusIvEElEEDaPvRmT3_T4_T5_mT6_P12ihipStream_tbENKUlT_T0_E_clISt17integral_constantIbLb1EESP_IbLb0EEEEDaSL_SM_EUlSL_E0_NS1_11comp_targetILNS1_3genE8ELNS1_11target_archE1030ELNS1_3gpuE2ELNS1_3repE0EEENS1_30default_config_static_selectorELNS0_4arch9wavefront6targetE1EEEvT1_, .Lfunc_end140-_ZN7rocprim17ROCPRIM_400000_NS6detail17trampoline_kernelINS0_14default_configENS1_20scan_config_selectorIlEEZZNS1_9scan_implILNS1_25lookback_scan_determinismE0ELb0ELb0ES3_PlS8_lN6thrust23THRUST_200600_302600_NS4plusIvEElEEDaPvRmT3_T4_T5_mT6_P12ihipStream_tbENKUlT_T0_E_clISt17integral_constantIbLb1EESP_IbLb0EEEEDaSL_SM_EUlSL_E0_NS1_11comp_targetILNS1_3genE8ELNS1_11target_archE1030ELNS1_3gpuE2ELNS1_3repE0EEENS1_30default_config_static_selectorELNS0_4arch9wavefront6targetE1EEEvT1_
                                        ; -- End function
	.section	.AMDGPU.csdata,"",@progbits
; Kernel info:
; codeLenInByte = 0
; NumSgprs: 6
; NumVgprs: 0
; NumAgprs: 0
; TotalNumVgprs: 0
; ScratchSize: 0
; MemoryBound: 0
; FloatMode: 240
; IeeeMode: 1
; LDSByteSize: 0 bytes/workgroup (compile time only)
; SGPRBlocks: 0
; VGPRBlocks: 0
; NumSGPRsForWavesPerEU: 6
; NumVGPRsForWavesPerEU: 1
; AccumOffset: 4
; Occupancy: 8
; WaveLimiterHint : 0
; COMPUTE_PGM_RSRC2:SCRATCH_EN: 0
; COMPUTE_PGM_RSRC2:USER_SGPR: 2
; COMPUTE_PGM_RSRC2:TRAP_HANDLER: 0
; COMPUTE_PGM_RSRC2:TGID_X_EN: 1
; COMPUTE_PGM_RSRC2:TGID_Y_EN: 0
; COMPUTE_PGM_RSRC2:TGID_Z_EN: 0
; COMPUTE_PGM_RSRC2:TIDIG_COMP_CNT: 0
; COMPUTE_PGM_RSRC3_GFX90A:ACCUM_OFFSET: 0
; COMPUTE_PGM_RSRC3_GFX90A:TG_SPLIT: 0
	.section	.text._ZN7rocprim17ROCPRIM_400000_NS6detail31init_lookback_scan_state_kernelINS1_19lookback_scan_stateIlLb0ELb1EEENS1_16block_id_wrapperIjLb1EEEEEvT_jT0_jPNS7_10value_typeE,"axG",@progbits,_ZN7rocprim17ROCPRIM_400000_NS6detail31init_lookback_scan_state_kernelINS1_19lookback_scan_stateIlLb0ELb1EEENS1_16block_id_wrapperIjLb1EEEEEvT_jT0_jPNS7_10value_typeE,comdat
	.protected	_ZN7rocprim17ROCPRIM_400000_NS6detail31init_lookback_scan_state_kernelINS1_19lookback_scan_stateIlLb0ELb1EEENS1_16block_id_wrapperIjLb1EEEEEvT_jT0_jPNS7_10value_typeE ; -- Begin function _ZN7rocprim17ROCPRIM_400000_NS6detail31init_lookback_scan_state_kernelINS1_19lookback_scan_stateIlLb0ELb1EEENS1_16block_id_wrapperIjLb1EEEEEvT_jT0_jPNS7_10value_typeE
	.globl	_ZN7rocprim17ROCPRIM_400000_NS6detail31init_lookback_scan_state_kernelINS1_19lookback_scan_stateIlLb0ELb1EEENS1_16block_id_wrapperIjLb1EEEEEvT_jT0_jPNS7_10value_typeE
	.p2align	8
	.type	_ZN7rocprim17ROCPRIM_400000_NS6detail31init_lookback_scan_state_kernelINS1_19lookback_scan_stateIlLb0ELb1EEENS1_16block_id_wrapperIjLb1EEEEEvT_jT0_jPNS7_10value_typeE,@function
_ZN7rocprim17ROCPRIM_400000_NS6detail31init_lookback_scan_state_kernelINS1_19lookback_scan_stateIlLb0ELb1EEENS1_16block_id_wrapperIjLb1EEEEEvT_jT0_jPNS7_10value_typeE: ; @_ZN7rocprim17ROCPRIM_400000_NS6detail31init_lookback_scan_state_kernelINS1_19lookback_scan_stateIlLb0ELb1EEENS1_16block_id_wrapperIjLb1EEEEEvT_jT0_jPNS7_10value_typeE
; %bb.0:
	s_load_dword s3, s[0:1], 0x34
	s_load_dwordx2 s[6:7], s[0:1], 0x20
	s_load_dwordx2 s[4:5], s[0:1], 0x0
	s_load_dword s14, s[0:1], 0x8
	s_waitcnt lgkmcnt(0)
	s_and_b32 s3, s3, 0xffff
	s_mul_i32 s2, s2, s3
	s_cmp_eq_u64 s[6:7], 0
	v_add_u32_e32 v0, s2, v0
	s_cbranch_scc1 .LBB141_8
; %bb.1:
	s_load_dword s8, s[0:1], 0x18
	s_mov_b32 s9, 0
	s_waitcnt lgkmcnt(0)
	s_cmp_lt_u32 s8, s14
	s_cselect_b32 s2, s8, 0
	v_cmp_eq_u32_e32 vcc, s2, v0
	s_and_saveexec_b64 s[2:3], vcc
	s_cbranch_execz .LBB141_7
; %bb.2:
	s_add_i32 s8, s8, 64
	s_lshl_b64 s[8:9], s[8:9], 4
	s_add_u32 s12, s4, s8
	s_addc_u32 s13, s5, s9
	v_mov_b64_e32 v[2:3], s[12:13]
	;;#ASMSTART
	global_load_dwordx4 v[2:5], v[2:3] off sc1	
s_waitcnt vmcnt(0)
	;;#ASMEND
	v_mov_b32_e32 v7, 0
	v_and_b32_e32 v6, 0xff, v4
	s_mov_b64 s[10:11], 0
	v_cmp_eq_u64_e32 vcc, 0, v[6:7]
	s_and_saveexec_b64 s[8:9], vcc
	s_cbranch_execz .LBB141_6
; %bb.3:
	v_mov_b64_e32 v[8:9], s[12:13]
.LBB141_4:                              ; =>This Inner Loop Header: Depth=1
	;;#ASMSTART
	global_load_dwordx4 v[2:5], v[8:9] off sc1	
s_waitcnt vmcnt(0)
	;;#ASMEND
	s_nop 0
	v_and_b32_e32 v6, 0xff, v4
	v_cmp_ne_u64_e32 vcc, 0, v[6:7]
	s_or_b64 s[10:11], vcc, s[10:11]
	s_andn2_b64 exec, exec, s[10:11]
	s_cbranch_execnz .LBB141_4
; %bb.5:
	s_or_b64 exec, exec, s[10:11]
.LBB141_6:
	s_or_b64 exec, exec, s[8:9]
	v_mov_b32_e32 v1, 0
	global_store_dwordx2 v1, v[2:3], s[6:7]
.LBB141_7:
	s_or_b64 exec, exec, s[2:3]
.LBB141_8:
	v_cmp_eq_u32_e32 vcc, 0, v0
	s_and_saveexec_b64 s[2:3], vcc
	s_cbranch_execnz .LBB141_12
; %bb.9:
	s_or_b64 exec, exec, s[2:3]
	v_cmp_gt_u32_e32 vcc, s14, v0
	s_and_saveexec_b64 s[0:1], vcc
	s_cbranch_execnz .LBB141_13
.LBB141_10:
	s_or_b64 exec, exec, s[0:1]
	v_cmp_gt_u32_e32 vcc, 64, v0
	s_and_saveexec_b64 s[0:1], vcc
	s_cbranch_execnz .LBB141_14
.LBB141_11:
	s_endpgm
.LBB141_12:
	s_load_dwordx2 s[0:1], s[0:1], 0x10
	v_mov_b32_e32 v1, 0
	s_waitcnt lgkmcnt(0)
	global_store_dword v1, v1, s[0:1]
	s_or_b64 exec, exec, s[2:3]
	v_cmp_gt_u32_e32 vcc, s14, v0
	s_and_saveexec_b64 s[0:1], vcc
	s_cbranch_execz .LBB141_10
.LBB141_13:
	v_add_u32_e32 v2, 64, v0
	v_mov_b32_e32 v3, 0
	v_lshl_add_u64 v[6:7], v[2:3], 4, s[4:5]
	v_mov_b32_e32 v2, v3
	v_mov_b32_e32 v4, v3
	;; [unrolled: 1-line block ×3, first 2 shown]
	global_store_dwordx4 v[6:7], v[2:5], off
	s_or_b64 exec, exec, s[0:1]
	v_cmp_gt_u32_e32 vcc, 64, v0
	s_and_saveexec_b64 s[0:1], vcc
	s_cbranch_execz .LBB141_11
.LBB141_14:
	v_mov_b32_e32 v1, 0
	v_lshl_add_u64 v[4:5], v[0:1], 4, s[4:5]
	v_mov_b32_e32 v2, 0xff
	v_mov_b32_e32 v0, v1
	;; [unrolled: 1-line block ×3, first 2 shown]
	global_store_dwordx4 v[4:5], v[0:3], off
	s_endpgm
	.section	.rodata,"a",@progbits
	.p2align	6, 0x0
	.amdhsa_kernel _ZN7rocprim17ROCPRIM_400000_NS6detail31init_lookback_scan_state_kernelINS1_19lookback_scan_stateIlLb0ELb1EEENS1_16block_id_wrapperIjLb1EEEEEvT_jT0_jPNS7_10value_typeE
		.amdhsa_group_segment_fixed_size 0
		.amdhsa_private_segment_fixed_size 0
		.amdhsa_kernarg_size 296
		.amdhsa_user_sgpr_count 2
		.amdhsa_user_sgpr_dispatch_ptr 0
		.amdhsa_user_sgpr_queue_ptr 0
		.amdhsa_user_sgpr_kernarg_segment_ptr 1
		.amdhsa_user_sgpr_dispatch_id 0
		.amdhsa_user_sgpr_kernarg_preload_length 0
		.amdhsa_user_sgpr_kernarg_preload_offset 0
		.amdhsa_user_sgpr_private_segment_size 0
		.amdhsa_uses_dynamic_stack 0
		.amdhsa_enable_private_segment 0
		.amdhsa_system_sgpr_workgroup_id_x 1
		.amdhsa_system_sgpr_workgroup_id_y 0
		.amdhsa_system_sgpr_workgroup_id_z 0
		.amdhsa_system_sgpr_workgroup_info 0
		.amdhsa_system_vgpr_workitem_id 0
		.amdhsa_next_free_vgpr 10
		.amdhsa_next_free_sgpr 15
		.amdhsa_accum_offset 12
		.amdhsa_reserve_vcc 1
		.amdhsa_float_round_mode_32 0
		.amdhsa_float_round_mode_16_64 0
		.amdhsa_float_denorm_mode_32 3
		.amdhsa_float_denorm_mode_16_64 3
		.amdhsa_dx10_clamp 1
		.amdhsa_ieee_mode 1
		.amdhsa_fp16_overflow 0
		.amdhsa_tg_split 0
		.amdhsa_exception_fp_ieee_invalid_op 0
		.amdhsa_exception_fp_denorm_src 0
		.amdhsa_exception_fp_ieee_div_zero 0
		.amdhsa_exception_fp_ieee_overflow 0
		.amdhsa_exception_fp_ieee_underflow 0
		.amdhsa_exception_fp_ieee_inexact 0
		.amdhsa_exception_int_div_zero 0
	.end_amdhsa_kernel
	.section	.text._ZN7rocprim17ROCPRIM_400000_NS6detail31init_lookback_scan_state_kernelINS1_19lookback_scan_stateIlLb0ELb1EEENS1_16block_id_wrapperIjLb1EEEEEvT_jT0_jPNS7_10value_typeE,"axG",@progbits,_ZN7rocprim17ROCPRIM_400000_NS6detail31init_lookback_scan_state_kernelINS1_19lookback_scan_stateIlLb0ELb1EEENS1_16block_id_wrapperIjLb1EEEEEvT_jT0_jPNS7_10value_typeE,comdat
.Lfunc_end141:
	.size	_ZN7rocprim17ROCPRIM_400000_NS6detail31init_lookback_scan_state_kernelINS1_19lookback_scan_stateIlLb0ELb1EEENS1_16block_id_wrapperIjLb1EEEEEvT_jT0_jPNS7_10value_typeE, .Lfunc_end141-_ZN7rocprim17ROCPRIM_400000_NS6detail31init_lookback_scan_state_kernelINS1_19lookback_scan_stateIlLb0ELb1EEENS1_16block_id_wrapperIjLb1EEEEEvT_jT0_jPNS7_10value_typeE
                                        ; -- End function
	.section	.AMDGPU.csdata,"",@progbits
; Kernel info:
; codeLenInByte = 412
; NumSgprs: 21
; NumVgprs: 10
; NumAgprs: 0
; TotalNumVgprs: 10
; ScratchSize: 0
; MemoryBound: 0
; FloatMode: 240
; IeeeMode: 1
; LDSByteSize: 0 bytes/workgroup (compile time only)
; SGPRBlocks: 2
; VGPRBlocks: 1
; NumSGPRsForWavesPerEU: 21
; NumVGPRsForWavesPerEU: 10
; AccumOffset: 12
; Occupancy: 8
; WaveLimiterHint : 0
; COMPUTE_PGM_RSRC2:SCRATCH_EN: 0
; COMPUTE_PGM_RSRC2:USER_SGPR: 2
; COMPUTE_PGM_RSRC2:TRAP_HANDLER: 0
; COMPUTE_PGM_RSRC2:TGID_X_EN: 1
; COMPUTE_PGM_RSRC2:TGID_Y_EN: 0
; COMPUTE_PGM_RSRC2:TGID_Z_EN: 0
; COMPUTE_PGM_RSRC2:TIDIG_COMP_CNT: 0
; COMPUTE_PGM_RSRC3_GFX90A:ACCUM_OFFSET: 2
; COMPUTE_PGM_RSRC3_GFX90A:TG_SPLIT: 0
	.section	.text._ZN7rocprim17ROCPRIM_400000_NS6detail17trampoline_kernelINS0_14default_configENS1_20scan_config_selectorIlEEZZNS1_9scan_implILNS1_25lookback_scan_determinismE0ELb0ELb0ES3_PlS8_lN6thrust23THRUST_200600_302600_NS4plusIvEElEEDaPvRmT3_T4_T5_mT6_P12ihipStream_tbENKUlT_T0_E_clISt17integral_constantIbLb0EESP_IbLb1EEEEDaSL_SM_EUlSL_E_NS1_11comp_targetILNS1_3genE0ELNS1_11target_archE4294967295ELNS1_3gpuE0ELNS1_3repE0EEENS1_30default_config_static_selectorELNS0_4arch9wavefront6targetE1EEEvT1_,"axG",@progbits,_ZN7rocprim17ROCPRIM_400000_NS6detail17trampoline_kernelINS0_14default_configENS1_20scan_config_selectorIlEEZZNS1_9scan_implILNS1_25lookback_scan_determinismE0ELb0ELb0ES3_PlS8_lN6thrust23THRUST_200600_302600_NS4plusIvEElEEDaPvRmT3_T4_T5_mT6_P12ihipStream_tbENKUlT_T0_E_clISt17integral_constantIbLb0EESP_IbLb1EEEEDaSL_SM_EUlSL_E_NS1_11comp_targetILNS1_3genE0ELNS1_11target_archE4294967295ELNS1_3gpuE0ELNS1_3repE0EEENS1_30default_config_static_selectorELNS0_4arch9wavefront6targetE1EEEvT1_,comdat
	.protected	_ZN7rocprim17ROCPRIM_400000_NS6detail17trampoline_kernelINS0_14default_configENS1_20scan_config_selectorIlEEZZNS1_9scan_implILNS1_25lookback_scan_determinismE0ELb0ELb0ES3_PlS8_lN6thrust23THRUST_200600_302600_NS4plusIvEElEEDaPvRmT3_T4_T5_mT6_P12ihipStream_tbENKUlT_T0_E_clISt17integral_constantIbLb0EESP_IbLb1EEEEDaSL_SM_EUlSL_E_NS1_11comp_targetILNS1_3genE0ELNS1_11target_archE4294967295ELNS1_3gpuE0ELNS1_3repE0EEENS1_30default_config_static_selectorELNS0_4arch9wavefront6targetE1EEEvT1_ ; -- Begin function _ZN7rocprim17ROCPRIM_400000_NS6detail17trampoline_kernelINS0_14default_configENS1_20scan_config_selectorIlEEZZNS1_9scan_implILNS1_25lookback_scan_determinismE0ELb0ELb0ES3_PlS8_lN6thrust23THRUST_200600_302600_NS4plusIvEElEEDaPvRmT3_T4_T5_mT6_P12ihipStream_tbENKUlT_T0_E_clISt17integral_constantIbLb0EESP_IbLb1EEEEDaSL_SM_EUlSL_E_NS1_11comp_targetILNS1_3genE0ELNS1_11target_archE4294967295ELNS1_3gpuE0ELNS1_3repE0EEENS1_30default_config_static_selectorELNS0_4arch9wavefront6targetE1EEEvT1_
	.globl	_ZN7rocprim17ROCPRIM_400000_NS6detail17trampoline_kernelINS0_14default_configENS1_20scan_config_selectorIlEEZZNS1_9scan_implILNS1_25lookback_scan_determinismE0ELb0ELb0ES3_PlS8_lN6thrust23THRUST_200600_302600_NS4plusIvEElEEDaPvRmT3_T4_T5_mT6_P12ihipStream_tbENKUlT_T0_E_clISt17integral_constantIbLb0EESP_IbLb1EEEEDaSL_SM_EUlSL_E_NS1_11comp_targetILNS1_3genE0ELNS1_11target_archE4294967295ELNS1_3gpuE0ELNS1_3repE0EEENS1_30default_config_static_selectorELNS0_4arch9wavefront6targetE1EEEvT1_
	.p2align	8
	.type	_ZN7rocprim17ROCPRIM_400000_NS6detail17trampoline_kernelINS0_14default_configENS1_20scan_config_selectorIlEEZZNS1_9scan_implILNS1_25lookback_scan_determinismE0ELb0ELb0ES3_PlS8_lN6thrust23THRUST_200600_302600_NS4plusIvEElEEDaPvRmT3_T4_T5_mT6_P12ihipStream_tbENKUlT_T0_E_clISt17integral_constantIbLb0EESP_IbLb1EEEEDaSL_SM_EUlSL_E_NS1_11comp_targetILNS1_3genE0ELNS1_11target_archE4294967295ELNS1_3gpuE0ELNS1_3repE0EEENS1_30default_config_static_selectorELNS0_4arch9wavefront6targetE1EEEvT1_,@function
_ZN7rocprim17ROCPRIM_400000_NS6detail17trampoline_kernelINS0_14default_configENS1_20scan_config_selectorIlEEZZNS1_9scan_implILNS1_25lookback_scan_determinismE0ELb0ELb0ES3_PlS8_lN6thrust23THRUST_200600_302600_NS4plusIvEElEEDaPvRmT3_T4_T5_mT6_P12ihipStream_tbENKUlT_T0_E_clISt17integral_constantIbLb0EESP_IbLb1EEEEDaSL_SM_EUlSL_E_NS1_11comp_targetILNS1_3genE0ELNS1_11target_archE4294967295ELNS1_3gpuE0ELNS1_3repE0EEENS1_30default_config_static_selectorELNS0_4arch9wavefront6targetE1EEEvT1_: ; @_ZN7rocprim17ROCPRIM_400000_NS6detail17trampoline_kernelINS0_14default_configENS1_20scan_config_selectorIlEEZZNS1_9scan_implILNS1_25lookback_scan_determinismE0ELb0ELb0ES3_PlS8_lN6thrust23THRUST_200600_302600_NS4plusIvEElEEDaPvRmT3_T4_T5_mT6_P12ihipStream_tbENKUlT_T0_E_clISt17integral_constantIbLb0EESP_IbLb1EEEEDaSL_SM_EUlSL_E_NS1_11comp_targetILNS1_3genE0ELNS1_11target_archE4294967295ELNS1_3gpuE0ELNS1_3repE0EEENS1_30default_config_static_selectorELNS0_4arch9wavefront6targetE1EEEvT1_
; %bb.0:
	.section	.rodata,"a",@progbits
	.p2align	6, 0x0
	.amdhsa_kernel _ZN7rocprim17ROCPRIM_400000_NS6detail17trampoline_kernelINS0_14default_configENS1_20scan_config_selectorIlEEZZNS1_9scan_implILNS1_25lookback_scan_determinismE0ELb0ELb0ES3_PlS8_lN6thrust23THRUST_200600_302600_NS4plusIvEElEEDaPvRmT3_T4_T5_mT6_P12ihipStream_tbENKUlT_T0_E_clISt17integral_constantIbLb0EESP_IbLb1EEEEDaSL_SM_EUlSL_E_NS1_11comp_targetILNS1_3genE0ELNS1_11target_archE4294967295ELNS1_3gpuE0ELNS1_3repE0EEENS1_30default_config_static_selectorELNS0_4arch9wavefront6targetE1EEEvT1_
		.amdhsa_group_segment_fixed_size 0
		.amdhsa_private_segment_fixed_size 0
		.amdhsa_kernarg_size 104
		.amdhsa_user_sgpr_count 2
		.amdhsa_user_sgpr_dispatch_ptr 0
		.amdhsa_user_sgpr_queue_ptr 0
		.amdhsa_user_sgpr_kernarg_segment_ptr 1
		.amdhsa_user_sgpr_dispatch_id 0
		.amdhsa_user_sgpr_kernarg_preload_length 0
		.amdhsa_user_sgpr_kernarg_preload_offset 0
		.amdhsa_user_sgpr_private_segment_size 0
		.amdhsa_uses_dynamic_stack 0
		.amdhsa_enable_private_segment 0
		.amdhsa_system_sgpr_workgroup_id_x 1
		.amdhsa_system_sgpr_workgroup_id_y 0
		.amdhsa_system_sgpr_workgroup_id_z 0
		.amdhsa_system_sgpr_workgroup_info 0
		.amdhsa_system_vgpr_workitem_id 0
		.amdhsa_next_free_vgpr 1
		.amdhsa_next_free_sgpr 0
		.amdhsa_accum_offset 4
		.amdhsa_reserve_vcc 0
		.amdhsa_float_round_mode_32 0
		.amdhsa_float_round_mode_16_64 0
		.amdhsa_float_denorm_mode_32 3
		.amdhsa_float_denorm_mode_16_64 3
		.amdhsa_dx10_clamp 1
		.amdhsa_ieee_mode 1
		.amdhsa_fp16_overflow 0
		.amdhsa_tg_split 0
		.amdhsa_exception_fp_ieee_invalid_op 0
		.amdhsa_exception_fp_denorm_src 0
		.amdhsa_exception_fp_ieee_div_zero 0
		.amdhsa_exception_fp_ieee_overflow 0
		.amdhsa_exception_fp_ieee_underflow 0
		.amdhsa_exception_fp_ieee_inexact 0
		.amdhsa_exception_int_div_zero 0
	.end_amdhsa_kernel
	.section	.text._ZN7rocprim17ROCPRIM_400000_NS6detail17trampoline_kernelINS0_14default_configENS1_20scan_config_selectorIlEEZZNS1_9scan_implILNS1_25lookback_scan_determinismE0ELb0ELb0ES3_PlS8_lN6thrust23THRUST_200600_302600_NS4plusIvEElEEDaPvRmT3_T4_T5_mT6_P12ihipStream_tbENKUlT_T0_E_clISt17integral_constantIbLb0EESP_IbLb1EEEEDaSL_SM_EUlSL_E_NS1_11comp_targetILNS1_3genE0ELNS1_11target_archE4294967295ELNS1_3gpuE0ELNS1_3repE0EEENS1_30default_config_static_selectorELNS0_4arch9wavefront6targetE1EEEvT1_,"axG",@progbits,_ZN7rocprim17ROCPRIM_400000_NS6detail17trampoline_kernelINS0_14default_configENS1_20scan_config_selectorIlEEZZNS1_9scan_implILNS1_25lookback_scan_determinismE0ELb0ELb0ES3_PlS8_lN6thrust23THRUST_200600_302600_NS4plusIvEElEEDaPvRmT3_T4_T5_mT6_P12ihipStream_tbENKUlT_T0_E_clISt17integral_constantIbLb0EESP_IbLb1EEEEDaSL_SM_EUlSL_E_NS1_11comp_targetILNS1_3genE0ELNS1_11target_archE4294967295ELNS1_3gpuE0ELNS1_3repE0EEENS1_30default_config_static_selectorELNS0_4arch9wavefront6targetE1EEEvT1_,comdat
.Lfunc_end142:
	.size	_ZN7rocprim17ROCPRIM_400000_NS6detail17trampoline_kernelINS0_14default_configENS1_20scan_config_selectorIlEEZZNS1_9scan_implILNS1_25lookback_scan_determinismE0ELb0ELb0ES3_PlS8_lN6thrust23THRUST_200600_302600_NS4plusIvEElEEDaPvRmT3_T4_T5_mT6_P12ihipStream_tbENKUlT_T0_E_clISt17integral_constantIbLb0EESP_IbLb1EEEEDaSL_SM_EUlSL_E_NS1_11comp_targetILNS1_3genE0ELNS1_11target_archE4294967295ELNS1_3gpuE0ELNS1_3repE0EEENS1_30default_config_static_selectorELNS0_4arch9wavefront6targetE1EEEvT1_, .Lfunc_end142-_ZN7rocprim17ROCPRIM_400000_NS6detail17trampoline_kernelINS0_14default_configENS1_20scan_config_selectorIlEEZZNS1_9scan_implILNS1_25lookback_scan_determinismE0ELb0ELb0ES3_PlS8_lN6thrust23THRUST_200600_302600_NS4plusIvEElEEDaPvRmT3_T4_T5_mT6_P12ihipStream_tbENKUlT_T0_E_clISt17integral_constantIbLb0EESP_IbLb1EEEEDaSL_SM_EUlSL_E_NS1_11comp_targetILNS1_3genE0ELNS1_11target_archE4294967295ELNS1_3gpuE0ELNS1_3repE0EEENS1_30default_config_static_selectorELNS0_4arch9wavefront6targetE1EEEvT1_
                                        ; -- End function
	.section	.AMDGPU.csdata,"",@progbits
; Kernel info:
; codeLenInByte = 0
; NumSgprs: 6
; NumVgprs: 0
; NumAgprs: 0
; TotalNumVgprs: 0
; ScratchSize: 0
; MemoryBound: 0
; FloatMode: 240
; IeeeMode: 1
; LDSByteSize: 0 bytes/workgroup (compile time only)
; SGPRBlocks: 0
; VGPRBlocks: 0
; NumSGPRsForWavesPerEU: 6
; NumVGPRsForWavesPerEU: 1
; AccumOffset: 4
; Occupancy: 8
; WaveLimiterHint : 0
; COMPUTE_PGM_RSRC2:SCRATCH_EN: 0
; COMPUTE_PGM_RSRC2:USER_SGPR: 2
; COMPUTE_PGM_RSRC2:TRAP_HANDLER: 0
; COMPUTE_PGM_RSRC2:TGID_X_EN: 1
; COMPUTE_PGM_RSRC2:TGID_Y_EN: 0
; COMPUTE_PGM_RSRC2:TGID_Z_EN: 0
; COMPUTE_PGM_RSRC2:TIDIG_COMP_CNT: 0
; COMPUTE_PGM_RSRC3_GFX90A:ACCUM_OFFSET: 0
; COMPUTE_PGM_RSRC3_GFX90A:TG_SPLIT: 0
	.section	.text._ZN7rocprim17ROCPRIM_400000_NS6detail17trampoline_kernelINS0_14default_configENS1_20scan_config_selectorIlEEZZNS1_9scan_implILNS1_25lookback_scan_determinismE0ELb0ELb0ES3_PlS8_lN6thrust23THRUST_200600_302600_NS4plusIvEElEEDaPvRmT3_T4_T5_mT6_P12ihipStream_tbENKUlT_T0_E_clISt17integral_constantIbLb0EESP_IbLb1EEEEDaSL_SM_EUlSL_E_NS1_11comp_targetILNS1_3genE5ELNS1_11target_archE942ELNS1_3gpuE9ELNS1_3repE0EEENS1_30default_config_static_selectorELNS0_4arch9wavefront6targetE1EEEvT1_,"axG",@progbits,_ZN7rocprim17ROCPRIM_400000_NS6detail17trampoline_kernelINS0_14default_configENS1_20scan_config_selectorIlEEZZNS1_9scan_implILNS1_25lookback_scan_determinismE0ELb0ELb0ES3_PlS8_lN6thrust23THRUST_200600_302600_NS4plusIvEElEEDaPvRmT3_T4_T5_mT6_P12ihipStream_tbENKUlT_T0_E_clISt17integral_constantIbLb0EESP_IbLb1EEEEDaSL_SM_EUlSL_E_NS1_11comp_targetILNS1_3genE5ELNS1_11target_archE942ELNS1_3gpuE9ELNS1_3repE0EEENS1_30default_config_static_selectorELNS0_4arch9wavefront6targetE1EEEvT1_,comdat
	.protected	_ZN7rocprim17ROCPRIM_400000_NS6detail17trampoline_kernelINS0_14default_configENS1_20scan_config_selectorIlEEZZNS1_9scan_implILNS1_25lookback_scan_determinismE0ELb0ELb0ES3_PlS8_lN6thrust23THRUST_200600_302600_NS4plusIvEElEEDaPvRmT3_T4_T5_mT6_P12ihipStream_tbENKUlT_T0_E_clISt17integral_constantIbLb0EESP_IbLb1EEEEDaSL_SM_EUlSL_E_NS1_11comp_targetILNS1_3genE5ELNS1_11target_archE942ELNS1_3gpuE9ELNS1_3repE0EEENS1_30default_config_static_selectorELNS0_4arch9wavefront6targetE1EEEvT1_ ; -- Begin function _ZN7rocprim17ROCPRIM_400000_NS6detail17trampoline_kernelINS0_14default_configENS1_20scan_config_selectorIlEEZZNS1_9scan_implILNS1_25lookback_scan_determinismE0ELb0ELb0ES3_PlS8_lN6thrust23THRUST_200600_302600_NS4plusIvEElEEDaPvRmT3_T4_T5_mT6_P12ihipStream_tbENKUlT_T0_E_clISt17integral_constantIbLb0EESP_IbLb1EEEEDaSL_SM_EUlSL_E_NS1_11comp_targetILNS1_3genE5ELNS1_11target_archE942ELNS1_3gpuE9ELNS1_3repE0EEENS1_30default_config_static_selectorELNS0_4arch9wavefront6targetE1EEEvT1_
	.globl	_ZN7rocprim17ROCPRIM_400000_NS6detail17trampoline_kernelINS0_14default_configENS1_20scan_config_selectorIlEEZZNS1_9scan_implILNS1_25lookback_scan_determinismE0ELb0ELb0ES3_PlS8_lN6thrust23THRUST_200600_302600_NS4plusIvEElEEDaPvRmT3_T4_T5_mT6_P12ihipStream_tbENKUlT_T0_E_clISt17integral_constantIbLb0EESP_IbLb1EEEEDaSL_SM_EUlSL_E_NS1_11comp_targetILNS1_3genE5ELNS1_11target_archE942ELNS1_3gpuE9ELNS1_3repE0EEENS1_30default_config_static_selectorELNS0_4arch9wavefront6targetE1EEEvT1_
	.p2align	8
	.type	_ZN7rocprim17ROCPRIM_400000_NS6detail17trampoline_kernelINS0_14default_configENS1_20scan_config_selectorIlEEZZNS1_9scan_implILNS1_25lookback_scan_determinismE0ELb0ELb0ES3_PlS8_lN6thrust23THRUST_200600_302600_NS4plusIvEElEEDaPvRmT3_T4_T5_mT6_P12ihipStream_tbENKUlT_T0_E_clISt17integral_constantIbLb0EESP_IbLb1EEEEDaSL_SM_EUlSL_E_NS1_11comp_targetILNS1_3genE5ELNS1_11target_archE942ELNS1_3gpuE9ELNS1_3repE0EEENS1_30default_config_static_selectorELNS0_4arch9wavefront6targetE1EEEvT1_,@function
_ZN7rocprim17ROCPRIM_400000_NS6detail17trampoline_kernelINS0_14default_configENS1_20scan_config_selectorIlEEZZNS1_9scan_implILNS1_25lookback_scan_determinismE0ELb0ELb0ES3_PlS8_lN6thrust23THRUST_200600_302600_NS4plusIvEElEEDaPvRmT3_T4_T5_mT6_P12ihipStream_tbENKUlT_T0_E_clISt17integral_constantIbLb0EESP_IbLb1EEEEDaSL_SM_EUlSL_E_NS1_11comp_targetILNS1_3genE5ELNS1_11target_archE942ELNS1_3gpuE9ELNS1_3repE0EEENS1_30default_config_static_selectorELNS0_4arch9wavefront6targetE1EEEvT1_: ; @_ZN7rocprim17ROCPRIM_400000_NS6detail17trampoline_kernelINS0_14default_configENS1_20scan_config_selectorIlEEZZNS1_9scan_implILNS1_25lookback_scan_determinismE0ELb0ELb0ES3_PlS8_lN6thrust23THRUST_200600_302600_NS4plusIvEElEEDaPvRmT3_T4_T5_mT6_P12ihipStream_tbENKUlT_T0_E_clISt17integral_constantIbLb0EESP_IbLb1EEEEDaSL_SM_EUlSL_E_NS1_11comp_targetILNS1_3genE5ELNS1_11target_archE942ELNS1_3gpuE9ELNS1_3repE0EEENS1_30default_config_static_selectorELNS0_4arch9wavefront6targetE1EEEvT1_
; %bb.0:
	s_load_dwordx2 s[10:11], s[0:1], 0x30
	v_cmp_ne_u32_e64 s[6:7], 0, v0
	v_cmp_eq_u32_e64 s[2:3], 0, v0
	s_and_saveexec_b64 s[4:5], s[2:3]
	s_cbranch_execz .LBB143_4
; %bb.1:
	s_mov_b64 s[12:13], exec
	v_mbcnt_lo_u32_b32 v1, s12, 0
	v_mbcnt_hi_u32_b32 v1, s13, v1
	v_cmp_eq_u32_e32 vcc, 0, v1
                                        ; implicit-def: $vgpr2
	s_and_saveexec_b64 s[8:9], vcc
	s_cbranch_execz .LBB143_3
; %bb.2:
	s_load_dwordx2 s[14:15], s[0:1], 0x60
	s_bcnt1_i32_b64 s12, s[12:13]
	v_mov_b32_e32 v2, 0
	v_mov_b32_e32 v3, s12
	s_waitcnt lgkmcnt(0)
	global_atomic_add v2, v2, v3, s[14:15] sc0
.LBB143_3:
	s_or_b64 exec, exec, s[8:9]
	s_waitcnt vmcnt(0)
	v_readfirstlane_b32 s8, v2
	v_mov_b32_e32 v2, 0
	s_nop 0
	v_add_u32_e32 v1, s8, v1
	ds_write_b32 v2, v1
.LBB143_4:
	s_or_b64 exec, exec, s[4:5]
	s_load_dwordx8 s[20:27], s[0:1], 0x0
	s_load_dword s4, s[0:1], 0x38
	s_load_dwordx8 s[12:19], s[0:1], 0x40
	v_mov_b32_e32 v55, 0
	s_waitcnt lgkmcnt(0)
	s_barrier
	ds_read_b32 v1, v55
	s_lshl_b64 s[22:23], s[22:23], 3
	s_add_u32 s5, s20, s22
	s_addc_u32 s8, s21, s23
	s_add_i32 s4, s4, -1
	s_mul_i32 s9, s4, 0xf00
	s_sub_u32 s30, s26, s9
	s_waitcnt lgkmcnt(0)
	v_readfirstlane_b32 s33, v1
	s_subb_u32 s31, s27, 0
	s_mul_i32 s0, s33, 0xf00
	s_mov_b32 s1, 0
	s_cmp_lg_u32 s33, s4
	s_cselect_b64 s[20:21], -1, 0
	s_lshl_b64 s[26:27], s[0:1], 3
	s_add_u32 s4, s5, s26
	s_addc_u32 s5, s8, s27
	s_mov_b64 s[0:1], -1
	s_and_b64 vcc, exec, s[20:21]
	v_lshlrev_b32_e32 v54, 3, v0
	s_barrier
	s_cbranch_vccz .LBB143_6
; %bb.5:
	v_lshl_add_u64 v[2:3], s[4:5], 0, v[54:55]
	v_add_co_u32_e32 v8, vcc, 0x1000, v2
	global_load_dwordx2 v[4:5], v54, s[4:5]
	global_load_dwordx2 v[6:7], v54, s[4:5] offset:2048
	v_addc_co_u32_e32 v9, vcc, 0, v3, vcc
	v_add_co_u32_e32 v10, vcc, 0x2000, v2
	s_mov_b64 s[0:1], 0
	s_nop 0
	v_addc_co_u32_e32 v11, vcc, 0, v3, vcc
	global_load_dwordx2 v[12:13], v[8:9], off
	global_load_dwordx2 v[14:15], v[8:9], off offset:2048
	global_load_dwordx2 v[16:17], v[10:11], off
	global_load_dwordx2 v[18:19], v[10:11], off offset:2048
	v_add_co_u32_e32 v8, vcc, 0x3000, v2
	s_nop 1
	v_addc_co_u32_e32 v9, vcc, 0, v3, vcc
	v_add_co_u32_e32 v10, vcc, 0x4000, v2
	s_nop 1
	v_addc_co_u32_e32 v11, vcc, 0, v3, vcc
	global_load_dwordx2 v[20:21], v[8:9], off
	global_load_dwordx2 v[22:23], v[8:9], off offset:2048
	global_load_dwordx2 v[24:25], v[10:11], off
	global_load_dwordx2 v[26:27], v[10:11], off offset:2048
	v_add_co_u32_e32 v8, vcc, 0x5000, v2
	s_nop 1
	v_addc_co_u32_e32 v9, vcc, 0, v3, vcc
	v_add_co_u32_e32 v10, vcc, 0x6000, v2
	s_nop 1
	v_addc_co_u32_e32 v11, vcc, 0, v3, vcc
	global_load_dwordx2 v[28:29], v[8:9], off
	global_load_dwordx2 v[30:31], v[8:9], off offset:2048
	global_load_dwordx2 v[32:33], v[10:11], off
	global_load_dwordx2 v[34:35], v[10:11], off offset:2048
	v_add_co_u32_e32 v2, vcc, 0x7000, v2
	s_nop 1
	v_addc_co_u32_e32 v3, vcc, 0, v3, vcc
	global_load_dwordx2 v[2:3], v[2:3], off
	s_waitcnt vmcnt(13)
	ds_write2st64_b64 v54, v[4:5], v[6:7] offset1:4
	s_waitcnt vmcnt(11)
	ds_write2st64_b64 v54, v[12:13], v[14:15] offset0:8 offset1:12
	s_waitcnt vmcnt(9)
	ds_write2st64_b64 v54, v[16:17], v[18:19] offset0:16 offset1:20
	;; [unrolled: 2-line block ×6, first 2 shown]
	s_waitcnt vmcnt(0)
	ds_write_b64 v54, v[2:3] offset:28672
	s_waitcnt lgkmcnt(0)
	s_barrier
.LBB143_6:
	s_andn2_b64 vcc, exec, s[0:1]
	v_cmp_gt_u32_e64 s[0:1], s30, v0
	s_cbranch_vccnz .LBB143_38
; %bb.7:
	v_mov_b32_e32 v1, 0
	global_load_dwordx2 v[2:3], v1, s[4:5]
	s_waitcnt vmcnt(0)
	v_mov_b32_e32 v4, v2
	v_mov_b32_e32 v5, v3
	;; [unrolled: 1-line block ×26, first 2 shown]
	v_mov_b64_e32 v[34:35], v[30:31]
	v_mov_b64_e32 v[32:33], v[28:29]
	;; [unrolled: 1-line block ×16, first 2 shown]
	s_and_saveexec_b64 s[8:9], s[0:1]
	s_cbranch_execz .LBB143_9
; %bb.8:
	global_load_dwordx2 v[36:37], v54, s[4:5]
	v_mov_b32_e32 v4, v2
	v_mov_b32_e32 v5, v3
	;; [unrolled: 1-line block ×26, first 2 shown]
	v_mov_b64_e32 v[34:35], v[30:31]
	v_mov_b64_e32 v[32:33], v[28:29]
	;; [unrolled: 1-line block ×16, first 2 shown]
	s_waitcnt vmcnt(0)
	v_mov_b64_e32 v[2:3], v[36:37]
.LBB143_9:
	s_or_b64 exec, exec, s[8:9]
	v_or_b32_e32 v1, 0x100, v0
	v_cmp_gt_u32_e32 vcc, s30, v1
	s_and_saveexec_b64 s[0:1], vcc
	s_cbranch_execz .LBB143_11
; %bb.10:
	global_load_dwordx2 v[6:7], v54, s[4:5] offset:2048
.LBB143_11:
	s_or_b64 exec, exec, s[0:1]
	v_or_b32_e32 v1, 0x200, v0
	v_cmp_gt_u32_e32 vcc, s30, v1
	s_and_saveexec_b64 s[0:1], vcc
	s_cbranch_execz .LBB143_13
; %bb.12:
	v_lshlrev_b32_e32 v1, 3, v1
	global_load_dwordx2 v[8:9], v1, s[4:5]
.LBB143_13:
	s_or_b64 exec, exec, s[0:1]
	v_or_b32_e32 v1, 0x300, v0
	v_cmp_gt_u32_e32 vcc, s30, v1
	s_and_saveexec_b64 s[0:1], vcc
	s_cbranch_execz .LBB143_15
; %bb.14:
	v_lshlrev_b32_e32 v1, 3, v1
	global_load_dwordx2 v[10:11], v1, s[4:5]
.LBB143_15:
	;; [unrolled: 9-line block ×13, first 2 shown]
	s_or_b64 exec, exec, s[0:1]
	s_waitcnt vmcnt(0)
	ds_write2st64_b64 v54, v[2:3], v[6:7] offset1:4
	ds_write2st64_b64 v54, v[8:9], v[10:11] offset0:8 offset1:12
	ds_write2st64_b64 v54, v[12:13], v[14:15] offset0:16 offset1:20
	;; [unrolled: 1-line block ×6, first 2 shown]
	ds_write_b64 v54, v[32:33] offset:28672
	s_waitcnt lgkmcnt(0)
	s_barrier
.LBB143_38:
	v_mul_u32_u24_e32 v72, 15, v0
	v_lshlrev_b32_e32 v1, 3, v72
	ds_read2_b64 v[2:5], v1 offset1:1
	ds_read2_b64 v[6:9], v1 offset0:2 offset1:3
	ds_read2_b64 v[10:13], v1 offset0:4 offset1:5
	;; [unrolled: 1-line block ×6, first 2 shown]
	ds_read_b64 v[56:57], v1 offset:112
	s_cmp_lg_u32 s33, 0
	v_lshrrev_b32_e32 v1, 5, v0
	v_cmp_gt_u32_e32 vcc, 64, v0
	s_waitcnt lgkmcnt(0)
	s_barrier
	s_cbranch_scc0 .LBB143_65
; %bb.39:
	v_lshl_add_u64 v[30:31], v[4:5], 0, v[2:3]
	v_lshl_add_u64 v[30:31], v[30:31], 0, v[6:7]
	v_lshl_add_u64 v[30:31], v[30:31], 0, v[8:9]
	v_lshl_add_u64 v[30:31], v[30:31], 0, v[10:11]
	v_lshl_add_u64 v[30:31], v[30:31], 0, v[12:13]
	v_lshl_add_u64 v[30:31], v[30:31], 0, v[14:15]
	v_lshl_add_u64 v[30:31], v[30:31], 0, v[16:17]
	v_lshl_add_u64 v[30:31], v[30:31], 0, v[18:19]
	v_lshl_add_u64 v[30:31], v[30:31], 0, v[20:21]
	v_lshl_add_u64 v[30:31], v[30:31], 0, v[22:23]
	v_lshl_add_u64 v[30:31], v[30:31], 0, v[24:25]
	v_lshl_add_u64 v[30:31], v[30:31], 0, v[26:27]
	v_lshl_add_u64 v[30:31], v[30:31], 0, v[28:29]
	v_lshl_add_u64 v[34:35], v[30:31], 0, v[56:57]
	v_add_lshl_u32 v30, v1, v0, 3
	ds_write_b64 v30, v[34:35]
	s_waitcnt lgkmcnt(0)
	s_barrier
	s_and_saveexec_b64 s[8:9], vcc
	s_cbranch_execz .LBB143_43
; %bb.40:
	v_lshlrev_b32_e32 v30, 2, v0
	v_lshrrev_b32_e32 v31, 3, v0
	v_add_lshl_u32 v42, v31, v30, 3
	ds_read2_b64 v[30:33], v42 offset1:1
	ds_read2_b64 v[38:41], v42 offset0:2 offset1:3
	v_mov_b32_e32 v36, 0
	v_mbcnt_lo_u32_b32 v37, -1, 0
	v_mbcnt_hi_u32_b32 v43, -1, v37
	s_waitcnt lgkmcnt(1)
	v_lshl_add_u64 v[32:33], v[32:33], 0, v[30:31]
	s_waitcnt lgkmcnt(0)
	v_lshl_add_u64 v[32:33], v[32:33], 0, v[38:39]
	v_lshl_add_u64 v[32:33], v[32:33], 0, v[40:41]
	v_mov_b32_e32 v39, v36
	v_and_b32_e32 v44, 15, v43
	v_mov_b32_dpp v38, v32 row_shr:1 row_mask:0xf bank_mask:0xf
	v_mov_b32_dpp v37, v33 row_shr:1 row_mask:0xf bank_mask:0xf
	v_lshl_add_u64 v[38:39], v[32:33], 0, v[38:39]
	v_lshl_add_u64 v[40:41], v[36:37], 0, v[38:39]
	v_cmp_eq_u32_e64 s[0:1], 0, v44
	v_cmp_ne_u32_e64 s[4:5], 0, v43
	s_nop 0
	v_cndmask_b32_e64 v37, v38, v32, s[0:1]
	v_cndmask_b32_e64 v39, v41, v33, s[0:1]
	v_cndmask_b32_e64 v38, v40, v32, s[0:1]
	v_mov_b32_dpp v40, v37 row_shr:2 row_mask:0xf bank_mask:0xf
	v_mov_b32_dpp v41, v39 row_shr:2 row_mask:0xf bank_mask:0xf
	v_lshl_add_u64 v[40:41], v[40:41], 0, v[38:39]
	v_cmp_lt_u32_e64 s[0:1], 1, v44
	s_nop 1
	v_cndmask_b32_e64 v37, v37, v40, s[0:1]
	v_cndmask_b32_e64 v39, v39, v41, s[0:1]
	v_cndmask_b32_e64 v38, v38, v40, s[0:1]
	v_mov_b32_dpp v40, v37 row_shr:4 row_mask:0xf bank_mask:0xf
	v_mov_b32_dpp v41, v39 row_shr:4 row_mask:0xf bank_mask:0xf
	v_lshl_add_u64 v[40:41], v[40:41], 0, v[38:39]
	v_cmp_lt_u32_e64 s[0:1], 3, v44
	;; [unrolled: 8-line block ×3, first 2 shown]
	v_and_b32_e32 v44, 16, v43
	s_nop 0
	v_cndmask_b32_e64 v37, v37, v40, s[0:1]
	v_cndmask_b32_e64 v39, v39, v41, s[0:1]
	;; [unrolled: 1-line block ×3, first 2 shown]
	v_mov_b32_dpp v40, v37 row_bcast:15 row_mask:0xf bank_mask:0xf
	v_mov_b32_dpp v41, v39 row_bcast:15 row_mask:0xf bank_mask:0xf
	v_lshl_add_u64 v[40:41], v[40:41], 0, v[38:39]
	v_cmp_eq_u32_e64 s[0:1], 0, v44
	s_nop 1
	v_cndmask_b32_e64 v44, v41, v39, s[0:1]
	v_cndmask_b32_e64 v37, v40, v37, s[0:1]
	s_nop 0
	v_mov_b32_dpp v44, v44 row_bcast:31 row_mask:0xf bank_mask:0xf
	v_mov_b32_dpp v37, v37 row_bcast:31 row_mask:0xf bank_mask:0xf
	s_and_saveexec_b64 s[28:29], s[4:5]
; %bb.41:
	v_cndmask_b32_e64 v33, v41, v39, s[0:1]
	v_cndmask_b32_e64 v32, v40, v38, s[0:1]
	v_cmp_lt_u32_e64 s[0:1], 31, v43
	s_nop 1
	v_cndmask_b32_e64 v39, 0, v44, s[0:1]
	v_cndmask_b32_e64 v38, 0, v37, s[0:1]
	v_lshl_add_u64 v[32:33], v[38:39], 0, v[32:33]
; %bb.42:
	s_or_b64 exec, exec, s[28:29]
	v_add_u32_e32 v37, -1, v43
	v_and_b32_e32 v38, 64, v43
	v_cmp_lt_i32_e64 s[0:1], v37, v38
	; wave barrier
	s_nop 1
	v_cndmask_b32_e64 v37, v37, v43, s[0:1]
	v_lshlrev_b32_e32 v37, 2, v37
	ds_bpermute_b32 v32, v37, v32
	ds_bpermute_b32 v37, v37, v33
	v_mov_b32_e32 v33, v36
	s_waitcnt lgkmcnt(1)
	v_lshl_add_u64 v[30:31], v[30:31], 0, v[32:33]
	s_waitcnt lgkmcnt(0)
	v_lshl_add_u64 v[30:31], v[30:31], 0, v[36:37]
	v_cndmask_b32_e64 v35, v31, v35, s[2:3]
	v_cndmask_b32_e64 v34, v30, v34, s[2:3]
	ds_write_b64 v42, v[34:35]
	; wave barrier
	ds_read2_b64 v[30:33], v42 offset0:1 offset1:2
	ds_read_b64 v[36:37], v42 offset:24
	s_waitcnt lgkmcnt(1)
	v_lshl_add_u64 v[30:31], v[30:31], 0, v[34:35]
	v_lshl_add_u64 v[32:33], v[32:33], 0, v[30:31]
	ds_write2_b64 v42, v[30:31], v[32:33] offset0:1 offset1:2
	s_waitcnt lgkmcnt(1)
	v_lshl_add_u64 v[30:31], v[36:37], 0, v[32:33]
	ds_write_b64 v42, v[30:31] offset:24
.LBB143_43:
	s_or_b64 exec, exec, s[8:9]
	v_mov_b64_e32 v[38:39], 0
	s_waitcnt lgkmcnt(0)
	s_barrier
	s_and_saveexec_b64 s[0:1], s[6:7]
	s_cbranch_execz .LBB143_45
; %bb.44:
	v_add_u32_e32 v30, -1, v0
	v_lshrrev_b32_e32 v31, 5, v30
	v_add_lshl_u32 v30, v31, v30, 3
	ds_read_b64 v[38:39], v30
.LBB143_45:
	s_or_b64 exec, exec, s[0:1]
	s_and_saveexec_b64 s[28:29], vcc
	s_cbranch_execz .LBB143_64
; %bb.46:
	v_mov_b32_e32 v33, 0
	ds_read_b64 v[30:31], v33 offset:2096
	v_mbcnt_lo_u32_b32 v32, -1, 0
	v_mbcnt_hi_u32_b32 v44, -1, v32
	s_mov_b32 s9, 0
	v_cmp_eq_u32_e64 s[4:5], 0, v44
	s_and_saveexec_b64 s[0:1], s[4:5]
	s_cbranch_execz .LBB143_48
; %bb.47:
	s_add_i32 s8, s33, 64
	s_lshl_b64 s[8:9], s[8:9], 4
	s_add_u32 s8, s10, s8
	s_addc_u32 s9, s11, s9
	v_mov_b32_e32 v32, 1
	v_mov_b64_e32 v[34:35], s[8:9]
	s_waitcnt lgkmcnt(0)
	;;#ASMSTART
	global_store_dwordx4 v[34:35], v[30:33] off sc1	
s_waitcnt vmcnt(0)
	;;#ASMEND
.LBB143_48:
	s_or_b64 exec, exec, s[0:1]
	v_xad_u32 v40, v44, -1, s33
	v_add_u32_e32 v32, 64, v40
	v_lshl_add_u64 v[42:43], v[32:33], 4, s[10:11]
	;;#ASMSTART
	global_load_dwordx4 v[34:37], v[42:43] off sc1	
s_waitcnt vmcnt(0)
	;;#ASMEND
	s_nop 0
	v_and_b32_e32 v32, 0xff, v35
	v_and_b32_e32 v37, 0xff00, v35
	v_or3_b32 v34, v34, 0, 0
	v_and_b32_e32 v41, 0xff000000, v35
	v_or3_b32 v32, 0, v32, v37
	;; [unrolled: 2-line block ×3, first 2 shown]
	v_or3_b32 v34, v34, 0, 0
	v_cmp_eq_u16_sdwa s[8:9], v36, v33 src0_sel:BYTE_0 src1_sel:DWORD
	s_and_saveexec_b64 s[0:1], s[8:9]
	s_cbranch_execz .LBB143_52
; %bb.49:
	s_mov_b64 s[8:9], 0
	v_mov_b32_e32 v32, 0
.LBB143_50:                             ; =>This Inner Loop Header: Depth=1
	;;#ASMSTART
	global_load_dwordx4 v[34:37], v[42:43] off sc1	
s_waitcnt vmcnt(0)
	;;#ASMEND
	s_nop 0
	v_cmp_ne_u16_sdwa s[34:35], v36, v32 src0_sel:BYTE_0 src1_sel:DWORD
	s_or_b64 s[8:9], s[34:35], s[8:9]
	s_andn2_b64 exec, exec, s[8:9]
	s_cbranch_execnz .LBB143_50
; %bb.51:
	s_or_b64 exec, exec, s[8:9]
.LBB143_52:
	s_or_b64 exec, exec, s[0:1]
	v_mov_b32_e32 v46, 2
	v_cmp_eq_u16_sdwa s[0:1], v36, v46 src0_sel:BYTE_0 src1_sel:DWORD
	v_lshlrev_b64 v[32:33], v44, -1
	v_and_b32_e32 v47, 63, v44
	v_and_b32_e32 v37, s1, v33
	v_or_b32_e32 v37, 0x80000000, v37
	v_and_b32_e32 v41, s0, v32
	v_ffbl_b32_e32 v37, v37
	v_add_u32_e32 v37, 32, v37
	v_ffbl_b32_e32 v41, v41
	v_cmp_ne_u32_e32 vcc, 63, v47
	v_min_u32_e32 v37, v41, v37
	v_cmp_gt_u32_e64 s[0:1], 62, v47
	v_addc_co_u32_e32 v41, vcc, 0, v44, vcc
	v_lshlrev_b32_e32 v48, 2, v41
	ds_bpermute_b32 v42, v48, v34
	ds_bpermute_b32 v51, v48, v35
	v_mov_b32_e32 v41, 0
	v_mov_b32_e32 v43, v41
	;; [unrolled: 1-line block ×3, first 2 shown]
	s_waitcnt lgkmcnt(1)
	v_lshl_add_u64 v[42:43], v[34:35], 0, v[42:43]
	v_cmp_lt_u32_e32 vcc, v47, v37
	s_waitcnt lgkmcnt(0)
	v_lshl_add_u64 v[50:51], v[50:51], 0, v[42:43]
	v_cmp_gt_u32_e64 s[8:9], 60, v47
	v_cndmask_b32_e32 v45, v34, v42, vcc
	v_cndmask_b32_e64 v42, 0, 1, s[0:1]
	v_lshlrev_b32_e32 v42, 1, v42
	v_cndmask_b32_e32 v43, v35, v51, vcc
	v_add_lshl_u32 v49, v42, v44, 2
	ds_bpermute_b32 v52, v49, v45
	ds_bpermute_b32 v53, v49, v43
	v_cndmask_b32_e32 v42, v34, v50, vcc
	v_add_u32_e32 v50, 2, v47
	v_cndmask_b32_e64 v51, 0, 1, s[8:9]
	v_cmp_gt_u32_e64 s[0:1], v50, v37
	s_waitcnt lgkmcnt(0)
	v_lshl_add_u64 v[52:53], v[52:53], 0, v[42:43]
	v_lshlrev_b32_e32 v51, 2, v51
	v_cndmask_b32_e64 v45, v52, v45, s[0:1]
	v_cndmask_b32_e64 v43, v53, v43, s[0:1]
	v_add_lshl_u32 v51, v51, v44, 2
	ds_bpermute_b32 v58, v51, v45
	ds_bpermute_b32 v59, v51, v43
	v_cmp_gt_u32_e64 s[8:9], 56, v47
	v_cndmask_b32_e64 v42, v52, v42, s[0:1]
	v_add_u32_e32 v52, 4, v47
	v_cndmask_b32_e64 v53, 0, 1, s[8:9]
	s_waitcnt lgkmcnt(0)
	v_lshl_add_u64 v[58:59], v[58:59], 0, v[42:43]
	v_cmp_gt_u32_e64 s[0:1], v52, v37
	v_lshlrev_b32_e32 v53, 3, v53
	v_add_lshl_u32 v53, v53, v44, 2
	v_cndmask_b32_e64 v45, v58, v45, s[0:1]
	v_cndmask_b32_e64 v43, v59, v43, s[0:1]
	ds_bpermute_b32 v60, v53, v45
	ds_bpermute_b32 v61, v53, v43
	v_cmp_gt_u32_e64 s[8:9], 48, v47
	v_cndmask_b32_e64 v42, v58, v42, s[0:1]
	v_add_u32_e32 v55, 8, v47
	v_cndmask_b32_e64 v58, 0, 1, s[8:9]
	s_waitcnt lgkmcnt(0)
	v_lshl_add_u64 v[60:61], v[60:61], 0, v[42:43]
	v_cmp_gt_u32_e64 s[0:1], v55, v37
	v_lshlrev_b32_e32 v58, 4, v58
	v_add_lshl_u32 v58, v58, v44, 2
	v_cndmask_b32_e64 v45, v60, v45, s[0:1]
	v_cndmask_b32_e64 v43, v61, v43, s[0:1]
	;; [unrolled: 13-line block ×3, first 2 shown]
	ds_bpermute_b32 v44, v60, v43
	ds_bpermute_b32 v63, v60, v45
	v_add_u32_e32 v61, 32, v47
	v_cndmask_b32_e64 v42, v62, v42, s[0:1]
	v_cmp_le_u32_e64 s[0:1], v61, v37
	s_waitcnt lgkmcnt(1)
	s_nop 0
	v_cndmask_b32_e64 v45, 0, v44, s[0:1]
	s_waitcnt lgkmcnt(0)
	v_cndmask_b32_e64 v44, 0, v63, s[0:1]
	v_lshl_add_u64 v[42:43], v[44:45], 0, v[42:43]
	v_cndmask_b32_e32 v35, v35, v43, vcc
	v_cndmask_b32_e32 v34, v34, v42, vcc
	s_branch .LBB143_54
.LBB143_53:                             ;   in Loop: Header=BB143_54 Depth=1
	s_or_b64 exec, exec, s[0:1]
	v_cmp_eq_u16_sdwa s[0:1], v36, v46 src0_sel:BYTE_0 src1_sel:DWORD
	v_subrev_u32_e32 v37, 64, v40
	ds_bpermute_b32 v45, v48, v35
	v_and_b32_e32 v40, s1, v33
	v_or_b32_e32 v40, 0x80000000, v40
	v_ffbl_b32_e32 v40, v40
	v_add_u32_e32 v62, 32, v40
	ds_bpermute_b32 v40, v48, v34
	v_and_b32_e32 v44, s0, v32
	v_ffbl_b32_e32 v44, v44
	v_min_u32_e32 v66, v44, v62
	v_mov_b32_e32 v44, v41
	s_waitcnt lgkmcnt(0)
	v_lshl_add_u64 v[62:63], v[34:35], 0, v[40:41]
	v_lshl_add_u64 v[44:45], v[44:45], 0, v[62:63]
	v_cmp_lt_u32_e32 vcc, v47, v66
	v_cmp_gt_u32_e64 s[0:1], v50, v66
	s_nop 0
	v_cndmask_b32_e32 v40, v34, v62, vcc
	v_cndmask_b32_e32 v45, v35, v45, vcc
	ds_bpermute_b32 v62, v49, v40
	ds_bpermute_b32 v63, v49, v45
	v_cndmask_b32_e32 v44, v34, v44, vcc
	s_waitcnt lgkmcnt(0)
	v_lshl_add_u64 v[62:63], v[62:63], 0, v[44:45]
	v_cndmask_b32_e64 v40, v62, v40, s[0:1]
	v_cndmask_b32_e64 v45, v63, v45, s[0:1]
	ds_bpermute_b32 v64, v51, v40
	ds_bpermute_b32 v65, v51, v45
	v_cndmask_b32_e64 v44, v62, v44, s[0:1]
	v_cmp_gt_u32_e64 s[0:1], v52, v66
	s_waitcnt lgkmcnt(0)
	v_lshl_add_u64 v[62:63], v[64:65], 0, v[44:45]
	v_cndmask_b32_e64 v40, v62, v40, s[0:1]
	v_cndmask_b32_e64 v45, v63, v45, s[0:1]
	ds_bpermute_b32 v64, v53, v40
	ds_bpermute_b32 v65, v53, v45
	v_cndmask_b32_e64 v44, v62, v44, s[0:1]
	v_cmp_gt_u32_e64 s[0:1], v55, v66
	;; [unrolled: 8-line block ×3, first 2 shown]
	s_waitcnt lgkmcnt(0)
	v_lshl_add_u64 v[62:63], v[64:65], 0, v[44:45]
	v_cndmask_b32_e64 v40, v62, v40, s[0:1]
	v_cndmask_b32_e64 v45, v63, v45, s[0:1]
	ds_bpermute_b32 v63, v60, v45
	ds_bpermute_b32 v40, v60, v40
	v_cndmask_b32_e64 v44, v62, v44, s[0:1]
	v_cmp_le_u32_e64 s[0:1], v61, v66
	s_waitcnt lgkmcnt(1)
	s_nop 0
	v_cndmask_b32_e64 v63, 0, v63, s[0:1]
	s_waitcnt lgkmcnt(0)
	v_cndmask_b32_e64 v62, 0, v40, s[0:1]
	v_lshl_add_u64 v[44:45], v[62:63], 0, v[44:45]
	v_cndmask_b32_e32 v35, v35, v45, vcc
	v_cndmask_b32_e32 v34, v34, v44, vcc
	v_lshl_add_u64 v[34:35], v[34:35], 0, v[42:43]
	v_mov_b32_e32 v40, v37
.LBB143_54:                             ; =>This Loop Header: Depth=1
                                        ;     Child Loop BB143_57 Depth 2
	v_cmp_ne_u16_sdwa s[0:1], v36, v46 src0_sel:BYTE_0 src1_sel:DWORD
	v_mov_b64_e32 v[42:43], v[34:35]
	s_nop 0
	v_cndmask_b32_e64 v36, 0, 1, s[0:1]
	;;#ASMSTART
	;;#ASMEND
	s_nop 0
	v_cmp_ne_u32_e32 vcc, 0, v36
	s_cmp_lg_u64 vcc, exec
	s_cbranch_scc1 .LBB143_59
; %bb.55:                               ;   in Loop: Header=BB143_54 Depth=1
	v_lshl_add_u64 v[44:45], v[40:41], 4, s[10:11]
	;;#ASMSTART
	global_load_dwordx4 v[34:37], v[44:45] off sc1	
s_waitcnt vmcnt(0)
	;;#ASMEND
	s_nop 0
	v_and_b32_e32 v37, 0xff, v35
	v_and_b32_e32 v62, 0xff00, v35
	v_or3_b32 v34, v34, 0, 0
	v_and_b32_e32 v63, 0xff000000, v35
	v_or3_b32 v37, 0, v37, v62
	;; [unrolled: 2-line block ×3, first 2 shown]
	v_or3_b32 v34, v34, 0, 0
	v_cmp_eq_u16_sdwa s[8:9], v36, v41 src0_sel:BYTE_0 src1_sel:DWORD
	s_and_saveexec_b64 s[0:1], s[8:9]
	s_cbranch_execz .LBB143_53
; %bb.56:                               ;   in Loop: Header=BB143_54 Depth=1
	s_mov_b64 s[8:9], 0
.LBB143_57:                             ;   Parent Loop BB143_54 Depth=1
                                        ; =>  This Inner Loop Header: Depth=2
	;;#ASMSTART
	global_load_dwordx4 v[34:37], v[44:45] off sc1	
s_waitcnt vmcnt(0)
	;;#ASMEND
	s_nop 0
	v_cmp_ne_u16_sdwa s[34:35], v36, v41 src0_sel:BYTE_0 src1_sel:DWORD
	s_or_b64 s[8:9], s[34:35], s[8:9]
	s_andn2_b64 exec, exec, s[8:9]
	s_cbranch_execnz .LBB143_57
; %bb.58:                               ;   in Loop: Header=BB143_54 Depth=1
	s_or_b64 exec, exec, s[8:9]
	s_branch .LBB143_53
.LBB143_59:                             ;   in Loop: Header=BB143_54 Depth=1
                                        ; implicit-def: $vgpr34_vgpr35
                                        ; implicit-def: $vgpr36
	s_cbranch_execz .LBB143_54
; %bb.60:
	s_and_saveexec_b64 s[0:1], s[4:5]
	s_cbranch_execz .LBB143_62
; %bb.61:
	s_add_i32 s4, s33, 64
	s_mov_b32 s5, 0
	s_lshl_b64 s[4:5], s[4:5], 4
	s_add_u32 s4, s10, s4
	s_addc_u32 s5, s11, s5
	v_lshl_add_u64 v[30:31], v[42:43], 0, v[30:31]
	v_mov_b32_e32 v32, 2
	v_mov_b32_e32 v33, 0
	v_mov_b64_e32 v[34:35], s[4:5]
	;;#ASMSTART
	global_store_dwordx4 v[34:35], v[30:33] off sc1	
s_waitcnt vmcnt(0)
	;;#ASMEND
.LBB143_62:
	s_or_b64 exec, exec, s[0:1]
	s_and_b64 exec, exec, s[2:3]
	s_cbranch_execz .LBB143_64
; %bb.63:
	v_mov_b32_e32 v30, 0
	ds_write_b64 v30, v[42:43]
.LBB143_64:
	s_or_b64 exec, exec, s[28:29]
	v_mov_b32_e32 v30, 0
	s_waitcnt lgkmcnt(0)
	s_barrier
	ds_read_b64 v[30:31], v30
	v_lshl_add_u64 v[32:33], v[38:39], 0, v[2:3]
	s_waitcnt lgkmcnt(0)
	v_lshl_add_u64 v[40:41], v[32:33], 0, v[30:31]
	v_lshl_add_u64 v[70:71], v[40:41], 0, v[4:5]
	;; [unrolled: 1-line block ×15, first 2 shown]
	s_branch .LBB143_79
.LBB143_65:
                                        ; implicit-def: $vgpr34_vgpr35_vgpr36_vgpr37
                                        ; implicit-def: $vgpr44_vgpr45_vgpr46_vgpr47
                                        ; implicit-def: $vgpr36_vgpr37_vgpr38_vgpr39
                                        ; implicit-def: $vgpr46_vgpr47_vgpr48_vgpr49
                                        ; implicit-def: $vgpr30_vgpr31
                                        ; implicit-def: $vgpr58_vgpr59
                                        ; implicit-def: $vgpr60_vgpr61
                                        ; implicit-def: $vgpr62_vgpr63
                                        ; implicit-def: $vgpr64_vgpr65
                                        ; implicit-def: $vgpr66_vgpr67
                                        ; implicit-def: $vgpr68_vgpr69
                                        ; implicit-def: $vgpr70_vgpr71
                                        ; implicit-def: $vgpr38_vgpr39_vgpr40_vgpr41
                                        ; implicit-def: $vgpr48_vgpr49_vgpr50_vgpr51
                                        ; implicit-def: $vgpr40_vgpr41_vgpr42_vgpr43
	s_cbranch_execz .LBB143_79
; %bb.66:
	s_cmp_lg_u64 s[16:17], 0
	s_cselect_b64 s[0:1], -1, 0
	s_and_b64 s[4:5], s[2:3], s[0:1]
	v_mov_b64_e32 v[40:41], v[2:3]
	s_and_saveexec_b64 s[0:1], s[4:5]
	s_cbranch_execz .LBB143_68
; %bb.67:
	v_mov_b32_e32 v30, 0
	global_load_dwordx2 v[30:31], v30, s[12:13]
	s_waitcnt vmcnt(0)
	v_lshl_add_u64 v[40:41], v[30:31], 0, v[2:3]
.LBB143_68:
	s_or_b64 exec, exec, s[0:1]
	v_lshl_add_u64 v[70:71], v[4:5], 0, v[40:41]
	v_lshl_add_u64 v[48:49], v[70:71], 0, v[6:7]
	;; [unrolled: 1-line block ×14, first 2 shown]
	v_add_lshl_u32 v1, v1, v0, 3
	v_cmp_gt_u32_e32 vcc, 64, v0
	ds_write_b64 v1, v[30:31]
	s_waitcnt lgkmcnt(0)
	s_barrier
	s_and_saveexec_b64 s[4:5], vcc
	s_cbranch_execz .LBB143_72
; %bb.69:
	v_lshlrev_b32_e32 v1, 2, v0
	v_lshrrev_b32_e32 v2, 3, v0
	v_add_lshl_u32 v1, v2, v1, 3
	ds_read2_b64 v[50:53], v1 offset1:1
	ds_read2_b64 v[74:77], v1 offset0:2 offset1:3
	v_mov_b32_e32 v2, 0
	v_mbcnt_lo_u32_b32 v3, -1, 0
	v_mbcnt_hi_u32_b32 v55, -1, v3
	s_waitcnt lgkmcnt(1)
	v_lshl_add_u64 v[32:33], v[52:53], 0, v[50:51]
	s_waitcnt lgkmcnt(0)
	v_lshl_add_u64 v[32:33], v[32:33], 0, v[74:75]
	v_lshl_add_u64 v[32:33], v[32:33], 0, v[76:77]
	v_mov_b32_e32 v43, v2
	v_and_b32_e32 v73, 15, v55
	v_mov_b32_dpp v42, v32 row_shr:1 row_mask:0xf bank_mask:0xf
	v_mov_b32_dpp v3, v33 row_shr:1 row_mask:0xf bank_mask:0xf
	v_lshl_add_u64 v[42:43], v[32:33], 0, v[42:43]
	v_lshl_add_u64 v[52:53], v[2:3], 0, v[42:43]
	v_cmp_eq_u32_e32 vcc, 0, v73
	v_cmp_ne_u32_e64 s[0:1], 0, v55
	s_nop 0
	v_cndmask_b32_e32 v3, v42, v32, vcc
	v_cndmask_b32_e32 v43, v53, v33, vcc
	v_cndmask_b32_e32 v42, v52, v32, vcc
	v_mov_b32_dpp v52, v3 row_shr:2 row_mask:0xf bank_mask:0xf
	v_mov_b32_dpp v53, v43 row_shr:2 row_mask:0xf bank_mask:0xf
	v_lshl_add_u64 v[52:53], v[52:53], 0, v[42:43]
	v_cmp_lt_u32_e32 vcc, 1, v73
	s_nop 1
	v_cndmask_b32_e32 v3, v3, v52, vcc
	v_cndmask_b32_e32 v43, v43, v53, vcc
	v_cndmask_b32_e32 v42, v42, v52, vcc
	v_mov_b32_dpp v52, v3 row_shr:4 row_mask:0xf bank_mask:0xf
	v_mov_b32_dpp v53, v43 row_shr:4 row_mask:0xf bank_mask:0xf
	v_lshl_add_u64 v[52:53], v[52:53], 0, v[42:43]
	v_cmp_lt_u32_e32 vcc, 3, v73
	;; [unrolled: 8-line block ×3, first 2 shown]
	v_and_b32_e32 v73, 16, v55
	s_nop 0
	v_cndmask_b32_e32 v3, v3, v52, vcc
	v_cndmask_b32_e32 v43, v43, v53, vcc
	;; [unrolled: 1-line block ×3, first 2 shown]
	v_mov_b32_dpp v52, v3 row_bcast:15 row_mask:0xf bank_mask:0xf
	v_mov_b32_dpp v53, v43 row_bcast:15 row_mask:0xf bank_mask:0xf
	v_lshl_add_u64 v[52:53], v[52:53], 0, v[42:43]
	v_cmp_eq_u32_e32 vcc, 0, v73
	s_nop 1
	v_cndmask_b32_e32 v73, v53, v43, vcc
	v_cndmask_b32_e32 v3, v52, v3, vcc
	s_nop 0
	v_mov_b32_dpp v73, v73 row_bcast:31 row_mask:0xf bank_mask:0xf
	v_mov_b32_dpp v3, v3 row_bcast:31 row_mask:0xf bank_mask:0xf
	s_and_saveexec_b64 s[8:9], s[0:1]
; %bb.70:
	v_cndmask_b32_e32 v33, v53, v43, vcc
	v_cndmask_b32_e32 v32, v52, v42, vcc
	v_cmp_lt_u32_e32 vcc, 31, v55
	s_nop 1
	v_cndmask_b32_e32 v43, 0, v73, vcc
	v_cndmask_b32_e32 v42, 0, v3, vcc
	v_lshl_add_u64 v[32:33], v[42:43], 0, v[32:33]
; %bb.71:
	s_or_b64 exec, exec, s[8:9]
	v_add_u32_e32 v3, -1, v55
	v_and_b32_e32 v42, 64, v55
	v_cmp_lt_i32_e32 vcc, v3, v42
	; wave barrier
	s_nop 1
	v_cndmask_b32_e32 v3, v3, v55, vcc
	v_lshlrev_b32_e32 v3, 2, v3
	ds_bpermute_b32 v32, v3, v32
	ds_bpermute_b32 v3, v3, v33
	v_mov_b32_e32 v33, v2
	s_waitcnt lgkmcnt(1)
	v_lshl_add_u64 v[32:33], v[50:51], 0, v[32:33]
	s_waitcnt lgkmcnt(0)
	v_lshl_add_u64 v[2:3], v[32:33], 0, v[2:3]
	v_cndmask_b32_e64 v3, v3, v31, s[2:3]
	v_cndmask_b32_e64 v2, v2, v30, s[2:3]
	ds_write_b64 v1, v[2:3]
	; wave barrier
	ds_read2_b64 v[50:53], v1 offset0:1 offset1:2
	ds_read_b64 v[32:33], v1 offset:24
	s_waitcnt lgkmcnt(1)
	v_lshl_add_u64 v[2:3], v[50:51], 0, v[2:3]
	v_lshl_add_u64 v[42:43], v[52:53], 0, v[2:3]
	ds_write2_b64 v1, v[2:3], v[42:43] offset0:1 offset1:2
	s_waitcnt lgkmcnt(1)
	v_lshl_add_u64 v[2:3], v[32:33], 0, v[42:43]
	ds_write_b64 v1, v[2:3] offset:24
.LBB143_72:
	s_or_b64 exec, exec, s[4:5]
	v_mov_b64_e32 v[2:3], v[30:31]
	s_waitcnt lgkmcnt(0)
	s_barrier
	s_and_saveexec_b64 s[0:1], s[6:7]
	s_cbranch_execz .LBB143_74
; %bb.73:
	v_add_u32_e32 v1, -1, v0
	v_lshrrev_b32_e32 v2, 5, v1
	v_add_lshl_u32 v1, v2, v1, 3
	ds_read_b64 v[2:3], v1
.LBB143_74:
	s_or_b64 exec, exec, s[0:1]
	s_and_saveexec_b64 s[0:1], s[6:7]
	s_cbranch_execz .LBB143_76
; %bb.75:
	s_waitcnt lgkmcnt(0)
	v_lshl_add_u64 v[40:41], v[2:3], 0, v[40:41]
	v_lshl_add_u64 v[70:71], v[40:41], 0, v[4:5]
	;; [unrolled: 1-line block ×15, first 2 shown]
	;;#ASMSTART
	;;#ASMEND
.LBB143_76:
	s_or_b64 exec, exec, s[0:1]
	s_movk_i32 s0, 0xff
	v_cmp_eq_u32_e32 vcc, s0, v0
	s_and_saveexec_b64 s[0:1], vcc
	s_cbranch_execz .LBB143_78
; %bb.77:
	s_add_u32 s2, s10, 0x400
	s_addc_u32 s3, s11, 0
	v_mov_b32_e32 v32, 2
	v_mov_b32_e32 v33, 0
	s_waitcnt lgkmcnt(0)
	v_mov_b64_e32 v[2:3], s[2:3]
	;;#ASMSTART
	global_store_dwordx4 v[2:3], v[30:33] off sc1	
s_waitcnt vmcnt(0)
	;;#ASMEND
.LBB143_78:
	s_or_b64 exec, exec, s[0:1]
.LBB143_79:
	s_add_u32 s0, s24, s22
	s_addc_u32 s1, s25, s23
	s_add_u32 s0, s0, s26
	s_addc_u32 s1, s1, s27
	s_mov_b64 s[2:3], -1
	s_and_b64 vcc, exec, s[20:21]
	s_waitcnt lgkmcnt(0)
	s_barrier
	s_cbranch_vccz .LBB143_81
; %bb.80:
	v_mul_u32_u24_e32 v1, 0x78, v0
	s_movk_i32 s2, 0x78
	ds_write2_b64 v1, v[40:41], v[70:71] offset1:1
	ds_write2_b64 v1, v[48:49], v[68:69] offset0:2 offset1:3
	ds_write2_b64 v1, v[46:47], v[66:67] offset0:4 offset1:5
	;; [unrolled: 1-line block ×6, first 2 shown]
	ds_write_b64 v1, v[30:31] offset:112
	v_mul_i32_i24_e32 v1, 0xffffff90, v0
	v_mad_u32_u24 v1, v0, s2, v1
	v_mov_b32_e32 v55, 0
	s_waitcnt lgkmcnt(0)
	s_barrier
	ds_read2st64_b64 v[2:5], v1 offset1:4
	ds_read2st64_b64 v[6:9], v1 offset0:8 offset1:12
	ds_read2st64_b64 v[10:13], v1 offset0:16 offset1:20
	;; [unrolled: 1-line block ×6, first 2 shown]
	ds_read_b64 v[32:33], v1 offset:28672
	v_lshl_add_u64 v[42:43], s[0:1], 0, v[54:55]
	s_movk_i32 s2, 0x1000
	s_waitcnt lgkmcnt(7)
	global_store_dwordx2 v54, v[2:3], s[0:1]
	global_store_dwordx2 v54, v[4:5], s[0:1] offset:2048
	v_add_co_u32_e32 v2, vcc, s2, v42
	s_movk_i32 s2, 0x2000
	s_nop 0
	v_addc_co_u32_e32 v3, vcc, 0, v43, vcc
	v_add_co_u32_e32 v4, vcc, s2, v42
	s_movk_i32 s2, 0x3000
	s_nop 0
	v_addc_co_u32_e32 v5, vcc, 0, v43, vcc
	s_waitcnt lgkmcnt(6)
	global_store_dwordx2 v[4:5], v[6:7], off offset:-4096
	global_store_dwordx2 v[2:3], v[8:9], off offset:2048
	s_waitcnt lgkmcnt(5)
	global_store_dwordx2 v[4:5], v[10:11], off
	global_store_dwordx2 v[4:5], v[12:13], off offset:2048
	v_add_co_u32_e32 v2, vcc, s2, v42
	s_movk_i32 s2, 0x4000
	s_nop 0
	v_addc_co_u32_e32 v3, vcc, 0, v43, vcc
	v_add_co_u32_e32 v4, vcc, s2, v42
	s_movk_i32 s2, 0x5000
	s_nop 0
	v_addc_co_u32_e32 v5, vcc, 0, v43, vcc
	s_waitcnt lgkmcnt(4)
	global_store_dwordx2 v[4:5], v[14:15], off offset:-4096
	global_store_dwordx2 v[2:3], v[16:17], off offset:2048
	s_waitcnt lgkmcnt(3)
	global_store_dwordx2 v[4:5], v[18:19], off
	global_store_dwordx2 v[4:5], v[20:21], off offset:2048
	v_add_co_u32_e32 v2, vcc, s2, v42
	s_mov_b64 s[2:3], 0
	s_nop 0
	v_addc_co_u32_e32 v3, vcc, 0, v43, vcc
	s_waitcnt lgkmcnt(2)
	global_store_dwordx2 v[2:3], v[22:23], off
	global_store_dwordx2 v[2:3], v[24:25], off offset:2048
	v_add_co_u32_e32 v2, vcc, 0x6000, v42
	s_nop 1
	v_addc_co_u32_e32 v3, vcc, 0, v43, vcc
	s_waitcnt lgkmcnt(1)
	global_store_dwordx2 v[2:3], v[26:27], off
	global_store_dwordx2 v[2:3], v[28:29], off offset:2048
	v_add_co_u32_e32 v2, vcc, 0x7000, v42
	s_nop 1
	v_addc_co_u32_e32 v3, vcc, 0, v43, vcc
	s_waitcnt lgkmcnt(0)
	global_store_dwordx2 v[2:3], v[32:33], off
.LBB143_81:
	s_andn2_b64 vcc, exec, s[2:3]
	s_cbranch_vccnz .LBB143_167
; %bb.82:
	v_mul_u32_u24_e32 v1, 0x78, v0
	s_movk_i32 s2, 0x78
	ds_write2_b64 v1, v[40:41], v[70:71] offset1:1
	ds_write2_b64 v1, v[48:49], v[68:69] offset0:2 offset1:3
	ds_write2_b64 v1, v[46:47], v[66:67] offset0:4 offset1:5
	;; [unrolled: 1-line block ×6, first 2 shown]
	ds_write_b64 v1, v[30:31] offset:112
	v_mul_i32_i24_e32 v1, 0xffffff90, v0
	v_mad_u32_u24 v1, v0, s2, v1
	s_waitcnt lgkmcnt(0)
	s_barrier
	ds_read2st64_b64 v[6:9], v1 offset1:4
	ds_read2st64_b64 v[14:17], v1 offset0:8 offset1:12
	ds_read2st64_b64 v[10:13], v1 offset0:16 offset1:20
	;; [unrolled: 1-line block ×6, first 2 shown]
	ds_read_b64 v[30:31], v1 offset:28672
	v_mov_b32_e32 v55, 0
	v_lshl_add_u64 v[32:33], s[0:1], 0, v[54:55]
	v_cmp_gt_u32_e32 vcc, s30, v0
	s_and_saveexec_b64 s[0:1], vcc
	s_cbranch_execz .LBB143_84
; %bb.83:
	s_waitcnt lgkmcnt(7)
	global_store_dwordx2 v[32:33], v[6:7], off
.LBB143_84:
	s_or_b64 exec, exec, s[0:1]
	v_or_b32_e32 v1, 0x100, v0
	v_cmp_gt_u32_e32 vcc, s30, v1
	s_and_saveexec_b64 s[0:1], vcc
	s_cbranch_execz .LBB143_86
; %bb.85:
	s_waitcnt lgkmcnt(7)
	global_store_dwordx2 v[32:33], v[8:9], off offset:2048
.LBB143_86:
	s_or_b64 exec, exec, s[0:1]
	v_or_b32_e32 v1, 0x200, v0
	v_cmp_gt_u32_e32 vcc, s30, v1
	s_and_saveexec_b64 s[0:1], vcc
	s_cbranch_execz .LBB143_88
; %bb.87:
	v_add_co_u32_e32 v34, vcc, 0x1000, v32
	s_nop 1
	v_addc_co_u32_e32 v35, vcc, 0, v33, vcc
	s_waitcnt lgkmcnt(6)
	global_store_dwordx2 v[34:35], v[14:15], off
.LBB143_88:
	s_or_b64 exec, exec, s[0:1]
	v_or_b32_e32 v1, 0x300, v0
	v_cmp_gt_u32_e32 vcc, s30, v1
	s_and_saveexec_b64 s[0:1], vcc
	s_cbranch_execz .LBB143_90
; %bb.89:
	v_add_co_u32_e32 v34, vcc, 0x1000, v32
	s_nop 1
	v_addc_co_u32_e32 v35, vcc, 0, v33, vcc
	s_waitcnt lgkmcnt(6)
	global_store_dwordx2 v[34:35], v[16:17], off offset:2048
.LBB143_90:
	s_or_b64 exec, exec, s[0:1]
	v_or_b32_e32 v1, 0x400, v0
	v_cmp_gt_u32_e32 vcc, s30, v1
	s_and_saveexec_b64 s[0:1], vcc
	s_cbranch_execz .LBB143_92
; %bb.91:
	v_add_co_u32_e32 v34, vcc, 0x2000, v32
	s_nop 1
	v_addc_co_u32_e32 v35, vcc, 0, v33, vcc
	s_waitcnt lgkmcnt(5)
	global_store_dwordx2 v[34:35], v[10:11], off
.LBB143_92:
	s_or_b64 exec, exec, s[0:1]
	v_or_b32_e32 v1, 0x500, v0
	v_cmp_gt_u32_e32 vcc, s30, v1
	s_and_saveexec_b64 s[0:1], vcc
	s_cbranch_execz .LBB143_94
; %bb.93:
	v_add_co_u32_e32 v34, vcc, 0x2000, v32
	s_nop 1
	v_addc_co_u32_e32 v35, vcc, 0, v33, vcc
	s_waitcnt lgkmcnt(5)
	global_store_dwordx2 v[34:35], v[12:13], off offset:2048
.LBB143_94:
	;; [unrolled: 24-line block ×6, first 2 shown]
	s_or_b64 exec, exec, s[0:1]
	v_or_b32_e32 v1, 0xe00, v0
	v_cmp_gt_u32_e32 vcc, s30, v1
	s_and_saveexec_b64 s[0:1], vcc
	s_cbranch_execz .LBB143_112
; %bb.111:
	v_add_co_u32_e32 v32, vcc, 0x7000, v32
	s_nop 1
	v_addc_co_u32_e32 v33, vcc, 0, v33, vcc
	s_waitcnt lgkmcnt(0)
	global_store_dwordx2 v[32:33], v[30:31], off
.LBB143_112:
	s_or_b64 exec, exec, s[0:1]
	v_cmp_lt_u64_e64 s[0:1], s[18:19], 2
	s_and_b64 vcc, exec, s[0:1]
	s_cbranch_vccnz .LBB143_167
; %bb.113:
	s_add_u32 s0, s30, -1
	s_addc_u32 s1, s31, -1
	s_add_u32 s2, 0, 0x11108400
	s_addc_u32 s3, 0, 49
	s_add_i32 s3, s3, 0x111110e0
	s_mul_hi_u32 s7, s2, -15
	s_sub_i32 s7, s7, s2
	s_mul_i32 s8, s3, -15
	s_mul_i32 s4, s2, -15
	s_add_i32 s7, s7, s8
	s_mul_hi_u32 s5, s3, s4
	s_mul_i32 s6, s3, s4
	s_mul_i32 s9, s2, s7
	s_mul_hi_u32 s4, s2, s4
	s_mul_hi_u32 s8, s2, s7
	s_add_u32 s4, s4, s9
	s_addc_u32 s8, 0, s8
	s_add_u32 s4, s4, s6
	s_mul_hi_u32 s9, s3, s7
	s_addc_u32 s4, s8, s5
	s_addc_u32 s5, s9, 0
	s_mul_i32 s6, s3, s7
	s_add_u32 s4, s4, s6
	v_mov_b32_e32 v32, s4
	s_addc_u32 s5, 0, s5
	v_add_co_u32_e32 v32, vcc, s2, v32
	s_cmp_lg_u64 vcc, 0
	s_addc_u32 s2, s3, s5
	v_readfirstlane_b32 s5, v32
	s_mul_i32 s4, s0, s2
	s_mul_hi_u32 s6, s0, s5
	s_mul_hi_u32 s3, s0, s2
	s_add_u32 s4, s6, s4
	s_addc_u32 s3, 0, s3
	s_mul_hi_u32 s7, s1, s5
	s_mul_i32 s5, s1, s5
	s_add_u32 s4, s4, s5
	s_mul_hi_u32 s6, s1, s2
	s_addc_u32 s3, s3, s7
	s_addc_u32 s4, s6, 0
	s_mul_i32 s2, s1, s2
	s_add_u32 s2, s3, s2
	s_addc_u32 s3, 0, s4
	s_add_u32 s4, s2, 1
	s_addc_u32 s5, s3, 0
	s_add_u32 s6, s2, 2
	s_mul_i32 s8, s3, 15
	s_mul_hi_u32 s9, s2, 15
	s_addc_u32 s7, s3, 0
	s_add_i32 s9, s9, s8
	s_mul_i32 s8, s2, 15
	v_mov_b32_e32 v32, s8
	v_sub_co_u32_e32 v32, vcc, s0, v32
	s_cmp_lg_u64 vcc, 0
	s_subb_u32 s8, s1, s9
	v_subrev_co_u32_e32 v33, vcc, 15, v32
	s_cmp_lg_u64 vcc, 0
	s_subb_u32 s9, s8, 0
	v_readfirstlane_b32 s10, v33
	s_cmp_gt_u32 s10, 14
	s_cselect_b32 s10, -1, 0
	s_cmp_eq_u32 s9, 0
	s_cselect_b32 s9, s10, -1
	s_cmp_lg_u32 s9, 0
	s_cselect_b32 s4, s6, s4
	v_readfirstlane_b32 s6, v32
	s_cselect_b32 s5, s7, s5
	s_cmp_gt_u32 s6, 14
	s_cselect_b32 s6, -1, 0
	s_cmp_eq_u32 s8, 0
	s_cselect_b32 s6, s6, -1
	s_cmp_lg_u32 s6, 0
	v_mov_b32_e32 v1, v55
	s_cselect_b32 s3, s5, s3
	s_cselect_b32 s2, s4, s2
	v_cmp_eq_u64_e32 vcc, s[2:3], v[0:1]
	s_and_saveexec_b64 s[2:3], vcc
	s_cbranch_execz .LBB143_167
; %bb.114:
	v_mul_hi_u32_u24_e32 v1, 15, v0
	v_mov_b32_e32 v32, s1
	v_sub_co_u32_e32 v0, vcc, s0, v72
	s_nop 1
	v_subb_co_u32_e32 v1, vcc, v32, v1, vcc
	v_cmp_lt_i64_e32 vcc, 7, v[0:1]
	s_and_saveexec_b64 s[0:1], vcc
	s_xor_b64 s[0:1], exec, s[0:1]
	s_cbranch_execz .LBB143_140
; %bb.115:
	v_cmp_lt_i64_e32 vcc, 10, v[0:1]
	s_and_saveexec_b64 s[2:3], vcc
	s_xor_b64 s[2:3], exec, s[2:3]
	s_cbranch_execz .LBB143_129
; %bb.116:
	;; [unrolled: 5-line block ×4, first 2 shown]
	v_mov_b32_e32 v0, 0
	s_waitcnt lgkmcnt(0)
	global_store_dwordx2 v0, v[30:31], s[14:15]
                                        ; implicit-def: $vgpr22_vgpr23_vgpr24_vgpr25
.LBB143_119:
	s_andn2_saveexec_b64 s[6:7], s[6:7]
	s_cbranch_execz .LBB143_121
; %bb.120:
	v_mov_b32_e32 v0, 0
	s_waitcnt lgkmcnt(1)
	global_store_dwordx2 v0, v[24:25], s[14:15]
.LBB143_121:
	s_or_b64 exec, exec, s[6:7]
                                        ; implicit-def: $vgpr2_vgpr3_vgpr4_vgpr5
                                        ; implicit-def: $vgpr0_vgpr1
                                        ; implicit-def: $vgpr22_vgpr23_vgpr24_vgpr25
.LBB143_122:
	s_andn2_saveexec_b64 s[4:5], s[4:5]
	s_cbranch_execz .LBB143_128
; %bb.123:
	v_cmp_lt_i64_e32 vcc, 11, v[0:1]
	s_and_saveexec_b64 s[6:7], vcc
	s_xor_b64 s[6:7], exec, s[6:7]
	s_cbranch_execz .LBB143_125
; %bb.124:
	v_mov_b32_e32 v0, 0
	s_waitcnt lgkmcnt(1)
	global_store_dwordx2 v0, v[22:23], s[14:15]
                                        ; implicit-def: $vgpr2_vgpr3_vgpr4_vgpr5
.LBB143_125:
	s_andn2_saveexec_b64 s[6:7], s[6:7]
	s_cbranch_execz .LBB143_127
; %bb.126:
	v_mov_b32_e32 v0, 0
	s_waitcnt lgkmcnt(2)
	global_store_dwordx2 v0, v[4:5], s[14:15]
.LBB143_127:
	s_or_b64 exec, exec, s[6:7]
.LBB143_128:
	s_or_b64 exec, exec, s[4:5]
                                        ; implicit-def: $vgpr18_vgpr19_vgpr20_vgpr21
                                        ; implicit-def: $vgpr0_vgpr1
                                        ; implicit-def: $vgpr2_vgpr3_vgpr4_vgpr5
.LBB143_129:
	s_andn2_saveexec_b64 s[2:3], s[2:3]
	s_cbranch_execz .LBB143_139
; %bb.130:
	v_cmp_lt_i64_e32 vcc, 8, v[0:1]
	s_and_saveexec_b64 s[4:5], vcc
	s_xor_b64 s[4:5], exec, s[4:5]
	s_cbranch_execz .LBB143_136
; %bb.131:
	v_cmp_lt_i64_e32 vcc, 9, v[0:1]
	s_and_saveexec_b64 s[6:7], vcc
	s_xor_b64 s[6:7], exec, s[6:7]
	s_cbranch_execz .LBB143_133
; %bb.132:
	v_mov_b32_e32 v0, 0
	s_waitcnt lgkmcnt(2)
	global_store_dwordx2 v0, v[2:3], s[14:15]
                                        ; implicit-def: $vgpr18_vgpr19_vgpr20_vgpr21
.LBB143_133:
	s_andn2_saveexec_b64 s[6:7], s[6:7]
	s_cbranch_execz .LBB143_135
; %bb.134:
	v_mov_b32_e32 v0, 0
	s_waitcnt lgkmcnt(3)
	global_store_dwordx2 v0, v[20:21], s[14:15]
.LBB143_135:
	s_or_b64 exec, exec, s[6:7]
                                        ; implicit-def: $vgpr18_vgpr19_vgpr20_vgpr21
.LBB143_136:
	s_andn2_saveexec_b64 s[4:5], s[4:5]
	s_cbranch_execz .LBB143_138
; %bb.137:
	v_mov_b32_e32 v0, 0
	s_waitcnt lgkmcnt(3)
	global_store_dwordx2 v0, v[18:19], s[14:15]
.LBB143_138:
	s_or_b64 exec, exec, s[4:5]
.LBB143_139:
	s_or_b64 exec, exec, s[2:3]
                                        ; implicit-def: $vgpr0_vgpr1
                                        ; implicit-def: $vgpr6_vgpr7_vgpr8_vgpr9
                                        ; implicit-def: $vgpr10_vgpr11_vgpr12_vgpr13
                                        ; implicit-def: $vgpr14_vgpr15_vgpr16_vgpr17
                                        ; implicit-def: $vgpr26_vgpr27_vgpr28_vgpr29
.LBB143_140:
	s_andn2_saveexec_b64 s[0:1], s[0:1]
	s_cbranch_execz .LBB143_167
; %bb.141:
	v_cmp_lt_i64_e32 vcc, 3, v[0:1]
	s_and_saveexec_b64 s[0:1], vcc
	s_xor_b64 s[0:1], exec, s[0:1]
	s_cbranch_execz .LBB143_155
; %bb.142:
	v_cmp_lt_i64_e32 vcc, 5, v[0:1]
	s_and_saveexec_b64 s[2:3], vcc
	s_xor_b64 s[2:3], exec, s[2:3]
	;; [unrolled: 5-line block ×3, first 2 shown]
	s_cbranch_execz .LBB143_145
; %bb.144:
	v_mov_b32_e32 v0, 0
	s_waitcnt lgkmcnt(4)
	global_store_dwordx2 v0, v[28:29], s[14:15]
                                        ; implicit-def: $vgpr26_vgpr27_vgpr28_vgpr29
.LBB143_145:
	s_andn2_saveexec_b64 s[4:5], s[4:5]
	s_cbranch_execz .LBB143_147
; %bb.146:
	v_mov_b32_e32 v0, 0
	s_waitcnt lgkmcnt(4)
	global_store_dwordx2 v0, v[26:27], s[14:15]
.LBB143_147:
	s_or_b64 exec, exec, s[4:5]
                                        ; implicit-def: $vgpr10_vgpr11_vgpr12_vgpr13
                                        ; implicit-def: $vgpr0_vgpr1
.LBB143_148:
	s_andn2_saveexec_b64 s[2:3], s[2:3]
	s_cbranch_execz .LBB143_154
; %bb.149:
	v_cmp_lt_i64_e32 vcc, 4, v[0:1]
	s_and_saveexec_b64 s[4:5], vcc
	s_xor_b64 s[4:5], exec, s[4:5]
	s_cbranch_execz .LBB143_151
; %bb.150:
	v_mov_b32_e32 v0, 0
	s_waitcnt lgkmcnt(5)
	global_store_dwordx2 v0, v[12:13], s[14:15]
                                        ; implicit-def: $vgpr10_vgpr11_vgpr12_vgpr13
.LBB143_151:
	s_andn2_saveexec_b64 s[4:5], s[4:5]
	s_cbranch_execz .LBB143_153
; %bb.152:
	v_mov_b32_e32 v0, 0
	s_waitcnt lgkmcnt(5)
	global_store_dwordx2 v0, v[10:11], s[14:15]
.LBB143_153:
	s_or_b64 exec, exec, s[4:5]
.LBB143_154:
	s_or_b64 exec, exec, s[2:3]
                                        ; implicit-def: $vgpr0_vgpr1
                                        ; implicit-def: $vgpr6_vgpr7_vgpr8_vgpr9
                                        ; implicit-def: $vgpr14_vgpr15_vgpr16_vgpr17
.LBB143_155:
	s_andn2_saveexec_b64 s[0:1], s[0:1]
	s_cbranch_execz .LBB143_167
; %bb.156:
	v_cmp_lt_i64_e32 vcc, 1, v[0:1]
	s_and_saveexec_b64 s[0:1], vcc
	s_xor_b64 s[0:1], exec, s[0:1]
	s_cbranch_execz .LBB143_162
; %bb.157:
	v_cmp_lt_i64_e32 vcc, 2, v[0:1]
	s_and_saveexec_b64 s[2:3], vcc
	s_xor_b64 s[2:3], exec, s[2:3]
	s_cbranch_execz .LBB143_159
; %bb.158:
	v_mov_b32_e32 v0, 0
	s_waitcnt lgkmcnt(6)
	global_store_dwordx2 v0, v[16:17], s[14:15]
                                        ; implicit-def: $vgpr14_vgpr15_vgpr16_vgpr17
.LBB143_159:
	s_andn2_saveexec_b64 s[2:3], s[2:3]
	s_cbranch_execz .LBB143_161
; %bb.160:
	v_mov_b32_e32 v0, 0
	s_waitcnt lgkmcnt(6)
	global_store_dwordx2 v0, v[14:15], s[14:15]
.LBB143_161:
	s_or_b64 exec, exec, s[2:3]
                                        ; implicit-def: $vgpr6_vgpr7_vgpr8_vgpr9
                                        ; implicit-def: $vgpr0_vgpr1
.LBB143_162:
	s_andn2_saveexec_b64 s[0:1], s[0:1]
	s_cbranch_execz .LBB143_167
; %bb.163:
	v_cmp_ne_u64_e32 vcc, 1, v[0:1]
	s_and_saveexec_b64 s[0:1], vcc
	s_xor_b64 s[0:1], exec, s[0:1]
	s_cbranch_execz .LBB143_165
; %bb.164:
	v_mov_b32_e32 v0, 0
	s_waitcnt lgkmcnt(7)
	global_store_dwordx2 v0, v[6:7], s[14:15]
                                        ; implicit-def: $vgpr6_vgpr7_vgpr8_vgpr9
.LBB143_165:
	s_andn2_saveexec_b64 s[0:1], s[0:1]
	s_cbranch_execz .LBB143_167
; %bb.166:
	v_mov_b32_e32 v0, 0
	s_waitcnt lgkmcnt(7)
	global_store_dwordx2 v0, v[8:9], s[14:15]
.LBB143_167:
	s_endpgm
	.section	.rodata,"a",@progbits
	.p2align	6, 0x0
	.amdhsa_kernel _ZN7rocprim17ROCPRIM_400000_NS6detail17trampoline_kernelINS0_14default_configENS1_20scan_config_selectorIlEEZZNS1_9scan_implILNS1_25lookback_scan_determinismE0ELb0ELb0ES3_PlS8_lN6thrust23THRUST_200600_302600_NS4plusIvEElEEDaPvRmT3_T4_T5_mT6_P12ihipStream_tbENKUlT_T0_E_clISt17integral_constantIbLb0EESP_IbLb1EEEEDaSL_SM_EUlSL_E_NS1_11comp_targetILNS1_3genE5ELNS1_11target_archE942ELNS1_3gpuE9ELNS1_3repE0EEENS1_30default_config_static_selectorELNS0_4arch9wavefront6targetE1EEEvT1_
		.amdhsa_group_segment_fixed_size 30720
		.amdhsa_private_segment_fixed_size 0
		.amdhsa_kernarg_size 104
		.amdhsa_user_sgpr_count 2
		.amdhsa_user_sgpr_dispatch_ptr 0
		.amdhsa_user_sgpr_queue_ptr 0
		.amdhsa_user_sgpr_kernarg_segment_ptr 1
		.amdhsa_user_sgpr_dispatch_id 0
		.amdhsa_user_sgpr_kernarg_preload_length 0
		.amdhsa_user_sgpr_kernarg_preload_offset 0
		.amdhsa_user_sgpr_private_segment_size 0
		.amdhsa_uses_dynamic_stack 0
		.amdhsa_enable_private_segment 0
		.amdhsa_system_sgpr_workgroup_id_x 1
		.amdhsa_system_sgpr_workgroup_id_y 0
		.amdhsa_system_sgpr_workgroup_id_z 0
		.amdhsa_system_sgpr_workgroup_info 0
		.amdhsa_system_vgpr_workitem_id 0
		.amdhsa_next_free_vgpr 78
		.amdhsa_next_free_sgpr 36
		.amdhsa_accum_offset 80
		.amdhsa_reserve_vcc 1
		.amdhsa_float_round_mode_32 0
		.amdhsa_float_round_mode_16_64 0
		.amdhsa_float_denorm_mode_32 3
		.amdhsa_float_denorm_mode_16_64 3
		.amdhsa_dx10_clamp 1
		.amdhsa_ieee_mode 1
		.amdhsa_fp16_overflow 0
		.amdhsa_tg_split 0
		.amdhsa_exception_fp_ieee_invalid_op 0
		.amdhsa_exception_fp_denorm_src 0
		.amdhsa_exception_fp_ieee_div_zero 0
		.amdhsa_exception_fp_ieee_overflow 0
		.amdhsa_exception_fp_ieee_underflow 0
		.amdhsa_exception_fp_ieee_inexact 0
		.amdhsa_exception_int_div_zero 0
	.end_amdhsa_kernel
	.section	.text._ZN7rocprim17ROCPRIM_400000_NS6detail17trampoline_kernelINS0_14default_configENS1_20scan_config_selectorIlEEZZNS1_9scan_implILNS1_25lookback_scan_determinismE0ELb0ELb0ES3_PlS8_lN6thrust23THRUST_200600_302600_NS4plusIvEElEEDaPvRmT3_T4_T5_mT6_P12ihipStream_tbENKUlT_T0_E_clISt17integral_constantIbLb0EESP_IbLb1EEEEDaSL_SM_EUlSL_E_NS1_11comp_targetILNS1_3genE5ELNS1_11target_archE942ELNS1_3gpuE9ELNS1_3repE0EEENS1_30default_config_static_selectorELNS0_4arch9wavefront6targetE1EEEvT1_,"axG",@progbits,_ZN7rocprim17ROCPRIM_400000_NS6detail17trampoline_kernelINS0_14default_configENS1_20scan_config_selectorIlEEZZNS1_9scan_implILNS1_25lookback_scan_determinismE0ELb0ELb0ES3_PlS8_lN6thrust23THRUST_200600_302600_NS4plusIvEElEEDaPvRmT3_T4_T5_mT6_P12ihipStream_tbENKUlT_T0_E_clISt17integral_constantIbLb0EESP_IbLb1EEEEDaSL_SM_EUlSL_E_NS1_11comp_targetILNS1_3genE5ELNS1_11target_archE942ELNS1_3gpuE9ELNS1_3repE0EEENS1_30default_config_static_selectorELNS0_4arch9wavefront6targetE1EEEvT1_,comdat
.Lfunc_end143:
	.size	_ZN7rocprim17ROCPRIM_400000_NS6detail17trampoline_kernelINS0_14default_configENS1_20scan_config_selectorIlEEZZNS1_9scan_implILNS1_25lookback_scan_determinismE0ELb0ELb0ES3_PlS8_lN6thrust23THRUST_200600_302600_NS4plusIvEElEEDaPvRmT3_T4_T5_mT6_P12ihipStream_tbENKUlT_T0_E_clISt17integral_constantIbLb0EESP_IbLb1EEEEDaSL_SM_EUlSL_E_NS1_11comp_targetILNS1_3genE5ELNS1_11target_archE942ELNS1_3gpuE9ELNS1_3repE0EEENS1_30default_config_static_selectorELNS0_4arch9wavefront6targetE1EEEvT1_, .Lfunc_end143-_ZN7rocprim17ROCPRIM_400000_NS6detail17trampoline_kernelINS0_14default_configENS1_20scan_config_selectorIlEEZZNS1_9scan_implILNS1_25lookback_scan_determinismE0ELb0ELb0ES3_PlS8_lN6thrust23THRUST_200600_302600_NS4plusIvEElEEDaPvRmT3_T4_T5_mT6_P12ihipStream_tbENKUlT_T0_E_clISt17integral_constantIbLb0EESP_IbLb1EEEEDaSL_SM_EUlSL_E_NS1_11comp_targetILNS1_3genE5ELNS1_11target_archE942ELNS1_3gpuE9ELNS1_3repE0EEENS1_30default_config_static_selectorELNS0_4arch9wavefront6targetE1EEEvT1_
                                        ; -- End function
	.section	.AMDGPU.csdata,"",@progbits
; Kernel info:
; codeLenInByte = 7672
; NumSgprs: 42
; NumVgprs: 78
; NumAgprs: 0
; TotalNumVgprs: 78
; ScratchSize: 0
; MemoryBound: 0
; FloatMode: 240
; IeeeMode: 1
; LDSByteSize: 30720 bytes/workgroup (compile time only)
; SGPRBlocks: 5
; VGPRBlocks: 9
; NumSGPRsForWavesPerEU: 42
; NumVGPRsForWavesPerEU: 78
; AccumOffset: 80
; Occupancy: 2
; WaveLimiterHint : 1
; COMPUTE_PGM_RSRC2:SCRATCH_EN: 0
; COMPUTE_PGM_RSRC2:USER_SGPR: 2
; COMPUTE_PGM_RSRC2:TRAP_HANDLER: 0
; COMPUTE_PGM_RSRC2:TGID_X_EN: 1
; COMPUTE_PGM_RSRC2:TGID_Y_EN: 0
; COMPUTE_PGM_RSRC2:TGID_Z_EN: 0
; COMPUTE_PGM_RSRC2:TIDIG_COMP_CNT: 0
; COMPUTE_PGM_RSRC3_GFX90A:ACCUM_OFFSET: 19
; COMPUTE_PGM_RSRC3_GFX90A:TG_SPLIT: 0
	.section	.text._ZN7rocprim17ROCPRIM_400000_NS6detail17trampoline_kernelINS0_14default_configENS1_20scan_config_selectorIlEEZZNS1_9scan_implILNS1_25lookback_scan_determinismE0ELb0ELb0ES3_PlS8_lN6thrust23THRUST_200600_302600_NS4plusIvEElEEDaPvRmT3_T4_T5_mT6_P12ihipStream_tbENKUlT_T0_E_clISt17integral_constantIbLb0EESP_IbLb1EEEEDaSL_SM_EUlSL_E_NS1_11comp_targetILNS1_3genE4ELNS1_11target_archE910ELNS1_3gpuE8ELNS1_3repE0EEENS1_30default_config_static_selectorELNS0_4arch9wavefront6targetE1EEEvT1_,"axG",@progbits,_ZN7rocprim17ROCPRIM_400000_NS6detail17trampoline_kernelINS0_14default_configENS1_20scan_config_selectorIlEEZZNS1_9scan_implILNS1_25lookback_scan_determinismE0ELb0ELb0ES3_PlS8_lN6thrust23THRUST_200600_302600_NS4plusIvEElEEDaPvRmT3_T4_T5_mT6_P12ihipStream_tbENKUlT_T0_E_clISt17integral_constantIbLb0EESP_IbLb1EEEEDaSL_SM_EUlSL_E_NS1_11comp_targetILNS1_3genE4ELNS1_11target_archE910ELNS1_3gpuE8ELNS1_3repE0EEENS1_30default_config_static_selectorELNS0_4arch9wavefront6targetE1EEEvT1_,comdat
	.protected	_ZN7rocprim17ROCPRIM_400000_NS6detail17trampoline_kernelINS0_14default_configENS1_20scan_config_selectorIlEEZZNS1_9scan_implILNS1_25lookback_scan_determinismE0ELb0ELb0ES3_PlS8_lN6thrust23THRUST_200600_302600_NS4plusIvEElEEDaPvRmT3_T4_T5_mT6_P12ihipStream_tbENKUlT_T0_E_clISt17integral_constantIbLb0EESP_IbLb1EEEEDaSL_SM_EUlSL_E_NS1_11comp_targetILNS1_3genE4ELNS1_11target_archE910ELNS1_3gpuE8ELNS1_3repE0EEENS1_30default_config_static_selectorELNS0_4arch9wavefront6targetE1EEEvT1_ ; -- Begin function _ZN7rocprim17ROCPRIM_400000_NS6detail17trampoline_kernelINS0_14default_configENS1_20scan_config_selectorIlEEZZNS1_9scan_implILNS1_25lookback_scan_determinismE0ELb0ELb0ES3_PlS8_lN6thrust23THRUST_200600_302600_NS4plusIvEElEEDaPvRmT3_T4_T5_mT6_P12ihipStream_tbENKUlT_T0_E_clISt17integral_constantIbLb0EESP_IbLb1EEEEDaSL_SM_EUlSL_E_NS1_11comp_targetILNS1_3genE4ELNS1_11target_archE910ELNS1_3gpuE8ELNS1_3repE0EEENS1_30default_config_static_selectorELNS0_4arch9wavefront6targetE1EEEvT1_
	.globl	_ZN7rocprim17ROCPRIM_400000_NS6detail17trampoline_kernelINS0_14default_configENS1_20scan_config_selectorIlEEZZNS1_9scan_implILNS1_25lookback_scan_determinismE0ELb0ELb0ES3_PlS8_lN6thrust23THRUST_200600_302600_NS4plusIvEElEEDaPvRmT3_T4_T5_mT6_P12ihipStream_tbENKUlT_T0_E_clISt17integral_constantIbLb0EESP_IbLb1EEEEDaSL_SM_EUlSL_E_NS1_11comp_targetILNS1_3genE4ELNS1_11target_archE910ELNS1_3gpuE8ELNS1_3repE0EEENS1_30default_config_static_selectorELNS0_4arch9wavefront6targetE1EEEvT1_
	.p2align	8
	.type	_ZN7rocprim17ROCPRIM_400000_NS6detail17trampoline_kernelINS0_14default_configENS1_20scan_config_selectorIlEEZZNS1_9scan_implILNS1_25lookback_scan_determinismE0ELb0ELb0ES3_PlS8_lN6thrust23THRUST_200600_302600_NS4plusIvEElEEDaPvRmT3_T4_T5_mT6_P12ihipStream_tbENKUlT_T0_E_clISt17integral_constantIbLb0EESP_IbLb1EEEEDaSL_SM_EUlSL_E_NS1_11comp_targetILNS1_3genE4ELNS1_11target_archE910ELNS1_3gpuE8ELNS1_3repE0EEENS1_30default_config_static_selectorELNS0_4arch9wavefront6targetE1EEEvT1_,@function
_ZN7rocprim17ROCPRIM_400000_NS6detail17trampoline_kernelINS0_14default_configENS1_20scan_config_selectorIlEEZZNS1_9scan_implILNS1_25lookback_scan_determinismE0ELb0ELb0ES3_PlS8_lN6thrust23THRUST_200600_302600_NS4plusIvEElEEDaPvRmT3_T4_T5_mT6_P12ihipStream_tbENKUlT_T0_E_clISt17integral_constantIbLb0EESP_IbLb1EEEEDaSL_SM_EUlSL_E_NS1_11comp_targetILNS1_3genE4ELNS1_11target_archE910ELNS1_3gpuE8ELNS1_3repE0EEENS1_30default_config_static_selectorELNS0_4arch9wavefront6targetE1EEEvT1_: ; @_ZN7rocprim17ROCPRIM_400000_NS6detail17trampoline_kernelINS0_14default_configENS1_20scan_config_selectorIlEEZZNS1_9scan_implILNS1_25lookback_scan_determinismE0ELb0ELb0ES3_PlS8_lN6thrust23THRUST_200600_302600_NS4plusIvEElEEDaPvRmT3_T4_T5_mT6_P12ihipStream_tbENKUlT_T0_E_clISt17integral_constantIbLb0EESP_IbLb1EEEEDaSL_SM_EUlSL_E_NS1_11comp_targetILNS1_3genE4ELNS1_11target_archE910ELNS1_3gpuE8ELNS1_3repE0EEENS1_30default_config_static_selectorELNS0_4arch9wavefront6targetE1EEEvT1_
; %bb.0:
	.section	.rodata,"a",@progbits
	.p2align	6, 0x0
	.amdhsa_kernel _ZN7rocprim17ROCPRIM_400000_NS6detail17trampoline_kernelINS0_14default_configENS1_20scan_config_selectorIlEEZZNS1_9scan_implILNS1_25lookback_scan_determinismE0ELb0ELb0ES3_PlS8_lN6thrust23THRUST_200600_302600_NS4plusIvEElEEDaPvRmT3_T4_T5_mT6_P12ihipStream_tbENKUlT_T0_E_clISt17integral_constantIbLb0EESP_IbLb1EEEEDaSL_SM_EUlSL_E_NS1_11comp_targetILNS1_3genE4ELNS1_11target_archE910ELNS1_3gpuE8ELNS1_3repE0EEENS1_30default_config_static_selectorELNS0_4arch9wavefront6targetE1EEEvT1_
		.amdhsa_group_segment_fixed_size 0
		.amdhsa_private_segment_fixed_size 0
		.amdhsa_kernarg_size 104
		.amdhsa_user_sgpr_count 2
		.amdhsa_user_sgpr_dispatch_ptr 0
		.amdhsa_user_sgpr_queue_ptr 0
		.amdhsa_user_sgpr_kernarg_segment_ptr 1
		.amdhsa_user_sgpr_dispatch_id 0
		.amdhsa_user_sgpr_kernarg_preload_length 0
		.amdhsa_user_sgpr_kernarg_preload_offset 0
		.amdhsa_user_sgpr_private_segment_size 0
		.amdhsa_uses_dynamic_stack 0
		.amdhsa_enable_private_segment 0
		.amdhsa_system_sgpr_workgroup_id_x 1
		.amdhsa_system_sgpr_workgroup_id_y 0
		.amdhsa_system_sgpr_workgroup_id_z 0
		.amdhsa_system_sgpr_workgroup_info 0
		.amdhsa_system_vgpr_workitem_id 0
		.amdhsa_next_free_vgpr 1
		.amdhsa_next_free_sgpr 0
		.amdhsa_accum_offset 4
		.amdhsa_reserve_vcc 0
		.amdhsa_float_round_mode_32 0
		.amdhsa_float_round_mode_16_64 0
		.amdhsa_float_denorm_mode_32 3
		.amdhsa_float_denorm_mode_16_64 3
		.amdhsa_dx10_clamp 1
		.amdhsa_ieee_mode 1
		.amdhsa_fp16_overflow 0
		.amdhsa_tg_split 0
		.amdhsa_exception_fp_ieee_invalid_op 0
		.amdhsa_exception_fp_denorm_src 0
		.amdhsa_exception_fp_ieee_div_zero 0
		.amdhsa_exception_fp_ieee_overflow 0
		.amdhsa_exception_fp_ieee_underflow 0
		.amdhsa_exception_fp_ieee_inexact 0
		.amdhsa_exception_int_div_zero 0
	.end_amdhsa_kernel
	.section	.text._ZN7rocprim17ROCPRIM_400000_NS6detail17trampoline_kernelINS0_14default_configENS1_20scan_config_selectorIlEEZZNS1_9scan_implILNS1_25lookback_scan_determinismE0ELb0ELb0ES3_PlS8_lN6thrust23THRUST_200600_302600_NS4plusIvEElEEDaPvRmT3_T4_T5_mT6_P12ihipStream_tbENKUlT_T0_E_clISt17integral_constantIbLb0EESP_IbLb1EEEEDaSL_SM_EUlSL_E_NS1_11comp_targetILNS1_3genE4ELNS1_11target_archE910ELNS1_3gpuE8ELNS1_3repE0EEENS1_30default_config_static_selectorELNS0_4arch9wavefront6targetE1EEEvT1_,"axG",@progbits,_ZN7rocprim17ROCPRIM_400000_NS6detail17trampoline_kernelINS0_14default_configENS1_20scan_config_selectorIlEEZZNS1_9scan_implILNS1_25lookback_scan_determinismE0ELb0ELb0ES3_PlS8_lN6thrust23THRUST_200600_302600_NS4plusIvEElEEDaPvRmT3_T4_T5_mT6_P12ihipStream_tbENKUlT_T0_E_clISt17integral_constantIbLb0EESP_IbLb1EEEEDaSL_SM_EUlSL_E_NS1_11comp_targetILNS1_3genE4ELNS1_11target_archE910ELNS1_3gpuE8ELNS1_3repE0EEENS1_30default_config_static_selectorELNS0_4arch9wavefront6targetE1EEEvT1_,comdat
.Lfunc_end144:
	.size	_ZN7rocprim17ROCPRIM_400000_NS6detail17trampoline_kernelINS0_14default_configENS1_20scan_config_selectorIlEEZZNS1_9scan_implILNS1_25lookback_scan_determinismE0ELb0ELb0ES3_PlS8_lN6thrust23THRUST_200600_302600_NS4plusIvEElEEDaPvRmT3_T4_T5_mT6_P12ihipStream_tbENKUlT_T0_E_clISt17integral_constantIbLb0EESP_IbLb1EEEEDaSL_SM_EUlSL_E_NS1_11comp_targetILNS1_3genE4ELNS1_11target_archE910ELNS1_3gpuE8ELNS1_3repE0EEENS1_30default_config_static_selectorELNS0_4arch9wavefront6targetE1EEEvT1_, .Lfunc_end144-_ZN7rocprim17ROCPRIM_400000_NS6detail17trampoline_kernelINS0_14default_configENS1_20scan_config_selectorIlEEZZNS1_9scan_implILNS1_25lookback_scan_determinismE0ELb0ELb0ES3_PlS8_lN6thrust23THRUST_200600_302600_NS4plusIvEElEEDaPvRmT3_T4_T5_mT6_P12ihipStream_tbENKUlT_T0_E_clISt17integral_constantIbLb0EESP_IbLb1EEEEDaSL_SM_EUlSL_E_NS1_11comp_targetILNS1_3genE4ELNS1_11target_archE910ELNS1_3gpuE8ELNS1_3repE0EEENS1_30default_config_static_selectorELNS0_4arch9wavefront6targetE1EEEvT1_
                                        ; -- End function
	.section	.AMDGPU.csdata,"",@progbits
; Kernel info:
; codeLenInByte = 0
; NumSgprs: 6
; NumVgprs: 0
; NumAgprs: 0
; TotalNumVgprs: 0
; ScratchSize: 0
; MemoryBound: 0
; FloatMode: 240
; IeeeMode: 1
; LDSByteSize: 0 bytes/workgroup (compile time only)
; SGPRBlocks: 0
; VGPRBlocks: 0
; NumSGPRsForWavesPerEU: 6
; NumVGPRsForWavesPerEU: 1
; AccumOffset: 4
; Occupancy: 8
; WaveLimiterHint : 0
; COMPUTE_PGM_RSRC2:SCRATCH_EN: 0
; COMPUTE_PGM_RSRC2:USER_SGPR: 2
; COMPUTE_PGM_RSRC2:TRAP_HANDLER: 0
; COMPUTE_PGM_RSRC2:TGID_X_EN: 1
; COMPUTE_PGM_RSRC2:TGID_Y_EN: 0
; COMPUTE_PGM_RSRC2:TGID_Z_EN: 0
; COMPUTE_PGM_RSRC2:TIDIG_COMP_CNT: 0
; COMPUTE_PGM_RSRC3_GFX90A:ACCUM_OFFSET: 0
; COMPUTE_PGM_RSRC3_GFX90A:TG_SPLIT: 0
	.section	.text._ZN7rocprim17ROCPRIM_400000_NS6detail17trampoline_kernelINS0_14default_configENS1_20scan_config_selectorIlEEZZNS1_9scan_implILNS1_25lookback_scan_determinismE0ELb0ELb0ES3_PlS8_lN6thrust23THRUST_200600_302600_NS4plusIvEElEEDaPvRmT3_T4_T5_mT6_P12ihipStream_tbENKUlT_T0_E_clISt17integral_constantIbLb0EESP_IbLb1EEEEDaSL_SM_EUlSL_E_NS1_11comp_targetILNS1_3genE3ELNS1_11target_archE908ELNS1_3gpuE7ELNS1_3repE0EEENS1_30default_config_static_selectorELNS0_4arch9wavefront6targetE1EEEvT1_,"axG",@progbits,_ZN7rocprim17ROCPRIM_400000_NS6detail17trampoline_kernelINS0_14default_configENS1_20scan_config_selectorIlEEZZNS1_9scan_implILNS1_25lookback_scan_determinismE0ELb0ELb0ES3_PlS8_lN6thrust23THRUST_200600_302600_NS4plusIvEElEEDaPvRmT3_T4_T5_mT6_P12ihipStream_tbENKUlT_T0_E_clISt17integral_constantIbLb0EESP_IbLb1EEEEDaSL_SM_EUlSL_E_NS1_11comp_targetILNS1_3genE3ELNS1_11target_archE908ELNS1_3gpuE7ELNS1_3repE0EEENS1_30default_config_static_selectorELNS0_4arch9wavefront6targetE1EEEvT1_,comdat
	.protected	_ZN7rocprim17ROCPRIM_400000_NS6detail17trampoline_kernelINS0_14default_configENS1_20scan_config_selectorIlEEZZNS1_9scan_implILNS1_25lookback_scan_determinismE0ELb0ELb0ES3_PlS8_lN6thrust23THRUST_200600_302600_NS4plusIvEElEEDaPvRmT3_T4_T5_mT6_P12ihipStream_tbENKUlT_T0_E_clISt17integral_constantIbLb0EESP_IbLb1EEEEDaSL_SM_EUlSL_E_NS1_11comp_targetILNS1_3genE3ELNS1_11target_archE908ELNS1_3gpuE7ELNS1_3repE0EEENS1_30default_config_static_selectorELNS0_4arch9wavefront6targetE1EEEvT1_ ; -- Begin function _ZN7rocprim17ROCPRIM_400000_NS6detail17trampoline_kernelINS0_14default_configENS1_20scan_config_selectorIlEEZZNS1_9scan_implILNS1_25lookback_scan_determinismE0ELb0ELb0ES3_PlS8_lN6thrust23THRUST_200600_302600_NS4plusIvEElEEDaPvRmT3_T4_T5_mT6_P12ihipStream_tbENKUlT_T0_E_clISt17integral_constantIbLb0EESP_IbLb1EEEEDaSL_SM_EUlSL_E_NS1_11comp_targetILNS1_3genE3ELNS1_11target_archE908ELNS1_3gpuE7ELNS1_3repE0EEENS1_30default_config_static_selectorELNS0_4arch9wavefront6targetE1EEEvT1_
	.globl	_ZN7rocprim17ROCPRIM_400000_NS6detail17trampoline_kernelINS0_14default_configENS1_20scan_config_selectorIlEEZZNS1_9scan_implILNS1_25lookback_scan_determinismE0ELb0ELb0ES3_PlS8_lN6thrust23THRUST_200600_302600_NS4plusIvEElEEDaPvRmT3_T4_T5_mT6_P12ihipStream_tbENKUlT_T0_E_clISt17integral_constantIbLb0EESP_IbLb1EEEEDaSL_SM_EUlSL_E_NS1_11comp_targetILNS1_3genE3ELNS1_11target_archE908ELNS1_3gpuE7ELNS1_3repE0EEENS1_30default_config_static_selectorELNS0_4arch9wavefront6targetE1EEEvT1_
	.p2align	8
	.type	_ZN7rocprim17ROCPRIM_400000_NS6detail17trampoline_kernelINS0_14default_configENS1_20scan_config_selectorIlEEZZNS1_9scan_implILNS1_25lookback_scan_determinismE0ELb0ELb0ES3_PlS8_lN6thrust23THRUST_200600_302600_NS4plusIvEElEEDaPvRmT3_T4_T5_mT6_P12ihipStream_tbENKUlT_T0_E_clISt17integral_constantIbLb0EESP_IbLb1EEEEDaSL_SM_EUlSL_E_NS1_11comp_targetILNS1_3genE3ELNS1_11target_archE908ELNS1_3gpuE7ELNS1_3repE0EEENS1_30default_config_static_selectorELNS0_4arch9wavefront6targetE1EEEvT1_,@function
_ZN7rocprim17ROCPRIM_400000_NS6detail17trampoline_kernelINS0_14default_configENS1_20scan_config_selectorIlEEZZNS1_9scan_implILNS1_25lookback_scan_determinismE0ELb0ELb0ES3_PlS8_lN6thrust23THRUST_200600_302600_NS4plusIvEElEEDaPvRmT3_T4_T5_mT6_P12ihipStream_tbENKUlT_T0_E_clISt17integral_constantIbLb0EESP_IbLb1EEEEDaSL_SM_EUlSL_E_NS1_11comp_targetILNS1_3genE3ELNS1_11target_archE908ELNS1_3gpuE7ELNS1_3repE0EEENS1_30default_config_static_selectorELNS0_4arch9wavefront6targetE1EEEvT1_: ; @_ZN7rocprim17ROCPRIM_400000_NS6detail17trampoline_kernelINS0_14default_configENS1_20scan_config_selectorIlEEZZNS1_9scan_implILNS1_25lookback_scan_determinismE0ELb0ELb0ES3_PlS8_lN6thrust23THRUST_200600_302600_NS4plusIvEElEEDaPvRmT3_T4_T5_mT6_P12ihipStream_tbENKUlT_T0_E_clISt17integral_constantIbLb0EESP_IbLb1EEEEDaSL_SM_EUlSL_E_NS1_11comp_targetILNS1_3genE3ELNS1_11target_archE908ELNS1_3gpuE7ELNS1_3repE0EEENS1_30default_config_static_selectorELNS0_4arch9wavefront6targetE1EEEvT1_
; %bb.0:
	.section	.rodata,"a",@progbits
	.p2align	6, 0x0
	.amdhsa_kernel _ZN7rocprim17ROCPRIM_400000_NS6detail17trampoline_kernelINS0_14default_configENS1_20scan_config_selectorIlEEZZNS1_9scan_implILNS1_25lookback_scan_determinismE0ELb0ELb0ES3_PlS8_lN6thrust23THRUST_200600_302600_NS4plusIvEElEEDaPvRmT3_T4_T5_mT6_P12ihipStream_tbENKUlT_T0_E_clISt17integral_constantIbLb0EESP_IbLb1EEEEDaSL_SM_EUlSL_E_NS1_11comp_targetILNS1_3genE3ELNS1_11target_archE908ELNS1_3gpuE7ELNS1_3repE0EEENS1_30default_config_static_selectorELNS0_4arch9wavefront6targetE1EEEvT1_
		.amdhsa_group_segment_fixed_size 0
		.amdhsa_private_segment_fixed_size 0
		.amdhsa_kernarg_size 104
		.amdhsa_user_sgpr_count 2
		.amdhsa_user_sgpr_dispatch_ptr 0
		.amdhsa_user_sgpr_queue_ptr 0
		.amdhsa_user_sgpr_kernarg_segment_ptr 1
		.amdhsa_user_sgpr_dispatch_id 0
		.amdhsa_user_sgpr_kernarg_preload_length 0
		.amdhsa_user_sgpr_kernarg_preload_offset 0
		.amdhsa_user_sgpr_private_segment_size 0
		.amdhsa_uses_dynamic_stack 0
		.amdhsa_enable_private_segment 0
		.amdhsa_system_sgpr_workgroup_id_x 1
		.amdhsa_system_sgpr_workgroup_id_y 0
		.amdhsa_system_sgpr_workgroup_id_z 0
		.amdhsa_system_sgpr_workgroup_info 0
		.amdhsa_system_vgpr_workitem_id 0
		.amdhsa_next_free_vgpr 1
		.amdhsa_next_free_sgpr 0
		.amdhsa_accum_offset 4
		.amdhsa_reserve_vcc 0
		.amdhsa_float_round_mode_32 0
		.amdhsa_float_round_mode_16_64 0
		.amdhsa_float_denorm_mode_32 3
		.amdhsa_float_denorm_mode_16_64 3
		.amdhsa_dx10_clamp 1
		.amdhsa_ieee_mode 1
		.amdhsa_fp16_overflow 0
		.amdhsa_tg_split 0
		.amdhsa_exception_fp_ieee_invalid_op 0
		.amdhsa_exception_fp_denorm_src 0
		.amdhsa_exception_fp_ieee_div_zero 0
		.amdhsa_exception_fp_ieee_overflow 0
		.amdhsa_exception_fp_ieee_underflow 0
		.amdhsa_exception_fp_ieee_inexact 0
		.amdhsa_exception_int_div_zero 0
	.end_amdhsa_kernel
	.section	.text._ZN7rocprim17ROCPRIM_400000_NS6detail17trampoline_kernelINS0_14default_configENS1_20scan_config_selectorIlEEZZNS1_9scan_implILNS1_25lookback_scan_determinismE0ELb0ELb0ES3_PlS8_lN6thrust23THRUST_200600_302600_NS4plusIvEElEEDaPvRmT3_T4_T5_mT6_P12ihipStream_tbENKUlT_T0_E_clISt17integral_constantIbLb0EESP_IbLb1EEEEDaSL_SM_EUlSL_E_NS1_11comp_targetILNS1_3genE3ELNS1_11target_archE908ELNS1_3gpuE7ELNS1_3repE0EEENS1_30default_config_static_selectorELNS0_4arch9wavefront6targetE1EEEvT1_,"axG",@progbits,_ZN7rocprim17ROCPRIM_400000_NS6detail17trampoline_kernelINS0_14default_configENS1_20scan_config_selectorIlEEZZNS1_9scan_implILNS1_25lookback_scan_determinismE0ELb0ELb0ES3_PlS8_lN6thrust23THRUST_200600_302600_NS4plusIvEElEEDaPvRmT3_T4_T5_mT6_P12ihipStream_tbENKUlT_T0_E_clISt17integral_constantIbLb0EESP_IbLb1EEEEDaSL_SM_EUlSL_E_NS1_11comp_targetILNS1_3genE3ELNS1_11target_archE908ELNS1_3gpuE7ELNS1_3repE0EEENS1_30default_config_static_selectorELNS0_4arch9wavefront6targetE1EEEvT1_,comdat
.Lfunc_end145:
	.size	_ZN7rocprim17ROCPRIM_400000_NS6detail17trampoline_kernelINS0_14default_configENS1_20scan_config_selectorIlEEZZNS1_9scan_implILNS1_25lookback_scan_determinismE0ELb0ELb0ES3_PlS8_lN6thrust23THRUST_200600_302600_NS4plusIvEElEEDaPvRmT3_T4_T5_mT6_P12ihipStream_tbENKUlT_T0_E_clISt17integral_constantIbLb0EESP_IbLb1EEEEDaSL_SM_EUlSL_E_NS1_11comp_targetILNS1_3genE3ELNS1_11target_archE908ELNS1_3gpuE7ELNS1_3repE0EEENS1_30default_config_static_selectorELNS0_4arch9wavefront6targetE1EEEvT1_, .Lfunc_end145-_ZN7rocprim17ROCPRIM_400000_NS6detail17trampoline_kernelINS0_14default_configENS1_20scan_config_selectorIlEEZZNS1_9scan_implILNS1_25lookback_scan_determinismE0ELb0ELb0ES3_PlS8_lN6thrust23THRUST_200600_302600_NS4plusIvEElEEDaPvRmT3_T4_T5_mT6_P12ihipStream_tbENKUlT_T0_E_clISt17integral_constantIbLb0EESP_IbLb1EEEEDaSL_SM_EUlSL_E_NS1_11comp_targetILNS1_3genE3ELNS1_11target_archE908ELNS1_3gpuE7ELNS1_3repE0EEENS1_30default_config_static_selectorELNS0_4arch9wavefront6targetE1EEEvT1_
                                        ; -- End function
	.section	.AMDGPU.csdata,"",@progbits
; Kernel info:
; codeLenInByte = 0
; NumSgprs: 6
; NumVgprs: 0
; NumAgprs: 0
; TotalNumVgprs: 0
; ScratchSize: 0
; MemoryBound: 0
; FloatMode: 240
; IeeeMode: 1
; LDSByteSize: 0 bytes/workgroup (compile time only)
; SGPRBlocks: 0
; VGPRBlocks: 0
; NumSGPRsForWavesPerEU: 6
; NumVGPRsForWavesPerEU: 1
; AccumOffset: 4
; Occupancy: 8
; WaveLimiterHint : 0
; COMPUTE_PGM_RSRC2:SCRATCH_EN: 0
; COMPUTE_PGM_RSRC2:USER_SGPR: 2
; COMPUTE_PGM_RSRC2:TRAP_HANDLER: 0
; COMPUTE_PGM_RSRC2:TGID_X_EN: 1
; COMPUTE_PGM_RSRC2:TGID_Y_EN: 0
; COMPUTE_PGM_RSRC2:TGID_Z_EN: 0
; COMPUTE_PGM_RSRC2:TIDIG_COMP_CNT: 0
; COMPUTE_PGM_RSRC3_GFX90A:ACCUM_OFFSET: 0
; COMPUTE_PGM_RSRC3_GFX90A:TG_SPLIT: 0
	.section	.text._ZN7rocprim17ROCPRIM_400000_NS6detail17trampoline_kernelINS0_14default_configENS1_20scan_config_selectorIlEEZZNS1_9scan_implILNS1_25lookback_scan_determinismE0ELb0ELb0ES3_PlS8_lN6thrust23THRUST_200600_302600_NS4plusIvEElEEDaPvRmT3_T4_T5_mT6_P12ihipStream_tbENKUlT_T0_E_clISt17integral_constantIbLb0EESP_IbLb1EEEEDaSL_SM_EUlSL_E_NS1_11comp_targetILNS1_3genE2ELNS1_11target_archE906ELNS1_3gpuE6ELNS1_3repE0EEENS1_30default_config_static_selectorELNS0_4arch9wavefront6targetE1EEEvT1_,"axG",@progbits,_ZN7rocprim17ROCPRIM_400000_NS6detail17trampoline_kernelINS0_14default_configENS1_20scan_config_selectorIlEEZZNS1_9scan_implILNS1_25lookback_scan_determinismE0ELb0ELb0ES3_PlS8_lN6thrust23THRUST_200600_302600_NS4plusIvEElEEDaPvRmT3_T4_T5_mT6_P12ihipStream_tbENKUlT_T0_E_clISt17integral_constantIbLb0EESP_IbLb1EEEEDaSL_SM_EUlSL_E_NS1_11comp_targetILNS1_3genE2ELNS1_11target_archE906ELNS1_3gpuE6ELNS1_3repE0EEENS1_30default_config_static_selectorELNS0_4arch9wavefront6targetE1EEEvT1_,comdat
	.protected	_ZN7rocprim17ROCPRIM_400000_NS6detail17trampoline_kernelINS0_14default_configENS1_20scan_config_selectorIlEEZZNS1_9scan_implILNS1_25lookback_scan_determinismE0ELb0ELb0ES3_PlS8_lN6thrust23THRUST_200600_302600_NS4plusIvEElEEDaPvRmT3_T4_T5_mT6_P12ihipStream_tbENKUlT_T0_E_clISt17integral_constantIbLb0EESP_IbLb1EEEEDaSL_SM_EUlSL_E_NS1_11comp_targetILNS1_3genE2ELNS1_11target_archE906ELNS1_3gpuE6ELNS1_3repE0EEENS1_30default_config_static_selectorELNS0_4arch9wavefront6targetE1EEEvT1_ ; -- Begin function _ZN7rocprim17ROCPRIM_400000_NS6detail17trampoline_kernelINS0_14default_configENS1_20scan_config_selectorIlEEZZNS1_9scan_implILNS1_25lookback_scan_determinismE0ELb0ELb0ES3_PlS8_lN6thrust23THRUST_200600_302600_NS4plusIvEElEEDaPvRmT3_T4_T5_mT6_P12ihipStream_tbENKUlT_T0_E_clISt17integral_constantIbLb0EESP_IbLb1EEEEDaSL_SM_EUlSL_E_NS1_11comp_targetILNS1_3genE2ELNS1_11target_archE906ELNS1_3gpuE6ELNS1_3repE0EEENS1_30default_config_static_selectorELNS0_4arch9wavefront6targetE1EEEvT1_
	.globl	_ZN7rocprim17ROCPRIM_400000_NS6detail17trampoline_kernelINS0_14default_configENS1_20scan_config_selectorIlEEZZNS1_9scan_implILNS1_25lookback_scan_determinismE0ELb0ELb0ES3_PlS8_lN6thrust23THRUST_200600_302600_NS4plusIvEElEEDaPvRmT3_T4_T5_mT6_P12ihipStream_tbENKUlT_T0_E_clISt17integral_constantIbLb0EESP_IbLb1EEEEDaSL_SM_EUlSL_E_NS1_11comp_targetILNS1_3genE2ELNS1_11target_archE906ELNS1_3gpuE6ELNS1_3repE0EEENS1_30default_config_static_selectorELNS0_4arch9wavefront6targetE1EEEvT1_
	.p2align	8
	.type	_ZN7rocprim17ROCPRIM_400000_NS6detail17trampoline_kernelINS0_14default_configENS1_20scan_config_selectorIlEEZZNS1_9scan_implILNS1_25lookback_scan_determinismE0ELb0ELb0ES3_PlS8_lN6thrust23THRUST_200600_302600_NS4plusIvEElEEDaPvRmT3_T4_T5_mT6_P12ihipStream_tbENKUlT_T0_E_clISt17integral_constantIbLb0EESP_IbLb1EEEEDaSL_SM_EUlSL_E_NS1_11comp_targetILNS1_3genE2ELNS1_11target_archE906ELNS1_3gpuE6ELNS1_3repE0EEENS1_30default_config_static_selectorELNS0_4arch9wavefront6targetE1EEEvT1_,@function
_ZN7rocprim17ROCPRIM_400000_NS6detail17trampoline_kernelINS0_14default_configENS1_20scan_config_selectorIlEEZZNS1_9scan_implILNS1_25lookback_scan_determinismE0ELb0ELb0ES3_PlS8_lN6thrust23THRUST_200600_302600_NS4plusIvEElEEDaPvRmT3_T4_T5_mT6_P12ihipStream_tbENKUlT_T0_E_clISt17integral_constantIbLb0EESP_IbLb1EEEEDaSL_SM_EUlSL_E_NS1_11comp_targetILNS1_3genE2ELNS1_11target_archE906ELNS1_3gpuE6ELNS1_3repE0EEENS1_30default_config_static_selectorELNS0_4arch9wavefront6targetE1EEEvT1_: ; @_ZN7rocprim17ROCPRIM_400000_NS6detail17trampoline_kernelINS0_14default_configENS1_20scan_config_selectorIlEEZZNS1_9scan_implILNS1_25lookback_scan_determinismE0ELb0ELb0ES3_PlS8_lN6thrust23THRUST_200600_302600_NS4plusIvEElEEDaPvRmT3_T4_T5_mT6_P12ihipStream_tbENKUlT_T0_E_clISt17integral_constantIbLb0EESP_IbLb1EEEEDaSL_SM_EUlSL_E_NS1_11comp_targetILNS1_3genE2ELNS1_11target_archE906ELNS1_3gpuE6ELNS1_3repE0EEENS1_30default_config_static_selectorELNS0_4arch9wavefront6targetE1EEEvT1_
; %bb.0:
	.section	.rodata,"a",@progbits
	.p2align	6, 0x0
	.amdhsa_kernel _ZN7rocprim17ROCPRIM_400000_NS6detail17trampoline_kernelINS0_14default_configENS1_20scan_config_selectorIlEEZZNS1_9scan_implILNS1_25lookback_scan_determinismE0ELb0ELb0ES3_PlS8_lN6thrust23THRUST_200600_302600_NS4plusIvEElEEDaPvRmT3_T4_T5_mT6_P12ihipStream_tbENKUlT_T0_E_clISt17integral_constantIbLb0EESP_IbLb1EEEEDaSL_SM_EUlSL_E_NS1_11comp_targetILNS1_3genE2ELNS1_11target_archE906ELNS1_3gpuE6ELNS1_3repE0EEENS1_30default_config_static_selectorELNS0_4arch9wavefront6targetE1EEEvT1_
		.amdhsa_group_segment_fixed_size 0
		.amdhsa_private_segment_fixed_size 0
		.amdhsa_kernarg_size 104
		.amdhsa_user_sgpr_count 2
		.amdhsa_user_sgpr_dispatch_ptr 0
		.amdhsa_user_sgpr_queue_ptr 0
		.amdhsa_user_sgpr_kernarg_segment_ptr 1
		.amdhsa_user_sgpr_dispatch_id 0
		.amdhsa_user_sgpr_kernarg_preload_length 0
		.amdhsa_user_sgpr_kernarg_preload_offset 0
		.amdhsa_user_sgpr_private_segment_size 0
		.amdhsa_uses_dynamic_stack 0
		.amdhsa_enable_private_segment 0
		.amdhsa_system_sgpr_workgroup_id_x 1
		.amdhsa_system_sgpr_workgroup_id_y 0
		.amdhsa_system_sgpr_workgroup_id_z 0
		.amdhsa_system_sgpr_workgroup_info 0
		.amdhsa_system_vgpr_workitem_id 0
		.amdhsa_next_free_vgpr 1
		.amdhsa_next_free_sgpr 0
		.amdhsa_accum_offset 4
		.amdhsa_reserve_vcc 0
		.amdhsa_float_round_mode_32 0
		.amdhsa_float_round_mode_16_64 0
		.amdhsa_float_denorm_mode_32 3
		.amdhsa_float_denorm_mode_16_64 3
		.amdhsa_dx10_clamp 1
		.amdhsa_ieee_mode 1
		.amdhsa_fp16_overflow 0
		.amdhsa_tg_split 0
		.amdhsa_exception_fp_ieee_invalid_op 0
		.amdhsa_exception_fp_denorm_src 0
		.amdhsa_exception_fp_ieee_div_zero 0
		.amdhsa_exception_fp_ieee_overflow 0
		.amdhsa_exception_fp_ieee_underflow 0
		.amdhsa_exception_fp_ieee_inexact 0
		.amdhsa_exception_int_div_zero 0
	.end_amdhsa_kernel
	.section	.text._ZN7rocprim17ROCPRIM_400000_NS6detail17trampoline_kernelINS0_14default_configENS1_20scan_config_selectorIlEEZZNS1_9scan_implILNS1_25lookback_scan_determinismE0ELb0ELb0ES3_PlS8_lN6thrust23THRUST_200600_302600_NS4plusIvEElEEDaPvRmT3_T4_T5_mT6_P12ihipStream_tbENKUlT_T0_E_clISt17integral_constantIbLb0EESP_IbLb1EEEEDaSL_SM_EUlSL_E_NS1_11comp_targetILNS1_3genE2ELNS1_11target_archE906ELNS1_3gpuE6ELNS1_3repE0EEENS1_30default_config_static_selectorELNS0_4arch9wavefront6targetE1EEEvT1_,"axG",@progbits,_ZN7rocprim17ROCPRIM_400000_NS6detail17trampoline_kernelINS0_14default_configENS1_20scan_config_selectorIlEEZZNS1_9scan_implILNS1_25lookback_scan_determinismE0ELb0ELb0ES3_PlS8_lN6thrust23THRUST_200600_302600_NS4plusIvEElEEDaPvRmT3_T4_T5_mT6_P12ihipStream_tbENKUlT_T0_E_clISt17integral_constantIbLb0EESP_IbLb1EEEEDaSL_SM_EUlSL_E_NS1_11comp_targetILNS1_3genE2ELNS1_11target_archE906ELNS1_3gpuE6ELNS1_3repE0EEENS1_30default_config_static_selectorELNS0_4arch9wavefront6targetE1EEEvT1_,comdat
.Lfunc_end146:
	.size	_ZN7rocprim17ROCPRIM_400000_NS6detail17trampoline_kernelINS0_14default_configENS1_20scan_config_selectorIlEEZZNS1_9scan_implILNS1_25lookback_scan_determinismE0ELb0ELb0ES3_PlS8_lN6thrust23THRUST_200600_302600_NS4plusIvEElEEDaPvRmT3_T4_T5_mT6_P12ihipStream_tbENKUlT_T0_E_clISt17integral_constantIbLb0EESP_IbLb1EEEEDaSL_SM_EUlSL_E_NS1_11comp_targetILNS1_3genE2ELNS1_11target_archE906ELNS1_3gpuE6ELNS1_3repE0EEENS1_30default_config_static_selectorELNS0_4arch9wavefront6targetE1EEEvT1_, .Lfunc_end146-_ZN7rocprim17ROCPRIM_400000_NS6detail17trampoline_kernelINS0_14default_configENS1_20scan_config_selectorIlEEZZNS1_9scan_implILNS1_25lookback_scan_determinismE0ELb0ELb0ES3_PlS8_lN6thrust23THRUST_200600_302600_NS4plusIvEElEEDaPvRmT3_T4_T5_mT6_P12ihipStream_tbENKUlT_T0_E_clISt17integral_constantIbLb0EESP_IbLb1EEEEDaSL_SM_EUlSL_E_NS1_11comp_targetILNS1_3genE2ELNS1_11target_archE906ELNS1_3gpuE6ELNS1_3repE0EEENS1_30default_config_static_selectorELNS0_4arch9wavefront6targetE1EEEvT1_
                                        ; -- End function
	.section	.AMDGPU.csdata,"",@progbits
; Kernel info:
; codeLenInByte = 0
; NumSgprs: 6
; NumVgprs: 0
; NumAgprs: 0
; TotalNumVgprs: 0
; ScratchSize: 0
; MemoryBound: 0
; FloatMode: 240
; IeeeMode: 1
; LDSByteSize: 0 bytes/workgroup (compile time only)
; SGPRBlocks: 0
; VGPRBlocks: 0
; NumSGPRsForWavesPerEU: 6
; NumVGPRsForWavesPerEU: 1
; AccumOffset: 4
; Occupancy: 8
; WaveLimiterHint : 0
; COMPUTE_PGM_RSRC2:SCRATCH_EN: 0
; COMPUTE_PGM_RSRC2:USER_SGPR: 2
; COMPUTE_PGM_RSRC2:TRAP_HANDLER: 0
; COMPUTE_PGM_RSRC2:TGID_X_EN: 1
; COMPUTE_PGM_RSRC2:TGID_Y_EN: 0
; COMPUTE_PGM_RSRC2:TGID_Z_EN: 0
; COMPUTE_PGM_RSRC2:TIDIG_COMP_CNT: 0
; COMPUTE_PGM_RSRC3_GFX90A:ACCUM_OFFSET: 0
; COMPUTE_PGM_RSRC3_GFX90A:TG_SPLIT: 0
	.section	.text._ZN7rocprim17ROCPRIM_400000_NS6detail17trampoline_kernelINS0_14default_configENS1_20scan_config_selectorIlEEZZNS1_9scan_implILNS1_25lookback_scan_determinismE0ELb0ELb0ES3_PlS8_lN6thrust23THRUST_200600_302600_NS4plusIvEElEEDaPvRmT3_T4_T5_mT6_P12ihipStream_tbENKUlT_T0_E_clISt17integral_constantIbLb0EESP_IbLb1EEEEDaSL_SM_EUlSL_E_NS1_11comp_targetILNS1_3genE10ELNS1_11target_archE1201ELNS1_3gpuE5ELNS1_3repE0EEENS1_30default_config_static_selectorELNS0_4arch9wavefront6targetE1EEEvT1_,"axG",@progbits,_ZN7rocprim17ROCPRIM_400000_NS6detail17trampoline_kernelINS0_14default_configENS1_20scan_config_selectorIlEEZZNS1_9scan_implILNS1_25lookback_scan_determinismE0ELb0ELb0ES3_PlS8_lN6thrust23THRUST_200600_302600_NS4plusIvEElEEDaPvRmT3_T4_T5_mT6_P12ihipStream_tbENKUlT_T0_E_clISt17integral_constantIbLb0EESP_IbLb1EEEEDaSL_SM_EUlSL_E_NS1_11comp_targetILNS1_3genE10ELNS1_11target_archE1201ELNS1_3gpuE5ELNS1_3repE0EEENS1_30default_config_static_selectorELNS0_4arch9wavefront6targetE1EEEvT1_,comdat
	.protected	_ZN7rocprim17ROCPRIM_400000_NS6detail17trampoline_kernelINS0_14default_configENS1_20scan_config_selectorIlEEZZNS1_9scan_implILNS1_25lookback_scan_determinismE0ELb0ELb0ES3_PlS8_lN6thrust23THRUST_200600_302600_NS4plusIvEElEEDaPvRmT3_T4_T5_mT6_P12ihipStream_tbENKUlT_T0_E_clISt17integral_constantIbLb0EESP_IbLb1EEEEDaSL_SM_EUlSL_E_NS1_11comp_targetILNS1_3genE10ELNS1_11target_archE1201ELNS1_3gpuE5ELNS1_3repE0EEENS1_30default_config_static_selectorELNS0_4arch9wavefront6targetE1EEEvT1_ ; -- Begin function _ZN7rocprim17ROCPRIM_400000_NS6detail17trampoline_kernelINS0_14default_configENS1_20scan_config_selectorIlEEZZNS1_9scan_implILNS1_25lookback_scan_determinismE0ELb0ELb0ES3_PlS8_lN6thrust23THRUST_200600_302600_NS4plusIvEElEEDaPvRmT3_T4_T5_mT6_P12ihipStream_tbENKUlT_T0_E_clISt17integral_constantIbLb0EESP_IbLb1EEEEDaSL_SM_EUlSL_E_NS1_11comp_targetILNS1_3genE10ELNS1_11target_archE1201ELNS1_3gpuE5ELNS1_3repE0EEENS1_30default_config_static_selectorELNS0_4arch9wavefront6targetE1EEEvT1_
	.globl	_ZN7rocprim17ROCPRIM_400000_NS6detail17trampoline_kernelINS0_14default_configENS1_20scan_config_selectorIlEEZZNS1_9scan_implILNS1_25lookback_scan_determinismE0ELb0ELb0ES3_PlS8_lN6thrust23THRUST_200600_302600_NS4plusIvEElEEDaPvRmT3_T4_T5_mT6_P12ihipStream_tbENKUlT_T0_E_clISt17integral_constantIbLb0EESP_IbLb1EEEEDaSL_SM_EUlSL_E_NS1_11comp_targetILNS1_3genE10ELNS1_11target_archE1201ELNS1_3gpuE5ELNS1_3repE0EEENS1_30default_config_static_selectorELNS0_4arch9wavefront6targetE1EEEvT1_
	.p2align	8
	.type	_ZN7rocprim17ROCPRIM_400000_NS6detail17trampoline_kernelINS0_14default_configENS1_20scan_config_selectorIlEEZZNS1_9scan_implILNS1_25lookback_scan_determinismE0ELb0ELb0ES3_PlS8_lN6thrust23THRUST_200600_302600_NS4plusIvEElEEDaPvRmT3_T4_T5_mT6_P12ihipStream_tbENKUlT_T0_E_clISt17integral_constantIbLb0EESP_IbLb1EEEEDaSL_SM_EUlSL_E_NS1_11comp_targetILNS1_3genE10ELNS1_11target_archE1201ELNS1_3gpuE5ELNS1_3repE0EEENS1_30default_config_static_selectorELNS0_4arch9wavefront6targetE1EEEvT1_,@function
_ZN7rocprim17ROCPRIM_400000_NS6detail17trampoline_kernelINS0_14default_configENS1_20scan_config_selectorIlEEZZNS1_9scan_implILNS1_25lookback_scan_determinismE0ELb0ELb0ES3_PlS8_lN6thrust23THRUST_200600_302600_NS4plusIvEElEEDaPvRmT3_T4_T5_mT6_P12ihipStream_tbENKUlT_T0_E_clISt17integral_constantIbLb0EESP_IbLb1EEEEDaSL_SM_EUlSL_E_NS1_11comp_targetILNS1_3genE10ELNS1_11target_archE1201ELNS1_3gpuE5ELNS1_3repE0EEENS1_30default_config_static_selectorELNS0_4arch9wavefront6targetE1EEEvT1_: ; @_ZN7rocprim17ROCPRIM_400000_NS6detail17trampoline_kernelINS0_14default_configENS1_20scan_config_selectorIlEEZZNS1_9scan_implILNS1_25lookback_scan_determinismE0ELb0ELb0ES3_PlS8_lN6thrust23THRUST_200600_302600_NS4plusIvEElEEDaPvRmT3_T4_T5_mT6_P12ihipStream_tbENKUlT_T0_E_clISt17integral_constantIbLb0EESP_IbLb1EEEEDaSL_SM_EUlSL_E_NS1_11comp_targetILNS1_3genE10ELNS1_11target_archE1201ELNS1_3gpuE5ELNS1_3repE0EEENS1_30default_config_static_selectorELNS0_4arch9wavefront6targetE1EEEvT1_
; %bb.0:
	.section	.rodata,"a",@progbits
	.p2align	6, 0x0
	.amdhsa_kernel _ZN7rocprim17ROCPRIM_400000_NS6detail17trampoline_kernelINS0_14default_configENS1_20scan_config_selectorIlEEZZNS1_9scan_implILNS1_25lookback_scan_determinismE0ELb0ELb0ES3_PlS8_lN6thrust23THRUST_200600_302600_NS4plusIvEElEEDaPvRmT3_T4_T5_mT6_P12ihipStream_tbENKUlT_T0_E_clISt17integral_constantIbLb0EESP_IbLb1EEEEDaSL_SM_EUlSL_E_NS1_11comp_targetILNS1_3genE10ELNS1_11target_archE1201ELNS1_3gpuE5ELNS1_3repE0EEENS1_30default_config_static_selectorELNS0_4arch9wavefront6targetE1EEEvT1_
		.amdhsa_group_segment_fixed_size 0
		.amdhsa_private_segment_fixed_size 0
		.amdhsa_kernarg_size 104
		.amdhsa_user_sgpr_count 2
		.amdhsa_user_sgpr_dispatch_ptr 0
		.amdhsa_user_sgpr_queue_ptr 0
		.amdhsa_user_sgpr_kernarg_segment_ptr 1
		.amdhsa_user_sgpr_dispatch_id 0
		.amdhsa_user_sgpr_kernarg_preload_length 0
		.amdhsa_user_sgpr_kernarg_preload_offset 0
		.amdhsa_user_sgpr_private_segment_size 0
		.amdhsa_uses_dynamic_stack 0
		.amdhsa_enable_private_segment 0
		.amdhsa_system_sgpr_workgroup_id_x 1
		.amdhsa_system_sgpr_workgroup_id_y 0
		.amdhsa_system_sgpr_workgroup_id_z 0
		.amdhsa_system_sgpr_workgroup_info 0
		.amdhsa_system_vgpr_workitem_id 0
		.amdhsa_next_free_vgpr 1
		.amdhsa_next_free_sgpr 0
		.amdhsa_accum_offset 4
		.amdhsa_reserve_vcc 0
		.amdhsa_float_round_mode_32 0
		.amdhsa_float_round_mode_16_64 0
		.amdhsa_float_denorm_mode_32 3
		.amdhsa_float_denorm_mode_16_64 3
		.amdhsa_dx10_clamp 1
		.amdhsa_ieee_mode 1
		.amdhsa_fp16_overflow 0
		.amdhsa_tg_split 0
		.amdhsa_exception_fp_ieee_invalid_op 0
		.amdhsa_exception_fp_denorm_src 0
		.amdhsa_exception_fp_ieee_div_zero 0
		.amdhsa_exception_fp_ieee_overflow 0
		.amdhsa_exception_fp_ieee_underflow 0
		.amdhsa_exception_fp_ieee_inexact 0
		.amdhsa_exception_int_div_zero 0
	.end_amdhsa_kernel
	.section	.text._ZN7rocprim17ROCPRIM_400000_NS6detail17trampoline_kernelINS0_14default_configENS1_20scan_config_selectorIlEEZZNS1_9scan_implILNS1_25lookback_scan_determinismE0ELb0ELb0ES3_PlS8_lN6thrust23THRUST_200600_302600_NS4plusIvEElEEDaPvRmT3_T4_T5_mT6_P12ihipStream_tbENKUlT_T0_E_clISt17integral_constantIbLb0EESP_IbLb1EEEEDaSL_SM_EUlSL_E_NS1_11comp_targetILNS1_3genE10ELNS1_11target_archE1201ELNS1_3gpuE5ELNS1_3repE0EEENS1_30default_config_static_selectorELNS0_4arch9wavefront6targetE1EEEvT1_,"axG",@progbits,_ZN7rocprim17ROCPRIM_400000_NS6detail17trampoline_kernelINS0_14default_configENS1_20scan_config_selectorIlEEZZNS1_9scan_implILNS1_25lookback_scan_determinismE0ELb0ELb0ES3_PlS8_lN6thrust23THRUST_200600_302600_NS4plusIvEElEEDaPvRmT3_T4_T5_mT6_P12ihipStream_tbENKUlT_T0_E_clISt17integral_constantIbLb0EESP_IbLb1EEEEDaSL_SM_EUlSL_E_NS1_11comp_targetILNS1_3genE10ELNS1_11target_archE1201ELNS1_3gpuE5ELNS1_3repE0EEENS1_30default_config_static_selectorELNS0_4arch9wavefront6targetE1EEEvT1_,comdat
.Lfunc_end147:
	.size	_ZN7rocprim17ROCPRIM_400000_NS6detail17trampoline_kernelINS0_14default_configENS1_20scan_config_selectorIlEEZZNS1_9scan_implILNS1_25lookback_scan_determinismE0ELb0ELb0ES3_PlS8_lN6thrust23THRUST_200600_302600_NS4plusIvEElEEDaPvRmT3_T4_T5_mT6_P12ihipStream_tbENKUlT_T0_E_clISt17integral_constantIbLb0EESP_IbLb1EEEEDaSL_SM_EUlSL_E_NS1_11comp_targetILNS1_3genE10ELNS1_11target_archE1201ELNS1_3gpuE5ELNS1_3repE0EEENS1_30default_config_static_selectorELNS0_4arch9wavefront6targetE1EEEvT1_, .Lfunc_end147-_ZN7rocprim17ROCPRIM_400000_NS6detail17trampoline_kernelINS0_14default_configENS1_20scan_config_selectorIlEEZZNS1_9scan_implILNS1_25lookback_scan_determinismE0ELb0ELb0ES3_PlS8_lN6thrust23THRUST_200600_302600_NS4plusIvEElEEDaPvRmT3_T4_T5_mT6_P12ihipStream_tbENKUlT_T0_E_clISt17integral_constantIbLb0EESP_IbLb1EEEEDaSL_SM_EUlSL_E_NS1_11comp_targetILNS1_3genE10ELNS1_11target_archE1201ELNS1_3gpuE5ELNS1_3repE0EEENS1_30default_config_static_selectorELNS0_4arch9wavefront6targetE1EEEvT1_
                                        ; -- End function
	.section	.AMDGPU.csdata,"",@progbits
; Kernel info:
; codeLenInByte = 0
; NumSgprs: 6
; NumVgprs: 0
; NumAgprs: 0
; TotalNumVgprs: 0
; ScratchSize: 0
; MemoryBound: 0
; FloatMode: 240
; IeeeMode: 1
; LDSByteSize: 0 bytes/workgroup (compile time only)
; SGPRBlocks: 0
; VGPRBlocks: 0
; NumSGPRsForWavesPerEU: 6
; NumVGPRsForWavesPerEU: 1
; AccumOffset: 4
; Occupancy: 8
; WaveLimiterHint : 0
; COMPUTE_PGM_RSRC2:SCRATCH_EN: 0
; COMPUTE_PGM_RSRC2:USER_SGPR: 2
; COMPUTE_PGM_RSRC2:TRAP_HANDLER: 0
; COMPUTE_PGM_RSRC2:TGID_X_EN: 1
; COMPUTE_PGM_RSRC2:TGID_Y_EN: 0
; COMPUTE_PGM_RSRC2:TGID_Z_EN: 0
; COMPUTE_PGM_RSRC2:TIDIG_COMP_CNT: 0
; COMPUTE_PGM_RSRC3_GFX90A:ACCUM_OFFSET: 0
; COMPUTE_PGM_RSRC3_GFX90A:TG_SPLIT: 0
	.section	.text._ZN7rocprim17ROCPRIM_400000_NS6detail17trampoline_kernelINS0_14default_configENS1_20scan_config_selectorIlEEZZNS1_9scan_implILNS1_25lookback_scan_determinismE0ELb0ELb0ES3_PlS8_lN6thrust23THRUST_200600_302600_NS4plusIvEElEEDaPvRmT3_T4_T5_mT6_P12ihipStream_tbENKUlT_T0_E_clISt17integral_constantIbLb0EESP_IbLb1EEEEDaSL_SM_EUlSL_E_NS1_11comp_targetILNS1_3genE10ELNS1_11target_archE1200ELNS1_3gpuE4ELNS1_3repE0EEENS1_30default_config_static_selectorELNS0_4arch9wavefront6targetE1EEEvT1_,"axG",@progbits,_ZN7rocprim17ROCPRIM_400000_NS6detail17trampoline_kernelINS0_14default_configENS1_20scan_config_selectorIlEEZZNS1_9scan_implILNS1_25lookback_scan_determinismE0ELb0ELb0ES3_PlS8_lN6thrust23THRUST_200600_302600_NS4plusIvEElEEDaPvRmT3_T4_T5_mT6_P12ihipStream_tbENKUlT_T0_E_clISt17integral_constantIbLb0EESP_IbLb1EEEEDaSL_SM_EUlSL_E_NS1_11comp_targetILNS1_3genE10ELNS1_11target_archE1200ELNS1_3gpuE4ELNS1_3repE0EEENS1_30default_config_static_selectorELNS0_4arch9wavefront6targetE1EEEvT1_,comdat
	.protected	_ZN7rocprim17ROCPRIM_400000_NS6detail17trampoline_kernelINS0_14default_configENS1_20scan_config_selectorIlEEZZNS1_9scan_implILNS1_25lookback_scan_determinismE0ELb0ELb0ES3_PlS8_lN6thrust23THRUST_200600_302600_NS4plusIvEElEEDaPvRmT3_T4_T5_mT6_P12ihipStream_tbENKUlT_T0_E_clISt17integral_constantIbLb0EESP_IbLb1EEEEDaSL_SM_EUlSL_E_NS1_11comp_targetILNS1_3genE10ELNS1_11target_archE1200ELNS1_3gpuE4ELNS1_3repE0EEENS1_30default_config_static_selectorELNS0_4arch9wavefront6targetE1EEEvT1_ ; -- Begin function _ZN7rocprim17ROCPRIM_400000_NS6detail17trampoline_kernelINS0_14default_configENS1_20scan_config_selectorIlEEZZNS1_9scan_implILNS1_25lookback_scan_determinismE0ELb0ELb0ES3_PlS8_lN6thrust23THRUST_200600_302600_NS4plusIvEElEEDaPvRmT3_T4_T5_mT6_P12ihipStream_tbENKUlT_T0_E_clISt17integral_constantIbLb0EESP_IbLb1EEEEDaSL_SM_EUlSL_E_NS1_11comp_targetILNS1_3genE10ELNS1_11target_archE1200ELNS1_3gpuE4ELNS1_3repE0EEENS1_30default_config_static_selectorELNS0_4arch9wavefront6targetE1EEEvT1_
	.globl	_ZN7rocprim17ROCPRIM_400000_NS6detail17trampoline_kernelINS0_14default_configENS1_20scan_config_selectorIlEEZZNS1_9scan_implILNS1_25lookback_scan_determinismE0ELb0ELb0ES3_PlS8_lN6thrust23THRUST_200600_302600_NS4plusIvEElEEDaPvRmT3_T4_T5_mT6_P12ihipStream_tbENKUlT_T0_E_clISt17integral_constantIbLb0EESP_IbLb1EEEEDaSL_SM_EUlSL_E_NS1_11comp_targetILNS1_3genE10ELNS1_11target_archE1200ELNS1_3gpuE4ELNS1_3repE0EEENS1_30default_config_static_selectorELNS0_4arch9wavefront6targetE1EEEvT1_
	.p2align	8
	.type	_ZN7rocprim17ROCPRIM_400000_NS6detail17trampoline_kernelINS0_14default_configENS1_20scan_config_selectorIlEEZZNS1_9scan_implILNS1_25lookback_scan_determinismE0ELb0ELb0ES3_PlS8_lN6thrust23THRUST_200600_302600_NS4plusIvEElEEDaPvRmT3_T4_T5_mT6_P12ihipStream_tbENKUlT_T0_E_clISt17integral_constantIbLb0EESP_IbLb1EEEEDaSL_SM_EUlSL_E_NS1_11comp_targetILNS1_3genE10ELNS1_11target_archE1200ELNS1_3gpuE4ELNS1_3repE0EEENS1_30default_config_static_selectorELNS0_4arch9wavefront6targetE1EEEvT1_,@function
_ZN7rocprim17ROCPRIM_400000_NS6detail17trampoline_kernelINS0_14default_configENS1_20scan_config_selectorIlEEZZNS1_9scan_implILNS1_25lookback_scan_determinismE0ELb0ELb0ES3_PlS8_lN6thrust23THRUST_200600_302600_NS4plusIvEElEEDaPvRmT3_T4_T5_mT6_P12ihipStream_tbENKUlT_T0_E_clISt17integral_constantIbLb0EESP_IbLb1EEEEDaSL_SM_EUlSL_E_NS1_11comp_targetILNS1_3genE10ELNS1_11target_archE1200ELNS1_3gpuE4ELNS1_3repE0EEENS1_30default_config_static_selectorELNS0_4arch9wavefront6targetE1EEEvT1_: ; @_ZN7rocprim17ROCPRIM_400000_NS6detail17trampoline_kernelINS0_14default_configENS1_20scan_config_selectorIlEEZZNS1_9scan_implILNS1_25lookback_scan_determinismE0ELb0ELb0ES3_PlS8_lN6thrust23THRUST_200600_302600_NS4plusIvEElEEDaPvRmT3_T4_T5_mT6_P12ihipStream_tbENKUlT_T0_E_clISt17integral_constantIbLb0EESP_IbLb1EEEEDaSL_SM_EUlSL_E_NS1_11comp_targetILNS1_3genE10ELNS1_11target_archE1200ELNS1_3gpuE4ELNS1_3repE0EEENS1_30default_config_static_selectorELNS0_4arch9wavefront6targetE1EEEvT1_
; %bb.0:
	.section	.rodata,"a",@progbits
	.p2align	6, 0x0
	.amdhsa_kernel _ZN7rocprim17ROCPRIM_400000_NS6detail17trampoline_kernelINS0_14default_configENS1_20scan_config_selectorIlEEZZNS1_9scan_implILNS1_25lookback_scan_determinismE0ELb0ELb0ES3_PlS8_lN6thrust23THRUST_200600_302600_NS4plusIvEElEEDaPvRmT3_T4_T5_mT6_P12ihipStream_tbENKUlT_T0_E_clISt17integral_constantIbLb0EESP_IbLb1EEEEDaSL_SM_EUlSL_E_NS1_11comp_targetILNS1_3genE10ELNS1_11target_archE1200ELNS1_3gpuE4ELNS1_3repE0EEENS1_30default_config_static_selectorELNS0_4arch9wavefront6targetE1EEEvT1_
		.amdhsa_group_segment_fixed_size 0
		.amdhsa_private_segment_fixed_size 0
		.amdhsa_kernarg_size 104
		.amdhsa_user_sgpr_count 2
		.amdhsa_user_sgpr_dispatch_ptr 0
		.amdhsa_user_sgpr_queue_ptr 0
		.amdhsa_user_sgpr_kernarg_segment_ptr 1
		.amdhsa_user_sgpr_dispatch_id 0
		.amdhsa_user_sgpr_kernarg_preload_length 0
		.amdhsa_user_sgpr_kernarg_preload_offset 0
		.amdhsa_user_sgpr_private_segment_size 0
		.amdhsa_uses_dynamic_stack 0
		.amdhsa_enable_private_segment 0
		.amdhsa_system_sgpr_workgroup_id_x 1
		.amdhsa_system_sgpr_workgroup_id_y 0
		.amdhsa_system_sgpr_workgroup_id_z 0
		.amdhsa_system_sgpr_workgroup_info 0
		.amdhsa_system_vgpr_workitem_id 0
		.amdhsa_next_free_vgpr 1
		.amdhsa_next_free_sgpr 0
		.amdhsa_accum_offset 4
		.amdhsa_reserve_vcc 0
		.amdhsa_float_round_mode_32 0
		.amdhsa_float_round_mode_16_64 0
		.amdhsa_float_denorm_mode_32 3
		.amdhsa_float_denorm_mode_16_64 3
		.amdhsa_dx10_clamp 1
		.amdhsa_ieee_mode 1
		.amdhsa_fp16_overflow 0
		.amdhsa_tg_split 0
		.amdhsa_exception_fp_ieee_invalid_op 0
		.amdhsa_exception_fp_denorm_src 0
		.amdhsa_exception_fp_ieee_div_zero 0
		.amdhsa_exception_fp_ieee_overflow 0
		.amdhsa_exception_fp_ieee_underflow 0
		.amdhsa_exception_fp_ieee_inexact 0
		.amdhsa_exception_int_div_zero 0
	.end_amdhsa_kernel
	.section	.text._ZN7rocprim17ROCPRIM_400000_NS6detail17trampoline_kernelINS0_14default_configENS1_20scan_config_selectorIlEEZZNS1_9scan_implILNS1_25lookback_scan_determinismE0ELb0ELb0ES3_PlS8_lN6thrust23THRUST_200600_302600_NS4plusIvEElEEDaPvRmT3_T4_T5_mT6_P12ihipStream_tbENKUlT_T0_E_clISt17integral_constantIbLb0EESP_IbLb1EEEEDaSL_SM_EUlSL_E_NS1_11comp_targetILNS1_3genE10ELNS1_11target_archE1200ELNS1_3gpuE4ELNS1_3repE0EEENS1_30default_config_static_selectorELNS0_4arch9wavefront6targetE1EEEvT1_,"axG",@progbits,_ZN7rocprim17ROCPRIM_400000_NS6detail17trampoline_kernelINS0_14default_configENS1_20scan_config_selectorIlEEZZNS1_9scan_implILNS1_25lookback_scan_determinismE0ELb0ELb0ES3_PlS8_lN6thrust23THRUST_200600_302600_NS4plusIvEElEEDaPvRmT3_T4_T5_mT6_P12ihipStream_tbENKUlT_T0_E_clISt17integral_constantIbLb0EESP_IbLb1EEEEDaSL_SM_EUlSL_E_NS1_11comp_targetILNS1_3genE10ELNS1_11target_archE1200ELNS1_3gpuE4ELNS1_3repE0EEENS1_30default_config_static_selectorELNS0_4arch9wavefront6targetE1EEEvT1_,comdat
.Lfunc_end148:
	.size	_ZN7rocprim17ROCPRIM_400000_NS6detail17trampoline_kernelINS0_14default_configENS1_20scan_config_selectorIlEEZZNS1_9scan_implILNS1_25lookback_scan_determinismE0ELb0ELb0ES3_PlS8_lN6thrust23THRUST_200600_302600_NS4plusIvEElEEDaPvRmT3_T4_T5_mT6_P12ihipStream_tbENKUlT_T0_E_clISt17integral_constantIbLb0EESP_IbLb1EEEEDaSL_SM_EUlSL_E_NS1_11comp_targetILNS1_3genE10ELNS1_11target_archE1200ELNS1_3gpuE4ELNS1_3repE0EEENS1_30default_config_static_selectorELNS0_4arch9wavefront6targetE1EEEvT1_, .Lfunc_end148-_ZN7rocprim17ROCPRIM_400000_NS6detail17trampoline_kernelINS0_14default_configENS1_20scan_config_selectorIlEEZZNS1_9scan_implILNS1_25lookback_scan_determinismE0ELb0ELb0ES3_PlS8_lN6thrust23THRUST_200600_302600_NS4plusIvEElEEDaPvRmT3_T4_T5_mT6_P12ihipStream_tbENKUlT_T0_E_clISt17integral_constantIbLb0EESP_IbLb1EEEEDaSL_SM_EUlSL_E_NS1_11comp_targetILNS1_3genE10ELNS1_11target_archE1200ELNS1_3gpuE4ELNS1_3repE0EEENS1_30default_config_static_selectorELNS0_4arch9wavefront6targetE1EEEvT1_
                                        ; -- End function
	.section	.AMDGPU.csdata,"",@progbits
; Kernel info:
; codeLenInByte = 0
; NumSgprs: 6
; NumVgprs: 0
; NumAgprs: 0
; TotalNumVgprs: 0
; ScratchSize: 0
; MemoryBound: 0
; FloatMode: 240
; IeeeMode: 1
; LDSByteSize: 0 bytes/workgroup (compile time only)
; SGPRBlocks: 0
; VGPRBlocks: 0
; NumSGPRsForWavesPerEU: 6
; NumVGPRsForWavesPerEU: 1
; AccumOffset: 4
; Occupancy: 8
; WaveLimiterHint : 0
; COMPUTE_PGM_RSRC2:SCRATCH_EN: 0
; COMPUTE_PGM_RSRC2:USER_SGPR: 2
; COMPUTE_PGM_RSRC2:TRAP_HANDLER: 0
; COMPUTE_PGM_RSRC2:TGID_X_EN: 1
; COMPUTE_PGM_RSRC2:TGID_Y_EN: 0
; COMPUTE_PGM_RSRC2:TGID_Z_EN: 0
; COMPUTE_PGM_RSRC2:TIDIG_COMP_CNT: 0
; COMPUTE_PGM_RSRC3_GFX90A:ACCUM_OFFSET: 0
; COMPUTE_PGM_RSRC3_GFX90A:TG_SPLIT: 0
	.section	.text._ZN7rocprim17ROCPRIM_400000_NS6detail17trampoline_kernelINS0_14default_configENS1_20scan_config_selectorIlEEZZNS1_9scan_implILNS1_25lookback_scan_determinismE0ELb0ELb0ES3_PlS8_lN6thrust23THRUST_200600_302600_NS4plusIvEElEEDaPvRmT3_T4_T5_mT6_P12ihipStream_tbENKUlT_T0_E_clISt17integral_constantIbLb0EESP_IbLb1EEEEDaSL_SM_EUlSL_E_NS1_11comp_targetILNS1_3genE9ELNS1_11target_archE1100ELNS1_3gpuE3ELNS1_3repE0EEENS1_30default_config_static_selectorELNS0_4arch9wavefront6targetE1EEEvT1_,"axG",@progbits,_ZN7rocprim17ROCPRIM_400000_NS6detail17trampoline_kernelINS0_14default_configENS1_20scan_config_selectorIlEEZZNS1_9scan_implILNS1_25lookback_scan_determinismE0ELb0ELb0ES3_PlS8_lN6thrust23THRUST_200600_302600_NS4plusIvEElEEDaPvRmT3_T4_T5_mT6_P12ihipStream_tbENKUlT_T0_E_clISt17integral_constantIbLb0EESP_IbLb1EEEEDaSL_SM_EUlSL_E_NS1_11comp_targetILNS1_3genE9ELNS1_11target_archE1100ELNS1_3gpuE3ELNS1_3repE0EEENS1_30default_config_static_selectorELNS0_4arch9wavefront6targetE1EEEvT1_,comdat
	.protected	_ZN7rocprim17ROCPRIM_400000_NS6detail17trampoline_kernelINS0_14default_configENS1_20scan_config_selectorIlEEZZNS1_9scan_implILNS1_25lookback_scan_determinismE0ELb0ELb0ES3_PlS8_lN6thrust23THRUST_200600_302600_NS4plusIvEElEEDaPvRmT3_T4_T5_mT6_P12ihipStream_tbENKUlT_T0_E_clISt17integral_constantIbLb0EESP_IbLb1EEEEDaSL_SM_EUlSL_E_NS1_11comp_targetILNS1_3genE9ELNS1_11target_archE1100ELNS1_3gpuE3ELNS1_3repE0EEENS1_30default_config_static_selectorELNS0_4arch9wavefront6targetE1EEEvT1_ ; -- Begin function _ZN7rocprim17ROCPRIM_400000_NS6detail17trampoline_kernelINS0_14default_configENS1_20scan_config_selectorIlEEZZNS1_9scan_implILNS1_25lookback_scan_determinismE0ELb0ELb0ES3_PlS8_lN6thrust23THRUST_200600_302600_NS4plusIvEElEEDaPvRmT3_T4_T5_mT6_P12ihipStream_tbENKUlT_T0_E_clISt17integral_constantIbLb0EESP_IbLb1EEEEDaSL_SM_EUlSL_E_NS1_11comp_targetILNS1_3genE9ELNS1_11target_archE1100ELNS1_3gpuE3ELNS1_3repE0EEENS1_30default_config_static_selectorELNS0_4arch9wavefront6targetE1EEEvT1_
	.globl	_ZN7rocprim17ROCPRIM_400000_NS6detail17trampoline_kernelINS0_14default_configENS1_20scan_config_selectorIlEEZZNS1_9scan_implILNS1_25lookback_scan_determinismE0ELb0ELb0ES3_PlS8_lN6thrust23THRUST_200600_302600_NS4plusIvEElEEDaPvRmT3_T4_T5_mT6_P12ihipStream_tbENKUlT_T0_E_clISt17integral_constantIbLb0EESP_IbLb1EEEEDaSL_SM_EUlSL_E_NS1_11comp_targetILNS1_3genE9ELNS1_11target_archE1100ELNS1_3gpuE3ELNS1_3repE0EEENS1_30default_config_static_selectorELNS0_4arch9wavefront6targetE1EEEvT1_
	.p2align	8
	.type	_ZN7rocprim17ROCPRIM_400000_NS6detail17trampoline_kernelINS0_14default_configENS1_20scan_config_selectorIlEEZZNS1_9scan_implILNS1_25lookback_scan_determinismE0ELb0ELb0ES3_PlS8_lN6thrust23THRUST_200600_302600_NS4plusIvEElEEDaPvRmT3_T4_T5_mT6_P12ihipStream_tbENKUlT_T0_E_clISt17integral_constantIbLb0EESP_IbLb1EEEEDaSL_SM_EUlSL_E_NS1_11comp_targetILNS1_3genE9ELNS1_11target_archE1100ELNS1_3gpuE3ELNS1_3repE0EEENS1_30default_config_static_selectorELNS0_4arch9wavefront6targetE1EEEvT1_,@function
_ZN7rocprim17ROCPRIM_400000_NS6detail17trampoline_kernelINS0_14default_configENS1_20scan_config_selectorIlEEZZNS1_9scan_implILNS1_25lookback_scan_determinismE0ELb0ELb0ES3_PlS8_lN6thrust23THRUST_200600_302600_NS4plusIvEElEEDaPvRmT3_T4_T5_mT6_P12ihipStream_tbENKUlT_T0_E_clISt17integral_constantIbLb0EESP_IbLb1EEEEDaSL_SM_EUlSL_E_NS1_11comp_targetILNS1_3genE9ELNS1_11target_archE1100ELNS1_3gpuE3ELNS1_3repE0EEENS1_30default_config_static_selectorELNS0_4arch9wavefront6targetE1EEEvT1_: ; @_ZN7rocprim17ROCPRIM_400000_NS6detail17trampoline_kernelINS0_14default_configENS1_20scan_config_selectorIlEEZZNS1_9scan_implILNS1_25lookback_scan_determinismE0ELb0ELb0ES3_PlS8_lN6thrust23THRUST_200600_302600_NS4plusIvEElEEDaPvRmT3_T4_T5_mT6_P12ihipStream_tbENKUlT_T0_E_clISt17integral_constantIbLb0EESP_IbLb1EEEEDaSL_SM_EUlSL_E_NS1_11comp_targetILNS1_3genE9ELNS1_11target_archE1100ELNS1_3gpuE3ELNS1_3repE0EEENS1_30default_config_static_selectorELNS0_4arch9wavefront6targetE1EEEvT1_
; %bb.0:
	.section	.rodata,"a",@progbits
	.p2align	6, 0x0
	.amdhsa_kernel _ZN7rocprim17ROCPRIM_400000_NS6detail17trampoline_kernelINS0_14default_configENS1_20scan_config_selectorIlEEZZNS1_9scan_implILNS1_25lookback_scan_determinismE0ELb0ELb0ES3_PlS8_lN6thrust23THRUST_200600_302600_NS4plusIvEElEEDaPvRmT3_T4_T5_mT6_P12ihipStream_tbENKUlT_T0_E_clISt17integral_constantIbLb0EESP_IbLb1EEEEDaSL_SM_EUlSL_E_NS1_11comp_targetILNS1_3genE9ELNS1_11target_archE1100ELNS1_3gpuE3ELNS1_3repE0EEENS1_30default_config_static_selectorELNS0_4arch9wavefront6targetE1EEEvT1_
		.amdhsa_group_segment_fixed_size 0
		.amdhsa_private_segment_fixed_size 0
		.amdhsa_kernarg_size 104
		.amdhsa_user_sgpr_count 2
		.amdhsa_user_sgpr_dispatch_ptr 0
		.amdhsa_user_sgpr_queue_ptr 0
		.amdhsa_user_sgpr_kernarg_segment_ptr 1
		.amdhsa_user_sgpr_dispatch_id 0
		.amdhsa_user_sgpr_kernarg_preload_length 0
		.amdhsa_user_sgpr_kernarg_preload_offset 0
		.amdhsa_user_sgpr_private_segment_size 0
		.amdhsa_uses_dynamic_stack 0
		.amdhsa_enable_private_segment 0
		.amdhsa_system_sgpr_workgroup_id_x 1
		.amdhsa_system_sgpr_workgroup_id_y 0
		.amdhsa_system_sgpr_workgroup_id_z 0
		.amdhsa_system_sgpr_workgroup_info 0
		.amdhsa_system_vgpr_workitem_id 0
		.amdhsa_next_free_vgpr 1
		.amdhsa_next_free_sgpr 0
		.amdhsa_accum_offset 4
		.amdhsa_reserve_vcc 0
		.amdhsa_float_round_mode_32 0
		.amdhsa_float_round_mode_16_64 0
		.amdhsa_float_denorm_mode_32 3
		.amdhsa_float_denorm_mode_16_64 3
		.amdhsa_dx10_clamp 1
		.amdhsa_ieee_mode 1
		.amdhsa_fp16_overflow 0
		.amdhsa_tg_split 0
		.amdhsa_exception_fp_ieee_invalid_op 0
		.amdhsa_exception_fp_denorm_src 0
		.amdhsa_exception_fp_ieee_div_zero 0
		.amdhsa_exception_fp_ieee_overflow 0
		.amdhsa_exception_fp_ieee_underflow 0
		.amdhsa_exception_fp_ieee_inexact 0
		.amdhsa_exception_int_div_zero 0
	.end_amdhsa_kernel
	.section	.text._ZN7rocprim17ROCPRIM_400000_NS6detail17trampoline_kernelINS0_14default_configENS1_20scan_config_selectorIlEEZZNS1_9scan_implILNS1_25lookback_scan_determinismE0ELb0ELb0ES3_PlS8_lN6thrust23THRUST_200600_302600_NS4plusIvEElEEDaPvRmT3_T4_T5_mT6_P12ihipStream_tbENKUlT_T0_E_clISt17integral_constantIbLb0EESP_IbLb1EEEEDaSL_SM_EUlSL_E_NS1_11comp_targetILNS1_3genE9ELNS1_11target_archE1100ELNS1_3gpuE3ELNS1_3repE0EEENS1_30default_config_static_selectorELNS0_4arch9wavefront6targetE1EEEvT1_,"axG",@progbits,_ZN7rocprim17ROCPRIM_400000_NS6detail17trampoline_kernelINS0_14default_configENS1_20scan_config_selectorIlEEZZNS1_9scan_implILNS1_25lookback_scan_determinismE0ELb0ELb0ES3_PlS8_lN6thrust23THRUST_200600_302600_NS4plusIvEElEEDaPvRmT3_T4_T5_mT6_P12ihipStream_tbENKUlT_T0_E_clISt17integral_constantIbLb0EESP_IbLb1EEEEDaSL_SM_EUlSL_E_NS1_11comp_targetILNS1_3genE9ELNS1_11target_archE1100ELNS1_3gpuE3ELNS1_3repE0EEENS1_30default_config_static_selectorELNS0_4arch9wavefront6targetE1EEEvT1_,comdat
.Lfunc_end149:
	.size	_ZN7rocprim17ROCPRIM_400000_NS6detail17trampoline_kernelINS0_14default_configENS1_20scan_config_selectorIlEEZZNS1_9scan_implILNS1_25lookback_scan_determinismE0ELb0ELb0ES3_PlS8_lN6thrust23THRUST_200600_302600_NS4plusIvEElEEDaPvRmT3_T4_T5_mT6_P12ihipStream_tbENKUlT_T0_E_clISt17integral_constantIbLb0EESP_IbLb1EEEEDaSL_SM_EUlSL_E_NS1_11comp_targetILNS1_3genE9ELNS1_11target_archE1100ELNS1_3gpuE3ELNS1_3repE0EEENS1_30default_config_static_selectorELNS0_4arch9wavefront6targetE1EEEvT1_, .Lfunc_end149-_ZN7rocprim17ROCPRIM_400000_NS6detail17trampoline_kernelINS0_14default_configENS1_20scan_config_selectorIlEEZZNS1_9scan_implILNS1_25lookback_scan_determinismE0ELb0ELb0ES3_PlS8_lN6thrust23THRUST_200600_302600_NS4plusIvEElEEDaPvRmT3_T4_T5_mT6_P12ihipStream_tbENKUlT_T0_E_clISt17integral_constantIbLb0EESP_IbLb1EEEEDaSL_SM_EUlSL_E_NS1_11comp_targetILNS1_3genE9ELNS1_11target_archE1100ELNS1_3gpuE3ELNS1_3repE0EEENS1_30default_config_static_selectorELNS0_4arch9wavefront6targetE1EEEvT1_
                                        ; -- End function
	.section	.AMDGPU.csdata,"",@progbits
; Kernel info:
; codeLenInByte = 0
; NumSgprs: 6
; NumVgprs: 0
; NumAgprs: 0
; TotalNumVgprs: 0
; ScratchSize: 0
; MemoryBound: 0
; FloatMode: 240
; IeeeMode: 1
; LDSByteSize: 0 bytes/workgroup (compile time only)
; SGPRBlocks: 0
; VGPRBlocks: 0
; NumSGPRsForWavesPerEU: 6
; NumVGPRsForWavesPerEU: 1
; AccumOffset: 4
; Occupancy: 8
; WaveLimiterHint : 0
; COMPUTE_PGM_RSRC2:SCRATCH_EN: 0
; COMPUTE_PGM_RSRC2:USER_SGPR: 2
; COMPUTE_PGM_RSRC2:TRAP_HANDLER: 0
; COMPUTE_PGM_RSRC2:TGID_X_EN: 1
; COMPUTE_PGM_RSRC2:TGID_Y_EN: 0
; COMPUTE_PGM_RSRC2:TGID_Z_EN: 0
; COMPUTE_PGM_RSRC2:TIDIG_COMP_CNT: 0
; COMPUTE_PGM_RSRC3_GFX90A:ACCUM_OFFSET: 0
; COMPUTE_PGM_RSRC3_GFX90A:TG_SPLIT: 0
	.section	.text._ZN7rocprim17ROCPRIM_400000_NS6detail17trampoline_kernelINS0_14default_configENS1_20scan_config_selectorIlEEZZNS1_9scan_implILNS1_25lookback_scan_determinismE0ELb0ELb0ES3_PlS8_lN6thrust23THRUST_200600_302600_NS4plusIvEElEEDaPvRmT3_T4_T5_mT6_P12ihipStream_tbENKUlT_T0_E_clISt17integral_constantIbLb0EESP_IbLb1EEEEDaSL_SM_EUlSL_E_NS1_11comp_targetILNS1_3genE8ELNS1_11target_archE1030ELNS1_3gpuE2ELNS1_3repE0EEENS1_30default_config_static_selectorELNS0_4arch9wavefront6targetE1EEEvT1_,"axG",@progbits,_ZN7rocprim17ROCPRIM_400000_NS6detail17trampoline_kernelINS0_14default_configENS1_20scan_config_selectorIlEEZZNS1_9scan_implILNS1_25lookback_scan_determinismE0ELb0ELb0ES3_PlS8_lN6thrust23THRUST_200600_302600_NS4plusIvEElEEDaPvRmT3_T4_T5_mT6_P12ihipStream_tbENKUlT_T0_E_clISt17integral_constantIbLb0EESP_IbLb1EEEEDaSL_SM_EUlSL_E_NS1_11comp_targetILNS1_3genE8ELNS1_11target_archE1030ELNS1_3gpuE2ELNS1_3repE0EEENS1_30default_config_static_selectorELNS0_4arch9wavefront6targetE1EEEvT1_,comdat
	.protected	_ZN7rocprim17ROCPRIM_400000_NS6detail17trampoline_kernelINS0_14default_configENS1_20scan_config_selectorIlEEZZNS1_9scan_implILNS1_25lookback_scan_determinismE0ELb0ELb0ES3_PlS8_lN6thrust23THRUST_200600_302600_NS4plusIvEElEEDaPvRmT3_T4_T5_mT6_P12ihipStream_tbENKUlT_T0_E_clISt17integral_constantIbLb0EESP_IbLb1EEEEDaSL_SM_EUlSL_E_NS1_11comp_targetILNS1_3genE8ELNS1_11target_archE1030ELNS1_3gpuE2ELNS1_3repE0EEENS1_30default_config_static_selectorELNS0_4arch9wavefront6targetE1EEEvT1_ ; -- Begin function _ZN7rocprim17ROCPRIM_400000_NS6detail17trampoline_kernelINS0_14default_configENS1_20scan_config_selectorIlEEZZNS1_9scan_implILNS1_25lookback_scan_determinismE0ELb0ELb0ES3_PlS8_lN6thrust23THRUST_200600_302600_NS4plusIvEElEEDaPvRmT3_T4_T5_mT6_P12ihipStream_tbENKUlT_T0_E_clISt17integral_constantIbLb0EESP_IbLb1EEEEDaSL_SM_EUlSL_E_NS1_11comp_targetILNS1_3genE8ELNS1_11target_archE1030ELNS1_3gpuE2ELNS1_3repE0EEENS1_30default_config_static_selectorELNS0_4arch9wavefront6targetE1EEEvT1_
	.globl	_ZN7rocprim17ROCPRIM_400000_NS6detail17trampoline_kernelINS0_14default_configENS1_20scan_config_selectorIlEEZZNS1_9scan_implILNS1_25lookback_scan_determinismE0ELb0ELb0ES3_PlS8_lN6thrust23THRUST_200600_302600_NS4plusIvEElEEDaPvRmT3_T4_T5_mT6_P12ihipStream_tbENKUlT_T0_E_clISt17integral_constantIbLb0EESP_IbLb1EEEEDaSL_SM_EUlSL_E_NS1_11comp_targetILNS1_3genE8ELNS1_11target_archE1030ELNS1_3gpuE2ELNS1_3repE0EEENS1_30default_config_static_selectorELNS0_4arch9wavefront6targetE1EEEvT1_
	.p2align	8
	.type	_ZN7rocprim17ROCPRIM_400000_NS6detail17trampoline_kernelINS0_14default_configENS1_20scan_config_selectorIlEEZZNS1_9scan_implILNS1_25lookback_scan_determinismE0ELb0ELb0ES3_PlS8_lN6thrust23THRUST_200600_302600_NS4plusIvEElEEDaPvRmT3_T4_T5_mT6_P12ihipStream_tbENKUlT_T0_E_clISt17integral_constantIbLb0EESP_IbLb1EEEEDaSL_SM_EUlSL_E_NS1_11comp_targetILNS1_3genE8ELNS1_11target_archE1030ELNS1_3gpuE2ELNS1_3repE0EEENS1_30default_config_static_selectorELNS0_4arch9wavefront6targetE1EEEvT1_,@function
_ZN7rocprim17ROCPRIM_400000_NS6detail17trampoline_kernelINS0_14default_configENS1_20scan_config_selectorIlEEZZNS1_9scan_implILNS1_25lookback_scan_determinismE0ELb0ELb0ES3_PlS8_lN6thrust23THRUST_200600_302600_NS4plusIvEElEEDaPvRmT3_T4_T5_mT6_P12ihipStream_tbENKUlT_T0_E_clISt17integral_constantIbLb0EESP_IbLb1EEEEDaSL_SM_EUlSL_E_NS1_11comp_targetILNS1_3genE8ELNS1_11target_archE1030ELNS1_3gpuE2ELNS1_3repE0EEENS1_30default_config_static_selectorELNS0_4arch9wavefront6targetE1EEEvT1_: ; @_ZN7rocprim17ROCPRIM_400000_NS6detail17trampoline_kernelINS0_14default_configENS1_20scan_config_selectorIlEEZZNS1_9scan_implILNS1_25lookback_scan_determinismE0ELb0ELb0ES3_PlS8_lN6thrust23THRUST_200600_302600_NS4plusIvEElEEDaPvRmT3_T4_T5_mT6_P12ihipStream_tbENKUlT_T0_E_clISt17integral_constantIbLb0EESP_IbLb1EEEEDaSL_SM_EUlSL_E_NS1_11comp_targetILNS1_3genE8ELNS1_11target_archE1030ELNS1_3gpuE2ELNS1_3repE0EEENS1_30default_config_static_selectorELNS0_4arch9wavefront6targetE1EEEvT1_
; %bb.0:
	.section	.rodata,"a",@progbits
	.p2align	6, 0x0
	.amdhsa_kernel _ZN7rocprim17ROCPRIM_400000_NS6detail17trampoline_kernelINS0_14default_configENS1_20scan_config_selectorIlEEZZNS1_9scan_implILNS1_25lookback_scan_determinismE0ELb0ELb0ES3_PlS8_lN6thrust23THRUST_200600_302600_NS4plusIvEElEEDaPvRmT3_T4_T5_mT6_P12ihipStream_tbENKUlT_T0_E_clISt17integral_constantIbLb0EESP_IbLb1EEEEDaSL_SM_EUlSL_E_NS1_11comp_targetILNS1_3genE8ELNS1_11target_archE1030ELNS1_3gpuE2ELNS1_3repE0EEENS1_30default_config_static_selectorELNS0_4arch9wavefront6targetE1EEEvT1_
		.amdhsa_group_segment_fixed_size 0
		.amdhsa_private_segment_fixed_size 0
		.amdhsa_kernarg_size 104
		.amdhsa_user_sgpr_count 2
		.amdhsa_user_sgpr_dispatch_ptr 0
		.amdhsa_user_sgpr_queue_ptr 0
		.amdhsa_user_sgpr_kernarg_segment_ptr 1
		.amdhsa_user_sgpr_dispatch_id 0
		.amdhsa_user_sgpr_kernarg_preload_length 0
		.amdhsa_user_sgpr_kernarg_preload_offset 0
		.amdhsa_user_sgpr_private_segment_size 0
		.amdhsa_uses_dynamic_stack 0
		.amdhsa_enable_private_segment 0
		.amdhsa_system_sgpr_workgroup_id_x 1
		.amdhsa_system_sgpr_workgroup_id_y 0
		.amdhsa_system_sgpr_workgroup_id_z 0
		.amdhsa_system_sgpr_workgroup_info 0
		.amdhsa_system_vgpr_workitem_id 0
		.amdhsa_next_free_vgpr 1
		.amdhsa_next_free_sgpr 0
		.amdhsa_accum_offset 4
		.amdhsa_reserve_vcc 0
		.amdhsa_float_round_mode_32 0
		.amdhsa_float_round_mode_16_64 0
		.amdhsa_float_denorm_mode_32 3
		.amdhsa_float_denorm_mode_16_64 3
		.amdhsa_dx10_clamp 1
		.amdhsa_ieee_mode 1
		.amdhsa_fp16_overflow 0
		.amdhsa_tg_split 0
		.amdhsa_exception_fp_ieee_invalid_op 0
		.amdhsa_exception_fp_denorm_src 0
		.amdhsa_exception_fp_ieee_div_zero 0
		.amdhsa_exception_fp_ieee_overflow 0
		.amdhsa_exception_fp_ieee_underflow 0
		.amdhsa_exception_fp_ieee_inexact 0
		.amdhsa_exception_int_div_zero 0
	.end_amdhsa_kernel
	.section	.text._ZN7rocprim17ROCPRIM_400000_NS6detail17trampoline_kernelINS0_14default_configENS1_20scan_config_selectorIlEEZZNS1_9scan_implILNS1_25lookback_scan_determinismE0ELb0ELb0ES3_PlS8_lN6thrust23THRUST_200600_302600_NS4plusIvEElEEDaPvRmT3_T4_T5_mT6_P12ihipStream_tbENKUlT_T0_E_clISt17integral_constantIbLb0EESP_IbLb1EEEEDaSL_SM_EUlSL_E_NS1_11comp_targetILNS1_3genE8ELNS1_11target_archE1030ELNS1_3gpuE2ELNS1_3repE0EEENS1_30default_config_static_selectorELNS0_4arch9wavefront6targetE1EEEvT1_,"axG",@progbits,_ZN7rocprim17ROCPRIM_400000_NS6detail17trampoline_kernelINS0_14default_configENS1_20scan_config_selectorIlEEZZNS1_9scan_implILNS1_25lookback_scan_determinismE0ELb0ELb0ES3_PlS8_lN6thrust23THRUST_200600_302600_NS4plusIvEElEEDaPvRmT3_T4_T5_mT6_P12ihipStream_tbENKUlT_T0_E_clISt17integral_constantIbLb0EESP_IbLb1EEEEDaSL_SM_EUlSL_E_NS1_11comp_targetILNS1_3genE8ELNS1_11target_archE1030ELNS1_3gpuE2ELNS1_3repE0EEENS1_30default_config_static_selectorELNS0_4arch9wavefront6targetE1EEEvT1_,comdat
.Lfunc_end150:
	.size	_ZN7rocprim17ROCPRIM_400000_NS6detail17trampoline_kernelINS0_14default_configENS1_20scan_config_selectorIlEEZZNS1_9scan_implILNS1_25lookback_scan_determinismE0ELb0ELb0ES3_PlS8_lN6thrust23THRUST_200600_302600_NS4plusIvEElEEDaPvRmT3_T4_T5_mT6_P12ihipStream_tbENKUlT_T0_E_clISt17integral_constantIbLb0EESP_IbLb1EEEEDaSL_SM_EUlSL_E_NS1_11comp_targetILNS1_3genE8ELNS1_11target_archE1030ELNS1_3gpuE2ELNS1_3repE0EEENS1_30default_config_static_selectorELNS0_4arch9wavefront6targetE1EEEvT1_, .Lfunc_end150-_ZN7rocprim17ROCPRIM_400000_NS6detail17trampoline_kernelINS0_14default_configENS1_20scan_config_selectorIlEEZZNS1_9scan_implILNS1_25lookback_scan_determinismE0ELb0ELb0ES3_PlS8_lN6thrust23THRUST_200600_302600_NS4plusIvEElEEDaPvRmT3_T4_T5_mT6_P12ihipStream_tbENKUlT_T0_E_clISt17integral_constantIbLb0EESP_IbLb1EEEEDaSL_SM_EUlSL_E_NS1_11comp_targetILNS1_3genE8ELNS1_11target_archE1030ELNS1_3gpuE2ELNS1_3repE0EEENS1_30default_config_static_selectorELNS0_4arch9wavefront6targetE1EEEvT1_
                                        ; -- End function
	.section	.AMDGPU.csdata,"",@progbits
; Kernel info:
; codeLenInByte = 0
; NumSgprs: 6
; NumVgprs: 0
; NumAgprs: 0
; TotalNumVgprs: 0
; ScratchSize: 0
; MemoryBound: 0
; FloatMode: 240
; IeeeMode: 1
; LDSByteSize: 0 bytes/workgroup (compile time only)
; SGPRBlocks: 0
; VGPRBlocks: 0
; NumSGPRsForWavesPerEU: 6
; NumVGPRsForWavesPerEU: 1
; AccumOffset: 4
; Occupancy: 8
; WaveLimiterHint : 0
; COMPUTE_PGM_RSRC2:SCRATCH_EN: 0
; COMPUTE_PGM_RSRC2:USER_SGPR: 2
; COMPUTE_PGM_RSRC2:TRAP_HANDLER: 0
; COMPUTE_PGM_RSRC2:TGID_X_EN: 1
; COMPUTE_PGM_RSRC2:TGID_Y_EN: 0
; COMPUTE_PGM_RSRC2:TGID_Z_EN: 0
; COMPUTE_PGM_RSRC2:TIDIG_COMP_CNT: 0
; COMPUTE_PGM_RSRC3_GFX90A:ACCUM_OFFSET: 0
; COMPUTE_PGM_RSRC3_GFX90A:TG_SPLIT: 0
	.section	.text._ZN7rocprim17ROCPRIM_400000_NS6detail17trampoline_kernelINS0_14default_configENS1_20scan_config_selectorIlEEZZNS1_9scan_implILNS1_25lookback_scan_determinismE0ELb0ELb0ES3_PlS8_lN6thrust23THRUST_200600_302600_NS4plusIvEElEEDaPvRmT3_T4_T5_mT6_P12ihipStream_tbENKUlT_T0_E_clISt17integral_constantIbLb0EESP_IbLb1EEEEDaSL_SM_EUlSL_E0_NS1_11comp_targetILNS1_3genE0ELNS1_11target_archE4294967295ELNS1_3gpuE0ELNS1_3repE0EEENS1_30default_config_static_selectorELNS0_4arch9wavefront6targetE1EEEvT1_,"axG",@progbits,_ZN7rocprim17ROCPRIM_400000_NS6detail17trampoline_kernelINS0_14default_configENS1_20scan_config_selectorIlEEZZNS1_9scan_implILNS1_25lookback_scan_determinismE0ELb0ELb0ES3_PlS8_lN6thrust23THRUST_200600_302600_NS4plusIvEElEEDaPvRmT3_T4_T5_mT6_P12ihipStream_tbENKUlT_T0_E_clISt17integral_constantIbLb0EESP_IbLb1EEEEDaSL_SM_EUlSL_E0_NS1_11comp_targetILNS1_3genE0ELNS1_11target_archE4294967295ELNS1_3gpuE0ELNS1_3repE0EEENS1_30default_config_static_selectorELNS0_4arch9wavefront6targetE1EEEvT1_,comdat
	.protected	_ZN7rocprim17ROCPRIM_400000_NS6detail17trampoline_kernelINS0_14default_configENS1_20scan_config_selectorIlEEZZNS1_9scan_implILNS1_25lookback_scan_determinismE0ELb0ELb0ES3_PlS8_lN6thrust23THRUST_200600_302600_NS4plusIvEElEEDaPvRmT3_T4_T5_mT6_P12ihipStream_tbENKUlT_T0_E_clISt17integral_constantIbLb0EESP_IbLb1EEEEDaSL_SM_EUlSL_E0_NS1_11comp_targetILNS1_3genE0ELNS1_11target_archE4294967295ELNS1_3gpuE0ELNS1_3repE0EEENS1_30default_config_static_selectorELNS0_4arch9wavefront6targetE1EEEvT1_ ; -- Begin function _ZN7rocprim17ROCPRIM_400000_NS6detail17trampoline_kernelINS0_14default_configENS1_20scan_config_selectorIlEEZZNS1_9scan_implILNS1_25lookback_scan_determinismE0ELb0ELb0ES3_PlS8_lN6thrust23THRUST_200600_302600_NS4plusIvEElEEDaPvRmT3_T4_T5_mT6_P12ihipStream_tbENKUlT_T0_E_clISt17integral_constantIbLb0EESP_IbLb1EEEEDaSL_SM_EUlSL_E0_NS1_11comp_targetILNS1_3genE0ELNS1_11target_archE4294967295ELNS1_3gpuE0ELNS1_3repE0EEENS1_30default_config_static_selectorELNS0_4arch9wavefront6targetE1EEEvT1_
	.globl	_ZN7rocprim17ROCPRIM_400000_NS6detail17trampoline_kernelINS0_14default_configENS1_20scan_config_selectorIlEEZZNS1_9scan_implILNS1_25lookback_scan_determinismE0ELb0ELb0ES3_PlS8_lN6thrust23THRUST_200600_302600_NS4plusIvEElEEDaPvRmT3_T4_T5_mT6_P12ihipStream_tbENKUlT_T0_E_clISt17integral_constantIbLb0EESP_IbLb1EEEEDaSL_SM_EUlSL_E0_NS1_11comp_targetILNS1_3genE0ELNS1_11target_archE4294967295ELNS1_3gpuE0ELNS1_3repE0EEENS1_30default_config_static_selectorELNS0_4arch9wavefront6targetE1EEEvT1_
	.p2align	8
	.type	_ZN7rocprim17ROCPRIM_400000_NS6detail17trampoline_kernelINS0_14default_configENS1_20scan_config_selectorIlEEZZNS1_9scan_implILNS1_25lookback_scan_determinismE0ELb0ELb0ES3_PlS8_lN6thrust23THRUST_200600_302600_NS4plusIvEElEEDaPvRmT3_T4_T5_mT6_P12ihipStream_tbENKUlT_T0_E_clISt17integral_constantIbLb0EESP_IbLb1EEEEDaSL_SM_EUlSL_E0_NS1_11comp_targetILNS1_3genE0ELNS1_11target_archE4294967295ELNS1_3gpuE0ELNS1_3repE0EEENS1_30default_config_static_selectorELNS0_4arch9wavefront6targetE1EEEvT1_,@function
_ZN7rocprim17ROCPRIM_400000_NS6detail17trampoline_kernelINS0_14default_configENS1_20scan_config_selectorIlEEZZNS1_9scan_implILNS1_25lookback_scan_determinismE0ELb0ELb0ES3_PlS8_lN6thrust23THRUST_200600_302600_NS4plusIvEElEEDaPvRmT3_T4_T5_mT6_P12ihipStream_tbENKUlT_T0_E_clISt17integral_constantIbLb0EESP_IbLb1EEEEDaSL_SM_EUlSL_E0_NS1_11comp_targetILNS1_3genE0ELNS1_11target_archE4294967295ELNS1_3gpuE0ELNS1_3repE0EEENS1_30default_config_static_selectorELNS0_4arch9wavefront6targetE1EEEvT1_: ; @_ZN7rocprim17ROCPRIM_400000_NS6detail17trampoline_kernelINS0_14default_configENS1_20scan_config_selectorIlEEZZNS1_9scan_implILNS1_25lookback_scan_determinismE0ELb0ELb0ES3_PlS8_lN6thrust23THRUST_200600_302600_NS4plusIvEElEEDaPvRmT3_T4_T5_mT6_P12ihipStream_tbENKUlT_T0_E_clISt17integral_constantIbLb0EESP_IbLb1EEEEDaSL_SM_EUlSL_E0_NS1_11comp_targetILNS1_3genE0ELNS1_11target_archE4294967295ELNS1_3gpuE0ELNS1_3repE0EEENS1_30default_config_static_selectorELNS0_4arch9wavefront6targetE1EEEvT1_
; %bb.0:
	.section	.rodata,"a",@progbits
	.p2align	6, 0x0
	.amdhsa_kernel _ZN7rocprim17ROCPRIM_400000_NS6detail17trampoline_kernelINS0_14default_configENS1_20scan_config_selectorIlEEZZNS1_9scan_implILNS1_25lookback_scan_determinismE0ELb0ELb0ES3_PlS8_lN6thrust23THRUST_200600_302600_NS4plusIvEElEEDaPvRmT3_T4_T5_mT6_P12ihipStream_tbENKUlT_T0_E_clISt17integral_constantIbLb0EESP_IbLb1EEEEDaSL_SM_EUlSL_E0_NS1_11comp_targetILNS1_3genE0ELNS1_11target_archE4294967295ELNS1_3gpuE0ELNS1_3repE0EEENS1_30default_config_static_selectorELNS0_4arch9wavefront6targetE1EEEvT1_
		.amdhsa_group_segment_fixed_size 0
		.amdhsa_private_segment_fixed_size 0
		.amdhsa_kernarg_size 40
		.amdhsa_user_sgpr_count 2
		.amdhsa_user_sgpr_dispatch_ptr 0
		.amdhsa_user_sgpr_queue_ptr 0
		.amdhsa_user_sgpr_kernarg_segment_ptr 1
		.amdhsa_user_sgpr_dispatch_id 0
		.amdhsa_user_sgpr_kernarg_preload_length 0
		.amdhsa_user_sgpr_kernarg_preload_offset 0
		.amdhsa_user_sgpr_private_segment_size 0
		.amdhsa_uses_dynamic_stack 0
		.amdhsa_enable_private_segment 0
		.amdhsa_system_sgpr_workgroup_id_x 1
		.amdhsa_system_sgpr_workgroup_id_y 0
		.amdhsa_system_sgpr_workgroup_id_z 0
		.amdhsa_system_sgpr_workgroup_info 0
		.amdhsa_system_vgpr_workitem_id 0
		.amdhsa_next_free_vgpr 1
		.amdhsa_next_free_sgpr 0
		.amdhsa_accum_offset 4
		.amdhsa_reserve_vcc 0
		.amdhsa_float_round_mode_32 0
		.amdhsa_float_round_mode_16_64 0
		.amdhsa_float_denorm_mode_32 3
		.amdhsa_float_denorm_mode_16_64 3
		.amdhsa_dx10_clamp 1
		.amdhsa_ieee_mode 1
		.amdhsa_fp16_overflow 0
		.amdhsa_tg_split 0
		.amdhsa_exception_fp_ieee_invalid_op 0
		.amdhsa_exception_fp_denorm_src 0
		.amdhsa_exception_fp_ieee_div_zero 0
		.amdhsa_exception_fp_ieee_overflow 0
		.amdhsa_exception_fp_ieee_underflow 0
		.amdhsa_exception_fp_ieee_inexact 0
		.amdhsa_exception_int_div_zero 0
	.end_amdhsa_kernel
	.section	.text._ZN7rocprim17ROCPRIM_400000_NS6detail17trampoline_kernelINS0_14default_configENS1_20scan_config_selectorIlEEZZNS1_9scan_implILNS1_25lookback_scan_determinismE0ELb0ELb0ES3_PlS8_lN6thrust23THRUST_200600_302600_NS4plusIvEElEEDaPvRmT3_T4_T5_mT6_P12ihipStream_tbENKUlT_T0_E_clISt17integral_constantIbLb0EESP_IbLb1EEEEDaSL_SM_EUlSL_E0_NS1_11comp_targetILNS1_3genE0ELNS1_11target_archE4294967295ELNS1_3gpuE0ELNS1_3repE0EEENS1_30default_config_static_selectorELNS0_4arch9wavefront6targetE1EEEvT1_,"axG",@progbits,_ZN7rocprim17ROCPRIM_400000_NS6detail17trampoline_kernelINS0_14default_configENS1_20scan_config_selectorIlEEZZNS1_9scan_implILNS1_25lookback_scan_determinismE0ELb0ELb0ES3_PlS8_lN6thrust23THRUST_200600_302600_NS4plusIvEElEEDaPvRmT3_T4_T5_mT6_P12ihipStream_tbENKUlT_T0_E_clISt17integral_constantIbLb0EESP_IbLb1EEEEDaSL_SM_EUlSL_E0_NS1_11comp_targetILNS1_3genE0ELNS1_11target_archE4294967295ELNS1_3gpuE0ELNS1_3repE0EEENS1_30default_config_static_selectorELNS0_4arch9wavefront6targetE1EEEvT1_,comdat
.Lfunc_end151:
	.size	_ZN7rocprim17ROCPRIM_400000_NS6detail17trampoline_kernelINS0_14default_configENS1_20scan_config_selectorIlEEZZNS1_9scan_implILNS1_25lookback_scan_determinismE0ELb0ELb0ES3_PlS8_lN6thrust23THRUST_200600_302600_NS4plusIvEElEEDaPvRmT3_T4_T5_mT6_P12ihipStream_tbENKUlT_T0_E_clISt17integral_constantIbLb0EESP_IbLb1EEEEDaSL_SM_EUlSL_E0_NS1_11comp_targetILNS1_3genE0ELNS1_11target_archE4294967295ELNS1_3gpuE0ELNS1_3repE0EEENS1_30default_config_static_selectorELNS0_4arch9wavefront6targetE1EEEvT1_, .Lfunc_end151-_ZN7rocprim17ROCPRIM_400000_NS6detail17trampoline_kernelINS0_14default_configENS1_20scan_config_selectorIlEEZZNS1_9scan_implILNS1_25lookback_scan_determinismE0ELb0ELb0ES3_PlS8_lN6thrust23THRUST_200600_302600_NS4plusIvEElEEDaPvRmT3_T4_T5_mT6_P12ihipStream_tbENKUlT_T0_E_clISt17integral_constantIbLb0EESP_IbLb1EEEEDaSL_SM_EUlSL_E0_NS1_11comp_targetILNS1_3genE0ELNS1_11target_archE4294967295ELNS1_3gpuE0ELNS1_3repE0EEENS1_30default_config_static_selectorELNS0_4arch9wavefront6targetE1EEEvT1_
                                        ; -- End function
	.section	.AMDGPU.csdata,"",@progbits
; Kernel info:
; codeLenInByte = 0
; NumSgprs: 6
; NumVgprs: 0
; NumAgprs: 0
; TotalNumVgprs: 0
; ScratchSize: 0
; MemoryBound: 0
; FloatMode: 240
; IeeeMode: 1
; LDSByteSize: 0 bytes/workgroup (compile time only)
; SGPRBlocks: 0
; VGPRBlocks: 0
; NumSGPRsForWavesPerEU: 6
; NumVGPRsForWavesPerEU: 1
; AccumOffset: 4
; Occupancy: 8
; WaveLimiterHint : 0
; COMPUTE_PGM_RSRC2:SCRATCH_EN: 0
; COMPUTE_PGM_RSRC2:USER_SGPR: 2
; COMPUTE_PGM_RSRC2:TRAP_HANDLER: 0
; COMPUTE_PGM_RSRC2:TGID_X_EN: 1
; COMPUTE_PGM_RSRC2:TGID_Y_EN: 0
; COMPUTE_PGM_RSRC2:TGID_Z_EN: 0
; COMPUTE_PGM_RSRC2:TIDIG_COMP_CNT: 0
; COMPUTE_PGM_RSRC3_GFX90A:ACCUM_OFFSET: 0
; COMPUTE_PGM_RSRC3_GFX90A:TG_SPLIT: 0
	.section	.text._ZN7rocprim17ROCPRIM_400000_NS6detail17trampoline_kernelINS0_14default_configENS1_20scan_config_selectorIlEEZZNS1_9scan_implILNS1_25lookback_scan_determinismE0ELb0ELb0ES3_PlS8_lN6thrust23THRUST_200600_302600_NS4plusIvEElEEDaPvRmT3_T4_T5_mT6_P12ihipStream_tbENKUlT_T0_E_clISt17integral_constantIbLb0EESP_IbLb1EEEEDaSL_SM_EUlSL_E0_NS1_11comp_targetILNS1_3genE5ELNS1_11target_archE942ELNS1_3gpuE9ELNS1_3repE0EEENS1_30default_config_static_selectorELNS0_4arch9wavefront6targetE1EEEvT1_,"axG",@progbits,_ZN7rocprim17ROCPRIM_400000_NS6detail17trampoline_kernelINS0_14default_configENS1_20scan_config_selectorIlEEZZNS1_9scan_implILNS1_25lookback_scan_determinismE0ELb0ELb0ES3_PlS8_lN6thrust23THRUST_200600_302600_NS4plusIvEElEEDaPvRmT3_T4_T5_mT6_P12ihipStream_tbENKUlT_T0_E_clISt17integral_constantIbLb0EESP_IbLb1EEEEDaSL_SM_EUlSL_E0_NS1_11comp_targetILNS1_3genE5ELNS1_11target_archE942ELNS1_3gpuE9ELNS1_3repE0EEENS1_30default_config_static_selectorELNS0_4arch9wavefront6targetE1EEEvT1_,comdat
	.protected	_ZN7rocprim17ROCPRIM_400000_NS6detail17trampoline_kernelINS0_14default_configENS1_20scan_config_selectorIlEEZZNS1_9scan_implILNS1_25lookback_scan_determinismE0ELb0ELb0ES3_PlS8_lN6thrust23THRUST_200600_302600_NS4plusIvEElEEDaPvRmT3_T4_T5_mT6_P12ihipStream_tbENKUlT_T0_E_clISt17integral_constantIbLb0EESP_IbLb1EEEEDaSL_SM_EUlSL_E0_NS1_11comp_targetILNS1_3genE5ELNS1_11target_archE942ELNS1_3gpuE9ELNS1_3repE0EEENS1_30default_config_static_selectorELNS0_4arch9wavefront6targetE1EEEvT1_ ; -- Begin function _ZN7rocprim17ROCPRIM_400000_NS6detail17trampoline_kernelINS0_14default_configENS1_20scan_config_selectorIlEEZZNS1_9scan_implILNS1_25lookback_scan_determinismE0ELb0ELb0ES3_PlS8_lN6thrust23THRUST_200600_302600_NS4plusIvEElEEDaPvRmT3_T4_T5_mT6_P12ihipStream_tbENKUlT_T0_E_clISt17integral_constantIbLb0EESP_IbLb1EEEEDaSL_SM_EUlSL_E0_NS1_11comp_targetILNS1_3genE5ELNS1_11target_archE942ELNS1_3gpuE9ELNS1_3repE0EEENS1_30default_config_static_selectorELNS0_4arch9wavefront6targetE1EEEvT1_
	.globl	_ZN7rocprim17ROCPRIM_400000_NS6detail17trampoline_kernelINS0_14default_configENS1_20scan_config_selectorIlEEZZNS1_9scan_implILNS1_25lookback_scan_determinismE0ELb0ELb0ES3_PlS8_lN6thrust23THRUST_200600_302600_NS4plusIvEElEEDaPvRmT3_T4_T5_mT6_P12ihipStream_tbENKUlT_T0_E_clISt17integral_constantIbLb0EESP_IbLb1EEEEDaSL_SM_EUlSL_E0_NS1_11comp_targetILNS1_3genE5ELNS1_11target_archE942ELNS1_3gpuE9ELNS1_3repE0EEENS1_30default_config_static_selectorELNS0_4arch9wavefront6targetE1EEEvT1_
	.p2align	8
	.type	_ZN7rocprim17ROCPRIM_400000_NS6detail17trampoline_kernelINS0_14default_configENS1_20scan_config_selectorIlEEZZNS1_9scan_implILNS1_25lookback_scan_determinismE0ELb0ELb0ES3_PlS8_lN6thrust23THRUST_200600_302600_NS4plusIvEElEEDaPvRmT3_T4_T5_mT6_P12ihipStream_tbENKUlT_T0_E_clISt17integral_constantIbLb0EESP_IbLb1EEEEDaSL_SM_EUlSL_E0_NS1_11comp_targetILNS1_3genE5ELNS1_11target_archE942ELNS1_3gpuE9ELNS1_3repE0EEENS1_30default_config_static_selectorELNS0_4arch9wavefront6targetE1EEEvT1_,@function
_ZN7rocprim17ROCPRIM_400000_NS6detail17trampoline_kernelINS0_14default_configENS1_20scan_config_selectorIlEEZZNS1_9scan_implILNS1_25lookback_scan_determinismE0ELb0ELb0ES3_PlS8_lN6thrust23THRUST_200600_302600_NS4plusIvEElEEDaPvRmT3_T4_T5_mT6_P12ihipStream_tbENKUlT_T0_E_clISt17integral_constantIbLb0EESP_IbLb1EEEEDaSL_SM_EUlSL_E0_NS1_11comp_targetILNS1_3genE5ELNS1_11target_archE942ELNS1_3gpuE9ELNS1_3repE0EEENS1_30default_config_static_selectorELNS0_4arch9wavefront6targetE1EEEvT1_: ; @_ZN7rocprim17ROCPRIM_400000_NS6detail17trampoline_kernelINS0_14default_configENS1_20scan_config_selectorIlEEZZNS1_9scan_implILNS1_25lookback_scan_determinismE0ELb0ELb0ES3_PlS8_lN6thrust23THRUST_200600_302600_NS4plusIvEElEEDaPvRmT3_T4_T5_mT6_P12ihipStream_tbENKUlT_T0_E_clISt17integral_constantIbLb0EESP_IbLb1EEEEDaSL_SM_EUlSL_E0_NS1_11comp_targetILNS1_3genE5ELNS1_11target_archE942ELNS1_3gpuE9ELNS1_3repE0EEENS1_30default_config_static_selectorELNS0_4arch9wavefront6targetE1EEEvT1_
; %bb.0:
	s_load_dwordx4 s[36:39], s[0:1], 0x0
	v_lshlrev_b32_e32 v34, 3, v0
	s_waitcnt lgkmcnt(0)
	s_load_dwordx2 s[30:31], s[36:37], 0x0
	v_cmp_gt_u32_e32 vcc, s38, v0
	s_waitcnt lgkmcnt(0)
	v_mov_b64_e32 v[2:3], s[30:31]
	s_and_saveexec_b64 s[2:3], vcc
	s_cbranch_execz .LBB152_2
; %bb.1:
	global_load_dwordx2 v[2:3], v34, s[36:37]
.LBB152_2:
	s_or_b64 exec, exec, s[2:3]
	v_or_b32_e32 v1, 0x100, v0
	v_cmp_gt_u32_e64 s[28:29], s38, v1
	v_mov_b64_e32 v[4:5], s[30:31]
	s_and_saveexec_b64 s[2:3], s[28:29]
	s_cbranch_execz .LBB152_4
; %bb.3:
	global_load_dwordx2 v[4:5], v34, s[36:37] offset:2048
.LBB152_4:
	s_or_b64 exec, exec, s[2:3]
	v_or_b32_e32 v1, 0x200, v0
	v_cmp_gt_u32_e64 s[2:3], s38, v1
	v_mov_b64_e32 v[6:7], s[30:31]
	s_and_saveexec_b64 s[4:5], s[2:3]
	s_cbranch_execz .LBB152_6
; %bb.5:
	v_lshlrev_b32_e32 v1, 3, v1
	global_load_dwordx2 v[6:7], v1, s[36:37]
.LBB152_6:
	s_or_b64 exec, exec, s[4:5]
	v_or_b32_e32 v1, 0x300, v0
	v_cmp_gt_u32_e64 s[4:5], s38, v1
	v_mov_b64_e32 v[8:9], s[30:31]
	s_and_saveexec_b64 s[6:7], s[4:5]
	s_cbranch_execz .LBB152_8
; %bb.7:
	v_lshlrev_b32_e32 v1, 3, v1
	global_load_dwordx2 v[8:9], v1, s[36:37]
.LBB152_8:
	s_or_b64 exec, exec, s[6:7]
	v_or_b32_e32 v1, 0x400, v0
	v_cmp_gt_u32_e64 s[6:7], s38, v1
	v_mov_b64_e32 v[10:11], s[30:31]
	s_and_saveexec_b64 s[8:9], s[6:7]
	s_cbranch_execz .LBB152_10
; %bb.9:
	v_lshlrev_b32_e32 v1, 3, v1
	global_load_dwordx2 v[10:11], v1, s[36:37]
.LBB152_10:
	s_or_b64 exec, exec, s[8:9]
	v_or_b32_e32 v1, 0x500, v0
	v_cmp_gt_u32_e64 s[8:9], s38, v1
	v_mov_b64_e32 v[12:13], s[30:31]
	s_and_saveexec_b64 s[10:11], s[8:9]
	s_cbranch_execz .LBB152_12
; %bb.11:
	v_lshlrev_b32_e32 v1, 3, v1
	global_load_dwordx2 v[12:13], v1, s[36:37]
.LBB152_12:
	s_or_b64 exec, exec, s[10:11]
	v_or_b32_e32 v1, 0x600, v0
	v_cmp_gt_u32_e64 s[10:11], s38, v1
	v_mov_b64_e32 v[14:15], s[30:31]
	s_and_saveexec_b64 s[12:13], s[10:11]
	s_cbranch_execz .LBB152_14
; %bb.13:
	v_lshlrev_b32_e32 v1, 3, v1
	global_load_dwordx2 v[14:15], v1, s[36:37]
.LBB152_14:
	s_or_b64 exec, exec, s[12:13]
	v_or_b32_e32 v1, 0x700, v0
	v_cmp_gt_u32_e64 s[12:13], s38, v1
	v_mov_b64_e32 v[16:17], s[30:31]
	s_and_saveexec_b64 s[14:15], s[12:13]
	s_cbranch_execz .LBB152_16
; %bb.15:
	v_lshlrev_b32_e32 v1, 3, v1
	global_load_dwordx2 v[16:17], v1, s[36:37]
.LBB152_16:
	s_or_b64 exec, exec, s[14:15]
	v_or_b32_e32 v1, 0x800, v0
	v_cmp_gt_u32_e64 s[14:15], s38, v1
	v_mov_b64_e32 v[18:19], s[30:31]
	s_and_saveexec_b64 s[16:17], s[14:15]
	s_cbranch_execz .LBB152_18
; %bb.17:
	v_lshlrev_b32_e32 v1, 3, v1
	global_load_dwordx2 v[18:19], v1, s[36:37]
.LBB152_18:
	s_or_b64 exec, exec, s[16:17]
	v_or_b32_e32 v1, 0x900, v0
	v_cmp_gt_u32_e64 s[16:17], s38, v1
	v_mov_b64_e32 v[20:21], s[30:31]
	s_and_saveexec_b64 s[18:19], s[16:17]
	s_cbranch_execz .LBB152_20
; %bb.19:
	v_lshlrev_b32_e32 v1, 3, v1
	global_load_dwordx2 v[20:21], v1, s[36:37]
.LBB152_20:
	s_or_b64 exec, exec, s[18:19]
	v_or_b32_e32 v1, 0xa00, v0
	v_cmp_gt_u32_e64 s[18:19], s38, v1
	v_mov_b64_e32 v[22:23], s[30:31]
	s_and_saveexec_b64 s[20:21], s[18:19]
	s_cbranch_execz .LBB152_22
; %bb.21:
	v_lshlrev_b32_e32 v1, 3, v1
	global_load_dwordx2 v[22:23], v1, s[36:37]
.LBB152_22:
	s_or_b64 exec, exec, s[20:21]
	v_or_b32_e32 v1, 0xb00, v0
	v_cmp_gt_u32_e64 s[20:21], s38, v1
	v_mov_b64_e32 v[24:25], s[30:31]
	s_and_saveexec_b64 s[22:23], s[20:21]
	s_cbranch_execz .LBB152_24
; %bb.23:
	v_lshlrev_b32_e32 v1, 3, v1
	global_load_dwordx2 v[24:25], v1, s[36:37]
.LBB152_24:
	s_or_b64 exec, exec, s[22:23]
	v_or_b32_e32 v1, 0xc00, v0
	v_cmp_gt_u32_e64 s[22:23], s38, v1
	v_mov_b64_e32 v[26:27], s[30:31]
	s_and_saveexec_b64 s[24:25], s[22:23]
	s_cbranch_execz .LBB152_26
; %bb.25:
	v_lshlrev_b32_e32 v1, 3, v1
	global_load_dwordx2 v[26:27], v1, s[36:37]
.LBB152_26:
	s_or_b64 exec, exec, s[24:25]
	v_or_b32_e32 v1, 0xd00, v0
	v_cmp_gt_u32_e64 s[24:25], s38, v1
	v_mov_b64_e32 v[28:29], s[30:31]
	s_and_saveexec_b64 s[26:27], s[24:25]
	s_cbranch_execz .LBB152_28
; %bb.27:
	v_lshlrev_b32_e32 v1, 3, v1
	global_load_dwordx2 v[28:29], v1, s[36:37]
.LBB152_28:
	s_or_b64 exec, exec, s[26:27]
	v_or_b32_e32 v1, 0xe00, v0
	v_cmp_gt_u32_e64 s[26:27], s38, v1
	v_mov_b64_e32 v[30:31], s[30:31]
	s_and_saveexec_b64 s[30:31], s[26:27]
	s_cbranch_execz .LBB152_30
; %bb.29:
	v_lshlrev_b32_e32 v1, 3, v1
	global_load_dwordx2 v[30:31], v1, s[36:37]
.LBB152_30:
	s_or_b64 exec, exec, s[30:31]
	s_movk_i32 s30, 0x70
	v_mad_u32_u24 v1, v0, s30, v34
	s_waitcnt vmcnt(0)
	ds_write2st64_b64 v34, v[2:3], v[4:5] offset1:4
	ds_write2st64_b64 v34, v[6:7], v[8:9] offset0:8 offset1:12
	ds_write2st64_b64 v34, v[10:11], v[12:13] offset0:16 offset1:20
	;; [unrolled: 1-line block ×6, first 2 shown]
	ds_write_b64 v34, v[30:31] offset:28672
	s_waitcnt lgkmcnt(0)
	s_barrier
	ds_read2_b64 v[2:5], v1 offset1:1
	ds_read2_b64 v[6:9], v1 offset0:2 offset1:3
	ds_read2_b64 v[10:13], v1 offset0:4 offset1:5
	;; [unrolled: 1-line block ×6, first 2 shown]
	ds_read_b64 v[64:65], v1 offset:112
	s_waitcnt lgkmcnt(7)
	v_lshl_add_u64 v[62:63], v[4:5], 0, v[2:3]
	s_waitcnt lgkmcnt(6)
	v_lshl_add_u64 v[58:59], v[62:63], 0, v[6:7]
	v_lshl_add_u64 v[60:61], v[58:59], 0, v[8:9]
	s_waitcnt lgkmcnt(5)
	v_lshl_add_u64 v[54:55], v[60:61], 0, v[10:11]
	;; [unrolled: 3-line block ×6, first 2 shown]
	v_lshrrev_b32_e32 v1, 2, v0
	v_lshl_add_u64 v[38:39], v[36:37], 0, v[28:29]
	v_and_b32_e32 v1, 56, v1
	s_waitcnt lgkmcnt(0)
	v_lshl_add_u64 v[40:41], v[38:39], 0, v[64:65]
	v_add_u32_e32 v1, v34, v1
	v_cmp_gt_u32_e64 s[30:31], 64, v0
	s_barrier
	ds_write_b64 v1, v[40:41]
	s_waitcnt lgkmcnt(0)
	s_barrier
	s_and_saveexec_b64 s[36:37], s[30:31]
	s_cbranch_execz .LBB152_34
; %bb.31:
	v_lshlrev_b32_e32 v1, 2, v0
	v_lshrrev_b32_e32 v30, 3, v0
	v_add_lshl_u32 v1, v30, v1, 3
	ds_read2_b64 v[30:33], v1 offset1:1
	ds_read2_b64 v[68:71], v1 offset0:2 offset1:3
	v_mov_b32_e32 v66, 0
	v_mbcnt_lo_u32_b32 v35, -1, 0
	v_mbcnt_hi_u32_b32 v35, -1, v35
	s_waitcnt lgkmcnt(1)
	v_lshl_add_u64 v[32:33], v[32:33], 0, v[30:31]
	s_waitcnt lgkmcnt(0)
	v_lshl_add_u64 v[32:33], v[32:33], 0, v[68:69]
	v_lshl_add_u64 v[32:33], v[32:33], 0, v[70:71]
	v_mov_b32_e32 v69, v66
	v_and_b32_e32 v72, 15, v35
	v_mov_b32_dpp v68, v32 row_shr:1 row_mask:0xf bank_mask:0xf
	v_mov_b32_dpp v67, v33 row_shr:1 row_mask:0xf bank_mask:0xf
	v_lshl_add_u64 v[68:69], v[32:33], 0, v[68:69]
	v_lshl_add_u64 v[70:71], v[66:67], 0, v[68:69]
	v_cmp_eq_u32_e64 s[30:31], 0, v72
	v_cmp_ne_u32_e64 s[34:35], 0, v35
	s_nop 0
	v_cndmask_b32_e64 v67, v68, v32, s[30:31]
	v_cndmask_b32_e64 v69, v71, v33, s[30:31]
	v_cndmask_b32_e64 v68, v70, v32, s[30:31]
	v_mov_b32_dpp v70, v67 row_shr:2 row_mask:0xf bank_mask:0xf
	v_mov_b32_dpp v71, v69 row_shr:2 row_mask:0xf bank_mask:0xf
	v_lshl_add_u64 v[70:71], v[70:71], 0, v[68:69]
	v_cmp_lt_u32_e64 s[30:31], 1, v72
	s_nop 1
	v_cndmask_b32_e64 v67, v67, v70, s[30:31]
	v_cndmask_b32_e64 v69, v69, v71, s[30:31]
	v_cndmask_b32_e64 v68, v68, v70, s[30:31]
	v_mov_b32_dpp v70, v67 row_shr:4 row_mask:0xf bank_mask:0xf
	v_mov_b32_dpp v71, v69 row_shr:4 row_mask:0xf bank_mask:0xf
	v_lshl_add_u64 v[70:71], v[70:71], 0, v[68:69]
	v_cmp_lt_u32_e64 s[30:31], 3, v72
	;; [unrolled: 8-line block ×3, first 2 shown]
	v_and_b32_e32 v72, 16, v35
	s_nop 0
	v_cndmask_b32_e64 v67, v67, v70, s[30:31]
	v_cndmask_b32_e64 v69, v69, v71, s[30:31]
	;; [unrolled: 1-line block ×3, first 2 shown]
	v_mov_b32_dpp v70, v67 row_bcast:15 row_mask:0xf bank_mask:0xf
	v_mov_b32_dpp v71, v69 row_bcast:15 row_mask:0xf bank_mask:0xf
	v_lshl_add_u64 v[70:71], v[70:71], 0, v[68:69]
	v_cmp_eq_u32_e64 s[30:31], 0, v72
	s_nop 1
	v_cndmask_b32_e64 v72, v71, v69, s[30:31]
	v_cndmask_b32_e64 v67, v70, v67, s[30:31]
	s_nop 0
	v_mov_b32_dpp v72, v72 row_bcast:31 row_mask:0xf bank_mask:0xf
	v_mov_b32_dpp v67, v67 row_bcast:31 row_mask:0xf bank_mask:0xf
	s_and_saveexec_b64 s[38:39], s[34:35]
; %bb.32:
	v_cndmask_b32_e64 v33, v71, v69, s[30:31]
	v_cndmask_b32_e64 v32, v70, v68, s[30:31]
	v_cmp_lt_u32_e64 s[30:31], 31, v35
	s_nop 1
	v_cndmask_b32_e64 v69, 0, v72, s[30:31]
	v_cndmask_b32_e64 v68, 0, v67, s[30:31]
	v_lshl_add_u64 v[32:33], v[68:69], 0, v[32:33]
; %bb.33:
	s_or_b64 exec, exec, s[38:39]
	v_add_u32_e32 v67, -1, v35
	v_and_b32_e32 v68, 64, v35
	v_cmp_lt_i32_e64 s[30:31], v67, v68
	; wave barrier
	s_nop 1
	v_cndmask_b32_e64 v35, v67, v35, s[30:31]
	v_lshlrev_b32_e32 v35, 2, v35
	ds_bpermute_b32 v32, v35, v32
	ds_bpermute_b32 v67, v35, v33
	v_mov_b32_e32 v33, v66
	v_cmp_eq_u32_e64 s[30:31], 0, v0
	s_waitcnt lgkmcnt(1)
	v_lshl_add_u64 v[30:31], v[30:31], 0, v[32:33]
	s_waitcnt lgkmcnt(0)
	v_lshl_add_u64 v[30:31], v[30:31], 0, v[66:67]
	v_cndmask_b32_e64 v67, v31, v41, s[30:31]
	v_cndmask_b32_e64 v66, v30, v40, s[30:31]
	ds_write_b64 v1, v[66:67]
	; wave barrier
	ds_read2_b64 v[30:33], v1 offset0:1 offset1:2
	ds_read_b64 v[68:69], v1 offset:24
	s_waitcnt lgkmcnt(1)
	v_lshl_add_u64 v[30:31], v[30:31], 0, v[66:67]
	v_lshl_add_u64 v[32:33], v[32:33], 0, v[30:31]
	ds_write2_b64 v1, v[30:31], v[32:33] offset0:1 offset1:2
	s_waitcnt lgkmcnt(1)
	v_lshl_add_u64 v[30:31], v[68:69], 0, v[32:33]
	ds_write_b64 v1, v[30:31] offset:24
.LBB152_34:
	s_or_b64 exec, exec, s[36:37]
	s_load_dwordx2 s[30:31], s[0:1], 0x20
	v_mul_u32_u24_e32 v1, 0x70, v0
	v_cmp_ne_u32_e64 s[0:1], 0, v0
	v_mov_b64_e32 v[30:31], v[40:41]
	s_waitcnt lgkmcnt(0)
	s_barrier
	s_and_saveexec_b64 s[34:35], s[0:1]
	s_cbranch_execz .LBB152_36
; %bb.35:
	v_add_u32_e32 v0, -1, v0
	v_lshrrev_b32_e32 v30, 5, v0
	v_add_lshl_u32 v0, v30, v0, 3
	ds_read_b64 v[30:31], v0
.LBB152_36:
	s_or_b64 exec, exec, s[34:35]
	s_and_saveexec_b64 s[34:35], s[0:1]
	s_cbranch_execz .LBB152_38
; %bb.37:
	s_waitcnt lgkmcnt(0)
	v_lshl_add_u64 v[2:3], v[30:31], 0, v[2:3]
	v_lshl_add_u64 v[62:63], v[2:3], 0, v[4:5]
	;; [unrolled: 1-line block ×15, first 2 shown]
	;;#ASMSTART
	;;#ASMEND
.LBB152_38:
	s_or_b64 exec, exec, s[34:35]
	v_add_u32_e32 v0, v34, v1
	s_waitcnt lgkmcnt(0)
	s_barrier
	ds_write2_b64 v0, v[2:3], v[62:63] offset1:1
	ds_write2_b64 v0, v[58:59], v[60:61] offset0:2 offset1:3
	ds_write2_b64 v0, v[54:55], v[56:57] offset0:4 offset1:5
	ds_write2_b64 v0, v[50:51], v[52:53] offset0:6 offset1:7
	ds_write2_b64 v0, v[46:47], v[48:49] offset0:8 offset1:9
	ds_write2_b64 v0, v[42:43], v[44:45] offset0:10 offset1:11
	ds_write2_b64 v0, v[36:37], v[38:39] offset0:12 offset1:13
	ds_write_b64 v0, v[40:41] offset:112
	s_waitcnt lgkmcnt(0)
	s_barrier
	ds_read2st64_b64 v[24:27], v34 offset0:4 offset1:8
	ds_read2st64_b64 v[20:23], v34 offset0:12 offset1:16
	;; [unrolled: 1-line block ×7, first 2 shown]
	v_mov_b32_e32 v35, 0
	v_lshl_add_u64 v[28:29], s[30:31], 0, v[34:35]
	s_and_saveexec_b64 s[0:1], vcc
	s_cbranch_execnz .LBB152_54
; %bb.39:
	s_or_b64 exec, exec, s[0:1]
	s_and_saveexec_b64 s[0:1], s[28:29]
	s_cbranch_execnz .LBB152_55
.LBB152_40:
	s_or_b64 exec, exec, s[0:1]
	s_and_saveexec_b64 s[0:1], s[2:3]
	s_cbranch_execnz .LBB152_56
.LBB152_41:
	s_or_b64 exec, exec, s[0:1]
	s_and_saveexec_b64 s[0:1], s[4:5]
	s_cbranch_execnz .LBB152_57
.LBB152_42:
	s_or_b64 exec, exec, s[0:1]
	s_and_saveexec_b64 s[0:1], s[6:7]
	s_cbranch_execnz .LBB152_58
.LBB152_43:
	s_or_b64 exec, exec, s[0:1]
	s_and_saveexec_b64 s[0:1], s[8:9]
	s_cbranch_execnz .LBB152_59
.LBB152_44:
	s_or_b64 exec, exec, s[0:1]
	s_and_saveexec_b64 s[0:1], s[10:11]
	s_cbranch_execnz .LBB152_60
.LBB152_45:
	s_or_b64 exec, exec, s[0:1]
	s_and_saveexec_b64 s[0:1], s[12:13]
	s_cbranch_execnz .LBB152_61
.LBB152_46:
	s_or_b64 exec, exec, s[0:1]
	s_and_saveexec_b64 s[0:1], s[14:15]
	s_cbranch_execnz .LBB152_62
.LBB152_47:
	s_or_b64 exec, exec, s[0:1]
	s_and_saveexec_b64 s[0:1], s[16:17]
	s_cbranch_execnz .LBB152_63
.LBB152_48:
	s_or_b64 exec, exec, s[0:1]
	s_and_saveexec_b64 s[0:1], s[18:19]
	s_cbranch_execnz .LBB152_64
.LBB152_49:
	s_or_b64 exec, exec, s[0:1]
	s_and_saveexec_b64 s[0:1], s[20:21]
	s_cbranch_execnz .LBB152_65
.LBB152_50:
	s_or_b64 exec, exec, s[0:1]
	s_and_saveexec_b64 s[0:1], s[22:23]
	s_cbranch_execnz .LBB152_66
.LBB152_51:
	s_or_b64 exec, exec, s[0:1]
	s_and_saveexec_b64 s[0:1], s[24:25]
	s_cbranch_execnz .LBB152_67
.LBB152_52:
	s_or_b64 exec, exec, s[0:1]
	s_and_saveexec_b64 s[0:1], s[26:27]
	s_cbranch_execnz .LBB152_68
.LBB152_53:
	s_endpgm
.LBB152_54:
	ds_read_b64 v[30:31], v34
	s_waitcnt lgkmcnt(0)
	global_store_dwordx2 v[28:29], v[30:31], off
	s_or_b64 exec, exec, s[0:1]
	s_and_saveexec_b64 s[0:1], s[28:29]
	s_cbranch_execz .LBB152_40
.LBB152_55:
	s_waitcnt lgkmcnt(6)
	global_store_dwordx2 v[28:29], v[24:25], off offset:2048
	s_or_b64 exec, exec, s[0:1]
	s_and_saveexec_b64 s[0:1], s[2:3]
	s_cbranch_execz .LBB152_41
.LBB152_56:
	s_waitcnt lgkmcnt(6)
	v_add_co_u32_e32 v24, vcc, 0x1000, v28
	s_nop 1
	v_addc_co_u32_e32 v25, vcc, 0, v29, vcc
	global_store_dwordx2 v[24:25], v[26:27], off
	s_or_b64 exec, exec, s[0:1]
	s_and_saveexec_b64 s[0:1], s[4:5]
	s_cbranch_execz .LBB152_42
.LBB152_57:
	s_waitcnt lgkmcnt(6)
	v_add_co_u32_e32 v24, vcc, 0x1000, v28
	s_nop 1
	v_addc_co_u32_e32 v25, vcc, 0, v29, vcc
	s_waitcnt lgkmcnt(5)
	global_store_dwordx2 v[24:25], v[20:21], off offset:2048
	s_or_b64 exec, exec, s[0:1]
	s_and_saveexec_b64 s[0:1], s[6:7]
	s_cbranch_execz .LBB152_43
.LBB152_58:
	s_waitcnt lgkmcnt(5)
	v_add_co_u32_e32 v20, vcc, 0x2000, v28
	s_nop 1
	v_addc_co_u32_e32 v21, vcc, 0, v29, vcc
	global_store_dwordx2 v[20:21], v[22:23], off
	s_or_b64 exec, exec, s[0:1]
	s_and_saveexec_b64 s[0:1], s[8:9]
	s_cbranch_execz .LBB152_44
.LBB152_59:
	s_waitcnt lgkmcnt(5)
	v_add_co_u32_e32 v20, vcc, 0x2000, v28
	s_nop 1
	v_addc_co_u32_e32 v21, vcc, 0, v29, vcc
	s_waitcnt lgkmcnt(4)
	global_store_dwordx2 v[20:21], v[16:17], off offset:2048
	s_or_b64 exec, exec, s[0:1]
	s_and_saveexec_b64 s[0:1], s[10:11]
	s_cbranch_execz .LBB152_45
.LBB152_60:
	s_waitcnt lgkmcnt(4)
	v_add_co_u32_e32 v16, vcc, 0x3000, v28
	s_nop 1
	v_addc_co_u32_e32 v17, vcc, 0, v29, vcc
	global_store_dwordx2 v[16:17], v[18:19], off
	s_or_b64 exec, exec, s[0:1]
	s_and_saveexec_b64 s[0:1], s[12:13]
	s_cbranch_execz .LBB152_46
.LBB152_61:
	s_waitcnt lgkmcnt(4)
	v_add_co_u32_e32 v16, vcc, 0x3000, v28
	s_nop 1
	v_addc_co_u32_e32 v17, vcc, 0, v29, vcc
	s_waitcnt lgkmcnt(3)
	global_store_dwordx2 v[16:17], v[12:13], off offset:2048
	s_or_b64 exec, exec, s[0:1]
	s_and_saveexec_b64 s[0:1], s[14:15]
	s_cbranch_execz .LBB152_47
.LBB152_62:
	s_waitcnt lgkmcnt(3)
	v_add_co_u32_e32 v12, vcc, 0x4000, v28
	s_nop 1
	v_addc_co_u32_e32 v13, vcc, 0, v29, vcc
	global_store_dwordx2 v[12:13], v[14:15], off
	s_or_b64 exec, exec, s[0:1]
	s_and_saveexec_b64 s[0:1], s[16:17]
	s_cbranch_execz .LBB152_48
.LBB152_63:
	s_waitcnt lgkmcnt(3)
	v_add_co_u32_e32 v12, vcc, 0x4000, v28
	s_nop 1
	v_addc_co_u32_e32 v13, vcc, 0, v29, vcc
	s_waitcnt lgkmcnt(2)
	global_store_dwordx2 v[12:13], v[8:9], off offset:2048
	s_or_b64 exec, exec, s[0:1]
	s_and_saveexec_b64 s[0:1], s[18:19]
	s_cbranch_execz .LBB152_49
.LBB152_64:
	s_waitcnt lgkmcnt(2)
	v_add_co_u32_e32 v8, vcc, 0x5000, v28
	s_nop 1
	v_addc_co_u32_e32 v9, vcc, 0, v29, vcc
	global_store_dwordx2 v[8:9], v[10:11], off
	s_or_b64 exec, exec, s[0:1]
	s_and_saveexec_b64 s[0:1], s[20:21]
	s_cbranch_execz .LBB152_50
.LBB152_65:
	s_waitcnt lgkmcnt(2)
	v_add_co_u32_e32 v8, vcc, 0x5000, v28
	s_nop 1
	v_addc_co_u32_e32 v9, vcc, 0, v29, vcc
	s_waitcnt lgkmcnt(1)
	global_store_dwordx2 v[8:9], v[4:5], off offset:2048
	s_or_b64 exec, exec, s[0:1]
	s_and_saveexec_b64 s[0:1], s[22:23]
	s_cbranch_execz .LBB152_51
.LBB152_66:
	s_waitcnt lgkmcnt(1)
	v_add_co_u32_e32 v4, vcc, 0x6000, v28
	s_nop 1
	v_addc_co_u32_e32 v5, vcc, 0, v29, vcc
	global_store_dwordx2 v[4:5], v[6:7], off
	s_or_b64 exec, exec, s[0:1]
	s_and_saveexec_b64 s[0:1], s[24:25]
	s_cbranch_execz .LBB152_52
.LBB152_67:
	s_waitcnt lgkmcnt(1)
	v_add_co_u32_e32 v4, vcc, 0x6000, v28
	s_nop 1
	v_addc_co_u32_e32 v5, vcc, 0, v29, vcc
	s_waitcnt lgkmcnt(0)
	global_store_dwordx2 v[4:5], v[0:1], off offset:2048
	s_or_b64 exec, exec, s[0:1]
	s_and_saveexec_b64 s[0:1], s[26:27]
	s_cbranch_execz .LBB152_53
.LBB152_68:
	s_waitcnt lgkmcnt(0)
	v_add_co_u32_e32 v0, vcc, 0x7000, v28
	s_nop 1
	v_addc_co_u32_e32 v1, vcc, 0, v29, vcc
	global_store_dwordx2 v[0:1], v[2:3], off
	s_endpgm
	.section	.rodata,"a",@progbits
	.p2align	6, 0x0
	.amdhsa_kernel _ZN7rocprim17ROCPRIM_400000_NS6detail17trampoline_kernelINS0_14default_configENS1_20scan_config_selectorIlEEZZNS1_9scan_implILNS1_25lookback_scan_determinismE0ELb0ELb0ES3_PlS8_lN6thrust23THRUST_200600_302600_NS4plusIvEElEEDaPvRmT3_T4_T5_mT6_P12ihipStream_tbENKUlT_T0_E_clISt17integral_constantIbLb0EESP_IbLb1EEEEDaSL_SM_EUlSL_E0_NS1_11comp_targetILNS1_3genE5ELNS1_11target_archE942ELNS1_3gpuE9ELNS1_3repE0EEENS1_30default_config_static_selectorELNS0_4arch9wavefront6targetE1EEEvT1_
		.amdhsa_group_segment_fixed_size 30720
		.amdhsa_private_segment_fixed_size 0
		.amdhsa_kernarg_size 40
		.amdhsa_user_sgpr_count 2
		.amdhsa_user_sgpr_dispatch_ptr 0
		.amdhsa_user_sgpr_queue_ptr 0
		.amdhsa_user_sgpr_kernarg_segment_ptr 1
		.amdhsa_user_sgpr_dispatch_id 0
		.amdhsa_user_sgpr_kernarg_preload_length 0
		.amdhsa_user_sgpr_kernarg_preload_offset 0
		.amdhsa_user_sgpr_private_segment_size 0
		.amdhsa_uses_dynamic_stack 0
		.amdhsa_enable_private_segment 0
		.amdhsa_system_sgpr_workgroup_id_x 1
		.amdhsa_system_sgpr_workgroup_id_y 0
		.amdhsa_system_sgpr_workgroup_id_z 0
		.amdhsa_system_sgpr_workgroup_info 0
		.amdhsa_system_vgpr_workitem_id 0
		.amdhsa_next_free_vgpr 73
		.amdhsa_next_free_sgpr 40
		.amdhsa_accum_offset 76
		.amdhsa_reserve_vcc 1
		.amdhsa_float_round_mode_32 0
		.amdhsa_float_round_mode_16_64 0
		.amdhsa_float_denorm_mode_32 3
		.amdhsa_float_denorm_mode_16_64 3
		.amdhsa_dx10_clamp 1
		.amdhsa_ieee_mode 1
		.amdhsa_fp16_overflow 0
		.amdhsa_tg_split 0
		.amdhsa_exception_fp_ieee_invalid_op 0
		.amdhsa_exception_fp_denorm_src 0
		.amdhsa_exception_fp_ieee_div_zero 0
		.amdhsa_exception_fp_ieee_overflow 0
		.amdhsa_exception_fp_ieee_underflow 0
		.amdhsa_exception_fp_ieee_inexact 0
		.amdhsa_exception_int_div_zero 0
	.end_amdhsa_kernel
	.section	.text._ZN7rocprim17ROCPRIM_400000_NS6detail17trampoline_kernelINS0_14default_configENS1_20scan_config_selectorIlEEZZNS1_9scan_implILNS1_25lookback_scan_determinismE0ELb0ELb0ES3_PlS8_lN6thrust23THRUST_200600_302600_NS4plusIvEElEEDaPvRmT3_T4_T5_mT6_P12ihipStream_tbENKUlT_T0_E_clISt17integral_constantIbLb0EESP_IbLb1EEEEDaSL_SM_EUlSL_E0_NS1_11comp_targetILNS1_3genE5ELNS1_11target_archE942ELNS1_3gpuE9ELNS1_3repE0EEENS1_30default_config_static_selectorELNS0_4arch9wavefront6targetE1EEEvT1_,"axG",@progbits,_ZN7rocprim17ROCPRIM_400000_NS6detail17trampoline_kernelINS0_14default_configENS1_20scan_config_selectorIlEEZZNS1_9scan_implILNS1_25lookback_scan_determinismE0ELb0ELb0ES3_PlS8_lN6thrust23THRUST_200600_302600_NS4plusIvEElEEDaPvRmT3_T4_T5_mT6_P12ihipStream_tbENKUlT_T0_E_clISt17integral_constantIbLb0EESP_IbLb1EEEEDaSL_SM_EUlSL_E0_NS1_11comp_targetILNS1_3genE5ELNS1_11target_archE942ELNS1_3gpuE9ELNS1_3repE0EEENS1_30default_config_static_selectorELNS0_4arch9wavefront6targetE1EEEvT1_,comdat
.Lfunc_end152:
	.size	_ZN7rocprim17ROCPRIM_400000_NS6detail17trampoline_kernelINS0_14default_configENS1_20scan_config_selectorIlEEZZNS1_9scan_implILNS1_25lookback_scan_determinismE0ELb0ELb0ES3_PlS8_lN6thrust23THRUST_200600_302600_NS4plusIvEElEEDaPvRmT3_T4_T5_mT6_P12ihipStream_tbENKUlT_T0_E_clISt17integral_constantIbLb0EESP_IbLb1EEEEDaSL_SM_EUlSL_E0_NS1_11comp_targetILNS1_3genE5ELNS1_11target_archE942ELNS1_3gpuE9ELNS1_3repE0EEENS1_30default_config_static_selectorELNS0_4arch9wavefront6targetE1EEEvT1_, .Lfunc_end152-_ZN7rocprim17ROCPRIM_400000_NS6detail17trampoline_kernelINS0_14default_configENS1_20scan_config_selectorIlEEZZNS1_9scan_implILNS1_25lookback_scan_determinismE0ELb0ELb0ES3_PlS8_lN6thrust23THRUST_200600_302600_NS4plusIvEElEEDaPvRmT3_T4_T5_mT6_P12ihipStream_tbENKUlT_T0_E_clISt17integral_constantIbLb0EESP_IbLb1EEEEDaSL_SM_EUlSL_E0_NS1_11comp_targetILNS1_3genE5ELNS1_11target_archE942ELNS1_3gpuE9ELNS1_3repE0EEENS1_30default_config_static_selectorELNS0_4arch9wavefront6targetE1EEEvT1_
                                        ; -- End function
	.section	.AMDGPU.csdata,"",@progbits
; Kernel info:
; codeLenInByte = 2804
; NumSgprs: 46
; NumVgprs: 73
; NumAgprs: 0
; TotalNumVgprs: 73
; ScratchSize: 0
; MemoryBound: 0
; FloatMode: 240
; IeeeMode: 1
; LDSByteSize: 30720 bytes/workgroup (compile time only)
; SGPRBlocks: 5
; VGPRBlocks: 9
; NumSGPRsForWavesPerEU: 46
; NumVGPRsForWavesPerEU: 73
; AccumOffset: 76
; Occupancy: 2
; WaveLimiterHint : 0
; COMPUTE_PGM_RSRC2:SCRATCH_EN: 0
; COMPUTE_PGM_RSRC2:USER_SGPR: 2
; COMPUTE_PGM_RSRC2:TRAP_HANDLER: 0
; COMPUTE_PGM_RSRC2:TGID_X_EN: 1
; COMPUTE_PGM_RSRC2:TGID_Y_EN: 0
; COMPUTE_PGM_RSRC2:TGID_Z_EN: 0
; COMPUTE_PGM_RSRC2:TIDIG_COMP_CNT: 0
; COMPUTE_PGM_RSRC3_GFX90A:ACCUM_OFFSET: 18
; COMPUTE_PGM_RSRC3_GFX90A:TG_SPLIT: 0
	.section	.text._ZN7rocprim17ROCPRIM_400000_NS6detail17trampoline_kernelINS0_14default_configENS1_20scan_config_selectorIlEEZZNS1_9scan_implILNS1_25lookback_scan_determinismE0ELb0ELb0ES3_PlS8_lN6thrust23THRUST_200600_302600_NS4plusIvEElEEDaPvRmT3_T4_T5_mT6_P12ihipStream_tbENKUlT_T0_E_clISt17integral_constantIbLb0EESP_IbLb1EEEEDaSL_SM_EUlSL_E0_NS1_11comp_targetILNS1_3genE4ELNS1_11target_archE910ELNS1_3gpuE8ELNS1_3repE0EEENS1_30default_config_static_selectorELNS0_4arch9wavefront6targetE1EEEvT1_,"axG",@progbits,_ZN7rocprim17ROCPRIM_400000_NS6detail17trampoline_kernelINS0_14default_configENS1_20scan_config_selectorIlEEZZNS1_9scan_implILNS1_25lookback_scan_determinismE0ELb0ELb0ES3_PlS8_lN6thrust23THRUST_200600_302600_NS4plusIvEElEEDaPvRmT3_T4_T5_mT6_P12ihipStream_tbENKUlT_T0_E_clISt17integral_constantIbLb0EESP_IbLb1EEEEDaSL_SM_EUlSL_E0_NS1_11comp_targetILNS1_3genE4ELNS1_11target_archE910ELNS1_3gpuE8ELNS1_3repE0EEENS1_30default_config_static_selectorELNS0_4arch9wavefront6targetE1EEEvT1_,comdat
	.protected	_ZN7rocprim17ROCPRIM_400000_NS6detail17trampoline_kernelINS0_14default_configENS1_20scan_config_selectorIlEEZZNS1_9scan_implILNS1_25lookback_scan_determinismE0ELb0ELb0ES3_PlS8_lN6thrust23THRUST_200600_302600_NS4plusIvEElEEDaPvRmT3_T4_T5_mT6_P12ihipStream_tbENKUlT_T0_E_clISt17integral_constantIbLb0EESP_IbLb1EEEEDaSL_SM_EUlSL_E0_NS1_11comp_targetILNS1_3genE4ELNS1_11target_archE910ELNS1_3gpuE8ELNS1_3repE0EEENS1_30default_config_static_selectorELNS0_4arch9wavefront6targetE1EEEvT1_ ; -- Begin function _ZN7rocprim17ROCPRIM_400000_NS6detail17trampoline_kernelINS0_14default_configENS1_20scan_config_selectorIlEEZZNS1_9scan_implILNS1_25lookback_scan_determinismE0ELb0ELb0ES3_PlS8_lN6thrust23THRUST_200600_302600_NS4plusIvEElEEDaPvRmT3_T4_T5_mT6_P12ihipStream_tbENKUlT_T0_E_clISt17integral_constantIbLb0EESP_IbLb1EEEEDaSL_SM_EUlSL_E0_NS1_11comp_targetILNS1_3genE4ELNS1_11target_archE910ELNS1_3gpuE8ELNS1_3repE0EEENS1_30default_config_static_selectorELNS0_4arch9wavefront6targetE1EEEvT1_
	.globl	_ZN7rocprim17ROCPRIM_400000_NS6detail17trampoline_kernelINS0_14default_configENS1_20scan_config_selectorIlEEZZNS1_9scan_implILNS1_25lookback_scan_determinismE0ELb0ELb0ES3_PlS8_lN6thrust23THRUST_200600_302600_NS4plusIvEElEEDaPvRmT3_T4_T5_mT6_P12ihipStream_tbENKUlT_T0_E_clISt17integral_constantIbLb0EESP_IbLb1EEEEDaSL_SM_EUlSL_E0_NS1_11comp_targetILNS1_3genE4ELNS1_11target_archE910ELNS1_3gpuE8ELNS1_3repE0EEENS1_30default_config_static_selectorELNS0_4arch9wavefront6targetE1EEEvT1_
	.p2align	8
	.type	_ZN7rocprim17ROCPRIM_400000_NS6detail17trampoline_kernelINS0_14default_configENS1_20scan_config_selectorIlEEZZNS1_9scan_implILNS1_25lookback_scan_determinismE0ELb0ELb0ES3_PlS8_lN6thrust23THRUST_200600_302600_NS4plusIvEElEEDaPvRmT3_T4_T5_mT6_P12ihipStream_tbENKUlT_T0_E_clISt17integral_constantIbLb0EESP_IbLb1EEEEDaSL_SM_EUlSL_E0_NS1_11comp_targetILNS1_3genE4ELNS1_11target_archE910ELNS1_3gpuE8ELNS1_3repE0EEENS1_30default_config_static_selectorELNS0_4arch9wavefront6targetE1EEEvT1_,@function
_ZN7rocprim17ROCPRIM_400000_NS6detail17trampoline_kernelINS0_14default_configENS1_20scan_config_selectorIlEEZZNS1_9scan_implILNS1_25lookback_scan_determinismE0ELb0ELb0ES3_PlS8_lN6thrust23THRUST_200600_302600_NS4plusIvEElEEDaPvRmT3_T4_T5_mT6_P12ihipStream_tbENKUlT_T0_E_clISt17integral_constantIbLb0EESP_IbLb1EEEEDaSL_SM_EUlSL_E0_NS1_11comp_targetILNS1_3genE4ELNS1_11target_archE910ELNS1_3gpuE8ELNS1_3repE0EEENS1_30default_config_static_selectorELNS0_4arch9wavefront6targetE1EEEvT1_: ; @_ZN7rocprim17ROCPRIM_400000_NS6detail17trampoline_kernelINS0_14default_configENS1_20scan_config_selectorIlEEZZNS1_9scan_implILNS1_25lookback_scan_determinismE0ELb0ELb0ES3_PlS8_lN6thrust23THRUST_200600_302600_NS4plusIvEElEEDaPvRmT3_T4_T5_mT6_P12ihipStream_tbENKUlT_T0_E_clISt17integral_constantIbLb0EESP_IbLb1EEEEDaSL_SM_EUlSL_E0_NS1_11comp_targetILNS1_3genE4ELNS1_11target_archE910ELNS1_3gpuE8ELNS1_3repE0EEENS1_30default_config_static_selectorELNS0_4arch9wavefront6targetE1EEEvT1_
; %bb.0:
	.section	.rodata,"a",@progbits
	.p2align	6, 0x0
	.amdhsa_kernel _ZN7rocprim17ROCPRIM_400000_NS6detail17trampoline_kernelINS0_14default_configENS1_20scan_config_selectorIlEEZZNS1_9scan_implILNS1_25lookback_scan_determinismE0ELb0ELb0ES3_PlS8_lN6thrust23THRUST_200600_302600_NS4plusIvEElEEDaPvRmT3_T4_T5_mT6_P12ihipStream_tbENKUlT_T0_E_clISt17integral_constantIbLb0EESP_IbLb1EEEEDaSL_SM_EUlSL_E0_NS1_11comp_targetILNS1_3genE4ELNS1_11target_archE910ELNS1_3gpuE8ELNS1_3repE0EEENS1_30default_config_static_selectorELNS0_4arch9wavefront6targetE1EEEvT1_
		.amdhsa_group_segment_fixed_size 0
		.amdhsa_private_segment_fixed_size 0
		.amdhsa_kernarg_size 40
		.amdhsa_user_sgpr_count 2
		.amdhsa_user_sgpr_dispatch_ptr 0
		.amdhsa_user_sgpr_queue_ptr 0
		.amdhsa_user_sgpr_kernarg_segment_ptr 1
		.amdhsa_user_sgpr_dispatch_id 0
		.amdhsa_user_sgpr_kernarg_preload_length 0
		.amdhsa_user_sgpr_kernarg_preload_offset 0
		.amdhsa_user_sgpr_private_segment_size 0
		.amdhsa_uses_dynamic_stack 0
		.amdhsa_enable_private_segment 0
		.amdhsa_system_sgpr_workgroup_id_x 1
		.amdhsa_system_sgpr_workgroup_id_y 0
		.amdhsa_system_sgpr_workgroup_id_z 0
		.amdhsa_system_sgpr_workgroup_info 0
		.amdhsa_system_vgpr_workitem_id 0
		.amdhsa_next_free_vgpr 1
		.amdhsa_next_free_sgpr 0
		.amdhsa_accum_offset 4
		.amdhsa_reserve_vcc 0
		.amdhsa_float_round_mode_32 0
		.amdhsa_float_round_mode_16_64 0
		.amdhsa_float_denorm_mode_32 3
		.amdhsa_float_denorm_mode_16_64 3
		.amdhsa_dx10_clamp 1
		.amdhsa_ieee_mode 1
		.amdhsa_fp16_overflow 0
		.amdhsa_tg_split 0
		.amdhsa_exception_fp_ieee_invalid_op 0
		.amdhsa_exception_fp_denorm_src 0
		.amdhsa_exception_fp_ieee_div_zero 0
		.amdhsa_exception_fp_ieee_overflow 0
		.amdhsa_exception_fp_ieee_underflow 0
		.amdhsa_exception_fp_ieee_inexact 0
		.amdhsa_exception_int_div_zero 0
	.end_amdhsa_kernel
	.section	.text._ZN7rocprim17ROCPRIM_400000_NS6detail17trampoline_kernelINS0_14default_configENS1_20scan_config_selectorIlEEZZNS1_9scan_implILNS1_25lookback_scan_determinismE0ELb0ELb0ES3_PlS8_lN6thrust23THRUST_200600_302600_NS4plusIvEElEEDaPvRmT3_T4_T5_mT6_P12ihipStream_tbENKUlT_T0_E_clISt17integral_constantIbLb0EESP_IbLb1EEEEDaSL_SM_EUlSL_E0_NS1_11comp_targetILNS1_3genE4ELNS1_11target_archE910ELNS1_3gpuE8ELNS1_3repE0EEENS1_30default_config_static_selectorELNS0_4arch9wavefront6targetE1EEEvT1_,"axG",@progbits,_ZN7rocprim17ROCPRIM_400000_NS6detail17trampoline_kernelINS0_14default_configENS1_20scan_config_selectorIlEEZZNS1_9scan_implILNS1_25lookback_scan_determinismE0ELb0ELb0ES3_PlS8_lN6thrust23THRUST_200600_302600_NS4plusIvEElEEDaPvRmT3_T4_T5_mT6_P12ihipStream_tbENKUlT_T0_E_clISt17integral_constantIbLb0EESP_IbLb1EEEEDaSL_SM_EUlSL_E0_NS1_11comp_targetILNS1_3genE4ELNS1_11target_archE910ELNS1_3gpuE8ELNS1_3repE0EEENS1_30default_config_static_selectorELNS0_4arch9wavefront6targetE1EEEvT1_,comdat
.Lfunc_end153:
	.size	_ZN7rocprim17ROCPRIM_400000_NS6detail17trampoline_kernelINS0_14default_configENS1_20scan_config_selectorIlEEZZNS1_9scan_implILNS1_25lookback_scan_determinismE0ELb0ELb0ES3_PlS8_lN6thrust23THRUST_200600_302600_NS4plusIvEElEEDaPvRmT3_T4_T5_mT6_P12ihipStream_tbENKUlT_T0_E_clISt17integral_constantIbLb0EESP_IbLb1EEEEDaSL_SM_EUlSL_E0_NS1_11comp_targetILNS1_3genE4ELNS1_11target_archE910ELNS1_3gpuE8ELNS1_3repE0EEENS1_30default_config_static_selectorELNS0_4arch9wavefront6targetE1EEEvT1_, .Lfunc_end153-_ZN7rocprim17ROCPRIM_400000_NS6detail17trampoline_kernelINS0_14default_configENS1_20scan_config_selectorIlEEZZNS1_9scan_implILNS1_25lookback_scan_determinismE0ELb0ELb0ES3_PlS8_lN6thrust23THRUST_200600_302600_NS4plusIvEElEEDaPvRmT3_T4_T5_mT6_P12ihipStream_tbENKUlT_T0_E_clISt17integral_constantIbLb0EESP_IbLb1EEEEDaSL_SM_EUlSL_E0_NS1_11comp_targetILNS1_3genE4ELNS1_11target_archE910ELNS1_3gpuE8ELNS1_3repE0EEENS1_30default_config_static_selectorELNS0_4arch9wavefront6targetE1EEEvT1_
                                        ; -- End function
	.section	.AMDGPU.csdata,"",@progbits
; Kernel info:
; codeLenInByte = 0
; NumSgprs: 6
; NumVgprs: 0
; NumAgprs: 0
; TotalNumVgprs: 0
; ScratchSize: 0
; MemoryBound: 0
; FloatMode: 240
; IeeeMode: 1
; LDSByteSize: 0 bytes/workgroup (compile time only)
; SGPRBlocks: 0
; VGPRBlocks: 0
; NumSGPRsForWavesPerEU: 6
; NumVGPRsForWavesPerEU: 1
; AccumOffset: 4
; Occupancy: 8
; WaveLimiterHint : 0
; COMPUTE_PGM_RSRC2:SCRATCH_EN: 0
; COMPUTE_PGM_RSRC2:USER_SGPR: 2
; COMPUTE_PGM_RSRC2:TRAP_HANDLER: 0
; COMPUTE_PGM_RSRC2:TGID_X_EN: 1
; COMPUTE_PGM_RSRC2:TGID_Y_EN: 0
; COMPUTE_PGM_RSRC2:TGID_Z_EN: 0
; COMPUTE_PGM_RSRC2:TIDIG_COMP_CNT: 0
; COMPUTE_PGM_RSRC3_GFX90A:ACCUM_OFFSET: 0
; COMPUTE_PGM_RSRC3_GFX90A:TG_SPLIT: 0
	.section	.text._ZN7rocprim17ROCPRIM_400000_NS6detail17trampoline_kernelINS0_14default_configENS1_20scan_config_selectorIlEEZZNS1_9scan_implILNS1_25lookback_scan_determinismE0ELb0ELb0ES3_PlS8_lN6thrust23THRUST_200600_302600_NS4plusIvEElEEDaPvRmT3_T4_T5_mT6_P12ihipStream_tbENKUlT_T0_E_clISt17integral_constantIbLb0EESP_IbLb1EEEEDaSL_SM_EUlSL_E0_NS1_11comp_targetILNS1_3genE3ELNS1_11target_archE908ELNS1_3gpuE7ELNS1_3repE0EEENS1_30default_config_static_selectorELNS0_4arch9wavefront6targetE1EEEvT1_,"axG",@progbits,_ZN7rocprim17ROCPRIM_400000_NS6detail17trampoline_kernelINS0_14default_configENS1_20scan_config_selectorIlEEZZNS1_9scan_implILNS1_25lookback_scan_determinismE0ELb0ELb0ES3_PlS8_lN6thrust23THRUST_200600_302600_NS4plusIvEElEEDaPvRmT3_T4_T5_mT6_P12ihipStream_tbENKUlT_T0_E_clISt17integral_constantIbLb0EESP_IbLb1EEEEDaSL_SM_EUlSL_E0_NS1_11comp_targetILNS1_3genE3ELNS1_11target_archE908ELNS1_3gpuE7ELNS1_3repE0EEENS1_30default_config_static_selectorELNS0_4arch9wavefront6targetE1EEEvT1_,comdat
	.protected	_ZN7rocprim17ROCPRIM_400000_NS6detail17trampoline_kernelINS0_14default_configENS1_20scan_config_selectorIlEEZZNS1_9scan_implILNS1_25lookback_scan_determinismE0ELb0ELb0ES3_PlS8_lN6thrust23THRUST_200600_302600_NS4plusIvEElEEDaPvRmT3_T4_T5_mT6_P12ihipStream_tbENKUlT_T0_E_clISt17integral_constantIbLb0EESP_IbLb1EEEEDaSL_SM_EUlSL_E0_NS1_11comp_targetILNS1_3genE3ELNS1_11target_archE908ELNS1_3gpuE7ELNS1_3repE0EEENS1_30default_config_static_selectorELNS0_4arch9wavefront6targetE1EEEvT1_ ; -- Begin function _ZN7rocprim17ROCPRIM_400000_NS6detail17trampoline_kernelINS0_14default_configENS1_20scan_config_selectorIlEEZZNS1_9scan_implILNS1_25lookback_scan_determinismE0ELb0ELb0ES3_PlS8_lN6thrust23THRUST_200600_302600_NS4plusIvEElEEDaPvRmT3_T4_T5_mT6_P12ihipStream_tbENKUlT_T0_E_clISt17integral_constantIbLb0EESP_IbLb1EEEEDaSL_SM_EUlSL_E0_NS1_11comp_targetILNS1_3genE3ELNS1_11target_archE908ELNS1_3gpuE7ELNS1_3repE0EEENS1_30default_config_static_selectorELNS0_4arch9wavefront6targetE1EEEvT1_
	.globl	_ZN7rocprim17ROCPRIM_400000_NS6detail17trampoline_kernelINS0_14default_configENS1_20scan_config_selectorIlEEZZNS1_9scan_implILNS1_25lookback_scan_determinismE0ELb0ELb0ES3_PlS8_lN6thrust23THRUST_200600_302600_NS4plusIvEElEEDaPvRmT3_T4_T5_mT6_P12ihipStream_tbENKUlT_T0_E_clISt17integral_constantIbLb0EESP_IbLb1EEEEDaSL_SM_EUlSL_E0_NS1_11comp_targetILNS1_3genE3ELNS1_11target_archE908ELNS1_3gpuE7ELNS1_3repE0EEENS1_30default_config_static_selectorELNS0_4arch9wavefront6targetE1EEEvT1_
	.p2align	8
	.type	_ZN7rocprim17ROCPRIM_400000_NS6detail17trampoline_kernelINS0_14default_configENS1_20scan_config_selectorIlEEZZNS1_9scan_implILNS1_25lookback_scan_determinismE0ELb0ELb0ES3_PlS8_lN6thrust23THRUST_200600_302600_NS4plusIvEElEEDaPvRmT3_T4_T5_mT6_P12ihipStream_tbENKUlT_T0_E_clISt17integral_constantIbLb0EESP_IbLb1EEEEDaSL_SM_EUlSL_E0_NS1_11comp_targetILNS1_3genE3ELNS1_11target_archE908ELNS1_3gpuE7ELNS1_3repE0EEENS1_30default_config_static_selectorELNS0_4arch9wavefront6targetE1EEEvT1_,@function
_ZN7rocprim17ROCPRIM_400000_NS6detail17trampoline_kernelINS0_14default_configENS1_20scan_config_selectorIlEEZZNS1_9scan_implILNS1_25lookback_scan_determinismE0ELb0ELb0ES3_PlS8_lN6thrust23THRUST_200600_302600_NS4plusIvEElEEDaPvRmT3_T4_T5_mT6_P12ihipStream_tbENKUlT_T0_E_clISt17integral_constantIbLb0EESP_IbLb1EEEEDaSL_SM_EUlSL_E0_NS1_11comp_targetILNS1_3genE3ELNS1_11target_archE908ELNS1_3gpuE7ELNS1_3repE0EEENS1_30default_config_static_selectorELNS0_4arch9wavefront6targetE1EEEvT1_: ; @_ZN7rocprim17ROCPRIM_400000_NS6detail17trampoline_kernelINS0_14default_configENS1_20scan_config_selectorIlEEZZNS1_9scan_implILNS1_25lookback_scan_determinismE0ELb0ELb0ES3_PlS8_lN6thrust23THRUST_200600_302600_NS4plusIvEElEEDaPvRmT3_T4_T5_mT6_P12ihipStream_tbENKUlT_T0_E_clISt17integral_constantIbLb0EESP_IbLb1EEEEDaSL_SM_EUlSL_E0_NS1_11comp_targetILNS1_3genE3ELNS1_11target_archE908ELNS1_3gpuE7ELNS1_3repE0EEENS1_30default_config_static_selectorELNS0_4arch9wavefront6targetE1EEEvT1_
; %bb.0:
	.section	.rodata,"a",@progbits
	.p2align	6, 0x0
	.amdhsa_kernel _ZN7rocprim17ROCPRIM_400000_NS6detail17trampoline_kernelINS0_14default_configENS1_20scan_config_selectorIlEEZZNS1_9scan_implILNS1_25lookback_scan_determinismE0ELb0ELb0ES3_PlS8_lN6thrust23THRUST_200600_302600_NS4plusIvEElEEDaPvRmT3_T4_T5_mT6_P12ihipStream_tbENKUlT_T0_E_clISt17integral_constantIbLb0EESP_IbLb1EEEEDaSL_SM_EUlSL_E0_NS1_11comp_targetILNS1_3genE3ELNS1_11target_archE908ELNS1_3gpuE7ELNS1_3repE0EEENS1_30default_config_static_selectorELNS0_4arch9wavefront6targetE1EEEvT1_
		.amdhsa_group_segment_fixed_size 0
		.amdhsa_private_segment_fixed_size 0
		.amdhsa_kernarg_size 40
		.amdhsa_user_sgpr_count 2
		.amdhsa_user_sgpr_dispatch_ptr 0
		.amdhsa_user_sgpr_queue_ptr 0
		.amdhsa_user_sgpr_kernarg_segment_ptr 1
		.amdhsa_user_sgpr_dispatch_id 0
		.amdhsa_user_sgpr_kernarg_preload_length 0
		.amdhsa_user_sgpr_kernarg_preload_offset 0
		.amdhsa_user_sgpr_private_segment_size 0
		.amdhsa_uses_dynamic_stack 0
		.amdhsa_enable_private_segment 0
		.amdhsa_system_sgpr_workgroup_id_x 1
		.amdhsa_system_sgpr_workgroup_id_y 0
		.amdhsa_system_sgpr_workgroup_id_z 0
		.amdhsa_system_sgpr_workgroup_info 0
		.amdhsa_system_vgpr_workitem_id 0
		.amdhsa_next_free_vgpr 1
		.amdhsa_next_free_sgpr 0
		.amdhsa_accum_offset 4
		.amdhsa_reserve_vcc 0
		.amdhsa_float_round_mode_32 0
		.amdhsa_float_round_mode_16_64 0
		.amdhsa_float_denorm_mode_32 3
		.amdhsa_float_denorm_mode_16_64 3
		.amdhsa_dx10_clamp 1
		.amdhsa_ieee_mode 1
		.amdhsa_fp16_overflow 0
		.amdhsa_tg_split 0
		.amdhsa_exception_fp_ieee_invalid_op 0
		.amdhsa_exception_fp_denorm_src 0
		.amdhsa_exception_fp_ieee_div_zero 0
		.amdhsa_exception_fp_ieee_overflow 0
		.amdhsa_exception_fp_ieee_underflow 0
		.amdhsa_exception_fp_ieee_inexact 0
		.amdhsa_exception_int_div_zero 0
	.end_amdhsa_kernel
	.section	.text._ZN7rocprim17ROCPRIM_400000_NS6detail17trampoline_kernelINS0_14default_configENS1_20scan_config_selectorIlEEZZNS1_9scan_implILNS1_25lookback_scan_determinismE0ELb0ELb0ES3_PlS8_lN6thrust23THRUST_200600_302600_NS4plusIvEElEEDaPvRmT3_T4_T5_mT6_P12ihipStream_tbENKUlT_T0_E_clISt17integral_constantIbLb0EESP_IbLb1EEEEDaSL_SM_EUlSL_E0_NS1_11comp_targetILNS1_3genE3ELNS1_11target_archE908ELNS1_3gpuE7ELNS1_3repE0EEENS1_30default_config_static_selectorELNS0_4arch9wavefront6targetE1EEEvT1_,"axG",@progbits,_ZN7rocprim17ROCPRIM_400000_NS6detail17trampoline_kernelINS0_14default_configENS1_20scan_config_selectorIlEEZZNS1_9scan_implILNS1_25lookback_scan_determinismE0ELb0ELb0ES3_PlS8_lN6thrust23THRUST_200600_302600_NS4plusIvEElEEDaPvRmT3_T4_T5_mT6_P12ihipStream_tbENKUlT_T0_E_clISt17integral_constantIbLb0EESP_IbLb1EEEEDaSL_SM_EUlSL_E0_NS1_11comp_targetILNS1_3genE3ELNS1_11target_archE908ELNS1_3gpuE7ELNS1_3repE0EEENS1_30default_config_static_selectorELNS0_4arch9wavefront6targetE1EEEvT1_,comdat
.Lfunc_end154:
	.size	_ZN7rocprim17ROCPRIM_400000_NS6detail17trampoline_kernelINS0_14default_configENS1_20scan_config_selectorIlEEZZNS1_9scan_implILNS1_25lookback_scan_determinismE0ELb0ELb0ES3_PlS8_lN6thrust23THRUST_200600_302600_NS4plusIvEElEEDaPvRmT3_T4_T5_mT6_P12ihipStream_tbENKUlT_T0_E_clISt17integral_constantIbLb0EESP_IbLb1EEEEDaSL_SM_EUlSL_E0_NS1_11comp_targetILNS1_3genE3ELNS1_11target_archE908ELNS1_3gpuE7ELNS1_3repE0EEENS1_30default_config_static_selectorELNS0_4arch9wavefront6targetE1EEEvT1_, .Lfunc_end154-_ZN7rocprim17ROCPRIM_400000_NS6detail17trampoline_kernelINS0_14default_configENS1_20scan_config_selectorIlEEZZNS1_9scan_implILNS1_25lookback_scan_determinismE0ELb0ELb0ES3_PlS8_lN6thrust23THRUST_200600_302600_NS4plusIvEElEEDaPvRmT3_T4_T5_mT6_P12ihipStream_tbENKUlT_T0_E_clISt17integral_constantIbLb0EESP_IbLb1EEEEDaSL_SM_EUlSL_E0_NS1_11comp_targetILNS1_3genE3ELNS1_11target_archE908ELNS1_3gpuE7ELNS1_3repE0EEENS1_30default_config_static_selectorELNS0_4arch9wavefront6targetE1EEEvT1_
                                        ; -- End function
	.section	.AMDGPU.csdata,"",@progbits
; Kernel info:
; codeLenInByte = 0
; NumSgprs: 6
; NumVgprs: 0
; NumAgprs: 0
; TotalNumVgprs: 0
; ScratchSize: 0
; MemoryBound: 0
; FloatMode: 240
; IeeeMode: 1
; LDSByteSize: 0 bytes/workgroup (compile time only)
; SGPRBlocks: 0
; VGPRBlocks: 0
; NumSGPRsForWavesPerEU: 6
; NumVGPRsForWavesPerEU: 1
; AccumOffset: 4
; Occupancy: 8
; WaveLimiterHint : 0
; COMPUTE_PGM_RSRC2:SCRATCH_EN: 0
; COMPUTE_PGM_RSRC2:USER_SGPR: 2
; COMPUTE_PGM_RSRC2:TRAP_HANDLER: 0
; COMPUTE_PGM_RSRC2:TGID_X_EN: 1
; COMPUTE_PGM_RSRC2:TGID_Y_EN: 0
; COMPUTE_PGM_RSRC2:TGID_Z_EN: 0
; COMPUTE_PGM_RSRC2:TIDIG_COMP_CNT: 0
; COMPUTE_PGM_RSRC3_GFX90A:ACCUM_OFFSET: 0
; COMPUTE_PGM_RSRC3_GFX90A:TG_SPLIT: 0
	.section	.text._ZN7rocprim17ROCPRIM_400000_NS6detail17trampoline_kernelINS0_14default_configENS1_20scan_config_selectorIlEEZZNS1_9scan_implILNS1_25lookback_scan_determinismE0ELb0ELb0ES3_PlS8_lN6thrust23THRUST_200600_302600_NS4plusIvEElEEDaPvRmT3_T4_T5_mT6_P12ihipStream_tbENKUlT_T0_E_clISt17integral_constantIbLb0EESP_IbLb1EEEEDaSL_SM_EUlSL_E0_NS1_11comp_targetILNS1_3genE2ELNS1_11target_archE906ELNS1_3gpuE6ELNS1_3repE0EEENS1_30default_config_static_selectorELNS0_4arch9wavefront6targetE1EEEvT1_,"axG",@progbits,_ZN7rocprim17ROCPRIM_400000_NS6detail17trampoline_kernelINS0_14default_configENS1_20scan_config_selectorIlEEZZNS1_9scan_implILNS1_25lookback_scan_determinismE0ELb0ELb0ES3_PlS8_lN6thrust23THRUST_200600_302600_NS4plusIvEElEEDaPvRmT3_T4_T5_mT6_P12ihipStream_tbENKUlT_T0_E_clISt17integral_constantIbLb0EESP_IbLb1EEEEDaSL_SM_EUlSL_E0_NS1_11comp_targetILNS1_3genE2ELNS1_11target_archE906ELNS1_3gpuE6ELNS1_3repE0EEENS1_30default_config_static_selectorELNS0_4arch9wavefront6targetE1EEEvT1_,comdat
	.protected	_ZN7rocprim17ROCPRIM_400000_NS6detail17trampoline_kernelINS0_14default_configENS1_20scan_config_selectorIlEEZZNS1_9scan_implILNS1_25lookback_scan_determinismE0ELb0ELb0ES3_PlS8_lN6thrust23THRUST_200600_302600_NS4plusIvEElEEDaPvRmT3_T4_T5_mT6_P12ihipStream_tbENKUlT_T0_E_clISt17integral_constantIbLb0EESP_IbLb1EEEEDaSL_SM_EUlSL_E0_NS1_11comp_targetILNS1_3genE2ELNS1_11target_archE906ELNS1_3gpuE6ELNS1_3repE0EEENS1_30default_config_static_selectorELNS0_4arch9wavefront6targetE1EEEvT1_ ; -- Begin function _ZN7rocprim17ROCPRIM_400000_NS6detail17trampoline_kernelINS0_14default_configENS1_20scan_config_selectorIlEEZZNS1_9scan_implILNS1_25lookback_scan_determinismE0ELb0ELb0ES3_PlS8_lN6thrust23THRUST_200600_302600_NS4plusIvEElEEDaPvRmT3_T4_T5_mT6_P12ihipStream_tbENKUlT_T0_E_clISt17integral_constantIbLb0EESP_IbLb1EEEEDaSL_SM_EUlSL_E0_NS1_11comp_targetILNS1_3genE2ELNS1_11target_archE906ELNS1_3gpuE6ELNS1_3repE0EEENS1_30default_config_static_selectorELNS0_4arch9wavefront6targetE1EEEvT1_
	.globl	_ZN7rocprim17ROCPRIM_400000_NS6detail17trampoline_kernelINS0_14default_configENS1_20scan_config_selectorIlEEZZNS1_9scan_implILNS1_25lookback_scan_determinismE0ELb0ELb0ES3_PlS8_lN6thrust23THRUST_200600_302600_NS4plusIvEElEEDaPvRmT3_T4_T5_mT6_P12ihipStream_tbENKUlT_T0_E_clISt17integral_constantIbLb0EESP_IbLb1EEEEDaSL_SM_EUlSL_E0_NS1_11comp_targetILNS1_3genE2ELNS1_11target_archE906ELNS1_3gpuE6ELNS1_3repE0EEENS1_30default_config_static_selectorELNS0_4arch9wavefront6targetE1EEEvT1_
	.p2align	8
	.type	_ZN7rocprim17ROCPRIM_400000_NS6detail17trampoline_kernelINS0_14default_configENS1_20scan_config_selectorIlEEZZNS1_9scan_implILNS1_25lookback_scan_determinismE0ELb0ELb0ES3_PlS8_lN6thrust23THRUST_200600_302600_NS4plusIvEElEEDaPvRmT3_T4_T5_mT6_P12ihipStream_tbENKUlT_T0_E_clISt17integral_constantIbLb0EESP_IbLb1EEEEDaSL_SM_EUlSL_E0_NS1_11comp_targetILNS1_3genE2ELNS1_11target_archE906ELNS1_3gpuE6ELNS1_3repE0EEENS1_30default_config_static_selectorELNS0_4arch9wavefront6targetE1EEEvT1_,@function
_ZN7rocprim17ROCPRIM_400000_NS6detail17trampoline_kernelINS0_14default_configENS1_20scan_config_selectorIlEEZZNS1_9scan_implILNS1_25lookback_scan_determinismE0ELb0ELb0ES3_PlS8_lN6thrust23THRUST_200600_302600_NS4plusIvEElEEDaPvRmT3_T4_T5_mT6_P12ihipStream_tbENKUlT_T0_E_clISt17integral_constantIbLb0EESP_IbLb1EEEEDaSL_SM_EUlSL_E0_NS1_11comp_targetILNS1_3genE2ELNS1_11target_archE906ELNS1_3gpuE6ELNS1_3repE0EEENS1_30default_config_static_selectorELNS0_4arch9wavefront6targetE1EEEvT1_: ; @_ZN7rocprim17ROCPRIM_400000_NS6detail17trampoline_kernelINS0_14default_configENS1_20scan_config_selectorIlEEZZNS1_9scan_implILNS1_25lookback_scan_determinismE0ELb0ELb0ES3_PlS8_lN6thrust23THRUST_200600_302600_NS4plusIvEElEEDaPvRmT3_T4_T5_mT6_P12ihipStream_tbENKUlT_T0_E_clISt17integral_constantIbLb0EESP_IbLb1EEEEDaSL_SM_EUlSL_E0_NS1_11comp_targetILNS1_3genE2ELNS1_11target_archE906ELNS1_3gpuE6ELNS1_3repE0EEENS1_30default_config_static_selectorELNS0_4arch9wavefront6targetE1EEEvT1_
; %bb.0:
	.section	.rodata,"a",@progbits
	.p2align	6, 0x0
	.amdhsa_kernel _ZN7rocprim17ROCPRIM_400000_NS6detail17trampoline_kernelINS0_14default_configENS1_20scan_config_selectorIlEEZZNS1_9scan_implILNS1_25lookback_scan_determinismE0ELb0ELb0ES3_PlS8_lN6thrust23THRUST_200600_302600_NS4plusIvEElEEDaPvRmT3_T4_T5_mT6_P12ihipStream_tbENKUlT_T0_E_clISt17integral_constantIbLb0EESP_IbLb1EEEEDaSL_SM_EUlSL_E0_NS1_11comp_targetILNS1_3genE2ELNS1_11target_archE906ELNS1_3gpuE6ELNS1_3repE0EEENS1_30default_config_static_selectorELNS0_4arch9wavefront6targetE1EEEvT1_
		.amdhsa_group_segment_fixed_size 0
		.amdhsa_private_segment_fixed_size 0
		.amdhsa_kernarg_size 40
		.amdhsa_user_sgpr_count 2
		.amdhsa_user_sgpr_dispatch_ptr 0
		.amdhsa_user_sgpr_queue_ptr 0
		.amdhsa_user_sgpr_kernarg_segment_ptr 1
		.amdhsa_user_sgpr_dispatch_id 0
		.amdhsa_user_sgpr_kernarg_preload_length 0
		.amdhsa_user_sgpr_kernarg_preload_offset 0
		.amdhsa_user_sgpr_private_segment_size 0
		.amdhsa_uses_dynamic_stack 0
		.amdhsa_enable_private_segment 0
		.amdhsa_system_sgpr_workgroup_id_x 1
		.amdhsa_system_sgpr_workgroup_id_y 0
		.amdhsa_system_sgpr_workgroup_id_z 0
		.amdhsa_system_sgpr_workgroup_info 0
		.amdhsa_system_vgpr_workitem_id 0
		.amdhsa_next_free_vgpr 1
		.amdhsa_next_free_sgpr 0
		.amdhsa_accum_offset 4
		.amdhsa_reserve_vcc 0
		.amdhsa_float_round_mode_32 0
		.amdhsa_float_round_mode_16_64 0
		.amdhsa_float_denorm_mode_32 3
		.amdhsa_float_denorm_mode_16_64 3
		.amdhsa_dx10_clamp 1
		.amdhsa_ieee_mode 1
		.amdhsa_fp16_overflow 0
		.amdhsa_tg_split 0
		.amdhsa_exception_fp_ieee_invalid_op 0
		.amdhsa_exception_fp_denorm_src 0
		.amdhsa_exception_fp_ieee_div_zero 0
		.amdhsa_exception_fp_ieee_overflow 0
		.amdhsa_exception_fp_ieee_underflow 0
		.amdhsa_exception_fp_ieee_inexact 0
		.amdhsa_exception_int_div_zero 0
	.end_amdhsa_kernel
	.section	.text._ZN7rocprim17ROCPRIM_400000_NS6detail17trampoline_kernelINS0_14default_configENS1_20scan_config_selectorIlEEZZNS1_9scan_implILNS1_25lookback_scan_determinismE0ELb0ELb0ES3_PlS8_lN6thrust23THRUST_200600_302600_NS4plusIvEElEEDaPvRmT3_T4_T5_mT6_P12ihipStream_tbENKUlT_T0_E_clISt17integral_constantIbLb0EESP_IbLb1EEEEDaSL_SM_EUlSL_E0_NS1_11comp_targetILNS1_3genE2ELNS1_11target_archE906ELNS1_3gpuE6ELNS1_3repE0EEENS1_30default_config_static_selectorELNS0_4arch9wavefront6targetE1EEEvT1_,"axG",@progbits,_ZN7rocprim17ROCPRIM_400000_NS6detail17trampoline_kernelINS0_14default_configENS1_20scan_config_selectorIlEEZZNS1_9scan_implILNS1_25lookback_scan_determinismE0ELb0ELb0ES3_PlS8_lN6thrust23THRUST_200600_302600_NS4plusIvEElEEDaPvRmT3_T4_T5_mT6_P12ihipStream_tbENKUlT_T0_E_clISt17integral_constantIbLb0EESP_IbLb1EEEEDaSL_SM_EUlSL_E0_NS1_11comp_targetILNS1_3genE2ELNS1_11target_archE906ELNS1_3gpuE6ELNS1_3repE0EEENS1_30default_config_static_selectorELNS0_4arch9wavefront6targetE1EEEvT1_,comdat
.Lfunc_end155:
	.size	_ZN7rocprim17ROCPRIM_400000_NS6detail17trampoline_kernelINS0_14default_configENS1_20scan_config_selectorIlEEZZNS1_9scan_implILNS1_25lookback_scan_determinismE0ELb0ELb0ES3_PlS8_lN6thrust23THRUST_200600_302600_NS4plusIvEElEEDaPvRmT3_T4_T5_mT6_P12ihipStream_tbENKUlT_T0_E_clISt17integral_constantIbLb0EESP_IbLb1EEEEDaSL_SM_EUlSL_E0_NS1_11comp_targetILNS1_3genE2ELNS1_11target_archE906ELNS1_3gpuE6ELNS1_3repE0EEENS1_30default_config_static_selectorELNS0_4arch9wavefront6targetE1EEEvT1_, .Lfunc_end155-_ZN7rocprim17ROCPRIM_400000_NS6detail17trampoline_kernelINS0_14default_configENS1_20scan_config_selectorIlEEZZNS1_9scan_implILNS1_25lookback_scan_determinismE0ELb0ELb0ES3_PlS8_lN6thrust23THRUST_200600_302600_NS4plusIvEElEEDaPvRmT3_T4_T5_mT6_P12ihipStream_tbENKUlT_T0_E_clISt17integral_constantIbLb0EESP_IbLb1EEEEDaSL_SM_EUlSL_E0_NS1_11comp_targetILNS1_3genE2ELNS1_11target_archE906ELNS1_3gpuE6ELNS1_3repE0EEENS1_30default_config_static_selectorELNS0_4arch9wavefront6targetE1EEEvT1_
                                        ; -- End function
	.section	.AMDGPU.csdata,"",@progbits
; Kernel info:
; codeLenInByte = 0
; NumSgprs: 6
; NumVgprs: 0
; NumAgprs: 0
; TotalNumVgprs: 0
; ScratchSize: 0
; MemoryBound: 0
; FloatMode: 240
; IeeeMode: 1
; LDSByteSize: 0 bytes/workgroup (compile time only)
; SGPRBlocks: 0
; VGPRBlocks: 0
; NumSGPRsForWavesPerEU: 6
; NumVGPRsForWavesPerEU: 1
; AccumOffset: 4
; Occupancy: 8
; WaveLimiterHint : 0
; COMPUTE_PGM_RSRC2:SCRATCH_EN: 0
; COMPUTE_PGM_RSRC2:USER_SGPR: 2
; COMPUTE_PGM_RSRC2:TRAP_HANDLER: 0
; COMPUTE_PGM_RSRC2:TGID_X_EN: 1
; COMPUTE_PGM_RSRC2:TGID_Y_EN: 0
; COMPUTE_PGM_RSRC2:TGID_Z_EN: 0
; COMPUTE_PGM_RSRC2:TIDIG_COMP_CNT: 0
; COMPUTE_PGM_RSRC3_GFX90A:ACCUM_OFFSET: 0
; COMPUTE_PGM_RSRC3_GFX90A:TG_SPLIT: 0
	.section	.text._ZN7rocprim17ROCPRIM_400000_NS6detail17trampoline_kernelINS0_14default_configENS1_20scan_config_selectorIlEEZZNS1_9scan_implILNS1_25lookback_scan_determinismE0ELb0ELb0ES3_PlS8_lN6thrust23THRUST_200600_302600_NS4plusIvEElEEDaPvRmT3_T4_T5_mT6_P12ihipStream_tbENKUlT_T0_E_clISt17integral_constantIbLb0EESP_IbLb1EEEEDaSL_SM_EUlSL_E0_NS1_11comp_targetILNS1_3genE10ELNS1_11target_archE1201ELNS1_3gpuE5ELNS1_3repE0EEENS1_30default_config_static_selectorELNS0_4arch9wavefront6targetE1EEEvT1_,"axG",@progbits,_ZN7rocprim17ROCPRIM_400000_NS6detail17trampoline_kernelINS0_14default_configENS1_20scan_config_selectorIlEEZZNS1_9scan_implILNS1_25lookback_scan_determinismE0ELb0ELb0ES3_PlS8_lN6thrust23THRUST_200600_302600_NS4plusIvEElEEDaPvRmT3_T4_T5_mT6_P12ihipStream_tbENKUlT_T0_E_clISt17integral_constantIbLb0EESP_IbLb1EEEEDaSL_SM_EUlSL_E0_NS1_11comp_targetILNS1_3genE10ELNS1_11target_archE1201ELNS1_3gpuE5ELNS1_3repE0EEENS1_30default_config_static_selectorELNS0_4arch9wavefront6targetE1EEEvT1_,comdat
	.protected	_ZN7rocprim17ROCPRIM_400000_NS6detail17trampoline_kernelINS0_14default_configENS1_20scan_config_selectorIlEEZZNS1_9scan_implILNS1_25lookback_scan_determinismE0ELb0ELb0ES3_PlS8_lN6thrust23THRUST_200600_302600_NS4plusIvEElEEDaPvRmT3_T4_T5_mT6_P12ihipStream_tbENKUlT_T0_E_clISt17integral_constantIbLb0EESP_IbLb1EEEEDaSL_SM_EUlSL_E0_NS1_11comp_targetILNS1_3genE10ELNS1_11target_archE1201ELNS1_3gpuE5ELNS1_3repE0EEENS1_30default_config_static_selectorELNS0_4arch9wavefront6targetE1EEEvT1_ ; -- Begin function _ZN7rocprim17ROCPRIM_400000_NS6detail17trampoline_kernelINS0_14default_configENS1_20scan_config_selectorIlEEZZNS1_9scan_implILNS1_25lookback_scan_determinismE0ELb0ELb0ES3_PlS8_lN6thrust23THRUST_200600_302600_NS4plusIvEElEEDaPvRmT3_T4_T5_mT6_P12ihipStream_tbENKUlT_T0_E_clISt17integral_constantIbLb0EESP_IbLb1EEEEDaSL_SM_EUlSL_E0_NS1_11comp_targetILNS1_3genE10ELNS1_11target_archE1201ELNS1_3gpuE5ELNS1_3repE0EEENS1_30default_config_static_selectorELNS0_4arch9wavefront6targetE1EEEvT1_
	.globl	_ZN7rocprim17ROCPRIM_400000_NS6detail17trampoline_kernelINS0_14default_configENS1_20scan_config_selectorIlEEZZNS1_9scan_implILNS1_25lookback_scan_determinismE0ELb0ELb0ES3_PlS8_lN6thrust23THRUST_200600_302600_NS4plusIvEElEEDaPvRmT3_T4_T5_mT6_P12ihipStream_tbENKUlT_T0_E_clISt17integral_constantIbLb0EESP_IbLb1EEEEDaSL_SM_EUlSL_E0_NS1_11comp_targetILNS1_3genE10ELNS1_11target_archE1201ELNS1_3gpuE5ELNS1_3repE0EEENS1_30default_config_static_selectorELNS0_4arch9wavefront6targetE1EEEvT1_
	.p2align	8
	.type	_ZN7rocprim17ROCPRIM_400000_NS6detail17trampoline_kernelINS0_14default_configENS1_20scan_config_selectorIlEEZZNS1_9scan_implILNS1_25lookback_scan_determinismE0ELb0ELb0ES3_PlS8_lN6thrust23THRUST_200600_302600_NS4plusIvEElEEDaPvRmT3_T4_T5_mT6_P12ihipStream_tbENKUlT_T0_E_clISt17integral_constantIbLb0EESP_IbLb1EEEEDaSL_SM_EUlSL_E0_NS1_11comp_targetILNS1_3genE10ELNS1_11target_archE1201ELNS1_3gpuE5ELNS1_3repE0EEENS1_30default_config_static_selectorELNS0_4arch9wavefront6targetE1EEEvT1_,@function
_ZN7rocprim17ROCPRIM_400000_NS6detail17trampoline_kernelINS0_14default_configENS1_20scan_config_selectorIlEEZZNS1_9scan_implILNS1_25lookback_scan_determinismE0ELb0ELb0ES3_PlS8_lN6thrust23THRUST_200600_302600_NS4plusIvEElEEDaPvRmT3_T4_T5_mT6_P12ihipStream_tbENKUlT_T0_E_clISt17integral_constantIbLb0EESP_IbLb1EEEEDaSL_SM_EUlSL_E0_NS1_11comp_targetILNS1_3genE10ELNS1_11target_archE1201ELNS1_3gpuE5ELNS1_3repE0EEENS1_30default_config_static_selectorELNS0_4arch9wavefront6targetE1EEEvT1_: ; @_ZN7rocprim17ROCPRIM_400000_NS6detail17trampoline_kernelINS0_14default_configENS1_20scan_config_selectorIlEEZZNS1_9scan_implILNS1_25lookback_scan_determinismE0ELb0ELb0ES3_PlS8_lN6thrust23THRUST_200600_302600_NS4plusIvEElEEDaPvRmT3_T4_T5_mT6_P12ihipStream_tbENKUlT_T0_E_clISt17integral_constantIbLb0EESP_IbLb1EEEEDaSL_SM_EUlSL_E0_NS1_11comp_targetILNS1_3genE10ELNS1_11target_archE1201ELNS1_3gpuE5ELNS1_3repE0EEENS1_30default_config_static_selectorELNS0_4arch9wavefront6targetE1EEEvT1_
; %bb.0:
	.section	.rodata,"a",@progbits
	.p2align	6, 0x0
	.amdhsa_kernel _ZN7rocprim17ROCPRIM_400000_NS6detail17trampoline_kernelINS0_14default_configENS1_20scan_config_selectorIlEEZZNS1_9scan_implILNS1_25lookback_scan_determinismE0ELb0ELb0ES3_PlS8_lN6thrust23THRUST_200600_302600_NS4plusIvEElEEDaPvRmT3_T4_T5_mT6_P12ihipStream_tbENKUlT_T0_E_clISt17integral_constantIbLb0EESP_IbLb1EEEEDaSL_SM_EUlSL_E0_NS1_11comp_targetILNS1_3genE10ELNS1_11target_archE1201ELNS1_3gpuE5ELNS1_3repE0EEENS1_30default_config_static_selectorELNS0_4arch9wavefront6targetE1EEEvT1_
		.amdhsa_group_segment_fixed_size 0
		.amdhsa_private_segment_fixed_size 0
		.amdhsa_kernarg_size 40
		.amdhsa_user_sgpr_count 2
		.amdhsa_user_sgpr_dispatch_ptr 0
		.amdhsa_user_sgpr_queue_ptr 0
		.amdhsa_user_sgpr_kernarg_segment_ptr 1
		.amdhsa_user_sgpr_dispatch_id 0
		.amdhsa_user_sgpr_kernarg_preload_length 0
		.amdhsa_user_sgpr_kernarg_preload_offset 0
		.amdhsa_user_sgpr_private_segment_size 0
		.amdhsa_uses_dynamic_stack 0
		.amdhsa_enable_private_segment 0
		.amdhsa_system_sgpr_workgroup_id_x 1
		.amdhsa_system_sgpr_workgroup_id_y 0
		.amdhsa_system_sgpr_workgroup_id_z 0
		.amdhsa_system_sgpr_workgroup_info 0
		.amdhsa_system_vgpr_workitem_id 0
		.amdhsa_next_free_vgpr 1
		.amdhsa_next_free_sgpr 0
		.amdhsa_accum_offset 4
		.amdhsa_reserve_vcc 0
		.amdhsa_float_round_mode_32 0
		.amdhsa_float_round_mode_16_64 0
		.amdhsa_float_denorm_mode_32 3
		.amdhsa_float_denorm_mode_16_64 3
		.amdhsa_dx10_clamp 1
		.amdhsa_ieee_mode 1
		.amdhsa_fp16_overflow 0
		.amdhsa_tg_split 0
		.amdhsa_exception_fp_ieee_invalid_op 0
		.amdhsa_exception_fp_denorm_src 0
		.amdhsa_exception_fp_ieee_div_zero 0
		.amdhsa_exception_fp_ieee_overflow 0
		.amdhsa_exception_fp_ieee_underflow 0
		.amdhsa_exception_fp_ieee_inexact 0
		.amdhsa_exception_int_div_zero 0
	.end_amdhsa_kernel
	.section	.text._ZN7rocprim17ROCPRIM_400000_NS6detail17trampoline_kernelINS0_14default_configENS1_20scan_config_selectorIlEEZZNS1_9scan_implILNS1_25lookback_scan_determinismE0ELb0ELb0ES3_PlS8_lN6thrust23THRUST_200600_302600_NS4plusIvEElEEDaPvRmT3_T4_T5_mT6_P12ihipStream_tbENKUlT_T0_E_clISt17integral_constantIbLb0EESP_IbLb1EEEEDaSL_SM_EUlSL_E0_NS1_11comp_targetILNS1_3genE10ELNS1_11target_archE1201ELNS1_3gpuE5ELNS1_3repE0EEENS1_30default_config_static_selectorELNS0_4arch9wavefront6targetE1EEEvT1_,"axG",@progbits,_ZN7rocprim17ROCPRIM_400000_NS6detail17trampoline_kernelINS0_14default_configENS1_20scan_config_selectorIlEEZZNS1_9scan_implILNS1_25lookback_scan_determinismE0ELb0ELb0ES3_PlS8_lN6thrust23THRUST_200600_302600_NS4plusIvEElEEDaPvRmT3_T4_T5_mT6_P12ihipStream_tbENKUlT_T0_E_clISt17integral_constantIbLb0EESP_IbLb1EEEEDaSL_SM_EUlSL_E0_NS1_11comp_targetILNS1_3genE10ELNS1_11target_archE1201ELNS1_3gpuE5ELNS1_3repE0EEENS1_30default_config_static_selectorELNS0_4arch9wavefront6targetE1EEEvT1_,comdat
.Lfunc_end156:
	.size	_ZN7rocprim17ROCPRIM_400000_NS6detail17trampoline_kernelINS0_14default_configENS1_20scan_config_selectorIlEEZZNS1_9scan_implILNS1_25lookback_scan_determinismE0ELb0ELb0ES3_PlS8_lN6thrust23THRUST_200600_302600_NS4plusIvEElEEDaPvRmT3_T4_T5_mT6_P12ihipStream_tbENKUlT_T0_E_clISt17integral_constantIbLb0EESP_IbLb1EEEEDaSL_SM_EUlSL_E0_NS1_11comp_targetILNS1_3genE10ELNS1_11target_archE1201ELNS1_3gpuE5ELNS1_3repE0EEENS1_30default_config_static_selectorELNS0_4arch9wavefront6targetE1EEEvT1_, .Lfunc_end156-_ZN7rocprim17ROCPRIM_400000_NS6detail17trampoline_kernelINS0_14default_configENS1_20scan_config_selectorIlEEZZNS1_9scan_implILNS1_25lookback_scan_determinismE0ELb0ELb0ES3_PlS8_lN6thrust23THRUST_200600_302600_NS4plusIvEElEEDaPvRmT3_T4_T5_mT6_P12ihipStream_tbENKUlT_T0_E_clISt17integral_constantIbLb0EESP_IbLb1EEEEDaSL_SM_EUlSL_E0_NS1_11comp_targetILNS1_3genE10ELNS1_11target_archE1201ELNS1_3gpuE5ELNS1_3repE0EEENS1_30default_config_static_selectorELNS0_4arch9wavefront6targetE1EEEvT1_
                                        ; -- End function
	.section	.AMDGPU.csdata,"",@progbits
; Kernel info:
; codeLenInByte = 0
; NumSgprs: 6
; NumVgprs: 0
; NumAgprs: 0
; TotalNumVgprs: 0
; ScratchSize: 0
; MemoryBound: 0
; FloatMode: 240
; IeeeMode: 1
; LDSByteSize: 0 bytes/workgroup (compile time only)
; SGPRBlocks: 0
; VGPRBlocks: 0
; NumSGPRsForWavesPerEU: 6
; NumVGPRsForWavesPerEU: 1
; AccumOffset: 4
; Occupancy: 8
; WaveLimiterHint : 0
; COMPUTE_PGM_RSRC2:SCRATCH_EN: 0
; COMPUTE_PGM_RSRC2:USER_SGPR: 2
; COMPUTE_PGM_RSRC2:TRAP_HANDLER: 0
; COMPUTE_PGM_RSRC2:TGID_X_EN: 1
; COMPUTE_PGM_RSRC2:TGID_Y_EN: 0
; COMPUTE_PGM_RSRC2:TGID_Z_EN: 0
; COMPUTE_PGM_RSRC2:TIDIG_COMP_CNT: 0
; COMPUTE_PGM_RSRC3_GFX90A:ACCUM_OFFSET: 0
; COMPUTE_PGM_RSRC3_GFX90A:TG_SPLIT: 0
	.section	.text._ZN7rocprim17ROCPRIM_400000_NS6detail17trampoline_kernelINS0_14default_configENS1_20scan_config_selectorIlEEZZNS1_9scan_implILNS1_25lookback_scan_determinismE0ELb0ELb0ES3_PlS8_lN6thrust23THRUST_200600_302600_NS4plusIvEElEEDaPvRmT3_T4_T5_mT6_P12ihipStream_tbENKUlT_T0_E_clISt17integral_constantIbLb0EESP_IbLb1EEEEDaSL_SM_EUlSL_E0_NS1_11comp_targetILNS1_3genE10ELNS1_11target_archE1200ELNS1_3gpuE4ELNS1_3repE0EEENS1_30default_config_static_selectorELNS0_4arch9wavefront6targetE1EEEvT1_,"axG",@progbits,_ZN7rocprim17ROCPRIM_400000_NS6detail17trampoline_kernelINS0_14default_configENS1_20scan_config_selectorIlEEZZNS1_9scan_implILNS1_25lookback_scan_determinismE0ELb0ELb0ES3_PlS8_lN6thrust23THRUST_200600_302600_NS4plusIvEElEEDaPvRmT3_T4_T5_mT6_P12ihipStream_tbENKUlT_T0_E_clISt17integral_constantIbLb0EESP_IbLb1EEEEDaSL_SM_EUlSL_E0_NS1_11comp_targetILNS1_3genE10ELNS1_11target_archE1200ELNS1_3gpuE4ELNS1_3repE0EEENS1_30default_config_static_selectorELNS0_4arch9wavefront6targetE1EEEvT1_,comdat
	.protected	_ZN7rocprim17ROCPRIM_400000_NS6detail17trampoline_kernelINS0_14default_configENS1_20scan_config_selectorIlEEZZNS1_9scan_implILNS1_25lookback_scan_determinismE0ELb0ELb0ES3_PlS8_lN6thrust23THRUST_200600_302600_NS4plusIvEElEEDaPvRmT3_T4_T5_mT6_P12ihipStream_tbENKUlT_T0_E_clISt17integral_constantIbLb0EESP_IbLb1EEEEDaSL_SM_EUlSL_E0_NS1_11comp_targetILNS1_3genE10ELNS1_11target_archE1200ELNS1_3gpuE4ELNS1_3repE0EEENS1_30default_config_static_selectorELNS0_4arch9wavefront6targetE1EEEvT1_ ; -- Begin function _ZN7rocprim17ROCPRIM_400000_NS6detail17trampoline_kernelINS0_14default_configENS1_20scan_config_selectorIlEEZZNS1_9scan_implILNS1_25lookback_scan_determinismE0ELb0ELb0ES3_PlS8_lN6thrust23THRUST_200600_302600_NS4plusIvEElEEDaPvRmT3_T4_T5_mT6_P12ihipStream_tbENKUlT_T0_E_clISt17integral_constantIbLb0EESP_IbLb1EEEEDaSL_SM_EUlSL_E0_NS1_11comp_targetILNS1_3genE10ELNS1_11target_archE1200ELNS1_3gpuE4ELNS1_3repE0EEENS1_30default_config_static_selectorELNS0_4arch9wavefront6targetE1EEEvT1_
	.globl	_ZN7rocprim17ROCPRIM_400000_NS6detail17trampoline_kernelINS0_14default_configENS1_20scan_config_selectorIlEEZZNS1_9scan_implILNS1_25lookback_scan_determinismE0ELb0ELb0ES3_PlS8_lN6thrust23THRUST_200600_302600_NS4plusIvEElEEDaPvRmT3_T4_T5_mT6_P12ihipStream_tbENKUlT_T0_E_clISt17integral_constantIbLb0EESP_IbLb1EEEEDaSL_SM_EUlSL_E0_NS1_11comp_targetILNS1_3genE10ELNS1_11target_archE1200ELNS1_3gpuE4ELNS1_3repE0EEENS1_30default_config_static_selectorELNS0_4arch9wavefront6targetE1EEEvT1_
	.p2align	8
	.type	_ZN7rocprim17ROCPRIM_400000_NS6detail17trampoline_kernelINS0_14default_configENS1_20scan_config_selectorIlEEZZNS1_9scan_implILNS1_25lookback_scan_determinismE0ELb0ELb0ES3_PlS8_lN6thrust23THRUST_200600_302600_NS4plusIvEElEEDaPvRmT3_T4_T5_mT6_P12ihipStream_tbENKUlT_T0_E_clISt17integral_constantIbLb0EESP_IbLb1EEEEDaSL_SM_EUlSL_E0_NS1_11comp_targetILNS1_3genE10ELNS1_11target_archE1200ELNS1_3gpuE4ELNS1_3repE0EEENS1_30default_config_static_selectorELNS0_4arch9wavefront6targetE1EEEvT1_,@function
_ZN7rocprim17ROCPRIM_400000_NS6detail17trampoline_kernelINS0_14default_configENS1_20scan_config_selectorIlEEZZNS1_9scan_implILNS1_25lookback_scan_determinismE0ELb0ELb0ES3_PlS8_lN6thrust23THRUST_200600_302600_NS4plusIvEElEEDaPvRmT3_T4_T5_mT6_P12ihipStream_tbENKUlT_T0_E_clISt17integral_constantIbLb0EESP_IbLb1EEEEDaSL_SM_EUlSL_E0_NS1_11comp_targetILNS1_3genE10ELNS1_11target_archE1200ELNS1_3gpuE4ELNS1_3repE0EEENS1_30default_config_static_selectorELNS0_4arch9wavefront6targetE1EEEvT1_: ; @_ZN7rocprim17ROCPRIM_400000_NS6detail17trampoline_kernelINS0_14default_configENS1_20scan_config_selectorIlEEZZNS1_9scan_implILNS1_25lookback_scan_determinismE0ELb0ELb0ES3_PlS8_lN6thrust23THRUST_200600_302600_NS4plusIvEElEEDaPvRmT3_T4_T5_mT6_P12ihipStream_tbENKUlT_T0_E_clISt17integral_constantIbLb0EESP_IbLb1EEEEDaSL_SM_EUlSL_E0_NS1_11comp_targetILNS1_3genE10ELNS1_11target_archE1200ELNS1_3gpuE4ELNS1_3repE0EEENS1_30default_config_static_selectorELNS0_4arch9wavefront6targetE1EEEvT1_
; %bb.0:
	.section	.rodata,"a",@progbits
	.p2align	6, 0x0
	.amdhsa_kernel _ZN7rocprim17ROCPRIM_400000_NS6detail17trampoline_kernelINS0_14default_configENS1_20scan_config_selectorIlEEZZNS1_9scan_implILNS1_25lookback_scan_determinismE0ELb0ELb0ES3_PlS8_lN6thrust23THRUST_200600_302600_NS4plusIvEElEEDaPvRmT3_T4_T5_mT6_P12ihipStream_tbENKUlT_T0_E_clISt17integral_constantIbLb0EESP_IbLb1EEEEDaSL_SM_EUlSL_E0_NS1_11comp_targetILNS1_3genE10ELNS1_11target_archE1200ELNS1_3gpuE4ELNS1_3repE0EEENS1_30default_config_static_selectorELNS0_4arch9wavefront6targetE1EEEvT1_
		.amdhsa_group_segment_fixed_size 0
		.amdhsa_private_segment_fixed_size 0
		.amdhsa_kernarg_size 40
		.amdhsa_user_sgpr_count 2
		.amdhsa_user_sgpr_dispatch_ptr 0
		.amdhsa_user_sgpr_queue_ptr 0
		.amdhsa_user_sgpr_kernarg_segment_ptr 1
		.amdhsa_user_sgpr_dispatch_id 0
		.amdhsa_user_sgpr_kernarg_preload_length 0
		.amdhsa_user_sgpr_kernarg_preload_offset 0
		.amdhsa_user_sgpr_private_segment_size 0
		.amdhsa_uses_dynamic_stack 0
		.amdhsa_enable_private_segment 0
		.amdhsa_system_sgpr_workgroup_id_x 1
		.amdhsa_system_sgpr_workgroup_id_y 0
		.amdhsa_system_sgpr_workgroup_id_z 0
		.amdhsa_system_sgpr_workgroup_info 0
		.amdhsa_system_vgpr_workitem_id 0
		.amdhsa_next_free_vgpr 1
		.amdhsa_next_free_sgpr 0
		.amdhsa_accum_offset 4
		.amdhsa_reserve_vcc 0
		.amdhsa_float_round_mode_32 0
		.amdhsa_float_round_mode_16_64 0
		.amdhsa_float_denorm_mode_32 3
		.amdhsa_float_denorm_mode_16_64 3
		.amdhsa_dx10_clamp 1
		.amdhsa_ieee_mode 1
		.amdhsa_fp16_overflow 0
		.amdhsa_tg_split 0
		.amdhsa_exception_fp_ieee_invalid_op 0
		.amdhsa_exception_fp_denorm_src 0
		.amdhsa_exception_fp_ieee_div_zero 0
		.amdhsa_exception_fp_ieee_overflow 0
		.amdhsa_exception_fp_ieee_underflow 0
		.amdhsa_exception_fp_ieee_inexact 0
		.amdhsa_exception_int_div_zero 0
	.end_amdhsa_kernel
	.section	.text._ZN7rocprim17ROCPRIM_400000_NS6detail17trampoline_kernelINS0_14default_configENS1_20scan_config_selectorIlEEZZNS1_9scan_implILNS1_25lookback_scan_determinismE0ELb0ELb0ES3_PlS8_lN6thrust23THRUST_200600_302600_NS4plusIvEElEEDaPvRmT3_T4_T5_mT6_P12ihipStream_tbENKUlT_T0_E_clISt17integral_constantIbLb0EESP_IbLb1EEEEDaSL_SM_EUlSL_E0_NS1_11comp_targetILNS1_3genE10ELNS1_11target_archE1200ELNS1_3gpuE4ELNS1_3repE0EEENS1_30default_config_static_selectorELNS0_4arch9wavefront6targetE1EEEvT1_,"axG",@progbits,_ZN7rocprim17ROCPRIM_400000_NS6detail17trampoline_kernelINS0_14default_configENS1_20scan_config_selectorIlEEZZNS1_9scan_implILNS1_25lookback_scan_determinismE0ELb0ELb0ES3_PlS8_lN6thrust23THRUST_200600_302600_NS4plusIvEElEEDaPvRmT3_T4_T5_mT6_P12ihipStream_tbENKUlT_T0_E_clISt17integral_constantIbLb0EESP_IbLb1EEEEDaSL_SM_EUlSL_E0_NS1_11comp_targetILNS1_3genE10ELNS1_11target_archE1200ELNS1_3gpuE4ELNS1_3repE0EEENS1_30default_config_static_selectorELNS0_4arch9wavefront6targetE1EEEvT1_,comdat
.Lfunc_end157:
	.size	_ZN7rocprim17ROCPRIM_400000_NS6detail17trampoline_kernelINS0_14default_configENS1_20scan_config_selectorIlEEZZNS1_9scan_implILNS1_25lookback_scan_determinismE0ELb0ELb0ES3_PlS8_lN6thrust23THRUST_200600_302600_NS4plusIvEElEEDaPvRmT3_T4_T5_mT6_P12ihipStream_tbENKUlT_T0_E_clISt17integral_constantIbLb0EESP_IbLb1EEEEDaSL_SM_EUlSL_E0_NS1_11comp_targetILNS1_3genE10ELNS1_11target_archE1200ELNS1_3gpuE4ELNS1_3repE0EEENS1_30default_config_static_selectorELNS0_4arch9wavefront6targetE1EEEvT1_, .Lfunc_end157-_ZN7rocprim17ROCPRIM_400000_NS6detail17trampoline_kernelINS0_14default_configENS1_20scan_config_selectorIlEEZZNS1_9scan_implILNS1_25lookback_scan_determinismE0ELb0ELb0ES3_PlS8_lN6thrust23THRUST_200600_302600_NS4plusIvEElEEDaPvRmT3_T4_T5_mT6_P12ihipStream_tbENKUlT_T0_E_clISt17integral_constantIbLb0EESP_IbLb1EEEEDaSL_SM_EUlSL_E0_NS1_11comp_targetILNS1_3genE10ELNS1_11target_archE1200ELNS1_3gpuE4ELNS1_3repE0EEENS1_30default_config_static_selectorELNS0_4arch9wavefront6targetE1EEEvT1_
                                        ; -- End function
	.section	.AMDGPU.csdata,"",@progbits
; Kernel info:
; codeLenInByte = 0
; NumSgprs: 6
; NumVgprs: 0
; NumAgprs: 0
; TotalNumVgprs: 0
; ScratchSize: 0
; MemoryBound: 0
; FloatMode: 240
; IeeeMode: 1
; LDSByteSize: 0 bytes/workgroup (compile time only)
; SGPRBlocks: 0
; VGPRBlocks: 0
; NumSGPRsForWavesPerEU: 6
; NumVGPRsForWavesPerEU: 1
; AccumOffset: 4
; Occupancy: 8
; WaveLimiterHint : 0
; COMPUTE_PGM_RSRC2:SCRATCH_EN: 0
; COMPUTE_PGM_RSRC2:USER_SGPR: 2
; COMPUTE_PGM_RSRC2:TRAP_HANDLER: 0
; COMPUTE_PGM_RSRC2:TGID_X_EN: 1
; COMPUTE_PGM_RSRC2:TGID_Y_EN: 0
; COMPUTE_PGM_RSRC2:TGID_Z_EN: 0
; COMPUTE_PGM_RSRC2:TIDIG_COMP_CNT: 0
; COMPUTE_PGM_RSRC3_GFX90A:ACCUM_OFFSET: 0
; COMPUTE_PGM_RSRC3_GFX90A:TG_SPLIT: 0
	.section	.text._ZN7rocprim17ROCPRIM_400000_NS6detail17trampoline_kernelINS0_14default_configENS1_20scan_config_selectorIlEEZZNS1_9scan_implILNS1_25lookback_scan_determinismE0ELb0ELb0ES3_PlS8_lN6thrust23THRUST_200600_302600_NS4plusIvEElEEDaPvRmT3_T4_T5_mT6_P12ihipStream_tbENKUlT_T0_E_clISt17integral_constantIbLb0EESP_IbLb1EEEEDaSL_SM_EUlSL_E0_NS1_11comp_targetILNS1_3genE9ELNS1_11target_archE1100ELNS1_3gpuE3ELNS1_3repE0EEENS1_30default_config_static_selectorELNS0_4arch9wavefront6targetE1EEEvT1_,"axG",@progbits,_ZN7rocprim17ROCPRIM_400000_NS6detail17trampoline_kernelINS0_14default_configENS1_20scan_config_selectorIlEEZZNS1_9scan_implILNS1_25lookback_scan_determinismE0ELb0ELb0ES3_PlS8_lN6thrust23THRUST_200600_302600_NS4plusIvEElEEDaPvRmT3_T4_T5_mT6_P12ihipStream_tbENKUlT_T0_E_clISt17integral_constantIbLb0EESP_IbLb1EEEEDaSL_SM_EUlSL_E0_NS1_11comp_targetILNS1_3genE9ELNS1_11target_archE1100ELNS1_3gpuE3ELNS1_3repE0EEENS1_30default_config_static_selectorELNS0_4arch9wavefront6targetE1EEEvT1_,comdat
	.protected	_ZN7rocprim17ROCPRIM_400000_NS6detail17trampoline_kernelINS0_14default_configENS1_20scan_config_selectorIlEEZZNS1_9scan_implILNS1_25lookback_scan_determinismE0ELb0ELb0ES3_PlS8_lN6thrust23THRUST_200600_302600_NS4plusIvEElEEDaPvRmT3_T4_T5_mT6_P12ihipStream_tbENKUlT_T0_E_clISt17integral_constantIbLb0EESP_IbLb1EEEEDaSL_SM_EUlSL_E0_NS1_11comp_targetILNS1_3genE9ELNS1_11target_archE1100ELNS1_3gpuE3ELNS1_3repE0EEENS1_30default_config_static_selectorELNS0_4arch9wavefront6targetE1EEEvT1_ ; -- Begin function _ZN7rocprim17ROCPRIM_400000_NS6detail17trampoline_kernelINS0_14default_configENS1_20scan_config_selectorIlEEZZNS1_9scan_implILNS1_25lookback_scan_determinismE0ELb0ELb0ES3_PlS8_lN6thrust23THRUST_200600_302600_NS4plusIvEElEEDaPvRmT3_T4_T5_mT6_P12ihipStream_tbENKUlT_T0_E_clISt17integral_constantIbLb0EESP_IbLb1EEEEDaSL_SM_EUlSL_E0_NS1_11comp_targetILNS1_3genE9ELNS1_11target_archE1100ELNS1_3gpuE3ELNS1_3repE0EEENS1_30default_config_static_selectorELNS0_4arch9wavefront6targetE1EEEvT1_
	.globl	_ZN7rocprim17ROCPRIM_400000_NS6detail17trampoline_kernelINS0_14default_configENS1_20scan_config_selectorIlEEZZNS1_9scan_implILNS1_25lookback_scan_determinismE0ELb0ELb0ES3_PlS8_lN6thrust23THRUST_200600_302600_NS4plusIvEElEEDaPvRmT3_T4_T5_mT6_P12ihipStream_tbENKUlT_T0_E_clISt17integral_constantIbLb0EESP_IbLb1EEEEDaSL_SM_EUlSL_E0_NS1_11comp_targetILNS1_3genE9ELNS1_11target_archE1100ELNS1_3gpuE3ELNS1_3repE0EEENS1_30default_config_static_selectorELNS0_4arch9wavefront6targetE1EEEvT1_
	.p2align	8
	.type	_ZN7rocprim17ROCPRIM_400000_NS6detail17trampoline_kernelINS0_14default_configENS1_20scan_config_selectorIlEEZZNS1_9scan_implILNS1_25lookback_scan_determinismE0ELb0ELb0ES3_PlS8_lN6thrust23THRUST_200600_302600_NS4plusIvEElEEDaPvRmT3_T4_T5_mT6_P12ihipStream_tbENKUlT_T0_E_clISt17integral_constantIbLb0EESP_IbLb1EEEEDaSL_SM_EUlSL_E0_NS1_11comp_targetILNS1_3genE9ELNS1_11target_archE1100ELNS1_3gpuE3ELNS1_3repE0EEENS1_30default_config_static_selectorELNS0_4arch9wavefront6targetE1EEEvT1_,@function
_ZN7rocprim17ROCPRIM_400000_NS6detail17trampoline_kernelINS0_14default_configENS1_20scan_config_selectorIlEEZZNS1_9scan_implILNS1_25lookback_scan_determinismE0ELb0ELb0ES3_PlS8_lN6thrust23THRUST_200600_302600_NS4plusIvEElEEDaPvRmT3_T4_T5_mT6_P12ihipStream_tbENKUlT_T0_E_clISt17integral_constantIbLb0EESP_IbLb1EEEEDaSL_SM_EUlSL_E0_NS1_11comp_targetILNS1_3genE9ELNS1_11target_archE1100ELNS1_3gpuE3ELNS1_3repE0EEENS1_30default_config_static_selectorELNS0_4arch9wavefront6targetE1EEEvT1_: ; @_ZN7rocprim17ROCPRIM_400000_NS6detail17trampoline_kernelINS0_14default_configENS1_20scan_config_selectorIlEEZZNS1_9scan_implILNS1_25lookback_scan_determinismE0ELb0ELb0ES3_PlS8_lN6thrust23THRUST_200600_302600_NS4plusIvEElEEDaPvRmT3_T4_T5_mT6_P12ihipStream_tbENKUlT_T0_E_clISt17integral_constantIbLb0EESP_IbLb1EEEEDaSL_SM_EUlSL_E0_NS1_11comp_targetILNS1_3genE9ELNS1_11target_archE1100ELNS1_3gpuE3ELNS1_3repE0EEENS1_30default_config_static_selectorELNS0_4arch9wavefront6targetE1EEEvT1_
; %bb.0:
	.section	.rodata,"a",@progbits
	.p2align	6, 0x0
	.amdhsa_kernel _ZN7rocprim17ROCPRIM_400000_NS6detail17trampoline_kernelINS0_14default_configENS1_20scan_config_selectorIlEEZZNS1_9scan_implILNS1_25lookback_scan_determinismE0ELb0ELb0ES3_PlS8_lN6thrust23THRUST_200600_302600_NS4plusIvEElEEDaPvRmT3_T4_T5_mT6_P12ihipStream_tbENKUlT_T0_E_clISt17integral_constantIbLb0EESP_IbLb1EEEEDaSL_SM_EUlSL_E0_NS1_11comp_targetILNS1_3genE9ELNS1_11target_archE1100ELNS1_3gpuE3ELNS1_3repE0EEENS1_30default_config_static_selectorELNS0_4arch9wavefront6targetE1EEEvT1_
		.amdhsa_group_segment_fixed_size 0
		.amdhsa_private_segment_fixed_size 0
		.amdhsa_kernarg_size 40
		.amdhsa_user_sgpr_count 2
		.amdhsa_user_sgpr_dispatch_ptr 0
		.amdhsa_user_sgpr_queue_ptr 0
		.amdhsa_user_sgpr_kernarg_segment_ptr 1
		.amdhsa_user_sgpr_dispatch_id 0
		.amdhsa_user_sgpr_kernarg_preload_length 0
		.amdhsa_user_sgpr_kernarg_preload_offset 0
		.amdhsa_user_sgpr_private_segment_size 0
		.amdhsa_uses_dynamic_stack 0
		.amdhsa_enable_private_segment 0
		.amdhsa_system_sgpr_workgroup_id_x 1
		.amdhsa_system_sgpr_workgroup_id_y 0
		.amdhsa_system_sgpr_workgroup_id_z 0
		.amdhsa_system_sgpr_workgroup_info 0
		.amdhsa_system_vgpr_workitem_id 0
		.amdhsa_next_free_vgpr 1
		.amdhsa_next_free_sgpr 0
		.amdhsa_accum_offset 4
		.amdhsa_reserve_vcc 0
		.amdhsa_float_round_mode_32 0
		.amdhsa_float_round_mode_16_64 0
		.amdhsa_float_denorm_mode_32 3
		.amdhsa_float_denorm_mode_16_64 3
		.amdhsa_dx10_clamp 1
		.amdhsa_ieee_mode 1
		.amdhsa_fp16_overflow 0
		.amdhsa_tg_split 0
		.amdhsa_exception_fp_ieee_invalid_op 0
		.amdhsa_exception_fp_denorm_src 0
		.amdhsa_exception_fp_ieee_div_zero 0
		.amdhsa_exception_fp_ieee_overflow 0
		.amdhsa_exception_fp_ieee_underflow 0
		.amdhsa_exception_fp_ieee_inexact 0
		.amdhsa_exception_int_div_zero 0
	.end_amdhsa_kernel
	.section	.text._ZN7rocprim17ROCPRIM_400000_NS6detail17trampoline_kernelINS0_14default_configENS1_20scan_config_selectorIlEEZZNS1_9scan_implILNS1_25lookback_scan_determinismE0ELb0ELb0ES3_PlS8_lN6thrust23THRUST_200600_302600_NS4plusIvEElEEDaPvRmT3_T4_T5_mT6_P12ihipStream_tbENKUlT_T0_E_clISt17integral_constantIbLb0EESP_IbLb1EEEEDaSL_SM_EUlSL_E0_NS1_11comp_targetILNS1_3genE9ELNS1_11target_archE1100ELNS1_3gpuE3ELNS1_3repE0EEENS1_30default_config_static_selectorELNS0_4arch9wavefront6targetE1EEEvT1_,"axG",@progbits,_ZN7rocprim17ROCPRIM_400000_NS6detail17trampoline_kernelINS0_14default_configENS1_20scan_config_selectorIlEEZZNS1_9scan_implILNS1_25lookback_scan_determinismE0ELb0ELb0ES3_PlS8_lN6thrust23THRUST_200600_302600_NS4plusIvEElEEDaPvRmT3_T4_T5_mT6_P12ihipStream_tbENKUlT_T0_E_clISt17integral_constantIbLb0EESP_IbLb1EEEEDaSL_SM_EUlSL_E0_NS1_11comp_targetILNS1_3genE9ELNS1_11target_archE1100ELNS1_3gpuE3ELNS1_3repE0EEENS1_30default_config_static_selectorELNS0_4arch9wavefront6targetE1EEEvT1_,comdat
.Lfunc_end158:
	.size	_ZN7rocprim17ROCPRIM_400000_NS6detail17trampoline_kernelINS0_14default_configENS1_20scan_config_selectorIlEEZZNS1_9scan_implILNS1_25lookback_scan_determinismE0ELb0ELb0ES3_PlS8_lN6thrust23THRUST_200600_302600_NS4plusIvEElEEDaPvRmT3_T4_T5_mT6_P12ihipStream_tbENKUlT_T0_E_clISt17integral_constantIbLb0EESP_IbLb1EEEEDaSL_SM_EUlSL_E0_NS1_11comp_targetILNS1_3genE9ELNS1_11target_archE1100ELNS1_3gpuE3ELNS1_3repE0EEENS1_30default_config_static_selectorELNS0_4arch9wavefront6targetE1EEEvT1_, .Lfunc_end158-_ZN7rocprim17ROCPRIM_400000_NS6detail17trampoline_kernelINS0_14default_configENS1_20scan_config_selectorIlEEZZNS1_9scan_implILNS1_25lookback_scan_determinismE0ELb0ELb0ES3_PlS8_lN6thrust23THRUST_200600_302600_NS4plusIvEElEEDaPvRmT3_T4_T5_mT6_P12ihipStream_tbENKUlT_T0_E_clISt17integral_constantIbLb0EESP_IbLb1EEEEDaSL_SM_EUlSL_E0_NS1_11comp_targetILNS1_3genE9ELNS1_11target_archE1100ELNS1_3gpuE3ELNS1_3repE0EEENS1_30default_config_static_selectorELNS0_4arch9wavefront6targetE1EEEvT1_
                                        ; -- End function
	.section	.AMDGPU.csdata,"",@progbits
; Kernel info:
; codeLenInByte = 0
; NumSgprs: 6
; NumVgprs: 0
; NumAgprs: 0
; TotalNumVgprs: 0
; ScratchSize: 0
; MemoryBound: 0
; FloatMode: 240
; IeeeMode: 1
; LDSByteSize: 0 bytes/workgroup (compile time only)
; SGPRBlocks: 0
; VGPRBlocks: 0
; NumSGPRsForWavesPerEU: 6
; NumVGPRsForWavesPerEU: 1
; AccumOffset: 4
; Occupancy: 8
; WaveLimiterHint : 0
; COMPUTE_PGM_RSRC2:SCRATCH_EN: 0
; COMPUTE_PGM_RSRC2:USER_SGPR: 2
; COMPUTE_PGM_RSRC2:TRAP_HANDLER: 0
; COMPUTE_PGM_RSRC2:TGID_X_EN: 1
; COMPUTE_PGM_RSRC2:TGID_Y_EN: 0
; COMPUTE_PGM_RSRC2:TGID_Z_EN: 0
; COMPUTE_PGM_RSRC2:TIDIG_COMP_CNT: 0
; COMPUTE_PGM_RSRC3_GFX90A:ACCUM_OFFSET: 0
; COMPUTE_PGM_RSRC3_GFX90A:TG_SPLIT: 0
	.section	.text._ZN7rocprim17ROCPRIM_400000_NS6detail17trampoline_kernelINS0_14default_configENS1_20scan_config_selectorIlEEZZNS1_9scan_implILNS1_25lookback_scan_determinismE0ELb0ELb0ES3_PlS8_lN6thrust23THRUST_200600_302600_NS4plusIvEElEEDaPvRmT3_T4_T5_mT6_P12ihipStream_tbENKUlT_T0_E_clISt17integral_constantIbLb0EESP_IbLb1EEEEDaSL_SM_EUlSL_E0_NS1_11comp_targetILNS1_3genE8ELNS1_11target_archE1030ELNS1_3gpuE2ELNS1_3repE0EEENS1_30default_config_static_selectorELNS0_4arch9wavefront6targetE1EEEvT1_,"axG",@progbits,_ZN7rocprim17ROCPRIM_400000_NS6detail17trampoline_kernelINS0_14default_configENS1_20scan_config_selectorIlEEZZNS1_9scan_implILNS1_25lookback_scan_determinismE0ELb0ELb0ES3_PlS8_lN6thrust23THRUST_200600_302600_NS4plusIvEElEEDaPvRmT3_T4_T5_mT6_P12ihipStream_tbENKUlT_T0_E_clISt17integral_constantIbLb0EESP_IbLb1EEEEDaSL_SM_EUlSL_E0_NS1_11comp_targetILNS1_3genE8ELNS1_11target_archE1030ELNS1_3gpuE2ELNS1_3repE0EEENS1_30default_config_static_selectorELNS0_4arch9wavefront6targetE1EEEvT1_,comdat
	.protected	_ZN7rocprim17ROCPRIM_400000_NS6detail17trampoline_kernelINS0_14default_configENS1_20scan_config_selectorIlEEZZNS1_9scan_implILNS1_25lookback_scan_determinismE0ELb0ELb0ES3_PlS8_lN6thrust23THRUST_200600_302600_NS4plusIvEElEEDaPvRmT3_T4_T5_mT6_P12ihipStream_tbENKUlT_T0_E_clISt17integral_constantIbLb0EESP_IbLb1EEEEDaSL_SM_EUlSL_E0_NS1_11comp_targetILNS1_3genE8ELNS1_11target_archE1030ELNS1_3gpuE2ELNS1_3repE0EEENS1_30default_config_static_selectorELNS0_4arch9wavefront6targetE1EEEvT1_ ; -- Begin function _ZN7rocprim17ROCPRIM_400000_NS6detail17trampoline_kernelINS0_14default_configENS1_20scan_config_selectorIlEEZZNS1_9scan_implILNS1_25lookback_scan_determinismE0ELb0ELb0ES3_PlS8_lN6thrust23THRUST_200600_302600_NS4plusIvEElEEDaPvRmT3_T4_T5_mT6_P12ihipStream_tbENKUlT_T0_E_clISt17integral_constantIbLb0EESP_IbLb1EEEEDaSL_SM_EUlSL_E0_NS1_11comp_targetILNS1_3genE8ELNS1_11target_archE1030ELNS1_3gpuE2ELNS1_3repE0EEENS1_30default_config_static_selectorELNS0_4arch9wavefront6targetE1EEEvT1_
	.globl	_ZN7rocprim17ROCPRIM_400000_NS6detail17trampoline_kernelINS0_14default_configENS1_20scan_config_selectorIlEEZZNS1_9scan_implILNS1_25lookback_scan_determinismE0ELb0ELb0ES3_PlS8_lN6thrust23THRUST_200600_302600_NS4plusIvEElEEDaPvRmT3_T4_T5_mT6_P12ihipStream_tbENKUlT_T0_E_clISt17integral_constantIbLb0EESP_IbLb1EEEEDaSL_SM_EUlSL_E0_NS1_11comp_targetILNS1_3genE8ELNS1_11target_archE1030ELNS1_3gpuE2ELNS1_3repE0EEENS1_30default_config_static_selectorELNS0_4arch9wavefront6targetE1EEEvT1_
	.p2align	8
	.type	_ZN7rocprim17ROCPRIM_400000_NS6detail17trampoline_kernelINS0_14default_configENS1_20scan_config_selectorIlEEZZNS1_9scan_implILNS1_25lookback_scan_determinismE0ELb0ELb0ES3_PlS8_lN6thrust23THRUST_200600_302600_NS4plusIvEElEEDaPvRmT3_T4_T5_mT6_P12ihipStream_tbENKUlT_T0_E_clISt17integral_constantIbLb0EESP_IbLb1EEEEDaSL_SM_EUlSL_E0_NS1_11comp_targetILNS1_3genE8ELNS1_11target_archE1030ELNS1_3gpuE2ELNS1_3repE0EEENS1_30default_config_static_selectorELNS0_4arch9wavefront6targetE1EEEvT1_,@function
_ZN7rocprim17ROCPRIM_400000_NS6detail17trampoline_kernelINS0_14default_configENS1_20scan_config_selectorIlEEZZNS1_9scan_implILNS1_25lookback_scan_determinismE0ELb0ELb0ES3_PlS8_lN6thrust23THRUST_200600_302600_NS4plusIvEElEEDaPvRmT3_T4_T5_mT6_P12ihipStream_tbENKUlT_T0_E_clISt17integral_constantIbLb0EESP_IbLb1EEEEDaSL_SM_EUlSL_E0_NS1_11comp_targetILNS1_3genE8ELNS1_11target_archE1030ELNS1_3gpuE2ELNS1_3repE0EEENS1_30default_config_static_selectorELNS0_4arch9wavefront6targetE1EEEvT1_: ; @_ZN7rocprim17ROCPRIM_400000_NS6detail17trampoline_kernelINS0_14default_configENS1_20scan_config_selectorIlEEZZNS1_9scan_implILNS1_25lookback_scan_determinismE0ELb0ELb0ES3_PlS8_lN6thrust23THRUST_200600_302600_NS4plusIvEElEEDaPvRmT3_T4_T5_mT6_P12ihipStream_tbENKUlT_T0_E_clISt17integral_constantIbLb0EESP_IbLb1EEEEDaSL_SM_EUlSL_E0_NS1_11comp_targetILNS1_3genE8ELNS1_11target_archE1030ELNS1_3gpuE2ELNS1_3repE0EEENS1_30default_config_static_selectorELNS0_4arch9wavefront6targetE1EEEvT1_
; %bb.0:
	.section	.rodata,"a",@progbits
	.p2align	6, 0x0
	.amdhsa_kernel _ZN7rocprim17ROCPRIM_400000_NS6detail17trampoline_kernelINS0_14default_configENS1_20scan_config_selectorIlEEZZNS1_9scan_implILNS1_25lookback_scan_determinismE0ELb0ELb0ES3_PlS8_lN6thrust23THRUST_200600_302600_NS4plusIvEElEEDaPvRmT3_T4_T5_mT6_P12ihipStream_tbENKUlT_T0_E_clISt17integral_constantIbLb0EESP_IbLb1EEEEDaSL_SM_EUlSL_E0_NS1_11comp_targetILNS1_3genE8ELNS1_11target_archE1030ELNS1_3gpuE2ELNS1_3repE0EEENS1_30default_config_static_selectorELNS0_4arch9wavefront6targetE1EEEvT1_
		.amdhsa_group_segment_fixed_size 0
		.amdhsa_private_segment_fixed_size 0
		.amdhsa_kernarg_size 40
		.amdhsa_user_sgpr_count 2
		.amdhsa_user_sgpr_dispatch_ptr 0
		.amdhsa_user_sgpr_queue_ptr 0
		.amdhsa_user_sgpr_kernarg_segment_ptr 1
		.amdhsa_user_sgpr_dispatch_id 0
		.amdhsa_user_sgpr_kernarg_preload_length 0
		.amdhsa_user_sgpr_kernarg_preload_offset 0
		.amdhsa_user_sgpr_private_segment_size 0
		.amdhsa_uses_dynamic_stack 0
		.amdhsa_enable_private_segment 0
		.amdhsa_system_sgpr_workgroup_id_x 1
		.amdhsa_system_sgpr_workgroup_id_y 0
		.amdhsa_system_sgpr_workgroup_id_z 0
		.amdhsa_system_sgpr_workgroup_info 0
		.amdhsa_system_vgpr_workitem_id 0
		.amdhsa_next_free_vgpr 1
		.amdhsa_next_free_sgpr 0
		.amdhsa_accum_offset 4
		.amdhsa_reserve_vcc 0
		.amdhsa_float_round_mode_32 0
		.amdhsa_float_round_mode_16_64 0
		.amdhsa_float_denorm_mode_32 3
		.amdhsa_float_denorm_mode_16_64 3
		.amdhsa_dx10_clamp 1
		.amdhsa_ieee_mode 1
		.amdhsa_fp16_overflow 0
		.amdhsa_tg_split 0
		.amdhsa_exception_fp_ieee_invalid_op 0
		.amdhsa_exception_fp_denorm_src 0
		.amdhsa_exception_fp_ieee_div_zero 0
		.amdhsa_exception_fp_ieee_overflow 0
		.amdhsa_exception_fp_ieee_underflow 0
		.amdhsa_exception_fp_ieee_inexact 0
		.amdhsa_exception_int_div_zero 0
	.end_amdhsa_kernel
	.section	.text._ZN7rocprim17ROCPRIM_400000_NS6detail17trampoline_kernelINS0_14default_configENS1_20scan_config_selectorIlEEZZNS1_9scan_implILNS1_25lookback_scan_determinismE0ELb0ELb0ES3_PlS8_lN6thrust23THRUST_200600_302600_NS4plusIvEElEEDaPvRmT3_T4_T5_mT6_P12ihipStream_tbENKUlT_T0_E_clISt17integral_constantIbLb0EESP_IbLb1EEEEDaSL_SM_EUlSL_E0_NS1_11comp_targetILNS1_3genE8ELNS1_11target_archE1030ELNS1_3gpuE2ELNS1_3repE0EEENS1_30default_config_static_selectorELNS0_4arch9wavefront6targetE1EEEvT1_,"axG",@progbits,_ZN7rocprim17ROCPRIM_400000_NS6detail17trampoline_kernelINS0_14default_configENS1_20scan_config_selectorIlEEZZNS1_9scan_implILNS1_25lookback_scan_determinismE0ELb0ELb0ES3_PlS8_lN6thrust23THRUST_200600_302600_NS4plusIvEElEEDaPvRmT3_T4_T5_mT6_P12ihipStream_tbENKUlT_T0_E_clISt17integral_constantIbLb0EESP_IbLb1EEEEDaSL_SM_EUlSL_E0_NS1_11comp_targetILNS1_3genE8ELNS1_11target_archE1030ELNS1_3gpuE2ELNS1_3repE0EEENS1_30default_config_static_selectorELNS0_4arch9wavefront6targetE1EEEvT1_,comdat
.Lfunc_end159:
	.size	_ZN7rocprim17ROCPRIM_400000_NS6detail17trampoline_kernelINS0_14default_configENS1_20scan_config_selectorIlEEZZNS1_9scan_implILNS1_25lookback_scan_determinismE0ELb0ELb0ES3_PlS8_lN6thrust23THRUST_200600_302600_NS4plusIvEElEEDaPvRmT3_T4_T5_mT6_P12ihipStream_tbENKUlT_T0_E_clISt17integral_constantIbLb0EESP_IbLb1EEEEDaSL_SM_EUlSL_E0_NS1_11comp_targetILNS1_3genE8ELNS1_11target_archE1030ELNS1_3gpuE2ELNS1_3repE0EEENS1_30default_config_static_selectorELNS0_4arch9wavefront6targetE1EEEvT1_, .Lfunc_end159-_ZN7rocprim17ROCPRIM_400000_NS6detail17trampoline_kernelINS0_14default_configENS1_20scan_config_selectorIlEEZZNS1_9scan_implILNS1_25lookback_scan_determinismE0ELb0ELb0ES3_PlS8_lN6thrust23THRUST_200600_302600_NS4plusIvEElEEDaPvRmT3_T4_T5_mT6_P12ihipStream_tbENKUlT_T0_E_clISt17integral_constantIbLb0EESP_IbLb1EEEEDaSL_SM_EUlSL_E0_NS1_11comp_targetILNS1_3genE8ELNS1_11target_archE1030ELNS1_3gpuE2ELNS1_3repE0EEENS1_30default_config_static_selectorELNS0_4arch9wavefront6targetE1EEEvT1_
                                        ; -- End function
	.section	.AMDGPU.csdata,"",@progbits
; Kernel info:
; codeLenInByte = 0
; NumSgprs: 6
; NumVgprs: 0
; NumAgprs: 0
; TotalNumVgprs: 0
; ScratchSize: 0
; MemoryBound: 0
; FloatMode: 240
; IeeeMode: 1
; LDSByteSize: 0 bytes/workgroup (compile time only)
; SGPRBlocks: 0
; VGPRBlocks: 0
; NumSGPRsForWavesPerEU: 6
; NumVGPRsForWavesPerEU: 1
; AccumOffset: 4
; Occupancy: 8
; WaveLimiterHint : 0
; COMPUTE_PGM_RSRC2:SCRATCH_EN: 0
; COMPUTE_PGM_RSRC2:USER_SGPR: 2
; COMPUTE_PGM_RSRC2:TRAP_HANDLER: 0
; COMPUTE_PGM_RSRC2:TGID_X_EN: 1
; COMPUTE_PGM_RSRC2:TGID_Y_EN: 0
; COMPUTE_PGM_RSRC2:TGID_Z_EN: 0
; COMPUTE_PGM_RSRC2:TIDIG_COMP_CNT: 0
; COMPUTE_PGM_RSRC3_GFX90A:ACCUM_OFFSET: 0
; COMPUTE_PGM_RSRC3_GFX90A:TG_SPLIT: 0
	.section	.text._ZN6thrust23THRUST_200600_302600_NS11hip_rocprim14__parallel_for6kernelILj256ENS1_11__transform17unary_transform_fIPlNS0_20permutation_iteratorIS6_PKlEENS4_14no_stencil_tagENS1_8identityENS4_21always_true_predicateEEElLj1EEEvT0_T1_SG_,"axG",@progbits,_ZN6thrust23THRUST_200600_302600_NS11hip_rocprim14__parallel_for6kernelILj256ENS1_11__transform17unary_transform_fIPlNS0_20permutation_iteratorIS6_PKlEENS4_14no_stencil_tagENS1_8identityENS4_21always_true_predicateEEElLj1EEEvT0_T1_SG_,comdat
	.protected	_ZN6thrust23THRUST_200600_302600_NS11hip_rocprim14__parallel_for6kernelILj256ENS1_11__transform17unary_transform_fIPlNS0_20permutation_iteratorIS6_PKlEENS4_14no_stencil_tagENS1_8identityENS4_21always_true_predicateEEElLj1EEEvT0_T1_SG_ ; -- Begin function _ZN6thrust23THRUST_200600_302600_NS11hip_rocprim14__parallel_for6kernelILj256ENS1_11__transform17unary_transform_fIPlNS0_20permutation_iteratorIS6_PKlEENS4_14no_stencil_tagENS1_8identityENS4_21always_true_predicateEEElLj1EEEvT0_T1_SG_
	.globl	_ZN6thrust23THRUST_200600_302600_NS11hip_rocprim14__parallel_for6kernelILj256ENS1_11__transform17unary_transform_fIPlNS0_20permutation_iteratorIS6_PKlEENS4_14no_stencil_tagENS1_8identityENS4_21always_true_predicateEEElLj1EEEvT0_T1_SG_
	.p2align	8
	.type	_ZN6thrust23THRUST_200600_302600_NS11hip_rocprim14__parallel_for6kernelILj256ENS1_11__transform17unary_transform_fIPlNS0_20permutation_iteratorIS6_PKlEENS4_14no_stencil_tagENS1_8identityENS4_21always_true_predicateEEElLj1EEEvT0_T1_SG_,@function
_ZN6thrust23THRUST_200600_302600_NS11hip_rocprim14__parallel_for6kernelILj256ENS1_11__transform17unary_transform_fIPlNS0_20permutation_iteratorIS6_PKlEENS4_14no_stencil_tagENS1_8identityENS4_21always_true_predicateEEElLj1EEEvT0_T1_SG_: ; @_ZN6thrust23THRUST_200600_302600_NS11hip_rocprim14__parallel_for6kernelILj256ENS1_11__transform17unary_transform_fIPlNS0_20permutation_iteratorIS6_PKlEENS4_14no_stencil_tagENS1_8identityENS4_21always_true_predicateEEElLj1EEEvT0_T1_SG_
; %bb.0:
	s_load_dwordx4 s[4:7], s[0:1], 0x20
	s_lshl_b32 s2, s2, 8
	v_mov_b64_e32 v[2:3], 0x100
	s_waitcnt lgkmcnt(0)
	s_add_u32 s2, s2, s6
	s_addc_u32 s3, 0, s7
	s_sub_u32 s4, s4, s2
	s_subb_u32 s5, s5, s3
	v_cmp_lt_i64_e32 vcc, s[4:5], v[2:3]
	s_and_b64 s[6:7], vcc, exec
	s_cselect_b32 s6, s4, 0x100
	s_cmpk_eq_i32 s6, 0x100
	s_cselect_b64 s[4:5], -1, 0
	v_cmp_gt_u32_e32 vcc, s6, v0
	s_or_b64 s[4:5], s[4:5], vcc
	s_and_saveexec_b64 s[6:7], s[4:5]
	s_cbranch_execz .LBB160_2
; %bb.1:
	s_load_dwordx4 s[4:7], s[0:1], 0x0
	s_load_dwordx2 s[8:9], s[0:1], 0x10
	v_mov_b32_e32 v1, 0
	v_lshl_add_u64 v[0:1], s[2:3], 0, v[0:1]
	v_lshlrev_b64 v[0:1], 3, v[0:1]
	s_waitcnt lgkmcnt(0)
	v_lshl_add_u64 v[2:3], s[4:5], 0, v[0:1]
	v_lshl_add_u64 v[0:1], s[6:7], 0, v[0:1]
	global_load_dwordx2 v[4:5], v[0:1], off
	global_load_dwordx2 v[6:7], v[2:3], off
	v_mov_b32_e32 v0, s8
	v_mov_b32_e32 v1, s9
	s_waitcnt vmcnt(1)
	v_lshl_add_u64 v[0:1], v[4:5], 3, v[0:1]
	s_waitcnt vmcnt(0)
	global_store_dwordx2 v[0:1], v[6:7], off
.LBB160_2:
	s_endpgm
	.section	.rodata,"a",@progbits
	.p2align	6, 0x0
	.amdhsa_kernel _ZN6thrust23THRUST_200600_302600_NS11hip_rocprim14__parallel_for6kernelILj256ENS1_11__transform17unary_transform_fIPlNS0_20permutation_iteratorIS6_PKlEENS4_14no_stencil_tagENS1_8identityENS4_21always_true_predicateEEElLj1EEEvT0_T1_SG_
		.amdhsa_group_segment_fixed_size 0
		.amdhsa_private_segment_fixed_size 0
		.amdhsa_kernarg_size 48
		.amdhsa_user_sgpr_count 2
		.amdhsa_user_sgpr_dispatch_ptr 0
		.amdhsa_user_sgpr_queue_ptr 0
		.amdhsa_user_sgpr_kernarg_segment_ptr 1
		.amdhsa_user_sgpr_dispatch_id 0
		.amdhsa_user_sgpr_kernarg_preload_length 0
		.amdhsa_user_sgpr_kernarg_preload_offset 0
		.amdhsa_user_sgpr_private_segment_size 0
		.amdhsa_uses_dynamic_stack 0
		.amdhsa_enable_private_segment 0
		.amdhsa_system_sgpr_workgroup_id_x 1
		.amdhsa_system_sgpr_workgroup_id_y 0
		.amdhsa_system_sgpr_workgroup_id_z 0
		.amdhsa_system_sgpr_workgroup_info 0
		.amdhsa_system_vgpr_workitem_id 0
		.amdhsa_next_free_vgpr 8
		.amdhsa_next_free_sgpr 10
		.amdhsa_accum_offset 8
		.amdhsa_reserve_vcc 1
		.amdhsa_float_round_mode_32 0
		.amdhsa_float_round_mode_16_64 0
		.amdhsa_float_denorm_mode_32 3
		.amdhsa_float_denorm_mode_16_64 3
		.amdhsa_dx10_clamp 1
		.amdhsa_ieee_mode 1
		.amdhsa_fp16_overflow 0
		.amdhsa_tg_split 0
		.amdhsa_exception_fp_ieee_invalid_op 0
		.amdhsa_exception_fp_denorm_src 0
		.amdhsa_exception_fp_ieee_div_zero 0
		.amdhsa_exception_fp_ieee_overflow 0
		.amdhsa_exception_fp_ieee_underflow 0
		.amdhsa_exception_fp_ieee_inexact 0
		.amdhsa_exception_int_div_zero 0
	.end_amdhsa_kernel
	.section	.text._ZN6thrust23THRUST_200600_302600_NS11hip_rocprim14__parallel_for6kernelILj256ENS1_11__transform17unary_transform_fIPlNS0_20permutation_iteratorIS6_PKlEENS4_14no_stencil_tagENS1_8identityENS4_21always_true_predicateEEElLj1EEEvT0_T1_SG_,"axG",@progbits,_ZN6thrust23THRUST_200600_302600_NS11hip_rocprim14__parallel_for6kernelILj256ENS1_11__transform17unary_transform_fIPlNS0_20permutation_iteratorIS6_PKlEENS4_14no_stencil_tagENS1_8identityENS4_21always_true_predicateEEElLj1EEEvT0_T1_SG_,comdat
.Lfunc_end160:
	.size	_ZN6thrust23THRUST_200600_302600_NS11hip_rocprim14__parallel_for6kernelILj256ENS1_11__transform17unary_transform_fIPlNS0_20permutation_iteratorIS6_PKlEENS4_14no_stencil_tagENS1_8identityENS4_21always_true_predicateEEElLj1EEEvT0_T1_SG_, .Lfunc_end160-_ZN6thrust23THRUST_200600_302600_NS11hip_rocprim14__parallel_for6kernelILj256ENS1_11__transform17unary_transform_fIPlNS0_20permutation_iteratorIS6_PKlEENS4_14no_stencil_tagENS1_8identityENS4_21always_true_predicateEEElLj1EEEvT0_T1_SG_
                                        ; -- End function
	.section	.AMDGPU.csdata,"",@progbits
; Kernel info:
; codeLenInByte = 188
; NumSgprs: 16
; NumVgprs: 8
; NumAgprs: 0
; TotalNumVgprs: 8
; ScratchSize: 0
; MemoryBound: 0
; FloatMode: 240
; IeeeMode: 1
; LDSByteSize: 0 bytes/workgroup (compile time only)
; SGPRBlocks: 1
; VGPRBlocks: 0
; NumSGPRsForWavesPerEU: 16
; NumVGPRsForWavesPerEU: 8
; AccumOffset: 8
; Occupancy: 8
; WaveLimiterHint : 1
; COMPUTE_PGM_RSRC2:SCRATCH_EN: 0
; COMPUTE_PGM_RSRC2:USER_SGPR: 2
; COMPUTE_PGM_RSRC2:TRAP_HANDLER: 0
; COMPUTE_PGM_RSRC2:TGID_X_EN: 1
; COMPUTE_PGM_RSRC2:TGID_Y_EN: 0
; COMPUTE_PGM_RSRC2:TGID_Z_EN: 0
; COMPUTE_PGM_RSRC2:TIDIG_COMP_CNT: 0
; COMPUTE_PGM_RSRC3_GFX90A:ACCUM_OFFSET: 1
; COMPUTE_PGM_RSRC3_GFX90A:TG_SPLIT: 0
	.section	.text._ZN7rocprim17ROCPRIM_400000_NS6detail31init_lookback_scan_state_kernelINS1_19lookback_scan_stateIjLb0ELb1EEENS1_16block_id_wrapperIjLb0EEEEEvT_jT0_jPNS7_10value_typeE,"axG",@progbits,_ZN7rocprim17ROCPRIM_400000_NS6detail31init_lookback_scan_state_kernelINS1_19lookback_scan_stateIjLb0ELb1EEENS1_16block_id_wrapperIjLb0EEEEEvT_jT0_jPNS7_10value_typeE,comdat
	.protected	_ZN7rocprim17ROCPRIM_400000_NS6detail31init_lookback_scan_state_kernelINS1_19lookback_scan_stateIjLb0ELb1EEENS1_16block_id_wrapperIjLb0EEEEEvT_jT0_jPNS7_10value_typeE ; -- Begin function _ZN7rocprim17ROCPRIM_400000_NS6detail31init_lookback_scan_state_kernelINS1_19lookback_scan_stateIjLb0ELb1EEENS1_16block_id_wrapperIjLb0EEEEEvT_jT0_jPNS7_10value_typeE
	.globl	_ZN7rocprim17ROCPRIM_400000_NS6detail31init_lookback_scan_state_kernelINS1_19lookback_scan_stateIjLb0ELb1EEENS1_16block_id_wrapperIjLb0EEEEEvT_jT0_jPNS7_10value_typeE
	.p2align	8
	.type	_ZN7rocprim17ROCPRIM_400000_NS6detail31init_lookback_scan_state_kernelINS1_19lookback_scan_stateIjLb0ELb1EEENS1_16block_id_wrapperIjLb0EEEEEvT_jT0_jPNS7_10value_typeE,@function
_ZN7rocprim17ROCPRIM_400000_NS6detail31init_lookback_scan_state_kernelINS1_19lookback_scan_stateIjLb0ELb1EEENS1_16block_id_wrapperIjLb0EEEEEvT_jT0_jPNS7_10value_typeE: ; @_ZN7rocprim17ROCPRIM_400000_NS6detail31init_lookback_scan_state_kernelINS1_19lookback_scan_stateIjLb0ELb1EEENS1_16block_id_wrapperIjLb0EEEEEvT_jT0_jPNS7_10value_typeE
; %bb.0:
	s_load_dword s3, s[0:1], 0x2c
	s_load_dwordx2 s[6:7], s[0:1], 0x18
	s_load_dwordx2 s[4:5], s[0:1], 0x0
	s_load_dword s8, s[0:1], 0x8
	s_waitcnt lgkmcnt(0)
	s_and_b32 s3, s3, 0xffff
	s_mul_i32 s2, s2, s3
	s_cmp_eq_u64 s[6:7], 0
	v_add_u32_e32 v0, s2, v0
	s_cbranch_scc1 .LBB161_6
; %bb.1:
	s_load_dword s2, s[0:1], 0x10
	s_mov_b32 s3, 0
	s_waitcnt lgkmcnt(0)
	s_cmp_lt_u32 s2, s8
	s_cselect_b32 s0, s2, 0
	v_cmp_eq_u32_e32 vcc, s0, v0
	s_and_saveexec_b64 s[0:1], vcc
	s_cbranch_execz .LBB161_5
; %bb.2:
	s_add_i32 s2, s2, 64
	s_lshl_b64 s[2:3], s[2:3], 3
	s_add_u32 s2, s4, s2
	s_addc_u32 s3, s5, s3
	v_mov_b32_e32 v4, 0
	global_load_dwordx2 v[2:3], v4, s[2:3] sc1
	s_waitcnt vmcnt(0)
	v_and_b32_e32 v5, 0xff, v3
	v_cmp_ne_u64_e32 vcc, 0, v[4:5]
	s_cbranch_vccnz .LBB161_4
.LBB161_3:                              ; =>This Inner Loop Header: Depth=1
	global_load_dwordx2 v[2:3], v4, s[2:3] sc1
	s_waitcnt vmcnt(0)
	v_and_b32_e32 v5, 0xff, v3
	v_cmp_eq_u64_e32 vcc, 0, v[4:5]
	s_cbranch_vccnz .LBB161_3
.LBB161_4:
	v_mov_b32_e32 v1, 0
	global_store_dword v1, v2, s[6:7]
.LBB161_5:
	s_or_b64 exec, exec, s[0:1]
.LBB161_6:
	v_cmp_gt_u32_e32 vcc, s8, v0
	s_and_saveexec_b64 s[0:1], vcc
	s_cbranch_execnz .LBB161_9
; %bb.7:
	s_or_b64 exec, exec, s[0:1]
	v_cmp_gt_u32_e32 vcc, 64, v0
	s_and_saveexec_b64 s[0:1], vcc
	s_cbranch_execnz .LBB161_10
.LBB161_8:
	s_endpgm
.LBB161_9:
	v_add_u32_e32 v2, 64, v0
	v_mov_b32_e32 v3, 0
	v_lshl_add_u64 v[4:5], v[2:3], 3, s[4:5]
	v_mov_b32_e32 v2, v3
	global_store_dwordx2 v[4:5], v[2:3], off
	s_or_b64 exec, exec, s[0:1]
	v_cmp_gt_u32_e32 vcc, 64, v0
	s_and_saveexec_b64 s[0:1], vcc
	s_cbranch_execz .LBB161_8
.LBB161_10:
	v_mov_b32_e32 v1, 0
	v_lshl_add_u64 v[2:3], v[0:1], 3, s[4:5]
	v_mov_b32_e32 v5, 0xff
	v_mov_b32_e32 v4, v1
	global_store_dwordx2 v[2:3], v[4:5], off
	s_endpgm
	.section	.rodata,"a",@progbits
	.p2align	6, 0x0
	.amdhsa_kernel _ZN7rocprim17ROCPRIM_400000_NS6detail31init_lookback_scan_state_kernelINS1_19lookback_scan_stateIjLb0ELb1EEENS1_16block_id_wrapperIjLb0EEEEEvT_jT0_jPNS7_10value_typeE
		.amdhsa_group_segment_fixed_size 0
		.amdhsa_private_segment_fixed_size 0
		.amdhsa_kernarg_size 288
		.amdhsa_user_sgpr_count 2
		.amdhsa_user_sgpr_dispatch_ptr 0
		.amdhsa_user_sgpr_queue_ptr 0
		.amdhsa_user_sgpr_kernarg_segment_ptr 1
		.amdhsa_user_sgpr_dispatch_id 0
		.amdhsa_user_sgpr_kernarg_preload_length 0
		.amdhsa_user_sgpr_kernarg_preload_offset 0
		.amdhsa_user_sgpr_private_segment_size 0
		.amdhsa_uses_dynamic_stack 0
		.amdhsa_enable_private_segment 0
		.amdhsa_system_sgpr_workgroup_id_x 1
		.amdhsa_system_sgpr_workgroup_id_y 0
		.amdhsa_system_sgpr_workgroup_id_z 0
		.amdhsa_system_sgpr_workgroup_info 0
		.amdhsa_system_vgpr_workitem_id 0
		.amdhsa_next_free_vgpr 6
		.amdhsa_next_free_sgpr 9
		.amdhsa_accum_offset 8
		.amdhsa_reserve_vcc 1
		.amdhsa_float_round_mode_32 0
		.amdhsa_float_round_mode_16_64 0
		.amdhsa_float_denorm_mode_32 3
		.amdhsa_float_denorm_mode_16_64 3
		.amdhsa_dx10_clamp 1
		.amdhsa_ieee_mode 1
		.amdhsa_fp16_overflow 0
		.amdhsa_tg_split 0
		.amdhsa_exception_fp_ieee_invalid_op 0
		.amdhsa_exception_fp_denorm_src 0
		.amdhsa_exception_fp_ieee_div_zero 0
		.amdhsa_exception_fp_ieee_overflow 0
		.amdhsa_exception_fp_ieee_underflow 0
		.amdhsa_exception_fp_ieee_inexact 0
		.amdhsa_exception_int_div_zero 0
	.end_amdhsa_kernel
	.section	.text._ZN7rocprim17ROCPRIM_400000_NS6detail31init_lookback_scan_state_kernelINS1_19lookback_scan_stateIjLb0ELb1EEENS1_16block_id_wrapperIjLb0EEEEEvT_jT0_jPNS7_10value_typeE,"axG",@progbits,_ZN7rocprim17ROCPRIM_400000_NS6detail31init_lookback_scan_state_kernelINS1_19lookback_scan_stateIjLb0ELb1EEENS1_16block_id_wrapperIjLb0EEEEEvT_jT0_jPNS7_10value_typeE,comdat
.Lfunc_end161:
	.size	_ZN7rocprim17ROCPRIM_400000_NS6detail31init_lookback_scan_state_kernelINS1_19lookback_scan_stateIjLb0ELb1EEENS1_16block_id_wrapperIjLb0EEEEEvT_jT0_jPNS7_10value_typeE, .Lfunc_end161-_ZN7rocprim17ROCPRIM_400000_NS6detail31init_lookback_scan_state_kernelINS1_19lookback_scan_stateIjLb0ELb1EEENS1_16block_id_wrapperIjLb0EEEEEvT_jT0_jPNS7_10value_typeE
                                        ; -- End function
	.section	.AMDGPU.csdata,"",@progbits
; Kernel info:
; codeLenInByte = 300
; NumSgprs: 15
; NumVgprs: 6
; NumAgprs: 0
; TotalNumVgprs: 6
; ScratchSize: 0
; MemoryBound: 0
; FloatMode: 240
; IeeeMode: 1
; LDSByteSize: 0 bytes/workgroup (compile time only)
; SGPRBlocks: 1
; VGPRBlocks: 0
; NumSGPRsForWavesPerEU: 15
; NumVGPRsForWavesPerEU: 6
; AccumOffset: 8
; Occupancy: 8
; WaveLimiterHint : 0
; COMPUTE_PGM_RSRC2:SCRATCH_EN: 0
; COMPUTE_PGM_RSRC2:USER_SGPR: 2
; COMPUTE_PGM_RSRC2:TRAP_HANDLER: 0
; COMPUTE_PGM_RSRC2:TGID_X_EN: 1
; COMPUTE_PGM_RSRC2:TGID_Y_EN: 0
; COMPUTE_PGM_RSRC2:TGID_Z_EN: 0
; COMPUTE_PGM_RSRC2:TIDIG_COMP_CNT: 0
; COMPUTE_PGM_RSRC3_GFX90A:ACCUM_OFFSET: 1
; COMPUTE_PGM_RSRC3_GFX90A:TG_SPLIT: 0
	.section	.text._ZN7rocprim17ROCPRIM_400000_NS6detail17trampoline_kernelINS0_14default_configENS1_25partition_config_selectorILNS1_17partition_subalgoE8ElNS0_10empty_typeEbEEZZNS1_14partition_implILS5_8ELb0ES3_jPlPS6_PKS6_NS0_5tupleIJS9_S6_EEENSD_IJSA_SA_EEENS0_18inequality_wrapperIZN2at6native12_GLOBAL__N_124unique_dim_cuda_templateIhEESt5tupleIJNSH_6TensorESM_SM_EERKSM_lbbbEUlllE0_EEPmJS6_EEE10hipError_tPvRmT3_T4_T5_T6_T7_T9_mT8_P12ihipStream_tbDpT10_ENKUlT_T0_E_clISt17integral_constantIbLb0EES1C_EEDaS17_S18_EUlS17_E_NS1_11comp_targetILNS1_3genE0ELNS1_11target_archE4294967295ELNS1_3gpuE0ELNS1_3repE0EEENS1_30default_config_static_selectorELNS0_4arch9wavefront6targetE1EEEvT1_,"axG",@progbits,_ZN7rocprim17ROCPRIM_400000_NS6detail17trampoline_kernelINS0_14default_configENS1_25partition_config_selectorILNS1_17partition_subalgoE8ElNS0_10empty_typeEbEEZZNS1_14partition_implILS5_8ELb0ES3_jPlPS6_PKS6_NS0_5tupleIJS9_S6_EEENSD_IJSA_SA_EEENS0_18inequality_wrapperIZN2at6native12_GLOBAL__N_124unique_dim_cuda_templateIhEESt5tupleIJNSH_6TensorESM_SM_EERKSM_lbbbEUlllE0_EEPmJS6_EEE10hipError_tPvRmT3_T4_T5_T6_T7_T9_mT8_P12ihipStream_tbDpT10_ENKUlT_T0_E_clISt17integral_constantIbLb0EES1C_EEDaS17_S18_EUlS17_E_NS1_11comp_targetILNS1_3genE0ELNS1_11target_archE4294967295ELNS1_3gpuE0ELNS1_3repE0EEENS1_30default_config_static_selectorELNS0_4arch9wavefront6targetE1EEEvT1_,comdat
	.globl	_ZN7rocprim17ROCPRIM_400000_NS6detail17trampoline_kernelINS0_14default_configENS1_25partition_config_selectorILNS1_17partition_subalgoE8ElNS0_10empty_typeEbEEZZNS1_14partition_implILS5_8ELb0ES3_jPlPS6_PKS6_NS0_5tupleIJS9_S6_EEENSD_IJSA_SA_EEENS0_18inequality_wrapperIZN2at6native12_GLOBAL__N_124unique_dim_cuda_templateIhEESt5tupleIJNSH_6TensorESM_SM_EERKSM_lbbbEUlllE0_EEPmJS6_EEE10hipError_tPvRmT3_T4_T5_T6_T7_T9_mT8_P12ihipStream_tbDpT10_ENKUlT_T0_E_clISt17integral_constantIbLb0EES1C_EEDaS17_S18_EUlS17_E_NS1_11comp_targetILNS1_3genE0ELNS1_11target_archE4294967295ELNS1_3gpuE0ELNS1_3repE0EEENS1_30default_config_static_selectorELNS0_4arch9wavefront6targetE1EEEvT1_ ; -- Begin function _ZN7rocprim17ROCPRIM_400000_NS6detail17trampoline_kernelINS0_14default_configENS1_25partition_config_selectorILNS1_17partition_subalgoE8ElNS0_10empty_typeEbEEZZNS1_14partition_implILS5_8ELb0ES3_jPlPS6_PKS6_NS0_5tupleIJS9_S6_EEENSD_IJSA_SA_EEENS0_18inequality_wrapperIZN2at6native12_GLOBAL__N_124unique_dim_cuda_templateIhEESt5tupleIJNSH_6TensorESM_SM_EERKSM_lbbbEUlllE0_EEPmJS6_EEE10hipError_tPvRmT3_T4_T5_T6_T7_T9_mT8_P12ihipStream_tbDpT10_ENKUlT_T0_E_clISt17integral_constantIbLb0EES1C_EEDaS17_S18_EUlS17_E_NS1_11comp_targetILNS1_3genE0ELNS1_11target_archE4294967295ELNS1_3gpuE0ELNS1_3repE0EEENS1_30default_config_static_selectorELNS0_4arch9wavefront6targetE1EEEvT1_
	.p2align	8
	.type	_ZN7rocprim17ROCPRIM_400000_NS6detail17trampoline_kernelINS0_14default_configENS1_25partition_config_selectorILNS1_17partition_subalgoE8ElNS0_10empty_typeEbEEZZNS1_14partition_implILS5_8ELb0ES3_jPlPS6_PKS6_NS0_5tupleIJS9_S6_EEENSD_IJSA_SA_EEENS0_18inequality_wrapperIZN2at6native12_GLOBAL__N_124unique_dim_cuda_templateIhEESt5tupleIJNSH_6TensorESM_SM_EERKSM_lbbbEUlllE0_EEPmJS6_EEE10hipError_tPvRmT3_T4_T5_T6_T7_T9_mT8_P12ihipStream_tbDpT10_ENKUlT_T0_E_clISt17integral_constantIbLb0EES1C_EEDaS17_S18_EUlS17_E_NS1_11comp_targetILNS1_3genE0ELNS1_11target_archE4294967295ELNS1_3gpuE0ELNS1_3repE0EEENS1_30default_config_static_selectorELNS0_4arch9wavefront6targetE1EEEvT1_,@function
_ZN7rocprim17ROCPRIM_400000_NS6detail17trampoline_kernelINS0_14default_configENS1_25partition_config_selectorILNS1_17partition_subalgoE8ElNS0_10empty_typeEbEEZZNS1_14partition_implILS5_8ELb0ES3_jPlPS6_PKS6_NS0_5tupleIJS9_S6_EEENSD_IJSA_SA_EEENS0_18inequality_wrapperIZN2at6native12_GLOBAL__N_124unique_dim_cuda_templateIhEESt5tupleIJNSH_6TensorESM_SM_EERKSM_lbbbEUlllE0_EEPmJS6_EEE10hipError_tPvRmT3_T4_T5_T6_T7_T9_mT8_P12ihipStream_tbDpT10_ENKUlT_T0_E_clISt17integral_constantIbLb0EES1C_EEDaS17_S18_EUlS17_E_NS1_11comp_targetILNS1_3genE0ELNS1_11target_archE4294967295ELNS1_3gpuE0ELNS1_3repE0EEENS1_30default_config_static_selectorELNS0_4arch9wavefront6targetE1EEEvT1_: ; @_ZN7rocprim17ROCPRIM_400000_NS6detail17trampoline_kernelINS0_14default_configENS1_25partition_config_selectorILNS1_17partition_subalgoE8ElNS0_10empty_typeEbEEZZNS1_14partition_implILS5_8ELb0ES3_jPlPS6_PKS6_NS0_5tupleIJS9_S6_EEENSD_IJSA_SA_EEENS0_18inequality_wrapperIZN2at6native12_GLOBAL__N_124unique_dim_cuda_templateIhEESt5tupleIJNSH_6TensorESM_SM_EERKSM_lbbbEUlllE0_EEPmJS6_EEE10hipError_tPvRmT3_T4_T5_T6_T7_T9_mT8_P12ihipStream_tbDpT10_ENKUlT_T0_E_clISt17integral_constantIbLb0EES1C_EEDaS17_S18_EUlS17_E_NS1_11comp_targetILNS1_3genE0ELNS1_11target_archE4294967295ELNS1_3gpuE0ELNS1_3repE0EEENS1_30default_config_static_selectorELNS0_4arch9wavefront6targetE1EEEvT1_
; %bb.0:
	.section	.rodata,"a",@progbits
	.p2align	6, 0x0
	.amdhsa_kernel _ZN7rocprim17ROCPRIM_400000_NS6detail17trampoline_kernelINS0_14default_configENS1_25partition_config_selectorILNS1_17partition_subalgoE8ElNS0_10empty_typeEbEEZZNS1_14partition_implILS5_8ELb0ES3_jPlPS6_PKS6_NS0_5tupleIJS9_S6_EEENSD_IJSA_SA_EEENS0_18inequality_wrapperIZN2at6native12_GLOBAL__N_124unique_dim_cuda_templateIhEESt5tupleIJNSH_6TensorESM_SM_EERKSM_lbbbEUlllE0_EEPmJS6_EEE10hipError_tPvRmT3_T4_T5_T6_T7_T9_mT8_P12ihipStream_tbDpT10_ENKUlT_T0_E_clISt17integral_constantIbLb0EES1C_EEDaS17_S18_EUlS17_E_NS1_11comp_targetILNS1_3genE0ELNS1_11target_archE4294967295ELNS1_3gpuE0ELNS1_3repE0EEENS1_30default_config_static_selectorELNS0_4arch9wavefront6targetE1EEEvT1_
		.amdhsa_group_segment_fixed_size 0
		.amdhsa_private_segment_fixed_size 0
		.amdhsa_kernarg_size 120
		.amdhsa_user_sgpr_count 2
		.amdhsa_user_sgpr_dispatch_ptr 0
		.amdhsa_user_sgpr_queue_ptr 0
		.amdhsa_user_sgpr_kernarg_segment_ptr 1
		.amdhsa_user_sgpr_dispatch_id 0
		.amdhsa_user_sgpr_kernarg_preload_length 0
		.amdhsa_user_sgpr_kernarg_preload_offset 0
		.amdhsa_user_sgpr_private_segment_size 0
		.amdhsa_uses_dynamic_stack 0
		.amdhsa_enable_private_segment 0
		.amdhsa_system_sgpr_workgroup_id_x 1
		.amdhsa_system_sgpr_workgroup_id_y 0
		.amdhsa_system_sgpr_workgroup_id_z 0
		.amdhsa_system_sgpr_workgroup_info 0
		.amdhsa_system_vgpr_workitem_id 0
		.amdhsa_next_free_vgpr 1
		.amdhsa_next_free_sgpr 0
		.amdhsa_accum_offset 4
		.amdhsa_reserve_vcc 0
		.amdhsa_float_round_mode_32 0
		.amdhsa_float_round_mode_16_64 0
		.amdhsa_float_denorm_mode_32 3
		.amdhsa_float_denorm_mode_16_64 3
		.amdhsa_dx10_clamp 1
		.amdhsa_ieee_mode 1
		.amdhsa_fp16_overflow 0
		.amdhsa_tg_split 0
		.amdhsa_exception_fp_ieee_invalid_op 0
		.amdhsa_exception_fp_denorm_src 0
		.amdhsa_exception_fp_ieee_div_zero 0
		.amdhsa_exception_fp_ieee_overflow 0
		.amdhsa_exception_fp_ieee_underflow 0
		.amdhsa_exception_fp_ieee_inexact 0
		.amdhsa_exception_int_div_zero 0
	.end_amdhsa_kernel
	.section	.text._ZN7rocprim17ROCPRIM_400000_NS6detail17trampoline_kernelINS0_14default_configENS1_25partition_config_selectorILNS1_17partition_subalgoE8ElNS0_10empty_typeEbEEZZNS1_14partition_implILS5_8ELb0ES3_jPlPS6_PKS6_NS0_5tupleIJS9_S6_EEENSD_IJSA_SA_EEENS0_18inequality_wrapperIZN2at6native12_GLOBAL__N_124unique_dim_cuda_templateIhEESt5tupleIJNSH_6TensorESM_SM_EERKSM_lbbbEUlllE0_EEPmJS6_EEE10hipError_tPvRmT3_T4_T5_T6_T7_T9_mT8_P12ihipStream_tbDpT10_ENKUlT_T0_E_clISt17integral_constantIbLb0EES1C_EEDaS17_S18_EUlS17_E_NS1_11comp_targetILNS1_3genE0ELNS1_11target_archE4294967295ELNS1_3gpuE0ELNS1_3repE0EEENS1_30default_config_static_selectorELNS0_4arch9wavefront6targetE1EEEvT1_,"axG",@progbits,_ZN7rocprim17ROCPRIM_400000_NS6detail17trampoline_kernelINS0_14default_configENS1_25partition_config_selectorILNS1_17partition_subalgoE8ElNS0_10empty_typeEbEEZZNS1_14partition_implILS5_8ELb0ES3_jPlPS6_PKS6_NS0_5tupleIJS9_S6_EEENSD_IJSA_SA_EEENS0_18inequality_wrapperIZN2at6native12_GLOBAL__N_124unique_dim_cuda_templateIhEESt5tupleIJNSH_6TensorESM_SM_EERKSM_lbbbEUlllE0_EEPmJS6_EEE10hipError_tPvRmT3_T4_T5_T6_T7_T9_mT8_P12ihipStream_tbDpT10_ENKUlT_T0_E_clISt17integral_constantIbLb0EES1C_EEDaS17_S18_EUlS17_E_NS1_11comp_targetILNS1_3genE0ELNS1_11target_archE4294967295ELNS1_3gpuE0ELNS1_3repE0EEENS1_30default_config_static_selectorELNS0_4arch9wavefront6targetE1EEEvT1_,comdat
.Lfunc_end162:
	.size	_ZN7rocprim17ROCPRIM_400000_NS6detail17trampoline_kernelINS0_14default_configENS1_25partition_config_selectorILNS1_17partition_subalgoE8ElNS0_10empty_typeEbEEZZNS1_14partition_implILS5_8ELb0ES3_jPlPS6_PKS6_NS0_5tupleIJS9_S6_EEENSD_IJSA_SA_EEENS0_18inequality_wrapperIZN2at6native12_GLOBAL__N_124unique_dim_cuda_templateIhEESt5tupleIJNSH_6TensorESM_SM_EERKSM_lbbbEUlllE0_EEPmJS6_EEE10hipError_tPvRmT3_T4_T5_T6_T7_T9_mT8_P12ihipStream_tbDpT10_ENKUlT_T0_E_clISt17integral_constantIbLb0EES1C_EEDaS17_S18_EUlS17_E_NS1_11comp_targetILNS1_3genE0ELNS1_11target_archE4294967295ELNS1_3gpuE0ELNS1_3repE0EEENS1_30default_config_static_selectorELNS0_4arch9wavefront6targetE1EEEvT1_, .Lfunc_end162-_ZN7rocprim17ROCPRIM_400000_NS6detail17trampoline_kernelINS0_14default_configENS1_25partition_config_selectorILNS1_17partition_subalgoE8ElNS0_10empty_typeEbEEZZNS1_14partition_implILS5_8ELb0ES3_jPlPS6_PKS6_NS0_5tupleIJS9_S6_EEENSD_IJSA_SA_EEENS0_18inequality_wrapperIZN2at6native12_GLOBAL__N_124unique_dim_cuda_templateIhEESt5tupleIJNSH_6TensorESM_SM_EERKSM_lbbbEUlllE0_EEPmJS6_EEE10hipError_tPvRmT3_T4_T5_T6_T7_T9_mT8_P12ihipStream_tbDpT10_ENKUlT_T0_E_clISt17integral_constantIbLb0EES1C_EEDaS17_S18_EUlS17_E_NS1_11comp_targetILNS1_3genE0ELNS1_11target_archE4294967295ELNS1_3gpuE0ELNS1_3repE0EEENS1_30default_config_static_selectorELNS0_4arch9wavefront6targetE1EEEvT1_
                                        ; -- End function
	.section	.AMDGPU.csdata,"",@progbits
; Kernel info:
; codeLenInByte = 0
; NumSgprs: 6
; NumVgprs: 0
; NumAgprs: 0
; TotalNumVgprs: 0
; ScratchSize: 0
; MemoryBound: 0
; FloatMode: 240
; IeeeMode: 1
; LDSByteSize: 0 bytes/workgroup (compile time only)
; SGPRBlocks: 0
; VGPRBlocks: 0
; NumSGPRsForWavesPerEU: 6
; NumVGPRsForWavesPerEU: 1
; AccumOffset: 4
; Occupancy: 8
; WaveLimiterHint : 0
; COMPUTE_PGM_RSRC2:SCRATCH_EN: 0
; COMPUTE_PGM_RSRC2:USER_SGPR: 2
; COMPUTE_PGM_RSRC2:TRAP_HANDLER: 0
; COMPUTE_PGM_RSRC2:TGID_X_EN: 1
; COMPUTE_PGM_RSRC2:TGID_Y_EN: 0
; COMPUTE_PGM_RSRC2:TGID_Z_EN: 0
; COMPUTE_PGM_RSRC2:TIDIG_COMP_CNT: 0
; COMPUTE_PGM_RSRC3_GFX90A:ACCUM_OFFSET: 0
; COMPUTE_PGM_RSRC3_GFX90A:TG_SPLIT: 0
	.section	.text._ZN7rocprim17ROCPRIM_400000_NS6detail17trampoline_kernelINS0_14default_configENS1_25partition_config_selectorILNS1_17partition_subalgoE8ElNS0_10empty_typeEbEEZZNS1_14partition_implILS5_8ELb0ES3_jPlPS6_PKS6_NS0_5tupleIJS9_S6_EEENSD_IJSA_SA_EEENS0_18inequality_wrapperIZN2at6native12_GLOBAL__N_124unique_dim_cuda_templateIhEESt5tupleIJNSH_6TensorESM_SM_EERKSM_lbbbEUlllE0_EEPmJS6_EEE10hipError_tPvRmT3_T4_T5_T6_T7_T9_mT8_P12ihipStream_tbDpT10_ENKUlT_T0_E_clISt17integral_constantIbLb0EES1C_EEDaS17_S18_EUlS17_E_NS1_11comp_targetILNS1_3genE5ELNS1_11target_archE942ELNS1_3gpuE9ELNS1_3repE0EEENS1_30default_config_static_selectorELNS0_4arch9wavefront6targetE1EEEvT1_,"axG",@progbits,_ZN7rocprim17ROCPRIM_400000_NS6detail17trampoline_kernelINS0_14default_configENS1_25partition_config_selectorILNS1_17partition_subalgoE8ElNS0_10empty_typeEbEEZZNS1_14partition_implILS5_8ELb0ES3_jPlPS6_PKS6_NS0_5tupleIJS9_S6_EEENSD_IJSA_SA_EEENS0_18inequality_wrapperIZN2at6native12_GLOBAL__N_124unique_dim_cuda_templateIhEESt5tupleIJNSH_6TensorESM_SM_EERKSM_lbbbEUlllE0_EEPmJS6_EEE10hipError_tPvRmT3_T4_T5_T6_T7_T9_mT8_P12ihipStream_tbDpT10_ENKUlT_T0_E_clISt17integral_constantIbLb0EES1C_EEDaS17_S18_EUlS17_E_NS1_11comp_targetILNS1_3genE5ELNS1_11target_archE942ELNS1_3gpuE9ELNS1_3repE0EEENS1_30default_config_static_selectorELNS0_4arch9wavefront6targetE1EEEvT1_,comdat
	.globl	_ZN7rocprim17ROCPRIM_400000_NS6detail17trampoline_kernelINS0_14default_configENS1_25partition_config_selectorILNS1_17partition_subalgoE8ElNS0_10empty_typeEbEEZZNS1_14partition_implILS5_8ELb0ES3_jPlPS6_PKS6_NS0_5tupleIJS9_S6_EEENSD_IJSA_SA_EEENS0_18inequality_wrapperIZN2at6native12_GLOBAL__N_124unique_dim_cuda_templateIhEESt5tupleIJNSH_6TensorESM_SM_EERKSM_lbbbEUlllE0_EEPmJS6_EEE10hipError_tPvRmT3_T4_T5_T6_T7_T9_mT8_P12ihipStream_tbDpT10_ENKUlT_T0_E_clISt17integral_constantIbLb0EES1C_EEDaS17_S18_EUlS17_E_NS1_11comp_targetILNS1_3genE5ELNS1_11target_archE942ELNS1_3gpuE9ELNS1_3repE0EEENS1_30default_config_static_selectorELNS0_4arch9wavefront6targetE1EEEvT1_ ; -- Begin function _ZN7rocprim17ROCPRIM_400000_NS6detail17trampoline_kernelINS0_14default_configENS1_25partition_config_selectorILNS1_17partition_subalgoE8ElNS0_10empty_typeEbEEZZNS1_14partition_implILS5_8ELb0ES3_jPlPS6_PKS6_NS0_5tupleIJS9_S6_EEENSD_IJSA_SA_EEENS0_18inequality_wrapperIZN2at6native12_GLOBAL__N_124unique_dim_cuda_templateIhEESt5tupleIJNSH_6TensorESM_SM_EERKSM_lbbbEUlllE0_EEPmJS6_EEE10hipError_tPvRmT3_T4_T5_T6_T7_T9_mT8_P12ihipStream_tbDpT10_ENKUlT_T0_E_clISt17integral_constantIbLb0EES1C_EEDaS17_S18_EUlS17_E_NS1_11comp_targetILNS1_3genE5ELNS1_11target_archE942ELNS1_3gpuE9ELNS1_3repE0EEENS1_30default_config_static_selectorELNS0_4arch9wavefront6targetE1EEEvT1_
	.p2align	8
	.type	_ZN7rocprim17ROCPRIM_400000_NS6detail17trampoline_kernelINS0_14default_configENS1_25partition_config_selectorILNS1_17partition_subalgoE8ElNS0_10empty_typeEbEEZZNS1_14partition_implILS5_8ELb0ES3_jPlPS6_PKS6_NS0_5tupleIJS9_S6_EEENSD_IJSA_SA_EEENS0_18inequality_wrapperIZN2at6native12_GLOBAL__N_124unique_dim_cuda_templateIhEESt5tupleIJNSH_6TensorESM_SM_EERKSM_lbbbEUlllE0_EEPmJS6_EEE10hipError_tPvRmT3_T4_T5_T6_T7_T9_mT8_P12ihipStream_tbDpT10_ENKUlT_T0_E_clISt17integral_constantIbLb0EES1C_EEDaS17_S18_EUlS17_E_NS1_11comp_targetILNS1_3genE5ELNS1_11target_archE942ELNS1_3gpuE9ELNS1_3repE0EEENS1_30default_config_static_selectorELNS0_4arch9wavefront6targetE1EEEvT1_,@function
_ZN7rocprim17ROCPRIM_400000_NS6detail17trampoline_kernelINS0_14default_configENS1_25partition_config_selectorILNS1_17partition_subalgoE8ElNS0_10empty_typeEbEEZZNS1_14partition_implILS5_8ELb0ES3_jPlPS6_PKS6_NS0_5tupleIJS9_S6_EEENSD_IJSA_SA_EEENS0_18inequality_wrapperIZN2at6native12_GLOBAL__N_124unique_dim_cuda_templateIhEESt5tupleIJNSH_6TensorESM_SM_EERKSM_lbbbEUlllE0_EEPmJS6_EEE10hipError_tPvRmT3_T4_T5_T6_T7_T9_mT8_P12ihipStream_tbDpT10_ENKUlT_T0_E_clISt17integral_constantIbLb0EES1C_EEDaS17_S18_EUlS17_E_NS1_11comp_targetILNS1_3genE5ELNS1_11target_archE942ELNS1_3gpuE9ELNS1_3repE0EEENS1_30default_config_static_selectorELNS0_4arch9wavefront6targetE1EEEvT1_: ; @_ZN7rocprim17ROCPRIM_400000_NS6detail17trampoline_kernelINS0_14default_configENS1_25partition_config_selectorILNS1_17partition_subalgoE8ElNS0_10empty_typeEbEEZZNS1_14partition_implILS5_8ELb0ES3_jPlPS6_PKS6_NS0_5tupleIJS9_S6_EEENSD_IJSA_SA_EEENS0_18inequality_wrapperIZN2at6native12_GLOBAL__N_124unique_dim_cuda_templateIhEESt5tupleIJNSH_6TensorESM_SM_EERKSM_lbbbEUlllE0_EEPmJS6_EEE10hipError_tPvRmT3_T4_T5_T6_T7_T9_mT8_P12ihipStream_tbDpT10_ENKUlT_T0_E_clISt17integral_constantIbLb0EES1C_EEDaS17_S18_EUlS17_E_NS1_11comp_targetILNS1_3genE5ELNS1_11target_archE942ELNS1_3gpuE9ELNS1_3repE0EEENS1_30default_config_static_selectorELNS0_4arch9wavefront6targetE1EEEvT1_
; %bb.0:
	s_load_dwordx8 s[20:27], s[0:1], 0x40
	s_load_dwordx4 s[4:7], s[0:1], 0x8
	s_load_dwordx4 s[28:31], s[0:1], 0x60
	s_load_dword s3, s[0:1], 0x70
	s_waitcnt lgkmcnt(0)
	v_mov_b32_e32 v2, s24
	s_lshl_b64 s[8:9], s[6:7], 3
	s_add_u32 s12, s4, s8
	s_mul_i32 s8, s3, 0xe00
	s_addc_u32 s13, s5, s9
	s_add_i32 s10, s3, -1
	s_add_i32 s3, s8, s6
	s_sub_i32 s3, s24, s3
	s_add_u32 s8, s6, s8
	s_addc_u32 s9, s7, 0
	v_mov_b32_e32 v3, s25
	s_cmp_eq_u32 s2, s10
	s_load_dwordx2 s[22:23], s[22:23], 0x0
	v_cmp_ge_u64_e32 vcc, s[8:9], v[2:3]
	s_cselect_b64 s[24:25], -1, 0
	s_mul_i32 s4, s2, 0xe00
	s_mov_b32 s5, 0
	s_and_b64 s[8:9], s[24:25], vcc
	s_xor_b64 s[34:35], s[8:9], -1
	s_lshl_b64 s[4:5], s[4:5], 3
	s_add_u32 s4, s12, s4
	s_mov_b64 s[10:11], -1
	s_addc_u32 s5, s13, s5
	s_and_b64 vcc, exec, s[34:35]
	s_cbranch_vccz .LBB163_2
; %bb.1:
	v_lshlrev_b32_e32 v2, 3, v0
	v_mov_b32_e32 v3, 0
	v_lshl_add_u64 v[4:5], s[4:5], 0, v[2:3]
	v_add_co_u32_e32 v8, vcc, 0x1000, v4
	global_load_dwordx2 v[6:7], v2, s[4:5]
	s_nop 0
	v_addc_co_u32_e32 v9, vcc, 0, v5, vcc
	v_add_co_u32_e32 v10, vcc, 0x2000, v4
	s_mov_b64 s[10:11], 0
	s_nop 0
	v_addc_co_u32_e32 v11, vcc, 0, v5, vcc
	v_add_co_u32_e32 v12, vcc, 0x3000, v4
	s_nop 1
	v_addc_co_u32_e32 v13, vcc, 0, v5, vcc
	v_add_co_u32_e32 v14, vcc, 0x4000, v4
	s_nop 1
	v_addc_co_u32_e32 v15, vcc, 0, v5, vcc
	global_load_dwordx2 v[16:17], v[8:9], off
	global_load_dwordx2 v[18:19], v[10:11], off
	;; [unrolled: 1-line block ×4, first 2 shown]
	v_add_co_u32_e32 v8, vcc, 0x5000, v4
	s_nop 1
	v_addc_co_u32_e32 v9, vcc, 0, v5, vcc
	v_add_co_u32_e32 v4, vcc, 0x6000, v4
	global_load_dwordx2 v[8:9], v[8:9], off
	s_nop 0
	v_addc_co_u32_e32 v5, vcc, 0, v5, vcc
	global_load_dwordx2 v[4:5], v[4:5], off
	s_waitcnt vmcnt(5)
	ds_write2st64_b64 v2, v[6:7], v[16:17] offset1:8
	s_waitcnt vmcnt(3)
	ds_write2st64_b64 v2, v[18:19], v[20:21] offset0:16 offset1:24
	s_waitcnt vmcnt(1)
	ds_write2st64_b64 v2, v[22:23], v[8:9] offset0:32 offset1:40
	s_waitcnt vmcnt(0)
	ds_write_b64 v2, v[4:5] offset:24576
	s_waitcnt lgkmcnt(0)
	s_barrier
.LBB163_2:
	s_andn2_b64 vcc, exec, s[10:11]
	s_addk_i32 s3, 0xe00
	s_cbranch_vccnz .LBB163_18
; %bb.3:
	v_cmp_gt_u32_e32 vcc, s3, v0
                                        ; implicit-def: $vgpr2_vgpr3_vgpr4_vgpr5_vgpr6_vgpr7_vgpr8_vgpr9_vgpr10_vgpr11_vgpr12_vgpr13_vgpr14_vgpr15_vgpr16_vgpr17
	s_and_saveexec_b64 s[10:11], vcc
	s_cbranch_execz .LBB163_5
; %bb.4:
	v_lshlrev_b32_e32 v1, 3, v0
	global_load_dwordx2 v[2:3], v1, s[4:5]
.LBB163_5:
	s_or_b64 exec, exec, s[10:11]
	v_or_b32_e32 v1, 0x200, v0
	v_cmp_gt_u32_e32 vcc, s3, v1
	s_and_saveexec_b64 s[10:11], vcc
	s_cbranch_execz .LBB163_7
; %bb.6:
	v_lshlrev_b32_e32 v1, 3, v1
	global_load_dwordx2 v[4:5], v1, s[4:5]
.LBB163_7:
	s_or_b64 exec, exec, s[10:11]
	v_or_b32_e32 v1, 0x400, v0
	v_cmp_gt_u32_e32 vcc, s3, v1
	s_and_saveexec_b64 s[10:11], vcc
	s_cbranch_execz .LBB163_9
; %bb.8:
	v_lshlrev_b32_e32 v1, 3, v1
	global_load_dwordx2 v[6:7], v1, s[4:5]
.LBB163_9:
	s_or_b64 exec, exec, s[10:11]
	v_or_b32_e32 v1, 0x600, v0
	v_cmp_gt_u32_e32 vcc, s3, v1
	s_and_saveexec_b64 s[10:11], vcc
	s_cbranch_execz .LBB163_11
; %bb.10:
	v_lshlrev_b32_e32 v1, 3, v1
	global_load_dwordx2 v[8:9], v1, s[4:5]
.LBB163_11:
	s_or_b64 exec, exec, s[10:11]
	v_or_b32_e32 v1, 0x800, v0
	v_cmp_gt_u32_e32 vcc, s3, v1
	s_and_saveexec_b64 s[10:11], vcc
	s_cbranch_execz .LBB163_13
; %bb.12:
	v_lshlrev_b32_e32 v1, 3, v1
	global_load_dwordx2 v[10:11], v1, s[4:5]
.LBB163_13:
	s_or_b64 exec, exec, s[10:11]
	v_or_b32_e32 v1, 0xa00, v0
	v_cmp_gt_u32_e32 vcc, s3, v1
	s_and_saveexec_b64 s[10:11], vcc
	s_cbranch_execz .LBB163_15
; %bb.14:
	v_lshlrev_b32_e32 v1, 3, v1
	global_load_dwordx2 v[12:13], v1, s[4:5]
.LBB163_15:
	s_or_b64 exec, exec, s[10:11]
	v_or_b32_e32 v1, 0xc00, v0
	v_cmp_gt_u32_e32 vcc, s3, v1
	s_and_saveexec_b64 s[10:11], vcc
	s_cbranch_execz .LBB163_17
; %bb.16:
	v_lshlrev_b32_e32 v1, 3, v1
	global_load_dwordx2 v[14:15], v1, s[4:5]
.LBB163_17:
	s_or_b64 exec, exec, s[10:11]
	v_lshlrev_b32_e32 v1, 3, v0
	s_waitcnt vmcnt(0)
	ds_write2st64_b64 v1, v[2:3], v[4:5] offset1:8
	ds_write2st64_b64 v1, v[6:7], v[8:9] offset0:16 offset1:24
	ds_write2st64_b64 v1, v[10:11], v[12:13] offset0:32 offset1:40
	ds_write_b64 v1, v[14:15] offset:24576
	s_waitcnt lgkmcnt(0)
	s_barrier
.LBB163_18:
	v_mul_u32_u24_e32 v1, 7, v0
	v_lshlrev_b32_e32 v22, 3, v1
	s_waitcnt lgkmcnt(0)
	ds_read2_b64 v[10:13], v22 offset1:1
	ds_read2_b64 v[6:9], v22 offset0:2 offset1:3
	ds_read2_b64 v[2:5], v22 offset0:4 offset1:5
	ds_read_b64 v[14:15], v22 offset:48
	s_cmp_lg_u32 s2, 0
	s_cselect_b64 s[16:17], -1, 0
	s_cmp_lg_u64 s[6:7], 0
	s_cselect_b64 s[6:7], -1, 0
	s_or_b64 s[6:7], s[16:17], s[6:7]
	v_mad_u32_u24 v25, v0, 7, 1
	v_mad_u32_u24 v24, v0, 7, 2
	v_mad_u32_u24 v28, v0, 7, 3
	v_mad_u32_u24 v26, v0, 7, 4
	v_mad_u32_u24 v29, v0, 7, 5
	v_mad_u32_u24 v27, v0, 7, 6
	s_mov_b64 s[10:11], 0
	s_and_b64 vcc, exec, s[6:7]
	v_cmp_gt_i64_e64 s[12:13], s[26:27], 0
	s_waitcnt lgkmcnt(0)
	s_barrier
	s_cbranch_vccz .LBB163_27
; %bb.19:
	s_add_u32 s4, s4, -8
	s_addc_u32 s5, s5, -1
	s_load_dwordx2 s[6:7], s[4:5], 0x0
	v_cndmask_b32_e64 v16, 0, 1, s[12:13]
	v_lshlrev_b32_e32 v23, 3, v0
	s_and_b64 vcc, exec, s[34:35]
	v_cmp_ne_u32_e64 s[4:5], 1, v16
	ds_write_b64 v23, v[14:15]
	s_cbranch_vccz .LBB163_29
; %bb.20:
	v_mul_lo_u32 v18, v5, s26
	v_mul_lo_u32 v19, v4, s27
	v_mad_u64_u32 v[16:17], s[12:13], v4, s26, 0
	v_add3_u32 v17, v17, v19, v18
	s_and_b64 vcc, exec, s[4:5]
	v_lshl_add_u64 v[16:17], s[28:29], 0, v[16:17]
	s_cbranch_vccnz .LBB163_32
; %bb.21:
	v_mov_b64_e32 v[18:19], s[28:29]
	v_mad_u64_u32 v[18:19], s[10:11], v14, s26, v[18:19]
	v_mul_lo_u32 v20, v14, s27
	v_mul_lo_u32 v21, v15, s26
	v_add3_u32 v19, v21, v19, v20
	global_load_ubyte v20, v[16:17], off
	global_load_ubyte v21, v[18:19], off
	s_mov_b64 s[10:11], -1
	s_waitcnt vmcnt(0)
	v_cmp_eq_u16_e32 vcc, v20, v21
	s_and_saveexec_b64 s[12:13], vcc
	s_cbranch_execz .LBB163_31
; %bb.22:
	s_mov_b64 s[18:19], 1
	s_mov_b64 s[10:11], 0
                                        ; implicit-def: $sgpr14_sgpr15
	s_branch .LBB163_25
.LBB163_23:                             ;   in Loop: Header=BB163_25 Depth=1
	v_lshl_add_u64 v[20:21], v[16:17], 0, s[18:19]
	v_lshl_add_u64 v[30:31], v[18:19], 0, s[18:19]
	global_load_ubyte v32, v[20:21], off
	global_load_ubyte v33, v[30:31], off
	s_add_u32 s36, s18, 1
	s_addc_u32 s37, s19, 0
	s_andn2_b64 s[14:15], s[14:15], exec
	s_waitcnt vmcnt(0)
	v_cmp_ne_u16_e32 vcc, v32, v33
	s_and_b64 s[38:39], vcc, exec
	s_or_b64 s[14:15], s[14:15], s[38:39]
.LBB163_24:                             ;   in Loop: Header=BB163_25 Depth=1
	s_and_b64 s[38:39], exec, s[14:15]
	s_or_b64 s[10:11], s[38:39], s[10:11]
	v_mov_b64_e32 v[20:21], s[18:19]
	s_mov_b64 s[18:19], s[36:37]
	s_andn2_b64 exec, exec, s[10:11]
	s_cbranch_execz .LBB163_30
.LBB163_25:                             ; =>This Inner Loop Header: Depth=1
	s_or_b64 s[14:15], s[14:15], exec
	s_cmp_eq_u64 s[26:27], s[18:19]
	s_cbranch_scc0 .LBB163_23
; %bb.26:                               ;   in Loop: Header=BB163_25 Depth=1
                                        ; implicit-def: $sgpr36_sgpr37
	s_mov_b64 s[18:19], s[26:27]
	s_branch .LBB163_24
.LBB163_27:
                                        ; implicit-def: $sgpr18_sgpr19
                                        ; implicit-def: $vgpr33
                                        ; implicit-def: $vgpr32
                                        ; implicit-def: $vgpr31
                                        ; implicit-def: $vgpr20
	s_branch .LBB163_170
.LBB163_28:
                                        ; implicit-def: $vgpr16_vgpr17
	s_branch .LBB163_318
.LBB163_29:
                                        ; implicit-def: $sgpr18_sgpr19
                                        ; implicit-def: $vgpr33
                                        ; implicit-def: $vgpr32
                                        ; implicit-def: $vgpr31
                                        ; implicit-def: $vgpr20
	s_cbranch_execnz .LBB163_89
	s_branch .LBB163_169
.LBB163_30:
	s_or_b64 exec, exec, s[10:11]
	v_cmp_gt_i64_e32 vcc, s[26:27], v[20:21]
	s_orn2_b64 s[10:11], vcc, exec
.LBB163_31:
	s_or_b64 exec, exec, s[12:13]
.LBB163_32:
	v_mul_lo_u32 v20, v3, s26
	v_mul_lo_u32 v21, v2, s27
	v_mad_u64_u32 v[18:19], s[12:13], v2, s26, 0
	v_add3_u32 v19, v19, v21, v20
	s_mov_b64 s[12:13], 0
	s_and_b64 vcc, exec, s[4:5]
	v_lshl_add_u64 v[18:19], s[28:29], 0, v[18:19]
	s_mov_b64 s[14:15], 0
	s_cbranch_vccnz .LBB163_41
; %bb.33:
	global_load_ubyte v20, v[18:19], off
	global_load_ubyte v21, v[16:17], off
	s_mov_b64 s[14:15], -1
	s_waitcnt vmcnt(0)
	v_cmp_eq_u16_e32 vcc, v20, v21
	s_and_saveexec_b64 s[18:19], vcc
	s_cbranch_execz .LBB163_40
; %bb.34:
	s_mov_b64 s[38:39], 1
	s_mov_b64 s[14:15], 0
                                        ; implicit-def: $sgpr36_sgpr37
	s_branch .LBB163_37
.LBB163_35:                             ;   in Loop: Header=BB163_37 Depth=1
	v_lshl_add_u64 v[20:21], v[18:19], 0, s[38:39]
	v_lshl_add_u64 v[30:31], v[16:17], 0, s[38:39]
	global_load_ubyte v32, v[20:21], off
	global_load_ubyte v33, v[30:31], off
	s_add_u32 s40, s38, 1
	s_addc_u32 s41, s39, 0
	s_andn2_b64 s[36:37], s[36:37], exec
	s_waitcnt vmcnt(0)
	v_cmp_ne_u16_e32 vcc, v32, v33
	s_and_b64 s[42:43], vcc, exec
	s_or_b64 s[36:37], s[36:37], s[42:43]
.LBB163_36:                             ;   in Loop: Header=BB163_37 Depth=1
	s_and_b64 s[42:43], exec, s[36:37]
	s_or_b64 s[14:15], s[42:43], s[14:15]
	v_mov_b64_e32 v[20:21], s[38:39]
	s_mov_b64 s[38:39], s[40:41]
	s_andn2_b64 exec, exec, s[14:15]
	s_cbranch_execz .LBB163_39
.LBB163_37:                             ; =>This Inner Loop Header: Depth=1
	s_or_b64 s[36:37], s[36:37], exec
	s_cmp_eq_u64 s[26:27], s[38:39]
	s_cbranch_scc0 .LBB163_35
; %bb.38:                               ;   in Loop: Header=BB163_37 Depth=1
                                        ; implicit-def: $sgpr40_sgpr41
	s_mov_b64 s[38:39], s[26:27]
	s_branch .LBB163_36
.LBB163_39:
	s_or_b64 exec, exec, s[14:15]
	v_cmp_gt_i64_e32 vcc, s[26:27], v[20:21]
	s_orn2_b64 s[14:15], vcc, exec
.LBB163_40:
	s_or_b64 exec, exec, s[18:19]
.LBB163_41:
	v_mul_lo_u32 v20, v9, s26
	v_mul_lo_u32 v21, v8, s27
	v_mad_u64_u32 v[16:17], s[18:19], v8, s26, 0
	v_add3_u32 v17, v17, v21, v20
	s_and_b64 vcc, exec, s[4:5]
	v_lshl_add_u64 v[16:17], s[28:29], 0, v[16:17]
	s_cbranch_vccnz .LBB163_50
; %bb.42:
	global_load_ubyte v20, v[16:17], off
	global_load_ubyte v21, v[18:19], off
	s_mov_b64 s[12:13], -1
	s_waitcnt vmcnt(0)
	v_cmp_eq_u16_e32 vcc, v20, v21
	s_and_saveexec_b64 s[18:19], vcc
	s_cbranch_execz .LBB163_49
; %bb.43:
	s_mov_b64 s[38:39], 1
	s_mov_b64 s[12:13], 0
                                        ; implicit-def: $sgpr36_sgpr37
	s_branch .LBB163_46
.LBB163_44:                             ;   in Loop: Header=BB163_46 Depth=1
	v_lshl_add_u64 v[20:21], v[16:17], 0, s[38:39]
	v_lshl_add_u64 v[30:31], v[18:19], 0, s[38:39]
	global_load_ubyte v32, v[20:21], off
	global_load_ubyte v33, v[30:31], off
	s_add_u32 s40, s38, 1
	s_addc_u32 s41, s39, 0
	s_andn2_b64 s[36:37], s[36:37], exec
	s_waitcnt vmcnt(0)
	v_cmp_ne_u16_e32 vcc, v32, v33
	s_and_b64 s[42:43], vcc, exec
	s_or_b64 s[36:37], s[36:37], s[42:43]
.LBB163_45:                             ;   in Loop: Header=BB163_46 Depth=1
	s_and_b64 s[42:43], exec, s[36:37]
	s_or_b64 s[12:13], s[42:43], s[12:13]
	v_mov_b64_e32 v[20:21], s[38:39]
	s_mov_b64 s[38:39], s[40:41]
	s_andn2_b64 exec, exec, s[12:13]
	s_cbranch_execz .LBB163_48
.LBB163_46:                             ; =>This Inner Loop Header: Depth=1
	s_or_b64 s[36:37], s[36:37], exec
	s_cmp_eq_u64 s[26:27], s[38:39]
	s_cbranch_scc0 .LBB163_44
; %bb.47:                               ;   in Loop: Header=BB163_46 Depth=1
                                        ; implicit-def: $sgpr40_sgpr41
	s_mov_b64 s[38:39], s[26:27]
	s_branch .LBB163_45
.LBB163_48:
	s_or_b64 exec, exec, s[12:13]
	v_cmp_gt_i64_e32 vcc, s[26:27], v[20:21]
	s_orn2_b64 s[12:13], vcc, exec
.LBB163_49:
	s_or_b64 exec, exec, s[18:19]
.LBB163_50:
	v_mul_lo_u32 v20, v7, s26
	v_mul_lo_u32 v21, v6, s27
	v_mad_u64_u32 v[18:19], s[18:19], v6, s26, 0
	v_add3_u32 v19, v19, v21, v20
	s_mov_b64 s[18:19], 0
	s_and_b64 vcc, exec, s[4:5]
	v_lshl_add_u64 v[20:21], s[28:29], 0, v[18:19]
	s_mov_b64 s[36:37], 0
	s_cbranch_vccnz .LBB163_59
; %bb.51:
	global_load_ubyte v18, v[20:21], off
	global_load_ubyte v19, v[16:17], off
	s_mov_b64 s[36:37], -1
	s_waitcnt vmcnt(0)
	v_cmp_eq_u16_e32 vcc, v18, v19
	s_and_saveexec_b64 s[38:39], vcc
	s_cbranch_execz .LBB163_58
; %bb.52:
	s_mov_b64 s[42:43], 1
	s_mov_b64 s[36:37], 0
                                        ; implicit-def: $sgpr40_sgpr41
	s_branch .LBB163_55
.LBB163_53:                             ;   in Loop: Header=BB163_55 Depth=1
	v_lshl_add_u64 v[18:19], v[20:21], 0, s[42:43]
	v_lshl_add_u64 v[30:31], v[16:17], 0, s[42:43]
	global_load_ubyte v32, v[18:19], off
	global_load_ubyte v33, v[30:31], off
	s_add_u32 s44, s42, 1
	s_addc_u32 s45, s43, 0
	s_andn2_b64 s[40:41], s[40:41], exec
	s_waitcnt vmcnt(0)
	v_cmp_ne_u16_e32 vcc, v32, v33
	s_and_b64 s[46:47], vcc, exec
	s_or_b64 s[40:41], s[40:41], s[46:47]
.LBB163_54:                             ;   in Loop: Header=BB163_55 Depth=1
	s_and_b64 s[46:47], exec, s[40:41]
	s_or_b64 s[36:37], s[46:47], s[36:37]
	v_mov_b64_e32 v[18:19], s[42:43]
	s_mov_b64 s[42:43], s[44:45]
	s_andn2_b64 exec, exec, s[36:37]
	s_cbranch_execz .LBB163_57
.LBB163_55:                             ; =>This Inner Loop Header: Depth=1
	s_or_b64 s[40:41], s[40:41], exec
	s_cmp_eq_u64 s[26:27], s[42:43]
	s_cbranch_scc0 .LBB163_53
; %bb.56:                               ;   in Loop: Header=BB163_55 Depth=1
                                        ; implicit-def: $sgpr44_sgpr45
	s_mov_b64 s[42:43], s[26:27]
	s_branch .LBB163_54
.LBB163_57:
	s_or_b64 exec, exec, s[36:37]
	v_cmp_gt_i64_e32 vcc, s[26:27], v[18:19]
	s_orn2_b64 s[36:37], vcc, exec
.LBB163_58:
	s_or_b64 exec, exec, s[38:39]
.LBB163_59:
	v_mul_lo_u32 v18, v13, s26
	v_mul_lo_u32 v19, v12, s27
	v_mad_u64_u32 v[16:17], s[38:39], v12, s26, 0
	v_add3_u32 v17, v17, v19, v18
	s_and_b64 vcc, exec, s[4:5]
	v_lshl_add_u64 v[18:19], s[28:29], 0, v[16:17]
	s_cbranch_vccnz .LBB163_68
; %bb.60:
	global_load_ubyte v16, v[18:19], off
	global_load_ubyte v17, v[20:21], off
	s_mov_b64 s[18:19], -1
	s_waitcnt vmcnt(0)
	v_cmp_eq_u16_e32 vcc, v16, v17
	s_and_saveexec_b64 s[38:39], vcc
	s_cbranch_execz .LBB163_67
; %bb.61:
	s_mov_b64 s[42:43], 1
	s_mov_b64 s[18:19], 0
                                        ; implicit-def: $sgpr40_sgpr41
	s_branch .LBB163_64
.LBB163_62:                             ;   in Loop: Header=BB163_64 Depth=1
	v_lshl_add_u64 v[16:17], v[18:19], 0, s[42:43]
	v_lshl_add_u64 v[30:31], v[20:21], 0, s[42:43]
	global_load_ubyte v32, v[16:17], off
	global_load_ubyte v33, v[30:31], off
	s_add_u32 s44, s42, 1
	s_addc_u32 s45, s43, 0
	s_andn2_b64 s[40:41], s[40:41], exec
	s_waitcnt vmcnt(0)
	v_cmp_ne_u16_e32 vcc, v32, v33
	s_and_b64 s[46:47], vcc, exec
	s_or_b64 s[40:41], s[40:41], s[46:47]
.LBB163_63:                             ;   in Loop: Header=BB163_64 Depth=1
	s_and_b64 s[46:47], exec, s[40:41]
	s_or_b64 s[18:19], s[46:47], s[18:19]
	v_mov_b64_e32 v[16:17], s[42:43]
	s_mov_b64 s[42:43], s[44:45]
	s_andn2_b64 exec, exec, s[18:19]
	s_cbranch_execz .LBB163_66
.LBB163_64:                             ; =>This Inner Loop Header: Depth=1
	s_or_b64 s[40:41], s[40:41], exec
	s_cmp_eq_u64 s[26:27], s[42:43]
	s_cbranch_scc0 .LBB163_62
; %bb.65:                               ;   in Loop: Header=BB163_64 Depth=1
                                        ; implicit-def: $sgpr44_sgpr45
	s_mov_b64 s[42:43], s[26:27]
	s_branch .LBB163_63
.LBB163_66:
	s_or_b64 exec, exec, s[18:19]
	v_cmp_gt_i64_e32 vcc, s[26:27], v[16:17]
	s_orn2_b64 s[18:19], vcc, exec
.LBB163_67:
	s_or_b64 exec, exec, s[38:39]
.LBB163_68:
	v_mul_lo_u32 v20, v11, s26
	v_mul_lo_u32 v21, v10, s27
	v_mad_u64_u32 v[16:17], s[38:39], v10, s26, 0
	v_add3_u32 v17, v17, v21, v20
	s_mov_b64 s[40:41], 0
	s_and_b64 vcc, exec, s[4:5]
	v_lshl_add_u64 v[16:17], s[28:29], 0, v[16:17]
	s_cbranch_vccnz .LBB163_77
; %bb.69:
	global_load_ubyte v20, v[16:17], off
	global_load_ubyte v21, v[18:19], off
	s_mov_b64 s[40:41], -1
	s_waitcnt vmcnt(0)
	v_cmp_eq_u16_e32 vcc, v20, v21
	s_and_saveexec_b64 s[38:39], vcc
	s_cbranch_execz .LBB163_76
; %bb.70:
	s_mov_b64 s[44:45], 1
	s_mov_b64 s[40:41], 0
                                        ; implicit-def: $sgpr42_sgpr43
	s_branch .LBB163_73
.LBB163_71:                             ;   in Loop: Header=BB163_73 Depth=1
	v_lshl_add_u64 v[20:21], v[16:17], 0, s[44:45]
	v_lshl_add_u64 v[30:31], v[18:19], 0, s[44:45]
	global_load_ubyte v32, v[20:21], off
	global_load_ubyte v33, v[30:31], off
	s_add_u32 s46, s44, 1
	s_addc_u32 s47, s45, 0
	s_andn2_b64 s[42:43], s[42:43], exec
	s_waitcnt vmcnt(0)
	v_cmp_ne_u16_e32 vcc, v32, v33
	s_and_b64 s[48:49], vcc, exec
	s_or_b64 s[42:43], s[42:43], s[48:49]
.LBB163_72:                             ;   in Loop: Header=BB163_73 Depth=1
	s_and_b64 s[48:49], exec, s[42:43]
	s_or_b64 s[40:41], s[48:49], s[40:41]
	v_mov_b64_e32 v[20:21], s[44:45]
	s_mov_b64 s[44:45], s[46:47]
	s_andn2_b64 exec, exec, s[40:41]
	s_cbranch_execz .LBB163_75
.LBB163_73:                             ; =>This Inner Loop Header: Depth=1
	s_or_b64 s[42:43], s[42:43], exec
	s_cmp_eq_u64 s[26:27], s[44:45]
	s_cbranch_scc0 .LBB163_71
; %bb.74:                               ;   in Loop: Header=BB163_73 Depth=1
                                        ; implicit-def: $sgpr46_sgpr47
	s_mov_b64 s[44:45], s[26:27]
	s_branch .LBB163_72
.LBB163_75:
	s_or_b64 exec, exec, s[40:41]
	v_cmp_gt_i64_e32 vcc, s[26:27], v[20:21]
	s_orn2_b64 s[40:41], vcc, exec
.LBB163_76:
	s_or_b64 exec, exec, s[38:39]
.LBB163_77:
	v_cmp_ne_u32_e32 vcc, 0, v0
	s_waitcnt lgkmcnt(0)
	v_mov_b64_e32 v[20:21], s[6:7]
	s_barrier
	s_and_saveexec_b64 s[38:39], vcc
	s_cbranch_execz .LBB163_79
; %bb.78:
	v_add_u32_e32 v18, -8, v23
	ds_read_b64 v[20:21], v18
.LBB163_79:
	s_or_b64 exec, exec, s[38:39]
	v_cndmask_b32_e64 v19, 0, 1, s[36:37]
	v_cndmask_b32_e64 v18, 0, 1, s[18:19]
	;; [unrolled: 1-line block ×3, first 2 shown]
	v_lshlrev_b16_e32 v19, 8, v19
	v_lshlrev_b16_e32 v30, 8, v30
	v_or_b32_sdwa v34, v18, v19 dst_sel:WORD_1 dst_unused:UNUSED_PAD src0_sel:DWORD src1_sel:DWORD
	s_mov_b64 s[36:37], 0
	s_and_b64 vcc, exec, s[4:5]
	s_mov_b64 s[18:19], 0
	s_cbranch_vccnz .LBB163_88
; %bb.80:
	v_mov_b64_e32 v[18:19], s[28:29]
	s_waitcnt lgkmcnt(0)
	v_mad_u64_u32 v[18:19], s[18:19], v20, s26, v[18:19]
	v_mul_lo_u32 v20, v20, s27
	v_mul_lo_u32 v21, v21, s26
	v_add3_u32 v19, v21, v19, v20
	global_load_ubyte v20, v[18:19], off
	global_load_ubyte v21, v[16:17], off
	s_mov_b64 s[18:19], -1
	s_waitcnt vmcnt(0)
	v_cmp_eq_u16_e32 vcc, v20, v21
	s_and_saveexec_b64 s[38:39], vcc
	s_cbranch_execz .LBB163_87
; %bb.81:
	s_mov_b64 s[42:43], 1
	s_mov_b64 s[18:19], 0
                                        ; implicit-def: $sgpr40_sgpr41
	s_branch .LBB163_84
.LBB163_82:                             ;   in Loop: Header=BB163_84 Depth=1
	v_lshl_add_u64 v[20:21], v[18:19], 0, s[42:43]
	v_lshl_add_u64 v[32:33], v[16:17], 0, s[42:43]
	global_load_ubyte v31, v[20:21], off
	global_load_ubyte v35, v[32:33], off
	s_add_u32 s44, s42, 1
	s_addc_u32 s45, s43, 0
	s_andn2_b64 s[40:41], s[40:41], exec
	s_waitcnt vmcnt(0)
	v_cmp_ne_u16_e32 vcc, v31, v35
	s_and_b64 s[46:47], vcc, exec
	s_or_b64 s[40:41], s[40:41], s[46:47]
.LBB163_83:                             ;   in Loop: Header=BB163_84 Depth=1
	s_and_b64 s[46:47], exec, s[40:41]
	s_or_b64 s[18:19], s[46:47], s[18:19]
	v_mov_b64_e32 v[20:21], s[42:43]
	s_mov_b64 s[42:43], s[44:45]
	s_andn2_b64 exec, exec, s[18:19]
	s_cbranch_execz .LBB163_86
.LBB163_84:                             ; =>This Inner Loop Header: Depth=1
	s_or_b64 s[40:41], s[40:41], exec
	s_cmp_eq_u64 s[26:27], s[42:43]
	s_cbranch_scc0 .LBB163_82
; %bb.85:                               ;   in Loop: Header=BB163_84 Depth=1
                                        ; implicit-def: $sgpr44_sgpr45
	s_mov_b64 s[42:43], s[26:27]
	s_branch .LBB163_83
.LBB163_86:
	s_or_b64 exec, exec, s[18:19]
	v_cmp_gt_i64_e32 vcc, s[26:27], v[20:21]
	s_orn2_b64 s[18:19], vcc, exec
.LBB163_87:
	s_or_b64 exec, exec, s[38:39]
.LBB163_88:
	v_cndmask_b32_e64 v31, 0, 1, s[12:13]
	v_cndmask_b32_e64 v32, 0, 1, s[14:15]
	;; [unrolled: 1-line block ×3, first 2 shown]
	s_waitcnt lgkmcnt(0)
	v_or_b32_e32 v20, v30, v34
	s_and_b64 vcc, exec, s[36:37]
	s_cbranch_vccz .LBB163_169
.LBB163_89:
	v_cmp_gt_u32_e32 vcc, s3, v27
	s_mov_b64 s[12:13], 0
	s_mov_b64 s[10:11], 0
	s_and_saveexec_b64 s[14:15], vcc
	s_cbranch_execz .LBB163_100
; %bb.90:
	s_and_b64 vcc, exec, s[4:5]
	s_mov_b64 s[18:19], 0
	s_cbranch_vccnz .LBB163_99
; %bb.91:
	v_mov_b64_e32 v[18:19], s[28:29]
	v_mad_u64_u32 v[16:17], s[10:11], v4, s26, v[18:19]
	v_mul_lo_u32 v20, v4, s27
	v_mul_lo_u32 v21, v5, s26
	v_add3_u32 v17, v21, v17, v20
	v_mad_u64_u32 v[18:19], s[10:11], v14, s26, v[18:19]
	v_mul_lo_u32 v20, v14, s27
	v_mul_lo_u32 v21, v15, s26
	v_add3_u32 v19, v21, v19, v20
	global_load_ubyte v20, v[16:17], off
	global_load_ubyte v21, v[18:19], off
	s_mov_b64 s[18:19], -1
	s_waitcnt vmcnt(0)
	v_cmp_eq_u16_e32 vcc, v20, v21
	s_and_saveexec_b64 s[10:11], vcc
	s_cbranch_execz .LBB163_98
; %bb.92:
	s_mov_b64 s[38:39], 1
	s_mov_b64 s[18:19], 0
                                        ; implicit-def: $sgpr36_sgpr37
	s_branch .LBB163_95
.LBB163_93:                             ;   in Loop: Header=BB163_95 Depth=1
	v_lshl_add_u64 v[20:21], v[16:17], 0, s[38:39]
	v_lshl_add_u64 v[30:31], v[18:19], 0, s[38:39]
	global_load_ubyte v32, v[20:21], off
	global_load_ubyte v33, v[30:31], off
	s_add_u32 s40, s38, 1
	s_addc_u32 s41, s39, 0
	s_andn2_b64 s[36:37], s[36:37], exec
	s_waitcnt vmcnt(0)
	v_cmp_ne_u16_e32 vcc, v32, v33
	s_and_b64 s[42:43], vcc, exec
	s_or_b64 s[36:37], s[36:37], s[42:43]
.LBB163_94:                             ;   in Loop: Header=BB163_95 Depth=1
	s_and_b64 s[42:43], exec, s[36:37]
	s_or_b64 s[18:19], s[42:43], s[18:19]
	v_mov_b64_e32 v[20:21], s[38:39]
	s_mov_b64 s[38:39], s[40:41]
	s_andn2_b64 exec, exec, s[18:19]
	s_cbranch_execz .LBB163_97
.LBB163_95:                             ; =>This Inner Loop Header: Depth=1
	s_or_b64 s[36:37], s[36:37], exec
	s_cmp_eq_u64 s[26:27], s[38:39]
	s_cbranch_scc0 .LBB163_93
; %bb.96:                               ;   in Loop: Header=BB163_95 Depth=1
                                        ; implicit-def: $sgpr40_sgpr41
	s_mov_b64 s[38:39], s[26:27]
	s_branch .LBB163_94
.LBB163_97:
	s_or_b64 exec, exec, s[18:19]
	v_cmp_gt_i64_e32 vcc, s[26:27], v[20:21]
	s_orn2_b64 s[18:19], vcc, exec
.LBB163_98:
	s_or_b64 exec, exec, s[10:11]
.LBB163_99:
	s_and_b64 s[10:11], s[18:19], exec
.LBB163_100:
	s_or_b64 exec, exec, s[14:15]
	v_cmp_gt_u32_e32 vcc, s3, v29
	s_and_saveexec_b64 s[14:15], vcc
	s_cbranch_execz .LBB163_111
; %bb.101:
	s_and_b64 vcc, exec, s[4:5]
	s_mov_b64 s[18:19], 0
	s_cbranch_vccnz .LBB163_110
; %bb.102:
	v_mov_b64_e32 v[18:19], s[28:29]
	v_mad_u64_u32 v[16:17], s[12:13], v2, s26, v[18:19]
	v_mul_lo_u32 v20, v2, s27
	v_mul_lo_u32 v21, v3, s26
	v_add3_u32 v17, v21, v17, v20
	v_mad_u64_u32 v[18:19], s[12:13], v4, s26, v[18:19]
	v_mul_lo_u32 v20, v4, s27
	v_mul_lo_u32 v21, v5, s26
	v_add3_u32 v19, v21, v19, v20
	global_load_ubyte v20, v[16:17], off
	global_load_ubyte v21, v[18:19], off
	s_mov_b64 s[18:19], -1
	s_waitcnt vmcnt(0)
	v_cmp_eq_u16_e32 vcc, v20, v21
	s_and_saveexec_b64 s[12:13], vcc
	s_cbranch_execz .LBB163_109
; %bb.103:
	s_mov_b64 s[38:39], 1
	s_mov_b64 s[18:19], 0
                                        ; implicit-def: $sgpr36_sgpr37
	s_branch .LBB163_106
.LBB163_104:                            ;   in Loop: Header=BB163_106 Depth=1
	v_lshl_add_u64 v[20:21], v[16:17], 0, s[38:39]
	v_lshl_add_u64 v[30:31], v[18:19], 0, s[38:39]
	global_load_ubyte v32, v[20:21], off
	global_load_ubyte v33, v[30:31], off
	s_add_u32 s40, s38, 1
	s_addc_u32 s41, s39, 0
	s_andn2_b64 s[36:37], s[36:37], exec
	s_waitcnt vmcnt(0)
	v_cmp_ne_u16_e32 vcc, v32, v33
	s_and_b64 s[42:43], vcc, exec
	s_or_b64 s[36:37], s[36:37], s[42:43]
.LBB163_105:                            ;   in Loop: Header=BB163_106 Depth=1
	s_and_b64 s[42:43], exec, s[36:37]
	s_or_b64 s[18:19], s[42:43], s[18:19]
	v_mov_b64_e32 v[20:21], s[38:39]
	s_mov_b64 s[38:39], s[40:41]
	s_andn2_b64 exec, exec, s[18:19]
	s_cbranch_execz .LBB163_108
.LBB163_106:                            ; =>This Inner Loop Header: Depth=1
	s_or_b64 s[36:37], s[36:37], exec
	s_cmp_eq_u64 s[26:27], s[38:39]
	s_cbranch_scc0 .LBB163_104
; %bb.107:                              ;   in Loop: Header=BB163_106 Depth=1
                                        ; implicit-def: $sgpr40_sgpr41
	s_mov_b64 s[38:39], s[26:27]
	s_branch .LBB163_105
.LBB163_108:
	s_or_b64 exec, exec, s[18:19]
	v_cmp_gt_i64_e32 vcc, s[26:27], v[20:21]
	s_orn2_b64 s[18:19], vcc, exec
.LBB163_109:
	s_or_b64 exec, exec, s[12:13]
.LBB163_110:
	s_and_b64 s[12:13], s[18:19], exec
.LBB163_111:
	s_or_b64 exec, exec, s[14:15]
	v_cmp_gt_u32_e32 vcc, s3, v26
	s_mov_b64 s[18:19], 0
	s_mov_b64 s[14:15], 0
	s_and_saveexec_b64 s[36:37], vcc
	s_cbranch_execz .LBB163_122
; %bb.112:
	s_and_b64 vcc, exec, s[4:5]
	s_mov_b64 s[38:39], 0
	s_cbranch_vccnz .LBB163_121
; %bb.113:
	v_mov_b64_e32 v[18:19], s[28:29]
	v_mad_u64_u32 v[16:17], s[14:15], v8, s26, v[18:19]
	v_mul_lo_u32 v20, v8, s27
	v_mul_lo_u32 v21, v9, s26
	v_add3_u32 v17, v21, v17, v20
	v_mad_u64_u32 v[18:19], s[14:15], v2, s26, v[18:19]
	v_mul_lo_u32 v20, v2, s27
	v_mul_lo_u32 v21, v3, s26
	v_add3_u32 v19, v21, v19, v20
	global_load_ubyte v20, v[16:17], off
	global_load_ubyte v21, v[18:19], off
	s_mov_b64 s[38:39], -1
	s_waitcnt vmcnt(0)
	v_cmp_eq_u16_e32 vcc, v20, v21
	s_and_saveexec_b64 s[14:15], vcc
	s_cbranch_execz .LBB163_120
; %bb.114:
	s_mov_b64 s[42:43], 1
	s_mov_b64 s[38:39], 0
                                        ; implicit-def: $sgpr40_sgpr41
	s_branch .LBB163_117
.LBB163_115:                            ;   in Loop: Header=BB163_117 Depth=1
	v_lshl_add_u64 v[20:21], v[16:17], 0, s[42:43]
	v_lshl_add_u64 v[30:31], v[18:19], 0, s[42:43]
	global_load_ubyte v32, v[20:21], off
	global_load_ubyte v33, v[30:31], off
	s_add_u32 s44, s42, 1
	s_addc_u32 s45, s43, 0
	s_andn2_b64 s[40:41], s[40:41], exec
	s_waitcnt vmcnt(0)
	v_cmp_ne_u16_e32 vcc, v32, v33
	s_and_b64 s[46:47], vcc, exec
	s_or_b64 s[40:41], s[40:41], s[46:47]
.LBB163_116:                            ;   in Loop: Header=BB163_117 Depth=1
	s_and_b64 s[46:47], exec, s[40:41]
	s_or_b64 s[38:39], s[46:47], s[38:39]
	v_mov_b64_e32 v[20:21], s[42:43]
	s_mov_b64 s[42:43], s[44:45]
	s_andn2_b64 exec, exec, s[38:39]
	s_cbranch_execz .LBB163_119
.LBB163_117:                            ; =>This Inner Loop Header: Depth=1
	s_or_b64 s[40:41], s[40:41], exec
	s_cmp_eq_u64 s[26:27], s[42:43]
	s_cbranch_scc0 .LBB163_115
; %bb.118:                              ;   in Loop: Header=BB163_117 Depth=1
                                        ; implicit-def: $sgpr44_sgpr45
	s_mov_b64 s[42:43], s[26:27]
	s_branch .LBB163_116
.LBB163_119:
	s_or_b64 exec, exec, s[38:39]
	v_cmp_gt_i64_e32 vcc, s[26:27], v[20:21]
	s_orn2_b64 s[38:39], vcc, exec
.LBB163_120:
	s_or_b64 exec, exec, s[14:15]
.LBB163_121:
	s_and_b64 s[14:15], s[38:39], exec
.LBB163_122:
	s_or_b64 exec, exec, s[36:37]
	v_cmp_gt_u32_e32 vcc, s3, v28
	s_and_saveexec_b64 s[36:37], vcc
	s_cbranch_execz .LBB163_133
; %bb.123:
	s_and_b64 vcc, exec, s[4:5]
	s_mov_b64 s[38:39], 0
	s_cbranch_vccnz .LBB163_132
; %bb.124:
	v_mov_b64_e32 v[18:19], s[28:29]
	v_mad_u64_u32 v[16:17], s[18:19], v6, s26, v[18:19]
	v_mul_lo_u32 v20, v6, s27
	v_mul_lo_u32 v21, v7, s26
	v_add3_u32 v17, v21, v17, v20
	v_mad_u64_u32 v[18:19], s[18:19], v8, s26, v[18:19]
	v_mul_lo_u32 v20, v8, s27
	v_mul_lo_u32 v21, v9, s26
	v_add3_u32 v19, v21, v19, v20
	global_load_ubyte v20, v[16:17], off
	global_load_ubyte v21, v[18:19], off
	s_mov_b64 s[38:39], -1
	s_waitcnt vmcnt(0)
	v_cmp_eq_u16_e32 vcc, v20, v21
	s_and_saveexec_b64 s[18:19], vcc
	s_cbranch_execz .LBB163_131
; %bb.125:
	s_mov_b64 s[42:43], 1
	s_mov_b64 s[38:39], 0
                                        ; implicit-def: $sgpr40_sgpr41
	s_branch .LBB163_128
.LBB163_126:                            ;   in Loop: Header=BB163_128 Depth=1
	v_lshl_add_u64 v[20:21], v[16:17], 0, s[42:43]
	v_lshl_add_u64 v[30:31], v[18:19], 0, s[42:43]
	global_load_ubyte v32, v[20:21], off
	global_load_ubyte v33, v[30:31], off
	s_add_u32 s44, s42, 1
	s_addc_u32 s45, s43, 0
	s_andn2_b64 s[40:41], s[40:41], exec
	s_waitcnt vmcnt(0)
	v_cmp_ne_u16_e32 vcc, v32, v33
	s_and_b64 s[46:47], vcc, exec
	s_or_b64 s[40:41], s[40:41], s[46:47]
.LBB163_127:                            ;   in Loop: Header=BB163_128 Depth=1
	s_and_b64 s[46:47], exec, s[40:41]
	s_or_b64 s[38:39], s[46:47], s[38:39]
	v_mov_b64_e32 v[20:21], s[42:43]
	s_mov_b64 s[42:43], s[44:45]
	s_andn2_b64 exec, exec, s[38:39]
	s_cbranch_execz .LBB163_130
.LBB163_128:                            ; =>This Inner Loop Header: Depth=1
	s_or_b64 s[40:41], s[40:41], exec
	s_cmp_eq_u64 s[26:27], s[42:43]
	s_cbranch_scc0 .LBB163_126
; %bb.129:                              ;   in Loop: Header=BB163_128 Depth=1
                                        ; implicit-def: $sgpr44_sgpr45
	s_mov_b64 s[42:43], s[26:27]
	s_branch .LBB163_127
.LBB163_130:
	s_or_b64 exec, exec, s[38:39]
	v_cmp_gt_i64_e32 vcc, s[26:27], v[20:21]
	s_orn2_b64 s[38:39], vcc, exec
.LBB163_131:
	s_or_b64 exec, exec, s[18:19]
.LBB163_132:
	s_and_b64 s[18:19], s[38:39], exec
.LBB163_133:
	s_or_b64 exec, exec, s[36:37]
	v_cmp_gt_u32_e32 vcc, s3, v24
	s_mov_b64 s[36:37], 0
	s_mov_b64 s[38:39], 0
	s_and_saveexec_b64 s[40:41], vcc
	s_cbranch_execz .LBB163_144
; %bb.134:
	s_and_b64 vcc, exec, s[4:5]
	s_mov_b64 s[42:43], 0
	s_cbranch_vccnz .LBB163_143
; %bb.135:
	v_mov_b64_e32 v[18:19], s[28:29]
	v_mad_u64_u32 v[16:17], s[38:39], v12, s26, v[18:19]
	v_mul_lo_u32 v20, v12, s27
	v_mul_lo_u32 v21, v13, s26
	v_add3_u32 v17, v21, v17, v20
	v_mad_u64_u32 v[18:19], s[38:39], v6, s26, v[18:19]
	v_mul_lo_u32 v20, v6, s27
	v_mul_lo_u32 v21, v7, s26
	v_add3_u32 v19, v21, v19, v20
	global_load_ubyte v20, v[16:17], off
	global_load_ubyte v21, v[18:19], off
	s_mov_b64 s[42:43], -1
	s_waitcnt vmcnt(0)
	v_cmp_eq_u16_e32 vcc, v20, v21
	s_and_saveexec_b64 s[38:39], vcc
	s_cbranch_execz .LBB163_142
; %bb.136:
	s_mov_b64 s[46:47], 1
	s_mov_b64 s[42:43], 0
                                        ; implicit-def: $sgpr44_sgpr45
	s_branch .LBB163_139
.LBB163_137:                            ;   in Loop: Header=BB163_139 Depth=1
	v_lshl_add_u64 v[20:21], v[16:17], 0, s[46:47]
	v_lshl_add_u64 v[30:31], v[18:19], 0, s[46:47]
	global_load_ubyte v32, v[20:21], off
	global_load_ubyte v33, v[30:31], off
	s_add_u32 s48, s46, 1
	s_addc_u32 s49, s47, 0
	s_andn2_b64 s[44:45], s[44:45], exec
	s_waitcnt vmcnt(0)
	v_cmp_ne_u16_e32 vcc, v32, v33
	s_and_b64 s[50:51], vcc, exec
	s_or_b64 s[44:45], s[44:45], s[50:51]
.LBB163_138:                            ;   in Loop: Header=BB163_139 Depth=1
	s_and_b64 s[50:51], exec, s[44:45]
	s_or_b64 s[42:43], s[50:51], s[42:43]
	v_mov_b64_e32 v[20:21], s[46:47]
	s_mov_b64 s[46:47], s[48:49]
	s_andn2_b64 exec, exec, s[42:43]
	s_cbranch_execz .LBB163_141
.LBB163_139:                            ; =>This Inner Loop Header: Depth=1
	s_or_b64 s[44:45], s[44:45], exec
	s_cmp_eq_u64 s[26:27], s[46:47]
	s_cbranch_scc0 .LBB163_137
; %bb.140:                              ;   in Loop: Header=BB163_139 Depth=1
                                        ; implicit-def: $sgpr48_sgpr49
	s_mov_b64 s[46:47], s[26:27]
	s_branch .LBB163_138
.LBB163_141:
	s_or_b64 exec, exec, s[42:43]
	v_cmp_gt_i64_e32 vcc, s[26:27], v[20:21]
	s_orn2_b64 s[42:43], vcc, exec
.LBB163_142:
	s_or_b64 exec, exec, s[38:39]
.LBB163_143:
	s_and_b64 s[38:39], s[42:43], exec
.LBB163_144:
	s_or_b64 exec, exec, s[40:41]
	v_cmp_gt_u32_e32 vcc, s3, v25
	s_and_saveexec_b64 s[40:41], vcc
	s_cbranch_execz .LBB163_155
; %bb.145:
	s_and_b64 vcc, exec, s[4:5]
	s_mov_b64 s[42:43], 0
	s_cbranch_vccnz .LBB163_154
; %bb.146:
	v_mov_b64_e32 v[18:19], s[28:29]
	v_mad_u64_u32 v[16:17], s[36:37], v10, s26, v[18:19]
	v_mul_lo_u32 v20, v10, s27
	v_mul_lo_u32 v21, v11, s26
	v_add3_u32 v17, v21, v17, v20
	v_mad_u64_u32 v[18:19], s[36:37], v12, s26, v[18:19]
	v_mul_lo_u32 v20, v12, s27
	v_mul_lo_u32 v21, v13, s26
	v_add3_u32 v19, v21, v19, v20
	global_load_ubyte v20, v[16:17], off
	global_load_ubyte v21, v[18:19], off
	s_mov_b64 s[42:43], -1
	s_waitcnt vmcnt(0)
	v_cmp_eq_u16_e32 vcc, v20, v21
	s_and_saveexec_b64 s[36:37], vcc
	s_cbranch_execz .LBB163_153
; %bb.147:
	s_mov_b64 s[46:47], 1
	s_mov_b64 s[42:43], 0
                                        ; implicit-def: $sgpr44_sgpr45
	s_branch .LBB163_150
.LBB163_148:                            ;   in Loop: Header=BB163_150 Depth=1
	v_lshl_add_u64 v[20:21], v[16:17], 0, s[46:47]
	v_lshl_add_u64 v[30:31], v[18:19], 0, s[46:47]
	global_load_ubyte v32, v[20:21], off
	global_load_ubyte v33, v[30:31], off
	s_add_u32 s48, s46, 1
	s_addc_u32 s49, s47, 0
	s_andn2_b64 s[44:45], s[44:45], exec
	s_waitcnt vmcnt(0)
	v_cmp_ne_u16_e32 vcc, v32, v33
	s_and_b64 s[50:51], vcc, exec
	s_or_b64 s[44:45], s[44:45], s[50:51]
.LBB163_149:                            ;   in Loop: Header=BB163_150 Depth=1
	s_and_b64 s[50:51], exec, s[44:45]
	s_or_b64 s[42:43], s[50:51], s[42:43]
	v_mov_b64_e32 v[20:21], s[46:47]
	s_mov_b64 s[46:47], s[48:49]
	s_andn2_b64 exec, exec, s[42:43]
	s_cbranch_execz .LBB163_152
.LBB163_150:                            ; =>This Inner Loop Header: Depth=1
	s_or_b64 s[44:45], s[44:45], exec
	s_cmp_eq_u64 s[26:27], s[46:47]
	s_cbranch_scc0 .LBB163_148
; %bb.151:                              ;   in Loop: Header=BB163_150 Depth=1
                                        ; implicit-def: $sgpr48_sgpr49
	s_mov_b64 s[46:47], s[26:27]
	s_branch .LBB163_149
.LBB163_152:
	s_or_b64 exec, exec, s[42:43]
	v_cmp_gt_i64_e32 vcc, s[26:27], v[20:21]
	s_orn2_b64 s[42:43], vcc, exec
.LBB163_153:
	s_or_b64 exec, exec, s[36:37]
.LBB163_154:
	s_and_b64 s[36:37], s[42:43], exec
.LBB163_155:
	s_or_b64 exec, exec, s[40:41]
	v_cmp_ne_u32_e32 vcc, 0, v0
	s_waitcnt lgkmcnt(0)
	v_mov_b64_e32 v[18:19], s[6:7]
	s_barrier
	s_and_saveexec_b64 s[6:7], vcc
	s_cbranch_execz .LBB163_157
; %bb.156:
	v_add_u32_e32 v16, -8, v23
	ds_read_b64 v[18:19], v16
.LBB163_157:
	s_or_b64 exec, exec, s[6:7]
	v_cndmask_b32_e64 v17, 0, 1, s[18:19]
	v_cndmask_b32_e64 v16, 0, 1, s[38:39]
	;; [unrolled: 1-line block ×3, first 2 shown]
	v_lshlrev_b16_e32 v17, 8, v17
	v_cmp_gt_u32_e32 vcc, s3, v1
	v_lshlrev_b16_e32 v23, 8, v20
	v_or_b32_sdwa v30, v16, v17 dst_sel:WORD_1 dst_unused:UNUSED_PAD src0_sel:DWORD src1_sel:DWORD
	s_mov_b64 s[18:19], 0
	s_and_saveexec_b64 s[6:7], vcc
	s_cbranch_execz .LBB163_168
; %bb.158:
	s_and_b64 vcc, exec, s[4:5]
	s_cbranch_vccnz .LBB163_167
; %bb.159:
	v_mov_b64_e32 v[20:21], s[28:29]
	s_waitcnt lgkmcnt(0)
	v_mad_u64_u32 v[16:17], s[4:5], v18, s26, v[20:21]
	v_mul_lo_u32 v18, v18, s27
	v_mul_lo_u32 v19, v19, s26
	v_add3_u32 v17, v19, v17, v18
	v_mad_u64_u32 v[18:19], s[4:5], v10, s26, v[20:21]
	v_mul_lo_u32 v20, v10, s27
	v_mul_lo_u32 v21, v11, s26
	v_add3_u32 v19, v21, v19, v20
	global_load_ubyte v20, v[16:17], off
	global_load_ubyte v21, v[18:19], off
	s_mov_b64 s[18:19], -1
	s_waitcnt vmcnt(0)
	v_cmp_eq_u16_e32 vcc, v20, v21
	s_and_saveexec_b64 s[4:5], vcc
	s_cbranch_execz .LBB163_166
; %bb.160:
	s_mov_b64 s[38:39], 1
	s_mov_b64 s[18:19], 0
                                        ; implicit-def: $sgpr36_sgpr37
	s_branch .LBB163_163
.LBB163_161:                            ;   in Loop: Header=BB163_163 Depth=1
	v_lshl_add_u64 v[20:21], v[16:17], 0, s[38:39]
	v_lshl_add_u64 v[32:33], v[18:19], 0, s[38:39]
	global_load_ubyte v31, v[20:21], off
	global_load_ubyte v34, v[32:33], off
	s_add_u32 s40, s38, 1
	s_addc_u32 s41, s39, 0
	s_andn2_b64 s[36:37], s[36:37], exec
	s_waitcnt vmcnt(0)
	v_cmp_ne_u16_e32 vcc, v31, v34
	s_and_b64 s[42:43], vcc, exec
	s_or_b64 s[36:37], s[36:37], s[42:43]
.LBB163_162:                            ;   in Loop: Header=BB163_163 Depth=1
	s_and_b64 s[42:43], exec, s[36:37]
	s_or_b64 s[18:19], s[42:43], s[18:19]
	v_mov_b64_e32 v[20:21], s[38:39]
	s_mov_b64 s[38:39], s[40:41]
	s_andn2_b64 exec, exec, s[18:19]
	s_cbranch_execz .LBB163_165
.LBB163_163:                            ; =>This Inner Loop Header: Depth=1
	s_or_b64 s[36:37], s[36:37], exec
	s_cmp_eq_u64 s[26:27], s[38:39]
	s_cbranch_scc0 .LBB163_161
; %bb.164:                              ;   in Loop: Header=BB163_163 Depth=1
                                        ; implicit-def: $sgpr40_sgpr41
	s_mov_b64 s[38:39], s[26:27]
	s_branch .LBB163_162
.LBB163_165:
	s_or_b64 exec, exec, s[18:19]
	v_cmp_gt_i64_e32 vcc, s[26:27], v[20:21]
	s_orn2_b64 s[18:19], vcc, exec
.LBB163_166:
	s_or_b64 exec, exec, s[4:5]
.LBB163_167:
	s_and_b64 s[18:19], s[18:19], exec
.LBB163_168:
	s_or_b64 exec, exec, s[6:7]
	v_cndmask_b32_e64 v31, 0, 1, s[14:15]
	v_cndmask_b32_e64 v32, 0, 1, s[12:13]
	;; [unrolled: 1-line block ×3, first 2 shown]
	v_or_b32_e32 v20, v23, v30
.LBB163_169:
	s_mov_b64 s[10:11], -1
	s_cbranch_execnz .LBB163_28
.LBB163_170:
	s_movk_i32 s4, 0xffd0
	v_mad_i32_i24 v30, v0, s4, v22
	s_mov_b64 s[12:13], 0
	s_waitcnt lgkmcnt(0)
	v_cmp_gt_i64_e64 s[6:7], s[26:27], 0
	s_and_b64 vcc, exec, s[34:35]
	ds_write_b64 v30, v[14:15]
	s_cbranch_vccz .LBB163_178
; %bb.171:
	v_mul_lo_u32 v18, v5, s26
	v_mul_lo_u32 v19, v4, s27
	v_mad_u64_u32 v[16:17], s[4:5], v4, s26, 0
	v_add3_u32 v17, v17, v19, v18
	v_cndmask_b32_e64 v18, 0, 1, s[6:7]
	v_cmp_ne_u32_e64 s[4:5], 1, v18
	s_andn2_b64 vcc, exec, s[6:7]
	v_lshl_add_u64 v[16:17], s[28:29], 0, v[16:17]
	s_cbranch_vccnz .LBB163_181
; %bb.172:
	v_mov_b64_e32 v[18:19], s[28:29]
	v_mad_u64_u32 v[18:19], s[12:13], v14, s26, v[18:19]
	v_mul_lo_u32 v20, v14, s27
	v_mul_lo_u32 v21, v15, s26
	v_add3_u32 v19, v21, v19, v20
	global_load_ubyte v20, v[16:17], off
	global_load_ubyte v21, v[18:19], off
	s_mov_b64 s[12:13], -1
	s_waitcnt vmcnt(0)
	v_cmp_eq_u16_e32 vcc, v20, v21
	s_and_saveexec_b64 s[14:15], vcc
	s_cbranch_execz .LBB163_180
; %bb.173:
	s_mov_b64 s[36:37], 1
	s_mov_b64 s[12:13], 0
                                        ; implicit-def: $sgpr18_sgpr19
	s_branch .LBB163_176
.LBB163_174:                            ;   in Loop: Header=BB163_176 Depth=1
	v_lshl_add_u64 v[20:21], v[16:17], 0, s[36:37]
	v_lshl_add_u64 v[22:23], v[18:19], 0, s[36:37]
	global_load_ubyte v31, v[20:21], off
	global_load_ubyte v32, v[22:23], off
	s_add_u32 s38, s36, 1
	s_addc_u32 s39, s37, 0
	s_andn2_b64 s[18:19], s[18:19], exec
	s_waitcnt vmcnt(0)
	v_cmp_ne_u16_e32 vcc, v31, v32
	s_and_b64 s[40:41], vcc, exec
	s_or_b64 s[18:19], s[18:19], s[40:41]
.LBB163_175:                            ;   in Loop: Header=BB163_176 Depth=1
	s_and_b64 s[40:41], exec, s[18:19]
	s_or_b64 s[12:13], s[40:41], s[12:13]
	v_mov_b64_e32 v[20:21], s[36:37]
	s_mov_b64 s[36:37], s[38:39]
	s_andn2_b64 exec, exec, s[12:13]
	s_cbranch_execz .LBB163_179
.LBB163_176:                            ; =>This Inner Loop Header: Depth=1
	s_or_b64 s[18:19], s[18:19], exec
	s_cmp_eq_u64 s[26:27], s[36:37]
	s_cbranch_scc0 .LBB163_174
; %bb.177:                              ;   in Loop: Header=BB163_176 Depth=1
                                        ; implicit-def: $sgpr38_sgpr39
	s_mov_b64 s[36:37], s[26:27]
	s_branch .LBB163_175
.LBB163_178:
                                        ; implicit-def: $sgpr18_sgpr19
                                        ; implicit-def: $vgpr33
                                        ; implicit-def: $vgpr32
                                        ; implicit-def: $vgpr31
                                        ; implicit-def: $vgpr20
                                        ; implicit-def: $vgpr16_vgpr17
	s_cbranch_execnz .LBB163_238
	s_branch .LBB163_318
.LBB163_179:
	s_or_b64 exec, exec, s[12:13]
	v_cmp_gt_i64_e32 vcc, s[26:27], v[20:21]
	s_orn2_b64 s[12:13], vcc, exec
.LBB163_180:
	s_or_b64 exec, exec, s[14:15]
.LBB163_181:
	v_mul_lo_u32 v20, v3, s26
	v_mul_lo_u32 v21, v2, s27
	v_mad_u64_u32 v[18:19], s[14:15], v2, s26, 0
	v_add3_u32 v19, v19, v21, v20
	s_mov_b64 s[14:15], 0
	s_and_b64 vcc, exec, s[4:5]
	v_lshl_add_u64 v[18:19], s[28:29], 0, v[18:19]
	s_mov_b64 s[18:19], 0
	s_cbranch_vccnz .LBB163_190
; %bb.182:
	global_load_ubyte v20, v[18:19], off
	global_load_ubyte v21, v[16:17], off
	s_mov_b64 s[18:19], -1
	s_waitcnt vmcnt(0)
	v_cmp_eq_u16_e32 vcc, v20, v21
	s_and_saveexec_b64 s[36:37], vcc
	s_cbranch_execz .LBB163_189
; %bb.183:
	s_mov_b64 s[40:41], 1
	s_mov_b64 s[18:19], 0
                                        ; implicit-def: $sgpr38_sgpr39
	s_branch .LBB163_186
.LBB163_184:                            ;   in Loop: Header=BB163_186 Depth=1
	v_lshl_add_u64 v[20:21], v[18:19], 0, s[40:41]
	v_lshl_add_u64 v[22:23], v[16:17], 0, s[40:41]
	global_load_ubyte v31, v[20:21], off
	global_load_ubyte v32, v[22:23], off
	s_add_u32 s42, s40, 1
	s_addc_u32 s43, s41, 0
	s_andn2_b64 s[38:39], s[38:39], exec
	s_waitcnt vmcnt(0)
	v_cmp_ne_u16_e32 vcc, v31, v32
	s_and_b64 s[44:45], vcc, exec
	s_or_b64 s[38:39], s[38:39], s[44:45]
.LBB163_185:                            ;   in Loop: Header=BB163_186 Depth=1
	s_and_b64 s[44:45], exec, s[38:39]
	s_or_b64 s[18:19], s[44:45], s[18:19]
	v_mov_b64_e32 v[20:21], s[40:41]
	s_mov_b64 s[40:41], s[42:43]
	s_andn2_b64 exec, exec, s[18:19]
	s_cbranch_execz .LBB163_188
.LBB163_186:                            ; =>This Inner Loop Header: Depth=1
	s_or_b64 s[38:39], s[38:39], exec
	s_cmp_eq_u64 s[26:27], s[40:41]
	s_cbranch_scc0 .LBB163_184
; %bb.187:                              ;   in Loop: Header=BB163_186 Depth=1
                                        ; implicit-def: $sgpr42_sgpr43
	s_mov_b64 s[40:41], s[26:27]
	s_branch .LBB163_185
.LBB163_188:
	s_or_b64 exec, exec, s[18:19]
	v_cmp_gt_i64_e32 vcc, s[26:27], v[20:21]
	s_orn2_b64 s[18:19], vcc, exec
.LBB163_189:
	s_or_b64 exec, exec, s[36:37]
.LBB163_190:
	v_mul_lo_u32 v20, v9, s26
	v_mul_lo_u32 v21, v8, s27
	v_mad_u64_u32 v[16:17], s[36:37], v8, s26, 0
	v_add3_u32 v17, v17, v21, v20
	s_and_b64 vcc, exec, s[4:5]
	v_lshl_add_u64 v[16:17], s[28:29], 0, v[16:17]
	s_cbranch_vccnz .LBB163_199
; %bb.191:
	global_load_ubyte v20, v[16:17], off
	global_load_ubyte v21, v[18:19], off
	s_mov_b64 s[14:15], -1
	s_waitcnt vmcnt(0)
	v_cmp_eq_u16_e32 vcc, v20, v21
	s_and_saveexec_b64 s[36:37], vcc
	s_cbranch_execz .LBB163_198
; %bb.192:
	s_mov_b64 s[40:41], 1
	s_mov_b64 s[14:15], 0
                                        ; implicit-def: $sgpr38_sgpr39
	s_branch .LBB163_195
.LBB163_193:                            ;   in Loop: Header=BB163_195 Depth=1
	v_lshl_add_u64 v[20:21], v[16:17], 0, s[40:41]
	v_lshl_add_u64 v[22:23], v[18:19], 0, s[40:41]
	global_load_ubyte v31, v[20:21], off
	global_load_ubyte v32, v[22:23], off
	s_add_u32 s42, s40, 1
	s_addc_u32 s43, s41, 0
	s_andn2_b64 s[38:39], s[38:39], exec
	s_waitcnt vmcnt(0)
	v_cmp_ne_u16_e32 vcc, v31, v32
	s_and_b64 s[44:45], vcc, exec
	s_or_b64 s[38:39], s[38:39], s[44:45]
.LBB163_194:                            ;   in Loop: Header=BB163_195 Depth=1
	s_and_b64 s[44:45], exec, s[38:39]
	s_or_b64 s[14:15], s[44:45], s[14:15]
	v_mov_b64_e32 v[20:21], s[40:41]
	s_mov_b64 s[40:41], s[42:43]
	s_andn2_b64 exec, exec, s[14:15]
	s_cbranch_execz .LBB163_197
.LBB163_195:                            ; =>This Inner Loop Header: Depth=1
	s_or_b64 s[38:39], s[38:39], exec
	s_cmp_eq_u64 s[26:27], s[40:41]
	s_cbranch_scc0 .LBB163_193
; %bb.196:                              ;   in Loop: Header=BB163_195 Depth=1
                                        ; implicit-def: $sgpr42_sgpr43
	s_mov_b64 s[40:41], s[26:27]
	s_branch .LBB163_194
.LBB163_197:
	s_or_b64 exec, exec, s[14:15]
	v_cmp_gt_i64_e32 vcc, s[26:27], v[20:21]
	s_orn2_b64 s[14:15], vcc, exec
.LBB163_198:
	s_or_b64 exec, exec, s[36:37]
.LBB163_199:
	v_mul_lo_u32 v20, v7, s26
	v_mul_lo_u32 v21, v6, s27
	v_mad_u64_u32 v[18:19], s[36:37], v6, s26, 0
	v_add3_u32 v19, v19, v21, v20
	s_mov_b64 s[36:37], 0
	s_and_b64 vcc, exec, s[4:5]
	v_lshl_add_u64 v[18:19], s[28:29], 0, v[18:19]
	s_mov_b64 s[38:39], 0
	s_cbranch_vccnz .LBB163_208
; %bb.200:
	global_load_ubyte v20, v[18:19], off
	global_load_ubyte v21, v[16:17], off
	s_mov_b64 s[38:39], -1
	s_waitcnt vmcnt(0)
	v_cmp_eq_u16_e32 vcc, v20, v21
	s_and_saveexec_b64 s[40:41], vcc
	s_cbranch_execz .LBB163_207
; %bb.201:
	s_mov_b64 s[44:45], 1
	s_mov_b64 s[38:39], 0
                                        ; implicit-def: $sgpr42_sgpr43
	s_branch .LBB163_204
.LBB163_202:                            ;   in Loop: Header=BB163_204 Depth=1
	v_lshl_add_u64 v[20:21], v[18:19], 0, s[44:45]
	v_lshl_add_u64 v[22:23], v[16:17], 0, s[44:45]
	global_load_ubyte v31, v[20:21], off
	global_load_ubyte v32, v[22:23], off
	s_add_u32 s46, s44, 1
	s_addc_u32 s47, s45, 0
	s_andn2_b64 s[42:43], s[42:43], exec
	s_waitcnt vmcnt(0)
	v_cmp_ne_u16_e32 vcc, v31, v32
	s_and_b64 s[48:49], vcc, exec
	s_or_b64 s[42:43], s[42:43], s[48:49]
.LBB163_203:                            ;   in Loop: Header=BB163_204 Depth=1
	s_and_b64 s[48:49], exec, s[42:43]
	s_or_b64 s[38:39], s[48:49], s[38:39]
	v_mov_b64_e32 v[20:21], s[44:45]
	s_mov_b64 s[44:45], s[46:47]
	s_andn2_b64 exec, exec, s[38:39]
	s_cbranch_execz .LBB163_206
.LBB163_204:                            ; =>This Inner Loop Header: Depth=1
	s_or_b64 s[42:43], s[42:43], exec
	s_cmp_eq_u64 s[26:27], s[44:45]
	s_cbranch_scc0 .LBB163_202
; %bb.205:                              ;   in Loop: Header=BB163_204 Depth=1
                                        ; implicit-def: $sgpr46_sgpr47
	s_mov_b64 s[44:45], s[26:27]
	s_branch .LBB163_203
.LBB163_206:
	s_or_b64 exec, exec, s[38:39]
	v_cmp_gt_i64_e32 vcc, s[26:27], v[20:21]
	s_orn2_b64 s[38:39], vcc, exec
.LBB163_207:
	s_or_b64 exec, exec, s[40:41]
.LBB163_208:
	v_mul_lo_u32 v20, v13, s26
	v_mul_lo_u32 v21, v12, s27
	v_mad_u64_u32 v[16:17], s[40:41], v12, s26, 0
	v_add3_u32 v17, v17, v21, v20
	s_and_b64 vcc, exec, s[4:5]
	v_lshl_add_u64 v[16:17], s[28:29], 0, v[16:17]
	s_cbranch_vccnz .LBB163_217
; %bb.209:
	global_load_ubyte v20, v[16:17], off
	global_load_ubyte v21, v[18:19], off
	s_mov_b64 s[36:37], -1
	s_waitcnt vmcnt(0)
	v_cmp_eq_u16_e32 vcc, v20, v21
	s_and_saveexec_b64 s[40:41], vcc
	s_cbranch_execz .LBB163_216
; %bb.210:
	s_mov_b64 s[44:45], 1
	s_mov_b64 s[36:37], 0
                                        ; implicit-def: $sgpr42_sgpr43
	s_branch .LBB163_213
.LBB163_211:                            ;   in Loop: Header=BB163_213 Depth=1
	v_lshl_add_u64 v[20:21], v[16:17], 0, s[44:45]
	v_lshl_add_u64 v[22:23], v[18:19], 0, s[44:45]
	global_load_ubyte v31, v[20:21], off
	global_load_ubyte v32, v[22:23], off
	s_add_u32 s46, s44, 1
	s_addc_u32 s47, s45, 0
	s_andn2_b64 s[42:43], s[42:43], exec
	s_waitcnt vmcnt(0)
	v_cmp_ne_u16_e32 vcc, v31, v32
	s_and_b64 s[48:49], vcc, exec
	s_or_b64 s[42:43], s[42:43], s[48:49]
.LBB163_212:                            ;   in Loop: Header=BB163_213 Depth=1
	s_and_b64 s[48:49], exec, s[42:43]
	s_or_b64 s[36:37], s[48:49], s[36:37]
	v_mov_b64_e32 v[20:21], s[44:45]
	s_mov_b64 s[44:45], s[46:47]
	s_andn2_b64 exec, exec, s[36:37]
	s_cbranch_execz .LBB163_215
.LBB163_213:                            ; =>This Inner Loop Header: Depth=1
	s_or_b64 s[42:43], s[42:43], exec
	s_cmp_eq_u64 s[26:27], s[44:45]
	s_cbranch_scc0 .LBB163_211
; %bb.214:                              ;   in Loop: Header=BB163_213 Depth=1
                                        ; implicit-def: $sgpr46_sgpr47
	s_mov_b64 s[44:45], s[26:27]
	s_branch .LBB163_212
.LBB163_215:
	s_or_b64 exec, exec, s[36:37]
	v_cmp_gt_i64_e32 vcc, s[26:27], v[20:21]
	s_orn2_b64 s[36:37], vcc, exec
.LBB163_216:
	s_or_b64 exec, exec, s[40:41]
.LBB163_217:
	v_mul_lo_u32 v20, v11, s26
	v_mul_lo_u32 v21, v10, s27
	v_mad_u64_u32 v[18:19], s[40:41], v10, s26, 0
	v_add3_u32 v19, v19, v21, v20
	s_and_b64 vcc, exec, s[4:5]
	s_mov_b64 s[42:43], 0
	s_cbranch_vccnz .LBB163_226
; %bb.218:
	v_lshl_add_u64 v[20:21], s[28:29], 0, v[18:19]
	global_load_ubyte v22, v[20:21], off
	global_load_ubyte v23, v[16:17], off
	s_mov_b64 s[42:43], -1
	s_waitcnt vmcnt(0)
	v_cmp_eq_u16_e32 vcc, v22, v23
	s_and_saveexec_b64 s[40:41], vcc
	s_cbranch_execz .LBB163_225
; %bb.219:
	s_mov_b64 s[46:47], 1
	s_mov_b64 s[42:43], 0
                                        ; implicit-def: $sgpr44_sgpr45
	s_branch .LBB163_222
.LBB163_220:                            ;   in Loop: Header=BB163_222 Depth=1
	v_lshl_add_u64 v[22:23], v[20:21], 0, s[46:47]
	v_lshl_add_u64 v[32:33], v[16:17], 0, s[46:47]
	global_load_ubyte v31, v[22:23], off
	global_load_ubyte v34, v[32:33], off
	s_add_u32 s48, s46, 1
	s_addc_u32 s49, s47, 0
	s_andn2_b64 s[44:45], s[44:45], exec
	s_waitcnt vmcnt(0)
	v_cmp_ne_u16_e32 vcc, v31, v34
	s_and_b64 s[50:51], vcc, exec
	s_or_b64 s[44:45], s[44:45], s[50:51]
.LBB163_221:                            ;   in Loop: Header=BB163_222 Depth=1
	s_and_b64 s[50:51], exec, s[44:45]
	s_or_b64 s[42:43], s[50:51], s[42:43]
	v_mov_b64_e32 v[22:23], s[46:47]
	s_mov_b64 s[46:47], s[48:49]
	s_andn2_b64 exec, exec, s[42:43]
	s_cbranch_execz .LBB163_224
.LBB163_222:                            ; =>This Inner Loop Header: Depth=1
	s_or_b64 s[44:45], s[44:45], exec
	s_cmp_eq_u64 s[26:27], s[46:47]
	s_cbranch_scc0 .LBB163_220
; %bb.223:                              ;   in Loop: Header=BB163_222 Depth=1
                                        ; implicit-def: $sgpr48_sgpr49
	s_mov_b64 s[46:47], s[26:27]
	s_branch .LBB163_221
.LBB163_224:
	s_or_b64 exec, exec, s[42:43]
	v_cmp_gt_i64_e32 vcc, s[26:27], v[22:23]
	s_orn2_b64 s[42:43], vcc, exec
.LBB163_225:
	s_or_b64 exec, exec, s[40:41]
.LBB163_226:
	v_cndmask_b32_e64 v17, 0, 1, s[38:39]
	v_cndmask_b32_e64 v16, 0, 1, s[36:37]
	;; [unrolled: 1-line block ×3, first 2 shown]
	v_lshlrev_b16_e32 v17, 8, v17
	v_cndmask_b32_e64 v31, 0, 1, s[14:15]
	v_cndmask_b32_e64 v20, 0, 1, s[42:43]
	v_or_b32_sdwa v16, v16, v17 dst_sel:WORD_1 dst_unused:UNUSED_PAD src0_sel:DWORD src1_sel:DWORD
	v_lshlrev_b16_e32 v17, 8, v32
	v_lshlrev_b16_e32 v20, 8, v20
	v_or_b32_e32 v17, v31, v17
	v_or_b32_e32 v20, 1, v20
	v_and_b32_e32 v17, 0xffff, v17
	v_cndmask_b32_e64 v33, 0, 1, s[12:13]
	v_or_b32_sdwa v16, v20, v16 dst_sel:DWORD dst_unused:UNUSED_PAD src0_sel:WORD_0 src1_sel:DWORD
	v_lshl_or_b32 v17, v33, 16, v17
	v_cmp_ne_u32_e32 vcc, 0, v0
	s_waitcnt lgkmcnt(0)
	s_barrier
	s_waitcnt lgkmcnt(0)
                                        ; implicit-def: $sgpr18_sgpr19
                                        ; implicit-def: $vgpr20
	s_and_saveexec_b64 s[12:13], vcc
	s_xor_b64 s[12:13], exec, s[12:13]
	s_cbranch_execz .LBB163_237
; %bb.227:
	s_mov_b32 s33, 0x3020104
	s_and_b64 vcc, exec, s[4:5]
	s_mov_b64 s[14:15], 0
	s_cbranch_vccnz .LBB163_236
; %bb.228:
	v_add_u32_e32 v17, -8, v30
	ds_read_b64 v[20:21], v17
	v_mov_b64_e32 v[22:23], s[28:29]
	v_lshl_add_u64 v[18:19], s[28:29], 0, v[18:19]
	s_mov_b64 s[14:15], -1
	s_waitcnt lgkmcnt(0)
	v_mul_lo_u32 v17, v20, s27
	v_mul_lo_u32 v34, v21, s26
	v_mad_u64_u32 v[20:21], s[4:5], v20, s26, v[22:23]
	v_add3_u32 v21, v34, v21, v17
	global_load_ubyte v17, v[18:19], off
	global_load_ubyte v22, v[20:21], off
	s_waitcnt vmcnt(0)
	v_cmp_eq_u16_e32 vcc, v22, v17
	s_and_saveexec_b64 s[4:5], vcc
	s_cbranch_execz .LBB163_235
; %bb.229:
	s_mov_b64 s[36:37], 1
	s_mov_b64 s[14:15], 0
                                        ; implicit-def: $sgpr18_sgpr19
	s_branch .LBB163_232
.LBB163_230:                            ;   in Loop: Header=BB163_232 Depth=1
	v_lshl_add_u64 v[22:23], v[20:21], 0, s[36:37]
	v_lshl_add_u64 v[34:35], v[18:19], 0, s[36:37]
	global_load_ubyte v17, v[22:23], off
	global_load_ubyte v36, v[34:35], off
	s_add_u32 s38, s36, 1
	s_addc_u32 s39, s37, 0
	s_andn2_b64 s[18:19], s[18:19], exec
	s_waitcnt vmcnt(0)
	v_cmp_ne_u16_e32 vcc, v17, v36
	s_and_b64 s[40:41], vcc, exec
	s_or_b64 s[18:19], s[18:19], s[40:41]
.LBB163_231:                            ;   in Loop: Header=BB163_232 Depth=1
	s_and_b64 s[40:41], exec, s[18:19]
	s_or_b64 s[14:15], s[40:41], s[14:15]
	v_mov_b64_e32 v[22:23], s[36:37]
	s_mov_b64 s[36:37], s[38:39]
	s_andn2_b64 exec, exec, s[14:15]
	s_cbranch_execz .LBB163_234
.LBB163_232:                            ; =>This Inner Loop Header: Depth=1
	s_or_b64 s[18:19], s[18:19], exec
	s_cmp_eq_u64 s[26:27], s[36:37]
	s_cbranch_scc0 .LBB163_230
; %bb.233:                              ;   in Loop: Header=BB163_232 Depth=1
                                        ; implicit-def: $sgpr38_sgpr39
	s_mov_b64 s[36:37], s[26:27]
	s_branch .LBB163_231
.LBB163_234:
	s_or_b64 exec, exec, s[14:15]
	v_cmp_gt_i64_e32 vcc, s[26:27], v[22:23]
	s_orn2_b64 s[14:15], vcc, exec
.LBB163_235:
	s_or_b64 exec, exec, s[4:5]
.LBB163_236:
	v_perm_b32 v20, v16, v16, s33
	s_and_b64 s[18:19], s[14:15], exec
	s_or_b64 s[10:11], s[10:11], exec
                                        ; implicit-def: $vgpr16_vgpr17
.LBB163_237:
	s_or_b64 exec, exec, s[12:13]
	s_branch .LBB163_318
.LBB163_238:
	v_cmp_gt_u32_e32 vcc, s3, v27
	s_mov_b64 s[12:13], 0
	s_mov_b64 s[4:5], 0
	s_and_saveexec_b64 s[14:15], vcc
	s_cbranch_execz .LBB163_249
; %bb.239:
	s_andn2_b64 vcc, exec, s[6:7]
	s_mov_b64 s[18:19], 0
	s_cbranch_vccnz .LBB163_248
; %bb.240:
	v_mov_b64_e32 v[18:19], s[28:29]
	v_mad_u64_u32 v[16:17], s[4:5], v4, s26, v[18:19]
	v_mul_lo_u32 v20, v4, s27
	v_mul_lo_u32 v21, v5, s26
	v_add3_u32 v17, v21, v17, v20
	v_mad_u64_u32 v[18:19], s[4:5], v14, s26, v[18:19]
	v_mul_lo_u32 v20, v14, s27
	v_mul_lo_u32 v21, v15, s26
	v_add3_u32 v19, v21, v19, v20
	global_load_ubyte v20, v[16:17], off
	global_load_ubyte v21, v[18:19], off
	s_mov_b64 s[18:19], -1
	s_waitcnt vmcnt(0)
	v_cmp_eq_u16_e32 vcc, v20, v21
	s_and_saveexec_b64 s[4:5], vcc
	s_cbranch_execz .LBB163_247
; %bb.241:
	s_mov_b64 s[38:39], 1
	s_mov_b64 s[18:19], 0
                                        ; implicit-def: $sgpr36_sgpr37
	s_branch .LBB163_244
.LBB163_242:                            ;   in Loop: Header=BB163_244 Depth=1
	v_lshl_add_u64 v[20:21], v[16:17], 0, s[38:39]
	v_lshl_add_u64 v[22:23], v[18:19], 0, s[38:39]
	global_load_ubyte v31, v[20:21], off
	global_load_ubyte v32, v[22:23], off
	s_add_u32 s40, s38, 1
	s_addc_u32 s41, s39, 0
	s_andn2_b64 s[36:37], s[36:37], exec
	s_waitcnt vmcnt(0)
	v_cmp_ne_u16_e32 vcc, v31, v32
	s_and_b64 s[42:43], vcc, exec
	s_or_b64 s[36:37], s[36:37], s[42:43]
.LBB163_243:                            ;   in Loop: Header=BB163_244 Depth=1
	s_and_b64 s[42:43], exec, s[36:37]
	s_or_b64 s[18:19], s[42:43], s[18:19]
	v_mov_b64_e32 v[20:21], s[38:39]
	s_mov_b64 s[38:39], s[40:41]
	s_andn2_b64 exec, exec, s[18:19]
	s_cbranch_execz .LBB163_246
.LBB163_244:                            ; =>This Inner Loop Header: Depth=1
	s_or_b64 s[36:37], s[36:37], exec
	s_cmp_eq_u64 s[26:27], s[38:39]
	s_cbranch_scc0 .LBB163_242
; %bb.245:                              ;   in Loop: Header=BB163_244 Depth=1
                                        ; implicit-def: $sgpr40_sgpr41
	s_mov_b64 s[38:39], s[26:27]
	s_branch .LBB163_243
.LBB163_246:
	s_or_b64 exec, exec, s[18:19]
	v_cmp_gt_i64_e32 vcc, s[26:27], v[20:21]
	s_orn2_b64 s[18:19], vcc, exec
.LBB163_247:
	s_or_b64 exec, exec, s[4:5]
.LBB163_248:
	s_and_b64 s[4:5], s[18:19], exec
.LBB163_249:
	s_or_b64 exec, exec, s[14:15]
	v_cmp_gt_u32_e32 vcc, s3, v29
	s_and_saveexec_b64 s[14:15], vcc
	s_cbranch_execz .LBB163_260
; %bb.250:
	s_andn2_b64 vcc, exec, s[6:7]
	s_mov_b64 s[18:19], 0
	s_cbranch_vccnz .LBB163_259
; %bb.251:
	v_mov_b64_e32 v[18:19], s[28:29]
	v_mad_u64_u32 v[16:17], s[12:13], v2, s26, v[18:19]
	v_mul_lo_u32 v20, v2, s27
	v_mul_lo_u32 v21, v3, s26
	v_add3_u32 v17, v21, v17, v20
	v_mad_u64_u32 v[18:19], s[12:13], v4, s26, v[18:19]
	v_mul_lo_u32 v20, v4, s27
	v_mul_lo_u32 v21, v5, s26
	v_add3_u32 v19, v21, v19, v20
	global_load_ubyte v20, v[16:17], off
	global_load_ubyte v21, v[18:19], off
	s_mov_b64 s[18:19], -1
	s_waitcnt vmcnt(0)
	v_cmp_eq_u16_e32 vcc, v20, v21
	s_and_saveexec_b64 s[12:13], vcc
	s_cbranch_execz .LBB163_258
; %bb.252:
	s_mov_b64 s[38:39], 1
	s_mov_b64 s[18:19], 0
                                        ; implicit-def: $sgpr36_sgpr37
	s_branch .LBB163_255
.LBB163_253:                            ;   in Loop: Header=BB163_255 Depth=1
	v_lshl_add_u64 v[20:21], v[16:17], 0, s[38:39]
	v_lshl_add_u64 v[22:23], v[18:19], 0, s[38:39]
	global_load_ubyte v31, v[20:21], off
	global_load_ubyte v32, v[22:23], off
	s_add_u32 s40, s38, 1
	s_addc_u32 s41, s39, 0
	s_andn2_b64 s[36:37], s[36:37], exec
	s_waitcnt vmcnt(0)
	v_cmp_ne_u16_e32 vcc, v31, v32
	s_and_b64 s[42:43], vcc, exec
	s_or_b64 s[36:37], s[36:37], s[42:43]
.LBB163_254:                            ;   in Loop: Header=BB163_255 Depth=1
	s_and_b64 s[42:43], exec, s[36:37]
	s_or_b64 s[18:19], s[42:43], s[18:19]
	v_mov_b64_e32 v[20:21], s[38:39]
	s_mov_b64 s[38:39], s[40:41]
	s_andn2_b64 exec, exec, s[18:19]
	s_cbranch_execz .LBB163_257
.LBB163_255:                            ; =>This Inner Loop Header: Depth=1
	s_or_b64 s[36:37], s[36:37], exec
	s_cmp_eq_u64 s[26:27], s[38:39]
	s_cbranch_scc0 .LBB163_253
; %bb.256:                              ;   in Loop: Header=BB163_255 Depth=1
                                        ; implicit-def: $sgpr40_sgpr41
	s_mov_b64 s[38:39], s[26:27]
	s_branch .LBB163_254
.LBB163_257:
	s_or_b64 exec, exec, s[18:19]
	v_cmp_gt_i64_e32 vcc, s[26:27], v[20:21]
	s_orn2_b64 s[18:19], vcc, exec
.LBB163_258:
	s_or_b64 exec, exec, s[12:13]
.LBB163_259:
	s_and_b64 s[12:13], s[18:19], exec
.LBB163_260:
	s_or_b64 exec, exec, s[14:15]
	v_cmp_gt_u32_e32 vcc, s3, v26
	s_mov_b64 s[18:19], 0
	s_mov_b64 s[14:15], 0
	s_and_saveexec_b64 s[36:37], vcc
	s_cbranch_execz .LBB163_271
; %bb.261:
	s_andn2_b64 vcc, exec, s[6:7]
	s_mov_b64 s[38:39], 0
	s_cbranch_vccnz .LBB163_270
; %bb.262:
	v_mov_b64_e32 v[18:19], s[28:29]
	v_mad_u64_u32 v[16:17], s[14:15], v8, s26, v[18:19]
	v_mul_lo_u32 v20, v8, s27
	v_mul_lo_u32 v21, v9, s26
	v_add3_u32 v17, v21, v17, v20
	v_mad_u64_u32 v[18:19], s[14:15], v2, s26, v[18:19]
	v_mul_lo_u32 v20, v2, s27
	v_mul_lo_u32 v21, v3, s26
	v_add3_u32 v19, v21, v19, v20
	global_load_ubyte v20, v[16:17], off
	global_load_ubyte v21, v[18:19], off
	s_mov_b64 s[38:39], -1
	s_waitcnt vmcnt(0)
	v_cmp_eq_u16_e32 vcc, v20, v21
	s_and_saveexec_b64 s[14:15], vcc
	s_cbranch_execz .LBB163_269
; %bb.263:
	s_mov_b64 s[42:43], 1
	s_mov_b64 s[38:39], 0
                                        ; implicit-def: $sgpr40_sgpr41
	s_branch .LBB163_266
.LBB163_264:                            ;   in Loop: Header=BB163_266 Depth=1
	v_lshl_add_u64 v[20:21], v[16:17], 0, s[42:43]
	v_lshl_add_u64 v[22:23], v[18:19], 0, s[42:43]
	global_load_ubyte v31, v[20:21], off
	global_load_ubyte v32, v[22:23], off
	s_add_u32 s44, s42, 1
	s_addc_u32 s45, s43, 0
	s_andn2_b64 s[40:41], s[40:41], exec
	s_waitcnt vmcnt(0)
	v_cmp_ne_u16_e32 vcc, v31, v32
	s_and_b64 s[46:47], vcc, exec
	s_or_b64 s[40:41], s[40:41], s[46:47]
.LBB163_265:                            ;   in Loop: Header=BB163_266 Depth=1
	s_and_b64 s[46:47], exec, s[40:41]
	s_or_b64 s[38:39], s[46:47], s[38:39]
	v_mov_b64_e32 v[20:21], s[42:43]
	s_mov_b64 s[42:43], s[44:45]
	s_andn2_b64 exec, exec, s[38:39]
	s_cbranch_execz .LBB163_268
.LBB163_266:                            ; =>This Inner Loop Header: Depth=1
	s_or_b64 s[40:41], s[40:41], exec
	s_cmp_eq_u64 s[26:27], s[42:43]
	s_cbranch_scc0 .LBB163_264
; %bb.267:                              ;   in Loop: Header=BB163_266 Depth=1
                                        ; implicit-def: $sgpr44_sgpr45
	s_mov_b64 s[42:43], s[26:27]
	s_branch .LBB163_265
.LBB163_268:
	s_or_b64 exec, exec, s[38:39]
	v_cmp_gt_i64_e32 vcc, s[26:27], v[20:21]
	s_orn2_b64 s[38:39], vcc, exec
.LBB163_269:
	s_or_b64 exec, exec, s[14:15]
.LBB163_270:
	s_and_b64 s[14:15], s[38:39], exec
.LBB163_271:
	s_or_b64 exec, exec, s[36:37]
	v_cmp_gt_u32_e32 vcc, s3, v28
	s_and_saveexec_b64 s[36:37], vcc
	s_cbranch_execz .LBB163_282
; %bb.272:
	s_andn2_b64 vcc, exec, s[6:7]
	s_mov_b64 s[38:39], 0
	s_cbranch_vccnz .LBB163_281
; %bb.273:
	v_mov_b64_e32 v[18:19], s[28:29]
	v_mad_u64_u32 v[16:17], s[18:19], v6, s26, v[18:19]
	v_mul_lo_u32 v20, v6, s27
	v_mul_lo_u32 v21, v7, s26
	v_add3_u32 v17, v21, v17, v20
	v_mad_u64_u32 v[18:19], s[18:19], v8, s26, v[18:19]
	v_mul_lo_u32 v20, v8, s27
	v_mul_lo_u32 v21, v9, s26
	v_add3_u32 v19, v21, v19, v20
	global_load_ubyte v20, v[16:17], off
	global_load_ubyte v21, v[18:19], off
	s_mov_b64 s[38:39], -1
	s_waitcnt vmcnt(0)
	v_cmp_eq_u16_e32 vcc, v20, v21
	s_and_saveexec_b64 s[18:19], vcc
	s_cbranch_execz .LBB163_280
; %bb.274:
	s_mov_b64 s[42:43], 1
	s_mov_b64 s[38:39], 0
                                        ; implicit-def: $sgpr40_sgpr41
	s_branch .LBB163_277
.LBB163_275:                            ;   in Loop: Header=BB163_277 Depth=1
	v_lshl_add_u64 v[20:21], v[16:17], 0, s[42:43]
	v_lshl_add_u64 v[22:23], v[18:19], 0, s[42:43]
	global_load_ubyte v31, v[20:21], off
	global_load_ubyte v32, v[22:23], off
	s_add_u32 s44, s42, 1
	s_addc_u32 s45, s43, 0
	s_andn2_b64 s[40:41], s[40:41], exec
	s_waitcnt vmcnt(0)
	v_cmp_ne_u16_e32 vcc, v31, v32
	s_and_b64 s[46:47], vcc, exec
	s_or_b64 s[40:41], s[40:41], s[46:47]
.LBB163_276:                            ;   in Loop: Header=BB163_277 Depth=1
	s_and_b64 s[46:47], exec, s[40:41]
	s_or_b64 s[38:39], s[46:47], s[38:39]
	v_mov_b64_e32 v[20:21], s[42:43]
	s_mov_b64 s[42:43], s[44:45]
	s_andn2_b64 exec, exec, s[38:39]
	s_cbranch_execz .LBB163_279
.LBB163_277:                            ; =>This Inner Loop Header: Depth=1
	s_or_b64 s[40:41], s[40:41], exec
	s_cmp_eq_u64 s[26:27], s[42:43]
	s_cbranch_scc0 .LBB163_275
; %bb.278:                              ;   in Loop: Header=BB163_277 Depth=1
                                        ; implicit-def: $sgpr44_sgpr45
	s_mov_b64 s[42:43], s[26:27]
	s_branch .LBB163_276
.LBB163_279:
	s_or_b64 exec, exec, s[38:39]
	v_cmp_gt_i64_e32 vcc, s[26:27], v[20:21]
	s_orn2_b64 s[38:39], vcc, exec
.LBB163_280:
	s_or_b64 exec, exec, s[18:19]
.LBB163_281:
	s_and_b64 s[18:19], s[38:39], exec
.LBB163_282:
	s_or_b64 exec, exec, s[36:37]
	v_cmp_gt_u32_e32 vcc, s3, v24
	s_mov_b64 s[36:37], 0
	s_mov_b64 s[38:39], 0
	s_and_saveexec_b64 s[40:41], vcc
	s_cbranch_execz .LBB163_293
; %bb.283:
	s_andn2_b64 vcc, exec, s[6:7]
	s_mov_b64 s[42:43], 0
	s_cbranch_vccnz .LBB163_292
; %bb.284:
	v_mov_b64_e32 v[18:19], s[28:29]
	v_mad_u64_u32 v[16:17], s[38:39], v12, s26, v[18:19]
	v_mul_lo_u32 v20, v12, s27
	v_mul_lo_u32 v21, v13, s26
	v_add3_u32 v17, v21, v17, v20
	v_mad_u64_u32 v[18:19], s[38:39], v6, s26, v[18:19]
	v_mul_lo_u32 v20, v6, s27
	v_mul_lo_u32 v21, v7, s26
	v_add3_u32 v19, v21, v19, v20
	global_load_ubyte v20, v[16:17], off
	global_load_ubyte v21, v[18:19], off
	s_mov_b64 s[42:43], -1
	s_waitcnt vmcnt(0)
	v_cmp_eq_u16_e32 vcc, v20, v21
	s_and_saveexec_b64 s[38:39], vcc
	s_cbranch_execz .LBB163_291
; %bb.285:
	s_mov_b64 s[46:47], 1
	s_mov_b64 s[42:43], 0
                                        ; implicit-def: $sgpr44_sgpr45
	s_branch .LBB163_288
.LBB163_286:                            ;   in Loop: Header=BB163_288 Depth=1
	v_lshl_add_u64 v[20:21], v[16:17], 0, s[46:47]
	v_lshl_add_u64 v[22:23], v[18:19], 0, s[46:47]
	global_load_ubyte v31, v[20:21], off
	global_load_ubyte v32, v[22:23], off
	s_add_u32 s48, s46, 1
	s_addc_u32 s49, s47, 0
	s_andn2_b64 s[44:45], s[44:45], exec
	s_waitcnt vmcnt(0)
	v_cmp_ne_u16_e32 vcc, v31, v32
	s_and_b64 s[50:51], vcc, exec
	s_or_b64 s[44:45], s[44:45], s[50:51]
.LBB163_287:                            ;   in Loop: Header=BB163_288 Depth=1
	s_and_b64 s[50:51], exec, s[44:45]
	s_or_b64 s[42:43], s[50:51], s[42:43]
	v_mov_b64_e32 v[20:21], s[46:47]
	s_mov_b64 s[46:47], s[48:49]
	s_andn2_b64 exec, exec, s[42:43]
	s_cbranch_execz .LBB163_290
.LBB163_288:                            ; =>This Inner Loop Header: Depth=1
	s_or_b64 s[44:45], s[44:45], exec
	s_cmp_eq_u64 s[26:27], s[46:47]
	s_cbranch_scc0 .LBB163_286
; %bb.289:                              ;   in Loop: Header=BB163_288 Depth=1
                                        ; implicit-def: $sgpr48_sgpr49
	s_mov_b64 s[46:47], s[26:27]
	s_branch .LBB163_287
.LBB163_290:
	s_or_b64 exec, exec, s[42:43]
	v_cmp_gt_i64_e32 vcc, s[26:27], v[20:21]
	s_orn2_b64 s[42:43], vcc, exec
.LBB163_291:
	s_or_b64 exec, exec, s[38:39]
.LBB163_292:
	s_and_b64 s[38:39], s[42:43], exec
.LBB163_293:
	s_or_b64 exec, exec, s[40:41]
	v_cmp_gt_u32_e32 vcc, s3, v25
	s_and_saveexec_b64 s[40:41], vcc
	s_cbranch_execz .LBB163_304
; %bb.294:
	s_andn2_b64 vcc, exec, s[6:7]
	s_mov_b64 s[42:43], 0
	s_cbranch_vccnz .LBB163_303
; %bb.295:
	v_mov_b64_e32 v[18:19], s[28:29]
	v_mad_u64_u32 v[16:17], s[36:37], v10, s26, v[18:19]
	v_mul_lo_u32 v20, v10, s27
	v_mul_lo_u32 v21, v11, s26
	v_add3_u32 v17, v21, v17, v20
	v_mad_u64_u32 v[18:19], s[36:37], v12, s26, v[18:19]
	v_mul_lo_u32 v20, v12, s27
	v_mul_lo_u32 v21, v13, s26
	v_add3_u32 v19, v21, v19, v20
	global_load_ubyte v20, v[16:17], off
	global_load_ubyte v21, v[18:19], off
	s_mov_b64 s[42:43], -1
	s_waitcnt vmcnt(0)
	v_cmp_eq_u16_e32 vcc, v20, v21
	s_and_saveexec_b64 s[36:37], vcc
	s_cbranch_execz .LBB163_302
; %bb.296:
	s_mov_b64 s[46:47], 1
	s_mov_b64 s[42:43], 0
                                        ; implicit-def: $sgpr44_sgpr45
	s_branch .LBB163_299
.LBB163_297:                            ;   in Loop: Header=BB163_299 Depth=1
	v_lshl_add_u64 v[20:21], v[16:17], 0, s[46:47]
	v_lshl_add_u64 v[22:23], v[18:19], 0, s[46:47]
	global_load_ubyte v31, v[20:21], off
	global_load_ubyte v32, v[22:23], off
	s_add_u32 s48, s46, 1
	s_addc_u32 s49, s47, 0
	s_andn2_b64 s[44:45], s[44:45], exec
	s_waitcnt vmcnt(0)
	v_cmp_ne_u16_e32 vcc, v31, v32
	s_and_b64 s[50:51], vcc, exec
	s_or_b64 s[44:45], s[44:45], s[50:51]
.LBB163_298:                            ;   in Loop: Header=BB163_299 Depth=1
	s_and_b64 s[50:51], exec, s[44:45]
	s_or_b64 s[42:43], s[50:51], s[42:43]
	v_mov_b64_e32 v[20:21], s[46:47]
	s_mov_b64 s[46:47], s[48:49]
	s_andn2_b64 exec, exec, s[42:43]
	s_cbranch_execz .LBB163_301
.LBB163_299:                            ; =>This Inner Loop Header: Depth=1
	s_or_b64 s[44:45], s[44:45], exec
	s_cmp_eq_u64 s[26:27], s[46:47]
	s_cbranch_scc0 .LBB163_297
; %bb.300:                              ;   in Loop: Header=BB163_299 Depth=1
                                        ; implicit-def: $sgpr48_sgpr49
	s_mov_b64 s[46:47], s[26:27]
	s_branch .LBB163_298
.LBB163_301:
	s_or_b64 exec, exec, s[42:43]
	v_cmp_gt_i64_e32 vcc, s[26:27], v[20:21]
	s_orn2_b64 s[42:43], vcc, exec
.LBB163_302:
	s_or_b64 exec, exec, s[36:37]
.LBB163_303:
	s_and_b64 s[36:37], s[42:43], exec
.LBB163_304:
	s_or_b64 exec, exec, s[40:41]
	v_cndmask_b32_e64 v17, 0, 1, s[18:19]
	v_cndmask_b32_e64 v16, 0, 1, s[38:39]
	;; [unrolled: 1-line block ×3, first 2 shown]
	v_lshlrev_b16_e32 v17, 8, v17
	v_cndmask_b32_e64 v31, 0, 1, s[14:15]
	v_cndmask_b32_e64 v18, 0, 1, s[36:37]
	v_or_b32_sdwa v16, v16, v17 dst_sel:WORD_1 dst_unused:UNUSED_PAD src0_sel:DWORD src1_sel:DWORD
	v_lshlrev_b16_e32 v17, 8, v32
	v_lshlrev_b16_e32 v18, 8, v18
	v_or_b32_e32 v17, v31, v17
	v_or_b32_e32 v18, 1, v18
	v_and_b32_e32 v17, 0xffff, v17
	v_cndmask_b32_e64 v33, 0, 1, s[4:5]
	v_or_b32_sdwa v16, v18, v16 dst_sel:DWORD dst_unused:UNUSED_PAD src0_sel:WORD_0 src1_sel:DWORD
	v_lshl_or_b32 v17, v33, 16, v17
	v_cmp_ne_u32_e32 vcc, 0, v0
	s_waitcnt lgkmcnt(0)
	s_barrier
	s_waitcnt lgkmcnt(0)
                                        ; implicit-def: $sgpr18_sgpr19
                                        ; implicit-def: $vgpr20
	s_and_saveexec_b64 s[4:5], vcc
	s_cbranch_execz .LBB163_317
; %bb.305:
	v_cmp_gt_u32_e32 vcc, s3, v1
	s_mov_b32 s33, 0x3020104
	s_mov_b64 s[14:15], 0
	s_and_saveexec_b64 s[12:13], vcc
	s_cbranch_execz .LBB163_316
; %bb.306:
	s_andn2_b64 vcc, exec, s[6:7]
	s_cbranch_vccnz .LBB163_315
; %bb.307:
	v_add_u32_e32 v17, -8, v30
	ds_read_b64 v[18:19], v17
	v_mov_b64_e32 v[20:21], s[28:29]
	s_mov_b64 s[14:15], -1
	s_waitcnt lgkmcnt(0)
	v_mul_lo_u32 v17, v18, s27
	v_mul_lo_u32 v22, v19, s26
	v_mad_u64_u32 v[18:19], s[6:7], v18, s26, v[20:21]
	v_add3_u32 v19, v22, v19, v17
	v_mad_u64_u32 v[20:21], s[6:7], v10, s26, v[20:21]
	v_mul_lo_u32 v17, v10, s27
	v_mul_lo_u32 v22, v11, s26
	v_add3_u32 v21, v22, v21, v17
	global_load_ubyte v17, v[18:19], off
	global_load_ubyte v22, v[20:21], off
	s_waitcnt vmcnt(0)
	v_cmp_eq_u16_e32 vcc, v17, v22
	s_and_saveexec_b64 s[6:7], vcc
	s_cbranch_execz .LBB163_314
; %bb.308:
	s_mov_b64 s[28:29], 1
	s_mov_b64 s[14:15], 0
                                        ; implicit-def: $sgpr18_sgpr19
	s_branch .LBB163_311
.LBB163_309:                            ;   in Loop: Header=BB163_311 Depth=1
	v_lshl_add_u64 v[22:23], v[18:19], 0, s[28:29]
	v_lshl_add_u64 v[34:35], v[20:21], 0, s[28:29]
	global_load_ubyte v17, v[22:23], off
	global_load_ubyte v30, v[34:35], off
	s_add_u32 s36, s28, 1
	s_addc_u32 s37, s29, 0
	s_andn2_b64 s[18:19], s[18:19], exec
	s_waitcnt vmcnt(0)
	v_cmp_ne_u16_e32 vcc, v17, v30
	s_and_b64 s[38:39], vcc, exec
	s_or_b64 s[18:19], s[18:19], s[38:39]
.LBB163_310:                            ;   in Loop: Header=BB163_311 Depth=1
	s_and_b64 s[38:39], exec, s[18:19]
	s_or_b64 s[14:15], s[38:39], s[14:15]
	v_mov_b64_e32 v[22:23], s[28:29]
	s_mov_b64 s[28:29], s[36:37]
	s_andn2_b64 exec, exec, s[14:15]
	s_cbranch_execz .LBB163_313
.LBB163_311:                            ; =>This Inner Loop Header: Depth=1
	s_or_b64 s[18:19], s[18:19], exec
	s_cmp_eq_u64 s[26:27], s[28:29]
	s_cbranch_scc0 .LBB163_309
; %bb.312:                              ;   in Loop: Header=BB163_311 Depth=1
                                        ; implicit-def: $sgpr36_sgpr37
	s_mov_b64 s[28:29], s[26:27]
	s_branch .LBB163_310
.LBB163_313:
	s_or_b64 exec, exec, s[14:15]
	v_cmp_gt_i64_e32 vcc, s[26:27], v[22:23]
	s_orn2_b64 s[14:15], vcc, exec
.LBB163_314:
	s_or_b64 exec, exec, s[6:7]
.LBB163_315:
	s_and_b64 s[14:15], s[14:15], exec
.LBB163_316:
	s_or_b64 exec, exec, s[12:13]
	v_perm_b32 v20, v16, v16, s33
	s_and_b64 s[18:19], s[14:15], exec
	s_or_b64 s[10:11], s[10:11], exec
                                        ; implicit-def: $vgpr16_vgpr17
.LBB163_317:
	s_or_b64 exec, exec, s[4:5]
.LBB163_318:
	s_and_saveexec_b64 s[4:5], s[10:11]
	s_cbranch_execz .LBB163_320
; %bb.319:
	v_lshlrev_b16_e32 v17, 8, v32
	s_waitcnt lgkmcnt(0)
	v_and_b32_e32 v18, 0xff, v33
	v_or_b32_sdwa v17, v31, v17 dst_sel:DWORD dst_unused:UNUSED_PAD src0_sel:BYTE_0 src1_sel:DWORD
	v_lshlrev_b32_e32 v18, 16, v18
	s_movk_i32 s6, 0xff
	v_or_b32_sdwa v17, v17, v18 dst_sel:DWORD dst_unused:UNUSED_PAD src0_sel:WORD_0 src1_sel:DWORD
	v_lshrrev_b32_e32 v18, 24, v20
	v_lshlrev_b16_e32 v18, 8, v18
	v_and_b32_sdwa v19, v20, s6 dst_sel:DWORD dst_unused:UNUSED_PAD src0_sel:WORD_1 src1_sel:DWORD
	v_or_b32_sdwa v18, v19, v18 dst_sel:WORD_1 dst_unused:UNUSED_PAD src0_sel:DWORD src1_sel:DWORD
	v_mov_b32_e32 v19, 8
	v_cndmask_b32_e64 v16, 0, 1, s[18:19]
	v_lshrrev_b32_sdwa v19, v19, v20 dst_sel:BYTE_1 dst_unused:UNUSED_PAD src0_sel:DWORD src1_sel:DWORD
	s_nop 0
	v_or_b32_e32 v16, v16, v19
	v_or_b32_sdwa v16, v16, v18 dst_sel:DWORD dst_unused:UNUSED_PAD src0_sel:WORD_0 src1_sel:DWORD
.LBB163_320:
	s_or_b64 exec, exec, s[4:5]
	s_andn2_b64 vcc, exec, s[8:9]
	s_cbranch_vccnz .LBB163_322
; %bb.321:
	s_waitcnt lgkmcnt(0)
	v_and_b32_e32 v18, 0xffff0000, v16
	v_cmp_gt_u32_e32 vcc, s3, v1
	s_mov_b32 s4, 0x40c0100
	s_nop 0
	v_cndmask_b32_e32 v1, v18, v16, vcc
	v_and_b32_e32 v1, 0xffff00ff, v1
	v_cmp_gt_u32_e32 vcc, s3, v25
	s_nop 1
	v_cndmask_b32_e32 v1, v1, v16, vcc
	v_lshrrev_b32_e32 v18, 24, v1
	v_perm_b32 v1, v18, v1, s4
	v_cmp_gt_u32_e32 vcc, s3, v24
	v_and_b32_e32 v18, 0xffffff00, v17
	s_nop 0
	v_cndmask_b32_e32 v1, v1, v16, vcc
	v_and_b32_e32 v1, 0xffffff, v1
	v_cmp_gt_u32_e32 vcc, s3, v28
	s_nop 1
	v_cndmask_b32_e32 v1, v1, v16, vcc
	v_cmp_gt_u32_e32 vcc, s3, v26
	s_nop 1
	v_cndmask_b32_e32 v18, v18, v17, vcc
	v_and_b32_e32 v18, 0xffff00ff, v18
	v_cndmask_b32_e32 v1, v1, v16, vcc
	v_cmp_gt_u32_e32 vcc, s3, v29
	s_nop 1
	v_cndmask_b32_e32 v18, v18, v17, vcc
	v_lshrrev_b32_e32 v19, 24, v18
	v_cndmask_b32_e32 v1, v1, v16, vcc
	v_perm_b32 v18, v19, v18, s4
	v_cmp_gt_u32_e32 vcc, s3, v27
	s_mov_b32 s3, 0x3020104
	s_nop 0
	v_cndmask_b32_e32 v1, v1, v16, vcc
	v_cndmask_b32_e32 v16, v18, v17, vcc
	v_mov_b32_e32 v17, 8
	v_lshrrev_b32_sdwa v17, v17, v16 dst_sel:BYTE_1 dst_unused:UNUSED_PAD src0_sel:DWORD src1_sel:DWORD
	s_nop 0
	v_or_b32_sdwa v17, v16, v17 dst_sel:DWORD dst_unused:UNUSED_PAD src0_sel:BYTE_0 src1_sel:DWORD
	v_and_b32_e32 v17, 0xffff, v17
	v_bfe_u32 v16, v16, 16, 8
	v_lshl_or_b32 v17, v16, 16, v17
	v_perm_b32 v16, v1, v1, s3
.LBB163_322:
	v_and_b32_e32 v1, 0xff, v16
	v_bfe_u32 v29, v16, 8, 8
	v_bfe_u32 v31, v16, 16, 8
	s_waitcnt lgkmcnt(0)
	v_alignbit_b32 v18, v17, v16, 24
	v_and_b32_e32 v33, 0xff, v18
	v_and_b32_e32 v35, 0xff, v17
	v_add3_u32 v19, v29, v1, v31
	v_bfe_u32 v36, v17, 8, 8
	v_bfe_u32 v18, v17, 16, 8
	v_add3_u32 v19, v19, v33, v35
	v_add3_u32 v39, v19, v36, v18
	v_mbcnt_lo_u32_b32 v18, -1, 0
	v_mbcnt_hi_u32_b32 v37, -1, v18
	v_and_b32_e32 v18, 15, v37
	v_cmp_eq_u32_e64 s[14:15], 0, v18
	v_cmp_lt_u32_e64 s[12:13], 1, v18
	v_cmp_lt_u32_e64 s[10:11], 3, v18
	;; [unrolled: 1-line block ×3, first 2 shown]
	v_and_b32_e32 v18, 16, v37
	v_cmp_eq_u32_e64 s[6:7], 0, v18
	v_or_b32_e32 v18, 63, v0
	v_cmp_lt_u32_e64 s[18:19], 31, v37
	v_lshrrev_b32_e32 v38, 6, v0
	v_cmp_eq_u32_e64 s[4:5], v18, v0
	s_and_b64 vcc, exec, s[16:17]
	s_barrier
	s_cbranch_vccz .LBB163_349
; %bb.323:
	v_mov_b32_dpp v18, v39 row_shr:1 row_mask:0xf bank_mask:0xf
	v_cndmask_b32_e64 v18, v18, 0, s[14:15]
	v_add_u32_e32 v18, v18, v39
	s_nop 1
	v_mov_b32_dpp v19, v18 row_shr:2 row_mask:0xf bank_mask:0xf
	v_cndmask_b32_e64 v19, 0, v19, s[12:13]
	v_add_u32_e32 v18, v18, v19
	s_nop 1
	;; [unrolled: 4-line block ×4, first 2 shown]
	v_mov_b32_dpp v19, v18 row_bcast:15 row_mask:0xf bank_mask:0xf
	v_cndmask_b32_e64 v19, v19, 0, s[6:7]
	v_add_u32_e32 v18, v18, v19
	s_nop 1
	v_mov_b32_dpp v19, v18 row_bcast:31 row_mask:0xf bank_mask:0xf
	v_cndmask_b32_e64 v19, 0, v19, s[18:19]
	v_add_u32_e32 v18, v18, v19
	s_and_saveexec_b64 s[16:17], s[4:5]
	s_cbranch_execz .LBB163_325
; %bb.324:
	v_lshlrev_b32_e32 v19, 2, v38
	ds_write_b32 v19, v18
.LBB163_325:
	s_or_b64 exec, exec, s[16:17]
	v_cmp_gt_u32_e32 vcc, 8, v0
	s_waitcnt lgkmcnt(0)
	s_barrier
	s_and_saveexec_b64 s[16:17], vcc
	s_cbranch_execz .LBB163_327
; %bb.326:
	v_lshlrev_b32_e32 v19, 2, v0
	ds_read_b32 v20, v19
	v_and_b32_e32 v21, 7, v37
	v_cmp_ne_u32_e32 vcc, 0, v21
	s_waitcnt lgkmcnt(0)
	v_mov_b32_dpp v22, v20 row_shr:1 row_mask:0xf bank_mask:0xf
	v_cndmask_b32_e32 v22, 0, v22, vcc
	v_add_u32_e32 v20, v22, v20
	v_cmp_lt_u32_e32 vcc, 1, v21
	s_nop 0
	v_mov_b32_dpp v22, v20 row_shr:2 row_mask:0xf bank_mask:0xf
	v_cndmask_b32_e32 v22, 0, v22, vcc
	v_add_u32_e32 v20, v20, v22
	v_cmp_lt_u32_e32 vcc, 3, v21
	s_nop 0
	v_mov_b32_dpp v22, v20 row_shr:4 row_mask:0xf bank_mask:0xf
	v_cndmask_b32_e32 v21, 0, v22, vcc
	v_add_u32_e32 v20, v20, v21
	ds_write_b32 v19, v20
.LBB163_327:
	s_or_b64 exec, exec, s[16:17]
	v_cmp_gt_u32_e32 vcc, 64, v0
	v_cmp_lt_u32_e64 s[16:17], 63, v0
	s_waitcnt lgkmcnt(0)
	s_barrier
	s_waitcnt lgkmcnt(0)
                                        ; implicit-def: $vgpr28
	s_and_saveexec_b64 s[26:27], s[16:17]
	s_cbranch_execz .LBB163_329
; %bb.328:
	v_lshl_add_u32 v19, v38, 2, -4
	ds_read_b32 v28, v19
	s_waitcnt lgkmcnt(0)
	v_add_u32_e32 v18, v28, v18
.LBB163_329:
	s_or_b64 exec, exec, s[26:27]
	v_add_u32_e32 v19, -1, v37
	v_and_b32_e32 v20, 64, v37
	v_cmp_lt_i32_e64 s[16:17], v19, v20
	s_nop 1
	v_cndmask_b32_e64 v19, v19, v37, s[16:17]
	v_lshlrev_b32_e32 v19, 2, v19
	ds_bpermute_b32 v30, v19, v18
	v_cmp_eq_u32_e64 s[16:17], 0, v37
	s_and_saveexec_b64 s[26:27], vcc
	s_cbranch_execz .LBB163_348
; %bb.330:
	v_mov_b32_e32 v25, 0
	ds_read_b32 v18, v25 offset:28
	s_and_saveexec_b64 s[28:29], s[16:17]
	s_cbranch_execz .LBB163_332
; %bb.331:
	s_add_i32 s36, s2, 64
	s_mov_b32 s37, 0
	s_lshl_b64 s[36:37], s[36:37], 3
	s_add_u32 s36, s30, s36
	v_mov_b32_e32 v19, 1
	s_addc_u32 s37, s31, s37
	s_waitcnt lgkmcnt(0)
	global_store_dwordx2 v25, v[18:19], s[36:37] sc1
.LBB163_332:
	s_or_b64 exec, exec, s[28:29]
	v_xad_u32 v20, v37, -1, s2
	v_add_u32_e32 v24, 64, v20
	v_lshl_add_u64 v[26:27], v[24:25], 3, s[30:31]
	global_load_dwordx2 v[22:23], v[26:27], off sc1
	s_waitcnt vmcnt(0)
	v_cmp_eq_u16_sdwa s[36:37], v23, v25 src0_sel:BYTE_0 src1_sel:DWORD
	s_and_saveexec_b64 s[28:29], s[36:37]
	s_cbranch_execz .LBB163_336
; %bb.333:
	s_mov_b64 s[36:37], 0
	v_mov_b32_e32 v19, 0
.LBB163_334:                            ; =>This Inner Loop Header: Depth=1
	global_load_dwordx2 v[22:23], v[26:27], off sc1
	s_waitcnt vmcnt(0)
	v_cmp_ne_u16_sdwa s[38:39], v23, v19 src0_sel:BYTE_0 src1_sel:DWORD
	s_or_b64 s[36:37], s[38:39], s[36:37]
	s_andn2_b64 exec, exec, s[36:37]
	s_cbranch_execnz .LBB163_334
; %bb.335:
	s_or_b64 exec, exec, s[36:37]
.LBB163_336:
	s_or_b64 exec, exec, s[28:29]
	v_and_b32_e32 v32, 63, v37
	v_mov_b32_e32 v19, 2
	v_cmp_ne_u32_e32 vcc, 63, v32
	v_cmp_eq_u16_sdwa s[28:29], v23, v19 src0_sel:BYTE_0 src1_sel:DWORD
	v_lshlrev_b64 v[24:25], v37, -1
	v_addc_co_u32_e32 v27, vcc, 0, v37, vcc
	v_and_b32_e32 v21, s29, v25
	v_lshlrev_b32_e32 v34, 2, v27
	v_or_b32_e32 v21, 0x80000000, v21
	ds_bpermute_b32 v27, v34, v22
	v_and_b32_e32 v26, s28, v24
	v_ffbl_b32_e32 v21, v21
	v_add_u32_e32 v21, 32, v21
	v_ffbl_b32_e32 v26, v26
	v_min_u32_e32 v21, v26, v21
	v_cmp_lt_u32_e32 vcc, v32, v21
	v_add_u32_e32 v41, 2, v32
	v_add_u32_e32 v43, 4, v32
	s_waitcnt lgkmcnt(0)
	v_cndmask_b32_e32 v26, 0, v27, vcc
	v_cmp_gt_u32_e32 vcc, 62, v32
	v_add_u32_e32 v22, v26, v22
	v_add_u32_e32 v45, 8, v32
	v_cndmask_b32_e64 v26, 0, 1, vcc
	v_lshlrev_b32_e32 v26, 1, v26
	v_add_lshl_u32 v40, v26, v37, 2
	ds_bpermute_b32 v26, v40, v22
	v_cmp_le_u32_e32 vcc, v41, v21
	v_add_u32_e32 v48, 16, v32
	v_add_u32_e32 v50, 32, v32
	s_waitcnt lgkmcnt(0)
	v_cndmask_b32_e32 v26, 0, v26, vcc
	v_cmp_gt_u32_e32 vcc, 60, v32
	v_add_u32_e32 v22, v22, v26
	s_nop 0
	v_cndmask_b32_e64 v26, 0, 1, vcc
	v_lshlrev_b32_e32 v26, 2, v26
	v_add_lshl_u32 v42, v26, v37, 2
	ds_bpermute_b32 v26, v42, v22
	v_cmp_le_u32_e32 vcc, v43, v21
	s_waitcnt lgkmcnt(0)
	s_nop 0
	v_cndmask_b32_e32 v26, 0, v26, vcc
	v_cmp_gt_u32_e32 vcc, 56, v32
	v_add_u32_e32 v22, v22, v26
	s_nop 0
	v_cndmask_b32_e64 v26, 0, 1, vcc
	v_lshlrev_b32_e32 v26, 3, v26
	v_add_lshl_u32 v44, v26, v37, 2
	ds_bpermute_b32 v26, v44, v22
	v_cmp_le_u32_e32 vcc, v45, v21
	s_waitcnt lgkmcnt(0)
	s_nop 0
	;; [unrolled: 11-line block ×4, first 2 shown]
	v_cndmask_b32_e32 v21, 0, v26, vcc
	v_add_u32_e32 v22, v22, v21
	v_mov_b32_e32 v21, 0
	s_branch .LBB163_338
.LBB163_337:                            ;   in Loop: Header=BB163_338 Depth=1
	s_or_b64 exec, exec, s[28:29]
	v_cmp_eq_u16_sdwa s[28:29], v23, v19 src0_sel:BYTE_0 src1_sel:DWORD
	ds_bpermute_b32 v51, v34, v22
	v_subrev_u32_e32 v20, 64, v20
	v_and_b32_e32 v26, s29, v25
	v_or_b32_e32 v26, 0x80000000, v26
	v_and_b32_e32 v27, s28, v24
	v_ffbl_b32_e32 v26, v26
	v_add_u32_e32 v26, 32, v26
	v_ffbl_b32_e32 v27, v27
	v_min_u32_e32 v26, v27, v26
	v_cmp_lt_u32_e32 vcc, v32, v26
	s_waitcnt lgkmcnt(0)
	s_nop 0
	v_cndmask_b32_e32 v27, 0, v51, vcc
	v_add_u32_e32 v22, v27, v22
	ds_bpermute_b32 v27, v40, v22
	v_cmp_le_u32_e32 vcc, v41, v26
	s_waitcnt lgkmcnt(0)
	s_nop 0
	v_cndmask_b32_e32 v27, 0, v27, vcc
	v_add_u32_e32 v22, v22, v27
	ds_bpermute_b32 v27, v42, v22
	v_cmp_le_u32_e32 vcc, v43, v26
	;; [unrolled: 6-line block ×5, first 2 shown]
	s_waitcnt lgkmcnt(0)
	s_nop 0
	v_cndmask_b32_e32 v26, 0, v27, vcc
	v_add3_u32 v22, v26, v46, v22
.LBB163_338:                            ; =>This Loop Header: Depth=1
                                        ;     Child Loop BB163_341 Depth 2
	v_cmp_ne_u16_sdwa s[28:29], v23, v19 src0_sel:BYTE_0 src1_sel:DWORD
	v_mov_b32_e32 v46, v22
	s_nop 0
	v_cndmask_b32_e64 v23, 0, 1, s[28:29]
	;;#ASMSTART
	;;#ASMEND
	s_nop 0
	v_cmp_ne_u32_e32 vcc, 0, v23
	s_cmp_lg_u64 vcc, exec
	s_cbranch_scc1 .LBB163_343
; %bb.339:                              ;   in Loop: Header=BB163_338 Depth=1
	v_lshl_add_u64 v[26:27], v[20:21], 3, s[30:31]
	global_load_dwordx2 v[22:23], v[26:27], off sc1
	s_waitcnt vmcnt(0)
	v_cmp_eq_u16_sdwa s[36:37], v23, v21 src0_sel:BYTE_0 src1_sel:DWORD
	s_and_saveexec_b64 s[28:29], s[36:37]
	s_cbranch_execz .LBB163_337
; %bb.340:                              ;   in Loop: Header=BB163_338 Depth=1
	s_mov_b64 s[36:37], 0
.LBB163_341:                            ;   Parent Loop BB163_338 Depth=1
                                        ; =>  This Inner Loop Header: Depth=2
	global_load_dwordx2 v[22:23], v[26:27], off sc1
	s_waitcnt vmcnt(0)
	v_cmp_ne_u16_sdwa s[38:39], v23, v21 src0_sel:BYTE_0 src1_sel:DWORD
	s_or_b64 s[36:37], s[38:39], s[36:37]
	s_andn2_b64 exec, exec, s[36:37]
	s_cbranch_execnz .LBB163_341
; %bb.342:                              ;   in Loop: Header=BB163_338 Depth=1
	s_or_b64 exec, exec, s[36:37]
	s_branch .LBB163_337
.LBB163_343:                            ;   in Loop: Header=BB163_338 Depth=1
                                        ; implicit-def: $vgpr22
                                        ; implicit-def: $vgpr23
	s_cbranch_execz .LBB163_338
; %bb.344:
	s_and_saveexec_b64 s[28:29], s[16:17]
	s_cbranch_execz .LBB163_346
; %bb.345:
	s_add_i32 s2, s2, 64
	s_mov_b32 s3, 0
	s_lshl_b64 s[2:3], s[2:3], 3
	s_add_u32 s2, s30, s2
	v_add_u32_e32 v20, v46, v18
	v_mov_b32_e32 v21, 2
	s_addc_u32 s3, s31, s3
	v_mov_b32_e32 v19, 0
	global_store_dwordx2 v19, v[20:21], s[2:3] sc1
	s_movk_i32 s2, 0x7000
	v_add_u32_e64 v19, s2, 0
	ds_write2_b32 v19, v18, v46 offset1:2
.LBB163_346:
	s_or_b64 exec, exec, s[28:29]
	v_cmp_eq_u32_e32 vcc, 0, v0
	s_and_b64 exec, exec, vcc
	s_cbranch_execz .LBB163_348
; %bb.347:
	v_mov_b32_e32 v18, 0
	ds_write_b32 v18, v46 offset:28
.LBB163_348:
	s_or_b64 exec, exec, s[26:27]
	v_mov_b32_e32 v18, 0
	s_waitcnt lgkmcnt(0)
	s_barrier
	ds_read_b32 v18, v18 offset:28
	v_cndmask_b32_e64 v19, v30, v28, s[16:17]
	v_cmp_ne_u32_e32 vcc, 0, v0
	s_movk_i32 s2, 0x7000
	s_waitcnt lgkmcnt(0)
	v_cndmask_b32_e32 v19, 0, v19, vcc
	v_add_u32_e32 v34, v18, v19
	v_add_u32_e32 v32, v34, v1
	v_add_u32_e64 v18, s2, 0
	v_add_u32_e32 v30, v32, v29
	s_barrier
	ds_read2_b32 v[18:19], v18 offset1:2
	v_add_u32_e32 v28, v30, v31
	v_add_u32_e32 v26, v28, v33
	;; [unrolled: 1-line block ×4, first 2 shown]
	s_load_dwordx2 s[2:3], s[0:1], 0x28
	v_lshrrev_b64 v[20:21], 24, v[16:17]
	s_branch .LBB163_359
.LBB163_349:
                                        ; implicit-def: $vgpr22
                                        ; implicit-def: $vgpr24
                                        ; implicit-def: $vgpr26
                                        ; implicit-def: $vgpr28
                                        ; implicit-def: $vgpr30
                                        ; implicit-def: $vgpr32
                                        ; implicit-def: $vgpr34
                                        ; implicit-def: $vgpr19
	s_load_dwordx2 s[2:3], s[0:1], 0x28
	v_lshrrev_b64 v[20:21], 24, v[16:17]
	s_cbranch_execz .LBB163_359
; %bb.350:
	s_waitcnt lgkmcnt(0)
	v_mov_b32_dpp v18, v39 row_shr:1 row_mask:0xf bank_mask:0xf
	v_cndmask_b32_e64 v18, v18, 0, s[14:15]
	v_add_u32_e32 v18, v18, v39
	s_nop 1
	v_mov_b32_dpp v19, v18 row_shr:2 row_mask:0xf bank_mask:0xf
	v_cndmask_b32_e64 v19, 0, v19, s[12:13]
	v_add_u32_e32 v18, v18, v19
	s_nop 1
	;; [unrolled: 4-line block ×4, first 2 shown]
	v_mov_b32_dpp v19, v18 row_bcast:15 row_mask:0xf bank_mask:0xf
	v_cndmask_b32_e64 v19, v19, 0, s[6:7]
	v_add_u32_e32 v18, v18, v19
	s_nop 1
	v_mov_b32_dpp v19, v18 row_bcast:31 row_mask:0xf bank_mask:0xf
	v_cndmask_b32_e64 v19, 0, v19, s[18:19]
	v_add_u32_e32 v18, v18, v19
	s_and_saveexec_b64 s[0:1], s[4:5]
	s_cbranch_execz .LBB163_352
; %bb.351:
	v_lshlrev_b32_e32 v19, 2, v38
	ds_write_b32 v19, v18
.LBB163_352:
	s_or_b64 exec, exec, s[0:1]
	v_cmp_gt_u32_e32 vcc, 8, v0
	s_waitcnt lgkmcnt(0)
	s_barrier
	s_and_saveexec_b64 s[0:1], vcc
	s_cbranch_execz .LBB163_354
; %bb.353:
	v_lshlrev_b32_e32 v19, 2, v0
	ds_read_b32 v21, v19
	v_and_b32_e32 v22, 7, v37
	v_cmp_ne_u32_e32 vcc, 0, v22
	s_waitcnt lgkmcnt(0)
	v_mov_b32_dpp v23, v21 row_shr:1 row_mask:0xf bank_mask:0xf
	v_cndmask_b32_e32 v23, 0, v23, vcc
	v_add_u32_e32 v21, v23, v21
	v_cmp_lt_u32_e32 vcc, 1, v22
	s_nop 0
	v_mov_b32_dpp v23, v21 row_shr:2 row_mask:0xf bank_mask:0xf
	v_cndmask_b32_e32 v23, 0, v23, vcc
	v_add_u32_e32 v21, v21, v23
	v_cmp_lt_u32_e32 vcc, 3, v22
	s_nop 0
	v_mov_b32_dpp v23, v21 row_shr:4 row_mask:0xf bank_mask:0xf
	v_cndmask_b32_e32 v22, 0, v23, vcc
	v_add_u32_e32 v21, v21, v22
	ds_write_b32 v19, v21
.LBB163_354:
	s_or_b64 exec, exec, s[0:1]
	v_cmp_lt_u32_e32 vcc, 63, v0
	v_mov_b32_e32 v19, 0
	v_mov_b32_e32 v21, 0
	s_waitcnt lgkmcnt(0)
	s_barrier
	s_and_saveexec_b64 s[0:1], vcc
	s_cbranch_execz .LBB163_356
; %bb.355:
	v_lshl_add_u32 v21, v38, 2, -4
	ds_read_b32 v21, v21
.LBB163_356:
	s_or_b64 exec, exec, s[0:1]
	v_add_u32_e32 v22, -1, v37
	v_and_b32_e32 v23, 64, v37
	v_cmp_lt_i32_e32 vcc, v22, v23
	s_waitcnt lgkmcnt(0)
	v_add_u32_e32 v18, v21, v18
	v_cndmask_b32_e32 v22, v22, v37, vcc
	v_lshlrev_b32_e32 v22, 2, v22
	ds_bpermute_b32 v22, v22, v18
	ds_read_b32 v18, v19 offset:28
	v_cmp_eq_u32_e32 vcc, 0, v0
	s_and_saveexec_b64 s[0:1], vcc
	s_cbranch_execz .LBB163_358
; %bb.357:
	v_mov_b32_e32 v23, 0
	v_mov_b32_e32 v19, 2
	s_waitcnt lgkmcnt(0)
	global_store_dwordx2 v23, v[18:19], s[30:31] offset:512 sc1
.LBB163_358:
	s_or_b64 exec, exec, s[0:1]
	v_cmp_eq_u32_e64 s[0:1], 0, v37
	v_mov_b32_e32 v19, 0
	s_waitcnt lgkmcnt(0)
	v_cndmask_b32_e64 v21, v22, v21, s[0:1]
	v_cndmask_b32_e64 v34, v21, 0, vcc
	v_add_u32_e32 v32, v34, v1
	v_add_u32_e32 v30, v32, v29
	;; [unrolled: 1-line block ×6, first 2 shown]
	s_barrier
.LBB163_359:
	s_movk_i32 s0, 0x201
	s_waitcnt lgkmcnt(0)
	v_cmp_gt_u32_e32 vcc, s0, v18
	v_lshrrev_b32_e32 v21, 8, v16
	v_lshrrev_b32_e32 v1, 8, v17
	s_mov_b64 s[0:1], -1
	s_cbranch_vccnz .LBB163_363
; %bb.360:
	s_and_b64 vcc, exec, s[0:1]
	s_cbranch_vccnz .LBB163_385
.LBB163_361:
	v_cmp_eq_u32_e32 vcc, 0, v0
	s_and_b64 s[0:1], vcc, s[24:25]
	s_and_saveexec_b64 s[2:3], s[0:1]
	s_cbranch_execnz .LBB163_403
.LBB163_362:
	s_endpgm
.LBB163_363:
	v_add_u32_e32 v23, v19, v18
	v_cmp_lt_u32_e32 vcc, v34, v23
	s_or_b64 s[4:5], s[34:35], vcc
	s_and_saveexec_b64 s[0:1], s[4:5]
	s_cbranch_execz .LBB163_366
; %bb.364:
	v_and_b32_e32 v25, 1, v16
	v_cmp_eq_u32_e32 vcc, 1, v25
	s_and_b64 exec, exec, vcc
	s_cbranch_execz .LBB163_366
; %bb.365:
	s_lshl_b64 s[4:5], s[22:23], 3
	s_add_u32 s4, s2, s4
	s_addc_u32 s5, s3, s5
	v_mov_b32_e32 v35, 0
	v_lshl_add_u64 v[36:37], v[34:35], 3, s[4:5]
	global_store_dwordx2 v[36:37], v[10:11], off
.LBB163_366:
	s_or_b64 exec, exec, s[0:1]
	v_cmp_lt_u32_e32 vcc, v32, v23
	s_or_b64 s[4:5], s[34:35], vcc
	s_and_saveexec_b64 s[0:1], s[4:5]
	s_cbranch_execz .LBB163_369
; %bb.367:
	v_and_b32_e32 v25, 1, v21
	v_cmp_eq_u32_e32 vcc, 1, v25
	s_and_b64 exec, exec, vcc
	s_cbranch_execz .LBB163_369
; %bb.368:
	s_lshl_b64 s[4:5], s[22:23], 3
	s_add_u32 s4, s2, s4
	s_addc_u32 s5, s3, s5
	v_mov_b32_e32 v33, 0
	v_lshl_add_u64 v[36:37], v[32:33], 3, s[4:5]
	global_store_dwordx2 v[36:37], v[12:13], off
.LBB163_369:
	s_or_b64 exec, exec, s[0:1]
	v_cmp_lt_u32_e32 vcc, v30, v23
	s_or_b64 s[4:5], s[34:35], vcc
	s_and_saveexec_b64 s[0:1], s[4:5]
	s_cbranch_execz .LBB163_372
; %bb.370:
	v_mov_b32_e32 v25, 1
	v_and_b32_sdwa v25, v25, v16 dst_sel:DWORD dst_unused:UNUSED_PAD src0_sel:DWORD src1_sel:WORD_1
	v_cmp_eq_u32_e32 vcc, 1, v25
	s_and_b64 exec, exec, vcc
	s_cbranch_execz .LBB163_372
; %bb.371:
	s_lshl_b64 s[4:5], s[22:23], 3
	s_add_u32 s4, s2, s4
	s_addc_u32 s5, s3, s5
	v_mov_b32_e32 v31, 0
	v_lshl_add_u64 v[36:37], v[30:31], 3, s[4:5]
	global_store_dwordx2 v[36:37], v[6:7], off
.LBB163_372:
	s_or_b64 exec, exec, s[0:1]
	v_cmp_lt_u32_e32 vcc, v28, v23
	s_or_b64 s[4:5], s[34:35], vcc
	s_and_saveexec_b64 s[0:1], s[4:5]
	s_cbranch_execz .LBB163_375
; %bb.373:
	v_and_b32_e32 v25, 1, v20
	v_cmp_eq_u32_e32 vcc, 1, v25
	s_and_b64 exec, exec, vcc
	s_cbranch_execz .LBB163_375
; %bb.374:
	s_lshl_b64 s[4:5], s[22:23], 3
	s_add_u32 s4, s2, s4
	s_addc_u32 s5, s3, s5
	v_mov_b32_e32 v29, 0
	v_lshl_add_u64 v[36:37], v[28:29], 3, s[4:5]
	global_store_dwordx2 v[36:37], v[8:9], off
.LBB163_375:
	s_or_b64 exec, exec, s[0:1]
	v_cmp_lt_u32_e32 vcc, v26, v23
	s_or_b64 s[4:5], s[34:35], vcc
	s_and_saveexec_b64 s[0:1], s[4:5]
	s_cbranch_execz .LBB163_378
; %bb.376:
	v_and_b32_e32 v25, 1, v17
	v_cmp_eq_u32_e32 vcc, 1, v25
	s_and_b64 exec, exec, vcc
	s_cbranch_execz .LBB163_378
; %bb.377:
	s_lshl_b64 s[4:5], s[22:23], 3
	s_add_u32 s4, s2, s4
	s_addc_u32 s5, s3, s5
	v_mov_b32_e32 v27, 0
	v_lshl_add_u64 v[36:37], v[26:27], 3, s[4:5]
	global_store_dwordx2 v[36:37], v[2:3], off
.LBB163_378:
	;; [unrolled: 18-line block ×3, first 2 shown]
	s_or_b64 exec, exec, s[0:1]
	v_cmp_lt_u32_e32 vcc, v22, v23
	s_or_b64 s[4:5], s[34:35], vcc
	s_and_saveexec_b64 s[0:1], s[4:5]
	s_cbranch_execz .LBB163_384
; %bb.382:
	v_mov_b32_e32 v23, 1
	v_and_b32_sdwa v23, v23, v17 dst_sel:DWORD dst_unused:UNUSED_PAD src0_sel:DWORD src1_sel:WORD_1
	v_cmp_eq_u32_e32 vcc, 1, v23
	s_and_b64 exec, exec, vcc
	s_cbranch_execz .LBB163_384
; %bb.383:
	s_lshl_b64 s[4:5], s[22:23], 3
	s_add_u32 s4, s2, s4
	s_addc_u32 s5, s3, s5
	v_mov_b32_e32 v23, 0
	v_lshl_add_u64 v[36:37], v[22:23], 3, s[4:5]
	global_store_dwordx2 v[36:37], v[14:15], off
.LBB163_384:
	s_or_b64 exec, exec, s[0:1]
	s_branch .LBB163_361
.LBB163_385:
	v_and_b32_e32 v23, 1, v16
	v_cmp_eq_u32_e32 vcc, 1, v23
	s_and_saveexec_b64 s[0:1], vcc
	s_cbranch_execz .LBB163_387
; %bb.386:
	v_sub_u32_e32 v23, v34, v19
	v_lshlrev_b32_e32 v23, 3, v23
	ds_write_b64 v23, v[10:11]
.LBB163_387:
	s_or_b64 exec, exec, s[0:1]
	v_and_b32_e32 v10, 1, v21
	v_cmp_eq_u32_e32 vcc, 1, v10
	s_and_saveexec_b64 s[0:1], vcc
	s_cbranch_execz .LBB163_389
; %bb.388:
	v_sub_u32_e32 v10, v32, v19
	v_lshlrev_b32_e32 v10, 3, v10
	ds_write_b64 v10, v[12:13]
.LBB163_389:
	s_or_b64 exec, exec, s[0:1]
	v_mov_b32_e32 v10, 1
	v_and_b32_sdwa v10, v10, v16 dst_sel:DWORD dst_unused:UNUSED_PAD src0_sel:DWORD src1_sel:WORD_1
	v_cmp_eq_u32_e32 vcc, 1, v10
	s_and_saveexec_b64 s[0:1], vcc
	s_cbranch_execz .LBB163_391
; %bb.390:
	v_sub_u32_e32 v10, v30, v19
	v_lshlrev_b32_e32 v10, 3, v10
	ds_write_b64 v10, v[6:7]
.LBB163_391:
	s_or_b64 exec, exec, s[0:1]
	v_and_b32_e32 v6, 1, v20
	v_cmp_eq_u32_e32 vcc, 1, v6
	s_and_saveexec_b64 s[0:1], vcc
	s_cbranch_execz .LBB163_393
; %bb.392:
	v_sub_u32_e32 v6, v28, v19
	v_lshlrev_b32_e32 v6, 3, v6
	ds_write_b64 v6, v[8:9]
.LBB163_393:
	s_or_b64 exec, exec, s[0:1]
	v_and_b32_e32 v6, 1, v17
	v_cmp_eq_u32_e32 vcc, 1, v6
	s_and_saveexec_b64 s[0:1], vcc
	s_cbranch_execz .LBB163_395
; %bb.394:
	v_sub_u32_e32 v6, v26, v19
	v_lshlrev_b32_e32 v6, 3, v6
	ds_write_b64 v6, v[2:3]
.LBB163_395:
	s_or_b64 exec, exec, s[0:1]
	v_and_b32_e32 v1, 1, v1
	v_cmp_eq_u32_e32 vcc, 1, v1
	s_and_saveexec_b64 s[0:1], vcc
	s_cbranch_execz .LBB163_397
; %bb.396:
	v_sub_u32_e32 v1, v24, v19
	v_lshlrev_b32_e32 v1, 3, v1
	ds_write_b64 v1, v[4:5]
.LBB163_397:
	s_or_b64 exec, exec, s[0:1]
	v_mov_b32_e32 v1, 1
	v_and_b32_sdwa v1, v1, v17 dst_sel:DWORD dst_unused:UNUSED_PAD src0_sel:DWORD src1_sel:WORD_1
	v_cmp_eq_u32_e32 vcc, 1, v1
	s_and_saveexec_b64 s[0:1], vcc
	s_cbranch_execz .LBB163_399
; %bb.398:
	v_sub_u32_e32 v1, v22, v19
	v_lshlrev_b32_e32 v1, 3, v1
	ds_write_b64 v1, v[14:15]
.LBB163_399:
	s_or_b64 exec, exec, s[0:1]
	v_cmp_lt_u32_e32 vcc, v0, v18
	s_waitcnt lgkmcnt(0)
	s_barrier
	s_and_saveexec_b64 s[0:1], vcc
	s_cbranch_execz .LBB163_402
; %bb.400:
	v_mov_b32_e32 v5, 0
	v_mov_b32_e32 v4, v19
	s_lshl_b64 s[4:5], s[22:23], 3
	v_lshlrev_b64 v[6:7], 3, v[4:5]
	v_lshl_add_u64 v[6:7], s[4:5], 0, v[6:7]
	v_lshlrev_b32_e32 v2, 3, v0
	v_mov_b32_e32 v3, v5
	v_lshl_add_u64 v[4:5], s[2:3], 0, v[6:7]
	v_lshl_add_u64 v[4:5], v[4:5], 0, v[2:3]
	s_mov_b64 s[2:3], 0
	s_mov_b64 s[4:5], 0x1000
	v_mov_b32_e32 v1, v0
.LBB163_401:                            ; =>This Inner Loop Header: Depth=1
	ds_read_b64 v[6:7], v2
	v_add_u32_e32 v1, 0x200, v1
	v_cmp_ge_u32_e32 vcc, v1, v18
	v_add_u32_e32 v2, 0x1000, v2
	s_or_b64 s[2:3], vcc, s[2:3]
	s_waitcnt lgkmcnt(0)
	global_store_dwordx2 v[4:5], v[6:7], off
	v_lshl_add_u64 v[4:5], v[4:5], 0, s[4:5]
	s_andn2_b64 exec, exec, s[2:3]
	s_cbranch_execnz .LBB163_401
.LBB163_402:
	s_or_b64 exec, exec, s[0:1]
	v_cmp_eq_u32_e32 vcc, 0, v0
	s_and_b64 s[0:1], vcc, s[24:25]
	s_and_saveexec_b64 s[2:3], s[0:1]
	s_cbranch_execz .LBB163_362
.LBB163_403:
	v_mov_b32_e32 v1, 0
	v_mov_b32_e32 v0, v18
	v_lshl_add_u64 v[2:3], s[22:23], 0, v[0:1]
	v_mov_b32_e32 v0, v19
	v_lshl_add_u64 v[2:3], v[2:3], 0, v[0:1]
	global_store_dwordx2 v1, v[2:3], s[20:21]
	s_endpgm
	.section	.rodata,"a",@progbits
	.p2align	6, 0x0
	.amdhsa_kernel _ZN7rocprim17ROCPRIM_400000_NS6detail17trampoline_kernelINS0_14default_configENS1_25partition_config_selectorILNS1_17partition_subalgoE8ElNS0_10empty_typeEbEEZZNS1_14partition_implILS5_8ELb0ES3_jPlPS6_PKS6_NS0_5tupleIJS9_S6_EEENSD_IJSA_SA_EEENS0_18inequality_wrapperIZN2at6native12_GLOBAL__N_124unique_dim_cuda_templateIhEESt5tupleIJNSH_6TensorESM_SM_EERKSM_lbbbEUlllE0_EEPmJS6_EEE10hipError_tPvRmT3_T4_T5_T6_T7_T9_mT8_P12ihipStream_tbDpT10_ENKUlT_T0_E_clISt17integral_constantIbLb0EES1C_EEDaS17_S18_EUlS17_E_NS1_11comp_targetILNS1_3genE5ELNS1_11target_archE942ELNS1_3gpuE9ELNS1_3repE0EEENS1_30default_config_static_selectorELNS0_4arch9wavefront6targetE1EEEvT1_
		.amdhsa_group_segment_fixed_size 28684
		.amdhsa_private_segment_fixed_size 0
		.amdhsa_kernarg_size 120
		.amdhsa_user_sgpr_count 2
		.amdhsa_user_sgpr_dispatch_ptr 0
		.amdhsa_user_sgpr_queue_ptr 0
		.amdhsa_user_sgpr_kernarg_segment_ptr 1
		.amdhsa_user_sgpr_dispatch_id 0
		.amdhsa_user_sgpr_kernarg_preload_length 0
		.amdhsa_user_sgpr_kernarg_preload_offset 0
		.amdhsa_user_sgpr_private_segment_size 0
		.amdhsa_uses_dynamic_stack 0
		.amdhsa_enable_private_segment 0
		.amdhsa_system_sgpr_workgroup_id_x 1
		.amdhsa_system_sgpr_workgroup_id_y 0
		.amdhsa_system_sgpr_workgroup_id_z 0
		.amdhsa_system_sgpr_workgroup_info 0
		.amdhsa_system_vgpr_workitem_id 0
		.amdhsa_next_free_vgpr 52
		.amdhsa_next_free_sgpr 52
		.amdhsa_accum_offset 52
		.amdhsa_reserve_vcc 1
		.amdhsa_float_round_mode_32 0
		.amdhsa_float_round_mode_16_64 0
		.amdhsa_float_denorm_mode_32 3
		.amdhsa_float_denorm_mode_16_64 3
		.amdhsa_dx10_clamp 1
		.amdhsa_ieee_mode 1
		.amdhsa_fp16_overflow 0
		.amdhsa_tg_split 0
		.amdhsa_exception_fp_ieee_invalid_op 0
		.amdhsa_exception_fp_denorm_src 0
		.amdhsa_exception_fp_ieee_div_zero 0
		.amdhsa_exception_fp_ieee_overflow 0
		.amdhsa_exception_fp_ieee_underflow 0
		.amdhsa_exception_fp_ieee_inexact 0
		.amdhsa_exception_int_div_zero 0
	.end_amdhsa_kernel
	.section	.text._ZN7rocprim17ROCPRIM_400000_NS6detail17trampoline_kernelINS0_14default_configENS1_25partition_config_selectorILNS1_17partition_subalgoE8ElNS0_10empty_typeEbEEZZNS1_14partition_implILS5_8ELb0ES3_jPlPS6_PKS6_NS0_5tupleIJS9_S6_EEENSD_IJSA_SA_EEENS0_18inequality_wrapperIZN2at6native12_GLOBAL__N_124unique_dim_cuda_templateIhEESt5tupleIJNSH_6TensorESM_SM_EERKSM_lbbbEUlllE0_EEPmJS6_EEE10hipError_tPvRmT3_T4_T5_T6_T7_T9_mT8_P12ihipStream_tbDpT10_ENKUlT_T0_E_clISt17integral_constantIbLb0EES1C_EEDaS17_S18_EUlS17_E_NS1_11comp_targetILNS1_3genE5ELNS1_11target_archE942ELNS1_3gpuE9ELNS1_3repE0EEENS1_30default_config_static_selectorELNS0_4arch9wavefront6targetE1EEEvT1_,"axG",@progbits,_ZN7rocprim17ROCPRIM_400000_NS6detail17trampoline_kernelINS0_14default_configENS1_25partition_config_selectorILNS1_17partition_subalgoE8ElNS0_10empty_typeEbEEZZNS1_14partition_implILS5_8ELb0ES3_jPlPS6_PKS6_NS0_5tupleIJS9_S6_EEENSD_IJSA_SA_EEENS0_18inequality_wrapperIZN2at6native12_GLOBAL__N_124unique_dim_cuda_templateIhEESt5tupleIJNSH_6TensorESM_SM_EERKSM_lbbbEUlllE0_EEPmJS6_EEE10hipError_tPvRmT3_T4_T5_T6_T7_T9_mT8_P12ihipStream_tbDpT10_ENKUlT_T0_E_clISt17integral_constantIbLb0EES1C_EEDaS17_S18_EUlS17_E_NS1_11comp_targetILNS1_3genE5ELNS1_11target_archE942ELNS1_3gpuE9ELNS1_3repE0EEENS1_30default_config_static_selectorELNS0_4arch9wavefront6targetE1EEEvT1_,comdat
.Lfunc_end163:
	.size	_ZN7rocprim17ROCPRIM_400000_NS6detail17trampoline_kernelINS0_14default_configENS1_25partition_config_selectorILNS1_17partition_subalgoE8ElNS0_10empty_typeEbEEZZNS1_14partition_implILS5_8ELb0ES3_jPlPS6_PKS6_NS0_5tupleIJS9_S6_EEENSD_IJSA_SA_EEENS0_18inequality_wrapperIZN2at6native12_GLOBAL__N_124unique_dim_cuda_templateIhEESt5tupleIJNSH_6TensorESM_SM_EERKSM_lbbbEUlllE0_EEPmJS6_EEE10hipError_tPvRmT3_T4_T5_T6_T7_T9_mT8_P12ihipStream_tbDpT10_ENKUlT_T0_E_clISt17integral_constantIbLb0EES1C_EEDaS17_S18_EUlS17_E_NS1_11comp_targetILNS1_3genE5ELNS1_11target_archE942ELNS1_3gpuE9ELNS1_3repE0EEENS1_30default_config_static_selectorELNS0_4arch9wavefront6targetE1EEEvT1_, .Lfunc_end163-_ZN7rocprim17ROCPRIM_400000_NS6detail17trampoline_kernelINS0_14default_configENS1_25partition_config_selectorILNS1_17partition_subalgoE8ElNS0_10empty_typeEbEEZZNS1_14partition_implILS5_8ELb0ES3_jPlPS6_PKS6_NS0_5tupleIJS9_S6_EEENSD_IJSA_SA_EEENS0_18inequality_wrapperIZN2at6native12_GLOBAL__N_124unique_dim_cuda_templateIhEESt5tupleIJNSH_6TensorESM_SM_EERKSM_lbbbEUlllE0_EEPmJS6_EEE10hipError_tPvRmT3_T4_T5_T6_T7_T9_mT8_P12ihipStream_tbDpT10_ENKUlT_T0_E_clISt17integral_constantIbLb0EES1C_EEDaS17_S18_EUlS17_E_NS1_11comp_targetILNS1_3genE5ELNS1_11target_archE942ELNS1_3gpuE9ELNS1_3repE0EEENS1_30default_config_static_selectorELNS0_4arch9wavefront6targetE1EEEvT1_
                                        ; -- End function
	.section	.AMDGPU.csdata,"",@progbits
; Kernel info:
; codeLenInByte = 12072
; NumSgprs: 58
; NumVgprs: 52
; NumAgprs: 0
; TotalNumVgprs: 52
; ScratchSize: 0
; MemoryBound: 0
; FloatMode: 240
; IeeeMode: 1
; LDSByteSize: 28684 bytes/workgroup (compile time only)
; SGPRBlocks: 7
; VGPRBlocks: 6
; NumSGPRsForWavesPerEU: 58
; NumVGPRsForWavesPerEU: 52
; AccumOffset: 52
; Occupancy: 4
; WaveLimiterHint : 1
; COMPUTE_PGM_RSRC2:SCRATCH_EN: 0
; COMPUTE_PGM_RSRC2:USER_SGPR: 2
; COMPUTE_PGM_RSRC2:TRAP_HANDLER: 0
; COMPUTE_PGM_RSRC2:TGID_X_EN: 1
; COMPUTE_PGM_RSRC2:TGID_Y_EN: 0
; COMPUTE_PGM_RSRC2:TGID_Z_EN: 0
; COMPUTE_PGM_RSRC2:TIDIG_COMP_CNT: 0
; COMPUTE_PGM_RSRC3_GFX90A:ACCUM_OFFSET: 12
; COMPUTE_PGM_RSRC3_GFX90A:TG_SPLIT: 0
	.section	.text._ZN7rocprim17ROCPRIM_400000_NS6detail17trampoline_kernelINS0_14default_configENS1_25partition_config_selectorILNS1_17partition_subalgoE8ElNS0_10empty_typeEbEEZZNS1_14partition_implILS5_8ELb0ES3_jPlPS6_PKS6_NS0_5tupleIJS9_S6_EEENSD_IJSA_SA_EEENS0_18inequality_wrapperIZN2at6native12_GLOBAL__N_124unique_dim_cuda_templateIhEESt5tupleIJNSH_6TensorESM_SM_EERKSM_lbbbEUlllE0_EEPmJS6_EEE10hipError_tPvRmT3_T4_T5_T6_T7_T9_mT8_P12ihipStream_tbDpT10_ENKUlT_T0_E_clISt17integral_constantIbLb0EES1C_EEDaS17_S18_EUlS17_E_NS1_11comp_targetILNS1_3genE4ELNS1_11target_archE910ELNS1_3gpuE8ELNS1_3repE0EEENS1_30default_config_static_selectorELNS0_4arch9wavefront6targetE1EEEvT1_,"axG",@progbits,_ZN7rocprim17ROCPRIM_400000_NS6detail17trampoline_kernelINS0_14default_configENS1_25partition_config_selectorILNS1_17partition_subalgoE8ElNS0_10empty_typeEbEEZZNS1_14partition_implILS5_8ELb0ES3_jPlPS6_PKS6_NS0_5tupleIJS9_S6_EEENSD_IJSA_SA_EEENS0_18inequality_wrapperIZN2at6native12_GLOBAL__N_124unique_dim_cuda_templateIhEESt5tupleIJNSH_6TensorESM_SM_EERKSM_lbbbEUlllE0_EEPmJS6_EEE10hipError_tPvRmT3_T4_T5_T6_T7_T9_mT8_P12ihipStream_tbDpT10_ENKUlT_T0_E_clISt17integral_constantIbLb0EES1C_EEDaS17_S18_EUlS17_E_NS1_11comp_targetILNS1_3genE4ELNS1_11target_archE910ELNS1_3gpuE8ELNS1_3repE0EEENS1_30default_config_static_selectorELNS0_4arch9wavefront6targetE1EEEvT1_,comdat
	.globl	_ZN7rocprim17ROCPRIM_400000_NS6detail17trampoline_kernelINS0_14default_configENS1_25partition_config_selectorILNS1_17partition_subalgoE8ElNS0_10empty_typeEbEEZZNS1_14partition_implILS5_8ELb0ES3_jPlPS6_PKS6_NS0_5tupleIJS9_S6_EEENSD_IJSA_SA_EEENS0_18inequality_wrapperIZN2at6native12_GLOBAL__N_124unique_dim_cuda_templateIhEESt5tupleIJNSH_6TensorESM_SM_EERKSM_lbbbEUlllE0_EEPmJS6_EEE10hipError_tPvRmT3_T4_T5_T6_T7_T9_mT8_P12ihipStream_tbDpT10_ENKUlT_T0_E_clISt17integral_constantIbLb0EES1C_EEDaS17_S18_EUlS17_E_NS1_11comp_targetILNS1_3genE4ELNS1_11target_archE910ELNS1_3gpuE8ELNS1_3repE0EEENS1_30default_config_static_selectorELNS0_4arch9wavefront6targetE1EEEvT1_ ; -- Begin function _ZN7rocprim17ROCPRIM_400000_NS6detail17trampoline_kernelINS0_14default_configENS1_25partition_config_selectorILNS1_17partition_subalgoE8ElNS0_10empty_typeEbEEZZNS1_14partition_implILS5_8ELb0ES3_jPlPS6_PKS6_NS0_5tupleIJS9_S6_EEENSD_IJSA_SA_EEENS0_18inequality_wrapperIZN2at6native12_GLOBAL__N_124unique_dim_cuda_templateIhEESt5tupleIJNSH_6TensorESM_SM_EERKSM_lbbbEUlllE0_EEPmJS6_EEE10hipError_tPvRmT3_T4_T5_T6_T7_T9_mT8_P12ihipStream_tbDpT10_ENKUlT_T0_E_clISt17integral_constantIbLb0EES1C_EEDaS17_S18_EUlS17_E_NS1_11comp_targetILNS1_3genE4ELNS1_11target_archE910ELNS1_3gpuE8ELNS1_3repE0EEENS1_30default_config_static_selectorELNS0_4arch9wavefront6targetE1EEEvT1_
	.p2align	8
	.type	_ZN7rocprim17ROCPRIM_400000_NS6detail17trampoline_kernelINS0_14default_configENS1_25partition_config_selectorILNS1_17partition_subalgoE8ElNS0_10empty_typeEbEEZZNS1_14partition_implILS5_8ELb0ES3_jPlPS6_PKS6_NS0_5tupleIJS9_S6_EEENSD_IJSA_SA_EEENS0_18inequality_wrapperIZN2at6native12_GLOBAL__N_124unique_dim_cuda_templateIhEESt5tupleIJNSH_6TensorESM_SM_EERKSM_lbbbEUlllE0_EEPmJS6_EEE10hipError_tPvRmT3_T4_T5_T6_T7_T9_mT8_P12ihipStream_tbDpT10_ENKUlT_T0_E_clISt17integral_constantIbLb0EES1C_EEDaS17_S18_EUlS17_E_NS1_11comp_targetILNS1_3genE4ELNS1_11target_archE910ELNS1_3gpuE8ELNS1_3repE0EEENS1_30default_config_static_selectorELNS0_4arch9wavefront6targetE1EEEvT1_,@function
_ZN7rocprim17ROCPRIM_400000_NS6detail17trampoline_kernelINS0_14default_configENS1_25partition_config_selectorILNS1_17partition_subalgoE8ElNS0_10empty_typeEbEEZZNS1_14partition_implILS5_8ELb0ES3_jPlPS6_PKS6_NS0_5tupleIJS9_S6_EEENSD_IJSA_SA_EEENS0_18inequality_wrapperIZN2at6native12_GLOBAL__N_124unique_dim_cuda_templateIhEESt5tupleIJNSH_6TensorESM_SM_EERKSM_lbbbEUlllE0_EEPmJS6_EEE10hipError_tPvRmT3_T4_T5_T6_T7_T9_mT8_P12ihipStream_tbDpT10_ENKUlT_T0_E_clISt17integral_constantIbLb0EES1C_EEDaS17_S18_EUlS17_E_NS1_11comp_targetILNS1_3genE4ELNS1_11target_archE910ELNS1_3gpuE8ELNS1_3repE0EEENS1_30default_config_static_selectorELNS0_4arch9wavefront6targetE1EEEvT1_: ; @_ZN7rocprim17ROCPRIM_400000_NS6detail17trampoline_kernelINS0_14default_configENS1_25partition_config_selectorILNS1_17partition_subalgoE8ElNS0_10empty_typeEbEEZZNS1_14partition_implILS5_8ELb0ES3_jPlPS6_PKS6_NS0_5tupleIJS9_S6_EEENSD_IJSA_SA_EEENS0_18inequality_wrapperIZN2at6native12_GLOBAL__N_124unique_dim_cuda_templateIhEESt5tupleIJNSH_6TensorESM_SM_EERKSM_lbbbEUlllE0_EEPmJS6_EEE10hipError_tPvRmT3_T4_T5_T6_T7_T9_mT8_P12ihipStream_tbDpT10_ENKUlT_T0_E_clISt17integral_constantIbLb0EES1C_EEDaS17_S18_EUlS17_E_NS1_11comp_targetILNS1_3genE4ELNS1_11target_archE910ELNS1_3gpuE8ELNS1_3repE0EEENS1_30default_config_static_selectorELNS0_4arch9wavefront6targetE1EEEvT1_
; %bb.0:
	.section	.rodata,"a",@progbits
	.p2align	6, 0x0
	.amdhsa_kernel _ZN7rocprim17ROCPRIM_400000_NS6detail17trampoline_kernelINS0_14default_configENS1_25partition_config_selectorILNS1_17partition_subalgoE8ElNS0_10empty_typeEbEEZZNS1_14partition_implILS5_8ELb0ES3_jPlPS6_PKS6_NS0_5tupleIJS9_S6_EEENSD_IJSA_SA_EEENS0_18inequality_wrapperIZN2at6native12_GLOBAL__N_124unique_dim_cuda_templateIhEESt5tupleIJNSH_6TensorESM_SM_EERKSM_lbbbEUlllE0_EEPmJS6_EEE10hipError_tPvRmT3_T4_T5_T6_T7_T9_mT8_P12ihipStream_tbDpT10_ENKUlT_T0_E_clISt17integral_constantIbLb0EES1C_EEDaS17_S18_EUlS17_E_NS1_11comp_targetILNS1_3genE4ELNS1_11target_archE910ELNS1_3gpuE8ELNS1_3repE0EEENS1_30default_config_static_selectorELNS0_4arch9wavefront6targetE1EEEvT1_
		.amdhsa_group_segment_fixed_size 0
		.amdhsa_private_segment_fixed_size 0
		.amdhsa_kernarg_size 120
		.amdhsa_user_sgpr_count 2
		.amdhsa_user_sgpr_dispatch_ptr 0
		.amdhsa_user_sgpr_queue_ptr 0
		.amdhsa_user_sgpr_kernarg_segment_ptr 1
		.amdhsa_user_sgpr_dispatch_id 0
		.amdhsa_user_sgpr_kernarg_preload_length 0
		.amdhsa_user_sgpr_kernarg_preload_offset 0
		.amdhsa_user_sgpr_private_segment_size 0
		.amdhsa_uses_dynamic_stack 0
		.amdhsa_enable_private_segment 0
		.amdhsa_system_sgpr_workgroup_id_x 1
		.amdhsa_system_sgpr_workgroup_id_y 0
		.amdhsa_system_sgpr_workgroup_id_z 0
		.amdhsa_system_sgpr_workgroup_info 0
		.amdhsa_system_vgpr_workitem_id 0
		.amdhsa_next_free_vgpr 1
		.amdhsa_next_free_sgpr 0
		.amdhsa_accum_offset 4
		.amdhsa_reserve_vcc 0
		.amdhsa_float_round_mode_32 0
		.amdhsa_float_round_mode_16_64 0
		.amdhsa_float_denorm_mode_32 3
		.amdhsa_float_denorm_mode_16_64 3
		.amdhsa_dx10_clamp 1
		.amdhsa_ieee_mode 1
		.amdhsa_fp16_overflow 0
		.amdhsa_tg_split 0
		.amdhsa_exception_fp_ieee_invalid_op 0
		.amdhsa_exception_fp_denorm_src 0
		.amdhsa_exception_fp_ieee_div_zero 0
		.amdhsa_exception_fp_ieee_overflow 0
		.amdhsa_exception_fp_ieee_underflow 0
		.amdhsa_exception_fp_ieee_inexact 0
		.amdhsa_exception_int_div_zero 0
	.end_amdhsa_kernel
	.section	.text._ZN7rocprim17ROCPRIM_400000_NS6detail17trampoline_kernelINS0_14default_configENS1_25partition_config_selectorILNS1_17partition_subalgoE8ElNS0_10empty_typeEbEEZZNS1_14partition_implILS5_8ELb0ES3_jPlPS6_PKS6_NS0_5tupleIJS9_S6_EEENSD_IJSA_SA_EEENS0_18inequality_wrapperIZN2at6native12_GLOBAL__N_124unique_dim_cuda_templateIhEESt5tupleIJNSH_6TensorESM_SM_EERKSM_lbbbEUlllE0_EEPmJS6_EEE10hipError_tPvRmT3_T4_T5_T6_T7_T9_mT8_P12ihipStream_tbDpT10_ENKUlT_T0_E_clISt17integral_constantIbLb0EES1C_EEDaS17_S18_EUlS17_E_NS1_11comp_targetILNS1_3genE4ELNS1_11target_archE910ELNS1_3gpuE8ELNS1_3repE0EEENS1_30default_config_static_selectorELNS0_4arch9wavefront6targetE1EEEvT1_,"axG",@progbits,_ZN7rocprim17ROCPRIM_400000_NS6detail17trampoline_kernelINS0_14default_configENS1_25partition_config_selectorILNS1_17partition_subalgoE8ElNS0_10empty_typeEbEEZZNS1_14partition_implILS5_8ELb0ES3_jPlPS6_PKS6_NS0_5tupleIJS9_S6_EEENSD_IJSA_SA_EEENS0_18inequality_wrapperIZN2at6native12_GLOBAL__N_124unique_dim_cuda_templateIhEESt5tupleIJNSH_6TensorESM_SM_EERKSM_lbbbEUlllE0_EEPmJS6_EEE10hipError_tPvRmT3_T4_T5_T6_T7_T9_mT8_P12ihipStream_tbDpT10_ENKUlT_T0_E_clISt17integral_constantIbLb0EES1C_EEDaS17_S18_EUlS17_E_NS1_11comp_targetILNS1_3genE4ELNS1_11target_archE910ELNS1_3gpuE8ELNS1_3repE0EEENS1_30default_config_static_selectorELNS0_4arch9wavefront6targetE1EEEvT1_,comdat
.Lfunc_end164:
	.size	_ZN7rocprim17ROCPRIM_400000_NS6detail17trampoline_kernelINS0_14default_configENS1_25partition_config_selectorILNS1_17partition_subalgoE8ElNS0_10empty_typeEbEEZZNS1_14partition_implILS5_8ELb0ES3_jPlPS6_PKS6_NS0_5tupleIJS9_S6_EEENSD_IJSA_SA_EEENS0_18inequality_wrapperIZN2at6native12_GLOBAL__N_124unique_dim_cuda_templateIhEESt5tupleIJNSH_6TensorESM_SM_EERKSM_lbbbEUlllE0_EEPmJS6_EEE10hipError_tPvRmT3_T4_T5_T6_T7_T9_mT8_P12ihipStream_tbDpT10_ENKUlT_T0_E_clISt17integral_constantIbLb0EES1C_EEDaS17_S18_EUlS17_E_NS1_11comp_targetILNS1_3genE4ELNS1_11target_archE910ELNS1_3gpuE8ELNS1_3repE0EEENS1_30default_config_static_selectorELNS0_4arch9wavefront6targetE1EEEvT1_, .Lfunc_end164-_ZN7rocprim17ROCPRIM_400000_NS6detail17trampoline_kernelINS0_14default_configENS1_25partition_config_selectorILNS1_17partition_subalgoE8ElNS0_10empty_typeEbEEZZNS1_14partition_implILS5_8ELb0ES3_jPlPS6_PKS6_NS0_5tupleIJS9_S6_EEENSD_IJSA_SA_EEENS0_18inequality_wrapperIZN2at6native12_GLOBAL__N_124unique_dim_cuda_templateIhEESt5tupleIJNSH_6TensorESM_SM_EERKSM_lbbbEUlllE0_EEPmJS6_EEE10hipError_tPvRmT3_T4_T5_T6_T7_T9_mT8_P12ihipStream_tbDpT10_ENKUlT_T0_E_clISt17integral_constantIbLb0EES1C_EEDaS17_S18_EUlS17_E_NS1_11comp_targetILNS1_3genE4ELNS1_11target_archE910ELNS1_3gpuE8ELNS1_3repE0EEENS1_30default_config_static_selectorELNS0_4arch9wavefront6targetE1EEEvT1_
                                        ; -- End function
	.section	.AMDGPU.csdata,"",@progbits
; Kernel info:
; codeLenInByte = 0
; NumSgprs: 6
; NumVgprs: 0
; NumAgprs: 0
; TotalNumVgprs: 0
; ScratchSize: 0
; MemoryBound: 0
; FloatMode: 240
; IeeeMode: 1
; LDSByteSize: 0 bytes/workgroup (compile time only)
; SGPRBlocks: 0
; VGPRBlocks: 0
; NumSGPRsForWavesPerEU: 6
; NumVGPRsForWavesPerEU: 1
; AccumOffset: 4
; Occupancy: 8
; WaveLimiterHint : 0
; COMPUTE_PGM_RSRC2:SCRATCH_EN: 0
; COMPUTE_PGM_RSRC2:USER_SGPR: 2
; COMPUTE_PGM_RSRC2:TRAP_HANDLER: 0
; COMPUTE_PGM_RSRC2:TGID_X_EN: 1
; COMPUTE_PGM_RSRC2:TGID_Y_EN: 0
; COMPUTE_PGM_RSRC2:TGID_Z_EN: 0
; COMPUTE_PGM_RSRC2:TIDIG_COMP_CNT: 0
; COMPUTE_PGM_RSRC3_GFX90A:ACCUM_OFFSET: 0
; COMPUTE_PGM_RSRC3_GFX90A:TG_SPLIT: 0
	.section	.text._ZN7rocprim17ROCPRIM_400000_NS6detail17trampoline_kernelINS0_14default_configENS1_25partition_config_selectorILNS1_17partition_subalgoE8ElNS0_10empty_typeEbEEZZNS1_14partition_implILS5_8ELb0ES3_jPlPS6_PKS6_NS0_5tupleIJS9_S6_EEENSD_IJSA_SA_EEENS0_18inequality_wrapperIZN2at6native12_GLOBAL__N_124unique_dim_cuda_templateIhEESt5tupleIJNSH_6TensorESM_SM_EERKSM_lbbbEUlllE0_EEPmJS6_EEE10hipError_tPvRmT3_T4_T5_T6_T7_T9_mT8_P12ihipStream_tbDpT10_ENKUlT_T0_E_clISt17integral_constantIbLb0EES1C_EEDaS17_S18_EUlS17_E_NS1_11comp_targetILNS1_3genE3ELNS1_11target_archE908ELNS1_3gpuE7ELNS1_3repE0EEENS1_30default_config_static_selectorELNS0_4arch9wavefront6targetE1EEEvT1_,"axG",@progbits,_ZN7rocprim17ROCPRIM_400000_NS6detail17trampoline_kernelINS0_14default_configENS1_25partition_config_selectorILNS1_17partition_subalgoE8ElNS0_10empty_typeEbEEZZNS1_14partition_implILS5_8ELb0ES3_jPlPS6_PKS6_NS0_5tupleIJS9_S6_EEENSD_IJSA_SA_EEENS0_18inequality_wrapperIZN2at6native12_GLOBAL__N_124unique_dim_cuda_templateIhEESt5tupleIJNSH_6TensorESM_SM_EERKSM_lbbbEUlllE0_EEPmJS6_EEE10hipError_tPvRmT3_T4_T5_T6_T7_T9_mT8_P12ihipStream_tbDpT10_ENKUlT_T0_E_clISt17integral_constantIbLb0EES1C_EEDaS17_S18_EUlS17_E_NS1_11comp_targetILNS1_3genE3ELNS1_11target_archE908ELNS1_3gpuE7ELNS1_3repE0EEENS1_30default_config_static_selectorELNS0_4arch9wavefront6targetE1EEEvT1_,comdat
	.globl	_ZN7rocprim17ROCPRIM_400000_NS6detail17trampoline_kernelINS0_14default_configENS1_25partition_config_selectorILNS1_17partition_subalgoE8ElNS0_10empty_typeEbEEZZNS1_14partition_implILS5_8ELb0ES3_jPlPS6_PKS6_NS0_5tupleIJS9_S6_EEENSD_IJSA_SA_EEENS0_18inequality_wrapperIZN2at6native12_GLOBAL__N_124unique_dim_cuda_templateIhEESt5tupleIJNSH_6TensorESM_SM_EERKSM_lbbbEUlllE0_EEPmJS6_EEE10hipError_tPvRmT3_T4_T5_T6_T7_T9_mT8_P12ihipStream_tbDpT10_ENKUlT_T0_E_clISt17integral_constantIbLb0EES1C_EEDaS17_S18_EUlS17_E_NS1_11comp_targetILNS1_3genE3ELNS1_11target_archE908ELNS1_3gpuE7ELNS1_3repE0EEENS1_30default_config_static_selectorELNS0_4arch9wavefront6targetE1EEEvT1_ ; -- Begin function _ZN7rocprim17ROCPRIM_400000_NS6detail17trampoline_kernelINS0_14default_configENS1_25partition_config_selectorILNS1_17partition_subalgoE8ElNS0_10empty_typeEbEEZZNS1_14partition_implILS5_8ELb0ES3_jPlPS6_PKS6_NS0_5tupleIJS9_S6_EEENSD_IJSA_SA_EEENS0_18inequality_wrapperIZN2at6native12_GLOBAL__N_124unique_dim_cuda_templateIhEESt5tupleIJNSH_6TensorESM_SM_EERKSM_lbbbEUlllE0_EEPmJS6_EEE10hipError_tPvRmT3_T4_T5_T6_T7_T9_mT8_P12ihipStream_tbDpT10_ENKUlT_T0_E_clISt17integral_constantIbLb0EES1C_EEDaS17_S18_EUlS17_E_NS1_11comp_targetILNS1_3genE3ELNS1_11target_archE908ELNS1_3gpuE7ELNS1_3repE0EEENS1_30default_config_static_selectorELNS0_4arch9wavefront6targetE1EEEvT1_
	.p2align	8
	.type	_ZN7rocprim17ROCPRIM_400000_NS6detail17trampoline_kernelINS0_14default_configENS1_25partition_config_selectorILNS1_17partition_subalgoE8ElNS0_10empty_typeEbEEZZNS1_14partition_implILS5_8ELb0ES3_jPlPS6_PKS6_NS0_5tupleIJS9_S6_EEENSD_IJSA_SA_EEENS0_18inequality_wrapperIZN2at6native12_GLOBAL__N_124unique_dim_cuda_templateIhEESt5tupleIJNSH_6TensorESM_SM_EERKSM_lbbbEUlllE0_EEPmJS6_EEE10hipError_tPvRmT3_T4_T5_T6_T7_T9_mT8_P12ihipStream_tbDpT10_ENKUlT_T0_E_clISt17integral_constantIbLb0EES1C_EEDaS17_S18_EUlS17_E_NS1_11comp_targetILNS1_3genE3ELNS1_11target_archE908ELNS1_3gpuE7ELNS1_3repE0EEENS1_30default_config_static_selectorELNS0_4arch9wavefront6targetE1EEEvT1_,@function
_ZN7rocprim17ROCPRIM_400000_NS6detail17trampoline_kernelINS0_14default_configENS1_25partition_config_selectorILNS1_17partition_subalgoE8ElNS0_10empty_typeEbEEZZNS1_14partition_implILS5_8ELb0ES3_jPlPS6_PKS6_NS0_5tupleIJS9_S6_EEENSD_IJSA_SA_EEENS0_18inequality_wrapperIZN2at6native12_GLOBAL__N_124unique_dim_cuda_templateIhEESt5tupleIJNSH_6TensorESM_SM_EERKSM_lbbbEUlllE0_EEPmJS6_EEE10hipError_tPvRmT3_T4_T5_T6_T7_T9_mT8_P12ihipStream_tbDpT10_ENKUlT_T0_E_clISt17integral_constantIbLb0EES1C_EEDaS17_S18_EUlS17_E_NS1_11comp_targetILNS1_3genE3ELNS1_11target_archE908ELNS1_3gpuE7ELNS1_3repE0EEENS1_30default_config_static_selectorELNS0_4arch9wavefront6targetE1EEEvT1_: ; @_ZN7rocprim17ROCPRIM_400000_NS6detail17trampoline_kernelINS0_14default_configENS1_25partition_config_selectorILNS1_17partition_subalgoE8ElNS0_10empty_typeEbEEZZNS1_14partition_implILS5_8ELb0ES3_jPlPS6_PKS6_NS0_5tupleIJS9_S6_EEENSD_IJSA_SA_EEENS0_18inequality_wrapperIZN2at6native12_GLOBAL__N_124unique_dim_cuda_templateIhEESt5tupleIJNSH_6TensorESM_SM_EERKSM_lbbbEUlllE0_EEPmJS6_EEE10hipError_tPvRmT3_T4_T5_T6_T7_T9_mT8_P12ihipStream_tbDpT10_ENKUlT_T0_E_clISt17integral_constantIbLb0EES1C_EEDaS17_S18_EUlS17_E_NS1_11comp_targetILNS1_3genE3ELNS1_11target_archE908ELNS1_3gpuE7ELNS1_3repE0EEENS1_30default_config_static_selectorELNS0_4arch9wavefront6targetE1EEEvT1_
; %bb.0:
	.section	.rodata,"a",@progbits
	.p2align	6, 0x0
	.amdhsa_kernel _ZN7rocprim17ROCPRIM_400000_NS6detail17trampoline_kernelINS0_14default_configENS1_25partition_config_selectorILNS1_17partition_subalgoE8ElNS0_10empty_typeEbEEZZNS1_14partition_implILS5_8ELb0ES3_jPlPS6_PKS6_NS0_5tupleIJS9_S6_EEENSD_IJSA_SA_EEENS0_18inequality_wrapperIZN2at6native12_GLOBAL__N_124unique_dim_cuda_templateIhEESt5tupleIJNSH_6TensorESM_SM_EERKSM_lbbbEUlllE0_EEPmJS6_EEE10hipError_tPvRmT3_T4_T5_T6_T7_T9_mT8_P12ihipStream_tbDpT10_ENKUlT_T0_E_clISt17integral_constantIbLb0EES1C_EEDaS17_S18_EUlS17_E_NS1_11comp_targetILNS1_3genE3ELNS1_11target_archE908ELNS1_3gpuE7ELNS1_3repE0EEENS1_30default_config_static_selectorELNS0_4arch9wavefront6targetE1EEEvT1_
		.amdhsa_group_segment_fixed_size 0
		.amdhsa_private_segment_fixed_size 0
		.amdhsa_kernarg_size 120
		.amdhsa_user_sgpr_count 2
		.amdhsa_user_sgpr_dispatch_ptr 0
		.amdhsa_user_sgpr_queue_ptr 0
		.amdhsa_user_sgpr_kernarg_segment_ptr 1
		.amdhsa_user_sgpr_dispatch_id 0
		.amdhsa_user_sgpr_kernarg_preload_length 0
		.amdhsa_user_sgpr_kernarg_preload_offset 0
		.amdhsa_user_sgpr_private_segment_size 0
		.amdhsa_uses_dynamic_stack 0
		.amdhsa_enable_private_segment 0
		.amdhsa_system_sgpr_workgroup_id_x 1
		.amdhsa_system_sgpr_workgroup_id_y 0
		.amdhsa_system_sgpr_workgroup_id_z 0
		.amdhsa_system_sgpr_workgroup_info 0
		.amdhsa_system_vgpr_workitem_id 0
		.amdhsa_next_free_vgpr 1
		.amdhsa_next_free_sgpr 0
		.amdhsa_accum_offset 4
		.amdhsa_reserve_vcc 0
		.amdhsa_float_round_mode_32 0
		.amdhsa_float_round_mode_16_64 0
		.amdhsa_float_denorm_mode_32 3
		.amdhsa_float_denorm_mode_16_64 3
		.amdhsa_dx10_clamp 1
		.amdhsa_ieee_mode 1
		.amdhsa_fp16_overflow 0
		.amdhsa_tg_split 0
		.amdhsa_exception_fp_ieee_invalid_op 0
		.amdhsa_exception_fp_denorm_src 0
		.amdhsa_exception_fp_ieee_div_zero 0
		.amdhsa_exception_fp_ieee_overflow 0
		.amdhsa_exception_fp_ieee_underflow 0
		.amdhsa_exception_fp_ieee_inexact 0
		.amdhsa_exception_int_div_zero 0
	.end_amdhsa_kernel
	.section	.text._ZN7rocprim17ROCPRIM_400000_NS6detail17trampoline_kernelINS0_14default_configENS1_25partition_config_selectorILNS1_17partition_subalgoE8ElNS0_10empty_typeEbEEZZNS1_14partition_implILS5_8ELb0ES3_jPlPS6_PKS6_NS0_5tupleIJS9_S6_EEENSD_IJSA_SA_EEENS0_18inequality_wrapperIZN2at6native12_GLOBAL__N_124unique_dim_cuda_templateIhEESt5tupleIJNSH_6TensorESM_SM_EERKSM_lbbbEUlllE0_EEPmJS6_EEE10hipError_tPvRmT3_T4_T5_T6_T7_T9_mT8_P12ihipStream_tbDpT10_ENKUlT_T0_E_clISt17integral_constantIbLb0EES1C_EEDaS17_S18_EUlS17_E_NS1_11comp_targetILNS1_3genE3ELNS1_11target_archE908ELNS1_3gpuE7ELNS1_3repE0EEENS1_30default_config_static_selectorELNS0_4arch9wavefront6targetE1EEEvT1_,"axG",@progbits,_ZN7rocprim17ROCPRIM_400000_NS6detail17trampoline_kernelINS0_14default_configENS1_25partition_config_selectorILNS1_17partition_subalgoE8ElNS0_10empty_typeEbEEZZNS1_14partition_implILS5_8ELb0ES3_jPlPS6_PKS6_NS0_5tupleIJS9_S6_EEENSD_IJSA_SA_EEENS0_18inequality_wrapperIZN2at6native12_GLOBAL__N_124unique_dim_cuda_templateIhEESt5tupleIJNSH_6TensorESM_SM_EERKSM_lbbbEUlllE0_EEPmJS6_EEE10hipError_tPvRmT3_T4_T5_T6_T7_T9_mT8_P12ihipStream_tbDpT10_ENKUlT_T0_E_clISt17integral_constantIbLb0EES1C_EEDaS17_S18_EUlS17_E_NS1_11comp_targetILNS1_3genE3ELNS1_11target_archE908ELNS1_3gpuE7ELNS1_3repE0EEENS1_30default_config_static_selectorELNS0_4arch9wavefront6targetE1EEEvT1_,comdat
.Lfunc_end165:
	.size	_ZN7rocprim17ROCPRIM_400000_NS6detail17trampoline_kernelINS0_14default_configENS1_25partition_config_selectorILNS1_17partition_subalgoE8ElNS0_10empty_typeEbEEZZNS1_14partition_implILS5_8ELb0ES3_jPlPS6_PKS6_NS0_5tupleIJS9_S6_EEENSD_IJSA_SA_EEENS0_18inequality_wrapperIZN2at6native12_GLOBAL__N_124unique_dim_cuda_templateIhEESt5tupleIJNSH_6TensorESM_SM_EERKSM_lbbbEUlllE0_EEPmJS6_EEE10hipError_tPvRmT3_T4_T5_T6_T7_T9_mT8_P12ihipStream_tbDpT10_ENKUlT_T0_E_clISt17integral_constantIbLb0EES1C_EEDaS17_S18_EUlS17_E_NS1_11comp_targetILNS1_3genE3ELNS1_11target_archE908ELNS1_3gpuE7ELNS1_3repE0EEENS1_30default_config_static_selectorELNS0_4arch9wavefront6targetE1EEEvT1_, .Lfunc_end165-_ZN7rocprim17ROCPRIM_400000_NS6detail17trampoline_kernelINS0_14default_configENS1_25partition_config_selectorILNS1_17partition_subalgoE8ElNS0_10empty_typeEbEEZZNS1_14partition_implILS5_8ELb0ES3_jPlPS6_PKS6_NS0_5tupleIJS9_S6_EEENSD_IJSA_SA_EEENS0_18inequality_wrapperIZN2at6native12_GLOBAL__N_124unique_dim_cuda_templateIhEESt5tupleIJNSH_6TensorESM_SM_EERKSM_lbbbEUlllE0_EEPmJS6_EEE10hipError_tPvRmT3_T4_T5_T6_T7_T9_mT8_P12ihipStream_tbDpT10_ENKUlT_T0_E_clISt17integral_constantIbLb0EES1C_EEDaS17_S18_EUlS17_E_NS1_11comp_targetILNS1_3genE3ELNS1_11target_archE908ELNS1_3gpuE7ELNS1_3repE0EEENS1_30default_config_static_selectorELNS0_4arch9wavefront6targetE1EEEvT1_
                                        ; -- End function
	.section	.AMDGPU.csdata,"",@progbits
; Kernel info:
; codeLenInByte = 0
; NumSgprs: 6
; NumVgprs: 0
; NumAgprs: 0
; TotalNumVgprs: 0
; ScratchSize: 0
; MemoryBound: 0
; FloatMode: 240
; IeeeMode: 1
; LDSByteSize: 0 bytes/workgroup (compile time only)
; SGPRBlocks: 0
; VGPRBlocks: 0
; NumSGPRsForWavesPerEU: 6
; NumVGPRsForWavesPerEU: 1
; AccumOffset: 4
; Occupancy: 8
; WaveLimiterHint : 0
; COMPUTE_PGM_RSRC2:SCRATCH_EN: 0
; COMPUTE_PGM_RSRC2:USER_SGPR: 2
; COMPUTE_PGM_RSRC2:TRAP_HANDLER: 0
; COMPUTE_PGM_RSRC2:TGID_X_EN: 1
; COMPUTE_PGM_RSRC2:TGID_Y_EN: 0
; COMPUTE_PGM_RSRC2:TGID_Z_EN: 0
; COMPUTE_PGM_RSRC2:TIDIG_COMP_CNT: 0
; COMPUTE_PGM_RSRC3_GFX90A:ACCUM_OFFSET: 0
; COMPUTE_PGM_RSRC3_GFX90A:TG_SPLIT: 0
	.section	.text._ZN7rocprim17ROCPRIM_400000_NS6detail17trampoline_kernelINS0_14default_configENS1_25partition_config_selectorILNS1_17partition_subalgoE8ElNS0_10empty_typeEbEEZZNS1_14partition_implILS5_8ELb0ES3_jPlPS6_PKS6_NS0_5tupleIJS9_S6_EEENSD_IJSA_SA_EEENS0_18inequality_wrapperIZN2at6native12_GLOBAL__N_124unique_dim_cuda_templateIhEESt5tupleIJNSH_6TensorESM_SM_EERKSM_lbbbEUlllE0_EEPmJS6_EEE10hipError_tPvRmT3_T4_T5_T6_T7_T9_mT8_P12ihipStream_tbDpT10_ENKUlT_T0_E_clISt17integral_constantIbLb0EES1C_EEDaS17_S18_EUlS17_E_NS1_11comp_targetILNS1_3genE2ELNS1_11target_archE906ELNS1_3gpuE6ELNS1_3repE0EEENS1_30default_config_static_selectorELNS0_4arch9wavefront6targetE1EEEvT1_,"axG",@progbits,_ZN7rocprim17ROCPRIM_400000_NS6detail17trampoline_kernelINS0_14default_configENS1_25partition_config_selectorILNS1_17partition_subalgoE8ElNS0_10empty_typeEbEEZZNS1_14partition_implILS5_8ELb0ES3_jPlPS6_PKS6_NS0_5tupleIJS9_S6_EEENSD_IJSA_SA_EEENS0_18inequality_wrapperIZN2at6native12_GLOBAL__N_124unique_dim_cuda_templateIhEESt5tupleIJNSH_6TensorESM_SM_EERKSM_lbbbEUlllE0_EEPmJS6_EEE10hipError_tPvRmT3_T4_T5_T6_T7_T9_mT8_P12ihipStream_tbDpT10_ENKUlT_T0_E_clISt17integral_constantIbLb0EES1C_EEDaS17_S18_EUlS17_E_NS1_11comp_targetILNS1_3genE2ELNS1_11target_archE906ELNS1_3gpuE6ELNS1_3repE0EEENS1_30default_config_static_selectorELNS0_4arch9wavefront6targetE1EEEvT1_,comdat
	.globl	_ZN7rocprim17ROCPRIM_400000_NS6detail17trampoline_kernelINS0_14default_configENS1_25partition_config_selectorILNS1_17partition_subalgoE8ElNS0_10empty_typeEbEEZZNS1_14partition_implILS5_8ELb0ES3_jPlPS6_PKS6_NS0_5tupleIJS9_S6_EEENSD_IJSA_SA_EEENS0_18inequality_wrapperIZN2at6native12_GLOBAL__N_124unique_dim_cuda_templateIhEESt5tupleIJNSH_6TensorESM_SM_EERKSM_lbbbEUlllE0_EEPmJS6_EEE10hipError_tPvRmT3_T4_T5_T6_T7_T9_mT8_P12ihipStream_tbDpT10_ENKUlT_T0_E_clISt17integral_constantIbLb0EES1C_EEDaS17_S18_EUlS17_E_NS1_11comp_targetILNS1_3genE2ELNS1_11target_archE906ELNS1_3gpuE6ELNS1_3repE0EEENS1_30default_config_static_selectorELNS0_4arch9wavefront6targetE1EEEvT1_ ; -- Begin function _ZN7rocprim17ROCPRIM_400000_NS6detail17trampoline_kernelINS0_14default_configENS1_25partition_config_selectorILNS1_17partition_subalgoE8ElNS0_10empty_typeEbEEZZNS1_14partition_implILS5_8ELb0ES3_jPlPS6_PKS6_NS0_5tupleIJS9_S6_EEENSD_IJSA_SA_EEENS0_18inequality_wrapperIZN2at6native12_GLOBAL__N_124unique_dim_cuda_templateIhEESt5tupleIJNSH_6TensorESM_SM_EERKSM_lbbbEUlllE0_EEPmJS6_EEE10hipError_tPvRmT3_T4_T5_T6_T7_T9_mT8_P12ihipStream_tbDpT10_ENKUlT_T0_E_clISt17integral_constantIbLb0EES1C_EEDaS17_S18_EUlS17_E_NS1_11comp_targetILNS1_3genE2ELNS1_11target_archE906ELNS1_3gpuE6ELNS1_3repE0EEENS1_30default_config_static_selectorELNS0_4arch9wavefront6targetE1EEEvT1_
	.p2align	8
	.type	_ZN7rocprim17ROCPRIM_400000_NS6detail17trampoline_kernelINS0_14default_configENS1_25partition_config_selectorILNS1_17partition_subalgoE8ElNS0_10empty_typeEbEEZZNS1_14partition_implILS5_8ELb0ES3_jPlPS6_PKS6_NS0_5tupleIJS9_S6_EEENSD_IJSA_SA_EEENS0_18inequality_wrapperIZN2at6native12_GLOBAL__N_124unique_dim_cuda_templateIhEESt5tupleIJNSH_6TensorESM_SM_EERKSM_lbbbEUlllE0_EEPmJS6_EEE10hipError_tPvRmT3_T4_T5_T6_T7_T9_mT8_P12ihipStream_tbDpT10_ENKUlT_T0_E_clISt17integral_constantIbLb0EES1C_EEDaS17_S18_EUlS17_E_NS1_11comp_targetILNS1_3genE2ELNS1_11target_archE906ELNS1_3gpuE6ELNS1_3repE0EEENS1_30default_config_static_selectorELNS0_4arch9wavefront6targetE1EEEvT1_,@function
_ZN7rocprim17ROCPRIM_400000_NS6detail17trampoline_kernelINS0_14default_configENS1_25partition_config_selectorILNS1_17partition_subalgoE8ElNS0_10empty_typeEbEEZZNS1_14partition_implILS5_8ELb0ES3_jPlPS6_PKS6_NS0_5tupleIJS9_S6_EEENSD_IJSA_SA_EEENS0_18inequality_wrapperIZN2at6native12_GLOBAL__N_124unique_dim_cuda_templateIhEESt5tupleIJNSH_6TensorESM_SM_EERKSM_lbbbEUlllE0_EEPmJS6_EEE10hipError_tPvRmT3_T4_T5_T6_T7_T9_mT8_P12ihipStream_tbDpT10_ENKUlT_T0_E_clISt17integral_constantIbLb0EES1C_EEDaS17_S18_EUlS17_E_NS1_11comp_targetILNS1_3genE2ELNS1_11target_archE906ELNS1_3gpuE6ELNS1_3repE0EEENS1_30default_config_static_selectorELNS0_4arch9wavefront6targetE1EEEvT1_: ; @_ZN7rocprim17ROCPRIM_400000_NS6detail17trampoline_kernelINS0_14default_configENS1_25partition_config_selectorILNS1_17partition_subalgoE8ElNS0_10empty_typeEbEEZZNS1_14partition_implILS5_8ELb0ES3_jPlPS6_PKS6_NS0_5tupleIJS9_S6_EEENSD_IJSA_SA_EEENS0_18inequality_wrapperIZN2at6native12_GLOBAL__N_124unique_dim_cuda_templateIhEESt5tupleIJNSH_6TensorESM_SM_EERKSM_lbbbEUlllE0_EEPmJS6_EEE10hipError_tPvRmT3_T4_T5_T6_T7_T9_mT8_P12ihipStream_tbDpT10_ENKUlT_T0_E_clISt17integral_constantIbLb0EES1C_EEDaS17_S18_EUlS17_E_NS1_11comp_targetILNS1_3genE2ELNS1_11target_archE906ELNS1_3gpuE6ELNS1_3repE0EEENS1_30default_config_static_selectorELNS0_4arch9wavefront6targetE1EEEvT1_
; %bb.0:
	.section	.rodata,"a",@progbits
	.p2align	6, 0x0
	.amdhsa_kernel _ZN7rocprim17ROCPRIM_400000_NS6detail17trampoline_kernelINS0_14default_configENS1_25partition_config_selectorILNS1_17partition_subalgoE8ElNS0_10empty_typeEbEEZZNS1_14partition_implILS5_8ELb0ES3_jPlPS6_PKS6_NS0_5tupleIJS9_S6_EEENSD_IJSA_SA_EEENS0_18inequality_wrapperIZN2at6native12_GLOBAL__N_124unique_dim_cuda_templateIhEESt5tupleIJNSH_6TensorESM_SM_EERKSM_lbbbEUlllE0_EEPmJS6_EEE10hipError_tPvRmT3_T4_T5_T6_T7_T9_mT8_P12ihipStream_tbDpT10_ENKUlT_T0_E_clISt17integral_constantIbLb0EES1C_EEDaS17_S18_EUlS17_E_NS1_11comp_targetILNS1_3genE2ELNS1_11target_archE906ELNS1_3gpuE6ELNS1_3repE0EEENS1_30default_config_static_selectorELNS0_4arch9wavefront6targetE1EEEvT1_
		.amdhsa_group_segment_fixed_size 0
		.amdhsa_private_segment_fixed_size 0
		.amdhsa_kernarg_size 120
		.amdhsa_user_sgpr_count 2
		.amdhsa_user_sgpr_dispatch_ptr 0
		.amdhsa_user_sgpr_queue_ptr 0
		.amdhsa_user_sgpr_kernarg_segment_ptr 1
		.amdhsa_user_sgpr_dispatch_id 0
		.amdhsa_user_sgpr_kernarg_preload_length 0
		.amdhsa_user_sgpr_kernarg_preload_offset 0
		.amdhsa_user_sgpr_private_segment_size 0
		.amdhsa_uses_dynamic_stack 0
		.amdhsa_enable_private_segment 0
		.amdhsa_system_sgpr_workgroup_id_x 1
		.amdhsa_system_sgpr_workgroup_id_y 0
		.amdhsa_system_sgpr_workgroup_id_z 0
		.amdhsa_system_sgpr_workgroup_info 0
		.amdhsa_system_vgpr_workitem_id 0
		.amdhsa_next_free_vgpr 1
		.amdhsa_next_free_sgpr 0
		.amdhsa_accum_offset 4
		.amdhsa_reserve_vcc 0
		.amdhsa_float_round_mode_32 0
		.amdhsa_float_round_mode_16_64 0
		.amdhsa_float_denorm_mode_32 3
		.amdhsa_float_denorm_mode_16_64 3
		.amdhsa_dx10_clamp 1
		.amdhsa_ieee_mode 1
		.amdhsa_fp16_overflow 0
		.amdhsa_tg_split 0
		.amdhsa_exception_fp_ieee_invalid_op 0
		.amdhsa_exception_fp_denorm_src 0
		.amdhsa_exception_fp_ieee_div_zero 0
		.amdhsa_exception_fp_ieee_overflow 0
		.amdhsa_exception_fp_ieee_underflow 0
		.amdhsa_exception_fp_ieee_inexact 0
		.amdhsa_exception_int_div_zero 0
	.end_amdhsa_kernel
	.section	.text._ZN7rocprim17ROCPRIM_400000_NS6detail17trampoline_kernelINS0_14default_configENS1_25partition_config_selectorILNS1_17partition_subalgoE8ElNS0_10empty_typeEbEEZZNS1_14partition_implILS5_8ELb0ES3_jPlPS6_PKS6_NS0_5tupleIJS9_S6_EEENSD_IJSA_SA_EEENS0_18inequality_wrapperIZN2at6native12_GLOBAL__N_124unique_dim_cuda_templateIhEESt5tupleIJNSH_6TensorESM_SM_EERKSM_lbbbEUlllE0_EEPmJS6_EEE10hipError_tPvRmT3_T4_T5_T6_T7_T9_mT8_P12ihipStream_tbDpT10_ENKUlT_T0_E_clISt17integral_constantIbLb0EES1C_EEDaS17_S18_EUlS17_E_NS1_11comp_targetILNS1_3genE2ELNS1_11target_archE906ELNS1_3gpuE6ELNS1_3repE0EEENS1_30default_config_static_selectorELNS0_4arch9wavefront6targetE1EEEvT1_,"axG",@progbits,_ZN7rocprim17ROCPRIM_400000_NS6detail17trampoline_kernelINS0_14default_configENS1_25partition_config_selectorILNS1_17partition_subalgoE8ElNS0_10empty_typeEbEEZZNS1_14partition_implILS5_8ELb0ES3_jPlPS6_PKS6_NS0_5tupleIJS9_S6_EEENSD_IJSA_SA_EEENS0_18inequality_wrapperIZN2at6native12_GLOBAL__N_124unique_dim_cuda_templateIhEESt5tupleIJNSH_6TensorESM_SM_EERKSM_lbbbEUlllE0_EEPmJS6_EEE10hipError_tPvRmT3_T4_T5_T6_T7_T9_mT8_P12ihipStream_tbDpT10_ENKUlT_T0_E_clISt17integral_constantIbLb0EES1C_EEDaS17_S18_EUlS17_E_NS1_11comp_targetILNS1_3genE2ELNS1_11target_archE906ELNS1_3gpuE6ELNS1_3repE0EEENS1_30default_config_static_selectorELNS0_4arch9wavefront6targetE1EEEvT1_,comdat
.Lfunc_end166:
	.size	_ZN7rocprim17ROCPRIM_400000_NS6detail17trampoline_kernelINS0_14default_configENS1_25partition_config_selectorILNS1_17partition_subalgoE8ElNS0_10empty_typeEbEEZZNS1_14partition_implILS5_8ELb0ES3_jPlPS6_PKS6_NS0_5tupleIJS9_S6_EEENSD_IJSA_SA_EEENS0_18inequality_wrapperIZN2at6native12_GLOBAL__N_124unique_dim_cuda_templateIhEESt5tupleIJNSH_6TensorESM_SM_EERKSM_lbbbEUlllE0_EEPmJS6_EEE10hipError_tPvRmT3_T4_T5_T6_T7_T9_mT8_P12ihipStream_tbDpT10_ENKUlT_T0_E_clISt17integral_constantIbLb0EES1C_EEDaS17_S18_EUlS17_E_NS1_11comp_targetILNS1_3genE2ELNS1_11target_archE906ELNS1_3gpuE6ELNS1_3repE0EEENS1_30default_config_static_selectorELNS0_4arch9wavefront6targetE1EEEvT1_, .Lfunc_end166-_ZN7rocprim17ROCPRIM_400000_NS6detail17trampoline_kernelINS0_14default_configENS1_25partition_config_selectorILNS1_17partition_subalgoE8ElNS0_10empty_typeEbEEZZNS1_14partition_implILS5_8ELb0ES3_jPlPS6_PKS6_NS0_5tupleIJS9_S6_EEENSD_IJSA_SA_EEENS0_18inequality_wrapperIZN2at6native12_GLOBAL__N_124unique_dim_cuda_templateIhEESt5tupleIJNSH_6TensorESM_SM_EERKSM_lbbbEUlllE0_EEPmJS6_EEE10hipError_tPvRmT3_T4_T5_T6_T7_T9_mT8_P12ihipStream_tbDpT10_ENKUlT_T0_E_clISt17integral_constantIbLb0EES1C_EEDaS17_S18_EUlS17_E_NS1_11comp_targetILNS1_3genE2ELNS1_11target_archE906ELNS1_3gpuE6ELNS1_3repE0EEENS1_30default_config_static_selectorELNS0_4arch9wavefront6targetE1EEEvT1_
                                        ; -- End function
	.section	.AMDGPU.csdata,"",@progbits
; Kernel info:
; codeLenInByte = 0
; NumSgprs: 6
; NumVgprs: 0
; NumAgprs: 0
; TotalNumVgprs: 0
; ScratchSize: 0
; MemoryBound: 0
; FloatMode: 240
; IeeeMode: 1
; LDSByteSize: 0 bytes/workgroup (compile time only)
; SGPRBlocks: 0
; VGPRBlocks: 0
; NumSGPRsForWavesPerEU: 6
; NumVGPRsForWavesPerEU: 1
; AccumOffset: 4
; Occupancy: 8
; WaveLimiterHint : 0
; COMPUTE_PGM_RSRC2:SCRATCH_EN: 0
; COMPUTE_PGM_RSRC2:USER_SGPR: 2
; COMPUTE_PGM_RSRC2:TRAP_HANDLER: 0
; COMPUTE_PGM_RSRC2:TGID_X_EN: 1
; COMPUTE_PGM_RSRC2:TGID_Y_EN: 0
; COMPUTE_PGM_RSRC2:TGID_Z_EN: 0
; COMPUTE_PGM_RSRC2:TIDIG_COMP_CNT: 0
; COMPUTE_PGM_RSRC3_GFX90A:ACCUM_OFFSET: 0
; COMPUTE_PGM_RSRC3_GFX90A:TG_SPLIT: 0
	.section	.text._ZN7rocprim17ROCPRIM_400000_NS6detail17trampoline_kernelINS0_14default_configENS1_25partition_config_selectorILNS1_17partition_subalgoE8ElNS0_10empty_typeEbEEZZNS1_14partition_implILS5_8ELb0ES3_jPlPS6_PKS6_NS0_5tupleIJS9_S6_EEENSD_IJSA_SA_EEENS0_18inequality_wrapperIZN2at6native12_GLOBAL__N_124unique_dim_cuda_templateIhEESt5tupleIJNSH_6TensorESM_SM_EERKSM_lbbbEUlllE0_EEPmJS6_EEE10hipError_tPvRmT3_T4_T5_T6_T7_T9_mT8_P12ihipStream_tbDpT10_ENKUlT_T0_E_clISt17integral_constantIbLb0EES1C_EEDaS17_S18_EUlS17_E_NS1_11comp_targetILNS1_3genE10ELNS1_11target_archE1200ELNS1_3gpuE4ELNS1_3repE0EEENS1_30default_config_static_selectorELNS0_4arch9wavefront6targetE1EEEvT1_,"axG",@progbits,_ZN7rocprim17ROCPRIM_400000_NS6detail17trampoline_kernelINS0_14default_configENS1_25partition_config_selectorILNS1_17partition_subalgoE8ElNS0_10empty_typeEbEEZZNS1_14partition_implILS5_8ELb0ES3_jPlPS6_PKS6_NS0_5tupleIJS9_S6_EEENSD_IJSA_SA_EEENS0_18inequality_wrapperIZN2at6native12_GLOBAL__N_124unique_dim_cuda_templateIhEESt5tupleIJNSH_6TensorESM_SM_EERKSM_lbbbEUlllE0_EEPmJS6_EEE10hipError_tPvRmT3_T4_T5_T6_T7_T9_mT8_P12ihipStream_tbDpT10_ENKUlT_T0_E_clISt17integral_constantIbLb0EES1C_EEDaS17_S18_EUlS17_E_NS1_11comp_targetILNS1_3genE10ELNS1_11target_archE1200ELNS1_3gpuE4ELNS1_3repE0EEENS1_30default_config_static_selectorELNS0_4arch9wavefront6targetE1EEEvT1_,comdat
	.globl	_ZN7rocprim17ROCPRIM_400000_NS6detail17trampoline_kernelINS0_14default_configENS1_25partition_config_selectorILNS1_17partition_subalgoE8ElNS0_10empty_typeEbEEZZNS1_14partition_implILS5_8ELb0ES3_jPlPS6_PKS6_NS0_5tupleIJS9_S6_EEENSD_IJSA_SA_EEENS0_18inequality_wrapperIZN2at6native12_GLOBAL__N_124unique_dim_cuda_templateIhEESt5tupleIJNSH_6TensorESM_SM_EERKSM_lbbbEUlllE0_EEPmJS6_EEE10hipError_tPvRmT3_T4_T5_T6_T7_T9_mT8_P12ihipStream_tbDpT10_ENKUlT_T0_E_clISt17integral_constantIbLb0EES1C_EEDaS17_S18_EUlS17_E_NS1_11comp_targetILNS1_3genE10ELNS1_11target_archE1200ELNS1_3gpuE4ELNS1_3repE0EEENS1_30default_config_static_selectorELNS0_4arch9wavefront6targetE1EEEvT1_ ; -- Begin function _ZN7rocprim17ROCPRIM_400000_NS6detail17trampoline_kernelINS0_14default_configENS1_25partition_config_selectorILNS1_17partition_subalgoE8ElNS0_10empty_typeEbEEZZNS1_14partition_implILS5_8ELb0ES3_jPlPS6_PKS6_NS0_5tupleIJS9_S6_EEENSD_IJSA_SA_EEENS0_18inequality_wrapperIZN2at6native12_GLOBAL__N_124unique_dim_cuda_templateIhEESt5tupleIJNSH_6TensorESM_SM_EERKSM_lbbbEUlllE0_EEPmJS6_EEE10hipError_tPvRmT3_T4_T5_T6_T7_T9_mT8_P12ihipStream_tbDpT10_ENKUlT_T0_E_clISt17integral_constantIbLb0EES1C_EEDaS17_S18_EUlS17_E_NS1_11comp_targetILNS1_3genE10ELNS1_11target_archE1200ELNS1_3gpuE4ELNS1_3repE0EEENS1_30default_config_static_selectorELNS0_4arch9wavefront6targetE1EEEvT1_
	.p2align	8
	.type	_ZN7rocprim17ROCPRIM_400000_NS6detail17trampoline_kernelINS0_14default_configENS1_25partition_config_selectorILNS1_17partition_subalgoE8ElNS0_10empty_typeEbEEZZNS1_14partition_implILS5_8ELb0ES3_jPlPS6_PKS6_NS0_5tupleIJS9_S6_EEENSD_IJSA_SA_EEENS0_18inequality_wrapperIZN2at6native12_GLOBAL__N_124unique_dim_cuda_templateIhEESt5tupleIJNSH_6TensorESM_SM_EERKSM_lbbbEUlllE0_EEPmJS6_EEE10hipError_tPvRmT3_T4_T5_T6_T7_T9_mT8_P12ihipStream_tbDpT10_ENKUlT_T0_E_clISt17integral_constantIbLb0EES1C_EEDaS17_S18_EUlS17_E_NS1_11comp_targetILNS1_3genE10ELNS1_11target_archE1200ELNS1_3gpuE4ELNS1_3repE0EEENS1_30default_config_static_selectorELNS0_4arch9wavefront6targetE1EEEvT1_,@function
_ZN7rocprim17ROCPRIM_400000_NS6detail17trampoline_kernelINS0_14default_configENS1_25partition_config_selectorILNS1_17partition_subalgoE8ElNS0_10empty_typeEbEEZZNS1_14partition_implILS5_8ELb0ES3_jPlPS6_PKS6_NS0_5tupleIJS9_S6_EEENSD_IJSA_SA_EEENS0_18inequality_wrapperIZN2at6native12_GLOBAL__N_124unique_dim_cuda_templateIhEESt5tupleIJNSH_6TensorESM_SM_EERKSM_lbbbEUlllE0_EEPmJS6_EEE10hipError_tPvRmT3_T4_T5_T6_T7_T9_mT8_P12ihipStream_tbDpT10_ENKUlT_T0_E_clISt17integral_constantIbLb0EES1C_EEDaS17_S18_EUlS17_E_NS1_11comp_targetILNS1_3genE10ELNS1_11target_archE1200ELNS1_3gpuE4ELNS1_3repE0EEENS1_30default_config_static_selectorELNS0_4arch9wavefront6targetE1EEEvT1_: ; @_ZN7rocprim17ROCPRIM_400000_NS6detail17trampoline_kernelINS0_14default_configENS1_25partition_config_selectorILNS1_17partition_subalgoE8ElNS0_10empty_typeEbEEZZNS1_14partition_implILS5_8ELb0ES3_jPlPS6_PKS6_NS0_5tupleIJS9_S6_EEENSD_IJSA_SA_EEENS0_18inequality_wrapperIZN2at6native12_GLOBAL__N_124unique_dim_cuda_templateIhEESt5tupleIJNSH_6TensorESM_SM_EERKSM_lbbbEUlllE0_EEPmJS6_EEE10hipError_tPvRmT3_T4_T5_T6_T7_T9_mT8_P12ihipStream_tbDpT10_ENKUlT_T0_E_clISt17integral_constantIbLb0EES1C_EEDaS17_S18_EUlS17_E_NS1_11comp_targetILNS1_3genE10ELNS1_11target_archE1200ELNS1_3gpuE4ELNS1_3repE0EEENS1_30default_config_static_selectorELNS0_4arch9wavefront6targetE1EEEvT1_
; %bb.0:
	.section	.rodata,"a",@progbits
	.p2align	6, 0x0
	.amdhsa_kernel _ZN7rocprim17ROCPRIM_400000_NS6detail17trampoline_kernelINS0_14default_configENS1_25partition_config_selectorILNS1_17partition_subalgoE8ElNS0_10empty_typeEbEEZZNS1_14partition_implILS5_8ELb0ES3_jPlPS6_PKS6_NS0_5tupleIJS9_S6_EEENSD_IJSA_SA_EEENS0_18inequality_wrapperIZN2at6native12_GLOBAL__N_124unique_dim_cuda_templateIhEESt5tupleIJNSH_6TensorESM_SM_EERKSM_lbbbEUlllE0_EEPmJS6_EEE10hipError_tPvRmT3_T4_T5_T6_T7_T9_mT8_P12ihipStream_tbDpT10_ENKUlT_T0_E_clISt17integral_constantIbLb0EES1C_EEDaS17_S18_EUlS17_E_NS1_11comp_targetILNS1_3genE10ELNS1_11target_archE1200ELNS1_3gpuE4ELNS1_3repE0EEENS1_30default_config_static_selectorELNS0_4arch9wavefront6targetE1EEEvT1_
		.amdhsa_group_segment_fixed_size 0
		.amdhsa_private_segment_fixed_size 0
		.amdhsa_kernarg_size 120
		.amdhsa_user_sgpr_count 2
		.amdhsa_user_sgpr_dispatch_ptr 0
		.amdhsa_user_sgpr_queue_ptr 0
		.amdhsa_user_sgpr_kernarg_segment_ptr 1
		.amdhsa_user_sgpr_dispatch_id 0
		.amdhsa_user_sgpr_kernarg_preload_length 0
		.amdhsa_user_sgpr_kernarg_preload_offset 0
		.amdhsa_user_sgpr_private_segment_size 0
		.amdhsa_uses_dynamic_stack 0
		.amdhsa_enable_private_segment 0
		.amdhsa_system_sgpr_workgroup_id_x 1
		.amdhsa_system_sgpr_workgroup_id_y 0
		.amdhsa_system_sgpr_workgroup_id_z 0
		.amdhsa_system_sgpr_workgroup_info 0
		.amdhsa_system_vgpr_workitem_id 0
		.amdhsa_next_free_vgpr 1
		.amdhsa_next_free_sgpr 0
		.amdhsa_accum_offset 4
		.amdhsa_reserve_vcc 0
		.amdhsa_float_round_mode_32 0
		.amdhsa_float_round_mode_16_64 0
		.amdhsa_float_denorm_mode_32 3
		.amdhsa_float_denorm_mode_16_64 3
		.amdhsa_dx10_clamp 1
		.amdhsa_ieee_mode 1
		.amdhsa_fp16_overflow 0
		.amdhsa_tg_split 0
		.amdhsa_exception_fp_ieee_invalid_op 0
		.amdhsa_exception_fp_denorm_src 0
		.amdhsa_exception_fp_ieee_div_zero 0
		.amdhsa_exception_fp_ieee_overflow 0
		.amdhsa_exception_fp_ieee_underflow 0
		.amdhsa_exception_fp_ieee_inexact 0
		.amdhsa_exception_int_div_zero 0
	.end_amdhsa_kernel
	.section	.text._ZN7rocprim17ROCPRIM_400000_NS6detail17trampoline_kernelINS0_14default_configENS1_25partition_config_selectorILNS1_17partition_subalgoE8ElNS0_10empty_typeEbEEZZNS1_14partition_implILS5_8ELb0ES3_jPlPS6_PKS6_NS0_5tupleIJS9_S6_EEENSD_IJSA_SA_EEENS0_18inequality_wrapperIZN2at6native12_GLOBAL__N_124unique_dim_cuda_templateIhEESt5tupleIJNSH_6TensorESM_SM_EERKSM_lbbbEUlllE0_EEPmJS6_EEE10hipError_tPvRmT3_T4_T5_T6_T7_T9_mT8_P12ihipStream_tbDpT10_ENKUlT_T0_E_clISt17integral_constantIbLb0EES1C_EEDaS17_S18_EUlS17_E_NS1_11comp_targetILNS1_3genE10ELNS1_11target_archE1200ELNS1_3gpuE4ELNS1_3repE0EEENS1_30default_config_static_selectorELNS0_4arch9wavefront6targetE1EEEvT1_,"axG",@progbits,_ZN7rocprim17ROCPRIM_400000_NS6detail17trampoline_kernelINS0_14default_configENS1_25partition_config_selectorILNS1_17partition_subalgoE8ElNS0_10empty_typeEbEEZZNS1_14partition_implILS5_8ELb0ES3_jPlPS6_PKS6_NS0_5tupleIJS9_S6_EEENSD_IJSA_SA_EEENS0_18inequality_wrapperIZN2at6native12_GLOBAL__N_124unique_dim_cuda_templateIhEESt5tupleIJNSH_6TensorESM_SM_EERKSM_lbbbEUlllE0_EEPmJS6_EEE10hipError_tPvRmT3_T4_T5_T6_T7_T9_mT8_P12ihipStream_tbDpT10_ENKUlT_T0_E_clISt17integral_constantIbLb0EES1C_EEDaS17_S18_EUlS17_E_NS1_11comp_targetILNS1_3genE10ELNS1_11target_archE1200ELNS1_3gpuE4ELNS1_3repE0EEENS1_30default_config_static_selectorELNS0_4arch9wavefront6targetE1EEEvT1_,comdat
.Lfunc_end167:
	.size	_ZN7rocprim17ROCPRIM_400000_NS6detail17trampoline_kernelINS0_14default_configENS1_25partition_config_selectorILNS1_17partition_subalgoE8ElNS0_10empty_typeEbEEZZNS1_14partition_implILS5_8ELb0ES3_jPlPS6_PKS6_NS0_5tupleIJS9_S6_EEENSD_IJSA_SA_EEENS0_18inequality_wrapperIZN2at6native12_GLOBAL__N_124unique_dim_cuda_templateIhEESt5tupleIJNSH_6TensorESM_SM_EERKSM_lbbbEUlllE0_EEPmJS6_EEE10hipError_tPvRmT3_T4_T5_T6_T7_T9_mT8_P12ihipStream_tbDpT10_ENKUlT_T0_E_clISt17integral_constantIbLb0EES1C_EEDaS17_S18_EUlS17_E_NS1_11comp_targetILNS1_3genE10ELNS1_11target_archE1200ELNS1_3gpuE4ELNS1_3repE0EEENS1_30default_config_static_selectorELNS0_4arch9wavefront6targetE1EEEvT1_, .Lfunc_end167-_ZN7rocprim17ROCPRIM_400000_NS6detail17trampoline_kernelINS0_14default_configENS1_25partition_config_selectorILNS1_17partition_subalgoE8ElNS0_10empty_typeEbEEZZNS1_14partition_implILS5_8ELb0ES3_jPlPS6_PKS6_NS0_5tupleIJS9_S6_EEENSD_IJSA_SA_EEENS0_18inequality_wrapperIZN2at6native12_GLOBAL__N_124unique_dim_cuda_templateIhEESt5tupleIJNSH_6TensorESM_SM_EERKSM_lbbbEUlllE0_EEPmJS6_EEE10hipError_tPvRmT3_T4_T5_T6_T7_T9_mT8_P12ihipStream_tbDpT10_ENKUlT_T0_E_clISt17integral_constantIbLb0EES1C_EEDaS17_S18_EUlS17_E_NS1_11comp_targetILNS1_3genE10ELNS1_11target_archE1200ELNS1_3gpuE4ELNS1_3repE0EEENS1_30default_config_static_selectorELNS0_4arch9wavefront6targetE1EEEvT1_
                                        ; -- End function
	.section	.AMDGPU.csdata,"",@progbits
; Kernel info:
; codeLenInByte = 0
; NumSgprs: 6
; NumVgprs: 0
; NumAgprs: 0
; TotalNumVgprs: 0
; ScratchSize: 0
; MemoryBound: 0
; FloatMode: 240
; IeeeMode: 1
; LDSByteSize: 0 bytes/workgroup (compile time only)
; SGPRBlocks: 0
; VGPRBlocks: 0
; NumSGPRsForWavesPerEU: 6
; NumVGPRsForWavesPerEU: 1
; AccumOffset: 4
; Occupancy: 8
; WaveLimiterHint : 0
; COMPUTE_PGM_RSRC2:SCRATCH_EN: 0
; COMPUTE_PGM_RSRC2:USER_SGPR: 2
; COMPUTE_PGM_RSRC2:TRAP_HANDLER: 0
; COMPUTE_PGM_RSRC2:TGID_X_EN: 1
; COMPUTE_PGM_RSRC2:TGID_Y_EN: 0
; COMPUTE_PGM_RSRC2:TGID_Z_EN: 0
; COMPUTE_PGM_RSRC2:TIDIG_COMP_CNT: 0
; COMPUTE_PGM_RSRC3_GFX90A:ACCUM_OFFSET: 0
; COMPUTE_PGM_RSRC3_GFX90A:TG_SPLIT: 0
	.section	.text._ZN7rocprim17ROCPRIM_400000_NS6detail17trampoline_kernelINS0_14default_configENS1_25partition_config_selectorILNS1_17partition_subalgoE8ElNS0_10empty_typeEbEEZZNS1_14partition_implILS5_8ELb0ES3_jPlPS6_PKS6_NS0_5tupleIJS9_S6_EEENSD_IJSA_SA_EEENS0_18inequality_wrapperIZN2at6native12_GLOBAL__N_124unique_dim_cuda_templateIhEESt5tupleIJNSH_6TensorESM_SM_EERKSM_lbbbEUlllE0_EEPmJS6_EEE10hipError_tPvRmT3_T4_T5_T6_T7_T9_mT8_P12ihipStream_tbDpT10_ENKUlT_T0_E_clISt17integral_constantIbLb0EES1C_EEDaS17_S18_EUlS17_E_NS1_11comp_targetILNS1_3genE9ELNS1_11target_archE1100ELNS1_3gpuE3ELNS1_3repE0EEENS1_30default_config_static_selectorELNS0_4arch9wavefront6targetE1EEEvT1_,"axG",@progbits,_ZN7rocprim17ROCPRIM_400000_NS6detail17trampoline_kernelINS0_14default_configENS1_25partition_config_selectorILNS1_17partition_subalgoE8ElNS0_10empty_typeEbEEZZNS1_14partition_implILS5_8ELb0ES3_jPlPS6_PKS6_NS0_5tupleIJS9_S6_EEENSD_IJSA_SA_EEENS0_18inequality_wrapperIZN2at6native12_GLOBAL__N_124unique_dim_cuda_templateIhEESt5tupleIJNSH_6TensorESM_SM_EERKSM_lbbbEUlllE0_EEPmJS6_EEE10hipError_tPvRmT3_T4_T5_T6_T7_T9_mT8_P12ihipStream_tbDpT10_ENKUlT_T0_E_clISt17integral_constantIbLb0EES1C_EEDaS17_S18_EUlS17_E_NS1_11comp_targetILNS1_3genE9ELNS1_11target_archE1100ELNS1_3gpuE3ELNS1_3repE0EEENS1_30default_config_static_selectorELNS0_4arch9wavefront6targetE1EEEvT1_,comdat
	.globl	_ZN7rocprim17ROCPRIM_400000_NS6detail17trampoline_kernelINS0_14default_configENS1_25partition_config_selectorILNS1_17partition_subalgoE8ElNS0_10empty_typeEbEEZZNS1_14partition_implILS5_8ELb0ES3_jPlPS6_PKS6_NS0_5tupleIJS9_S6_EEENSD_IJSA_SA_EEENS0_18inequality_wrapperIZN2at6native12_GLOBAL__N_124unique_dim_cuda_templateIhEESt5tupleIJNSH_6TensorESM_SM_EERKSM_lbbbEUlllE0_EEPmJS6_EEE10hipError_tPvRmT3_T4_T5_T6_T7_T9_mT8_P12ihipStream_tbDpT10_ENKUlT_T0_E_clISt17integral_constantIbLb0EES1C_EEDaS17_S18_EUlS17_E_NS1_11comp_targetILNS1_3genE9ELNS1_11target_archE1100ELNS1_3gpuE3ELNS1_3repE0EEENS1_30default_config_static_selectorELNS0_4arch9wavefront6targetE1EEEvT1_ ; -- Begin function _ZN7rocprim17ROCPRIM_400000_NS6detail17trampoline_kernelINS0_14default_configENS1_25partition_config_selectorILNS1_17partition_subalgoE8ElNS0_10empty_typeEbEEZZNS1_14partition_implILS5_8ELb0ES3_jPlPS6_PKS6_NS0_5tupleIJS9_S6_EEENSD_IJSA_SA_EEENS0_18inequality_wrapperIZN2at6native12_GLOBAL__N_124unique_dim_cuda_templateIhEESt5tupleIJNSH_6TensorESM_SM_EERKSM_lbbbEUlllE0_EEPmJS6_EEE10hipError_tPvRmT3_T4_T5_T6_T7_T9_mT8_P12ihipStream_tbDpT10_ENKUlT_T0_E_clISt17integral_constantIbLb0EES1C_EEDaS17_S18_EUlS17_E_NS1_11comp_targetILNS1_3genE9ELNS1_11target_archE1100ELNS1_3gpuE3ELNS1_3repE0EEENS1_30default_config_static_selectorELNS0_4arch9wavefront6targetE1EEEvT1_
	.p2align	8
	.type	_ZN7rocprim17ROCPRIM_400000_NS6detail17trampoline_kernelINS0_14default_configENS1_25partition_config_selectorILNS1_17partition_subalgoE8ElNS0_10empty_typeEbEEZZNS1_14partition_implILS5_8ELb0ES3_jPlPS6_PKS6_NS0_5tupleIJS9_S6_EEENSD_IJSA_SA_EEENS0_18inequality_wrapperIZN2at6native12_GLOBAL__N_124unique_dim_cuda_templateIhEESt5tupleIJNSH_6TensorESM_SM_EERKSM_lbbbEUlllE0_EEPmJS6_EEE10hipError_tPvRmT3_T4_T5_T6_T7_T9_mT8_P12ihipStream_tbDpT10_ENKUlT_T0_E_clISt17integral_constantIbLb0EES1C_EEDaS17_S18_EUlS17_E_NS1_11comp_targetILNS1_3genE9ELNS1_11target_archE1100ELNS1_3gpuE3ELNS1_3repE0EEENS1_30default_config_static_selectorELNS0_4arch9wavefront6targetE1EEEvT1_,@function
_ZN7rocprim17ROCPRIM_400000_NS6detail17trampoline_kernelINS0_14default_configENS1_25partition_config_selectorILNS1_17partition_subalgoE8ElNS0_10empty_typeEbEEZZNS1_14partition_implILS5_8ELb0ES3_jPlPS6_PKS6_NS0_5tupleIJS9_S6_EEENSD_IJSA_SA_EEENS0_18inequality_wrapperIZN2at6native12_GLOBAL__N_124unique_dim_cuda_templateIhEESt5tupleIJNSH_6TensorESM_SM_EERKSM_lbbbEUlllE0_EEPmJS6_EEE10hipError_tPvRmT3_T4_T5_T6_T7_T9_mT8_P12ihipStream_tbDpT10_ENKUlT_T0_E_clISt17integral_constantIbLb0EES1C_EEDaS17_S18_EUlS17_E_NS1_11comp_targetILNS1_3genE9ELNS1_11target_archE1100ELNS1_3gpuE3ELNS1_3repE0EEENS1_30default_config_static_selectorELNS0_4arch9wavefront6targetE1EEEvT1_: ; @_ZN7rocprim17ROCPRIM_400000_NS6detail17trampoline_kernelINS0_14default_configENS1_25partition_config_selectorILNS1_17partition_subalgoE8ElNS0_10empty_typeEbEEZZNS1_14partition_implILS5_8ELb0ES3_jPlPS6_PKS6_NS0_5tupleIJS9_S6_EEENSD_IJSA_SA_EEENS0_18inequality_wrapperIZN2at6native12_GLOBAL__N_124unique_dim_cuda_templateIhEESt5tupleIJNSH_6TensorESM_SM_EERKSM_lbbbEUlllE0_EEPmJS6_EEE10hipError_tPvRmT3_T4_T5_T6_T7_T9_mT8_P12ihipStream_tbDpT10_ENKUlT_T0_E_clISt17integral_constantIbLb0EES1C_EEDaS17_S18_EUlS17_E_NS1_11comp_targetILNS1_3genE9ELNS1_11target_archE1100ELNS1_3gpuE3ELNS1_3repE0EEENS1_30default_config_static_selectorELNS0_4arch9wavefront6targetE1EEEvT1_
; %bb.0:
	.section	.rodata,"a",@progbits
	.p2align	6, 0x0
	.amdhsa_kernel _ZN7rocprim17ROCPRIM_400000_NS6detail17trampoline_kernelINS0_14default_configENS1_25partition_config_selectorILNS1_17partition_subalgoE8ElNS0_10empty_typeEbEEZZNS1_14partition_implILS5_8ELb0ES3_jPlPS6_PKS6_NS0_5tupleIJS9_S6_EEENSD_IJSA_SA_EEENS0_18inequality_wrapperIZN2at6native12_GLOBAL__N_124unique_dim_cuda_templateIhEESt5tupleIJNSH_6TensorESM_SM_EERKSM_lbbbEUlllE0_EEPmJS6_EEE10hipError_tPvRmT3_T4_T5_T6_T7_T9_mT8_P12ihipStream_tbDpT10_ENKUlT_T0_E_clISt17integral_constantIbLb0EES1C_EEDaS17_S18_EUlS17_E_NS1_11comp_targetILNS1_3genE9ELNS1_11target_archE1100ELNS1_3gpuE3ELNS1_3repE0EEENS1_30default_config_static_selectorELNS0_4arch9wavefront6targetE1EEEvT1_
		.amdhsa_group_segment_fixed_size 0
		.amdhsa_private_segment_fixed_size 0
		.amdhsa_kernarg_size 120
		.amdhsa_user_sgpr_count 2
		.amdhsa_user_sgpr_dispatch_ptr 0
		.amdhsa_user_sgpr_queue_ptr 0
		.amdhsa_user_sgpr_kernarg_segment_ptr 1
		.amdhsa_user_sgpr_dispatch_id 0
		.amdhsa_user_sgpr_kernarg_preload_length 0
		.amdhsa_user_sgpr_kernarg_preload_offset 0
		.amdhsa_user_sgpr_private_segment_size 0
		.amdhsa_uses_dynamic_stack 0
		.amdhsa_enable_private_segment 0
		.amdhsa_system_sgpr_workgroup_id_x 1
		.amdhsa_system_sgpr_workgroup_id_y 0
		.amdhsa_system_sgpr_workgroup_id_z 0
		.amdhsa_system_sgpr_workgroup_info 0
		.amdhsa_system_vgpr_workitem_id 0
		.amdhsa_next_free_vgpr 1
		.amdhsa_next_free_sgpr 0
		.amdhsa_accum_offset 4
		.amdhsa_reserve_vcc 0
		.amdhsa_float_round_mode_32 0
		.amdhsa_float_round_mode_16_64 0
		.amdhsa_float_denorm_mode_32 3
		.amdhsa_float_denorm_mode_16_64 3
		.amdhsa_dx10_clamp 1
		.amdhsa_ieee_mode 1
		.amdhsa_fp16_overflow 0
		.amdhsa_tg_split 0
		.amdhsa_exception_fp_ieee_invalid_op 0
		.amdhsa_exception_fp_denorm_src 0
		.amdhsa_exception_fp_ieee_div_zero 0
		.amdhsa_exception_fp_ieee_overflow 0
		.amdhsa_exception_fp_ieee_underflow 0
		.amdhsa_exception_fp_ieee_inexact 0
		.amdhsa_exception_int_div_zero 0
	.end_amdhsa_kernel
	.section	.text._ZN7rocprim17ROCPRIM_400000_NS6detail17trampoline_kernelINS0_14default_configENS1_25partition_config_selectorILNS1_17partition_subalgoE8ElNS0_10empty_typeEbEEZZNS1_14partition_implILS5_8ELb0ES3_jPlPS6_PKS6_NS0_5tupleIJS9_S6_EEENSD_IJSA_SA_EEENS0_18inequality_wrapperIZN2at6native12_GLOBAL__N_124unique_dim_cuda_templateIhEESt5tupleIJNSH_6TensorESM_SM_EERKSM_lbbbEUlllE0_EEPmJS6_EEE10hipError_tPvRmT3_T4_T5_T6_T7_T9_mT8_P12ihipStream_tbDpT10_ENKUlT_T0_E_clISt17integral_constantIbLb0EES1C_EEDaS17_S18_EUlS17_E_NS1_11comp_targetILNS1_3genE9ELNS1_11target_archE1100ELNS1_3gpuE3ELNS1_3repE0EEENS1_30default_config_static_selectorELNS0_4arch9wavefront6targetE1EEEvT1_,"axG",@progbits,_ZN7rocprim17ROCPRIM_400000_NS6detail17trampoline_kernelINS0_14default_configENS1_25partition_config_selectorILNS1_17partition_subalgoE8ElNS0_10empty_typeEbEEZZNS1_14partition_implILS5_8ELb0ES3_jPlPS6_PKS6_NS0_5tupleIJS9_S6_EEENSD_IJSA_SA_EEENS0_18inequality_wrapperIZN2at6native12_GLOBAL__N_124unique_dim_cuda_templateIhEESt5tupleIJNSH_6TensorESM_SM_EERKSM_lbbbEUlllE0_EEPmJS6_EEE10hipError_tPvRmT3_T4_T5_T6_T7_T9_mT8_P12ihipStream_tbDpT10_ENKUlT_T0_E_clISt17integral_constantIbLb0EES1C_EEDaS17_S18_EUlS17_E_NS1_11comp_targetILNS1_3genE9ELNS1_11target_archE1100ELNS1_3gpuE3ELNS1_3repE0EEENS1_30default_config_static_selectorELNS0_4arch9wavefront6targetE1EEEvT1_,comdat
.Lfunc_end168:
	.size	_ZN7rocprim17ROCPRIM_400000_NS6detail17trampoline_kernelINS0_14default_configENS1_25partition_config_selectorILNS1_17partition_subalgoE8ElNS0_10empty_typeEbEEZZNS1_14partition_implILS5_8ELb0ES3_jPlPS6_PKS6_NS0_5tupleIJS9_S6_EEENSD_IJSA_SA_EEENS0_18inequality_wrapperIZN2at6native12_GLOBAL__N_124unique_dim_cuda_templateIhEESt5tupleIJNSH_6TensorESM_SM_EERKSM_lbbbEUlllE0_EEPmJS6_EEE10hipError_tPvRmT3_T4_T5_T6_T7_T9_mT8_P12ihipStream_tbDpT10_ENKUlT_T0_E_clISt17integral_constantIbLb0EES1C_EEDaS17_S18_EUlS17_E_NS1_11comp_targetILNS1_3genE9ELNS1_11target_archE1100ELNS1_3gpuE3ELNS1_3repE0EEENS1_30default_config_static_selectorELNS0_4arch9wavefront6targetE1EEEvT1_, .Lfunc_end168-_ZN7rocprim17ROCPRIM_400000_NS6detail17trampoline_kernelINS0_14default_configENS1_25partition_config_selectorILNS1_17partition_subalgoE8ElNS0_10empty_typeEbEEZZNS1_14partition_implILS5_8ELb0ES3_jPlPS6_PKS6_NS0_5tupleIJS9_S6_EEENSD_IJSA_SA_EEENS0_18inequality_wrapperIZN2at6native12_GLOBAL__N_124unique_dim_cuda_templateIhEESt5tupleIJNSH_6TensorESM_SM_EERKSM_lbbbEUlllE0_EEPmJS6_EEE10hipError_tPvRmT3_T4_T5_T6_T7_T9_mT8_P12ihipStream_tbDpT10_ENKUlT_T0_E_clISt17integral_constantIbLb0EES1C_EEDaS17_S18_EUlS17_E_NS1_11comp_targetILNS1_3genE9ELNS1_11target_archE1100ELNS1_3gpuE3ELNS1_3repE0EEENS1_30default_config_static_selectorELNS0_4arch9wavefront6targetE1EEEvT1_
                                        ; -- End function
	.section	.AMDGPU.csdata,"",@progbits
; Kernel info:
; codeLenInByte = 0
; NumSgprs: 6
; NumVgprs: 0
; NumAgprs: 0
; TotalNumVgprs: 0
; ScratchSize: 0
; MemoryBound: 0
; FloatMode: 240
; IeeeMode: 1
; LDSByteSize: 0 bytes/workgroup (compile time only)
; SGPRBlocks: 0
; VGPRBlocks: 0
; NumSGPRsForWavesPerEU: 6
; NumVGPRsForWavesPerEU: 1
; AccumOffset: 4
; Occupancy: 8
; WaveLimiterHint : 0
; COMPUTE_PGM_RSRC2:SCRATCH_EN: 0
; COMPUTE_PGM_RSRC2:USER_SGPR: 2
; COMPUTE_PGM_RSRC2:TRAP_HANDLER: 0
; COMPUTE_PGM_RSRC2:TGID_X_EN: 1
; COMPUTE_PGM_RSRC2:TGID_Y_EN: 0
; COMPUTE_PGM_RSRC2:TGID_Z_EN: 0
; COMPUTE_PGM_RSRC2:TIDIG_COMP_CNT: 0
; COMPUTE_PGM_RSRC3_GFX90A:ACCUM_OFFSET: 0
; COMPUTE_PGM_RSRC3_GFX90A:TG_SPLIT: 0
	.section	.text._ZN7rocprim17ROCPRIM_400000_NS6detail17trampoline_kernelINS0_14default_configENS1_25partition_config_selectorILNS1_17partition_subalgoE8ElNS0_10empty_typeEbEEZZNS1_14partition_implILS5_8ELb0ES3_jPlPS6_PKS6_NS0_5tupleIJS9_S6_EEENSD_IJSA_SA_EEENS0_18inequality_wrapperIZN2at6native12_GLOBAL__N_124unique_dim_cuda_templateIhEESt5tupleIJNSH_6TensorESM_SM_EERKSM_lbbbEUlllE0_EEPmJS6_EEE10hipError_tPvRmT3_T4_T5_T6_T7_T9_mT8_P12ihipStream_tbDpT10_ENKUlT_T0_E_clISt17integral_constantIbLb0EES1C_EEDaS17_S18_EUlS17_E_NS1_11comp_targetILNS1_3genE8ELNS1_11target_archE1030ELNS1_3gpuE2ELNS1_3repE0EEENS1_30default_config_static_selectorELNS0_4arch9wavefront6targetE1EEEvT1_,"axG",@progbits,_ZN7rocprim17ROCPRIM_400000_NS6detail17trampoline_kernelINS0_14default_configENS1_25partition_config_selectorILNS1_17partition_subalgoE8ElNS0_10empty_typeEbEEZZNS1_14partition_implILS5_8ELb0ES3_jPlPS6_PKS6_NS0_5tupleIJS9_S6_EEENSD_IJSA_SA_EEENS0_18inequality_wrapperIZN2at6native12_GLOBAL__N_124unique_dim_cuda_templateIhEESt5tupleIJNSH_6TensorESM_SM_EERKSM_lbbbEUlllE0_EEPmJS6_EEE10hipError_tPvRmT3_T4_T5_T6_T7_T9_mT8_P12ihipStream_tbDpT10_ENKUlT_T0_E_clISt17integral_constantIbLb0EES1C_EEDaS17_S18_EUlS17_E_NS1_11comp_targetILNS1_3genE8ELNS1_11target_archE1030ELNS1_3gpuE2ELNS1_3repE0EEENS1_30default_config_static_selectorELNS0_4arch9wavefront6targetE1EEEvT1_,comdat
	.globl	_ZN7rocprim17ROCPRIM_400000_NS6detail17trampoline_kernelINS0_14default_configENS1_25partition_config_selectorILNS1_17partition_subalgoE8ElNS0_10empty_typeEbEEZZNS1_14partition_implILS5_8ELb0ES3_jPlPS6_PKS6_NS0_5tupleIJS9_S6_EEENSD_IJSA_SA_EEENS0_18inequality_wrapperIZN2at6native12_GLOBAL__N_124unique_dim_cuda_templateIhEESt5tupleIJNSH_6TensorESM_SM_EERKSM_lbbbEUlllE0_EEPmJS6_EEE10hipError_tPvRmT3_T4_T5_T6_T7_T9_mT8_P12ihipStream_tbDpT10_ENKUlT_T0_E_clISt17integral_constantIbLb0EES1C_EEDaS17_S18_EUlS17_E_NS1_11comp_targetILNS1_3genE8ELNS1_11target_archE1030ELNS1_3gpuE2ELNS1_3repE0EEENS1_30default_config_static_selectorELNS0_4arch9wavefront6targetE1EEEvT1_ ; -- Begin function _ZN7rocprim17ROCPRIM_400000_NS6detail17trampoline_kernelINS0_14default_configENS1_25partition_config_selectorILNS1_17partition_subalgoE8ElNS0_10empty_typeEbEEZZNS1_14partition_implILS5_8ELb0ES3_jPlPS6_PKS6_NS0_5tupleIJS9_S6_EEENSD_IJSA_SA_EEENS0_18inequality_wrapperIZN2at6native12_GLOBAL__N_124unique_dim_cuda_templateIhEESt5tupleIJNSH_6TensorESM_SM_EERKSM_lbbbEUlllE0_EEPmJS6_EEE10hipError_tPvRmT3_T4_T5_T6_T7_T9_mT8_P12ihipStream_tbDpT10_ENKUlT_T0_E_clISt17integral_constantIbLb0EES1C_EEDaS17_S18_EUlS17_E_NS1_11comp_targetILNS1_3genE8ELNS1_11target_archE1030ELNS1_3gpuE2ELNS1_3repE0EEENS1_30default_config_static_selectorELNS0_4arch9wavefront6targetE1EEEvT1_
	.p2align	8
	.type	_ZN7rocprim17ROCPRIM_400000_NS6detail17trampoline_kernelINS0_14default_configENS1_25partition_config_selectorILNS1_17partition_subalgoE8ElNS0_10empty_typeEbEEZZNS1_14partition_implILS5_8ELb0ES3_jPlPS6_PKS6_NS0_5tupleIJS9_S6_EEENSD_IJSA_SA_EEENS0_18inequality_wrapperIZN2at6native12_GLOBAL__N_124unique_dim_cuda_templateIhEESt5tupleIJNSH_6TensorESM_SM_EERKSM_lbbbEUlllE0_EEPmJS6_EEE10hipError_tPvRmT3_T4_T5_T6_T7_T9_mT8_P12ihipStream_tbDpT10_ENKUlT_T0_E_clISt17integral_constantIbLb0EES1C_EEDaS17_S18_EUlS17_E_NS1_11comp_targetILNS1_3genE8ELNS1_11target_archE1030ELNS1_3gpuE2ELNS1_3repE0EEENS1_30default_config_static_selectorELNS0_4arch9wavefront6targetE1EEEvT1_,@function
_ZN7rocprim17ROCPRIM_400000_NS6detail17trampoline_kernelINS0_14default_configENS1_25partition_config_selectorILNS1_17partition_subalgoE8ElNS0_10empty_typeEbEEZZNS1_14partition_implILS5_8ELb0ES3_jPlPS6_PKS6_NS0_5tupleIJS9_S6_EEENSD_IJSA_SA_EEENS0_18inequality_wrapperIZN2at6native12_GLOBAL__N_124unique_dim_cuda_templateIhEESt5tupleIJNSH_6TensorESM_SM_EERKSM_lbbbEUlllE0_EEPmJS6_EEE10hipError_tPvRmT3_T4_T5_T6_T7_T9_mT8_P12ihipStream_tbDpT10_ENKUlT_T0_E_clISt17integral_constantIbLb0EES1C_EEDaS17_S18_EUlS17_E_NS1_11comp_targetILNS1_3genE8ELNS1_11target_archE1030ELNS1_3gpuE2ELNS1_3repE0EEENS1_30default_config_static_selectorELNS0_4arch9wavefront6targetE1EEEvT1_: ; @_ZN7rocprim17ROCPRIM_400000_NS6detail17trampoline_kernelINS0_14default_configENS1_25partition_config_selectorILNS1_17partition_subalgoE8ElNS0_10empty_typeEbEEZZNS1_14partition_implILS5_8ELb0ES3_jPlPS6_PKS6_NS0_5tupleIJS9_S6_EEENSD_IJSA_SA_EEENS0_18inequality_wrapperIZN2at6native12_GLOBAL__N_124unique_dim_cuda_templateIhEESt5tupleIJNSH_6TensorESM_SM_EERKSM_lbbbEUlllE0_EEPmJS6_EEE10hipError_tPvRmT3_T4_T5_T6_T7_T9_mT8_P12ihipStream_tbDpT10_ENKUlT_T0_E_clISt17integral_constantIbLb0EES1C_EEDaS17_S18_EUlS17_E_NS1_11comp_targetILNS1_3genE8ELNS1_11target_archE1030ELNS1_3gpuE2ELNS1_3repE0EEENS1_30default_config_static_selectorELNS0_4arch9wavefront6targetE1EEEvT1_
; %bb.0:
	.section	.rodata,"a",@progbits
	.p2align	6, 0x0
	.amdhsa_kernel _ZN7rocprim17ROCPRIM_400000_NS6detail17trampoline_kernelINS0_14default_configENS1_25partition_config_selectorILNS1_17partition_subalgoE8ElNS0_10empty_typeEbEEZZNS1_14partition_implILS5_8ELb0ES3_jPlPS6_PKS6_NS0_5tupleIJS9_S6_EEENSD_IJSA_SA_EEENS0_18inequality_wrapperIZN2at6native12_GLOBAL__N_124unique_dim_cuda_templateIhEESt5tupleIJNSH_6TensorESM_SM_EERKSM_lbbbEUlllE0_EEPmJS6_EEE10hipError_tPvRmT3_T4_T5_T6_T7_T9_mT8_P12ihipStream_tbDpT10_ENKUlT_T0_E_clISt17integral_constantIbLb0EES1C_EEDaS17_S18_EUlS17_E_NS1_11comp_targetILNS1_3genE8ELNS1_11target_archE1030ELNS1_3gpuE2ELNS1_3repE0EEENS1_30default_config_static_selectorELNS0_4arch9wavefront6targetE1EEEvT1_
		.amdhsa_group_segment_fixed_size 0
		.amdhsa_private_segment_fixed_size 0
		.amdhsa_kernarg_size 120
		.amdhsa_user_sgpr_count 2
		.amdhsa_user_sgpr_dispatch_ptr 0
		.amdhsa_user_sgpr_queue_ptr 0
		.amdhsa_user_sgpr_kernarg_segment_ptr 1
		.amdhsa_user_sgpr_dispatch_id 0
		.amdhsa_user_sgpr_kernarg_preload_length 0
		.amdhsa_user_sgpr_kernarg_preload_offset 0
		.amdhsa_user_sgpr_private_segment_size 0
		.amdhsa_uses_dynamic_stack 0
		.amdhsa_enable_private_segment 0
		.amdhsa_system_sgpr_workgroup_id_x 1
		.amdhsa_system_sgpr_workgroup_id_y 0
		.amdhsa_system_sgpr_workgroup_id_z 0
		.amdhsa_system_sgpr_workgroup_info 0
		.amdhsa_system_vgpr_workitem_id 0
		.amdhsa_next_free_vgpr 1
		.amdhsa_next_free_sgpr 0
		.amdhsa_accum_offset 4
		.amdhsa_reserve_vcc 0
		.amdhsa_float_round_mode_32 0
		.amdhsa_float_round_mode_16_64 0
		.amdhsa_float_denorm_mode_32 3
		.amdhsa_float_denorm_mode_16_64 3
		.amdhsa_dx10_clamp 1
		.amdhsa_ieee_mode 1
		.amdhsa_fp16_overflow 0
		.amdhsa_tg_split 0
		.amdhsa_exception_fp_ieee_invalid_op 0
		.amdhsa_exception_fp_denorm_src 0
		.amdhsa_exception_fp_ieee_div_zero 0
		.amdhsa_exception_fp_ieee_overflow 0
		.amdhsa_exception_fp_ieee_underflow 0
		.amdhsa_exception_fp_ieee_inexact 0
		.amdhsa_exception_int_div_zero 0
	.end_amdhsa_kernel
	.section	.text._ZN7rocprim17ROCPRIM_400000_NS6detail17trampoline_kernelINS0_14default_configENS1_25partition_config_selectorILNS1_17partition_subalgoE8ElNS0_10empty_typeEbEEZZNS1_14partition_implILS5_8ELb0ES3_jPlPS6_PKS6_NS0_5tupleIJS9_S6_EEENSD_IJSA_SA_EEENS0_18inequality_wrapperIZN2at6native12_GLOBAL__N_124unique_dim_cuda_templateIhEESt5tupleIJNSH_6TensorESM_SM_EERKSM_lbbbEUlllE0_EEPmJS6_EEE10hipError_tPvRmT3_T4_T5_T6_T7_T9_mT8_P12ihipStream_tbDpT10_ENKUlT_T0_E_clISt17integral_constantIbLb0EES1C_EEDaS17_S18_EUlS17_E_NS1_11comp_targetILNS1_3genE8ELNS1_11target_archE1030ELNS1_3gpuE2ELNS1_3repE0EEENS1_30default_config_static_selectorELNS0_4arch9wavefront6targetE1EEEvT1_,"axG",@progbits,_ZN7rocprim17ROCPRIM_400000_NS6detail17trampoline_kernelINS0_14default_configENS1_25partition_config_selectorILNS1_17partition_subalgoE8ElNS0_10empty_typeEbEEZZNS1_14partition_implILS5_8ELb0ES3_jPlPS6_PKS6_NS0_5tupleIJS9_S6_EEENSD_IJSA_SA_EEENS0_18inequality_wrapperIZN2at6native12_GLOBAL__N_124unique_dim_cuda_templateIhEESt5tupleIJNSH_6TensorESM_SM_EERKSM_lbbbEUlllE0_EEPmJS6_EEE10hipError_tPvRmT3_T4_T5_T6_T7_T9_mT8_P12ihipStream_tbDpT10_ENKUlT_T0_E_clISt17integral_constantIbLb0EES1C_EEDaS17_S18_EUlS17_E_NS1_11comp_targetILNS1_3genE8ELNS1_11target_archE1030ELNS1_3gpuE2ELNS1_3repE0EEENS1_30default_config_static_selectorELNS0_4arch9wavefront6targetE1EEEvT1_,comdat
.Lfunc_end169:
	.size	_ZN7rocprim17ROCPRIM_400000_NS6detail17trampoline_kernelINS0_14default_configENS1_25partition_config_selectorILNS1_17partition_subalgoE8ElNS0_10empty_typeEbEEZZNS1_14partition_implILS5_8ELb0ES3_jPlPS6_PKS6_NS0_5tupleIJS9_S6_EEENSD_IJSA_SA_EEENS0_18inequality_wrapperIZN2at6native12_GLOBAL__N_124unique_dim_cuda_templateIhEESt5tupleIJNSH_6TensorESM_SM_EERKSM_lbbbEUlllE0_EEPmJS6_EEE10hipError_tPvRmT3_T4_T5_T6_T7_T9_mT8_P12ihipStream_tbDpT10_ENKUlT_T0_E_clISt17integral_constantIbLb0EES1C_EEDaS17_S18_EUlS17_E_NS1_11comp_targetILNS1_3genE8ELNS1_11target_archE1030ELNS1_3gpuE2ELNS1_3repE0EEENS1_30default_config_static_selectorELNS0_4arch9wavefront6targetE1EEEvT1_, .Lfunc_end169-_ZN7rocprim17ROCPRIM_400000_NS6detail17trampoline_kernelINS0_14default_configENS1_25partition_config_selectorILNS1_17partition_subalgoE8ElNS0_10empty_typeEbEEZZNS1_14partition_implILS5_8ELb0ES3_jPlPS6_PKS6_NS0_5tupleIJS9_S6_EEENSD_IJSA_SA_EEENS0_18inequality_wrapperIZN2at6native12_GLOBAL__N_124unique_dim_cuda_templateIhEESt5tupleIJNSH_6TensorESM_SM_EERKSM_lbbbEUlllE0_EEPmJS6_EEE10hipError_tPvRmT3_T4_T5_T6_T7_T9_mT8_P12ihipStream_tbDpT10_ENKUlT_T0_E_clISt17integral_constantIbLb0EES1C_EEDaS17_S18_EUlS17_E_NS1_11comp_targetILNS1_3genE8ELNS1_11target_archE1030ELNS1_3gpuE2ELNS1_3repE0EEENS1_30default_config_static_selectorELNS0_4arch9wavefront6targetE1EEEvT1_
                                        ; -- End function
	.section	.AMDGPU.csdata,"",@progbits
; Kernel info:
; codeLenInByte = 0
; NumSgprs: 6
; NumVgprs: 0
; NumAgprs: 0
; TotalNumVgprs: 0
; ScratchSize: 0
; MemoryBound: 0
; FloatMode: 240
; IeeeMode: 1
; LDSByteSize: 0 bytes/workgroup (compile time only)
; SGPRBlocks: 0
; VGPRBlocks: 0
; NumSGPRsForWavesPerEU: 6
; NumVGPRsForWavesPerEU: 1
; AccumOffset: 4
; Occupancy: 8
; WaveLimiterHint : 0
; COMPUTE_PGM_RSRC2:SCRATCH_EN: 0
; COMPUTE_PGM_RSRC2:USER_SGPR: 2
; COMPUTE_PGM_RSRC2:TRAP_HANDLER: 0
; COMPUTE_PGM_RSRC2:TGID_X_EN: 1
; COMPUTE_PGM_RSRC2:TGID_Y_EN: 0
; COMPUTE_PGM_RSRC2:TGID_Z_EN: 0
; COMPUTE_PGM_RSRC2:TIDIG_COMP_CNT: 0
; COMPUTE_PGM_RSRC3_GFX90A:ACCUM_OFFSET: 0
; COMPUTE_PGM_RSRC3_GFX90A:TG_SPLIT: 0
	.section	.text._ZN7rocprim17ROCPRIM_400000_NS6detail17trampoline_kernelINS0_14default_configENS1_25transform_config_selectorImLb1EEEZNS1_14transform_implILb1ES3_S5_PmS7_NS0_8identityIvEEEE10hipError_tT2_T3_mT4_P12ihipStream_tbEUlT_E_NS1_11comp_targetILNS1_3genE0ELNS1_11target_archE4294967295ELNS1_3gpuE0ELNS1_3repE0EEENS1_30default_config_static_selectorELNS0_4arch9wavefront6targetE1EEEvT1_,"axG",@progbits,_ZN7rocprim17ROCPRIM_400000_NS6detail17trampoline_kernelINS0_14default_configENS1_25transform_config_selectorImLb1EEEZNS1_14transform_implILb1ES3_S5_PmS7_NS0_8identityIvEEEE10hipError_tT2_T3_mT4_P12ihipStream_tbEUlT_E_NS1_11comp_targetILNS1_3genE0ELNS1_11target_archE4294967295ELNS1_3gpuE0ELNS1_3repE0EEENS1_30default_config_static_selectorELNS0_4arch9wavefront6targetE1EEEvT1_,comdat
	.protected	_ZN7rocprim17ROCPRIM_400000_NS6detail17trampoline_kernelINS0_14default_configENS1_25transform_config_selectorImLb1EEEZNS1_14transform_implILb1ES3_S5_PmS7_NS0_8identityIvEEEE10hipError_tT2_T3_mT4_P12ihipStream_tbEUlT_E_NS1_11comp_targetILNS1_3genE0ELNS1_11target_archE4294967295ELNS1_3gpuE0ELNS1_3repE0EEENS1_30default_config_static_selectorELNS0_4arch9wavefront6targetE1EEEvT1_ ; -- Begin function _ZN7rocprim17ROCPRIM_400000_NS6detail17trampoline_kernelINS0_14default_configENS1_25transform_config_selectorImLb1EEEZNS1_14transform_implILb1ES3_S5_PmS7_NS0_8identityIvEEEE10hipError_tT2_T3_mT4_P12ihipStream_tbEUlT_E_NS1_11comp_targetILNS1_3genE0ELNS1_11target_archE4294967295ELNS1_3gpuE0ELNS1_3repE0EEENS1_30default_config_static_selectorELNS0_4arch9wavefront6targetE1EEEvT1_
	.globl	_ZN7rocprim17ROCPRIM_400000_NS6detail17trampoline_kernelINS0_14default_configENS1_25transform_config_selectorImLb1EEEZNS1_14transform_implILb1ES3_S5_PmS7_NS0_8identityIvEEEE10hipError_tT2_T3_mT4_P12ihipStream_tbEUlT_E_NS1_11comp_targetILNS1_3genE0ELNS1_11target_archE4294967295ELNS1_3gpuE0ELNS1_3repE0EEENS1_30default_config_static_selectorELNS0_4arch9wavefront6targetE1EEEvT1_
	.p2align	8
	.type	_ZN7rocprim17ROCPRIM_400000_NS6detail17trampoline_kernelINS0_14default_configENS1_25transform_config_selectorImLb1EEEZNS1_14transform_implILb1ES3_S5_PmS7_NS0_8identityIvEEEE10hipError_tT2_T3_mT4_P12ihipStream_tbEUlT_E_NS1_11comp_targetILNS1_3genE0ELNS1_11target_archE4294967295ELNS1_3gpuE0ELNS1_3repE0EEENS1_30default_config_static_selectorELNS0_4arch9wavefront6targetE1EEEvT1_,@function
_ZN7rocprim17ROCPRIM_400000_NS6detail17trampoline_kernelINS0_14default_configENS1_25transform_config_selectorImLb1EEEZNS1_14transform_implILb1ES3_S5_PmS7_NS0_8identityIvEEEE10hipError_tT2_T3_mT4_P12ihipStream_tbEUlT_E_NS1_11comp_targetILNS1_3genE0ELNS1_11target_archE4294967295ELNS1_3gpuE0ELNS1_3repE0EEENS1_30default_config_static_selectorELNS0_4arch9wavefront6targetE1EEEvT1_: ; @_ZN7rocprim17ROCPRIM_400000_NS6detail17trampoline_kernelINS0_14default_configENS1_25transform_config_selectorImLb1EEEZNS1_14transform_implILb1ES3_S5_PmS7_NS0_8identityIvEEEE10hipError_tT2_T3_mT4_P12ihipStream_tbEUlT_E_NS1_11comp_targetILNS1_3genE0ELNS1_11target_archE4294967295ELNS1_3gpuE0ELNS1_3repE0EEENS1_30default_config_static_selectorELNS0_4arch9wavefront6targetE1EEEvT1_
; %bb.0:
	.section	.rodata,"a",@progbits
	.p2align	6, 0x0
	.amdhsa_kernel _ZN7rocprim17ROCPRIM_400000_NS6detail17trampoline_kernelINS0_14default_configENS1_25transform_config_selectorImLb1EEEZNS1_14transform_implILb1ES3_S5_PmS7_NS0_8identityIvEEEE10hipError_tT2_T3_mT4_P12ihipStream_tbEUlT_E_NS1_11comp_targetILNS1_3genE0ELNS1_11target_archE4294967295ELNS1_3gpuE0ELNS1_3repE0EEENS1_30default_config_static_selectorELNS0_4arch9wavefront6targetE1EEEvT1_
		.amdhsa_group_segment_fixed_size 0
		.amdhsa_private_segment_fixed_size 0
		.amdhsa_kernarg_size 40
		.amdhsa_user_sgpr_count 2
		.amdhsa_user_sgpr_dispatch_ptr 0
		.amdhsa_user_sgpr_queue_ptr 0
		.amdhsa_user_sgpr_kernarg_segment_ptr 1
		.amdhsa_user_sgpr_dispatch_id 0
		.amdhsa_user_sgpr_kernarg_preload_length 0
		.amdhsa_user_sgpr_kernarg_preload_offset 0
		.amdhsa_user_sgpr_private_segment_size 0
		.amdhsa_uses_dynamic_stack 0
		.amdhsa_enable_private_segment 0
		.amdhsa_system_sgpr_workgroup_id_x 1
		.amdhsa_system_sgpr_workgroup_id_y 0
		.amdhsa_system_sgpr_workgroup_id_z 0
		.amdhsa_system_sgpr_workgroup_info 0
		.amdhsa_system_vgpr_workitem_id 0
		.amdhsa_next_free_vgpr 1
		.amdhsa_next_free_sgpr 0
		.amdhsa_accum_offset 4
		.amdhsa_reserve_vcc 0
		.amdhsa_float_round_mode_32 0
		.amdhsa_float_round_mode_16_64 0
		.amdhsa_float_denorm_mode_32 3
		.amdhsa_float_denorm_mode_16_64 3
		.amdhsa_dx10_clamp 1
		.amdhsa_ieee_mode 1
		.amdhsa_fp16_overflow 0
		.amdhsa_tg_split 0
		.amdhsa_exception_fp_ieee_invalid_op 0
		.amdhsa_exception_fp_denorm_src 0
		.amdhsa_exception_fp_ieee_div_zero 0
		.amdhsa_exception_fp_ieee_overflow 0
		.amdhsa_exception_fp_ieee_underflow 0
		.amdhsa_exception_fp_ieee_inexact 0
		.amdhsa_exception_int_div_zero 0
	.end_amdhsa_kernel
	.section	.text._ZN7rocprim17ROCPRIM_400000_NS6detail17trampoline_kernelINS0_14default_configENS1_25transform_config_selectorImLb1EEEZNS1_14transform_implILb1ES3_S5_PmS7_NS0_8identityIvEEEE10hipError_tT2_T3_mT4_P12ihipStream_tbEUlT_E_NS1_11comp_targetILNS1_3genE0ELNS1_11target_archE4294967295ELNS1_3gpuE0ELNS1_3repE0EEENS1_30default_config_static_selectorELNS0_4arch9wavefront6targetE1EEEvT1_,"axG",@progbits,_ZN7rocprim17ROCPRIM_400000_NS6detail17trampoline_kernelINS0_14default_configENS1_25transform_config_selectorImLb1EEEZNS1_14transform_implILb1ES3_S5_PmS7_NS0_8identityIvEEEE10hipError_tT2_T3_mT4_P12ihipStream_tbEUlT_E_NS1_11comp_targetILNS1_3genE0ELNS1_11target_archE4294967295ELNS1_3gpuE0ELNS1_3repE0EEENS1_30default_config_static_selectorELNS0_4arch9wavefront6targetE1EEEvT1_,comdat
.Lfunc_end170:
	.size	_ZN7rocprim17ROCPRIM_400000_NS6detail17trampoline_kernelINS0_14default_configENS1_25transform_config_selectorImLb1EEEZNS1_14transform_implILb1ES3_S5_PmS7_NS0_8identityIvEEEE10hipError_tT2_T3_mT4_P12ihipStream_tbEUlT_E_NS1_11comp_targetILNS1_3genE0ELNS1_11target_archE4294967295ELNS1_3gpuE0ELNS1_3repE0EEENS1_30default_config_static_selectorELNS0_4arch9wavefront6targetE1EEEvT1_, .Lfunc_end170-_ZN7rocprim17ROCPRIM_400000_NS6detail17trampoline_kernelINS0_14default_configENS1_25transform_config_selectorImLb1EEEZNS1_14transform_implILb1ES3_S5_PmS7_NS0_8identityIvEEEE10hipError_tT2_T3_mT4_P12ihipStream_tbEUlT_E_NS1_11comp_targetILNS1_3genE0ELNS1_11target_archE4294967295ELNS1_3gpuE0ELNS1_3repE0EEENS1_30default_config_static_selectorELNS0_4arch9wavefront6targetE1EEEvT1_
                                        ; -- End function
	.section	.AMDGPU.csdata,"",@progbits
; Kernel info:
; codeLenInByte = 0
; NumSgprs: 6
; NumVgprs: 0
; NumAgprs: 0
; TotalNumVgprs: 0
; ScratchSize: 0
; MemoryBound: 0
; FloatMode: 240
; IeeeMode: 1
; LDSByteSize: 0 bytes/workgroup (compile time only)
; SGPRBlocks: 0
; VGPRBlocks: 0
; NumSGPRsForWavesPerEU: 6
; NumVGPRsForWavesPerEU: 1
; AccumOffset: 4
; Occupancy: 8
; WaveLimiterHint : 0
; COMPUTE_PGM_RSRC2:SCRATCH_EN: 0
; COMPUTE_PGM_RSRC2:USER_SGPR: 2
; COMPUTE_PGM_RSRC2:TRAP_HANDLER: 0
; COMPUTE_PGM_RSRC2:TGID_X_EN: 1
; COMPUTE_PGM_RSRC2:TGID_Y_EN: 0
; COMPUTE_PGM_RSRC2:TGID_Z_EN: 0
; COMPUTE_PGM_RSRC2:TIDIG_COMP_CNT: 0
; COMPUTE_PGM_RSRC3_GFX90A:ACCUM_OFFSET: 0
; COMPUTE_PGM_RSRC3_GFX90A:TG_SPLIT: 0
	.section	.text._ZN7rocprim17ROCPRIM_400000_NS6detail17trampoline_kernelINS0_14default_configENS1_25transform_config_selectorImLb1EEEZNS1_14transform_implILb1ES3_S5_PmS7_NS0_8identityIvEEEE10hipError_tT2_T3_mT4_P12ihipStream_tbEUlT_E_NS1_11comp_targetILNS1_3genE10ELNS1_11target_archE1201ELNS1_3gpuE5ELNS1_3repE0EEENS1_30default_config_static_selectorELNS0_4arch9wavefront6targetE1EEEvT1_,"axG",@progbits,_ZN7rocprim17ROCPRIM_400000_NS6detail17trampoline_kernelINS0_14default_configENS1_25transform_config_selectorImLb1EEEZNS1_14transform_implILb1ES3_S5_PmS7_NS0_8identityIvEEEE10hipError_tT2_T3_mT4_P12ihipStream_tbEUlT_E_NS1_11comp_targetILNS1_3genE10ELNS1_11target_archE1201ELNS1_3gpuE5ELNS1_3repE0EEENS1_30default_config_static_selectorELNS0_4arch9wavefront6targetE1EEEvT1_,comdat
	.protected	_ZN7rocprim17ROCPRIM_400000_NS6detail17trampoline_kernelINS0_14default_configENS1_25transform_config_selectorImLb1EEEZNS1_14transform_implILb1ES3_S5_PmS7_NS0_8identityIvEEEE10hipError_tT2_T3_mT4_P12ihipStream_tbEUlT_E_NS1_11comp_targetILNS1_3genE10ELNS1_11target_archE1201ELNS1_3gpuE5ELNS1_3repE0EEENS1_30default_config_static_selectorELNS0_4arch9wavefront6targetE1EEEvT1_ ; -- Begin function _ZN7rocprim17ROCPRIM_400000_NS6detail17trampoline_kernelINS0_14default_configENS1_25transform_config_selectorImLb1EEEZNS1_14transform_implILb1ES3_S5_PmS7_NS0_8identityIvEEEE10hipError_tT2_T3_mT4_P12ihipStream_tbEUlT_E_NS1_11comp_targetILNS1_3genE10ELNS1_11target_archE1201ELNS1_3gpuE5ELNS1_3repE0EEENS1_30default_config_static_selectorELNS0_4arch9wavefront6targetE1EEEvT1_
	.globl	_ZN7rocprim17ROCPRIM_400000_NS6detail17trampoline_kernelINS0_14default_configENS1_25transform_config_selectorImLb1EEEZNS1_14transform_implILb1ES3_S5_PmS7_NS0_8identityIvEEEE10hipError_tT2_T3_mT4_P12ihipStream_tbEUlT_E_NS1_11comp_targetILNS1_3genE10ELNS1_11target_archE1201ELNS1_3gpuE5ELNS1_3repE0EEENS1_30default_config_static_selectorELNS0_4arch9wavefront6targetE1EEEvT1_
	.p2align	8
	.type	_ZN7rocprim17ROCPRIM_400000_NS6detail17trampoline_kernelINS0_14default_configENS1_25transform_config_selectorImLb1EEEZNS1_14transform_implILb1ES3_S5_PmS7_NS0_8identityIvEEEE10hipError_tT2_T3_mT4_P12ihipStream_tbEUlT_E_NS1_11comp_targetILNS1_3genE10ELNS1_11target_archE1201ELNS1_3gpuE5ELNS1_3repE0EEENS1_30default_config_static_selectorELNS0_4arch9wavefront6targetE1EEEvT1_,@function
_ZN7rocprim17ROCPRIM_400000_NS6detail17trampoline_kernelINS0_14default_configENS1_25transform_config_selectorImLb1EEEZNS1_14transform_implILb1ES3_S5_PmS7_NS0_8identityIvEEEE10hipError_tT2_T3_mT4_P12ihipStream_tbEUlT_E_NS1_11comp_targetILNS1_3genE10ELNS1_11target_archE1201ELNS1_3gpuE5ELNS1_3repE0EEENS1_30default_config_static_selectorELNS0_4arch9wavefront6targetE1EEEvT1_: ; @_ZN7rocprim17ROCPRIM_400000_NS6detail17trampoline_kernelINS0_14default_configENS1_25transform_config_selectorImLb1EEEZNS1_14transform_implILb1ES3_S5_PmS7_NS0_8identityIvEEEE10hipError_tT2_T3_mT4_P12ihipStream_tbEUlT_E_NS1_11comp_targetILNS1_3genE10ELNS1_11target_archE1201ELNS1_3gpuE5ELNS1_3repE0EEENS1_30default_config_static_selectorELNS0_4arch9wavefront6targetE1EEEvT1_
; %bb.0:
	.section	.rodata,"a",@progbits
	.p2align	6, 0x0
	.amdhsa_kernel _ZN7rocprim17ROCPRIM_400000_NS6detail17trampoline_kernelINS0_14default_configENS1_25transform_config_selectorImLb1EEEZNS1_14transform_implILb1ES3_S5_PmS7_NS0_8identityIvEEEE10hipError_tT2_T3_mT4_P12ihipStream_tbEUlT_E_NS1_11comp_targetILNS1_3genE10ELNS1_11target_archE1201ELNS1_3gpuE5ELNS1_3repE0EEENS1_30default_config_static_selectorELNS0_4arch9wavefront6targetE1EEEvT1_
		.amdhsa_group_segment_fixed_size 0
		.amdhsa_private_segment_fixed_size 0
		.amdhsa_kernarg_size 40
		.amdhsa_user_sgpr_count 2
		.amdhsa_user_sgpr_dispatch_ptr 0
		.amdhsa_user_sgpr_queue_ptr 0
		.amdhsa_user_sgpr_kernarg_segment_ptr 1
		.amdhsa_user_sgpr_dispatch_id 0
		.amdhsa_user_sgpr_kernarg_preload_length 0
		.amdhsa_user_sgpr_kernarg_preload_offset 0
		.amdhsa_user_sgpr_private_segment_size 0
		.amdhsa_uses_dynamic_stack 0
		.amdhsa_enable_private_segment 0
		.amdhsa_system_sgpr_workgroup_id_x 1
		.amdhsa_system_sgpr_workgroup_id_y 0
		.amdhsa_system_sgpr_workgroup_id_z 0
		.amdhsa_system_sgpr_workgroup_info 0
		.amdhsa_system_vgpr_workitem_id 0
		.amdhsa_next_free_vgpr 1
		.amdhsa_next_free_sgpr 0
		.amdhsa_accum_offset 4
		.amdhsa_reserve_vcc 0
		.amdhsa_float_round_mode_32 0
		.amdhsa_float_round_mode_16_64 0
		.amdhsa_float_denorm_mode_32 3
		.amdhsa_float_denorm_mode_16_64 3
		.amdhsa_dx10_clamp 1
		.amdhsa_ieee_mode 1
		.amdhsa_fp16_overflow 0
		.amdhsa_tg_split 0
		.amdhsa_exception_fp_ieee_invalid_op 0
		.amdhsa_exception_fp_denorm_src 0
		.amdhsa_exception_fp_ieee_div_zero 0
		.amdhsa_exception_fp_ieee_overflow 0
		.amdhsa_exception_fp_ieee_underflow 0
		.amdhsa_exception_fp_ieee_inexact 0
		.amdhsa_exception_int_div_zero 0
	.end_amdhsa_kernel
	.section	.text._ZN7rocprim17ROCPRIM_400000_NS6detail17trampoline_kernelINS0_14default_configENS1_25transform_config_selectorImLb1EEEZNS1_14transform_implILb1ES3_S5_PmS7_NS0_8identityIvEEEE10hipError_tT2_T3_mT4_P12ihipStream_tbEUlT_E_NS1_11comp_targetILNS1_3genE10ELNS1_11target_archE1201ELNS1_3gpuE5ELNS1_3repE0EEENS1_30default_config_static_selectorELNS0_4arch9wavefront6targetE1EEEvT1_,"axG",@progbits,_ZN7rocprim17ROCPRIM_400000_NS6detail17trampoline_kernelINS0_14default_configENS1_25transform_config_selectorImLb1EEEZNS1_14transform_implILb1ES3_S5_PmS7_NS0_8identityIvEEEE10hipError_tT2_T3_mT4_P12ihipStream_tbEUlT_E_NS1_11comp_targetILNS1_3genE10ELNS1_11target_archE1201ELNS1_3gpuE5ELNS1_3repE0EEENS1_30default_config_static_selectorELNS0_4arch9wavefront6targetE1EEEvT1_,comdat
.Lfunc_end171:
	.size	_ZN7rocprim17ROCPRIM_400000_NS6detail17trampoline_kernelINS0_14default_configENS1_25transform_config_selectorImLb1EEEZNS1_14transform_implILb1ES3_S5_PmS7_NS0_8identityIvEEEE10hipError_tT2_T3_mT4_P12ihipStream_tbEUlT_E_NS1_11comp_targetILNS1_3genE10ELNS1_11target_archE1201ELNS1_3gpuE5ELNS1_3repE0EEENS1_30default_config_static_selectorELNS0_4arch9wavefront6targetE1EEEvT1_, .Lfunc_end171-_ZN7rocprim17ROCPRIM_400000_NS6detail17trampoline_kernelINS0_14default_configENS1_25transform_config_selectorImLb1EEEZNS1_14transform_implILb1ES3_S5_PmS7_NS0_8identityIvEEEE10hipError_tT2_T3_mT4_P12ihipStream_tbEUlT_E_NS1_11comp_targetILNS1_3genE10ELNS1_11target_archE1201ELNS1_3gpuE5ELNS1_3repE0EEENS1_30default_config_static_selectorELNS0_4arch9wavefront6targetE1EEEvT1_
                                        ; -- End function
	.section	.AMDGPU.csdata,"",@progbits
; Kernel info:
; codeLenInByte = 0
; NumSgprs: 6
; NumVgprs: 0
; NumAgprs: 0
; TotalNumVgprs: 0
; ScratchSize: 0
; MemoryBound: 0
; FloatMode: 240
; IeeeMode: 1
; LDSByteSize: 0 bytes/workgroup (compile time only)
; SGPRBlocks: 0
; VGPRBlocks: 0
; NumSGPRsForWavesPerEU: 6
; NumVGPRsForWavesPerEU: 1
; AccumOffset: 4
; Occupancy: 8
; WaveLimiterHint : 0
; COMPUTE_PGM_RSRC2:SCRATCH_EN: 0
; COMPUTE_PGM_RSRC2:USER_SGPR: 2
; COMPUTE_PGM_RSRC2:TRAP_HANDLER: 0
; COMPUTE_PGM_RSRC2:TGID_X_EN: 1
; COMPUTE_PGM_RSRC2:TGID_Y_EN: 0
; COMPUTE_PGM_RSRC2:TGID_Z_EN: 0
; COMPUTE_PGM_RSRC2:TIDIG_COMP_CNT: 0
; COMPUTE_PGM_RSRC3_GFX90A:ACCUM_OFFSET: 0
; COMPUTE_PGM_RSRC3_GFX90A:TG_SPLIT: 0
	.section	.text._ZN7rocprim17ROCPRIM_400000_NS6detail17trampoline_kernelINS0_14default_configENS1_25transform_config_selectorImLb1EEEZNS1_14transform_implILb1ES3_S5_PmS7_NS0_8identityIvEEEE10hipError_tT2_T3_mT4_P12ihipStream_tbEUlT_E_NS1_11comp_targetILNS1_3genE5ELNS1_11target_archE942ELNS1_3gpuE9ELNS1_3repE0EEENS1_30default_config_static_selectorELNS0_4arch9wavefront6targetE1EEEvT1_,"axG",@progbits,_ZN7rocprim17ROCPRIM_400000_NS6detail17trampoline_kernelINS0_14default_configENS1_25transform_config_selectorImLb1EEEZNS1_14transform_implILb1ES3_S5_PmS7_NS0_8identityIvEEEE10hipError_tT2_T3_mT4_P12ihipStream_tbEUlT_E_NS1_11comp_targetILNS1_3genE5ELNS1_11target_archE942ELNS1_3gpuE9ELNS1_3repE0EEENS1_30default_config_static_selectorELNS0_4arch9wavefront6targetE1EEEvT1_,comdat
	.protected	_ZN7rocprim17ROCPRIM_400000_NS6detail17trampoline_kernelINS0_14default_configENS1_25transform_config_selectorImLb1EEEZNS1_14transform_implILb1ES3_S5_PmS7_NS0_8identityIvEEEE10hipError_tT2_T3_mT4_P12ihipStream_tbEUlT_E_NS1_11comp_targetILNS1_3genE5ELNS1_11target_archE942ELNS1_3gpuE9ELNS1_3repE0EEENS1_30default_config_static_selectorELNS0_4arch9wavefront6targetE1EEEvT1_ ; -- Begin function _ZN7rocprim17ROCPRIM_400000_NS6detail17trampoline_kernelINS0_14default_configENS1_25transform_config_selectorImLb1EEEZNS1_14transform_implILb1ES3_S5_PmS7_NS0_8identityIvEEEE10hipError_tT2_T3_mT4_P12ihipStream_tbEUlT_E_NS1_11comp_targetILNS1_3genE5ELNS1_11target_archE942ELNS1_3gpuE9ELNS1_3repE0EEENS1_30default_config_static_selectorELNS0_4arch9wavefront6targetE1EEEvT1_
	.globl	_ZN7rocprim17ROCPRIM_400000_NS6detail17trampoline_kernelINS0_14default_configENS1_25transform_config_selectorImLb1EEEZNS1_14transform_implILb1ES3_S5_PmS7_NS0_8identityIvEEEE10hipError_tT2_T3_mT4_P12ihipStream_tbEUlT_E_NS1_11comp_targetILNS1_3genE5ELNS1_11target_archE942ELNS1_3gpuE9ELNS1_3repE0EEENS1_30default_config_static_selectorELNS0_4arch9wavefront6targetE1EEEvT1_
	.p2align	8
	.type	_ZN7rocprim17ROCPRIM_400000_NS6detail17trampoline_kernelINS0_14default_configENS1_25transform_config_selectorImLb1EEEZNS1_14transform_implILb1ES3_S5_PmS7_NS0_8identityIvEEEE10hipError_tT2_T3_mT4_P12ihipStream_tbEUlT_E_NS1_11comp_targetILNS1_3genE5ELNS1_11target_archE942ELNS1_3gpuE9ELNS1_3repE0EEENS1_30default_config_static_selectorELNS0_4arch9wavefront6targetE1EEEvT1_,@function
_ZN7rocprim17ROCPRIM_400000_NS6detail17trampoline_kernelINS0_14default_configENS1_25transform_config_selectorImLb1EEEZNS1_14transform_implILb1ES3_S5_PmS7_NS0_8identityIvEEEE10hipError_tT2_T3_mT4_P12ihipStream_tbEUlT_E_NS1_11comp_targetILNS1_3genE5ELNS1_11target_archE942ELNS1_3gpuE9ELNS1_3repE0EEENS1_30default_config_static_selectorELNS0_4arch9wavefront6targetE1EEEvT1_: ; @_ZN7rocprim17ROCPRIM_400000_NS6detail17trampoline_kernelINS0_14default_configENS1_25transform_config_selectorImLb1EEEZNS1_14transform_implILb1ES3_S5_PmS7_NS0_8identityIvEEEE10hipError_tT2_T3_mT4_P12ihipStream_tbEUlT_E_NS1_11comp_targetILNS1_3genE5ELNS1_11target_archE942ELNS1_3gpuE9ELNS1_3repE0EEENS1_30default_config_static_selectorELNS0_4arch9wavefront6targetE1EEEvT1_
; %bb.0:
	s_load_dwordx8 s[4:11], s[0:1], 0x0
	s_load_dword s3, s[0:1], 0x28
	s_waitcnt lgkmcnt(0)
	s_lshl_b64 s[0:1], s[6:7], 3
	s_add_u32 s6, s4, s0
	s_addc_u32 s7, s5, s1
	s_add_u32 s9, s10, s0
	s_addc_u32 s10, s11, s1
	s_lshl_b32 s0, s2, 10
	s_mov_b32 s1, 0
	s_add_i32 s3, s3, -1
	s_lshl_b64 s[4:5], s[0:1], 3
	s_add_u32 s6, s6, s4
	s_addc_u32 s7, s7, s5
	s_cmp_lg_u32 s2, s3
	s_mov_b64 s[2:3], -1
	s_cbranch_scc0 .LBB172_2
; %bb.1:
	v_lshlrev_b32_e32 v1, 4, v0
	global_load_dwordx4 v[2:5], v1, s[6:7] nt
	s_add_u32 s2, s9, s4
	s_addc_u32 s3, s10, s5
	s_waitcnt vmcnt(0)
	global_store_dwordx4 v1, v[2:5], s[2:3]
	s_mov_b64 s[2:3], 0
.LBB172_2:
	s_andn2_b64 vcc, exec, s[2:3]
	s_cbranch_vccnz .LBB172_11
; %bb.3:
	s_sub_i32 s2, s8, s0
	v_cmp_gt_u32_e32 vcc, s2, v0
	v_lshlrev_b32_e32 v6, 3, v0
                                        ; implicit-def: $vgpr2_vgpr3_vgpr4_vgpr5
	s_and_saveexec_b64 s[0:1], vcc
	s_cbranch_execz .LBB172_5
; %bb.4:
	global_load_dwordx2 v[2:3], v6, s[6:7]
.LBB172_5:
	s_or_b64 exec, exec, s[0:1]
	v_or_b32_e32 v0, 0x200, v0
	v_cmp_gt_u32_e64 s[0:1], s2, v0
	s_and_saveexec_b64 s[2:3], s[0:1]
	s_cbranch_execz .LBB172_7
; %bb.6:
	v_lshlrev_b32_e32 v0, 3, v0
	global_load_dwordx2 v[4:5], v0, s[6:7]
.LBB172_7:
	s_or_b64 exec, exec, s[2:3]
	s_add_u32 s2, s9, s4
	s_addc_u32 s3, s10, s5
	v_mov_b32_e32 v7, 0
	v_lshl_add_u64 v[0:1], s[2:3], 0, v[6:7]
	s_and_saveexec_b64 s[2:3], vcc
	s_cbranch_execz .LBB172_9
; %bb.8:
	s_waitcnt vmcnt(0)
	global_store_dwordx2 v[0:1], v[2:3], off
.LBB172_9:
	s_or_b64 exec, exec, s[2:3]
	s_and_saveexec_b64 s[2:3], s[0:1]
	s_cbranch_execz .LBB172_11
; %bb.10:
	v_add_co_u32_e32 v0, vcc, 0x1000, v0
	s_nop 1
	v_addc_co_u32_e32 v1, vcc, 0, v1, vcc
	s_waitcnt vmcnt(0)
	global_store_dwordx2 v[0:1], v[4:5], off
.LBB172_11:
	s_endpgm
	.section	.rodata,"a",@progbits
	.p2align	6, 0x0
	.amdhsa_kernel _ZN7rocprim17ROCPRIM_400000_NS6detail17trampoline_kernelINS0_14default_configENS1_25transform_config_selectorImLb1EEEZNS1_14transform_implILb1ES3_S5_PmS7_NS0_8identityIvEEEE10hipError_tT2_T3_mT4_P12ihipStream_tbEUlT_E_NS1_11comp_targetILNS1_3genE5ELNS1_11target_archE942ELNS1_3gpuE9ELNS1_3repE0EEENS1_30default_config_static_selectorELNS0_4arch9wavefront6targetE1EEEvT1_
		.amdhsa_group_segment_fixed_size 0
		.amdhsa_private_segment_fixed_size 0
		.amdhsa_kernarg_size 296
		.amdhsa_user_sgpr_count 2
		.amdhsa_user_sgpr_dispatch_ptr 0
		.amdhsa_user_sgpr_queue_ptr 0
		.amdhsa_user_sgpr_kernarg_segment_ptr 1
		.amdhsa_user_sgpr_dispatch_id 0
		.amdhsa_user_sgpr_kernarg_preload_length 0
		.amdhsa_user_sgpr_kernarg_preload_offset 0
		.amdhsa_user_sgpr_private_segment_size 0
		.amdhsa_uses_dynamic_stack 0
		.amdhsa_enable_private_segment 0
		.amdhsa_system_sgpr_workgroup_id_x 1
		.amdhsa_system_sgpr_workgroup_id_y 0
		.amdhsa_system_sgpr_workgroup_id_z 0
		.amdhsa_system_sgpr_workgroup_info 0
		.amdhsa_system_vgpr_workitem_id 0
		.amdhsa_next_free_vgpr 8
		.amdhsa_next_free_sgpr 12
		.amdhsa_accum_offset 8
		.amdhsa_reserve_vcc 1
		.amdhsa_float_round_mode_32 0
		.amdhsa_float_round_mode_16_64 0
		.amdhsa_float_denorm_mode_32 3
		.amdhsa_float_denorm_mode_16_64 3
		.amdhsa_dx10_clamp 1
		.amdhsa_ieee_mode 1
		.amdhsa_fp16_overflow 0
		.amdhsa_tg_split 0
		.amdhsa_exception_fp_ieee_invalid_op 0
		.amdhsa_exception_fp_denorm_src 0
		.amdhsa_exception_fp_ieee_div_zero 0
		.amdhsa_exception_fp_ieee_overflow 0
		.amdhsa_exception_fp_ieee_underflow 0
		.amdhsa_exception_fp_ieee_inexact 0
		.amdhsa_exception_int_div_zero 0
	.end_amdhsa_kernel
	.section	.text._ZN7rocprim17ROCPRIM_400000_NS6detail17trampoline_kernelINS0_14default_configENS1_25transform_config_selectorImLb1EEEZNS1_14transform_implILb1ES3_S5_PmS7_NS0_8identityIvEEEE10hipError_tT2_T3_mT4_P12ihipStream_tbEUlT_E_NS1_11comp_targetILNS1_3genE5ELNS1_11target_archE942ELNS1_3gpuE9ELNS1_3repE0EEENS1_30default_config_static_selectorELNS0_4arch9wavefront6targetE1EEEvT1_,"axG",@progbits,_ZN7rocprim17ROCPRIM_400000_NS6detail17trampoline_kernelINS0_14default_configENS1_25transform_config_selectorImLb1EEEZNS1_14transform_implILb1ES3_S5_PmS7_NS0_8identityIvEEEE10hipError_tT2_T3_mT4_P12ihipStream_tbEUlT_E_NS1_11comp_targetILNS1_3genE5ELNS1_11target_archE942ELNS1_3gpuE9ELNS1_3repE0EEENS1_30default_config_static_selectorELNS0_4arch9wavefront6targetE1EEEvT1_,comdat
.Lfunc_end172:
	.size	_ZN7rocprim17ROCPRIM_400000_NS6detail17trampoline_kernelINS0_14default_configENS1_25transform_config_selectorImLb1EEEZNS1_14transform_implILb1ES3_S5_PmS7_NS0_8identityIvEEEE10hipError_tT2_T3_mT4_P12ihipStream_tbEUlT_E_NS1_11comp_targetILNS1_3genE5ELNS1_11target_archE942ELNS1_3gpuE9ELNS1_3repE0EEENS1_30default_config_static_selectorELNS0_4arch9wavefront6targetE1EEEvT1_, .Lfunc_end172-_ZN7rocprim17ROCPRIM_400000_NS6detail17trampoline_kernelINS0_14default_configENS1_25transform_config_selectorImLb1EEEZNS1_14transform_implILb1ES3_S5_PmS7_NS0_8identityIvEEEE10hipError_tT2_T3_mT4_P12ihipStream_tbEUlT_E_NS1_11comp_targetILNS1_3genE5ELNS1_11target_archE942ELNS1_3gpuE9ELNS1_3repE0EEENS1_30default_config_static_selectorELNS0_4arch9wavefront6targetE1EEEvT1_
                                        ; -- End function
	.section	.AMDGPU.csdata,"",@progbits
; Kernel info:
; codeLenInByte = 276
; NumSgprs: 18
; NumVgprs: 8
; NumAgprs: 0
; TotalNumVgprs: 8
; ScratchSize: 0
; MemoryBound: 1
; FloatMode: 240
; IeeeMode: 1
; LDSByteSize: 0 bytes/workgroup (compile time only)
; SGPRBlocks: 2
; VGPRBlocks: 0
; NumSGPRsForWavesPerEU: 18
; NumVGPRsForWavesPerEU: 8
; AccumOffset: 8
; Occupancy: 8
; WaveLimiterHint : 0
; COMPUTE_PGM_RSRC2:SCRATCH_EN: 0
; COMPUTE_PGM_RSRC2:USER_SGPR: 2
; COMPUTE_PGM_RSRC2:TRAP_HANDLER: 0
; COMPUTE_PGM_RSRC2:TGID_X_EN: 1
; COMPUTE_PGM_RSRC2:TGID_Y_EN: 0
; COMPUTE_PGM_RSRC2:TGID_Z_EN: 0
; COMPUTE_PGM_RSRC2:TIDIG_COMP_CNT: 0
; COMPUTE_PGM_RSRC3_GFX90A:ACCUM_OFFSET: 1
; COMPUTE_PGM_RSRC3_GFX90A:TG_SPLIT: 0
	.section	.text._ZN7rocprim17ROCPRIM_400000_NS6detail17trampoline_kernelINS0_14default_configENS1_25transform_config_selectorImLb1EEEZNS1_14transform_implILb1ES3_S5_PmS7_NS0_8identityIvEEEE10hipError_tT2_T3_mT4_P12ihipStream_tbEUlT_E_NS1_11comp_targetILNS1_3genE4ELNS1_11target_archE910ELNS1_3gpuE8ELNS1_3repE0EEENS1_30default_config_static_selectorELNS0_4arch9wavefront6targetE1EEEvT1_,"axG",@progbits,_ZN7rocprim17ROCPRIM_400000_NS6detail17trampoline_kernelINS0_14default_configENS1_25transform_config_selectorImLb1EEEZNS1_14transform_implILb1ES3_S5_PmS7_NS0_8identityIvEEEE10hipError_tT2_T3_mT4_P12ihipStream_tbEUlT_E_NS1_11comp_targetILNS1_3genE4ELNS1_11target_archE910ELNS1_3gpuE8ELNS1_3repE0EEENS1_30default_config_static_selectorELNS0_4arch9wavefront6targetE1EEEvT1_,comdat
	.protected	_ZN7rocprim17ROCPRIM_400000_NS6detail17trampoline_kernelINS0_14default_configENS1_25transform_config_selectorImLb1EEEZNS1_14transform_implILb1ES3_S5_PmS7_NS0_8identityIvEEEE10hipError_tT2_T3_mT4_P12ihipStream_tbEUlT_E_NS1_11comp_targetILNS1_3genE4ELNS1_11target_archE910ELNS1_3gpuE8ELNS1_3repE0EEENS1_30default_config_static_selectorELNS0_4arch9wavefront6targetE1EEEvT1_ ; -- Begin function _ZN7rocprim17ROCPRIM_400000_NS6detail17trampoline_kernelINS0_14default_configENS1_25transform_config_selectorImLb1EEEZNS1_14transform_implILb1ES3_S5_PmS7_NS0_8identityIvEEEE10hipError_tT2_T3_mT4_P12ihipStream_tbEUlT_E_NS1_11comp_targetILNS1_3genE4ELNS1_11target_archE910ELNS1_3gpuE8ELNS1_3repE0EEENS1_30default_config_static_selectorELNS0_4arch9wavefront6targetE1EEEvT1_
	.globl	_ZN7rocprim17ROCPRIM_400000_NS6detail17trampoline_kernelINS0_14default_configENS1_25transform_config_selectorImLb1EEEZNS1_14transform_implILb1ES3_S5_PmS7_NS0_8identityIvEEEE10hipError_tT2_T3_mT4_P12ihipStream_tbEUlT_E_NS1_11comp_targetILNS1_3genE4ELNS1_11target_archE910ELNS1_3gpuE8ELNS1_3repE0EEENS1_30default_config_static_selectorELNS0_4arch9wavefront6targetE1EEEvT1_
	.p2align	8
	.type	_ZN7rocprim17ROCPRIM_400000_NS6detail17trampoline_kernelINS0_14default_configENS1_25transform_config_selectorImLb1EEEZNS1_14transform_implILb1ES3_S5_PmS7_NS0_8identityIvEEEE10hipError_tT2_T3_mT4_P12ihipStream_tbEUlT_E_NS1_11comp_targetILNS1_3genE4ELNS1_11target_archE910ELNS1_3gpuE8ELNS1_3repE0EEENS1_30default_config_static_selectorELNS0_4arch9wavefront6targetE1EEEvT1_,@function
_ZN7rocprim17ROCPRIM_400000_NS6detail17trampoline_kernelINS0_14default_configENS1_25transform_config_selectorImLb1EEEZNS1_14transform_implILb1ES3_S5_PmS7_NS0_8identityIvEEEE10hipError_tT2_T3_mT4_P12ihipStream_tbEUlT_E_NS1_11comp_targetILNS1_3genE4ELNS1_11target_archE910ELNS1_3gpuE8ELNS1_3repE0EEENS1_30default_config_static_selectorELNS0_4arch9wavefront6targetE1EEEvT1_: ; @_ZN7rocprim17ROCPRIM_400000_NS6detail17trampoline_kernelINS0_14default_configENS1_25transform_config_selectorImLb1EEEZNS1_14transform_implILb1ES3_S5_PmS7_NS0_8identityIvEEEE10hipError_tT2_T3_mT4_P12ihipStream_tbEUlT_E_NS1_11comp_targetILNS1_3genE4ELNS1_11target_archE910ELNS1_3gpuE8ELNS1_3repE0EEENS1_30default_config_static_selectorELNS0_4arch9wavefront6targetE1EEEvT1_
; %bb.0:
	.section	.rodata,"a",@progbits
	.p2align	6, 0x0
	.amdhsa_kernel _ZN7rocprim17ROCPRIM_400000_NS6detail17trampoline_kernelINS0_14default_configENS1_25transform_config_selectorImLb1EEEZNS1_14transform_implILb1ES3_S5_PmS7_NS0_8identityIvEEEE10hipError_tT2_T3_mT4_P12ihipStream_tbEUlT_E_NS1_11comp_targetILNS1_3genE4ELNS1_11target_archE910ELNS1_3gpuE8ELNS1_3repE0EEENS1_30default_config_static_selectorELNS0_4arch9wavefront6targetE1EEEvT1_
		.amdhsa_group_segment_fixed_size 0
		.amdhsa_private_segment_fixed_size 0
		.amdhsa_kernarg_size 40
		.amdhsa_user_sgpr_count 2
		.amdhsa_user_sgpr_dispatch_ptr 0
		.amdhsa_user_sgpr_queue_ptr 0
		.amdhsa_user_sgpr_kernarg_segment_ptr 1
		.amdhsa_user_sgpr_dispatch_id 0
		.amdhsa_user_sgpr_kernarg_preload_length 0
		.amdhsa_user_sgpr_kernarg_preload_offset 0
		.amdhsa_user_sgpr_private_segment_size 0
		.amdhsa_uses_dynamic_stack 0
		.amdhsa_enable_private_segment 0
		.amdhsa_system_sgpr_workgroup_id_x 1
		.amdhsa_system_sgpr_workgroup_id_y 0
		.amdhsa_system_sgpr_workgroup_id_z 0
		.amdhsa_system_sgpr_workgroup_info 0
		.amdhsa_system_vgpr_workitem_id 0
		.amdhsa_next_free_vgpr 1
		.amdhsa_next_free_sgpr 0
		.amdhsa_accum_offset 4
		.amdhsa_reserve_vcc 0
		.amdhsa_float_round_mode_32 0
		.amdhsa_float_round_mode_16_64 0
		.amdhsa_float_denorm_mode_32 3
		.amdhsa_float_denorm_mode_16_64 3
		.amdhsa_dx10_clamp 1
		.amdhsa_ieee_mode 1
		.amdhsa_fp16_overflow 0
		.amdhsa_tg_split 0
		.amdhsa_exception_fp_ieee_invalid_op 0
		.amdhsa_exception_fp_denorm_src 0
		.amdhsa_exception_fp_ieee_div_zero 0
		.amdhsa_exception_fp_ieee_overflow 0
		.amdhsa_exception_fp_ieee_underflow 0
		.amdhsa_exception_fp_ieee_inexact 0
		.amdhsa_exception_int_div_zero 0
	.end_amdhsa_kernel
	.section	.text._ZN7rocprim17ROCPRIM_400000_NS6detail17trampoline_kernelINS0_14default_configENS1_25transform_config_selectorImLb1EEEZNS1_14transform_implILb1ES3_S5_PmS7_NS0_8identityIvEEEE10hipError_tT2_T3_mT4_P12ihipStream_tbEUlT_E_NS1_11comp_targetILNS1_3genE4ELNS1_11target_archE910ELNS1_3gpuE8ELNS1_3repE0EEENS1_30default_config_static_selectorELNS0_4arch9wavefront6targetE1EEEvT1_,"axG",@progbits,_ZN7rocprim17ROCPRIM_400000_NS6detail17trampoline_kernelINS0_14default_configENS1_25transform_config_selectorImLb1EEEZNS1_14transform_implILb1ES3_S5_PmS7_NS0_8identityIvEEEE10hipError_tT2_T3_mT4_P12ihipStream_tbEUlT_E_NS1_11comp_targetILNS1_3genE4ELNS1_11target_archE910ELNS1_3gpuE8ELNS1_3repE0EEENS1_30default_config_static_selectorELNS0_4arch9wavefront6targetE1EEEvT1_,comdat
.Lfunc_end173:
	.size	_ZN7rocprim17ROCPRIM_400000_NS6detail17trampoline_kernelINS0_14default_configENS1_25transform_config_selectorImLb1EEEZNS1_14transform_implILb1ES3_S5_PmS7_NS0_8identityIvEEEE10hipError_tT2_T3_mT4_P12ihipStream_tbEUlT_E_NS1_11comp_targetILNS1_3genE4ELNS1_11target_archE910ELNS1_3gpuE8ELNS1_3repE0EEENS1_30default_config_static_selectorELNS0_4arch9wavefront6targetE1EEEvT1_, .Lfunc_end173-_ZN7rocprim17ROCPRIM_400000_NS6detail17trampoline_kernelINS0_14default_configENS1_25transform_config_selectorImLb1EEEZNS1_14transform_implILb1ES3_S5_PmS7_NS0_8identityIvEEEE10hipError_tT2_T3_mT4_P12ihipStream_tbEUlT_E_NS1_11comp_targetILNS1_3genE4ELNS1_11target_archE910ELNS1_3gpuE8ELNS1_3repE0EEENS1_30default_config_static_selectorELNS0_4arch9wavefront6targetE1EEEvT1_
                                        ; -- End function
	.section	.AMDGPU.csdata,"",@progbits
; Kernel info:
; codeLenInByte = 0
; NumSgprs: 6
; NumVgprs: 0
; NumAgprs: 0
; TotalNumVgprs: 0
; ScratchSize: 0
; MemoryBound: 0
; FloatMode: 240
; IeeeMode: 1
; LDSByteSize: 0 bytes/workgroup (compile time only)
; SGPRBlocks: 0
; VGPRBlocks: 0
; NumSGPRsForWavesPerEU: 6
; NumVGPRsForWavesPerEU: 1
; AccumOffset: 4
; Occupancy: 8
; WaveLimiterHint : 0
; COMPUTE_PGM_RSRC2:SCRATCH_EN: 0
; COMPUTE_PGM_RSRC2:USER_SGPR: 2
; COMPUTE_PGM_RSRC2:TRAP_HANDLER: 0
; COMPUTE_PGM_RSRC2:TGID_X_EN: 1
; COMPUTE_PGM_RSRC2:TGID_Y_EN: 0
; COMPUTE_PGM_RSRC2:TGID_Z_EN: 0
; COMPUTE_PGM_RSRC2:TIDIG_COMP_CNT: 0
; COMPUTE_PGM_RSRC3_GFX90A:ACCUM_OFFSET: 0
; COMPUTE_PGM_RSRC3_GFX90A:TG_SPLIT: 0
	.section	.text._ZN7rocprim17ROCPRIM_400000_NS6detail17trampoline_kernelINS0_14default_configENS1_25transform_config_selectorImLb1EEEZNS1_14transform_implILb1ES3_S5_PmS7_NS0_8identityIvEEEE10hipError_tT2_T3_mT4_P12ihipStream_tbEUlT_E_NS1_11comp_targetILNS1_3genE3ELNS1_11target_archE908ELNS1_3gpuE7ELNS1_3repE0EEENS1_30default_config_static_selectorELNS0_4arch9wavefront6targetE1EEEvT1_,"axG",@progbits,_ZN7rocprim17ROCPRIM_400000_NS6detail17trampoline_kernelINS0_14default_configENS1_25transform_config_selectorImLb1EEEZNS1_14transform_implILb1ES3_S5_PmS7_NS0_8identityIvEEEE10hipError_tT2_T3_mT4_P12ihipStream_tbEUlT_E_NS1_11comp_targetILNS1_3genE3ELNS1_11target_archE908ELNS1_3gpuE7ELNS1_3repE0EEENS1_30default_config_static_selectorELNS0_4arch9wavefront6targetE1EEEvT1_,comdat
	.protected	_ZN7rocprim17ROCPRIM_400000_NS6detail17trampoline_kernelINS0_14default_configENS1_25transform_config_selectorImLb1EEEZNS1_14transform_implILb1ES3_S5_PmS7_NS0_8identityIvEEEE10hipError_tT2_T3_mT4_P12ihipStream_tbEUlT_E_NS1_11comp_targetILNS1_3genE3ELNS1_11target_archE908ELNS1_3gpuE7ELNS1_3repE0EEENS1_30default_config_static_selectorELNS0_4arch9wavefront6targetE1EEEvT1_ ; -- Begin function _ZN7rocprim17ROCPRIM_400000_NS6detail17trampoline_kernelINS0_14default_configENS1_25transform_config_selectorImLb1EEEZNS1_14transform_implILb1ES3_S5_PmS7_NS0_8identityIvEEEE10hipError_tT2_T3_mT4_P12ihipStream_tbEUlT_E_NS1_11comp_targetILNS1_3genE3ELNS1_11target_archE908ELNS1_3gpuE7ELNS1_3repE0EEENS1_30default_config_static_selectorELNS0_4arch9wavefront6targetE1EEEvT1_
	.globl	_ZN7rocprim17ROCPRIM_400000_NS6detail17trampoline_kernelINS0_14default_configENS1_25transform_config_selectorImLb1EEEZNS1_14transform_implILb1ES3_S5_PmS7_NS0_8identityIvEEEE10hipError_tT2_T3_mT4_P12ihipStream_tbEUlT_E_NS1_11comp_targetILNS1_3genE3ELNS1_11target_archE908ELNS1_3gpuE7ELNS1_3repE0EEENS1_30default_config_static_selectorELNS0_4arch9wavefront6targetE1EEEvT1_
	.p2align	8
	.type	_ZN7rocprim17ROCPRIM_400000_NS6detail17trampoline_kernelINS0_14default_configENS1_25transform_config_selectorImLb1EEEZNS1_14transform_implILb1ES3_S5_PmS7_NS0_8identityIvEEEE10hipError_tT2_T3_mT4_P12ihipStream_tbEUlT_E_NS1_11comp_targetILNS1_3genE3ELNS1_11target_archE908ELNS1_3gpuE7ELNS1_3repE0EEENS1_30default_config_static_selectorELNS0_4arch9wavefront6targetE1EEEvT1_,@function
_ZN7rocprim17ROCPRIM_400000_NS6detail17trampoline_kernelINS0_14default_configENS1_25transform_config_selectorImLb1EEEZNS1_14transform_implILb1ES3_S5_PmS7_NS0_8identityIvEEEE10hipError_tT2_T3_mT4_P12ihipStream_tbEUlT_E_NS1_11comp_targetILNS1_3genE3ELNS1_11target_archE908ELNS1_3gpuE7ELNS1_3repE0EEENS1_30default_config_static_selectorELNS0_4arch9wavefront6targetE1EEEvT1_: ; @_ZN7rocprim17ROCPRIM_400000_NS6detail17trampoline_kernelINS0_14default_configENS1_25transform_config_selectorImLb1EEEZNS1_14transform_implILb1ES3_S5_PmS7_NS0_8identityIvEEEE10hipError_tT2_T3_mT4_P12ihipStream_tbEUlT_E_NS1_11comp_targetILNS1_3genE3ELNS1_11target_archE908ELNS1_3gpuE7ELNS1_3repE0EEENS1_30default_config_static_selectorELNS0_4arch9wavefront6targetE1EEEvT1_
; %bb.0:
	.section	.rodata,"a",@progbits
	.p2align	6, 0x0
	.amdhsa_kernel _ZN7rocprim17ROCPRIM_400000_NS6detail17trampoline_kernelINS0_14default_configENS1_25transform_config_selectorImLb1EEEZNS1_14transform_implILb1ES3_S5_PmS7_NS0_8identityIvEEEE10hipError_tT2_T3_mT4_P12ihipStream_tbEUlT_E_NS1_11comp_targetILNS1_3genE3ELNS1_11target_archE908ELNS1_3gpuE7ELNS1_3repE0EEENS1_30default_config_static_selectorELNS0_4arch9wavefront6targetE1EEEvT1_
		.amdhsa_group_segment_fixed_size 0
		.amdhsa_private_segment_fixed_size 0
		.amdhsa_kernarg_size 40
		.amdhsa_user_sgpr_count 2
		.amdhsa_user_sgpr_dispatch_ptr 0
		.amdhsa_user_sgpr_queue_ptr 0
		.amdhsa_user_sgpr_kernarg_segment_ptr 1
		.amdhsa_user_sgpr_dispatch_id 0
		.amdhsa_user_sgpr_kernarg_preload_length 0
		.amdhsa_user_sgpr_kernarg_preload_offset 0
		.amdhsa_user_sgpr_private_segment_size 0
		.amdhsa_uses_dynamic_stack 0
		.amdhsa_enable_private_segment 0
		.amdhsa_system_sgpr_workgroup_id_x 1
		.amdhsa_system_sgpr_workgroup_id_y 0
		.amdhsa_system_sgpr_workgroup_id_z 0
		.amdhsa_system_sgpr_workgroup_info 0
		.amdhsa_system_vgpr_workitem_id 0
		.amdhsa_next_free_vgpr 1
		.amdhsa_next_free_sgpr 0
		.amdhsa_accum_offset 4
		.amdhsa_reserve_vcc 0
		.amdhsa_float_round_mode_32 0
		.amdhsa_float_round_mode_16_64 0
		.amdhsa_float_denorm_mode_32 3
		.amdhsa_float_denorm_mode_16_64 3
		.amdhsa_dx10_clamp 1
		.amdhsa_ieee_mode 1
		.amdhsa_fp16_overflow 0
		.amdhsa_tg_split 0
		.amdhsa_exception_fp_ieee_invalid_op 0
		.amdhsa_exception_fp_denorm_src 0
		.amdhsa_exception_fp_ieee_div_zero 0
		.amdhsa_exception_fp_ieee_overflow 0
		.amdhsa_exception_fp_ieee_underflow 0
		.amdhsa_exception_fp_ieee_inexact 0
		.amdhsa_exception_int_div_zero 0
	.end_amdhsa_kernel
	.section	.text._ZN7rocprim17ROCPRIM_400000_NS6detail17trampoline_kernelINS0_14default_configENS1_25transform_config_selectorImLb1EEEZNS1_14transform_implILb1ES3_S5_PmS7_NS0_8identityIvEEEE10hipError_tT2_T3_mT4_P12ihipStream_tbEUlT_E_NS1_11comp_targetILNS1_3genE3ELNS1_11target_archE908ELNS1_3gpuE7ELNS1_3repE0EEENS1_30default_config_static_selectorELNS0_4arch9wavefront6targetE1EEEvT1_,"axG",@progbits,_ZN7rocprim17ROCPRIM_400000_NS6detail17trampoline_kernelINS0_14default_configENS1_25transform_config_selectorImLb1EEEZNS1_14transform_implILb1ES3_S5_PmS7_NS0_8identityIvEEEE10hipError_tT2_T3_mT4_P12ihipStream_tbEUlT_E_NS1_11comp_targetILNS1_3genE3ELNS1_11target_archE908ELNS1_3gpuE7ELNS1_3repE0EEENS1_30default_config_static_selectorELNS0_4arch9wavefront6targetE1EEEvT1_,comdat
.Lfunc_end174:
	.size	_ZN7rocprim17ROCPRIM_400000_NS6detail17trampoline_kernelINS0_14default_configENS1_25transform_config_selectorImLb1EEEZNS1_14transform_implILb1ES3_S5_PmS7_NS0_8identityIvEEEE10hipError_tT2_T3_mT4_P12ihipStream_tbEUlT_E_NS1_11comp_targetILNS1_3genE3ELNS1_11target_archE908ELNS1_3gpuE7ELNS1_3repE0EEENS1_30default_config_static_selectorELNS0_4arch9wavefront6targetE1EEEvT1_, .Lfunc_end174-_ZN7rocprim17ROCPRIM_400000_NS6detail17trampoline_kernelINS0_14default_configENS1_25transform_config_selectorImLb1EEEZNS1_14transform_implILb1ES3_S5_PmS7_NS0_8identityIvEEEE10hipError_tT2_T3_mT4_P12ihipStream_tbEUlT_E_NS1_11comp_targetILNS1_3genE3ELNS1_11target_archE908ELNS1_3gpuE7ELNS1_3repE0EEENS1_30default_config_static_selectorELNS0_4arch9wavefront6targetE1EEEvT1_
                                        ; -- End function
	.section	.AMDGPU.csdata,"",@progbits
; Kernel info:
; codeLenInByte = 0
; NumSgprs: 6
; NumVgprs: 0
; NumAgprs: 0
; TotalNumVgprs: 0
; ScratchSize: 0
; MemoryBound: 0
; FloatMode: 240
; IeeeMode: 1
; LDSByteSize: 0 bytes/workgroup (compile time only)
; SGPRBlocks: 0
; VGPRBlocks: 0
; NumSGPRsForWavesPerEU: 6
; NumVGPRsForWavesPerEU: 1
; AccumOffset: 4
; Occupancy: 8
; WaveLimiterHint : 0
; COMPUTE_PGM_RSRC2:SCRATCH_EN: 0
; COMPUTE_PGM_RSRC2:USER_SGPR: 2
; COMPUTE_PGM_RSRC2:TRAP_HANDLER: 0
; COMPUTE_PGM_RSRC2:TGID_X_EN: 1
; COMPUTE_PGM_RSRC2:TGID_Y_EN: 0
; COMPUTE_PGM_RSRC2:TGID_Z_EN: 0
; COMPUTE_PGM_RSRC2:TIDIG_COMP_CNT: 0
; COMPUTE_PGM_RSRC3_GFX90A:ACCUM_OFFSET: 0
; COMPUTE_PGM_RSRC3_GFX90A:TG_SPLIT: 0
	.section	.text._ZN7rocprim17ROCPRIM_400000_NS6detail17trampoline_kernelINS0_14default_configENS1_25transform_config_selectorImLb1EEEZNS1_14transform_implILb1ES3_S5_PmS7_NS0_8identityIvEEEE10hipError_tT2_T3_mT4_P12ihipStream_tbEUlT_E_NS1_11comp_targetILNS1_3genE2ELNS1_11target_archE906ELNS1_3gpuE6ELNS1_3repE0EEENS1_30default_config_static_selectorELNS0_4arch9wavefront6targetE1EEEvT1_,"axG",@progbits,_ZN7rocprim17ROCPRIM_400000_NS6detail17trampoline_kernelINS0_14default_configENS1_25transform_config_selectorImLb1EEEZNS1_14transform_implILb1ES3_S5_PmS7_NS0_8identityIvEEEE10hipError_tT2_T3_mT4_P12ihipStream_tbEUlT_E_NS1_11comp_targetILNS1_3genE2ELNS1_11target_archE906ELNS1_3gpuE6ELNS1_3repE0EEENS1_30default_config_static_selectorELNS0_4arch9wavefront6targetE1EEEvT1_,comdat
	.protected	_ZN7rocprim17ROCPRIM_400000_NS6detail17trampoline_kernelINS0_14default_configENS1_25transform_config_selectorImLb1EEEZNS1_14transform_implILb1ES3_S5_PmS7_NS0_8identityIvEEEE10hipError_tT2_T3_mT4_P12ihipStream_tbEUlT_E_NS1_11comp_targetILNS1_3genE2ELNS1_11target_archE906ELNS1_3gpuE6ELNS1_3repE0EEENS1_30default_config_static_selectorELNS0_4arch9wavefront6targetE1EEEvT1_ ; -- Begin function _ZN7rocprim17ROCPRIM_400000_NS6detail17trampoline_kernelINS0_14default_configENS1_25transform_config_selectorImLb1EEEZNS1_14transform_implILb1ES3_S5_PmS7_NS0_8identityIvEEEE10hipError_tT2_T3_mT4_P12ihipStream_tbEUlT_E_NS1_11comp_targetILNS1_3genE2ELNS1_11target_archE906ELNS1_3gpuE6ELNS1_3repE0EEENS1_30default_config_static_selectorELNS0_4arch9wavefront6targetE1EEEvT1_
	.globl	_ZN7rocprim17ROCPRIM_400000_NS6detail17trampoline_kernelINS0_14default_configENS1_25transform_config_selectorImLb1EEEZNS1_14transform_implILb1ES3_S5_PmS7_NS0_8identityIvEEEE10hipError_tT2_T3_mT4_P12ihipStream_tbEUlT_E_NS1_11comp_targetILNS1_3genE2ELNS1_11target_archE906ELNS1_3gpuE6ELNS1_3repE0EEENS1_30default_config_static_selectorELNS0_4arch9wavefront6targetE1EEEvT1_
	.p2align	8
	.type	_ZN7rocprim17ROCPRIM_400000_NS6detail17trampoline_kernelINS0_14default_configENS1_25transform_config_selectorImLb1EEEZNS1_14transform_implILb1ES3_S5_PmS7_NS0_8identityIvEEEE10hipError_tT2_T3_mT4_P12ihipStream_tbEUlT_E_NS1_11comp_targetILNS1_3genE2ELNS1_11target_archE906ELNS1_3gpuE6ELNS1_3repE0EEENS1_30default_config_static_selectorELNS0_4arch9wavefront6targetE1EEEvT1_,@function
_ZN7rocprim17ROCPRIM_400000_NS6detail17trampoline_kernelINS0_14default_configENS1_25transform_config_selectorImLb1EEEZNS1_14transform_implILb1ES3_S5_PmS7_NS0_8identityIvEEEE10hipError_tT2_T3_mT4_P12ihipStream_tbEUlT_E_NS1_11comp_targetILNS1_3genE2ELNS1_11target_archE906ELNS1_3gpuE6ELNS1_3repE0EEENS1_30default_config_static_selectorELNS0_4arch9wavefront6targetE1EEEvT1_: ; @_ZN7rocprim17ROCPRIM_400000_NS6detail17trampoline_kernelINS0_14default_configENS1_25transform_config_selectorImLb1EEEZNS1_14transform_implILb1ES3_S5_PmS7_NS0_8identityIvEEEE10hipError_tT2_T3_mT4_P12ihipStream_tbEUlT_E_NS1_11comp_targetILNS1_3genE2ELNS1_11target_archE906ELNS1_3gpuE6ELNS1_3repE0EEENS1_30default_config_static_selectorELNS0_4arch9wavefront6targetE1EEEvT1_
; %bb.0:
	.section	.rodata,"a",@progbits
	.p2align	6, 0x0
	.amdhsa_kernel _ZN7rocprim17ROCPRIM_400000_NS6detail17trampoline_kernelINS0_14default_configENS1_25transform_config_selectorImLb1EEEZNS1_14transform_implILb1ES3_S5_PmS7_NS0_8identityIvEEEE10hipError_tT2_T3_mT4_P12ihipStream_tbEUlT_E_NS1_11comp_targetILNS1_3genE2ELNS1_11target_archE906ELNS1_3gpuE6ELNS1_3repE0EEENS1_30default_config_static_selectorELNS0_4arch9wavefront6targetE1EEEvT1_
		.amdhsa_group_segment_fixed_size 0
		.amdhsa_private_segment_fixed_size 0
		.amdhsa_kernarg_size 40
		.amdhsa_user_sgpr_count 2
		.amdhsa_user_sgpr_dispatch_ptr 0
		.amdhsa_user_sgpr_queue_ptr 0
		.amdhsa_user_sgpr_kernarg_segment_ptr 1
		.amdhsa_user_sgpr_dispatch_id 0
		.amdhsa_user_sgpr_kernarg_preload_length 0
		.amdhsa_user_sgpr_kernarg_preload_offset 0
		.amdhsa_user_sgpr_private_segment_size 0
		.amdhsa_uses_dynamic_stack 0
		.amdhsa_enable_private_segment 0
		.amdhsa_system_sgpr_workgroup_id_x 1
		.amdhsa_system_sgpr_workgroup_id_y 0
		.amdhsa_system_sgpr_workgroup_id_z 0
		.amdhsa_system_sgpr_workgroup_info 0
		.amdhsa_system_vgpr_workitem_id 0
		.amdhsa_next_free_vgpr 1
		.amdhsa_next_free_sgpr 0
		.amdhsa_accum_offset 4
		.amdhsa_reserve_vcc 0
		.amdhsa_float_round_mode_32 0
		.amdhsa_float_round_mode_16_64 0
		.amdhsa_float_denorm_mode_32 3
		.amdhsa_float_denorm_mode_16_64 3
		.amdhsa_dx10_clamp 1
		.amdhsa_ieee_mode 1
		.amdhsa_fp16_overflow 0
		.amdhsa_tg_split 0
		.amdhsa_exception_fp_ieee_invalid_op 0
		.amdhsa_exception_fp_denorm_src 0
		.amdhsa_exception_fp_ieee_div_zero 0
		.amdhsa_exception_fp_ieee_overflow 0
		.amdhsa_exception_fp_ieee_underflow 0
		.amdhsa_exception_fp_ieee_inexact 0
		.amdhsa_exception_int_div_zero 0
	.end_amdhsa_kernel
	.section	.text._ZN7rocprim17ROCPRIM_400000_NS6detail17trampoline_kernelINS0_14default_configENS1_25transform_config_selectorImLb1EEEZNS1_14transform_implILb1ES3_S5_PmS7_NS0_8identityIvEEEE10hipError_tT2_T3_mT4_P12ihipStream_tbEUlT_E_NS1_11comp_targetILNS1_3genE2ELNS1_11target_archE906ELNS1_3gpuE6ELNS1_3repE0EEENS1_30default_config_static_selectorELNS0_4arch9wavefront6targetE1EEEvT1_,"axG",@progbits,_ZN7rocprim17ROCPRIM_400000_NS6detail17trampoline_kernelINS0_14default_configENS1_25transform_config_selectorImLb1EEEZNS1_14transform_implILb1ES3_S5_PmS7_NS0_8identityIvEEEE10hipError_tT2_T3_mT4_P12ihipStream_tbEUlT_E_NS1_11comp_targetILNS1_3genE2ELNS1_11target_archE906ELNS1_3gpuE6ELNS1_3repE0EEENS1_30default_config_static_selectorELNS0_4arch9wavefront6targetE1EEEvT1_,comdat
.Lfunc_end175:
	.size	_ZN7rocprim17ROCPRIM_400000_NS6detail17trampoline_kernelINS0_14default_configENS1_25transform_config_selectorImLb1EEEZNS1_14transform_implILb1ES3_S5_PmS7_NS0_8identityIvEEEE10hipError_tT2_T3_mT4_P12ihipStream_tbEUlT_E_NS1_11comp_targetILNS1_3genE2ELNS1_11target_archE906ELNS1_3gpuE6ELNS1_3repE0EEENS1_30default_config_static_selectorELNS0_4arch9wavefront6targetE1EEEvT1_, .Lfunc_end175-_ZN7rocprim17ROCPRIM_400000_NS6detail17trampoline_kernelINS0_14default_configENS1_25transform_config_selectorImLb1EEEZNS1_14transform_implILb1ES3_S5_PmS7_NS0_8identityIvEEEE10hipError_tT2_T3_mT4_P12ihipStream_tbEUlT_E_NS1_11comp_targetILNS1_3genE2ELNS1_11target_archE906ELNS1_3gpuE6ELNS1_3repE0EEENS1_30default_config_static_selectorELNS0_4arch9wavefront6targetE1EEEvT1_
                                        ; -- End function
	.section	.AMDGPU.csdata,"",@progbits
; Kernel info:
; codeLenInByte = 0
; NumSgprs: 6
; NumVgprs: 0
; NumAgprs: 0
; TotalNumVgprs: 0
; ScratchSize: 0
; MemoryBound: 0
; FloatMode: 240
; IeeeMode: 1
; LDSByteSize: 0 bytes/workgroup (compile time only)
; SGPRBlocks: 0
; VGPRBlocks: 0
; NumSGPRsForWavesPerEU: 6
; NumVGPRsForWavesPerEU: 1
; AccumOffset: 4
; Occupancy: 8
; WaveLimiterHint : 0
; COMPUTE_PGM_RSRC2:SCRATCH_EN: 0
; COMPUTE_PGM_RSRC2:USER_SGPR: 2
; COMPUTE_PGM_RSRC2:TRAP_HANDLER: 0
; COMPUTE_PGM_RSRC2:TGID_X_EN: 1
; COMPUTE_PGM_RSRC2:TGID_Y_EN: 0
; COMPUTE_PGM_RSRC2:TGID_Z_EN: 0
; COMPUTE_PGM_RSRC2:TIDIG_COMP_CNT: 0
; COMPUTE_PGM_RSRC3_GFX90A:ACCUM_OFFSET: 0
; COMPUTE_PGM_RSRC3_GFX90A:TG_SPLIT: 0
	.section	.text._ZN7rocprim17ROCPRIM_400000_NS6detail17trampoline_kernelINS0_14default_configENS1_25transform_config_selectorImLb1EEEZNS1_14transform_implILb1ES3_S5_PmS7_NS0_8identityIvEEEE10hipError_tT2_T3_mT4_P12ihipStream_tbEUlT_E_NS1_11comp_targetILNS1_3genE9ELNS1_11target_archE1100ELNS1_3gpuE3ELNS1_3repE0EEENS1_30default_config_static_selectorELNS0_4arch9wavefront6targetE1EEEvT1_,"axG",@progbits,_ZN7rocprim17ROCPRIM_400000_NS6detail17trampoline_kernelINS0_14default_configENS1_25transform_config_selectorImLb1EEEZNS1_14transform_implILb1ES3_S5_PmS7_NS0_8identityIvEEEE10hipError_tT2_T3_mT4_P12ihipStream_tbEUlT_E_NS1_11comp_targetILNS1_3genE9ELNS1_11target_archE1100ELNS1_3gpuE3ELNS1_3repE0EEENS1_30default_config_static_selectorELNS0_4arch9wavefront6targetE1EEEvT1_,comdat
	.protected	_ZN7rocprim17ROCPRIM_400000_NS6detail17trampoline_kernelINS0_14default_configENS1_25transform_config_selectorImLb1EEEZNS1_14transform_implILb1ES3_S5_PmS7_NS0_8identityIvEEEE10hipError_tT2_T3_mT4_P12ihipStream_tbEUlT_E_NS1_11comp_targetILNS1_3genE9ELNS1_11target_archE1100ELNS1_3gpuE3ELNS1_3repE0EEENS1_30default_config_static_selectorELNS0_4arch9wavefront6targetE1EEEvT1_ ; -- Begin function _ZN7rocprim17ROCPRIM_400000_NS6detail17trampoline_kernelINS0_14default_configENS1_25transform_config_selectorImLb1EEEZNS1_14transform_implILb1ES3_S5_PmS7_NS0_8identityIvEEEE10hipError_tT2_T3_mT4_P12ihipStream_tbEUlT_E_NS1_11comp_targetILNS1_3genE9ELNS1_11target_archE1100ELNS1_3gpuE3ELNS1_3repE0EEENS1_30default_config_static_selectorELNS0_4arch9wavefront6targetE1EEEvT1_
	.globl	_ZN7rocprim17ROCPRIM_400000_NS6detail17trampoline_kernelINS0_14default_configENS1_25transform_config_selectorImLb1EEEZNS1_14transform_implILb1ES3_S5_PmS7_NS0_8identityIvEEEE10hipError_tT2_T3_mT4_P12ihipStream_tbEUlT_E_NS1_11comp_targetILNS1_3genE9ELNS1_11target_archE1100ELNS1_3gpuE3ELNS1_3repE0EEENS1_30default_config_static_selectorELNS0_4arch9wavefront6targetE1EEEvT1_
	.p2align	8
	.type	_ZN7rocprim17ROCPRIM_400000_NS6detail17trampoline_kernelINS0_14default_configENS1_25transform_config_selectorImLb1EEEZNS1_14transform_implILb1ES3_S5_PmS7_NS0_8identityIvEEEE10hipError_tT2_T3_mT4_P12ihipStream_tbEUlT_E_NS1_11comp_targetILNS1_3genE9ELNS1_11target_archE1100ELNS1_3gpuE3ELNS1_3repE0EEENS1_30default_config_static_selectorELNS0_4arch9wavefront6targetE1EEEvT1_,@function
_ZN7rocprim17ROCPRIM_400000_NS6detail17trampoline_kernelINS0_14default_configENS1_25transform_config_selectorImLb1EEEZNS1_14transform_implILb1ES3_S5_PmS7_NS0_8identityIvEEEE10hipError_tT2_T3_mT4_P12ihipStream_tbEUlT_E_NS1_11comp_targetILNS1_3genE9ELNS1_11target_archE1100ELNS1_3gpuE3ELNS1_3repE0EEENS1_30default_config_static_selectorELNS0_4arch9wavefront6targetE1EEEvT1_: ; @_ZN7rocprim17ROCPRIM_400000_NS6detail17trampoline_kernelINS0_14default_configENS1_25transform_config_selectorImLb1EEEZNS1_14transform_implILb1ES3_S5_PmS7_NS0_8identityIvEEEE10hipError_tT2_T3_mT4_P12ihipStream_tbEUlT_E_NS1_11comp_targetILNS1_3genE9ELNS1_11target_archE1100ELNS1_3gpuE3ELNS1_3repE0EEENS1_30default_config_static_selectorELNS0_4arch9wavefront6targetE1EEEvT1_
; %bb.0:
	.section	.rodata,"a",@progbits
	.p2align	6, 0x0
	.amdhsa_kernel _ZN7rocprim17ROCPRIM_400000_NS6detail17trampoline_kernelINS0_14default_configENS1_25transform_config_selectorImLb1EEEZNS1_14transform_implILb1ES3_S5_PmS7_NS0_8identityIvEEEE10hipError_tT2_T3_mT4_P12ihipStream_tbEUlT_E_NS1_11comp_targetILNS1_3genE9ELNS1_11target_archE1100ELNS1_3gpuE3ELNS1_3repE0EEENS1_30default_config_static_selectorELNS0_4arch9wavefront6targetE1EEEvT1_
		.amdhsa_group_segment_fixed_size 0
		.amdhsa_private_segment_fixed_size 0
		.amdhsa_kernarg_size 40
		.amdhsa_user_sgpr_count 2
		.amdhsa_user_sgpr_dispatch_ptr 0
		.amdhsa_user_sgpr_queue_ptr 0
		.amdhsa_user_sgpr_kernarg_segment_ptr 1
		.amdhsa_user_sgpr_dispatch_id 0
		.amdhsa_user_sgpr_kernarg_preload_length 0
		.amdhsa_user_sgpr_kernarg_preload_offset 0
		.amdhsa_user_sgpr_private_segment_size 0
		.amdhsa_uses_dynamic_stack 0
		.amdhsa_enable_private_segment 0
		.amdhsa_system_sgpr_workgroup_id_x 1
		.amdhsa_system_sgpr_workgroup_id_y 0
		.amdhsa_system_sgpr_workgroup_id_z 0
		.amdhsa_system_sgpr_workgroup_info 0
		.amdhsa_system_vgpr_workitem_id 0
		.amdhsa_next_free_vgpr 1
		.amdhsa_next_free_sgpr 0
		.amdhsa_accum_offset 4
		.amdhsa_reserve_vcc 0
		.amdhsa_float_round_mode_32 0
		.amdhsa_float_round_mode_16_64 0
		.amdhsa_float_denorm_mode_32 3
		.amdhsa_float_denorm_mode_16_64 3
		.amdhsa_dx10_clamp 1
		.amdhsa_ieee_mode 1
		.amdhsa_fp16_overflow 0
		.amdhsa_tg_split 0
		.amdhsa_exception_fp_ieee_invalid_op 0
		.amdhsa_exception_fp_denorm_src 0
		.amdhsa_exception_fp_ieee_div_zero 0
		.amdhsa_exception_fp_ieee_overflow 0
		.amdhsa_exception_fp_ieee_underflow 0
		.amdhsa_exception_fp_ieee_inexact 0
		.amdhsa_exception_int_div_zero 0
	.end_amdhsa_kernel
	.section	.text._ZN7rocprim17ROCPRIM_400000_NS6detail17trampoline_kernelINS0_14default_configENS1_25transform_config_selectorImLb1EEEZNS1_14transform_implILb1ES3_S5_PmS7_NS0_8identityIvEEEE10hipError_tT2_T3_mT4_P12ihipStream_tbEUlT_E_NS1_11comp_targetILNS1_3genE9ELNS1_11target_archE1100ELNS1_3gpuE3ELNS1_3repE0EEENS1_30default_config_static_selectorELNS0_4arch9wavefront6targetE1EEEvT1_,"axG",@progbits,_ZN7rocprim17ROCPRIM_400000_NS6detail17trampoline_kernelINS0_14default_configENS1_25transform_config_selectorImLb1EEEZNS1_14transform_implILb1ES3_S5_PmS7_NS0_8identityIvEEEE10hipError_tT2_T3_mT4_P12ihipStream_tbEUlT_E_NS1_11comp_targetILNS1_3genE9ELNS1_11target_archE1100ELNS1_3gpuE3ELNS1_3repE0EEENS1_30default_config_static_selectorELNS0_4arch9wavefront6targetE1EEEvT1_,comdat
.Lfunc_end176:
	.size	_ZN7rocprim17ROCPRIM_400000_NS6detail17trampoline_kernelINS0_14default_configENS1_25transform_config_selectorImLb1EEEZNS1_14transform_implILb1ES3_S5_PmS7_NS0_8identityIvEEEE10hipError_tT2_T3_mT4_P12ihipStream_tbEUlT_E_NS1_11comp_targetILNS1_3genE9ELNS1_11target_archE1100ELNS1_3gpuE3ELNS1_3repE0EEENS1_30default_config_static_selectorELNS0_4arch9wavefront6targetE1EEEvT1_, .Lfunc_end176-_ZN7rocprim17ROCPRIM_400000_NS6detail17trampoline_kernelINS0_14default_configENS1_25transform_config_selectorImLb1EEEZNS1_14transform_implILb1ES3_S5_PmS7_NS0_8identityIvEEEE10hipError_tT2_T3_mT4_P12ihipStream_tbEUlT_E_NS1_11comp_targetILNS1_3genE9ELNS1_11target_archE1100ELNS1_3gpuE3ELNS1_3repE0EEENS1_30default_config_static_selectorELNS0_4arch9wavefront6targetE1EEEvT1_
                                        ; -- End function
	.section	.AMDGPU.csdata,"",@progbits
; Kernel info:
; codeLenInByte = 0
; NumSgprs: 6
; NumVgprs: 0
; NumAgprs: 0
; TotalNumVgprs: 0
; ScratchSize: 0
; MemoryBound: 0
; FloatMode: 240
; IeeeMode: 1
; LDSByteSize: 0 bytes/workgroup (compile time only)
; SGPRBlocks: 0
; VGPRBlocks: 0
; NumSGPRsForWavesPerEU: 6
; NumVGPRsForWavesPerEU: 1
; AccumOffset: 4
; Occupancy: 8
; WaveLimiterHint : 0
; COMPUTE_PGM_RSRC2:SCRATCH_EN: 0
; COMPUTE_PGM_RSRC2:USER_SGPR: 2
; COMPUTE_PGM_RSRC2:TRAP_HANDLER: 0
; COMPUTE_PGM_RSRC2:TGID_X_EN: 1
; COMPUTE_PGM_RSRC2:TGID_Y_EN: 0
; COMPUTE_PGM_RSRC2:TGID_Z_EN: 0
; COMPUTE_PGM_RSRC2:TIDIG_COMP_CNT: 0
; COMPUTE_PGM_RSRC3_GFX90A:ACCUM_OFFSET: 0
; COMPUTE_PGM_RSRC3_GFX90A:TG_SPLIT: 0
	.section	.text._ZN7rocprim17ROCPRIM_400000_NS6detail17trampoline_kernelINS0_14default_configENS1_25transform_config_selectorImLb1EEEZNS1_14transform_implILb1ES3_S5_PmS7_NS0_8identityIvEEEE10hipError_tT2_T3_mT4_P12ihipStream_tbEUlT_E_NS1_11comp_targetILNS1_3genE8ELNS1_11target_archE1030ELNS1_3gpuE2ELNS1_3repE0EEENS1_30default_config_static_selectorELNS0_4arch9wavefront6targetE1EEEvT1_,"axG",@progbits,_ZN7rocprim17ROCPRIM_400000_NS6detail17trampoline_kernelINS0_14default_configENS1_25transform_config_selectorImLb1EEEZNS1_14transform_implILb1ES3_S5_PmS7_NS0_8identityIvEEEE10hipError_tT2_T3_mT4_P12ihipStream_tbEUlT_E_NS1_11comp_targetILNS1_3genE8ELNS1_11target_archE1030ELNS1_3gpuE2ELNS1_3repE0EEENS1_30default_config_static_selectorELNS0_4arch9wavefront6targetE1EEEvT1_,comdat
	.protected	_ZN7rocprim17ROCPRIM_400000_NS6detail17trampoline_kernelINS0_14default_configENS1_25transform_config_selectorImLb1EEEZNS1_14transform_implILb1ES3_S5_PmS7_NS0_8identityIvEEEE10hipError_tT2_T3_mT4_P12ihipStream_tbEUlT_E_NS1_11comp_targetILNS1_3genE8ELNS1_11target_archE1030ELNS1_3gpuE2ELNS1_3repE0EEENS1_30default_config_static_selectorELNS0_4arch9wavefront6targetE1EEEvT1_ ; -- Begin function _ZN7rocprim17ROCPRIM_400000_NS6detail17trampoline_kernelINS0_14default_configENS1_25transform_config_selectorImLb1EEEZNS1_14transform_implILb1ES3_S5_PmS7_NS0_8identityIvEEEE10hipError_tT2_T3_mT4_P12ihipStream_tbEUlT_E_NS1_11comp_targetILNS1_3genE8ELNS1_11target_archE1030ELNS1_3gpuE2ELNS1_3repE0EEENS1_30default_config_static_selectorELNS0_4arch9wavefront6targetE1EEEvT1_
	.globl	_ZN7rocprim17ROCPRIM_400000_NS6detail17trampoline_kernelINS0_14default_configENS1_25transform_config_selectorImLb1EEEZNS1_14transform_implILb1ES3_S5_PmS7_NS0_8identityIvEEEE10hipError_tT2_T3_mT4_P12ihipStream_tbEUlT_E_NS1_11comp_targetILNS1_3genE8ELNS1_11target_archE1030ELNS1_3gpuE2ELNS1_3repE0EEENS1_30default_config_static_selectorELNS0_4arch9wavefront6targetE1EEEvT1_
	.p2align	8
	.type	_ZN7rocprim17ROCPRIM_400000_NS6detail17trampoline_kernelINS0_14default_configENS1_25transform_config_selectorImLb1EEEZNS1_14transform_implILb1ES3_S5_PmS7_NS0_8identityIvEEEE10hipError_tT2_T3_mT4_P12ihipStream_tbEUlT_E_NS1_11comp_targetILNS1_3genE8ELNS1_11target_archE1030ELNS1_3gpuE2ELNS1_3repE0EEENS1_30default_config_static_selectorELNS0_4arch9wavefront6targetE1EEEvT1_,@function
_ZN7rocprim17ROCPRIM_400000_NS6detail17trampoline_kernelINS0_14default_configENS1_25transform_config_selectorImLb1EEEZNS1_14transform_implILb1ES3_S5_PmS7_NS0_8identityIvEEEE10hipError_tT2_T3_mT4_P12ihipStream_tbEUlT_E_NS1_11comp_targetILNS1_3genE8ELNS1_11target_archE1030ELNS1_3gpuE2ELNS1_3repE0EEENS1_30default_config_static_selectorELNS0_4arch9wavefront6targetE1EEEvT1_: ; @_ZN7rocprim17ROCPRIM_400000_NS6detail17trampoline_kernelINS0_14default_configENS1_25transform_config_selectorImLb1EEEZNS1_14transform_implILb1ES3_S5_PmS7_NS0_8identityIvEEEE10hipError_tT2_T3_mT4_P12ihipStream_tbEUlT_E_NS1_11comp_targetILNS1_3genE8ELNS1_11target_archE1030ELNS1_3gpuE2ELNS1_3repE0EEENS1_30default_config_static_selectorELNS0_4arch9wavefront6targetE1EEEvT1_
; %bb.0:
	.section	.rodata,"a",@progbits
	.p2align	6, 0x0
	.amdhsa_kernel _ZN7rocprim17ROCPRIM_400000_NS6detail17trampoline_kernelINS0_14default_configENS1_25transform_config_selectorImLb1EEEZNS1_14transform_implILb1ES3_S5_PmS7_NS0_8identityIvEEEE10hipError_tT2_T3_mT4_P12ihipStream_tbEUlT_E_NS1_11comp_targetILNS1_3genE8ELNS1_11target_archE1030ELNS1_3gpuE2ELNS1_3repE0EEENS1_30default_config_static_selectorELNS0_4arch9wavefront6targetE1EEEvT1_
		.amdhsa_group_segment_fixed_size 0
		.amdhsa_private_segment_fixed_size 0
		.amdhsa_kernarg_size 40
		.amdhsa_user_sgpr_count 2
		.amdhsa_user_sgpr_dispatch_ptr 0
		.amdhsa_user_sgpr_queue_ptr 0
		.amdhsa_user_sgpr_kernarg_segment_ptr 1
		.amdhsa_user_sgpr_dispatch_id 0
		.amdhsa_user_sgpr_kernarg_preload_length 0
		.amdhsa_user_sgpr_kernarg_preload_offset 0
		.amdhsa_user_sgpr_private_segment_size 0
		.amdhsa_uses_dynamic_stack 0
		.amdhsa_enable_private_segment 0
		.amdhsa_system_sgpr_workgroup_id_x 1
		.amdhsa_system_sgpr_workgroup_id_y 0
		.amdhsa_system_sgpr_workgroup_id_z 0
		.amdhsa_system_sgpr_workgroup_info 0
		.amdhsa_system_vgpr_workitem_id 0
		.amdhsa_next_free_vgpr 1
		.amdhsa_next_free_sgpr 0
		.amdhsa_accum_offset 4
		.amdhsa_reserve_vcc 0
		.amdhsa_float_round_mode_32 0
		.amdhsa_float_round_mode_16_64 0
		.amdhsa_float_denorm_mode_32 3
		.amdhsa_float_denorm_mode_16_64 3
		.amdhsa_dx10_clamp 1
		.amdhsa_ieee_mode 1
		.amdhsa_fp16_overflow 0
		.amdhsa_tg_split 0
		.amdhsa_exception_fp_ieee_invalid_op 0
		.amdhsa_exception_fp_denorm_src 0
		.amdhsa_exception_fp_ieee_div_zero 0
		.amdhsa_exception_fp_ieee_overflow 0
		.amdhsa_exception_fp_ieee_underflow 0
		.amdhsa_exception_fp_ieee_inexact 0
		.amdhsa_exception_int_div_zero 0
	.end_amdhsa_kernel
	.section	.text._ZN7rocprim17ROCPRIM_400000_NS6detail17trampoline_kernelINS0_14default_configENS1_25transform_config_selectorImLb1EEEZNS1_14transform_implILb1ES3_S5_PmS7_NS0_8identityIvEEEE10hipError_tT2_T3_mT4_P12ihipStream_tbEUlT_E_NS1_11comp_targetILNS1_3genE8ELNS1_11target_archE1030ELNS1_3gpuE2ELNS1_3repE0EEENS1_30default_config_static_selectorELNS0_4arch9wavefront6targetE1EEEvT1_,"axG",@progbits,_ZN7rocprim17ROCPRIM_400000_NS6detail17trampoline_kernelINS0_14default_configENS1_25transform_config_selectorImLb1EEEZNS1_14transform_implILb1ES3_S5_PmS7_NS0_8identityIvEEEE10hipError_tT2_T3_mT4_P12ihipStream_tbEUlT_E_NS1_11comp_targetILNS1_3genE8ELNS1_11target_archE1030ELNS1_3gpuE2ELNS1_3repE0EEENS1_30default_config_static_selectorELNS0_4arch9wavefront6targetE1EEEvT1_,comdat
.Lfunc_end177:
	.size	_ZN7rocprim17ROCPRIM_400000_NS6detail17trampoline_kernelINS0_14default_configENS1_25transform_config_selectorImLb1EEEZNS1_14transform_implILb1ES3_S5_PmS7_NS0_8identityIvEEEE10hipError_tT2_T3_mT4_P12ihipStream_tbEUlT_E_NS1_11comp_targetILNS1_3genE8ELNS1_11target_archE1030ELNS1_3gpuE2ELNS1_3repE0EEENS1_30default_config_static_selectorELNS0_4arch9wavefront6targetE1EEEvT1_, .Lfunc_end177-_ZN7rocprim17ROCPRIM_400000_NS6detail17trampoline_kernelINS0_14default_configENS1_25transform_config_selectorImLb1EEEZNS1_14transform_implILb1ES3_S5_PmS7_NS0_8identityIvEEEE10hipError_tT2_T3_mT4_P12ihipStream_tbEUlT_E_NS1_11comp_targetILNS1_3genE8ELNS1_11target_archE1030ELNS1_3gpuE2ELNS1_3repE0EEENS1_30default_config_static_selectorELNS0_4arch9wavefront6targetE1EEEvT1_
                                        ; -- End function
	.section	.AMDGPU.csdata,"",@progbits
; Kernel info:
; codeLenInByte = 0
; NumSgprs: 6
; NumVgprs: 0
; NumAgprs: 0
; TotalNumVgprs: 0
; ScratchSize: 0
; MemoryBound: 0
; FloatMode: 240
; IeeeMode: 1
; LDSByteSize: 0 bytes/workgroup (compile time only)
; SGPRBlocks: 0
; VGPRBlocks: 0
; NumSGPRsForWavesPerEU: 6
; NumVGPRsForWavesPerEU: 1
; AccumOffset: 4
; Occupancy: 8
; WaveLimiterHint : 0
; COMPUTE_PGM_RSRC2:SCRATCH_EN: 0
; COMPUTE_PGM_RSRC2:USER_SGPR: 2
; COMPUTE_PGM_RSRC2:TRAP_HANDLER: 0
; COMPUTE_PGM_RSRC2:TGID_X_EN: 1
; COMPUTE_PGM_RSRC2:TGID_Y_EN: 0
; COMPUTE_PGM_RSRC2:TGID_Z_EN: 0
; COMPUTE_PGM_RSRC2:TIDIG_COMP_CNT: 0
; COMPUTE_PGM_RSRC3_GFX90A:ACCUM_OFFSET: 0
; COMPUTE_PGM_RSRC3_GFX90A:TG_SPLIT: 0
	.section	.text._ZN7rocprim17ROCPRIM_400000_NS6detail31init_lookback_scan_state_kernelINS1_19lookback_scan_stateIjLb1ELb1EEENS1_16block_id_wrapperIjLb1EEEEEvT_jT0_jPNS7_10value_typeE,"axG",@progbits,_ZN7rocprim17ROCPRIM_400000_NS6detail31init_lookback_scan_state_kernelINS1_19lookback_scan_stateIjLb1ELb1EEENS1_16block_id_wrapperIjLb1EEEEEvT_jT0_jPNS7_10value_typeE,comdat
	.protected	_ZN7rocprim17ROCPRIM_400000_NS6detail31init_lookback_scan_state_kernelINS1_19lookback_scan_stateIjLb1ELb1EEENS1_16block_id_wrapperIjLb1EEEEEvT_jT0_jPNS7_10value_typeE ; -- Begin function _ZN7rocprim17ROCPRIM_400000_NS6detail31init_lookback_scan_state_kernelINS1_19lookback_scan_stateIjLb1ELb1EEENS1_16block_id_wrapperIjLb1EEEEEvT_jT0_jPNS7_10value_typeE
	.globl	_ZN7rocprim17ROCPRIM_400000_NS6detail31init_lookback_scan_state_kernelINS1_19lookback_scan_stateIjLb1ELb1EEENS1_16block_id_wrapperIjLb1EEEEEvT_jT0_jPNS7_10value_typeE
	.p2align	8
	.type	_ZN7rocprim17ROCPRIM_400000_NS6detail31init_lookback_scan_state_kernelINS1_19lookback_scan_stateIjLb1ELb1EEENS1_16block_id_wrapperIjLb1EEEEEvT_jT0_jPNS7_10value_typeE,@function
_ZN7rocprim17ROCPRIM_400000_NS6detail31init_lookback_scan_state_kernelINS1_19lookback_scan_stateIjLb1ELb1EEENS1_16block_id_wrapperIjLb1EEEEEvT_jT0_jPNS7_10value_typeE: ; @_ZN7rocprim17ROCPRIM_400000_NS6detail31init_lookback_scan_state_kernelINS1_19lookback_scan_stateIjLb1ELb1EEENS1_16block_id_wrapperIjLb1EEEEEvT_jT0_jPNS7_10value_typeE
; %bb.0:
	s_load_dword s3, s[0:1], 0x34
	s_load_dwordx2 s[6:7], s[0:1], 0x20
	s_load_dwordx2 s[4:5], s[0:1], 0x0
	s_load_dword s10, s[0:1], 0x8
	s_waitcnt lgkmcnt(0)
	s_and_b32 s3, s3, 0xffff
	s_mul_i32 s2, s2, s3
	s_cmp_eq_u64 s[6:7], 0
	v_add_u32_e32 v0, s2, v0
	s_cbranch_scc1 .LBB178_9
; %bb.1:
	s_load_dword s8, s[0:1], 0x18
	s_mov_b32 s9, 0
	s_waitcnt lgkmcnt(0)
	s_cmp_lt_u32 s8, s10
	s_cselect_b32 s2, s8, 0
	v_cmp_eq_u32_e32 vcc, s2, v0
	s_and_saveexec_b64 s[2:3], vcc
	s_cbranch_execz .LBB178_8
; %bb.2:
	s_add_i32 s8, s8, 64
	s_lshl_b64 s[8:9], s[8:9], 3
	s_add_u32 s8, s4, s8
	s_addc_u32 s9, s5, s9
	v_mov_b32_e32 v2, 0
	global_load_dwordx2 v[4:5], v2, s[8:9] sc1
	s_waitcnt vmcnt(0)
	v_and_b32_e32 v3, 0xff, v5
	v_cmp_ne_u64_e32 vcc, 0, v[2:3]
	s_cbranch_vccnz .LBB178_7
; %bb.3:
	s_mov_b32 s11, 1
.LBB178_4:                              ; =>This Loop Header: Depth=1
                                        ;     Child Loop BB178_5 Depth 2
	s_max_u32 s12, s11, 1
.LBB178_5:                              ;   Parent Loop BB178_4 Depth=1
                                        ; =>  This Inner Loop Header: Depth=2
	s_add_i32 s12, s12, -1
	s_cmp_eq_u32 s12, 0
	s_sleep 1
	s_cbranch_scc0 .LBB178_5
; %bb.6:                                ;   in Loop: Header=BB178_4 Depth=1
	global_load_dwordx2 v[4:5], v2, s[8:9] sc1
	s_cmp_lt_u32 s11, 32
	s_cselect_b64 s[12:13], -1, 0
	s_cmp_lg_u64 s[12:13], 0
	s_addc_u32 s11, s11, 0
	s_waitcnt vmcnt(0)
	v_and_b32_e32 v3, 0xff, v5
	v_cmp_ne_u64_e32 vcc, 0, v[2:3]
	s_cbranch_vccz .LBB178_4
.LBB178_7:
	v_mov_b32_e32 v1, 0
	global_store_dword v1, v4, s[6:7]
.LBB178_8:
	s_or_b64 exec, exec, s[2:3]
.LBB178_9:
	v_cmp_eq_u32_e32 vcc, 0, v0
	s_and_saveexec_b64 s[2:3], vcc
	s_cbranch_execnz .LBB178_13
; %bb.10:
	s_or_b64 exec, exec, s[2:3]
	v_cmp_gt_u32_e32 vcc, s10, v0
	s_and_saveexec_b64 s[0:1], vcc
	s_cbranch_execnz .LBB178_14
.LBB178_11:
	s_or_b64 exec, exec, s[0:1]
	v_cmp_gt_u32_e32 vcc, 64, v0
	s_and_saveexec_b64 s[0:1], vcc
	s_cbranch_execnz .LBB178_15
.LBB178_12:
	s_endpgm
.LBB178_13:
	s_load_dwordx2 s[0:1], s[0:1], 0x10
	v_mov_b32_e32 v1, 0
	s_waitcnt lgkmcnt(0)
	global_store_dword v1, v1, s[0:1]
	s_or_b64 exec, exec, s[2:3]
	v_cmp_gt_u32_e32 vcc, s10, v0
	s_and_saveexec_b64 s[0:1], vcc
	s_cbranch_execz .LBB178_11
.LBB178_14:
	v_add_u32_e32 v2, 64, v0
	v_mov_b32_e32 v3, 0
	v_lshl_add_u64 v[4:5], v[2:3], 3, s[4:5]
	v_mov_b32_e32 v2, v3
	global_store_dwordx2 v[4:5], v[2:3], off
	s_or_b64 exec, exec, s[0:1]
	v_cmp_gt_u32_e32 vcc, 64, v0
	s_and_saveexec_b64 s[0:1], vcc
	s_cbranch_execz .LBB178_12
.LBB178_15:
	v_mov_b32_e32 v1, 0
	v_lshl_add_u64 v[2:3], v[0:1], 3, s[4:5]
	v_mov_b32_e32 v5, 0xff
	v_mov_b32_e32 v4, v1
	global_store_dwordx2 v[2:3], v[4:5], off
	s_endpgm
	.section	.rodata,"a",@progbits
	.p2align	6, 0x0
	.amdhsa_kernel _ZN7rocprim17ROCPRIM_400000_NS6detail31init_lookback_scan_state_kernelINS1_19lookback_scan_stateIjLb1ELb1EEENS1_16block_id_wrapperIjLb1EEEEEvT_jT0_jPNS7_10value_typeE
		.amdhsa_group_segment_fixed_size 0
		.amdhsa_private_segment_fixed_size 0
		.amdhsa_kernarg_size 296
		.amdhsa_user_sgpr_count 2
		.amdhsa_user_sgpr_dispatch_ptr 0
		.amdhsa_user_sgpr_queue_ptr 0
		.amdhsa_user_sgpr_kernarg_segment_ptr 1
		.amdhsa_user_sgpr_dispatch_id 0
		.amdhsa_user_sgpr_kernarg_preload_length 0
		.amdhsa_user_sgpr_kernarg_preload_offset 0
		.amdhsa_user_sgpr_private_segment_size 0
		.amdhsa_uses_dynamic_stack 0
		.amdhsa_enable_private_segment 0
		.amdhsa_system_sgpr_workgroup_id_x 1
		.amdhsa_system_sgpr_workgroup_id_y 0
		.amdhsa_system_sgpr_workgroup_id_z 0
		.amdhsa_system_sgpr_workgroup_info 0
		.amdhsa_system_vgpr_workitem_id 0
		.amdhsa_next_free_vgpr 6
		.amdhsa_next_free_sgpr 14
		.amdhsa_accum_offset 8
		.amdhsa_reserve_vcc 1
		.amdhsa_float_round_mode_32 0
		.amdhsa_float_round_mode_16_64 0
		.amdhsa_float_denorm_mode_32 3
		.amdhsa_float_denorm_mode_16_64 3
		.amdhsa_dx10_clamp 1
		.amdhsa_ieee_mode 1
		.amdhsa_fp16_overflow 0
		.amdhsa_tg_split 0
		.amdhsa_exception_fp_ieee_invalid_op 0
		.amdhsa_exception_fp_denorm_src 0
		.amdhsa_exception_fp_ieee_div_zero 0
		.amdhsa_exception_fp_ieee_overflow 0
		.amdhsa_exception_fp_ieee_underflow 0
		.amdhsa_exception_fp_ieee_inexact 0
		.amdhsa_exception_int_div_zero 0
	.end_amdhsa_kernel
	.section	.text._ZN7rocprim17ROCPRIM_400000_NS6detail31init_lookback_scan_state_kernelINS1_19lookback_scan_stateIjLb1ELb1EEENS1_16block_id_wrapperIjLb1EEEEEvT_jT0_jPNS7_10value_typeE,"axG",@progbits,_ZN7rocprim17ROCPRIM_400000_NS6detail31init_lookback_scan_state_kernelINS1_19lookback_scan_stateIjLb1ELb1EEENS1_16block_id_wrapperIjLb1EEEEEvT_jT0_jPNS7_10value_typeE,comdat
.Lfunc_end178:
	.size	_ZN7rocprim17ROCPRIM_400000_NS6detail31init_lookback_scan_state_kernelINS1_19lookback_scan_stateIjLb1ELb1EEENS1_16block_id_wrapperIjLb1EEEEEvT_jT0_jPNS7_10value_typeE, .Lfunc_end178-_ZN7rocprim17ROCPRIM_400000_NS6detail31init_lookback_scan_state_kernelINS1_19lookback_scan_stateIjLb1ELb1EEENS1_16block_id_wrapperIjLb1EEEEEvT_jT0_jPNS7_10value_typeE
                                        ; -- End function
	.section	.AMDGPU.csdata,"",@progbits
; Kernel info:
; codeLenInByte = 396
; NumSgprs: 20
; NumVgprs: 6
; NumAgprs: 0
; TotalNumVgprs: 6
; ScratchSize: 0
; MemoryBound: 0
; FloatMode: 240
; IeeeMode: 1
; LDSByteSize: 0 bytes/workgroup (compile time only)
; SGPRBlocks: 2
; VGPRBlocks: 0
; NumSGPRsForWavesPerEU: 20
; NumVGPRsForWavesPerEU: 6
; AccumOffset: 8
; Occupancy: 8
; WaveLimiterHint : 0
; COMPUTE_PGM_RSRC2:SCRATCH_EN: 0
; COMPUTE_PGM_RSRC2:USER_SGPR: 2
; COMPUTE_PGM_RSRC2:TRAP_HANDLER: 0
; COMPUTE_PGM_RSRC2:TGID_X_EN: 1
; COMPUTE_PGM_RSRC2:TGID_Y_EN: 0
; COMPUTE_PGM_RSRC2:TGID_Z_EN: 0
; COMPUTE_PGM_RSRC2:TIDIG_COMP_CNT: 0
; COMPUTE_PGM_RSRC3_GFX90A:ACCUM_OFFSET: 1
; COMPUTE_PGM_RSRC3_GFX90A:TG_SPLIT: 0
	.section	.text._ZN7rocprim17ROCPRIM_400000_NS6detail17trampoline_kernelINS0_14default_configENS1_25partition_config_selectorILNS1_17partition_subalgoE8ElNS0_10empty_typeEbEEZZNS1_14partition_implILS5_8ELb0ES3_jPlPS6_PKS6_NS0_5tupleIJS9_S6_EEENSD_IJSA_SA_EEENS0_18inequality_wrapperIZN2at6native12_GLOBAL__N_124unique_dim_cuda_templateIhEESt5tupleIJNSH_6TensorESM_SM_EERKSM_lbbbEUlllE0_EEPmJS6_EEE10hipError_tPvRmT3_T4_T5_T6_T7_T9_mT8_P12ihipStream_tbDpT10_ENKUlT_T0_E_clISt17integral_constantIbLb1EES1C_EEDaS17_S18_EUlS17_E_NS1_11comp_targetILNS1_3genE0ELNS1_11target_archE4294967295ELNS1_3gpuE0ELNS1_3repE0EEENS1_30default_config_static_selectorELNS0_4arch9wavefront6targetE1EEEvT1_,"axG",@progbits,_ZN7rocprim17ROCPRIM_400000_NS6detail17trampoline_kernelINS0_14default_configENS1_25partition_config_selectorILNS1_17partition_subalgoE8ElNS0_10empty_typeEbEEZZNS1_14partition_implILS5_8ELb0ES3_jPlPS6_PKS6_NS0_5tupleIJS9_S6_EEENSD_IJSA_SA_EEENS0_18inequality_wrapperIZN2at6native12_GLOBAL__N_124unique_dim_cuda_templateIhEESt5tupleIJNSH_6TensorESM_SM_EERKSM_lbbbEUlllE0_EEPmJS6_EEE10hipError_tPvRmT3_T4_T5_T6_T7_T9_mT8_P12ihipStream_tbDpT10_ENKUlT_T0_E_clISt17integral_constantIbLb1EES1C_EEDaS17_S18_EUlS17_E_NS1_11comp_targetILNS1_3genE0ELNS1_11target_archE4294967295ELNS1_3gpuE0ELNS1_3repE0EEENS1_30default_config_static_selectorELNS0_4arch9wavefront6targetE1EEEvT1_,comdat
	.globl	_ZN7rocprim17ROCPRIM_400000_NS6detail17trampoline_kernelINS0_14default_configENS1_25partition_config_selectorILNS1_17partition_subalgoE8ElNS0_10empty_typeEbEEZZNS1_14partition_implILS5_8ELb0ES3_jPlPS6_PKS6_NS0_5tupleIJS9_S6_EEENSD_IJSA_SA_EEENS0_18inequality_wrapperIZN2at6native12_GLOBAL__N_124unique_dim_cuda_templateIhEESt5tupleIJNSH_6TensorESM_SM_EERKSM_lbbbEUlllE0_EEPmJS6_EEE10hipError_tPvRmT3_T4_T5_T6_T7_T9_mT8_P12ihipStream_tbDpT10_ENKUlT_T0_E_clISt17integral_constantIbLb1EES1C_EEDaS17_S18_EUlS17_E_NS1_11comp_targetILNS1_3genE0ELNS1_11target_archE4294967295ELNS1_3gpuE0ELNS1_3repE0EEENS1_30default_config_static_selectorELNS0_4arch9wavefront6targetE1EEEvT1_ ; -- Begin function _ZN7rocprim17ROCPRIM_400000_NS6detail17trampoline_kernelINS0_14default_configENS1_25partition_config_selectorILNS1_17partition_subalgoE8ElNS0_10empty_typeEbEEZZNS1_14partition_implILS5_8ELb0ES3_jPlPS6_PKS6_NS0_5tupleIJS9_S6_EEENSD_IJSA_SA_EEENS0_18inequality_wrapperIZN2at6native12_GLOBAL__N_124unique_dim_cuda_templateIhEESt5tupleIJNSH_6TensorESM_SM_EERKSM_lbbbEUlllE0_EEPmJS6_EEE10hipError_tPvRmT3_T4_T5_T6_T7_T9_mT8_P12ihipStream_tbDpT10_ENKUlT_T0_E_clISt17integral_constantIbLb1EES1C_EEDaS17_S18_EUlS17_E_NS1_11comp_targetILNS1_3genE0ELNS1_11target_archE4294967295ELNS1_3gpuE0ELNS1_3repE0EEENS1_30default_config_static_selectorELNS0_4arch9wavefront6targetE1EEEvT1_
	.p2align	8
	.type	_ZN7rocprim17ROCPRIM_400000_NS6detail17trampoline_kernelINS0_14default_configENS1_25partition_config_selectorILNS1_17partition_subalgoE8ElNS0_10empty_typeEbEEZZNS1_14partition_implILS5_8ELb0ES3_jPlPS6_PKS6_NS0_5tupleIJS9_S6_EEENSD_IJSA_SA_EEENS0_18inequality_wrapperIZN2at6native12_GLOBAL__N_124unique_dim_cuda_templateIhEESt5tupleIJNSH_6TensorESM_SM_EERKSM_lbbbEUlllE0_EEPmJS6_EEE10hipError_tPvRmT3_T4_T5_T6_T7_T9_mT8_P12ihipStream_tbDpT10_ENKUlT_T0_E_clISt17integral_constantIbLb1EES1C_EEDaS17_S18_EUlS17_E_NS1_11comp_targetILNS1_3genE0ELNS1_11target_archE4294967295ELNS1_3gpuE0ELNS1_3repE0EEENS1_30default_config_static_selectorELNS0_4arch9wavefront6targetE1EEEvT1_,@function
_ZN7rocprim17ROCPRIM_400000_NS6detail17trampoline_kernelINS0_14default_configENS1_25partition_config_selectorILNS1_17partition_subalgoE8ElNS0_10empty_typeEbEEZZNS1_14partition_implILS5_8ELb0ES3_jPlPS6_PKS6_NS0_5tupleIJS9_S6_EEENSD_IJSA_SA_EEENS0_18inequality_wrapperIZN2at6native12_GLOBAL__N_124unique_dim_cuda_templateIhEESt5tupleIJNSH_6TensorESM_SM_EERKSM_lbbbEUlllE0_EEPmJS6_EEE10hipError_tPvRmT3_T4_T5_T6_T7_T9_mT8_P12ihipStream_tbDpT10_ENKUlT_T0_E_clISt17integral_constantIbLb1EES1C_EEDaS17_S18_EUlS17_E_NS1_11comp_targetILNS1_3genE0ELNS1_11target_archE4294967295ELNS1_3gpuE0ELNS1_3repE0EEENS1_30default_config_static_selectorELNS0_4arch9wavefront6targetE1EEEvT1_: ; @_ZN7rocprim17ROCPRIM_400000_NS6detail17trampoline_kernelINS0_14default_configENS1_25partition_config_selectorILNS1_17partition_subalgoE8ElNS0_10empty_typeEbEEZZNS1_14partition_implILS5_8ELb0ES3_jPlPS6_PKS6_NS0_5tupleIJS9_S6_EEENSD_IJSA_SA_EEENS0_18inequality_wrapperIZN2at6native12_GLOBAL__N_124unique_dim_cuda_templateIhEESt5tupleIJNSH_6TensorESM_SM_EERKSM_lbbbEUlllE0_EEPmJS6_EEE10hipError_tPvRmT3_T4_T5_T6_T7_T9_mT8_P12ihipStream_tbDpT10_ENKUlT_T0_E_clISt17integral_constantIbLb1EES1C_EEDaS17_S18_EUlS17_E_NS1_11comp_targetILNS1_3genE0ELNS1_11target_archE4294967295ELNS1_3gpuE0ELNS1_3repE0EEENS1_30default_config_static_selectorELNS0_4arch9wavefront6targetE1EEEvT1_
; %bb.0:
	.section	.rodata,"a",@progbits
	.p2align	6, 0x0
	.amdhsa_kernel _ZN7rocprim17ROCPRIM_400000_NS6detail17trampoline_kernelINS0_14default_configENS1_25partition_config_selectorILNS1_17partition_subalgoE8ElNS0_10empty_typeEbEEZZNS1_14partition_implILS5_8ELb0ES3_jPlPS6_PKS6_NS0_5tupleIJS9_S6_EEENSD_IJSA_SA_EEENS0_18inequality_wrapperIZN2at6native12_GLOBAL__N_124unique_dim_cuda_templateIhEESt5tupleIJNSH_6TensorESM_SM_EERKSM_lbbbEUlllE0_EEPmJS6_EEE10hipError_tPvRmT3_T4_T5_T6_T7_T9_mT8_P12ihipStream_tbDpT10_ENKUlT_T0_E_clISt17integral_constantIbLb1EES1C_EEDaS17_S18_EUlS17_E_NS1_11comp_targetILNS1_3genE0ELNS1_11target_archE4294967295ELNS1_3gpuE0ELNS1_3repE0EEENS1_30default_config_static_selectorELNS0_4arch9wavefront6targetE1EEEvT1_
		.amdhsa_group_segment_fixed_size 0
		.amdhsa_private_segment_fixed_size 0
		.amdhsa_kernarg_size 136
		.amdhsa_user_sgpr_count 2
		.amdhsa_user_sgpr_dispatch_ptr 0
		.amdhsa_user_sgpr_queue_ptr 0
		.amdhsa_user_sgpr_kernarg_segment_ptr 1
		.amdhsa_user_sgpr_dispatch_id 0
		.amdhsa_user_sgpr_kernarg_preload_length 0
		.amdhsa_user_sgpr_kernarg_preload_offset 0
		.amdhsa_user_sgpr_private_segment_size 0
		.amdhsa_uses_dynamic_stack 0
		.amdhsa_enable_private_segment 0
		.amdhsa_system_sgpr_workgroup_id_x 1
		.amdhsa_system_sgpr_workgroup_id_y 0
		.amdhsa_system_sgpr_workgroup_id_z 0
		.amdhsa_system_sgpr_workgroup_info 0
		.amdhsa_system_vgpr_workitem_id 0
		.amdhsa_next_free_vgpr 1
		.amdhsa_next_free_sgpr 0
		.amdhsa_accum_offset 4
		.amdhsa_reserve_vcc 0
		.amdhsa_float_round_mode_32 0
		.amdhsa_float_round_mode_16_64 0
		.amdhsa_float_denorm_mode_32 3
		.amdhsa_float_denorm_mode_16_64 3
		.amdhsa_dx10_clamp 1
		.amdhsa_ieee_mode 1
		.amdhsa_fp16_overflow 0
		.amdhsa_tg_split 0
		.amdhsa_exception_fp_ieee_invalid_op 0
		.amdhsa_exception_fp_denorm_src 0
		.amdhsa_exception_fp_ieee_div_zero 0
		.amdhsa_exception_fp_ieee_overflow 0
		.amdhsa_exception_fp_ieee_underflow 0
		.amdhsa_exception_fp_ieee_inexact 0
		.amdhsa_exception_int_div_zero 0
	.end_amdhsa_kernel
	.section	.text._ZN7rocprim17ROCPRIM_400000_NS6detail17trampoline_kernelINS0_14default_configENS1_25partition_config_selectorILNS1_17partition_subalgoE8ElNS0_10empty_typeEbEEZZNS1_14partition_implILS5_8ELb0ES3_jPlPS6_PKS6_NS0_5tupleIJS9_S6_EEENSD_IJSA_SA_EEENS0_18inequality_wrapperIZN2at6native12_GLOBAL__N_124unique_dim_cuda_templateIhEESt5tupleIJNSH_6TensorESM_SM_EERKSM_lbbbEUlllE0_EEPmJS6_EEE10hipError_tPvRmT3_T4_T5_T6_T7_T9_mT8_P12ihipStream_tbDpT10_ENKUlT_T0_E_clISt17integral_constantIbLb1EES1C_EEDaS17_S18_EUlS17_E_NS1_11comp_targetILNS1_3genE0ELNS1_11target_archE4294967295ELNS1_3gpuE0ELNS1_3repE0EEENS1_30default_config_static_selectorELNS0_4arch9wavefront6targetE1EEEvT1_,"axG",@progbits,_ZN7rocprim17ROCPRIM_400000_NS6detail17trampoline_kernelINS0_14default_configENS1_25partition_config_selectorILNS1_17partition_subalgoE8ElNS0_10empty_typeEbEEZZNS1_14partition_implILS5_8ELb0ES3_jPlPS6_PKS6_NS0_5tupleIJS9_S6_EEENSD_IJSA_SA_EEENS0_18inequality_wrapperIZN2at6native12_GLOBAL__N_124unique_dim_cuda_templateIhEESt5tupleIJNSH_6TensorESM_SM_EERKSM_lbbbEUlllE0_EEPmJS6_EEE10hipError_tPvRmT3_T4_T5_T6_T7_T9_mT8_P12ihipStream_tbDpT10_ENKUlT_T0_E_clISt17integral_constantIbLb1EES1C_EEDaS17_S18_EUlS17_E_NS1_11comp_targetILNS1_3genE0ELNS1_11target_archE4294967295ELNS1_3gpuE0ELNS1_3repE0EEENS1_30default_config_static_selectorELNS0_4arch9wavefront6targetE1EEEvT1_,comdat
.Lfunc_end179:
	.size	_ZN7rocprim17ROCPRIM_400000_NS6detail17trampoline_kernelINS0_14default_configENS1_25partition_config_selectorILNS1_17partition_subalgoE8ElNS0_10empty_typeEbEEZZNS1_14partition_implILS5_8ELb0ES3_jPlPS6_PKS6_NS0_5tupleIJS9_S6_EEENSD_IJSA_SA_EEENS0_18inequality_wrapperIZN2at6native12_GLOBAL__N_124unique_dim_cuda_templateIhEESt5tupleIJNSH_6TensorESM_SM_EERKSM_lbbbEUlllE0_EEPmJS6_EEE10hipError_tPvRmT3_T4_T5_T6_T7_T9_mT8_P12ihipStream_tbDpT10_ENKUlT_T0_E_clISt17integral_constantIbLb1EES1C_EEDaS17_S18_EUlS17_E_NS1_11comp_targetILNS1_3genE0ELNS1_11target_archE4294967295ELNS1_3gpuE0ELNS1_3repE0EEENS1_30default_config_static_selectorELNS0_4arch9wavefront6targetE1EEEvT1_, .Lfunc_end179-_ZN7rocprim17ROCPRIM_400000_NS6detail17trampoline_kernelINS0_14default_configENS1_25partition_config_selectorILNS1_17partition_subalgoE8ElNS0_10empty_typeEbEEZZNS1_14partition_implILS5_8ELb0ES3_jPlPS6_PKS6_NS0_5tupleIJS9_S6_EEENSD_IJSA_SA_EEENS0_18inequality_wrapperIZN2at6native12_GLOBAL__N_124unique_dim_cuda_templateIhEESt5tupleIJNSH_6TensorESM_SM_EERKSM_lbbbEUlllE0_EEPmJS6_EEE10hipError_tPvRmT3_T4_T5_T6_T7_T9_mT8_P12ihipStream_tbDpT10_ENKUlT_T0_E_clISt17integral_constantIbLb1EES1C_EEDaS17_S18_EUlS17_E_NS1_11comp_targetILNS1_3genE0ELNS1_11target_archE4294967295ELNS1_3gpuE0ELNS1_3repE0EEENS1_30default_config_static_selectorELNS0_4arch9wavefront6targetE1EEEvT1_
                                        ; -- End function
	.section	.AMDGPU.csdata,"",@progbits
; Kernel info:
; codeLenInByte = 0
; NumSgprs: 6
; NumVgprs: 0
; NumAgprs: 0
; TotalNumVgprs: 0
; ScratchSize: 0
; MemoryBound: 0
; FloatMode: 240
; IeeeMode: 1
; LDSByteSize: 0 bytes/workgroup (compile time only)
; SGPRBlocks: 0
; VGPRBlocks: 0
; NumSGPRsForWavesPerEU: 6
; NumVGPRsForWavesPerEU: 1
; AccumOffset: 4
; Occupancy: 8
; WaveLimiterHint : 0
; COMPUTE_PGM_RSRC2:SCRATCH_EN: 0
; COMPUTE_PGM_RSRC2:USER_SGPR: 2
; COMPUTE_PGM_RSRC2:TRAP_HANDLER: 0
; COMPUTE_PGM_RSRC2:TGID_X_EN: 1
; COMPUTE_PGM_RSRC2:TGID_Y_EN: 0
; COMPUTE_PGM_RSRC2:TGID_Z_EN: 0
; COMPUTE_PGM_RSRC2:TIDIG_COMP_CNT: 0
; COMPUTE_PGM_RSRC3_GFX90A:ACCUM_OFFSET: 0
; COMPUTE_PGM_RSRC3_GFX90A:TG_SPLIT: 0
	.section	.text._ZN7rocprim17ROCPRIM_400000_NS6detail17trampoline_kernelINS0_14default_configENS1_25partition_config_selectorILNS1_17partition_subalgoE8ElNS0_10empty_typeEbEEZZNS1_14partition_implILS5_8ELb0ES3_jPlPS6_PKS6_NS0_5tupleIJS9_S6_EEENSD_IJSA_SA_EEENS0_18inequality_wrapperIZN2at6native12_GLOBAL__N_124unique_dim_cuda_templateIhEESt5tupleIJNSH_6TensorESM_SM_EERKSM_lbbbEUlllE0_EEPmJS6_EEE10hipError_tPvRmT3_T4_T5_T6_T7_T9_mT8_P12ihipStream_tbDpT10_ENKUlT_T0_E_clISt17integral_constantIbLb1EES1C_EEDaS17_S18_EUlS17_E_NS1_11comp_targetILNS1_3genE5ELNS1_11target_archE942ELNS1_3gpuE9ELNS1_3repE0EEENS1_30default_config_static_selectorELNS0_4arch9wavefront6targetE1EEEvT1_,"axG",@progbits,_ZN7rocprim17ROCPRIM_400000_NS6detail17trampoline_kernelINS0_14default_configENS1_25partition_config_selectorILNS1_17partition_subalgoE8ElNS0_10empty_typeEbEEZZNS1_14partition_implILS5_8ELb0ES3_jPlPS6_PKS6_NS0_5tupleIJS9_S6_EEENSD_IJSA_SA_EEENS0_18inequality_wrapperIZN2at6native12_GLOBAL__N_124unique_dim_cuda_templateIhEESt5tupleIJNSH_6TensorESM_SM_EERKSM_lbbbEUlllE0_EEPmJS6_EEE10hipError_tPvRmT3_T4_T5_T6_T7_T9_mT8_P12ihipStream_tbDpT10_ENKUlT_T0_E_clISt17integral_constantIbLb1EES1C_EEDaS17_S18_EUlS17_E_NS1_11comp_targetILNS1_3genE5ELNS1_11target_archE942ELNS1_3gpuE9ELNS1_3repE0EEENS1_30default_config_static_selectorELNS0_4arch9wavefront6targetE1EEEvT1_,comdat
	.globl	_ZN7rocprim17ROCPRIM_400000_NS6detail17trampoline_kernelINS0_14default_configENS1_25partition_config_selectorILNS1_17partition_subalgoE8ElNS0_10empty_typeEbEEZZNS1_14partition_implILS5_8ELb0ES3_jPlPS6_PKS6_NS0_5tupleIJS9_S6_EEENSD_IJSA_SA_EEENS0_18inequality_wrapperIZN2at6native12_GLOBAL__N_124unique_dim_cuda_templateIhEESt5tupleIJNSH_6TensorESM_SM_EERKSM_lbbbEUlllE0_EEPmJS6_EEE10hipError_tPvRmT3_T4_T5_T6_T7_T9_mT8_P12ihipStream_tbDpT10_ENKUlT_T0_E_clISt17integral_constantIbLb1EES1C_EEDaS17_S18_EUlS17_E_NS1_11comp_targetILNS1_3genE5ELNS1_11target_archE942ELNS1_3gpuE9ELNS1_3repE0EEENS1_30default_config_static_selectorELNS0_4arch9wavefront6targetE1EEEvT1_ ; -- Begin function _ZN7rocprim17ROCPRIM_400000_NS6detail17trampoline_kernelINS0_14default_configENS1_25partition_config_selectorILNS1_17partition_subalgoE8ElNS0_10empty_typeEbEEZZNS1_14partition_implILS5_8ELb0ES3_jPlPS6_PKS6_NS0_5tupleIJS9_S6_EEENSD_IJSA_SA_EEENS0_18inequality_wrapperIZN2at6native12_GLOBAL__N_124unique_dim_cuda_templateIhEESt5tupleIJNSH_6TensorESM_SM_EERKSM_lbbbEUlllE0_EEPmJS6_EEE10hipError_tPvRmT3_T4_T5_T6_T7_T9_mT8_P12ihipStream_tbDpT10_ENKUlT_T0_E_clISt17integral_constantIbLb1EES1C_EEDaS17_S18_EUlS17_E_NS1_11comp_targetILNS1_3genE5ELNS1_11target_archE942ELNS1_3gpuE9ELNS1_3repE0EEENS1_30default_config_static_selectorELNS0_4arch9wavefront6targetE1EEEvT1_
	.p2align	8
	.type	_ZN7rocprim17ROCPRIM_400000_NS6detail17trampoline_kernelINS0_14default_configENS1_25partition_config_selectorILNS1_17partition_subalgoE8ElNS0_10empty_typeEbEEZZNS1_14partition_implILS5_8ELb0ES3_jPlPS6_PKS6_NS0_5tupleIJS9_S6_EEENSD_IJSA_SA_EEENS0_18inequality_wrapperIZN2at6native12_GLOBAL__N_124unique_dim_cuda_templateIhEESt5tupleIJNSH_6TensorESM_SM_EERKSM_lbbbEUlllE0_EEPmJS6_EEE10hipError_tPvRmT3_T4_T5_T6_T7_T9_mT8_P12ihipStream_tbDpT10_ENKUlT_T0_E_clISt17integral_constantIbLb1EES1C_EEDaS17_S18_EUlS17_E_NS1_11comp_targetILNS1_3genE5ELNS1_11target_archE942ELNS1_3gpuE9ELNS1_3repE0EEENS1_30default_config_static_selectorELNS0_4arch9wavefront6targetE1EEEvT1_,@function
_ZN7rocprim17ROCPRIM_400000_NS6detail17trampoline_kernelINS0_14default_configENS1_25partition_config_selectorILNS1_17partition_subalgoE8ElNS0_10empty_typeEbEEZZNS1_14partition_implILS5_8ELb0ES3_jPlPS6_PKS6_NS0_5tupleIJS9_S6_EEENSD_IJSA_SA_EEENS0_18inequality_wrapperIZN2at6native12_GLOBAL__N_124unique_dim_cuda_templateIhEESt5tupleIJNSH_6TensorESM_SM_EERKSM_lbbbEUlllE0_EEPmJS6_EEE10hipError_tPvRmT3_T4_T5_T6_T7_T9_mT8_P12ihipStream_tbDpT10_ENKUlT_T0_E_clISt17integral_constantIbLb1EES1C_EEDaS17_S18_EUlS17_E_NS1_11comp_targetILNS1_3genE5ELNS1_11target_archE942ELNS1_3gpuE9ELNS1_3repE0EEENS1_30default_config_static_selectorELNS0_4arch9wavefront6targetE1EEEvT1_: ; @_ZN7rocprim17ROCPRIM_400000_NS6detail17trampoline_kernelINS0_14default_configENS1_25partition_config_selectorILNS1_17partition_subalgoE8ElNS0_10empty_typeEbEEZZNS1_14partition_implILS5_8ELb0ES3_jPlPS6_PKS6_NS0_5tupleIJS9_S6_EEENSD_IJSA_SA_EEENS0_18inequality_wrapperIZN2at6native12_GLOBAL__N_124unique_dim_cuda_templateIhEESt5tupleIJNSH_6TensorESM_SM_EERKSM_lbbbEUlllE0_EEPmJS6_EEE10hipError_tPvRmT3_T4_T5_T6_T7_T9_mT8_P12ihipStream_tbDpT10_ENKUlT_T0_E_clISt17integral_constantIbLb1EES1C_EEDaS17_S18_EUlS17_E_NS1_11comp_targetILNS1_3genE5ELNS1_11target_archE942ELNS1_3gpuE9ELNS1_3repE0EEENS1_30default_config_static_selectorELNS0_4arch9wavefront6targetE1EEEvT1_
; %bb.0:
	s_load_dwordx2 s[34:35], s[0:1], 0x28
	s_load_dwordx8 s[20:27], s[0:1], 0x40
	s_load_dwordx4 s[28:31], s[0:1], 0x60
	v_cmp_ne_u32_e64 s[2:3], 0, v0
	v_cmp_eq_u32_e64 s[18:19], 0, v0
	s_and_saveexec_b64 s[4:5], s[18:19]
	s_cbranch_execz .LBB180_4
; %bb.1:
	s_mov_b64 s[8:9], exec
	v_mbcnt_lo_u32_b32 v1, s8, 0
	v_mbcnt_hi_u32_b32 v1, s9, v1
	v_cmp_eq_u32_e32 vcc, 0, v1
                                        ; implicit-def: $vgpr2
	s_and_saveexec_b64 s[6:7], vcc
	s_cbranch_execz .LBB180_3
; %bb.2:
	s_load_dwordx2 s[10:11], s[0:1], 0x78
	s_bcnt1_i32_b64 s8, s[8:9]
	v_mov_b32_e32 v2, 0
	v_mov_b32_e32 v3, s8
	s_waitcnt lgkmcnt(0)
	global_atomic_add v2, v2, v3, s[10:11] sc0
.LBB180_3:
	s_or_b64 exec, exec, s[6:7]
	s_waitcnt vmcnt(0)
	v_readfirstlane_b32 s6, v2
	v_mov_b32_e32 v2, 0
	s_nop 0
	v_add_u32_e32 v1, s6, v1
	ds_write_b32 v2, v1
.LBB180_4:
	s_or_b64 exec, exec, s[4:5]
	v_mov_b32_e32 v3, 0
	s_load_dwordx4 s[4:7], s[0:1], 0x8
	s_load_dword s10, s[0:1], 0x70
	s_waitcnt lgkmcnt(0)
	s_barrier
	ds_read_b32 v1, v3
	s_waitcnt lgkmcnt(0)
	s_barrier
	global_load_dwordx2 v[4:5], v3, s[22:23]
	s_lshl_b64 s[0:1], s[6:7], 3
	s_mul_i32 s12, s10, 0xe00
	s_add_u32 s0, s4, s0
	s_addc_u32 s1, s5, s1
	s_add_i32 s4, s12, s6
	s_add_i32 s10, s10, -1
	s_sub_i32 s52, s24, s4
	s_add_u32 s4, s6, s12
	s_movk_i32 s11, 0xe00
	s_addc_u32 s5, s7, 0
	v_readfirstlane_b32 s33, v1
	v_mov_b32_e32 v6, s24
	v_mov_b32_e32 v7, s25
	v_mul_lo_u32 v2, v1, s11
	s_cmp_eq_u32 s33, s10
	v_cmp_ge_u64_e32 vcc, s[4:5], v[6:7]
	v_lshlrev_b64 v[6:7], 3, v[2:3]
	s_cselect_b64 s[24:25], -1, 0
	v_lshl_add_u64 v[18:19], s[0:1], 0, v[6:7]
	s_and_b64 s[0:1], vcc, s[24:25]
	s_xor_b64 s[36:37], s[0:1], -1
	s_mov_b64 s[8:9], -1
	s_and_b64 vcc, exec, s[36:37]
	s_waitcnt vmcnt(0)
	v_readfirstlane_b32 s22, v4
	v_readfirstlane_b32 s23, v5
	s_cbranch_vccz .LBB180_6
; %bb.5:
	v_lshlrev_b32_e32 v2, 3, v0
	v_lshl_add_u64 v[4:5], v[18:19], 0, v[2:3]
	v_add_co_u32_e32 v8, vcc, 0x1000, v4
	v_readfirstlane_b32 s4, v18
	s_nop 0
	v_addc_co_u32_e32 v9, vcc, 0, v5, vcc
	v_add_co_u32_e32 v10, vcc, 0x2000, v4
	v_readfirstlane_b32 s5, v19
	s_nop 0
	v_addc_co_u32_e32 v11, vcc, 0, v5, vcc
	v_add_co_u32_e32 v12, vcc, 0x3000, v4
	s_mov_b64 s[8:9], 0
	s_nop 0
	v_addc_co_u32_e32 v13, vcc, 0, v5, vcc
	v_add_co_u32_e32 v14, vcc, 0x4000, v4
	global_load_dwordx2 v[6:7], v2, s[4:5]
	s_nop 0
	v_addc_co_u32_e32 v15, vcc, 0, v5, vcc
	global_load_dwordx2 v[16:17], v[8:9], off
	global_load_dwordx2 v[20:21], v[10:11], off
	;; [unrolled: 1-line block ×4, first 2 shown]
	v_add_co_u32_e32 v8, vcc, 0x5000, v4
	s_nop 1
	v_addc_co_u32_e32 v9, vcc, 0, v5, vcc
	v_add_co_u32_e32 v4, vcc, 0x6000, v4
	global_load_dwordx2 v[8:9], v[8:9], off
	s_nop 0
	v_addc_co_u32_e32 v5, vcc, 0, v5, vcc
	global_load_dwordx2 v[4:5], v[4:5], off
	s_waitcnt vmcnt(5)
	ds_write2st64_b64 v2, v[6:7], v[16:17] offset1:8
	s_waitcnt vmcnt(3)
	ds_write2st64_b64 v2, v[20:21], v[22:23] offset0:16 offset1:24
	s_waitcnt vmcnt(1)
	ds_write2st64_b64 v2, v[24:25], v[8:9] offset0:32 offset1:40
	s_waitcnt vmcnt(0)
	ds_write_b64 v2, v[4:5] offset:24576
	s_waitcnt lgkmcnt(0)
	s_barrier
.LBB180_6:
	s_andn2_b64 vcc, exec, s[8:9]
	s_addk_i32 s52, 0xe00
	s_cbranch_vccnz .LBB180_22
; %bb.7:
	v_cmp_gt_u32_e32 vcc, s52, v0
                                        ; implicit-def: $vgpr2_vgpr3_vgpr4_vgpr5_vgpr6_vgpr7_vgpr8_vgpr9_vgpr10_vgpr11_vgpr12_vgpr13_vgpr14_vgpr15_vgpr16_vgpr17
	s_and_saveexec_b64 s[4:5], vcc
	s_cbranch_execz .LBB180_9
; %bb.8:
	v_lshlrev_b32_e32 v1, 3, v0
	v_readfirstlane_b32 s8, v18
	v_readfirstlane_b32 s9, v19
	s_nop 4
	global_load_dwordx2 v[2:3], v1, s[8:9]
.LBB180_9:
	s_or_b64 exec, exec, s[4:5]
	v_or_b32_e32 v1, 0x200, v0
	v_cmp_gt_u32_e32 vcc, s52, v1
	s_and_saveexec_b64 s[4:5], vcc
	s_cbranch_execz .LBB180_11
; %bb.10:
	v_lshlrev_b32_e32 v1, 3, v1
	v_readfirstlane_b32 s8, v18
	v_readfirstlane_b32 s9, v19
	s_nop 4
	global_load_dwordx2 v[4:5], v1, s[8:9]
.LBB180_11:
	s_or_b64 exec, exec, s[4:5]
	v_or_b32_e32 v1, 0x400, v0
	v_cmp_gt_u32_e32 vcc, s52, v1
	;; [unrolled: 12-line block ×6, first 2 shown]
	s_and_saveexec_b64 s[4:5], vcc
	s_cbranch_execz .LBB180_21
; %bb.20:
	v_lshlrev_b32_e32 v1, 3, v1
	v_readfirstlane_b32 s8, v18
	v_readfirstlane_b32 s9, v19
	s_nop 4
	global_load_dwordx2 v[14:15], v1, s[8:9]
.LBB180_21:
	s_or_b64 exec, exec, s[4:5]
	v_lshlrev_b32_e32 v1, 3, v0
	s_waitcnt vmcnt(0)
	ds_write2st64_b64 v1, v[2:3], v[4:5] offset1:8
	ds_write2st64_b64 v1, v[6:7], v[8:9] offset0:16 offset1:24
	ds_write2st64_b64 v1, v[10:11], v[12:13] offset0:32 offset1:40
	ds_write_b64 v1, v[14:15] offset:24576
	s_waitcnt lgkmcnt(0)
	s_barrier
.LBB180_22:
	v_mul_u32_u24_e32 v1, 7, v0
	v_lshlrev_b32_e32 v30, 3, v1
	ds_read2_b64 v[10:13], v30 offset1:1
	ds_read2_b64 v[6:9], v30 offset0:2 offset1:3
	ds_read2_b64 v[2:5], v30 offset0:4 offset1:5
	ds_read_b64 v[14:15], v30 offset:48
	s_cmp_lg_u32 s33, 0
	s_cselect_b64 s[16:17], -1, 0
	s_cmp_lg_u64 s[6:7], 0
	s_cselect_b64 s[4:5], -1, 0
	s_or_b64 s[4:5], s[4:5], s[16:17]
	v_mad_u32_u24 v25, v0, 7, 1
	v_mad_u32_u24 v24, v0, 7, 2
	;; [unrolled: 1-line block ×6, first 2 shown]
	s_mov_b64 s[8:9], 0
	s_and_b64 vcc, exec, s[4:5]
	v_cmp_gt_i64_e64 s[4:5], s[26:27], 0
	s_waitcnt lgkmcnt(0)
	s_barrier
	s_cbranch_vccz .LBB180_31
; %bb.23:
	global_load_dwordx2 v[16:17], v[18:19], off offset:-8
	v_cndmask_b32_e64 v18, 0, 1, s[4:5]
	v_lshlrev_b32_e32 v31, 3, v0
	s_mov_b64 s[6:7], 0
	s_and_b64 vcc, exec, s[36:37]
	v_cmp_ne_u32_e64 s[4:5], 1, v18
	ds_write_b64 v31, v[14:15]
	s_cbranch_vccz .LBB180_33
; %bb.24:
	v_mul_lo_u32 v20, v5, s26
	v_mul_lo_u32 v21, v4, s27
	v_mad_u64_u32 v[18:19], s[8:9], v4, s26, 0
	v_add3_u32 v19, v19, v21, v20
	s_and_b64 vcc, exec, s[4:5]
	v_lshl_add_u64 v[18:19], s[28:29], 0, v[18:19]
	s_cbranch_vccnz .LBB180_36
; %bb.25:
	v_mov_b64_e32 v[20:21], s[28:29]
	v_mad_u64_u32 v[20:21], s[6:7], v14, s26, v[20:21]
	v_mul_lo_u32 v22, v14, s27
	v_mul_lo_u32 v23, v15, s26
	v_add3_u32 v21, v23, v21, v22
	global_load_ubyte v22, v[18:19], off
	global_load_ubyte v23, v[20:21], off
	s_mov_b64 s[6:7], -1
	s_waitcnt vmcnt(0)
	v_cmp_eq_u16_e32 vcc, v22, v23
	s_and_saveexec_b64 s[8:9], vcc
	s_cbranch_execz .LBB180_35
; %bb.26:
	s_mov_b64 s[12:13], 1
	s_mov_b64 s[6:7], 0
                                        ; implicit-def: $sgpr10_sgpr11
	s_branch .LBB180_29
.LBB180_27:                             ;   in Loop: Header=BB180_29 Depth=1
	v_lshl_add_u64 v[22:23], v[18:19], 0, s[12:13]
	v_lshl_add_u64 v[32:33], v[20:21], 0, s[12:13]
	global_load_ubyte v34, v[22:23], off
	global_load_ubyte v35, v[32:33], off
	s_add_u32 s14, s12, 1
	s_addc_u32 s15, s13, 0
	s_andn2_b64 s[10:11], s[10:11], exec
	s_waitcnt vmcnt(0)
	v_cmp_ne_u16_e32 vcc, v34, v35
	s_and_b64 s[38:39], vcc, exec
	s_or_b64 s[10:11], s[10:11], s[38:39]
.LBB180_28:                             ;   in Loop: Header=BB180_29 Depth=1
	s_and_b64 s[38:39], exec, s[10:11]
	s_or_b64 s[6:7], s[38:39], s[6:7]
	v_mov_b64_e32 v[22:23], s[12:13]
	s_mov_b64 s[12:13], s[14:15]
	s_andn2_b64 exec, exec, s[6:7]
	s_cbranch_execz .LBB180_34
.LBB180_29:                             ; =>This Inner Loop Header: Depth=1
	s_or_b64 s[10:11], s[10:11], exec
	s_cmp_eq_u64 s[26:27], s[12:13]
	s_cbranch_scc0 .LBB180_27
; %bb.30:                               ;   in Loop: Header=BB180_29 Depth=1
                                        ; implicit-def: $sgpr14_sgpr15
	s_mov_b64 s[12:13], s[26:27]
	s_branch .LBB180_28
.LBB180_31:
                                        ; implicit-def: $sgpr12_sgpr13
                                        ; implicit-def: $vgpr34
                                        ; implicit-def: $vgpr33
                                        ; implicit-def: $vgpr32
                                        ; implicit-def: $vgpr20
	s_branch .LBB180_174
.LBB180_32:
                                        ; implicit-def: $vgpr16_vgpr17
	s_branch .LBB180_322
.LBB180_33:
                                        ; implicit-def: $sgpr12_sgpr13
                                        ; implicit-def: $vgpr34
                                        ; implicit-def: $vgpr33
                                        ; implicit-def: $vgpr32
                                        ; implicit-def: $vgpr20
	s_cbranch_execnz .LBB180_93
	s_branch .LBB180_173
.LBB180_34:
	s_or_b64 exec, exec, s[6:7]
	v_cmp_gt_i64_e32 vcc, s[26:27], v[22:23]
	s_orn2_b64 s[6:7], vcc, exec
.LBB180_35:
	s_or_b64 exec, exec, s[8:9]
.LBB180_36:
	v_mul_lo_u32 v22, v3, s26
	v_mul_lo_u32 v23, v2, s27
	v_mad_u64_u32 v[20:21], s[8:9], v2, s26, 0
	v_add3_u32 v21, v21, v23, v22
	s_mov_b64 s[8:9], 0
	s_and_b64 vcc, exec, s[4:5]
	v_lshl_add_u64 v[20:21], s[28:29], 0, v[20:21]
	s_mov_b64 s[10:11], 0
	s_cbranch_vccnz .LBB180_45
; %bb.37:
	global_load_ubyte v22, v[20:21], off
	global_load_ubyte v23, v[18:19], off
	s_mov_b64 s[10:11], -1
	s_waitcnt vmcnt(0)
	v_cmp_eq_u16_e32 vcc, v22, v23
	s_and_saveexec_b64 s[12:13], vcc
	s_cbranch_execz .LBB180_44
; %bb.38:
	s_mov_b64 s[38:39], 1
	s_mov_b64 s[10:11], 0
                                        ; implicit-def: $sgpr14_sgpr15
	s_branch .LBB180_41
.LBB180_39:                             ;   in Loop: Header=BB180_41 Depth=1
	v_lshl_add_u64 v[22:23], v[20:21], 0, s[38:39]
	v_lshl_add_u64 v[32:33], v[18:19], 0, s[38:39]
	global_load_ubyte v34, v[22:23], off
	global_load_ubyte v35, v[32:33], off
	s_add_u32 s40, s38, 1
	s_addc_u32 s41, s39, 0
	s_andn2_b64 s[14:15], s[14:15], exec
	s_waitcnt vmcnt(0)
	v_cmp_ne_u16_e32 vcc, v34, v35
	s_and_b64 s[42:43], vcc, exec
	s_or_b64 s[14:15], s[14:15], s[42:43]
.LBB180_40:                             ;   in Loop: Header=BB180_41 Depth=1
	s_and_b64 s[42:43], exec, s[14:15]
	s_or_b64 s[10:11], s[42:43], s[10:11]
	v_mov_b64_e32 v[22:23], s[38:39]
	s_mov_b64 s[38:39], s[40:41]
	s_andn2_b64 exec, exec, s[10:11]
	s_cbranch_execz .LBB180_43
.LBB180_41:                             ; =>This Inner Loop Header: Depth=1
	s_or_b64 s[14:15], s[14:15], exec
	s_cmp_eq_u64 s[26:27], s[38:39]
	s_cbranch_scc0 .LBB180_39
; %bb.42:                               ;   in Loop: Header=BB180_41 Depth=1
                                        ; implicit-def: $sgpr40_sgpr41
	s_mov_b64 s[38:39], s[26:27]
	s_branch .LBB180_40
.LBB180_43:
	s_or_b64 exec, exec, s[10:11]
	v_cmp_gt_i64_e32 vcc, s[26:27], v[22:23]
	s_orn2_b64 s[10:11], vcc, exec
.LBB180_44:
	s_or_b64 exec, exec, s[12:13]
.LBB180_45:
	v_mul_lo_u32 v22, v9, s26
	v_mul_lo_u32 v23, v8, s27
	v_mad_u64_u32 v[18:19], s[12:13], v8, s26, 0
	v_add3_u32 v19, v19, v23, v22
	s_and_b64 vcc, exec, s[4:5]
	v_lshl_add_u64 v[18:19], s[28:29], 0, v[18:19]
	s_cbranch_vccnz .LBB180_54
; %bb.46:
	global_load_ubyte v22, v[18:19], off
	global_load_ubyte v23, v[20:21], off
	s_mov_b64 s[8:9], -1
	s_waitcnt vmcnt(0)
	v_cmp_eq_u16_e32 vcc, v22, v23
	s_and_saveexec_b64 s[12:13], vcc
	s_cbranch_execz .LBB180_53
; %bb.47:
	s_mov_b64 s[38:39], 1
	s_mov_b64 s[8:9], 0
                                        ; implicit-def: $sgpr14_sgpr15
	s_branch .LBB180_50
.LBB180_48:                             ;   in Loop: Header=BB180_50 Depth=1
	v_lshl_add_u64 v[22:23], v[18:19], 0, s[38:39]
	v_lshl_add_u64 v[32:33], v[20:21], 0, s[38:39]
	global_load_ubyte v34, v[22:23], off
	global_load_ubyte v35, v[32:33], off
	s_add_u32 s40, s38, 1
	s_addc_u32 s41, s39, 0
	s_andn2_b64 s[14:15], s[14:15], exec
	s_waitcnt vmcnt(0)
	v_cmp_ne_u16_e32 vcc, v34, v35
	s_and_b64 s[42:43], vcc, exec
	s_or_b64 s[14:15], s[14:15], s[42:43]
.LBB180_49:                             ;   in Loop: Header=BB180_50 Depth=1
	s_and_b64 s[42:43], exec, s[14:15]
	s_or_b64 s[8:9], s[42:43], s[8:9]
	v_mov_b64_e32 v[22:23], s[38:39]
	s_mov_b64 s[38:39], s[40:41]
	s_andn2_b64 exec, exec, s[8:9]
	s_cbranch_execz .LBB180_52
.LBB180_50:                             ; =>This Inner Loop Header: Depth=1
	s_or_b64 s[14:15], s[14:15], exec
	s_cmp_eq_u64 s[26:27], s[38:39]
	s_cbranch_scc0 .LBB180_48
; %bb.51:                               ;   in Loop: Header=BB180_50 Depth=1
                                        ; implicit-def: $sgpr40_sgpr41
	s_mov_b64 s[38:39], s[26:27]
	s_branch .LBB180_49
.LBB180_52:
	s_or_b64 exec, exec, s[8:9]
	v_cmp_gt_i64_e32 vcc, s[26:27], v[22:23]
	s_orn2_b64 s[8:9], vcc, exec
.LBB180_53:
	s_or_b64 exec, exec, s[12:13]
.LBB180_54:
	v_mul_lo_u32 v22, v7, s26
	v_mul_lo_u32 v23, v6, s27
	v_mad_u64_u32 v[20:21], s[12:13], v6, s26, 0
	v_add3_u32 v21, v21, v23, v22
	s_mov_b64 s[12:13], 0
	s_and_b64 vcc, exec, s[4:5]
	v_lshl_add_u64 v[22:23], s[28:29], 0, v[20:21]
	s_mov_b64 s[14:15], 0
	s_cbranch_vccnz .LBB180_63
; %bb.55:
	global_load_ubyte v20, v[22:23], off
	global_load_ubyte v21, v[18:19], off
	s_mov_b64 s[14:15], -1
	s_waitcnt vmcnt(0)
	v_cmp_eq_u16_e32 vcc, v20, v21
	s_and_saveexec_b64 s[38:39], vcc
	s_cbranch_execz .LBB180_62
; %bb.56:
	s_mov_b64 s[42:43], 1
	s_mov_b64 s[14:15], 0
                                        ; implicit-def: $sgpr40_sgpr41
	s_branch .LBB180_59
.LBB180_57:                             ;   in Loop: Header=BB180_59 Depth=1
	v_lshl_add_u64 v[20:21], v[22:23], 0, s[42:43]
	v_lshl_add_u64 v[32:33], v[18:19], 0, s[42:43]
	global_load_ubyte v34, v[20:21], off
	global_load_ubyte v35, v[32:33], off
	s_add_u32 s44, s42, 1
	s_addc_u32 s45, s43, 0
	s_andn2_b64 s[40:41], s[40:41], exec
	s_waitcnt vmcnt(0)
	v_cmp_ne_u16_e32 vcc, v34, v35
	s_and_b64 s[46:47], vcc, exec
	s_or_b64 s[40:41], s[40:41], s[46:47]
.LBB180_58:                             ;   in Loop: Header=BB180_59 Depth=1
	s_and_b64 s[46:47], exec, s[40:41]
	s_or_b64 s[14:15], s[46:47], s[14:15]
	v_mov_b64_e32 v[20:21], s[42:43]
	s_mov_b64 s[42:43], s[44:45]
	s_andn2_b64 exec, exec, s[14:15]
	s_cbranch_execz .LBB180_61
.LBB180_59:                             ; =>This Inner Loop Header: Depth=1
	s_or_b64 s[40:41], s[40:41], exec
	s_cmp_eq_u64 s[26:27], s[42:43]
	s_cbranch_scc0 .LBB180_57
; %bb.60:                               ;   in Loop: Header=BB180_59 Depth=1
                                        ; implicit-def: $sgpr44_sgpr45
	s_mov_b64 s[42:43], s[26:27]
	s_branch .LBB180_58
.LBB180_61:
	s_or_b64 exec, exec, s[14:15]
	v_cmp_gt_i64_e32 vcc, s[26:27], v[20:21]
	s_orn2_b64 s[14:15], vcc, exec
.LBB180_62:
	s_or_b64 exec, exec, s[38:39]
.LBB180_63:
	v_mul_lo_u32 v20, v13, s26
	v_mul_lo_u32 v21, v12, s27
	v_mad_u64_u32 v[18:19], s[38:39], v12, s26, 0
	v_add3_u32 v19, v19, v21, v20
	s_and_b64 vcc, exec, s[4:5]
	v_lshl_add_u64 v[20:21], s[28:29], 0, v[18:19]
	s_cbranch_vccnz .LBB180_72
; %bb.64:
	global_load_ubyte v18, v[20:21], off
	global_load_ubyte v19, v[22:23], off
	s_mov_b64 s[12:13], -1
	s_waitcnt vmcnt(0)
	v_cmp_eq_u16_e32 vcc, v18, v19
	s_and_saveexec_b64 s[38:39], vcc
	s_cbranch_execz .LBB180_71
; %bb.65:
	s_mov_b64 s[42:43], 1
	s_mov_b64 s[12:13], 0
                                        ; implicit-def: $sgpr40_sgpr41
	s_branch .LBB180_68
.LBB180_66:                             ;   in Loop: Header=BB180_68 Depth=1
	v_lshl_add_u64 v[18:19], v[20:21], 0, s[42:43]
	v_lshl_add_u64 v[32:33], v[22:23], 0, s[42:43]
	global_load_ubyte v34, v[18:19], off
	global_load_ubyte v35, v[32:33], off
	s_add_u32 s44, s42, 1
	s_addc_u32 s45, s43, 0
	s_andn2_b64 s[40:41], s[40:41], exec
	s_waitcnt vmcnt(0)
	v_cmp_ne_u16_e32 vcc, v34, v35
	s_and_b64 s[46:47], vcc, exec
	s_or_b64 s[40:41], s[40:41], s[46:47]
.LBB180_67:                             ;   in Loop: Header=BB180_68 Depth=1
	s_and_b64 s[46:47], exec, s[40:41]
	s_or_b64 s[12:13], s[46:47], s[12:13]
	v_mov_b64_e32 v[18:19], s[42:43]
	s_mov_b64 s[42:43], s[44:45]
	s_andn2_b64 exec, exec, s[12:13]
	s_cbranch_execz .LBB180_70
.LBB180_68:                             ; =>This Inner Loop Header: Depth=1
	s_or_b64 s[40:41], s[40:41], exec
	s_cmp_eq_u64 s[26:27], s[42:43]
	s_cbranch_scc0 .LBB180_66
; %bb.69:                               ;   in Loop: Header=BB180_68 Depth=1
                                        ; implicit-def: $sgpr44_sgpr45
	s_mov_b64 s[42:43], s[26:27]
	s_branch .LBB180_67
.LBB180_70:
	s_or_b64 exec, exec, s[12:13]
	v_cmp_gt_i64_e32 vcc, s[26:27], v[18:19]
	s_orn2_b64 s[12:13], vcc, exec
.LBB180_71:
	s_or_b64 exec, exec, s[38:39]
.LBB180_72:
	v_mul_lo_u32 v22, v11, s26
	v_mul_lo_u32 v23, v10, s27
	v_mad_u64_u32 v[18:19], s[38:39], v10, s26, 0
	v_add3_u32 v19, v19, v23, v22
	s_mov_b64 s[40:41], 0
	s_and_b64 vcc, exec, s[4:5]
	v_lshl_add_u64 v[18:19], s[28:29], 0, v[18:19]
	s_cbranch_vccnz .LBB180_81
; %bb.73:
	global_load_ubyte v22, v[18:19], off
	global_load_ubyte v23, v[20:21], off
	s_mov_b64 s[40:41], -1
	s_waitcnt vmcnt(0)
	v_cmp_eq_u16_e32 vcc, v22, v23
	s_and_saveexec_b64 s[38:39], vcc
	s_cbranch_execz .LBB180_80
; %bb.74:
	s_mov_b64 s[44:45], 1
	s_mov_b64 s[40:41], 0
                                        ; implicit-def: $sgpr42_sgpr43
	s_branch .LBB180_77
.LBB180_75:                             ;   in Loop: Header=BB180_77 Depth=1
	v_lshl_add_u64 v[22:23], v[18:19], 0, s[44:45]
	v_lshl_add_u64 v[32:33], v[20:21], 0, s[44:45]
	global_load_ubyte v34, v[22:23], off
	global_load_ubyte v35, v[32:33], off
	s_add_u32 s46, s44, 1
	s_addc_u32 s47, s45, 0
	s_andn2_b64 s[42:43], s[42:43], exec
	s_waitcnt vmcnt(0)
	v_cmp_ne_u16_e32 vcc, v34, v35
	s_and_b64 s[48:49], vcc, exec
	s_or_b64 s[42:43], s[42:43], s[48:49]
.LBB180_76:                             ;   in Loop: Header=BB180_77 Depth=1
	s_and_b64 s[48:49], exec, s[42:43]
	s_or_b64 s[40:41], s[48:49], s[40:41]
	v_mov_b64_e32 v[22:23], s[44:45]
	s_mov_b64 s[44:45], s[46:47]
	s_andn2_b64 exec, exec, s[40:41]
	s_cbranch_execz .LBB180_79
.LBB180_77:                             ; =>This Inner Loop Header: Depth=1
	s_or_b64 s[42:43], s[42:43], exec
	s_cmp_eq_u64 s[26:27], s[44:45]
	s_cbranch_scc0 .LBB180_75
; %bb.78:                               ;   in Loop: Header=BB180_77 Depth=1
                                        ; implicit-def: $sgpr46_sgpr47
	s_mov_b64 s[44:45], s[26:27]
	s_branch .LBB180_76
.LBB180_79:
	s_or_b64 exec, exec, s[40:41]
	v_cmp_gt_i64_e32 vcc, s[26:27], v[22:23]
	s_orn2_b64 s[40:41], vcc, exec
.LBB180_80:
	s_or_b64 exec, exec, s[38:39]
.LBB180_81:
	s_waitcnt vmcnt(0)
	v_mov_b64_e32 v[22:23], v[16:17]
	s_waitcnt lgkmcnt(0)
	s_barrier
	s_and_saveexec_b64 s[38:39], s[2:3]
	s_cbranch_execz .LBB180_83
; %bb.82:
	v_add_u32_e32 v20, -8, v31
	ds_read_b64 v[22:23], v20
.LBB180_83:
	s_or_b64 exec, exec, s[38:39]
	v_cndmask_b32_e64 v21, 0, 1, s[14:15]
	v_cndmask_b32_e64 v20, 0, 1, s[12:13]
	;; [unrolled: 1-line block ×3, first 2 shown]
	v_lshlrev_b16_e32 v21, 8, v21
	v_lshlrev_b16_e32 v35, 8, v32
	v_or_b32_sdwa v36, v20, v21 dst_sel:WORD_1 dst_unused:UNUSED_PAD src0_sel:DWORD src1_sel:DWORD
	s_mov_b64 s[14:15], 0
	s_and_b64 vcc, exec, s[4:5]
	s_mov_b64 s[12:13], 0
	s_cbranch_vccnz .LBB180_92
; %bb.84:
	v_mov_b64_e32 v[20:21], s[28:29]
	s_waitcnt lgkmcnt(0)
	v_mad_u64_u32 v[20:21], s[12:13], v22, s26, v[20:21]
	v_mul_lo_u32 v22, v22, s27
	v_mul_lo_u32 v23, v23, s26
	v_add3_u32 v21, v23, v21, v22
	global_load_ubyte v22, v[20:21], off
	global_load_ubyte v23, v[18:19], off
	s_mov_b64 s[12:13], -1
	s_waitcnt vmcnt(0)
	v_cmp_eq_u16_e32 vcc, v22, v23
	s_and_saveexec_b64 s[38:39], vcc
	s_cbranch_execz .LBB180_91
; %bb.85:
	s_mov_b64 s[42:43], 1
	s_mov_b64 s[12:13], 0
                                        ; implicit-def: $sgpr40_sgpr41
	s_branch .LBB180_88
.LBB180_86:                             ;   in Loop: Header=BB180_88 Depth=1
	v_lshl_add_u64 v[22:23], v[20:21], 0, s[42:43]
	v_lshl_add_u64 v[32:33], v[18:19], 0, s[42:43]
	global_load_ubyte v34, v[22:23], off
	global_load_ubyte v37, v[32:33], off
	s_add_u32 s44, s42, 1
	s_addc_u32 s45, s43, 0
	s_andn2_b64 s[40:41], s[40:41], exec
	s_waitcnt vmcnt(0)
	v_cmp_ne_u16_e32 vcc, v34, v37
	s_and_b64 s[46:47], vcc, exec
	s_or_b64 s[40:41], s[40:41], s[46:47]
.LBB180_87:                             ;   in Loop: Header=BB180_88 Depth=1
	s_and_b64 s[46:47], exec, s[40:41]
	s_or_b64 s[12:13], s[46:47], s[12:13]
	v_mov_b64_e32 v[22:23], s[42:43]
	s_mov_b64 s[42:43], s[44:45]
	s_andn2_b64 exec, exec, s[12:13]
	s_cbranch_execz .LBB180_90
.LBB180_88:                             ; =>This Inner Loop Header: Depth=1
	s_or_b64 s[40:41], s[40:41], exec
	s_cmp_eq_u64 s[26:27], s[42:43]
	s_cbranch_scc0 .LBB180_86
; %bb.89:                               ;   in Loop: Header=BB180_88 Depth=1
                                        ; implicit-def: $sgpr44_sgpr45
	s_mov_b64 s[42:43], s[26:27]
	s_branch .LBB180_87
.LBB180_90:
	s_or_b64 exec, exec, s[12:13]
	v_cmp_gt_i64_e32 vcc, s[26:27], v[22:23]
	s_orn2_b64 s[12:13], vcc, exec
.LBB180_91:
	s_or_b64 exec, exec, s[38:39]
.LBB180_92:
	v_cndmask_b32_e64 v32, 0, 1, s[8:9]
	v_cndmask_b32_e64 v33, 0, 1, s[10:11]
	;; [unrolled: 1-line block ×3, first 2 shown]
	v_or_b32_e32 v20, v35, v36
	s_and_b64 vcc, exec, s[14:15]
	s_cbranch_vccz .LBB180_173
.LBB180_93:
	v_cmp_gt_u32_e32 vcc, s52, v27
	s_mov_b64 s[8:9], 0
	s_mov_b64 s[6:7], 0
	s_and_saveexec_b64 s[10:11], vcc
	s_cbranch_execz .LBB180_104
; %bb.94:
	s_and_b64 vcc, exec, s[4:5]
	s_mov_b64 s[12:13], 0
	s_cbranch_vccnz .LBB180_103
; %bb.95:
	v_mov_b64_e32 v[20:21], s[28:29]
	v_mad_u64_u32 v[18:19], s[6:7], v4, s26, v[20:21]
	s_waitcnt lgkmcnt(0)
	v_mul_lo_u32 v22, v4, s27
	v_mul_lo_u32 v23, v5, s26
	v_add3_u32 v19, v23, v19, v22
	v_mad_u64_u32 v[20:21], s[6:7], v14, s26, v[20:21]
	v_mul_lo_u32 v22, v14, s27
	v_mul_lo_u32 v23, v15, s26
	v_add3_u32 v21, v23, v21, v22
	global_load_ubyte v22, v[18:19], off
	global_load_ubyte v23, v[20:21], off
	s_mov_b64 s[12:13], -1
	s_waitcnt vmcnt(0)
	v_cmp_eq_u16_e32 vcc, v22, v23
	s_and_saveexec_b64 s[6:7], vcc
	s_cbranch_execz .LBB180_102
; %bb.96:
	s_mov_b64 s[38:39], 1
	s_mov_b64 s[12:13], 0
                                        ; implicit-def: $sgpr14_sgpr15
	s_branch .LBB180_99
.LBB180_97:                             ;   in Loop: Header=BB180_99 Depth=1
	v_lshl_add_u64 v[22:23], v[18:19], 0, s[38:39]
	v_lshl_add_u64 v[32:33], v[20:21], 0, s[38:39]
	global_load_ubyte v34, v[22:23], off
	global_load_ubyte v35, v[32:33], off
	s_add_u32 s40, s38, 1
	s_addc_u32 s41, s39, 0
	s_andn2_b64 s[14:15], s[14:15], exec
	s_waitcnt vmcnt(0)
	v_cmp_ne_u16_e32 vcc, v34, v35
	s_and_b64 s[42:43], vcc, exec
	s_or_b64 s[14:15], s[14:15], s[42:43]
.LBB180_98:                             ;   in Loop: Header=BB180_99 Depth=1
	s_and_b64 s[42:43], exec, s[14:15]
	s_or_b64 s[12:13], s[42:43], s[12:13]
	v_mov_b64_e32 v[22:23], s[38:39]
	s_mov_b64 s[38:39], s[40:41]
	s_andn2_b64 exec, exec, s[12:13]
	s_cbranch_execz .LBB180_101
.LBB180_99:                             ; =>This Inner Loop Header: Depth=1
	s_or_b64 s[14:15], s[14:15], exec
	s_cmp_eq_u64 s[26:27], s[38:39]
	s_cbranch_scc0 .LBB180_97
; %bb.100:                              ;   in Loop: Header=BB180_99 Depth=1
                                        ; implicit-def: $sgpr40_sgpr41
	s_mov_b64 s[38:39], s[26:27]
	s_branch .LBB180_98
.LBB180_101:
	s_or_b64 exec, exec, s[12:13]
	v_cmp_gt_i64_e32 vcc, s[26:27], v[22:23]
	s_orn2_b64 s[12:13], vcc, exec
.LBB180_102:
	s_or_b64 exec, exec, s[6:7]
.LBB180_103:
	s_and_b64 s[6:7], s[12:13], exec
.LBB180_104:
	s_or_b64 exec, exec, s[10:11]
	v_cmp_gt_u32_e32 vcc, s52, v29
	s_and_saveexec_b64 s[10:11], vcc
	s_cbranch_execz .LBB180_115
; %bb.105:
	s_and_b64 vcc, exec, s[4:5]
	s_mov_b64 s[12:13], 0
	s_cbranch_vccnz .LBB180_114
; %bb.106:
	v_mov_b64_e32 v[20:21], s[28:29]
	v_mad_u64_u32 v[18:19], s[8:9], v2, s26, v[20:21]
	s_waitcnt lgkmcnt(0)
	v_mul_lo_u32 v22, v2, s27
	v_mul_lo_u32 v23, v3, s26
	v_add3_u32 v19, v23, v19, v22
	v_mad_u64_u32 v[20:21], s[8:9], v4, s26, v[20:21]
	v_mul_lo_u32 v22, v4, s27
	v_mul_lo_u32 v23, v5, s26
	v_add3_u32 v21, v23, v21, v22
	global_load_ubyte v22, v[18:19], off
	global_load_ubyte v23, v[20:21], off
	s_mov_b64 s[12:13], -1
	s_waitcnt vmcnt(0)
	v_cmp_eq_u16_e32 vcc, v22, v23
	s_and_saveexec_b64 s[8:9], vcc
	s_cbranch_execz .LBB180_113
; %bb.107:
	s_mov_b64 s[38:39], 1
	s_mov_b64 s[12:13], 0
                                        ; implicit-def: $sgpr14_sgpr15
	s_branch .LBB180_110
.LBB180_108:                            ;   in Loop: Header=BB180_110 Depth=1
	v_lshl_add_u64 v[22:23], v[18:19], 0, s[38:39]
	v_lshl_add_u64 v[32:33], v[20:21], 0, s[38:39]
	global_load_ubyte v34, v[22:23], off
	global_load_ubyte v35, v[32:33], off
	s_add_u32 s40, s38, 1
	s_addc_u32 s41, s39, 0
	s_andn2_b64 s[14:15], s[14:15], exec
	s_waitcnt vmcnt(0)
	v_cmp_ne_u16_e32 vcc, v34, v35
	s_and_b64 s[42:43], vcc, exec
	s_or_b64 s[14:15], s[14:15], s[42:43]
.LBB180_109:                            ;   in Loop: Header=BB180_110 Depth=1
	s_and_b64 s[42:43], exec, s[14:15]
	s_or_b64 s[12:13], s[42:43], s[12:13]
	v_mov_b64_e32 v[22:23], s[38:39]
	s_mov_b64 s[38:39], s[40:41]
	s_andn2_b64 exec, exec, s[12:13]
	s_cbranch_execz .LBB180_112
.LBB180_110:                            ; =>This Inner Loop Header: Depth=1
	s_or_b64 s[14:15], s[14:15], exec
	s_cmp_eq_u64 s[26:27], s[38:39]
	s_cbranch_scc0 .LBB180_108
; %bb.111:                              ;   in Loop: Header=BB180_110 Depth=1
                                        ; implicit-def: $sgpr40_sgpr41
	s_mov_b64 s[38:39], s[26:27]
	s_branch .LBB180_109
.LBB180_112:
	s_or_b64 exec, exec, s[12:13]
	v_cmp_gt_i64_e32 vcc, s[26:27], v[22:23]
	s_orn2_b64 s[12:13], vcc, exec
.LBB180_113:
	s_or_b64 exec, exec, s[8:9]
.LBB180_114:
	s_and_b64 s[8:9], s[12:13], exec
.LBB180_115:
	s_or_b64 exec, exec, s[10:11]
	v_cmp_gt_u32_e32 vcc, s52, v26
	s_mov_b64 s[12:13], 0
	s_mov_b64 s[10:11], 0
	s_and_saveexec_b64 s[14:15], vcc
	s_cbranch_execz .LBB180_126
; %bb.116:
	s_and_b64 vcc, exec, s[4:5]
	s_mov_b64 s[38:39], 0
	s_cbranch_vccnz .LBB180_125
; %bb.117:
	v_mov_b64_e32 v[20:21], s[28:29]
	v_mad_u64_u32 v[18:19], s[10:11], v8, s26, v[20:21]
	s_waitcnt lgkmcnt(0)
	v_mul_lo_u32 v22, v8, s27
	v_mul_lo_u32 v23, v9, s26
	v_add3_u32 v19, v23, v19, v22
	v_mad_u64_u32 v[20:21], s[10:11], v2, s26, v[20:21]
	v_mul_lo_u32 v22, v2, s27
	v_mul_lo_u32 v23, v3, s26
	v_add3_u32 v21, v23, v21, v22
	global_load_ubyte v22, v[18:19], off
	global_load_ubyte v23, v[20:21], off
	s_mov_b64 s[38:39], -1
	s_waitcnt vmcnt(0)
	v_cmp_eq_u16_e32 vcc, v22, v23
	s_and_saveexec_b64 s[10:11], vcc
	s_cbranch_execz .LBB180_124
; %bb.118:
	s_mov_b64 s[42:43], 1
	s_mov_b64 s[38:39], 0
                                        ; implicit-def: $sgpr40_sgpr41
	s_branch .LBB180_121
.LBB180_119:                            ;   in Loop: Header=BB180_121 Depth=1
	v_lshl_add_u64 v[22:23], v[18:19], 0, s[42:43]
	v_lshl_add_u64 v[32:33], v[20:21], 0, s[42:43]
	global_load_ubyte v34, v[22:23], off
	global_load_ubyte v35, v[32:33], off
	s_add_u32 s44, s42, 1
	s_addc_u32 s45, s43, 0
	s_andn2_b64 s[40:41], s[40:41], exec
	s_waitcnt vmcnt(0)
	v_cmp_ne_u16_e32 vcc, v34, v35
	s_and_b64 s[46:47], vcc, exec
	s_or_b64 s[40:41], s[40:41], s[46:47]
.LBB180_120:                            ;   in Loop: Header=BB180_121 Depth=1
	s_and_b64 s[46:47], exec, s[40:41]
	s_or_b64 s[38:39], s[46:47], s[38:39]
	v_mov_b64_e32 v[22:23], s[42:43]
	s_mov_b64 s[42:43], s[44:45]
	s_andn2_b64 exec, exec, s[38:39]
	s_cbranch_execz .LBB180_123
.LBB180_121:                            ; =>This Inner Loop Header: Depth=1
	s_or_b64 s[40:41], s[40:41], exec
	s_cmp_eq_u64 s[26:27], s[42:43]
	s_cbranch_scc0 .LBB180_119
; %bb.122:                              ;   in Loop: Header=BB180_121 Depth=1
                                        ; implicit-def: $sgpr44_sgpr45
	s_mov_b64 s[42:43], s[26:27]
	s_branch .LBB180_120
.LBB180_123:
	s_or_b64 exec, exec, s[38:39]
	v_cmp_gt_i64_e32 vcc, s[26:27], v[22:23]
	s_orn2_b64 s[38:39], vcc, exec
.LBB180_124:
	s_or_b64 exec, exec, s[10:11]
.LBB180_125:
	s_and_b64 s[10:11], s[38:39], exec
.LBB180_126:
	s_or_b64 exec, exec, s[14:15]
	v_cmp_gt_u32_e32 vcc, s52, v28
	s_and_saveexec_b64 s[14:15], vcc
	s_cbranch_execz .LBB180_137
; %bb.127:
	s_and_b64 vcc, exec, s[4:5]
	s_mov_b64 s[38:39], 0
	s_cbranch_vccnz .LBB180_136
; %bb.128:
	v_mov_b64_e32 v[20:21], s[28:29]
	v_mad_u64_u32 v[18:19], s[12:13], v6, s26, v[20:21]
	s_waitcnt lgkmcnt(0)
	v_mul_lo_u32 v22, v6, s27
	v_mul_lo_u32 v23, v7, s26
	v_add3_u32 v19, v23, v19, v22
	v_mad_u64_u32 v[20:21], s[12:13], v8, s26, v[20:21]
	v_mul_lo_u32 v22, v8, s27
	v_mul_lo_u32 v23, v9, s26
	v_add3_u32 v21, v23, v21, v22
	global_load_ubyte v22, v[18:19], off
	global_load_ubyte v23, v[20:21], off
	s_mov_b64 s[38:39], -1
	s_waitcnt vmcnt(0)
	v_cmp_eq_u16_e32 vcc, v22, v23
	s_and_saveexec_b64 s[12:13], vcc
	s_cbranch_execz .LBB180_135
; %bb.129:
	s_mov_b64 s[42:43], 1
	s_mov_b64 s[38:39], 0
                                        ; implicit-def: $sgpr40_sgpr41
	s_branch .LBB180_132
.LBB180_130:                            ;   in Loop: Header=BB180_132 Depth=1
	v_lshl_add_u64 v[22:23], v[18:19], 0, s[42:43]
	v_lshl_add_u64 v[32:33], v[20:21], 0, s[42:43]
	global_load_ubyte v34, v[22:23], off
	global_load_ubyte v35, v[32:33], off
	s_add_u32 s44, s42, 1
	s_addc_u32 s45, s43, 0
	s_andn2_b64 s[40:41], s[40:41], exec
	s_waitcnt vmcnt(0)
	v_cmp_ne_u16_e32 vcc, v34, v35
	s_and_b64 s[46:47], vcc, exec
	s_or_b64 s[40:41], s[40:41], s[46:47]
.LBB180_131:                            ;   in Loop: Header=BB180_132 Depth=1
	s_and_b64 s[46:47], exec, s[40:41]
	s_or_b64 s[38:39], s[46:47], s[38:39]
	v_mov_b64_e32 v[22:23], s[42:43]
	s_mov_b64 s[42:43], s[44:45]
	s_andn2_b64 exec, exec, s[38:39]
	s_cbranch_execz .LBB180_134
.LBB180_132:                            ; =>This Inner Loop Header: Depth=1
	s_or_b64 s[40:41], s[40:41], exec
	s_cmp_eq_u64 s[26:27], s[42:43]
	s_cbranch_scc0 .LBB180_130
; %bb.133:                              ;   in Loop: Header=BB180_132 Depth=1
                                        ; implicit-def: $sgpr44_sgpr45
	s_mov_b64 s[42:43], s[26:27]
	s_branch .LBB180_131
.LBB180_134:
	s_or_b64 exec, exec, s[38:39]
	v_cmp_gt_i64_e32 vcc, s[26:27], v[22:23]
	s_orn2_b64 s[38:39], vcc, exec
.LBB180_135:
	s_or_b64 exec, exec, s[12:13]
.LBB180_136:
	s_and_b64 s[12:13], s[38:39], exec
.LBB180_137:
	s_or_b64 exec, exec, s[14:15]
	v_cmp_gt_u32_e32 vcc, s52, v24
	s_mov_b64 s[14:15], 0
	s_mov_b64 s[38:39], 0
	s_and_saveexec_b64 s[40:41], vcc
	s_cbranch_execz .LBB180_148
; %bb.138:
	s_and_b64 vcc, exec, s[4:5]
	s_mov_b64 s[42:43], 0
	s_cbranch_vccnz .LBB180_147
; %bb.139:
	v_mov_b64_e32 v[20:21], s[28:29]
	v_mad_u64_u32 v[18:19], s[38:39], v12, s26, v[20:21]
	s_waitcnt lgkmcnt(0)
	v_mul_lo_u32 v22, v12, s27
	v_mul_lo_u32 v23, v13, s26
	v_add3_u32 v19, v23, v19, v22
	v_mad_u64_u32 v[20:21], s[38:39], v6, s26, v[20:21]
	v_mul_lo_u32 v22, v6, s27
	v_mul_lo_u32 v23, v7, s26
	v_add3_u32 v21, v23, v21, v22
	global_load_ubyte v22, v[18:19], off
	global_load_ubyte v23, v[20:21], off
	s_mov_b64 s[42:43], -1
	s_waitcnt vmcnt(0)
	v_cmp_eq_u16_e32 vcc, v22, v23
	s_and_saveexec_b64 s[38:39], vcc
	s_cbranch_execz .LBB180_146
; %bb.140:
	s_mov_b64 s[46:47], 1
	s_mov_b64 s[42:43], 0
                                        ; implicit-def: $sgpr44_sgpr45
	s_branch .LBB180_143
.LBB180_141:                            ;   in Loop: Header=BB180_143 Depth=1
	v_lshl_add_u64 v[22:23], v[18:19], 0, s[46:47]
	v_lshl_add_u64 v[32:33], v[20:21], 0, s[46:47]
	global_load_ubyte v34, v[22:23], off
	global_load_ubyte v35, v[32:33], off
	s_add_u32 s48, s46, 1
	s_addc_u32 s49, s47, 0
	s_andn2_b64 s[44:45], s[44:45], exec
	s_waitcnt vmcnt(0)
	v_cmp_ne_u16_e32 vcc, v34, v35
	s_and_b64 s[50:51], vcc, exec
	s_or_b64 s[44:45], s[44:45], s[50:51]
.LBB180_142:                            ;   in Loop: Header=BB180_143 Depth=1
	s_and_b64 s[50:51], exec, s[44:45]
	s_or_b64 s[42:43], s[50:51], s[42:43]
	v_mov_b64_e32 v[22:23], s[46:47]
	s_mov_b64 s[46:47], s[48:49]
	s_andn2_b64 exec, exec, s[42:43]
	s_cbranch_execz .LBB180_145
.LBB180_143:                            ; =>This Inner Loop Header: Depth=1
	s_or_b64 s[44:45], s[44:45], exec
	s_cmp_eq_u64 s[26:27], s[46:47]
	s_cbranch_scc0 .LBB180_141
; %bb.144:                              ;   in Loop: Header=BB180_143 Depth=1
                                        ; implicit-def: $sgpr48_sgpr49
	s_mov_b64 s[46:47], s[26:27]
	s_branch .LBB180_142
.LBB180_145:
	s_or_b64 exec, exec, s[42:43]
	v_cmp_gt_i64_e32 vcc, s[26:27], v[22:23]
	s_orn2_b64 s[42:43], vcc, exec
.LBB180_146:
	s_or_b64 exec, exec, s[38:39]
.LBB180_147:
	s_and_b64 s[38:39], s[42:43], exec
.LBB180_148:
	s_or_b64 exec, exec, s[40:41]
	v_cmp_gt_u32_e32 vcc, s52, v25
	s_and_saveexec_b64 s[40:41], vcc
	s_cbranch_execz .LBB180_159
; %bb.149:
	s_and_b64 vcc, exec, s[4:5]
	s_mov_b64 s[42:43], 0
	s_cbranch_vccnz .LBB180_158
; %bb.150:
	v_mov_b64_e32 v[20:21], s[28:29]
	v_mad_u64_u32 v[18:19], s[14:15], v10, s26, v[20:21]
	s_waitcnt lgkmcnt(0)
	v_mul_lo_u32 v22, v10, s27
	v_mul_lo_u32 v23, v11, s26
	v_add3_u32 v19, v23, v19, v22
	v_mad_u64_u32 v[20:21], s[14:15], v12, s26, v[20:21]
	v_mul_lo_u32 v22, v12, s27
	v_mul_lo_u32 v23, v13, s26
	v_add3_u32 v21, v23, v21, v22
	global_load_ubyte v22, v[18:19], off
	global_load_ubyte v23, v[20:21], off
	s_mov_b64 s[42:43], -1
	s_waitcnt vmcnt(0)
	v_cmp_eq_u16_e32 vcc, v22, v23
	s_and_saveexec_b64 s[14:15], vcc
	s_cbranch_execz .LBB180_157
; %bb.151:
	s_mov_b64 s[46:47], 1
	s_mov_b64 s[42:43], 0
                                        ; implicit-def: $sgpr44_sgpr45
	s_branch .LBB180_154
.LBB180_152:                            ;   in Loop: Header=BB180_154 Depth=1
	v_lshl_add_u64 v[22:23], v[18:19], 0, s[46:47]
	v_lshl_add_u64 v[32:33], v[20:21], 0, s[46:47]
	global_load_ubyte v34, v[22:23], off
	global_load_ubyte v35, v[32:33], off
	s_add_u32 s48, s46, 1
	s_addc_u32 s49, s47, 0
	s_andn2_b64 s[44:45], s[44:45], exec
	s_waitcnt vmcnt(0)
	v_cmp_ne_u16_e32 vcc, v34, v35
	s_and_b64 s[50:51], vcc, exec
	s_or_b64 s[44:45], s[44:45], s[50:51]
.LBB180_153:                            ;   in Loop: Header=BB180_154 Depth=1
	s_and_b64 s[50:51], exec, s[44:45]
	s_or_b64 s[42:43], s[50:51], s[42:43]
	v_mov_b64_e32 v[22:23], s[46:47]
	s_mov_b64 s[46:47], s[48:49]
	s_andn2_b64 exec, exec, s[42:43]
	s_cbranch_execz .LBB180_156
.LBB180_154:                            ; =>This Inner Loop Header: Depth=1
	s_or_b64 s[44:45], s[44:45], exec
	s_cmp_eq_u64 s[26:27], s[46:47]
	s_cbranch_scc0 .LBB180_152
; %bb.155:                              ;   in Loop: Header=BB180_154 Depth=1
                                        ; implicit-def: $sgpr48_sgpr49
	s_mov_b64 s[46:47], s[26:27]
	s_branch .LBB180_153
.LBB180_156:
	s_or_b64 exec, exec, s[42:43]
	v_cmp_gt_i64_e32 vcc, s[26:27], v[22:23]
	s_orn2_b64 s[42:43], vcc, exec
.LBB180_157:
	s_or_b64 exec, exec, s[14:15]
.LBB180_158:
	s_and_b64 s[14:15], s[42:43], exec
.LBB180_159:
	s_or_b64 exec, exec, s[40:41]
	s_waitcnt lgkmcnt(0)
	s_barrier
	s_and_saveexec_b64 s[40:41], s[2:3]
	s_cbranch_execz .LBB180_161
; %bb.160:
	s_waitcnt vmcnt(0)
	v_add_u32_e32 v16, -8, v31
	ds_read_b64 v[16:17], v16
.LBB180_161:
	s_or_b64 exec, exec, s[40:41]
	v_cndmask_b32_e64 v19, 0, 1, s[12:13]
	v_cndmask_b32_e64 v18, 0, 1, s[38:39]
	v_cndmask_b32_e64 v20, 0, 1, s[14:15]
	v_lshlrev_b16_e32 v19, 8, v19
	v_cmp_gt_u32_e32 vcc, s52, v1
	v_lshlrev_b16_e32 v22, 8, v20
	v_or_b32_sdwa v23, v18, v19 dst_sel:WORD_1 dst_unused:UNUSED_PAD src0_sel:DWORD src1_sel:DWORD
	s_mov_b64 s[12:13], 0
	s_and_saveexec_b64 s[14:15], vcc
	s_cbranch_execz .LBB180_172
; %bb.162:
	s_and_b64 vcc, exec, s[4:5]
	s_cbranch_vccnz .LBB180_171
; %bb.163:
	v_mov_b64_e32 v[20:21], s[28:29]
	s_waitcnt vmcnt(0) lgkmcnt(0)
	v_mad_u64_u32 v[18:19], s[4:5], v16, s26, v[20:21]
	v_mul_lo_u32 v16, v16, s27
	v_mul_lo_u32 v17, v17, s26
	v_add3_u32 v19, v17, v19, v16
	v_mad_u64_u32 v[16:17], s[4:5], v10, s26, v[20:21]
	v_mul_lo_u32 v20, v10, s27
	v_mul_lo_u32 v21, v11, s26
	v_add3_u32 v17, v21, v17, v20
	global_load_ubyte v20, v[18:19], off
	global_load_ubyte v21, v[16:17], off
	s_mov_b64 s[12:13], -1
	s_waitcnt vmcnt(0)
	v_cmp_eq_u16_e32 vcc, v20, v21
	s_and_saveexec_b64 s[4:5], vcc
	s_cbranch_execz .LBB180_170
; %bb.164:
	s_mov_b64 s[40:41], 1
	s_mov_b64 s[12:13], 0
                                        ; implicit-def: $sgpr38_sgpr39
	s_branch .LBB180_167
.LBB180_165:                            ;   in Loop: Header=BB180_167 Depth=1
	v_lshl_add_u64 v[20:21], v[18:19], 0, s[40:41]
	v_lshl_add_u64 v[32:33], v[16:17], 0, s[40:41]
	global_load_ubyte v31, v[20:21], off
	global_load_ubyte v34, v[32:33], off
	s_add_u32 s42, s40, 1
	s_addc_u32 s43, s41, 0
	s_andn2_b64 s[38:39], s[38:39], exec
	s_waitcnt vmcnt(0)
	v_cmp_ne_u16_e32 vcc, v31, v34
	s_and_b64 s[44:45], vcc, exec
	s_or_b64 s[38:39], s[38:39], s[44:45]
.LBB180_166:                            ;   in Loop: Header=BB180_167 Depth=1
	s_and_b64 s[44:45], exec, s[38:39]
	s_or_b64 s[12:13], s[44:45], s[12:13]
	v_mov_b64_e32 v[20:21], s[40:41]
	s_mov_b64 s[40:41], s[42:43]
	s_andn2_b64 exec, exec, s[12:13]
	s_cbranch_execz .LBB180_169
.LBB180_167:                            ; =>This Inner Loop Header: Depth=1
	s_or_b64 s[38:39], s[38:39], exec
	s_cmp_eq_u64 s[26:27], s[40:41]
	s_cbranch_scc0 .LBB180_165
; %bb.168:                              ;   in Loop: Header=BB180_167 Depth=1
                                        ; implicit-def: $sgpr42_sgpr43
	s_mov_b64 s[40:41], s[26:27]
	s_branch .LBB180_166
.LBB180_169:
	s_or_b64 exec, exec, s[12:13]
	v_cmp_gt_i64_e32 vcc, s[26:27], v[20:21]
	s_orn2_b64 s[12:13], vcc, exec
.LBB180_170:
	s_or_b64 exec, exec, s[4:5]
.LBB180_171:
	s_and_b64 s[12:13], s[12:13], exec
.LBB180_172:
	s_or_b64 exec, exec, s[14:15]
	v_cndmask_b32_e64 v32, 0, 1, s[10:11]
	v_cndmask_b32_e64 v33, 0, 1, s[8:9]
	;; [unrolled: 1-line block ×3, first 2 shown]
	v_or_b32_e32 v20, v22, v23
.LBB180_173:
	s_mov_b64 s[8:9], -1
	s_cbranch_execnz .LBB180_32
.LBB180_174:
	s_movk_i32 s4, 0xffd0
	v_mad_i32_i24 v30, v0, s4, v30
	s_mov_b64 s[10:11], 0
	v_cmp_gt_i64_e64 s[6:7], s[26:27], 0
	s_and_b64 vcc, exec, s[36:37]
	ds_write_b64 v30, v[14:15]
	s_cbranch_vccz .LBB180_182
; %bb.175:
	v_mul_lo_u32 v18, v5, s26
	v_mul_lo_u32 v19, v4, s27
	s_waitcnt vmcnt(0) lgkmcnt(1)
	v_mad_u64_u32 v[16:17], s[4:5], v4, s26, 0
	v_add3_u32 v17, v17, v19, v18
	v_cndmask_b32_e64 v18, 0, 1, s[6:7]
	v_cmp_ne_u32_e64 s[4:5], 1, v18
	s_andn2_b64 vcc, exec, s[6:7]
	v_lshl_add_u64 v[16:17], s[28:29], 0, v[16:17]
	s_cbranch_vccnz .LBB180_185
; %bb.176:
	v_mov_b64_e32 v[18:19], s[28:29]
	v_mad_u64_u32 v[18:19], s[10:11], v14, s26, v[18:19]
	v_mul_lo_u32 v20, v14, s27
	v_mul_lo_u32 v21, v15, s26
	v_add3_u32 v19, v21, v19, v20
	global_load_ubyte v20, v[16:17], off
	global_load_ubyte v21, v[18:19], off
	s_mov_b64 s[10:11], -1
	s_waitcnt vmcnt(0)
	v_cmp_eq_u16_e32 vcc, v20, v21
	s_and_saveexec_b64 s[12:13], vcc
	s_cbranch_execz .LBB180_184
; %bb.177:
	s_mov_b64 s[38:39], 1
	s_mov_b64 s[10:11], 0
                                        ; implicit-def: $sgpr14_sgpr15
	s_branch .LBB180_180
.LBB180_178:                            ;   in Loop: Header=BB180_180 Depth=1
	v_lshl_add_u64 v[20:21], v[16:17], 0, s[38:39]
	v_lshl_add_u64 v[22:23], v[18:19], 0, s[38:39]
	global_load_ubyte v31, v[20:21], off
	global_load_ubyte v32, v[22:23], off
	s_add_u32 s40, s38, 1
	s_addc_u32 s41, s39, 0
	s_andn2_b64 s[14:15], s[14:15], exec
	s_waitcnt vmcnt(0)
	v_cmp_ne_u16_e32 vcc, v31, v32
	s_and_b64 s[42:43], vcc, exec
	s_or_b64 s[14:15], s[14:15], s[42:43]
.LBB180_179:                            ;   in Loop: Header=BB180_180 Depth=1
	s_and_b64 s[42:43], exec, s[14:15]
	s_or_b64 s[10:11], s[42:43], s[10:11]
	v_mov_b64_e32 v[20:21], s[38:39]
	s_mov_b64 s[38:39], s[40:41]
	s_andn2_b64 exec, exec, s[10:11]
	s_cbranch_execz .LBB180_183
.LBB180_180:                            ; =>This Inner Loop Header: Depth=1
	s_or_b64 s[14:15], s[14:15], exec
	s_cmp_eq_u64 s[26:27], s[38:39]
	s_cbranch_scc0 .LBB180_178
; %bb.181:                              ;   in Loop: Header=BB180_180 Depth=1
                                        ; implicit-def: $sgpr40_sgpr41
	s_mov_b64 s[38:39], s[26:27]
	s_branch .LBB180_179
.LBB180_182:
                                        ; implicit-def: $sgpr12_sgpr13
                                        ; implicit-def: $vgpr34
                                        ; implicit-def: $vgpr33
                                        ; implicit-def: $vgpr32
                                        ; implicit-def: $vgpr20
                                        ; implicit-def: $vgpr16_vgpr17
	s_cbranch_execnz .LBB180_242
	s_branch .LBB180_322
.LBB180_183:
	s_or_b64 exec, exec, s[10:11]
	v_cmp_gt_i64_e32 vcc, s[26:27], v[20:21]
	s_orn2_b64 s[10:11], vcc, exec
.LBB180_184:
	s_or_b64 exec, exec, s[12:13]
.LBB180_185:
	v_mul_lo_u32 v20, v3, s26
	v_mul_lo_u32 v21, v2, s27
	v_mad_u64_u32 v[18:19], s[12:13], v2, s26, 0
	v_add3_u32 v19, v19, v21, v20
	s_mov_b64 s[12:13], 0
	s_and_b64 vcc, exec, s[4:5]
	v_lshl_add_u64 v[18:19], s[28:29], 0, v[18:19]
	s_mov_b64 s[14:15], 0
	s_cbranch_vccnz .LBB180_194
; %bb.186:
	global_load_ubyte v20, v[18:19], off
	global_load_ubyte v21, v[16:17], off
	s_mov_b64 s[14:15], -1
	s_waitcnt vmcnt(0)
	v_cmp_eq_u16_e32 vcc, v20, v21
	s_and_saveexec_b64 s[38:39], vcc
	s_cbranch_execz .LBB180_193
; %bb.187:
	s_mov_b64 s[42:43], 1
	s_mov_b64 s[14:15], 0
                                        ; implicit-def: $sgpr40_sgpr41
	s_branch .LBB180_190
.LBB180_188:                            ;   in Loop: Header=BB180_190 Depth=1
	v_lshl_add_u64 v[20:21], v[18:19], 0, s[42:43]
	v_lshl_add_u64 v[22:23], v[16:17], 0, s[42:43]
	global_load_ubyte v31, v[20:21], off
	global_load_ubyte v32, v[22:23], off
	s_add_u32 s44, s42, 1
	s_addc_u32 s45, s43, 0
	s_andn2_b64 s[40:41], s[40:41], exec
	s_waitcnt vmcnt(0)
	v_cmp_ne_u16_e32 vcc, v31, v32
	s_and_b64 s[46:47], vcc, exec
	s_or_b64 s[40:41], s[40:41], s[46:47]
.LBB180_189:                            ;   in Loop: Header=BB180_190 Depth=1
	s_and_b64 s[46:47], exec, s[40:41]
	s_or_b64 s[14:15], s[46:47], s[14:15]
	v_mov_b64_e32 v[20:21], s[42:43]
	s_mov_b64 s[42:43], s[44:45]
	s_andn2_b64 exec, exec, s[14:15]
	s_cbranch_execz .LBB180_192
.LBB180_190:                            ; =>This Inner Loop Header: Depth=1
	s_or_b64 s[40:41], s[40:41], exec
	s_cmp_eq_u64 s[26:27], s[42:43]
	s_cbranch_scc0 .LBB180_188
; %bb.191:                              ;   in Loop: Header=BB180_190 Depth=1
                                        ; implicit-def: $sgpr44_sgpr45
	s_mov_b64 s[42:43], s[26:27]
	s_branch .LBB180_189
.LBB180_192:
	s_or_b64 exec, exec, s[14:15]
	v_cmp_gt_i64_e32 vcc, s[26:27], v[20:21]
	s_orn2_b64 s[14:15], vcc, exec
.LBB180_193:
	s_or_b64 exec, exec, s[38:39]
.LBB180_194:
	v_mul_lo_u32 v20, v9, s26
	v_mul_lo_u32 v21, v8, s27
	v_mad_u64_u32 v[16:17], s[38:39], v8, s26, 0
	v_add3_u32 v17, v17, v21, v20
	s_and_b64 vcc, exec, s[4:5]
	v_lshl_add_u64 v[16:17], s[28:29], 0, v[16:17]
	s_cbranch_vccnz .LBB180_203
; %bb.195:
	global_load_ubyte v20, v[16:17], off
	global_load_ubyte v21, v[18:19], off
	s_mov_b64 s[12:13], -1
	s_waitcnt vmcnt(0)
	v_cmp_eq_u16_e32 vcc, v20, v21
	s_and_saveexec_b64 s[38:39], vcc
	s_cbranch_execz .LBB180_202
; %bb.196:
	s_mov_b64 s[42:43], 1
	s_mov_b64 s[12:13], 0
                                        ; implicit-def: $sgpr40_sgpr41
	s_branch .LBB180_199
.LBB180_197:                            ;   in Loop: Header=BB180_199 Depth=1
	v_lshl_add_u64 v[20:21], v[16:17], 0, s[42:43]
	v_lshl_add_u64 v[22:23], v[18:19], 0, s[42:43]
	global_load_ubyte v31, v[20:21], off
	global_load_ubyte v32, v[22:23], off
	s_add_u32 s44, s42, 1
	s_addc_u32 s45, s43, 0
	s_andn2_b64 s[40:41], s[40:41], exec
	s_waitcnt vmcnt(0)
	v_cmp_ne_u16_e32 vcc, v31, v32
	s_and_b64 s[46:47], vcc, exec
	s_or_b64 s[40:41], s[40:41], s[46:47]
.LBB180_198:                            ;   in Loop: Header=BB180_199 Depth=1
	s_and_b64 s[46:47], exec, s[40:41]
	s_or_b64 s[12:13], s[46:47], s[12:13]
	v_mov_b64_e32 v[20:21], s[42:43]
	s_mov_b64 s[42:43], s[44:45]
	s_andn2_b64 exec, exec, s[12:13]
	s_cbranch_execz .LBB180_201
.LBB180_199:                            ; =>This Inner Loop Header: Depth=1
	s_or_b64 s[40:41], s[40:41], exec
	s_cmp_eq_u64 s[26:27], s[42:43]
	s_cbranch_scc0 .LBB180_197
; %bb.200:                              ;   in Loop: Header=BB180_199 Depth=1
                                        ; implicit-def: $sgpr44_sgpr45
	s_mov_b64 s[42:43], s[26:27]
	s_branch .LBB180_198
.LBB180_201:
	s_or_b64 exec, exec, s[12:13]
	v_cmp_gt_i64_e32 vcc, s[26:27], v[20:21]
	s_orn2_b64 s[12:13], vcc, exec
.LBB180_202:
	s_or_b64 exec, exec, s[38:39]
.LBB180_203:
	v_mul_lo_u32 v20, v7, s26
	v_mul_lo_u32 v21, v6, s27
	v_mad_u64_u32 v[18:19], s[38:39], v6, s26, 0
	v_add3_u32 v19, v19, v21, v20
	s_mov_b64 s[38:39], 0
	s_and_b64 vcc, exec, s[4:5]
	v_lshl_add_u64 v[18:19], s[28:29], 0, v[18:19]
	s_mov_b64 s[40:41], 0
	s_cbranch_vccnz .LBB180_212
; %bb.204:
	global_load_ubyte v20, v[18:19], off
	global_load_ubyte v21, v[16:17], off
	s_mov_b64 s[40:41], -1
	s_waitcnt vmcnt(0)
	v_cmp_eq_u16_e32 vcc, v20, v21
	s_and_saveexec_b64 s[42:43], vcc
	s_cbranch_execz .LBB180_211
; %bb.205:
	s_mov_b64 s[46:47], 1
	s_mov_b64 s[40:41], 0
                                        ; implicit-def: $sgpr44_sgpr45
	s_branch .LBB180_208
.LBB180_206:                            ;   in Loop: Header=BB180_208 Depth=1
	v_lshl_add_u64 v[20:21], v[18:19], 0, s[46:47]
	v_lshl_add_u64 v[22:23], v[16:17], 0, s[46:47]
	global_load_ubyte v31, v[20:21], off
	global_load_ubyte v32, v[22:23], off
	s_add_u32 s48, s46, 1
	s_addc_u32 s49, s47, 0
	s_andn2_b64 s[44:45], s[44:45], exec
	s_waitcnt vmcnt(0)
	v_cmp_ne_u16_e32 vcc, v31, v32
	s_and_b64 s[50:51], vcc, exec
	s_or_b64 s[44:45], s[44:45], s[50:51]
.LBB180_207:                            ;   in Loop: Header=BB180_208 Depth=1
	s_and_b64 s[50:51], exec, s[44:45]
	s_or_b64 s[40:41], s[50:51], s[40:41]
	v_mov_b64_e32 v[20:21], s[46:47]
	s_mov_b64 s[46:47], s[48:49]
	s_andn2_b64 exec, exec, s[40:41]
	s_cbranch_execz .LBB180_210
.LBB180_208:                            ; =>This Inner Loop Header: Depth=1
	s_or_b64 s[44:45], s[44:45], exec
	s_cmp_eq_u64 s[26:27], s[46:47]
	s_cbranch_scc0 .LBB180_206
; %bb.209:                              ;   in Loop: Header=BB180_208 Depth=1
                                        ; implicit-def: $sgpr48_sgpr49
	s_mov_b64 s[46:47], s[26:27]
	s_branch .LBB180_207
.LBB180_210:
	s_or_b64 exec, exec, s[40:41]
	v_cmp_gt_i64_e32 vcc, s[26:27], v[20:21]
	s_orn2_b64 s[40:41], vcc, exec
.LBB180_211:
	s_or_b64 exec, exec, s[42:43]
.LBB180_212:
	v_mul_lo_u32 v20, v13, s26
	v_mul_lo_u32 v21, v12, s27
	v_mad_u64_u32 v[16:17], s[42:43], v12, s26, 0
	v_add3_u32 v17, v17, v21, v20
	s_and_b64 vcc, exec, s[4:5]
	v_lshl_add_u64 v[16:17], s[28:29], 0, v[16:17]
	s_cbranch_vccnz .LBB180_221
; %bb.213:
	global_load_ubyte v20, v[16:17], off
	global_load_ubyte v21, v[18:19], off
	s_mov_b64 s[38:39], -1
	s_waitcnt vmcnt(0)
	v_cmp_eq_u16_e32 vcc, v20, v21
	s_and_saveexec_b64 s[42:43], vcc
	s_cbranch_execz .LBB180_220
; %bb.214:
	s_mov_b64 s[46:47], 1
	s_mov_b64 s[38:39], 0
                                        ; implicit-def: $sgpr44_sgpr45
	s_branch .LBB180_217
.LBB180_215:                            ;   in Loop: Header=BB180_217 Depth=1
	v_lshl_add_u64 v[20:21], v[16:17], 0, s[46:47]
	v_lshl_add_u64 v[22:23], v[18:19], 0, s[46:47]
	global_load_ubyte v31, v[20:21], off
	global_load_ubyte v32, v[22:23], off
	s_add_u32 s48, s46, 1
	s_addc_u32 s49, s47, 0
	s_andn2_b64 s[44:45], s[44:45], exec
	s_waitcnt vmcnt(0)
	v_cmp_ne_u16_e32 vcc, v31, v32
	s_and_b64 s[50:51], vcc, exec
	s_or_b64 s[44:45], s[44:45], s[50:51]
.LBB180_216:                            ;   in Loop: Header=BB180_217 Depth=1
	s_and_b64 s[50:51], exec, s[44:45]
	s_or_b64 s[38:39], s[50:51], s[38:39]
	v_mov_b64_e32 v[20:21], s[46:47]
	s_mov_b64 s[46:47], s[48:49]
	s_andn2_b64 exec, exec, s[38:39]
	s_cbranch_execz .LBB180_219
.LBB180_217:                            ; =>This Inner Loop Header: Depth=1
	s_or_b64 s[44:45], s[44:45], exec
	s_cmp_eq_u64 s[26:27], s[46:47]
	s_cbranch_scc0 .LBB180_215
; %bb.218:                              ;   in Loop: Header=BB180_217 Depth=1
                                        ; implicit-def: $sgpr48_sgpr49
	s_mov_b64 s[46:47], s[26:27]
	s_branch .LBB180_216
.LBB180_219:
	s_or_b64 exec, exec, s[38:39]
	v_cmp_gt_i64_e32 vcc, s[26:27], v[20:21]
	s_orn2_b64 s[38:39], vcc, exec
.LBB180_220:
	s_or_b64 exec, exec, s[42:43]
.LBB180_221:
	v_mul_lo_u32 v20, v11, s26
	v_mul_lo_u32 v21, v10, s27
	v_mad_u64_u32 v[18:19], s[42:43], v10, s26, 0
	v_add3_u32 v19, v19, v21, v20
	s_and_b64 vcc, exec, s[4:5]
	s_mov_b64 s[44:45], 0
	s_cbranch_vccnz .LBB180_230
; %bb.222:
	v_lshl_add_u64 v[20:21], s[28:29], 0, v[18:19]
	global_load_ubyte v22, v[20:21], off
	global_load_ubyte v23, v[16:17], off
	s_mov_b64 s[44:45], -1
	s_waitcnt vmcnt(0)
	v_cmp_eq_u16_e32 vcc, v22, v23
	s_and_saveexec_b64 s[42:43], vcc
	s_cbranch_execz .LBB180_229
; %bb.223:
	s_mov_b64 s[48:49], 1
	s_mov_b64 s[44:45], 0
                                        ; implicit-def: $sgpr46_sgpr47
	s_branch .LBB180_226
.LBB180_224:                            ;   in Loop: Header=BB180_226 Depth=1
	v_lshl_add_u64 v[22:23], v[20:21], 0, s[48:49]
	v_lshl_add_u64 v[32:33], v[16:17], 0, s[48:49]
	global_load_ubyte v22, v[22:23], off
	s_nop 0
	global_load_ubyte v23, v[32:33], off
	s_add_u32 s50, s48, 1
	s_addc_u32 s51, s49, 0
	s_andn2_b64 s[46:47], s[46:47], exec
	s_waitcnt vmcnt(0)
	v_cmp_ne_u16_e32 vcc, v22, v23
	s_and_b64 s[54:55], vcc, exec
	s_or_b64 s[46:47], s[46:47], s[54:55]
.LBB180_225:                            ;   in Loop: Header=BB180_226 Depth=1
	s_and_b64 s[54:55], exec, s[46:47]
	s_or_b64 s[44:45], s[54:55], s[44:45]
	v_mov_b64_e32 v[22:23], s[48:49]
	s_mov_b64 s[48:49], s[50:51]
	s_andn2_b64 exec, exec, s[44:45]
	s_cbranch_execz .LBB180_228
.LBB180_226:                            ; =>This Inner Loop Header: Depth=1
	s_or_b64 s[46:47], s[46:47], exec
	s_cmp_eq_u64 s[26:27], s[48:49]
	s_cbranch_scc0 .LBB180_224
; %bb.227:                              ;   in Loop: Header=BB180_226 Depth=1
                                        ; implicit-def: $sgpr50_sgpr51
	s_mov_b64 s[48:49], s[26:27]
	s_branch .LBB180_225
.LBB180_228:
	s_or_b64 exec, exec, s[44:45]
	v_cmp_gt_i64_e32 vcc, s[26:27], v[22:23]
	s_orn2_b64 s[44:45], vcc, exec
.LBB180_229:
	s_or_b64 exec, exec, s[42:43]
.LBB180_230:
	v_cndmask_b32_e64 v17, 0, 1, s[40:41]
	v_cndmask_b32_e64 v16, 0, 1, s[38:39]
	;; [unrolled: 1-line block ×3, first 2 shown]
	v_lshlrev_b16_e32 v17, 8, v17
	v_cndmask_b32_e64 v32, 0, 1, s[12:13]
	v_cndmask_b32_e64 v20, 0, 1, s[44:45]
	v_or_b32_sdwa v16, v16, v17 dst_sel:WORD_1 dst_unused:UNUSED_PAD src0_sel:DWORD src1_sel:DWORD
	v_lshlrev_b16_e32 v17, 8, v33
	v_lshlrev_b16_e32 v20, 8, v20
	v_or_b32_e32 v17, v32, v17
	v_or_b32_e32 v20, 1, v20
	v_and_b32_e32 v17, 0xffff, v17
	v_cndmask_b32_e64 v34, 0, 1, s[10:11]
	v_or_b32_sdwa v16, v20, v16 dst_sel:DWORD dst_unused:UNUSED_PAD src0_sel:WORD_0 src1_sel:DWORD
	v_lshl_or_b32 v17, v34, 16, v17
	s_waitcnt lgkmcnt(0)
	s_barrier
	s_waitcnt lgkmcnt(0)
                                        ; implicit-def: $sgpr12_sgpr13
                                        ; implicit-def: $vgpr20
	s_and_saveexec_b64 s[10:11], s[2:3]
	s_xor_b64 s[10:11], exec, s[10:11]
	s_cbranch_execz .LBB180_241
; %bb.231:
	s_mov_b32 s42, 0x3020104
	s_and_b64 vcc, exec, s[4:5]
	s_mov_b64 s[12:13], 0
	s_cbranch_vccnz .LBB180_240
; %bb.232:
	v_add_u32_e32 v17, -8, v30
	ds_read_b64 v[20:21], v17
	v_mov_b64_e32 v[22:23], s[28:29]
	v_lshl_add_u64 v[18:19], s[28:29], 0, v[18:19]
	s_mov_b64 s[12:13], -1
	s_waitcnt lgkmcnt(0)
	v_mul_lo_u32 v17, v20, s27
	v_mul_lo_u32 v31, v21, s26
	v_mad_u64_u32 v[20:21], s[4:5], v20, s26, v[22:23]
	v_add3_u32 v21, v31, v21, v17
	global_load_ubyte v17, v[18:19], off
	global_load_ubyte v22, v[20:21], off
	s_waitcnt vmcnt(0)
	v_cmp_eq_u16_e32 vcc, v22, v17
	s_and_saveexec_b64 s[4:5], vcc
	s_cbranch_execz .LBB180_239
; %bb.233:
	s_mov_b64 s[38:39], 1
	s_mov_b64 s[12:13], 0
                                        ; implicit-def: $sgpr14_sgpr15
	s_branch .LBB180_236
.LBB180_234:                            ;   in Loop: Header=BB180_236 Depth=1
	v_lshl_add_u64 v[22:23], v[20:21], 0, s[38:39]
	v_lshl_add_u64 v[36:37], v[18:19], 0, s[38:39]
	global_load_ubyte v17, v[22:23], off
	global_load_ubyte v31, v[36:37], off
	s_add_u32 s40, s38, 1
	s_addc_u32 s41, s39, 0
	s_andn2_b64 s[14:15], s[14:15], exec
	s_waitcnt vmcnt(0)
	v_cmp_ne_u16_e32 vcc, v17, v31
	s_and_b64 s[44:45], vcc, exec
	s_or_b64 s[14:15], s[14:15], s[44:45]
.LBB180_235:                            ;   in Loop: Header=BB180_236 Depth=1
	s_and_b64 s[44:45], exec, s[14:15]
	s_or_b64 s[12:13], s[44:45], s[12:13]
	v_mov_b64_e32 v[22:23], s[38:39]
	s_mov_b64 s[38:39], s[40:41]
	s_andn2_b64 exec, exec, s[12:13]
	s_cbranch_execz .LBB180_238
.LBB180_236:                            ; =>This Inner Loop Header: Depth=1
	s_or_b64 s[14:15], s[14:15], exec
	s_cmp_eq_u64 s[26:27], s[38:39]
	s_cbranch_scc0 .LBB180_234
; %bb.237:                              ;   in Loop: Header=BB180_236 Depth=1
                                        ; implicit-def: $sgpr40_sgpr41
	s_mov_b64 s[38:39], s[26:27]
	s_branch .LBB180_235
.LBB180_238:
	s_or_b64 exec, exec, s[12:13]
	v_cmp_gt_i64_e32 vcc, s[26:27], v[22:23]
	s_orn2_b64 s[12:13], vcc, exec
.LBB180_239:
	s_or_b64 exec, exec, s[4:5]
.LBB180_240:
	v_perm_b32 v20, v16, v16, s42
	s_and_b64 s[12:13], s[12:13], exec
	s_or_b64 s[8:9], s[8:9], exec
                                        ; implicit-def: $vgpr16_vgpr17
.LBB180_241:
	s_or_b64 exec, exec, s[10:11]
	s_branch .LBB180_322
.LBB180_242:
	v_cmp_gt_u32_e32 vcc, s52, v27
	s_mov_b64 s[10:11], 0
	s_mov_b64 s[4:5], 0
	s_and_saveexec_b64 s[12:13], vcc
	s_cbranch_execz .LBB180_253
; %bb.243:
	s_andn2_b64 vcc, exec, s[6:7]
	s_mov_b64 s[14:15], 0
	s_cbranch_vccnz .LBB180_252
; %bb.244:
	v_mov_b64_e32 v[18:19], s[28:29]
	s_waitcnt vmcnt(0) lgkmcnt(1)
	v_mad_u64_u32 v[16:17], s[4:5], v4, s26, v[18:19]
	v_mul_lo_u32 v20, v4, s27
	v_mul_lo_u32 v21, v5, s26
	v_add3_u32 v17, v21, v17, v20
	v_mad_u64_u32 v[18:19], s[4:5], v14, s26, v[18:19]
	v_mul_lo_u32 v20, v14, s27
	v_mul_lo_u32 v21, v15, s26
	v_add3_u32 v19, v21, v19, v20
	global_load_ubyte v20, v[16:17], off
	global_load_ubyte v21, v[18:19], off
	s_mov_b64 s[14:15], -1
	s_waitcnt vmcnt(0)
	v_cmp_eq_u16_e32 vcc, v20, v21
	s_and_saveexec_b64 s[4:5], vcc
	s_cbranch_execz .LBB180_251
; %bb.245:
	s_mov_b64 s[40:41], 1
	s_mov_b64 s[14:15], 0
                                        ; implicit-def: $sgpr38_sgpr39
	s_branch .LBB180_248
.LBB180_246:                            ;   in Loop: Header=BB180_248 Depth=1
	v_lshl_add_u64 v[20:21], v[16:17], 0, s[40:41]
	v_lshl_add_u64 v[22:23], v[18:19], 0, s[40:41]
	global_load_ubyte v31, v[20:21], off
	global_load_ubyte v32, v[22:23], off
	s_add_u32 s42, s40, 1
	s_addc_u32 s43, s41, 0
	s_andn2_b64 s[38:39], s[38:39], exec
	s_waitcnt vmcnt(0)
	v_cmp_ne_u16_e32 vcc, v31, v32
	s_and_b64 s[44:45], vcc, exec
	s_or_b64 s[38:39], s[38:39], s[44:45]
.LBB180_247:                            ;   in Loop: Header=BB180_248 Depth=1
	s_and_b64 s[44:45], exec, s[38:39]
	s_or_b64 s[14:15], s[44:45], s[14:15]
	v_mov_b64_e32 v[20:21], s[40:41]
	s_mov_b64 s[40:41], s[42:43]
	s_andn2_b64 exec, exec, s[14:15]
	s_cbranch_execz .LBB180_250
.LBB180_248:                            ; =>This Inner Loop Header: Depth=1
	s_or_b64 s[38:39], s[38:39], exec
	s_cmp_eq_u64 s[26:27], s[40:41]
	s_cbranch_scc0 .LBB180_246
; %bb.249:                              ;   in Loop: Header=BB180_248 Depth=1
                                        ; implicit-def: $sgpr42_sgpr43
	s_mov_b64 s[40:41], s[26:27]
	s_branch .LBB180_247
.LBB180_250:
	s_or_b64 exec, exec, s[14:15]
	v_cmp_gt_i64_e32 vcc, s[26:27], v[20:21]
	s_orn2_b64 s[14:15], vcc, exec
.LBB180_251:
	s_or_b64 exec, exec, s[4:5]
.LBB180_252:
	s_and_b64 s[4:5], s[14:15], exec
.LBB180_253:
	s_or_b64 exec, exec, s[12:13]
	v_cmp_gt_u32_e32 vcc, s52, v29
	s_and_saveexec_b64 s[12:13], vcc
	s_cbranch_execz .LBB180_264
; %bb.254:
	s_andn2_b64 vcc, exec, s[6:7]
	s_mov_b64 s[14:15], 0
	s_cbranch_vccnz .LBB180_263
; %bb.255:
	v_mov_b64_e32 v[18:19], s[28:29]
	s_waitcnt vmcnt(0) lgkmcnt(1)
	v_mad_u64_u32 v[16:17], s[10:11], v2, s26, v[18:19]
	v_mul_lo_u32 v20, v2, s27
	v_mul_lo_u32 v21, v3, s26
	v_add3_u32 v17, v21, v17, v20
	v_mad_u64_u32 v[18:19], s[10:11], v4, s26, v[18:19]
	v_mul_lo_u32 v20, v4, s27
	v_mul_lo_u32 v21, v5, s26
	v_add3_u32 v19, v21, v19, v20
	global_load_ubyte v20, v[16:17], off
	global_load_ubyte v21, v[18:19], off
	s_mov_b64 s[14:15], -1
	s_waitcnt vmcnt(0)
	v_cmp_eq_u16_e32 vcc, v20, v21
	s_and_saveexec_b64 s[10:11], vcc
	s_cbranch_execz .LBB180_262
; %bb.256:
	s_mov_b64 s[40:41], 1
	s_mov_b64 s[14:15], 0
                                        ; implicit-def: $sgpr38_sgpr39
	s_branch .LBB180_259
.LBB180_257:                            ;   in Loop: Header=BB180_259 Depth=1
	v_lshl_add_u64 v[20:21], v[16:17], 0, s[40:41]
	v_lshl_add_u64 v[22:23], v[18:19], 0, s[40:41]
	global_load_ubyte v31, v[20:21], off
	global_load_ubyte v32, v[22:23], off
	s_add_u32 s42, s40, 1
	s_addc_u32 s43, s41, 0
	s_andn2_b64 s[38:39], s[38:39], exec
	s_waitcnt vmcnt(0)
	v_cmp_ne_u16_e32 vcc, v31, v32
	s_and_b64 s[44:45], vcc, exec
	s_or_b64 s[38:39], s[38:39], s[44:45]
.LBB180_258:                            ;   in Loop: Header=BB180_259 Depth=1
	s_and_b64 s[44:45], exec, s[38:39]
	s_or_b64 s[14:15], s[44:45], s[14:15]
	v_mov_b64_e32 v[20:21], s[40:41]
	s_mov_b64 s[40:41], s[42:43]
	s_andn2_b64 exec, exec, s[14:15]
	s_cbranch_execz .LBB180_261
.LBB180_259:                            ; =>This Inner Loop Header: Depth=1
	s_or_b64 s[38:39], s[38:39], exec
	s_cmp_eq_u64 s[26:27], s[40:41]
	s_cbranch_scc0 .LBB180_257
; %bb.260:                              ;   in Loop: Header=BB180_259 Depth=1
                                        ; implicit-def: $sgpr42_sgpr43
	s_mov_b64 s[40:41], s[26:27]
	s_branch .LBB180_258
.LBB180_261:
	s_or_b64 exec, exec, s[14:15]
	v_cmp_gt_i64_e32 vcc, s[26:27], v[20:21]
	s_orn2_b64 s[14:15], vcc, exec
.LBB180_262:
	s_or_b64 exec, exec, s[10:11]
.LBB180_263:
	s_and_b64 s[10:11], s[14:15], exec
.LBB180_264:
	s_or_b64 exec, exec, s[12:13]
	v_cmp_gt_u32_e32 vcc, s52, v26
	s_mov_b64 s[14:15], 0
	s_mov_b64 s[12:13], 0
	s_and_saveexec_b64 s[38:39], vcc
	s_cbranch_execz .LBB180_275
; %bb.265:
	s_andn2_b64 vcc, exec, s[6:7]
	s_mov_b64 s[40:41], 0
	s_cbranch_vccnz .LBB180_274
; %bb.266:
	v_mov_b64_e32 v[18:19], s[28:29]
	s_waitcnt vmcnt(0) lgkmcnt(1)
	v_mad_u64_u32 v[16:17], s[12:13], v8, s26, v[18:19]
	v_mul_lo_u32 v20, v8, s27
	v_mul_lo_u32 v21, v9, s26
	v_add3_u32 v17, v21, v17, v20
	v_mad_u64_u32 v[18:19], s[12:13], v2, s26, v[18:19]
	v_mul_lo_u32 v20, v2, s27
	v_mul_lo_u32 v21, v3, s26
	v_add3_u32 v19, v21, v19, v20
	global_load_ubyte v20, v[16:17], off
	global_load_ubyte v21, v[18:19], off
	s_mov_b64 s[40:41], -1
	s_waitcnt vmcnt(0)
	v_cmp_eq_u16_e32 vcc, v20, v21
	s_and_saveexec_b64 s[12:13], vcc
	s_cbranch_execz .LBB180_273
; %bb.267:
	s_mov_b64 s[44:45], 1
	s_mov_b64 s[40:41], 0
                                        ; implicit-def: $sgpr42_sgpr43
	s_branch .LBB180_270
.LBB180_268:                            ;   in Loop: Header=BB180_270 Depth=1
	v_lshl_add_u64 v[20:21], v[16:17], 0, s[44:45]
	v_lshl_add_u64 v[22:23], v[18:19], 0, s[44:45]
	global_load_ubyte v31, v[20:21], off
	global_load_ubyte v32, v[22:23], off
	s_add_u32 s46, s44, 1
	s_addc_u32 s47, s45, 0
	s_andn2_b64 s[42:43], s[42:43], exec
	s_waitcnt vmcnt(0)
	v_cmp_ne_u16_e32 vcc, v31, v32
	s_and_b64 s[48:49], vcc, exec
	s_or_b64 s[42:43], s[42:43], s[48:49]
.LBB180_269:                            ;   in Loop: Header=BB180_270 Depth=1
	s_and_b64 s[48:49], exec, s[42:43]
	s_or_b64 s[40:41], s[48:49], s[40:41]
	v_mov_b64_e32 v[20:21], s[44:45]
	s_mov_b64 s[44:45], s[46:47]
	s_andn2_b64 exec, exec, s[40:41]
	s_cbranch_execz .LBB180_272
.LBB180_270:                            ; =>This Inner Loop Header: Depth=1
	s_or_b64 s[42:43], s[42:43], exec
	s_cmp_eq_u64 s[26:27], s[44:45]
	s_cbranch_scc0 .LBB180_268
; %bb.271:                              ;   in Loop: Header=BB180_270 Depth=1
                                        ; implicit-def: $sgpr46_sgpr47
	s_mov_b64 s[44:45], s[26:27]
	s_branch .LBB180_269
.LBB180_272:
	s_or_b64 exec, exec, s[40:41]
	v_cmp_gt_i64_e32 vcc, s[26:27], v[20:21]
	s_orn2_b64 s[40:41], vcc, exec
.LBB180_273:
	s_or_b64 exec, exec, s[12:13]
.LBB180_274:
	s_and_b64 s[12:13], s[40:41], exec
.LBB180_275:
	s_or_b64 exec, exec, s[38:39]
	v_cmp_gt_u32_e32 vcc, s52, v28
	s_and_saveexec_b64 s[38:39], vcc
	s_cbranch_execz .LBB180_286
; %bb.276:
	s_andn2_b64 vcc, exec, s[6:7]
	s_mov_b64 s[40:41], 0
	s_cbranch_vccnz .LBB180_285
; %bb.277:
	v_mov_b64_e32 v[18:19], s[28:29]
	s_waitcnt vmcnt(0) lgkmcnt(1)
	v_mad_u64_u32 v[16:17], s[14:15], v6, s26, v[18:19]
	v_mul_lo_u32 v20, v6, s27
	v_mul_lo_u32 v21, v7, s26
	v_add3_u32 v17, v21, v17, v20
	v_mad_u64_u32 v[18:19], s[14:15], v8, s26, v[18:19]
	v_mul_lo_u32 v20, v8, s27
	v_mul_lo_u32 v21, v9, s26
	v_add3_u32 v19, v21, v19, v20
	global_load_ubyte v20, v[16:17], off
	global_load_ubyte v21, v[18:19], off
	s_mov_b64 s[40:41], -1
	s_waitcnt vmcnt(0)
	v_cmp_eq_u16_e32 vcc, v20, v21
	s_and_saveexec_b64 s[14:15], vcc
	s_cbranch_execz .LBB180_284
; %bb.278:
	s_mov_b64 s[44:45], 1
	s_mov_b64 s[40:41], 0
                                        ; implicit-def: $sgpr42_sgpr43
	s_branch .LBB180_281
.LBB180_279:                            ;   in Loop: Header=BB180_281 Depth=1
	v_lshl_add_u64 v[20:21], v[16:17], 0, s[44:45]
	v_lshl_add_u64 v[22:23], v[18:19], 0, s[44:45]
	global_load_ubyte v31, v[20:21], off
	global_load_ubyte v32, v[22:23], off
	s_add_u32 s46, s44, 1
	s_addc_u32 s47, s45, 0
	s_andn2_b64 s[42:43], s[42:43], exec
	s_waitcnt vmcnt(0)
	v_cmp_ne_u16_e32 vcc, v31, v32
	s_and_b64 s[48:49], vcc, exec
	s_or_b64 s[42:43], s[42:43], s[48:49]
.LBB180_280:                            ;   in Loop: Header=BB180_281 Depth=1
	s_and_b64 s[48:49], exec, s[42:43]
	s_or_b64 s[40:41], s[48:49], s[40:41]
	v_mov_b64_e32 v[20:21], s[44:45]
	s_mov_b64 s[44:45], s[46:47]
	s_andn2_b64 exec, exec, s[40:41]
	s_cbranch_execz .LBB180_283
.LBB180_281:                            ; =>This Inner Loop Header: Depth=1
	s_or_b64 s[42:43], s[42:43], exec
	s_cmp_eq_u64 s[26:27], s[44:45]
	s_cbranch_scc0 .LBB180_279
; %bb.282:                              ;   in Loop: Header=BB180_281 Depth=1
                                        ; implicit-def: $sgpr46_sgpr47
	s_mov_b64 s[44:45], s[26:27]
	s_branch .LBB180_280
.LBB180_283:
	s_or_b64 exec, exec, s[40:41]
	v_cmp_gt_i64_e32 vcc, s[26:27], v[20:21]
	s_orn2_b64 s[40:41], vcc, exec
.LBB180_284:
	s_or_b64 exec, exec, s[14:15]
.LBB180_285:
	s_and_b64 s[14:15], s[40:41], exec
.LBB180_286:
	s_or_b64 exec, exec, s[38:39]
	v_cmp_gt_u32_e32 vcc, s52, v24
	s_mov_b64 s[38:39], 0
	s_mov_b64 s[40:41], 0
	s_and_saveexec_b64 s[42:43], vcc
	s_cbranch_execz .LBB180_297
; %bb.287:
	s_andn2_b64 vcc, exec, s[6:7]
	s_mov_b64 s[44:45], 0
	s_cbranch_vccnz .LBB180_296
; %bb.288:
	v_mov_b64_e32 v[18:19], s[28:29]
	s_waitcnt vmcnt(0) lgkmcnt(1)
	v_mad_u64_u32 v[16:17], s[40:41], v12, s26, v[18:19]
	v_mul_lo_u32 v20, v12, s27
	v_mul_lo_u32 v21, v13, s26
	v_add3_u32 v17, v21, v17, v20
	v_mad_u64_u32 v[18:19], s[40:41], v6, s26, v[18:19]
	v_mul_lo_u32 v20, v6, s27
	v_mul_lo_u32 v21, v7, s26
	v_add3_u32 v19, v21, v19, v20
	global_load_ubyte v20, v[16:17], off
	global_load_ubyte v21, v[18:19], off
	s_mov_b64 s[44:45], -1
	s_waitcnt vmcnt(0)
	v_cmp_eq_u16_e32 vcc, v20, v21
	s_and_saveexec_b64 s[40:41], vcc
	s_cbranch_execz .LBB180_295
; %bb.289:
	s_mov_b64 s[48:49], 1
	s_mov_b64 s[44:45], 0
                                        ; implicit-def: $sgpr46_sgpr47
	s_branch .LBB180_292
.LBB180_290:                            ;   in Loop: Header=BB180_292 Depth=1
	v_lshl_add_u64 v[20:21], v[16:17], 0, s[48:49]
	v_lshl_add_u64 v[22:23], v[18:19], 0, s[48:49]
	global_load_ubyte v20, v[20:21], off
	s_nop 0
	global_load_ubyte v21, v[22:23], off
	s_add_u32 s50, s48, 1
	s_addc_u32 s51, s49, 0
	s_andn2_b64 s[46:47], s[46:47], exec
	s_waitcnt vmcnt(0)
	v_cmp_ne_u16_e32 vcc, v20, v21
	s_and_b64 s[54:55], vcc, exec
	s_or_b64 s[46:47], s[46:47], s[54:55]
.LBB180_291:                            ;   in Loop: Header=BB180_292 Depth=1
	s_and_b64 s[54:55], exec, s[46:47]
	s_or_b64 s[44:45], s[54:55], s[44:45]
	v_mov_b64_e32 v[20:21], s[48:49]
	s_mov_b64 s[48:49], s[50:51]
	s_andn2_b64 exec, exec, s[44:45]
	s_cbranch_execz .LBB180_294
.LBB180_292:                            ; =>This Inner Loop Header: Depth=1
	s_or_b64 s[46:47], s[46:47], exec
	s_cmp_eq_u64 s[26:27], s[48:49]
	s_cbranch_scc0 .LBB180_290
; %bb.293:                              ;   in Loop: Header=BB180_292 Depth=1
                                        ; implicit-def: $sgpr50_sgpr51
	s_mov_b64 s[48:49], s[26:27]
	s_branch .LBB180_291
.LBB180_294:
	s_or_b64 exec, exec, s[44:45]
	v_cmp_gt_i64_e32 vcc, s[26:27], v[20:21]
	s_orn2_b64 s[44:45], vcc, exec
.LBB180_295:
	s_or_b64 exec, exec, s[40:41]
.LBB180_296:
	s_and_b64 s[40:41], s[44:45], exec
.LBB180_297:
	s_or_b64 exec, exec, s[42:43]
	v_cmp_gt_u32_e32 vcc, s52, v25
	s_and_saveexec_b64 s[42:43], vcc
	s_cbranch_execz .LBB180_308
; %bb.298:
	s_andn2_b64 vcc, exec, s[6:7]
	s_mov_b64 s[44:45], 0
	s_cbranch_vccnz .LBB180_307
; %bb.299:
	v_mov_b64_e32 v[18:19], s[28:29]
	s_waitcnt vmcnt(0) lgkmcnt(1)
	v_mad_u64_u32 v[16:17], s[38:39], v10, s26, v[18:19]
	v_mul_lo_u32 v20, v10, s27
	v_mul_lo_u32 v21, v11, s26
	v_add3_u32 v17, v21, v17, v20
	v_mad_u64_u32 v[18:19], s[38:39], v12, s26, v[18:19]
	v_mul_lo_u32 v20, v12, s27
	v_mul_lo_u32 v21, v13, s26
	v_add3_u32 v19, v21, v19, v20
	global_load_ubyte v20, v[16:17], off
	global_load_ubyte v21, v[18:19], off
	s_mov_b64 s[44:45], -1
	s_waitcnt vmcnt(0)
	v_cmp_eq_u16_e32 vcc, v20, v21
	s_and_saveexec_b64 s[38:39], vcc
	s_cbranch_execz .LBB180_306
; %bb.300:
	s_mov_b64 s[48:49], 1
	s_mov_b64 s[44:45], 0
                                        ; implicit-def: $sgpr46_sgpr47
	s_branch .LBB180_303
.LBB180_301:                            ;   in Loop: Header=BB180_303 Depth=1
	v_lshl_add_u64 v[20:21], v[16:17], 0, s[48:49]
	v_lshl_add_u64 v[22:23], v[18:19], 0, s[48:49]
	global_load_ubyte v20, v[20:21], off
	s_nop 0
	global_load_ubyte v21, v[22:23], off
	s_add_u32 s50, s48, 1
	s_addc_u32 s51, s49, 0
	s_andn2_b64 s[46:47], s[46:47], exec
	s_waitcnt vmcnt(0)
	v_cmp_ne_u16_e32 vcc, v20, v21
	s_and_b64 s[54:55], vcc, exec
	s_or_b64 s[46:47], s[46:47], s[54:55]
.LBB180_302:                            ;   in Loop: Header=BB180_303 Depth=1
	s_and_b64 s[54:55], exec, s[46:47]
	s_or_b64 s[44:45], s[54:55], s[44:45]
	v_mov_b64_e32 v[20:21], s[48:49]
	s_mov_b64 s[48:49], s[50:51]
	s_andn2_b64 exec, exec, s[44:45]
	s_cbranch_execz .LBB180_305
.LBB180_303:                            ; =>This Inner Loop Header: Depth=1
	s_or_b64 s[46:47], s[46:47], exec
	s_cmp_eq_u64 s[26:27], s[48:49]
	s_cbranch_scc0 .LBB180_301
; %bb.304:                              ;   in Loop: Header=BB180_303 Depth=1
                                        ; implicit-def: $sgpr50_sgpr51
	s_mov_b64 s[48:49], s[26:27]
	s_branch .LBB180_302
.LBB180_305:
	s_or_b64 exec, exec, s[44:45]
	v_cmp_gt_i64_e32 vcc, s[26:27], v[20:21]
	s_orn2_b64 s[44:45], vcc, exec
.LBB180_306:
	s_or_b64 exec, exec, s[38:39]
.LBB180_307:
	s_and_b64 s[38:39], s[44:45], exec
.LBB180_308:
	s_or_b64 exec, exec, s[42:43]
	s_waitcnt vmcnt(0) lgkmcnt(1)
	v_cndmask_b32_e64 v17, 0, 1, s[14:15]
	v_cndmask_b32_e64 v16, 0, 1, s[40:41]
	;; [unrolled: 1-line block ×3, first 2 shown]
	v_lshlrev_b16_e32 v17, 8, v17
	v_cndmask_b32_e64 v32, 0, 1, s[12:13]
	v_cndmask_b32_e64 v18, 0, 1, s[38:39]
	v_or_b32_sdwa v16, v16, v17 dst_sel:WORD_1 dst_unused:UNUSED_PAD src0_sel:DWORD src1_sel:DWORD
	v_lshlrev_b16_e32 v17, 8, v33
	v_lshlrev_b16_e32 v18, 8, v18
	v_or_b32_e32 v17, v32, v17
	v_or_b32_e32 v18, 1, v18
	v_and_b32_e32 v17, 0xffff, v17
	v_cndmask_b32_e64 v34, 0, 1, s[4:5]
	v_or_b32_sdwa v16, v18, v16 dst_sel:DWORD dst_unused:UNUSED_PAD src0_sel:WORD_0 src1_sel:DWORD
	v_lshl_or_b32 v17, v34, 16, v17
	s_waitcnt lgkmcnt(0)
	s_barrier
	s_waitcnt lgkmcnt(0)
                                        ; implicit-def: $sgpr12_sgpr13
                                        ; implicit-def: $vgpr20
	s_and_saveexec_b64 s[4:5], s[2:3]
	s_cbranch_execz .LBB180_321
; %bb.309:
	v_cmp_gt_u32_e32 vcc, s52, v1
	s_mov_b32 s38, 0x3020104
	s_mov_b64 s[10:11], 0
	s_and_saveexec_b64 s[2:3], vcc
	s_cbranch_execz .LBB180_320
; %bb.310:
	s_andn2_b64 vcc, exec, s[6:7]
	s_cbranch_vccnz .LBB180_319
; %bb.311:
	v_add_u32_e32 v17, -8, v30
	ds_read_b64 v[18:19], v17
	v_mov_b64_e32 v[20:21], s[28:29]
	s_mov_b64 s[10:11], -1
	s_waitcnt lgkmcnt(0)
	v_mul_lo_u32 v17, v18, s27
	v_mul_lo_u32 v22, v19, s26
	v_mad_u64_u32 v[18:19], s[6:7], v18, s26, v[20:21]
	v_add3_u32 v19, v22, v19, v17
	v_mad_u64_u32 v[20:21], s[6:7], v10, s26, v[20:21]
	v_mul_lo_u32 v17, v10, s27
	v_mul_lo_u32 v22, v11, s26
	v_add3_u32 v21, v22, v21, v17
	global_load_ubyte v17, v[18:19], off
	global_load_ubyte v22, v[20:21], off
	s_waitcnt vmcnt(0)
	v_cmp_eq_u16_e32 vcc, v17, v22
	s_and_saveexec_b64 s[6:7], vcc
	s_cbranch_execz .LBB180_318
; %bb.312:
	s_mov_b64 s[14:15], 1
	s_mov_b64 s[10:11], 0
                                        ; implicit-def: $sgpr12_sgpr13
	s_branch .LBB180_315
.LBB180_313:                            ;   in Loop: Header=BB180_315 Depth=1
	v_lshl_add_u64 v[22:23], v[18:19], 0, s[14:15]
	v_lshl_add_u64 v[30:31], v[20:21], 0, s[14:15]
	global_load_ubyte v17, v[22:23], off
	global_load_ubyte v35, v[30:31], off
	s_add_u32 s28, s14, 1
	s_addc_u32 s29, s15, 0
	s_andn2_b64 s[12:13], s[12:13], exec
	s_waitcnt vmcnt(0)
	v_cmp_ne_u16_e32 vcc, v17, v35
	s_and_b64 s[40:41], vcc, exec
	s_or_b64 s[12:13], s[12:13], s[40:41]
.LBB180_314:                            ;   in Loop: Header=BB180_315 Depth=1
	s_and_b64 s[40:41], exec, s[12:13]
	s_or_b64 s[10:11], s[40:41], s[10:11]
	v_mov_b64_e32 v[22:23], s[14:15]
	s_mov_b64 s[14:15], s[28:29]
	s_andn2_b64 exec, exec, s[10:11]
	s_cbranch_execz .LBB180_317
.LBB180_315:                            ; =>This Inner Loop Header: Depth=1
	s_or_b64 s[12:13], s[12:13], exec
	s_cmp_eq_u64 s[26:27], s[14:15]
	s_cbranch_scc0 .LBB180_313
; %bb.316:                              ;   in Loop: Header=BB180_315 Depth=1
                                        ; implicit-def: $sgpr28_sgpr29
	s_mov_b64 s[14:15], s[26:27]
	s_branch .LBB180_314
.LBB180_317:
	s_or_b64 exec, exec, s[10:11]
	v_cmp_gt_i64_e32 vcc, s[26:27], v[22:23]
	s_orn2_b64 s[10:11], vcc, exec
.LBB180_318:
	s_or_b64 exec, exec, s[6:7]
.LBB180_319:
	s_and_b64 s[10:11], s[10:11], exec
.LBB180_320:
	s_or_b64 exec, exec, s[2:3]
	v_perm_b32 v20, v16, v16, s38
	s_and_b64 s[12:13], s[10:11], exec
	s_or_b64 s[8:9], s[8:9], exec
                                        ; implicit-def: $vgpr16_vgpr17
.LBB180_321:
	s_or_b64 exec, exec, s[4:5]
.LBB180_322:
	s_and_saveexec_b64 s[2:3], s[8:9]
	s_cbranch_execz .LBB180_324
; %bb.323:
	s_waitcnt vmcnt(0) lgkmcnt(0)
	v_lshlrev_b16_e32 v17, 8, v33
	v_and_b32_e32 v18, 0xff, v34
	v_or_b32_sdwa v17, v32, v17 dst_sel:DWORD dst_unused:UNUSED_PAD src0_sel:BYTE_0 src1_sel:DWORD
	v_lshlrev_b32_e32 v18, 16, v18
	s_movk_i32 s4, 0xff
	v_or_b32_sdwa v17, v17, v18 dst_sel:DWORD dst_unused:UNUSED_PAD src0_sel:WORD_0 src1_sel:DWORD
	v_lshrrev_b32_e32 v18, 24, v20
	v_lshlrev_b16_e32 v18, 8, v18
	v_and_b32_sdwa v19, v20, s4 dst_sel:DWORD dst_unused:UNUSED_PAD src0_sel:WORD_1 src1_sel:DWORD
	v_or_b32_sdwa v18, v19, v18 dst_sel:WORD_1 dst_unused:UNUSED_PAD src0_sel:DWORD src1_sel:DWORD
	v_mov_b32_e32 v19, 8
	v_cndmask_b32_e64 v16, 0, 1, s[12:13]
	v_lshrrev_b32_sdwa v19, v19, v20 dst_sel:BYTE_1 dst_unused:UNUSED_PAD src0_sel:DWORD src1_sel:DWORD
	s_nop 0
	v_or_b32_e32 v16, v16, v19
	v_or_b32_sdwa v16, v16, v18 dst_sel:DWORD dst_unused:UNUSED_PAD src0_sel:WORD_0 src1_sel:DWORD
.LBB180_324:
	s_or_b64 exec, exec, s[2:3]
	s_andn2_b64 vcc, exec, s[0:1]
	s_cbranch_vccnz .LBB180_326
; %bb.325:
	s_waitcnt vmcnt(0) lgkmcnt(0)
	v_and_b32_e32 v18, 0xffff0000, v16
	v_cmp_gt_u32_e32 vcc, s52, v1
	s_mov_b32 s0, 0x40c0100
	s_nop 0
	v_cndmask_b32_e32 v1, v18, v16, vcc
	v_and_b32_e32 v1, 0xffff00ff, v1
	v_cmp_gt_u32_e32 vcc, s52, v25
	s_nop 1
	v_cndmask_b32_e32 v1, v1, v16, vcc
	v_lshrrev_b32_e32 v18, 24, v1
	v_perm_b32 v1, v18, v1, s0
	v_cmp_gt_u32_e32 vcc, s52, v24
	v_and_b32_e32 v18, 0xffffff00, v17
	s_nop 0
	v_cndmask_b32_e32 v1, v1, v16, vcc
	v_and_b32_e32 v1, 0xffffff, v1
	v_cmp_gt_u32_e32 vcc, s52, v28
	s_nop 1
	v_cndmask_b32_e32 v1, v1, v16, vcc
	v_cmp_gt_u32_e32 vcc, s52, v26
	s_nop 1
	v_cndmask_b32_e32 v18, v18, v17, vcc
	v_and_b32_e32 v18, 0xffff00ff, v18
	v_cndmask_b32_e32 v1, v1, v16, vcc
	v_cmp_gt_u32_e32 vcc, s52, v29
	s_nop 1
	v_cndmask_b32_e32 v18, v18, v17, vcc
	v_lshrrev_b32_e32 v19, 24, v18
	v_cndmask_b32_e32 v1, v1, v16, vcc
	v_perm_b32 v18, v19, v18, s0
	v_cmp_gt_u32_e32 vcc, s52, v27
	s_mov_b32 s0, 0x3020104
	s_nop 0
	v_cndmask_b32_e32 v1, v1, v16, vcc
	v_cndmask_b32_e32 v16, v18, v17, vcc
	v_mov_b32_e32 v17, 8
	v_lshrrev_b32_sdwa v17, v17, v16 dst_sel:BYTE_1 dst_unused:UNUSED_PAD src0_sel:DWORD src1_sel:DWORD
	s_nop 0
	v_or_b32_sdwa v17, v16, v17 dst_sel:DWORD dst_unused:UNUSED_PAD src0_sel:BYTE_0 src1_sel:DWORD
	v_and_b32_e32 v17, 0xffff, v17
	v_bfe_u32 v16, v16, 16, 8
	v_lshl_or_b32 v17, v16, 16, v17
	v_perm_b32 v16, v1, v1, s0
.LBB180_326:
	s_waitcnt vmcnt(0) lgkmcnt(0)
	v_and_b32_e32 v1, 0xff, v16
	v_bfe_u32 v29, v16, 8, 8
	v_bfe_u32 v31, v16, 16, 8
	v_alignbit_b32 v18, v17, v16, 24
	v_and_b32_e32 v33, 0xff, v18
	v_and_b32_e32 v35, 0xff, v17
	v_add3_u32 v19, v29, v1, v31
	v_bfe_u32 v36, v17, 8, 8
	v_bfe_u32 v18, v17, 16, 8
	v_add3_u32 v19, v19, v33, v35
	v_add3_u32 v39, v19, v36, v18
	v_mbcnt_lo_u32_b32 v18, -1, 0
	v_mbcnt_hi_u32_b32 v37, -1, v18
	v_and_b32_e32 v18, 15, v37
	v_cmp_eq_u32_e64 s[14:15], 0, v18
	v_cmp_lt_u32_e64 s[12:13], 1, v18
	v_cmp_lt_u32_e64 s[10:11], 3, v18
	v_cmp_lt_u32_e64 s[8:9], 7, v18
	v_and_b32_e32 v18, 16, v37
	v_cmp_eq_u32_e64 s[6:7], 0, v18
	v_or_b32_e32 v18, 63, v0
	v_cmp_lt_u32_e64 s[2:3], 31, v37
	v_lshrrev_b32_e32 v38, 6, v0
	v_cmp_eq_u32_e64 s[4:5], v18, v0
	s_and_b64 vcc, exec, s[16:17]
	s_barrier
	s_cbranch_vccz .LBB180_357
; %bb.327:
	v_mov_b32_dpp v18, v39 row_shr:1 row_mask:0xf bank_mask:0xf
	v_cndmask_b32_e64 v18, v18, 0, s[14:15]
	v_add_u32_e32 v18, v18, v39
	s_nop 1
	v_mov_b32_dpp v19, v18 row_shr:2 row_mask:0xf bank_mask:0xf
	v_cndmask_b32_e64 v19, 0, v19, s[12:13]
	v_add_u32_e32 v18, v18, v19
	s_nop 1
	;; [unrolled: 4-line block ×4, first 2 shown]
	v_mov_b32_dpp v19, v18 row_bcast:15 row_mask:0xf bank_mask:0xf
	v_cndmask_b32_e64 v19, v19, 0, s[6:7]
	v_add_u32_e32 v18, v18, v19
	s_nop 1
	v_mov_b32_dpp v19, v18 row_bcast:31 row_mask:0xf bank_mask:0xf
	v_cndmask_b32_e64 v19, 0, v19, s[2:3]
	v_add_u32_e32 v18, v18, v19
	s_and_saveexec_b64 s[0:1], s[4:5]
	s_cbranch_execz .LBB180_329
; %bb.328:
	v_lshlrev_b32_e32 v19, 2, v38
	ds_write_b32 v19, v18
.LBB180_329:
	s_or_b64 exec, exec, s[0:1]
	v_cmp_gt_u32_e32 vcc, 8, v0
	s_waitcnt lgkmcnt(0)
	s_barrier
	s_and_saveexec_b64 s[0:1], vcc
	s_cbranch_execz .LBB180_331
; %bb.330:
	v_lshlrev_b32_e32 v19, 2, v0
	ds_read_b32 v20, v19
	v_and_b32_e32 v21, 7, v37
	v_cmp_ne_u32_e32 vcc, 0, v21
	s_waitcnt lgkmcnt(0)
	v_mov_b32_dpp v22, v20 row_shr:1 row_mask:0xf bank_mask:0xf
	v_cndmask_b32_e32 v22, 0, v22, vcc
	v_add_u32_e32 v20, v22, v20
	v_cmp_lt_u32_e32 vcc, 1, v21
	s_nop 0
	v_mov_b32_dpp v22, v20 row_shr:2 row_mask:0xf bank_mask:0xf
	v_cndmask_b32_e32 v22, 0, v22, vcc
	v_add_u32_e32 v20, v20, v22
	v_cmp_lt_u32_e32 vcc, 3, v21
	s_nop 0
	v_mov_b32_dpp v22, v20 row_shr:4 row_mask:0xf bank_mask:0xf
	v_cndmask_b32_e32 v21, 0, v22, vcc
	v_add_u32_e32 v20, v20, v21
	ds_write_b32 v19, v20
.LBB180_331:
	s_or_b64 exec, exec, s[0:1]
	v_cmp_gt_u32_e32 vcc, 64, v0
	v_cmp_lt_u32_e64 s[0:1], 63, v0
	s_waitcnt lgkmcnt(0)
	s_barrier
	s_waitcnt lgkmcnt(0)
                                        ; implicit-def: $vgpr28
	s_and_saveexec_b64 s[16:17], s[0:1]
	s_cbranch_execz .LBB180_333
; %bb.332:
	v_lshl_add_u32 v19, v38, 2, -4
	ds_read_b32 v28, v19
	s_waitcnt lgkmcnt(0)
	v_add_u32_e32 v18, v28, v18
.LBB180_333:
	s_or_b64 exec, exec, s[16:17]
	v_add_u32_e32 v19, -1, v37
	v_and_b32_e32 v20, 64, v37
	v_cmp_lt_i32_e64 s[0:1], v19, v20
	v_cmp_eq_u32_e64 s[16:17], 0, v37
	s_nop 0
	v_cndmask_b32_e64 v19, v19, v37, s[0:1]
	v_lshlrev_b32_e32 v19, 2, v19
	ds_bpermute_b32 v30, v19, v18
	s_and_saveexec_b64 s[0:1], vcc
	s_cbranch_execz .LBB180_356
; %bb.334:
	v_mov_b32_e32 v27, 0
	ds_read_b32 v18, v27 offset:28
	s_and_saveexec_b64 s[26:27], s[16:17]
	s_cbranch_execz .LBB180_336
; %bb.335:
	s_add_i32 s28, s33, 64
	s_mov_b32 s29, 0
	s_lshl_b64 s[28:29], s[28:29], 3
	s_add_u32 s28, s30, s28
	v_mov_b32_e32 v19, 1
	s_addc_u32 s29, s31, s29
	s_waitcnt lgkmcnt(0)
	global_store_dwordx2 v27, v[18:19], s[28:29] sc1
.LBB180_336:
	s_or_b64 exec, exec, s[26:27]
	v_xad_u32 v20, v37, -1, s33
	v_add_u32_e32 v26, 64, v20
	v_lshl_add_u64 v[22:23], v[26:27], 3, s[30:31]
	global_load_dwordx2 v[24:25], v[22:23], off sc1
	s_waitcnt vmcnt(0)
	v_cmp_eq_u16_sdwa s[28:29], v25, v27 src0_sel:BYTE_0 src1_sel:DWORD
	s_and_saveexec_b64 s[26:27], s[28:29]
	s_cbranch_execz .LBB180_342
; %bb.337:
	s_mov_b32 s38, 1
	s_mov_b64 s[28:29], 0
	v_mov_b32_e32 v19, 0
.LBB180_338:                            ; =>This Loop Header: Depth=1
                                        ;     Child Loop BB180_339 Depth 2
	s_max_u32 s39, s38, 1
.LBB180_339:                            ;   Parent Loop BB180_338 Depth=1
                                        ; =>  This Inner Loop Header: Depth=2
	s_add_i32 s39, s39, -1
	s_cmp_eq_u32 s39, 0
	s_sleep 1
	s_cbranch_scc0 .LBB180_339
; %bb.340:                              ;   in Loop: Header=BB180_338 Depth=1
	global_load_dwordx2 v[24:25], v[22:23], off sc1
	s_cmp_lt_u32 s38, 32
	s_cselect_b64 s[40:41], -1, 0
	s_cmp_lg_u64 s[40:41], 0
	s_addc_u32 s38, s38, 0
	s_waitcnt vmcnt(0)
	v_cmp_ne_u16_sdwa s[40:41], v25, v19 src0_sel:BYTE_0 src1_sel:DWORD
	s_or_b64 s[28:29], s[40:41], s[28:29]
	s_andn2_b64 exec, exec, s[28:29]
	s_cbranch_execnz .LBB180_338
; %bb.341:
	s_or_b64 exec, exec, s[28:29]
.LBB180_342:
	s_or_b64 exec, exec, s[26:27]
	v_and_b32_e32 v32, 63, v37
	v_mov_b32_e32 v19, 2
	v_cmp_ne_u32_e32 vcc, 63, v32
	v_cmp_eq_u16_sdwa s[26:27], v25, v19 src0_sel:BYTE_0 src1_sel:DWORD
	v_lshlrev_b64 v[22:23], v37, -1
	v_addc_co_u32_e32 v27, vcc, 0, v37, vcc
	v_and_b32_e32 v21, s27, v23
	v_lshlrev_b32_e32 v34, 2, v27
	v_or_b32_e32 v21, 0x80000000, v21
	ds_bpermute_b32 v27, v34, v24
	v_and_b32_e32 v26, s26, v22
	v_ffbl_b32_e32 v21, v21
	v_add_u32_e32 v21, 32, v21
	v_ffbl_b32_e32 v26, v26
	v_min_u32_e32 v21, v26, v21
	v_cmp_lt_u32_e32 vcc, v32, v21
	v_add_u32_e32 v41, 2, v32
	v_add_u32_e32 v43, 4, v32
	s_waitcnt lgkmcnt(0)
	v_cndmask_b32_e32 v26, 0, v27, vcc
	v_cmp_gt_u32_e32 vcc, 62, v32
	v_add_u32_e32 v24, v26, v24
	v_add_u32_e32 v45, 8, v32
	v_cndmask_b32_e64 v26, 0, 1, vcc
	v_lshlrev_b32_e32 v26, 1, v26
	v_add_lshl_u32 v40, v26, v37, 2
	ds_bpermute_b32 v26, v40, v24
	v_cmp_le_u32_e32 vcc, v41, v21
	v_add_u32_e32 v48, 16, v32
	v_add_u32_e32 v50, 32, v32
	s_waitcnt lgkmcnt(0)
	v_cndmask_b32_e32 v26, 0, v26, vcc
	v_cmp_gt_u32_e32 vcc, 60, v32
	v_add_u32_e32 v24, v24, v26
	s_nop 0
	v_cndmask_b32_e64 v26, 0, 1, vcc
	v_lshlrev_b32_e32 v26, 2, v26
	v_add_lshl_u32 v42, v26, v37, 2
	ds_bpermute_b32 v26, v42, v24
	v_cmp_le_u32_e32 vcc, v43, v21
	s_waitcnt lgkmcnt(0)
	s_nop 0
	v_cndmask_b32_e32 v26, 0, v26, vcc
	v_cmp_gt_u32_e32 vcc, 56, v32
	v_add_u32_e32 v24, v24, v26
	s_nop 0
	v_cndmask_b32_e64 v26, 0, 1, vcc
	v_lshlrev_b32_e32 v26, 3, v26
	v_add_lshl_u32 v44, v26, v37, 2
	ds_bpermute_b32 v26, v44, v24
	v_cmp_le_u32_e32 vcc, v45, v21
	s_waitcnt lgkmcnt(0)
	s_nop 0
	;; [unrolled: 11-line block ×4, first 2 shown]
	v_cndmask_b32_e32 v21, 0, v26, vcc
	v_add_u32_e32 v24, v24, v21
	v_mov_b32_e32 v21, 0
	s_branch .LBB180_344
.LBB180_343:                            ;   in Loop: Header=BB180_344 Depth=1
	s_or_b64 exec, exec, s[26:27]
	v_cmp_eq_u16_sdwa s[26:27], v25, v19 src0_sel:BYTE_0 src1_sel:DWORD
	ds_bpermute_b32 v51, v34, v24
	v_subrev_u32_e32 v20, 64, v20
	v_and_b32_e32 v26, s27, v23
	v_or_b32_e32 v26, 0x80000000, v26
	v_and_b32_e32 v27, s26, v22
	v_ffbl_b32_e32 v26, v26
	v_add_u32_e32 v26, 32, v26
	v_ffbl_b32_e32 v27, v27
	v_min_u32_e32 v26, v27, v26
	v_cmp_lt_u32_e32 vcc, v32, v26
	s_waitcnt lgkmcnt(0)
	s_nop 0
	v_cndmask_b32_e32 v27, 0, v51, vcc
	v_add_u32_e32 v24, v27, v24
	ds_bpermute_b32 v27, v40, v24
	v_cmp_le_u32_e32 vcc, v41, v26
	s_waitcnt lgkmcnt(0)
	s_nop 0
	v_cndmask_b32_e32 v27, 0, v27, vcc
	v_add_u32_e32 v24, v24, v27
	ds_bpermute_b32 v27, v42, v24
	v_cmp_le_u32_e32 vcc, v43, v26
	;; [unrolled: 6-line block ×5, first 2 shown]
	s_waitcnt lgkmcnt(0)
	s_nop 0
	v_cndmask_b32_e32 v26, 0, v27, vcc
	v_add3_u32 v24, v26, v46, v24
.LBB180_344:                            ; =>This Loop Header: Depth=1
                                        ;     Child Loop BB180_347 Depth 2
                                        ;       Child Loop BB180_348 Depth 3
	v_cmp_ne_u16_sdwa s[26:27], v25, v19 src0_sel:BYTE_0 src1_sel:DWORD
	v_mov_b32_e32 v46, v24
	s_nop 0
	v_cndmask_b32_e64 v25, 0, 1, s[26:27]
	;;#ASMSTART
	;;#ASMEND
	s_nop 0
	v_cmp_ne_u32_e32 vcc, 0, v25
	s_cmp_lg_u64 vcc, exec
	s_cbranch_scc1 .LBB180_351
; %bb.345:                              ;   in Loop: Header=BB180_344 Depth=1
	v_lshl_add_u64 v[26:27], v[20:21], 3, s[30:31]
	global_load_dwordx2 v[24:25], v[26:27], off sc1
	s_waitcnt vmcnt(0)
	v_cmp_eq_u16_sdwa s[28:29], v25, v21 src0_sel:BYTE_0 src1_sel:DWORD
	s_and_saveexec_b64 s[26:27], s[28:29]
	s_cbranch_execz .LBB180_343
; %bb.346:                              ;   in Loop: Header=BB180_344 Depth=1
	s_mov_b32 s38, 1
	s_mov_b64 s[28:29], 0
.LBB180_347:                            ;   Parent Loop BB180_344 Depth=1
                                        ; =>  This Loop Header: Depth=2
                                        ;       Child Loop BB180_348 Depth 3
	s_max_u32 s39, s38, 1
.LBB180_348:                            ;   Parent Loop BB180_344 Depth=1
                                        ;     Parent Loop BB180_347 Depth=2
                                        ; =>    This Inner Loop Header: Depth=3
	s_add_i32 s39, s39, -1
	s_cmp_eq_u32 s39, 0
	s_sleep 1
	s_cbranch_scc0 .LBB180_348
; %bb.349:                              ;   in Loop: Header=BB180_347 Depth=2
	global_load_dwordx2 v[24:25], v[26:27], off sc1
	s_cmp_lt_u32 s38, 32
	s_cselect_b64 s[40:41], -1, 0
	s_cmp_lg_u64 s[40:41], 0
	s_addc_u32 s38, s38, 0
	s_waitcnt vmcnt(0)
	v_cmp_ne_u16_sdwa s[40:41], v25, v21 src0_sel:BYTE_0 src1_sel:DWORD
	s_or_b64 s[28:29], s[40:41], s[28:29]
	s_andn2_b64 exec, exec, s[28:29]
	s_cbranch_execnz .LBB180_347
; %bb.350:                              ;   in Loop: Header=BB180_344 Depth=1
	s_or_b64 exec, exec, s[28:29]
	s_branch .LBB180_343
.LBB180_351:                            ;   in Loop: Header=BB180_344 Depth=1
                                        ; implicit-def: $vgpr24
                                        ; implicit-def: $vgpr25
	s_cbranch_execz .LBB180_344
; %bb.352:
	s_and_saveexec_b64 s[26:27], s[16:17]
	s_cbranch_execz .LBB180_354
; %bb.353:
	s_add_i32 s28, s33, 64
	s_mov_b32 s29, 0
	s_lshl_b64 s[28:29], s[28:29], 3
	s_add_u32 s28, s30, s28
	v_add_u32_e32 v20, v46, v18
	v_mov_b32_e32 v21, 2
	s_addc_u32 s29, s31, s29
	v_mov_b32_e32 v19, 0
	global_store_dwordx2 v19, v[20:21], s[28:29] sc1
	s_movk_i32 s28, 0x7000
	v_add_u32_e64 v19, s28, 0
	ds_write2_b32 v19, v18, v46 offset1:2
.LBB180_354:
	s_or_b64 exec, exec, s[26:27]
	s_and_b64 exec, exec, s[18:19]
	s_cbranch_execz .LBB180_356
; %bb.355:
	v_mov_b32_e32 v18, 0
	ds_write_b32 v18, v46 offset:28
.LBB180_356:
	s_or_b64 exec, exec, s[0:1]
	v_mov_b32_e32 v18, 0
	s_waitcnt lgkmcnt(0)
	s_barrier
	ds_read_b32 v18, v18 offset:28
	v_cndmask_b32_e64 v19, v30, v28, s[16:17]
	v_cndmask_b32_e64 v19, v19, 0, s[18:19]
	s_movk_i32 s0, 0x7000
	s_waitcnt lgkmcnt(0)
	v_add_u32_e32 v34, v18, v19
	v_add_u32_e32 v32, v34, v1
	v_add_u32_e64 v18, s0, 0
	v_add_u32_e32 v30, v32, v29
	s_barrier
	ds_read2_b32 v[18:19], v18 offset1:2
	v_add_u32_e32 v28, v30, v31
	v_add_u32_e32 v26, v28, v33
	;; [unrolled: 1-line block ×4, first 2 shown]
	v_lshrrev_b64 v[20:21], 24, v[16:17]
	s_branch .LBB180_367
.LBB180_357:
                                        ; implicit-def: $vgpr22
                                        ; implicit-def: $vgpr24
                                        ; implicit-def: $vgpr26
                                        ; implicit-def: $vgpr28
                                        ; implicit-def: $vgpr30
                                        ; implicit-def: $vgpr32
                                        ; implicit-def: $vgpr34
                                        ; implicit-def: $vgpr19
	v_lshrrev_b64 v[20:21], 24, v[16:17]
	s_cbranch_execz .LBB180_367
; %bb.358:
	s_waitcnt lgkmcnt(0)
	v_mov_b32_dpp v18, v39 row_shr:1 row_mask:0xf bank_mask:0xf
	v_cndmask_b32_e64 v18, v18, 0, s[14:15]
	v_add_u32_e32 v18, v18, v39
	s_nop 1
	v_mov_b32_dpp v19, v18 row_shr:2 row_mask:0xf bank_mask:0xf
	v_cndmask_b32_e64 v19, 0, v19, s[12:13]
	v_add_u32_e32 v18, v18, v19
	s_nop 1
	;; [unrolled: 4-line block ×4, first 2 shown]
	v_mov_b32_dpp v19, v18 row_bcast:15 row_mask:0xf bank_mask:0xf
	v_cndmask_b32_e64 v19, v19, 0, s[6:7]
	v_add_u32_e32 v18, v18, v19
	s_nop 1
	v_mov_b32_dpp v19, v18 row_bcast:31 row_mask:0xf bank_mask:0xf
	v_cndmask_b32_e64 v19, 0, v19, s[2:3]
	v_add_u32_e32 v18, v18, v19
	s_and_saveexec_b64 s[0:1], s[4:5]
	s_cbranch_execz .LBB180_360
; %bb.359:
	v_lshlrev_b32_e32 v19, 2, v38
	ds_write_b32 v19, v18
.LBB180_360:
	s_or_b64 exec, exec, s[0:1]
	v_cmp_gt_u32_e32 vcc, 8, v0
	s_waitcnt lgkmcnt(0)
	s_barrier
	s_and_saveexec_b64 s[0:1], vcc
	s_cbranch_execz .LBB180_362
; %bb.361:
	v_lshlrev_b32_e32 v19, 2, v0
	ds_read_b32 v21, v19
	v_and_b32_e32 v22, 7, v37
	v_cmp_ne_u32_e32 vcc, 0, v22
	s_waitcnt lgkmcnt(0)
	v_mov_b32_dpp v23, v21 row_shr:1 row_mask:0xf bank_mask:0xf
	v_cndmask_b32_e32 v23, 0, v23, vcc
	v_add_u32_e32 v21, v23, v21
	v_cmp_lt_u32_e32 vcc, 1, v22
	s_nop 0
	v_mov_b32_dpp v23, v21 row_shr:2 row_mask:0xf bank_mask:0xf
	v_cndmask_b32_e32 v23, 0, v23, vcc
	v_add_u32_e32 v21, v21, v23
	v_cmp_lt_u32_e32 vcc, 3, v22
	s_nop 0
	v_mov_b32_dpp v23, v21 row_shr:4 row_mask:0xf bank_mask:0xf
	v_cndmask_b32_e32 v22, 0, v23, vcc
	v_add_u32_e32 v21, v21, v22
	ds_write_b32 v19, v21
.LBB180_362:
	s_or_b64 exec, exec, s[0:1]
	v_cmp_lt_u32_e32 vcc, 63, v0
	v_mov_b32_e32 v19, 0
	v_mov_b32_e32 v21, 0
	s_waitcnt lgkmcnt(0)
	s_barrier
	s_and_saveexec_b64 s[0:1], vcc
	s_cbranch_execz .LBB180_364
; %bb.363:
	v_lshl_add_u32 v21, v38, 2, -4
	ds_read_b32 v21, v21
.LBB180_364:
	s_or_b64 exec, exec, s[0:1]
	v_add_u32_e32 v22, -1, v37
	v_and_b32_e32 v23, 64, v37
	v_cmp_lt_i32_e32 vcc, v22, v23
	s_waitcnt lgkmcnt(0)
	v_add_u32_e32 v18, v21, v18
	v_cndmask_b32_e32 v22, v22, v37, vcc
	v_lshlrev_b32_e32 v22, 2, v22
	ds_bpermute_b32 v22, v22, v18
	ds_read_b32 v18, v19 offset:28
	s_and_saveexec_b64 s[0:1], s[18:19]
	s_cbranch_execz .LBB180_366
; %bb.365:
	v_mov_b32_e32 v23, 0
	v_mov_b32_e32 v19, 2
	s_waitcnt lgkmcnt(0)
	global_store_dwordx2 v23, v[18:19], s[30:31] offset:512 sc1
.LBB180_366:
	s_or_b64 exec, exec, s[0:1]
	v_cmp_eq_u32_e32 vcc, 0, v37
	v_mov_b32_e32 v19, 0
	s_waitcnt lgkmcnt(0)
	v_cndmask_b32_e32 v21, v22, v21, vcc
	v_cndmask_b32_e64 v34, v21, 0, s[18:19]
	v_add_u32_e32 v32, v34, v1
	v_add_u32_e32 v30, v32, v29
	;; [unrolled: 1-line block ×6, first 2 shown]
	s_barrier
.LBB180_367:
	s_movk_i32 s0, 0x201
	s_waitcnt lgkmcnt(0)
	v_cmp_gt_u32_e32 vcc, s0, v18
	v_lshrrev_b32_e32 v21, 8, v16
	v_lshrrev_b32_e32 v1, 8, v17
	s_mov_b64 s[0:1], -1
	s_cbranch_vccnz .LBB180_371
; %bb.368:
	s_and_b64 vcc, exec, s[0:1]
	s_cbranch_vccnz .LBB180_393
.LBB180_369:
	s_and_b64 s[0:1], s[18:19], s[24:25]
	s_and_saveexec_b64 s[2:3], s[0:1]
	s_cbranch_execnz .LBB180_411
.LBB180_370:
	s_endpgm
.LBB180_371:
	v_add_u32_e32 v23, v19, v18
	v_cmp_lt_u32_e32 vcc, v34, v23
	s_or_b64 s[2:3], s[36:37], vcc
	s_and_saveexec_b64 s[0:1], s[2:3]
	s_cbranch_execz .LBB180_374
; %bb.372:
	v_and_b32_e32 v25, 1, v16
	v_cmp_eq_u32_e32 vcc, 1, v25
	s_and_b64 exec, exec, vcc
	s_cbranch_execz .LBB180_374
; %bb.373:
	s_lshl_b64 s[2:3], s[22:23], 3
	s_add_u32 s2, s34, s2
	s_addc_u32 s3, s35, s3
	v_mov_b32_e32 v35, 0
	v_lshl_add_u64 v[36:37], v[34:35], 3, s[2:3]
	global_store_dwordx2 v[36:37], v[10:11], off
.LBB180_374:
	s_or_b64 exec, exec, s[0:1]
	v_cmp_lt_u32_e32 vcc, v32, v23
	s_or_b64 s[2:3], s[36:37], vcc
	s_and_saveexec_b64 s[0:1], s[2:3]
	s_cbranch_execz .LBB180_377
; %bb.375:
	v_and_b32_e32 v25, 1, v21
	v_cmp_eq_u32_e32 vcc, 1, v25
	s_and_b64 exec, exec, vcc
	s_cbranch_execz .LBB180_377
; %bb.376:
	s_lshl_b64 s[2:3], s[22:23], 3
	s_add_u32 s2, s34, s2
	s_addc_u32 s3, s35, s3
	v_mov_b32_e32 v33, 0
	v_lshl_add_u64 v[36:37], v[32:33], 3, s[2:3]
	global_store_dwordx2 v[36:37], v[12:13], off
.LBB180_377:
	s_or_b64 exec, exec, s[0:1]
	v_cmp_lt_u32_e32 vcc, v30, v23
	s_or_b64 s[2:3], s[36:37], vcc
	s_and_saveexec_b64 s[0:1], s[2:3]
	s_cbranch_execz .LBB180_380
; %bb.378:
	v_mov_b32_e32 v25, 1
	v_and_b32_sdwa v25, v25, v16 dst_sel:DWORD dst_unused:UNUSED_PAD src0_sel:DWORD src1_sel:WORD_1
	v_cmp_eq_u32_e32 vcc, 1, v25
	s_and_b64 exec, exec, vcc
	s_cbranch_execz .LBB180_380
; %bb.379:
	s_lshl_b64 s[2:3], s[22:23], 3
	s_add_u32 s2, s34, s2
	s_addc_u32 s3, s35, s3
	v_mov_b32_e32 v31, 0
	v_lshl_add_u64 v[36:37], v[30:31], 3, s[2:3]
	global_store_dwordx2 v[36:37], v[6:7], off
.LBB180_380:
	s_or_b64 exec, exec, s[0:1]
	v_cmp_lt_u32_e32 vcc, v28, v23
	s_or_b64 s[2:3], s[36:37], vcc
	s_and_saveexec_b64 s[0:1], s[2:3]
	s_cbranch_execz .LBB180_383
; %bb.381:
	v_and_b32_e32 v25, 1, v20
	v_cmp_eq_u32_e32 vcc, 1, v25
	s_and_b64 exec, exec, vcc
	s_cbranch_execz .LBB180_383
; %bb.382:
	s_lshl_b64 s[2:3], s[22:23], 3
	s_add_u32 s2, s34, s2
	s_addc_u32 s3, s35, s3
	v_mov_b32_e32 v29, 0
	v_lshl_add_u64 v[36:37], v[28:29], 3, s[2:3]
	global_store_dwordx2 v[36:37], v[8:9], off
.LBB180_383:
	s_or_b64 exec, exec, s[0:1]
	v_cmp_lt_u32_e32 vcc, v26, v23
	s_or_b64 s[2:3], s[36:37], vcc
	s_and_saveexec_b64 s[0:1], s[2:3]
	s_cbranch_execz .LBB180_386
; %bb.384:
	v_and_b32_e32 v25, 1, v17
	v_cmp_eq_u32_e32 vcc, 1, v25
	s_and_b64 exec, exec, vcc
	s_cbranch_execz .LBB180_386
; %bb.385:
	s_lshl_b64 s[2:3], s[22:23], 3
	s_add_u32 s2, s34, s2
	s_addc_u32 s3, s35, s3
	v_mov_b32_e32 v27, 0
	v_lshl_add_u64 v[36:37], v[26:27], 3, s[2:3]
	global_store_dwordx2 v[36:37], v[2:3], off
.LBB180_386:
	;; [unrolled: 18-line block ×3, first 2 shown]
	s_or_b64 exec, exec, s[0:1]
	v_cmp_lt_u32_e32 vcc, v22, v23
	s_or_b64 s[2:3], s[36:37], vcc
	s_and_saveexec_b64 s[0:1], s[2:3]
	s_cbranch_execz .LBB180_392
; %bb.390:
	v_mov_b32_e32 v23, 1
	v_and_b32_sdwa v23, v23, v17 dst_sel:DWORD dst_unused:UNUSED_PAD src0_sel:DWORD src1_sel:WORD_1
	v_cmp_eq_u32_e32 vcc, 1, v23
	s_and_b64 exec, exec, vcc
	s_cbranch_execz .LBB180_392
; %bb.391:
	s_lshl_b64 s[2:3], s[22:23], 3
	s_add_u32 s2, s34, s2
	s_addc_u32 s3, s35, s3
	v_mov_b32_e32 v23, 0
	v_lshl_add_u64 v[36:37], v[22:23], 3, s[2:3]
	global_store_dwordx2 v[36:37], v[14:15], off
.LBB180_392:
	s_or_b64 exec, exec, s[0:1]
	s_branch .LBB180_369
.LBB180_393:
	v_and_b32_e32 v23, 1, v16
	v_cmp_eq_u32_e32 vcc, 1, v23
	s_and_saveexec_b64 s[0:1], vcc
	s_cbranch_execz .LBB180_395
; %bb.394:
	v_sub_u32_e32 v23, v34, v19
	v_lshlrev_b32_e32 v23, 3, v23
	ds_write_b64 v23, v[10:11]
.LBB180_395:
	s_or_b64 exec, exec, s[0:1]
	v_and_b32_e32 v10, 1, v21
	v_cmp_eq_u32_e32 vcc, 1, v10
	s_and_saveexec_b64 s[0:1], vcc
	s_cbranch_execz .LBB180_397
; %bb.396:
	v_sub_u32_e32 v10, v32, v19
	v_lshlrev_b32_e32 v10, 3, v10
	ds_write_b64 v10, v[12:13]
.LBB180_397:
	s_or_b64 exec, exec, s[0:1]
	v_mov_b32_e32 v10, 1
	v_and_b32_sdwa v10, v10, v16 dst_sel:DWORD dst_unused:UNUSED_PAD src0_sel:DWORD src1_sel:WORD_1
	v_cmp_eq_u32_e32 vcc, 1, v10
	s_and_saveexec_b64 s[0:1], vcc
	s_cbranch_execz .LBB180_399
; %bb.398:
	v_sub_u32_e32 v10, v30, v19
	v_lshlrev_b32_e32 v10, 3, v10
	ds_write_b64 v10, v[6:7]
.LBB180_399:
	s_or_b64 exec, exec, s[0:1]
	v_and_b32_e32 v6, 1, v20
	v_cmp_eq_u32_e32 vcc, 1, v6
	s_and_saveexec_b64 s[0:1], vcc
	s_cbranch_execz .LBB180_401
; %bb.400:
	v_sub_u32_e32 v6, v28, v19
	v_lshlrev_b32_e32 v6, 3, v6
	ds_write_b64 v6, v[8:9]
.LBB180_401:
	s_or_b64 exec, exec, s[0:1]
	v_and_b32_e32 v6, 1, v17
	;; [unrolled: 10-line block ×3, first 2 shown]
	v_cmp_eq_u32_e32 vcc, 1, v1
	s_and_saveexec_b64 s[0:1], vcc
	s_cbranch_execz .LBB180_405
; %bb.404:
	v_sub_u32_e32 v1, v24, v19
	v_lshlrev_b32_e32 v1, 3, v1
	ds_write_b64 v1, v[4:5]
.LBB180_405:
	s_or_b64 exec, exec, s[0:1]
	v_mov_b32_e32 v1, 1
	v_and_b32_sdwa v1, v1, v17 dst_sel:DWORD dst_unused:UNUSED_PAD src0_sel:DWORD src1_sel:WORD_1
	v_cmp_eq_u32_e32 vcc, 1, v1
	s_and_saveexec_b64 s[0:1], vcc
	s_cbranch_execz .LBB180_407
; %bb.406:
	v_sub_u32_e32 v1, v22, v19
	v_lshlrev_b32_e32 v1, 3, v1
	ds_write_b64 v1, v[14:15]
.LBB180_407:
	s_or_b64 exec, exec, s[0:1]
	v_cmp_lt_u32_e32 vcc, v0, v18
	s_waitcnt lgkmcnt(0)
	s_barrier
	s_and_saveexec_b64 s[0:1], vcc
	s_cbranch_execz .LBB180_410
; %bb.408:
	v_mov_b32_e32 v5, 0
	v_mov_b32_e32 v4, v19
	s_lshl_b64 s[2:3], s[22:23], 3
	v_lshlrev_b64 v[6:7], 3, v[4:5]
	v_lshl_add_u64 v[6:7], s[2:3], 0, v[6:7]
	v_lshlrev_b32_e32 v2, 3, v0
	v_mov_b32_e32 v3, v5
	v_lshl_add_u64 v[4:5], s[34:35], 0, v[6:7]
	v_lshl_add_u64 v[4:5], v[4:5], 0, v[2:3]
	s_mov_b64 s[2:3], 0
	s_mov_b64 s[4:5], 0x1000
.LBB180_409:                            ; =>This Inner Loop Header: Depth=1
	ds_read_b64 v[6:7], v2
	v_add_u32_e32 v0, 0x200, v0
	v_cmp_ge_u32_e32 vcc, v0, v18
	v_add_u32_e32 v2, 0x1000, v2
	s_or_b64 s[2:3], vcc, s[2:3]
	s_waitcnt lgkmcnt(0)
	global_store_dwordx2 v[4:5], v[6:7], off
	v_lshl_add_u64 v[4:5], v[4:5], 0, s[4:5]
	s_andn2_b64 exec, exec, s[2:3]
	s_cbranch_execnz .LBB180_409
.LBB180_410:
	s_or_b64 exec, exec, s[0:1]
	s_and_b64 s[0:1], s[18:19], s[24:25]
	s_and_saveexec_b64 s[2:3], s[0:1]
	s_cbranch_execz .LBB180_370
.LBB180_411:
	v_mov_b32_e32 v1, 0
	v_mov_b32_e32 v0, v18
	v_lshl_add_u64 v[2:3], s[22:23], 0, v[0:1]
	v_mov_b32_e32 v0, v19
	v_lshl_add_u64 v[2:3], v[2:3], 0, v[0:1]
	global_store_dwordx2 v1, v[2:3], s[20:21]
	s_endpgm
	.section	.rodata,"a",@progbits
	.p2align	6, 0x0
	.amdhsa_kernel _ZN7rocprim17ROCPRIM_400000_NS6detail17trampoline_kernelINS0_14default_configENS1_25partition_config_selectorILNS1_17partition_subalgoE8ElNS0_10empty_typeEbEEZZNS1_14partition_implILS5_8ELb0ES3_jPlPS6_PKS6_NS0_5tupleIJS9_S6_EEENSD_IJSA_SA_EEENS0_18inequality_wrapperIZN2at6native12_GLOBAL__N_124unique_dim_cuda_templateIhEESt5tupleIJNSH_6TensorESM_SM_EERKSM_lbbbEUlllE0_EEPmJS6_EEE10hipError_tPvRmT3_T4_T5_T6_T7_T9_mT8_P12ihipStream_tbDpT10_ENKUlT_T0_E_clISt17integral_constantIbLb1EES1C_EEDaS17_S18_EUlS17_E_NS1_11comp_targetILNS1_3genE5ELNS1_11target_archE942ELNS1_3gpuE9ELNS1_3repE0EEENS1_30default_config_static_selectorELNS0_4arch9wavefront6targetE1EEEvT1_
		.amdhsa_group_segment_fixed_size 28684
		.amdhsa_private_segment_fixed_size 0
		.amdhsa_kernarg_size 136
		.amdhsa_user_sgpr_count 2
		.amdhsa_user_sgpr_dispatch_ptr 0
		.amdhsa_user_sgpr_queue_ptr 0
		.amdhsa_user_sgpr_kernarg_segment_ptr 1
		.amdhsa_user_sgpr_dispatch_id 0
		.amdhsa_user_sgpr_kernarg_preload_length 0
		.amdhsa_user_sgpr_kernarg_preload_offset 0
		.amdhsa_user_sgpr_private_segment_size 0
		.amdhsa_uses_dynamic_stack 0
		.amdhsa_enable_private_segment 0
		.amdhsa_system_sgpr_workgroup_id_x 1
		.amdhsa_system_sgpr_workgroup_id_y 0
		.amdhsa_system_sgpr_workgroup_id_z 0
		.amdhsa_system_sgpr_workgroup_info 0
		.amdhsa_system_vgpr_workitem_id 0
		.amdhsa_next_free_vgpr 52
		.amdhsa_next_free_sgpr 56
		.amdhsa_accum_offset 52
		.amdhsa_reserve_vcc 1
		.amdhsa_float_round_mode_32 0
		.amdhsa_float_round_mode_16_64 0
		.amdhsa_float_denorm_mode_32 3
		.amdhsa_float_denorm_mode_16_64 3
		.amdhsa_dx10_clamp 1
		.amdhsa_ieee_mode 1
		.amdhsa_fp16_overflow 0
		.amdhsa_tg_split 0
		.amdhsa_exception_fp_ieee_invalid_op 0
		.amdhsa_exception_fp_denorm_src 0
		.amdhsa_exception_fp_ieee_div_zero 0
		.amdhsa_exception_fp_ieee_overflow 0
		.amdhsa_exception_fp_ieee_underflow 0
		.amdhsa_exception_fp_ieee_inexact 0
		.amdhsa_exception_int_div_zero 0
	.end_amdhsa_kernel
	.section	.text._ZN7rocprim17ROCPRIM_400000_NS6detail17trampoline_kernelINS0_14default_configENS1_25partition_config_selectorILNS1_17partition_subalgoE8ElNS0_10empty_typeEbEEZZNS1_14partition_implILS5_8ELb0ES3_jPlPS6_PKS6_NS0_5tupleIJS9_S6_EEENSD_IJSA_SA_EEENS0_18inequality_wrapperIZN2at6native12_GLOBAL__N_124unique_dim_cuda_templateIhEESt5tupleIJNSH_6TensorESM_SM_EERKSM_lbbbEUlllE0_EEPmJS6_EEE10hipError_tPvRmT3_T4_T5_T6_T7_T9_mT8_P12ihipStream_tbDpT10_ENKUlT_T0_E_clISt17integral_constantIbLb1EES1C_EEDaS17_S18_EUlS17_E_NS1_11comp_targetILNS1_3genE5ELNS1_11target_archE942ELNS1_3gpuE9ELNS1_3repE0EEENS1_30default_config_static_selectorELNS0_4arch9wavefront6targetE1EEEvT1_,"axG",@progbits,_ZN7rocprim17ROCPRIM_400000_NS6detail17trampoline_kernelINS0_14default_configENS1_25partition_config_selectorILNS1_17partition_subalgoE8ElNS0_10empty_typeEbEEZZNS1_14partition_implILS5_8ELb0ES3_jPlPS6_PKS6_NS0_5tupleIJS9_S6_EEENSD_IJSA_SA_EEENS0_18inequality_wrapperIZN2at6native12_GLOBAL__N_124unique_dim_cuda_templateIhEESt5tupleIJNSH_6TensorESM_SM_EERKSM_lbbbEUlllE0_EEPmJS6_EEE10hipError_tPvRmT3_T4_T5_T6_T7_T9_mT8_P12ihipStream_tbDpT10_ENKUlT_T0_E_clISt17integral_constantIbLb1EES1C_EEDaS17_S18_EUlS17_E_NS1_11comp_targetILNS1_3genE5ELNS1_11target_archE942ELNS1_3gpuE9ELNS1_3repE0EEENS1_30default_config_static_selectorELNS0_4arch9wavefront6targetE1EEEvT1_,comdat
.Lfunc_end180:
	.size	_ZN7rocprim17ROCPRIM_400000_NS6detail17trampoline_kernelINS0_14default_configENS1_25partition_config_selectorILNS1_17partition_subalgoE8ElNS0_10empty_typeEbEEZZNS1_14partition_implILS5_8ELb0ES3_jPlPS6_PKS6_NS0_5tupleIJS9_S6_EEENSD_IJSA_SA_EEENS0_18inequality_wrapperIZN2at6native12_GLOBAL__N_124unique_dim_cuda_templateIhEESt5tupleIJNSH_6TensorESM_SM_EERKSM_lbbbEUlllE0_EEPmJS6_EEE10hipError_tPvRmT3_T4_T5_T6_T7_T9_mT8_P12ihipStream_tbDpT10_ENKUlT_T0_E_clISt17integral_constantIbLb1EES1C_EEDaS17_S18_EUlS17_E_NS1_11comp_targetILNS1_3genE5ELNS1_11target_archE942ELNS1_3gpuE9ELNS1_3repE0EEENS1_30default_config_static_selectorELNS0_4arch9wavefront6targetE1EEEvT1_, .Lfunc_end180-_ZN7rocprim17ROCPRIM_400000_NS6detail17trampoline_kernelINS0_14default_configENS1_25partition_config_selectorILNS1_17partition_subalgoE8ElNS0_10empty_typeEbEEZZNS1_14partition_implILS5_8ELb0ES3_jPlPS6_PKS6_NS0_5tupleIJS9_S6_EEENSD_IJSA_SA_EEENS0_18inequality_wrapperIZN2at6native12_GLOBAL__N_124unique_dim_cuda_templateIhEESt5tupleIJNSH_6TensorESM_SM_EERKSM_lbbbEUlllE0_EEPmJS6_EEE10hipError_tPvRmT3_T4_T5_T6_T7_T9_mT8_P12ihipStream_tbDpT10_ENKUlT_T0_E_clISt17integral_constantIbLb1EES1C_EEDaS17_S18_EUlS17_E_NS1_11comp_targetILNS1_3genE5ELNS1_11target_archE942ELNS1_3gpuE9ELNS1_3repE0EEENS1_30default_config_static_selectorELNS0_4arch9wavefront6targetE1EEEvT1_
                                        ; -- End function
	.section	.AMDGPU.csdata,"",@progbits
; Kernel info:
; codeLenInByte = 12412
; NumSgprs: 62
; NumVgprs: 52
; NumAgprs: 0
; TotalNumVgprs: 52
; ScratchSize: 0
; MemoryBound: 0
; FloatMode: 240
; IeeeMode: 1
; LDSByteSize: 28684 bytes/workgroup (compile time only)
; SGPRBlocks: 7
; VGPRBlocks: 6
; NumSGPRsForWavesPerEU: 62
; NumVGPRsForWavesPerEU: 52
; AccumOffset: 52
; Occupancy: 4
; WaveLimiterHint : 1
; COMPUTE_PGM_RSRC2:SCRATCH_EN: 0
; COMPUTE_PGM_RSRC2:USER_SGPR: 2
; COMPUTE_PGM_RSRC2:TRAP_HANDLER: 0
; COMPUTE_PGM_RSRC2:TGID_X_EN: 1
; COMPUTE_PGM_RSRC2:TGID_Y_EN: 0
; COMPUTE_PGM_RSRC2:TGID_Z_EN: 0
; COMPUTE_PGM_RSRC2:TIDIG_COMP_CNT: 0
; COMPUTE_PGM_RSRC3_GFX90A:ACCUM_OFFSET: 12
; COMPUTE_PGM_RSRC3_GFX90A:TG_SPLIT: 0
	.section	.text._ZN7rocprim17ROCPRIM_400000_NS6detail17trampoline_kernelINS0_14default_configENS1_25partition_config_selectorILNS1_17partition_subalgoE8ElNS0_10empty_typeEbEEZZNS1_14partition_implILS5_8ELb0ES3_jPlPS6_PKS6_NS0_5tupleIJS9_S6_EEENSD_IJSA_SA_EEENS0_18inequality_wrapperIZN2at6native12_GLOBAL__N_124unique_dim_cuda_templateIhEESt5tupleIJNSH_6TensorESM_SM_EERKSM_lbbbEUlllE0_EEPmJS6_EEE10hipError_tPvRmT3_T4_T5_T6_T7_T9_mT8_P12ihipStream_tbDpT10_ENKUlT_T0_E_clISt17integral_constantIbLb1EES1C_EEDaS17_S18_EUlS17_E_NS1_11comp_targetILNS1_3genE4ELNS1_11target_archE910ELNS1_3gpuE8ELNS1_3repE0EEENS1_30default_config_static_selectorELNS0_4arch9wavefront6targetE1EEEvT1_,"axG",@progbits,_ZN7rocprim17ROCPRIM_400000_NS6detail17trampoline_kernelINS0_14default_configENS1_25partition_config_selectorILNS1_17partition_subalgoE8ElNS0_10empty_typeEbEEZZNS1_14partition_implILS5_8ELb0ES3_jPlPS6_PKS6_NS0_5tupleIJS9_S6_EEENSD_IJSA_SA_EEENS0_18inequality_wrapperIZN2at6native12_GLOBAL__N_124unique_dim_cuda_templateIhEESt5tupleIJNSH_6TensorESM_SM_EERKSM_lbbbEUlllE0_EEPmJS6_EEE10hipError_tPvRmT3_T4_T5_T6_T7_T9_mT8_P12ihipStream_tbDpT10_ENKUlT_T0_E_clISt17integral_constantIbLb1EES1C_EEDaS17_S18_EUlS17_E_NS1_11comp_targetILNS1_3genE4ELNS1_11target_archE910ELNS1_3gpuE8ELNS1_3repE0EEENS1_30default_config_static_selectorELNS0_4arch9wavefront6targetE1EEEvT1_,comdat
	.globl	_ZN7rocprim17ROCPRIM_400000_NS6detail17trampoline_kernelINS0_14default_configENS1_25partition_config_selectorILNS1_17partition_subalgoE8ElNS0_10empty_typeEbEEZZNS1_14partition_implILS5_8ELb0ES3_jPlPS6_PKS6_NS0_5tupleIJS9_S6_EEENSD_IJSA_SA_EEENS0_18inequality_wrapperIZN2at6native12_GLOBAL__N_124unique_dim_cuda_templateIhEESt5tupleIJNSH_6TensorESM_SM_EERKSM_lbbbEUlllE0_EEPmJS6_EEE10hipError_tPvRmT3_T4_T5_T6_T7_T9_mT8_P12ihipStream_tbDpT10_ENKUlT_T0_E_clISt17integral_constantIbLb1EES1C_EEDaS17_S18_EUlS17_E_NS1_11comp_targetILNS1_3genE4ELNS1_11target_archE910ELNS1_3gpuE8ELNS1_3repE0EEENS1_30default_config_static_selectorELNS0_4arch9wavefront6targetE1EEEvT1_ ; -- Begin function _ZN7rocprim17ROCPRIM_400000_NS6detail17trampoline_kernelINS0_14default_configENS1_25partition_config_selectorILNS1_17partition_subalgoE8ElNS0_10empty_typeEbEEZZNS1_14partition_implILS5_8ELb0ES3_jPlPS6_PKS6_NS0_5tupleIJS9_S6_EEENSD_IJSA_SA_EEENS0_18inequality_wrapperIZN2at6native12_GLOBAL__N_124unique_dim_cuda_templateIhEESt5tupleIJNSH_6TensorESM_SM_EERKSM_lbbbEUlllE0_EEPmJS6_EEE10hipError_tPvRmT3_T4_T5_T6_T7_T9_mT8_P12ihipStream_tbDpT10_ENKUlT_T0_E_clISt17integral_constantIbLb1EES1C_EEDaS17_S18_EUlS17_E_NS1_11comp_targetILNS1_3genE4ELNS1_11target_archE910ELNS1_3gpuE8ELNS1_3repE0EEENS1_30default_config_static_selectorELNS0_4arch9wavefront6targetE1EEEvT1_
	.p2align	8
	.type	_ZN7rocprim17ROCPRIM_400000_NS6detail17trampoline_kernelINS0_14default_configENS1_25partition_config_selectorILNS1_17partition_subalgoE8ElNS0_10empty_typeEbEEZZNS1_14partition_implILS5_8ELb0ES3_jPlPS6_PKS6_NS0_5tupleIJS9_S6_EEENSD_IJSA_SA_EEENS0_18inequality_wrapperIZN2at6native12_GLOBAL__N_124unique_dim_cuda_templateIhEESt5tupleIJNSH_6TensorESM_SM_EERKSM_lbbbEUlllE0_EEPmJS6_EEE10hipError_tPvRmT3_T4_T5_T6_T7_T9_mT8_P12ihipStream_tbDpT10_ENKUlT_T0_E_clISt17integral_constantIbLb1EES1C_EEDaS17_S18_EUlS17_E_NS1_11comp_targetILNS1_3genE4ELNS1_11target_archE910ELNS1_3gpuE8ELNS1_3repE0EEENS1_30default_config_static_selectorELNS0_4arch9wavefront6targetE1EEEvT1_,@function
_ZN7rocprim17ROCPRIM_400000_NS6detail17trampoline_kernelINS0_14default_configENS1_25partition_config_selectorILNS1_17partition_subalgoE8ElNS0_10empty_typeEbEEZZNS1_14partition_implILS5_8ELb0ES3_jPlPS6_PKS6_NS0_5tupleIJS9_S6_EEENSD_IJSA_SA_EEENS0_18inequality_wrapperIZN2at6native12_GLOBAL__N_124unique_dim_cuda_templateIhEESt5tupleIJNSH_6TensorESM_SM_EERKSM_lbbbEUlllE0_EEPmJS6_EEE10hipError_tPvRmT3_T4_T5_T6_T7_T9_mT8_P12ihipStream_tbDpT10_ENKUlT_T0_E_clISt17integral_constantIbLb1EES1C_EEDaS17_S18_EUlS17_E_NS1_11comp_targetILNS1_3genE4ELNS1_11target_archE910ELNS1_3gpuE8ELNS1_3repE0EEENS1_30default_config_static_selectorELNS0_4arch9wavefront6targetE1EEEvT1_: ; @_ZN7rocprim17ROCPRIM_400000_NS6detail17trampoline_kernelINS0_14default_configENS1_25partition_config_selectorILNS1_17partition_subalgoE8ElNS0_10empty_typeEbEEZZNS1_14partition_implILS5_8ELb0ES3_jPlPS6_PKS6_NS0_5tupleIJS9_S6_EEENSD_IJSA_SA_EEENS0_18inequality_wrapperIZN2at6native12_GLOBAL__N_124unique_dim_cuda_templateIhEESt5tupleIJNSH_6TensorESM_SM_EERKSM_lbbbEUlllE0_EEPmJS6_EEE10hipError_tPvRmT3_T4_T5_T6_T7_T9_mT8_P12ihipStream_tbDpT10_ENKUlT_T0_E_clISt17integral_constantIbLb1EES1C_EEDaS17_S18_EUlS17_E_NS1_11comp_targetILNS1_3genE4ELNS1_11target_archE910ELNS1_3gpuE8ELNS1_3repE0EEENS1_30default_config_static_selectorELNS0_4arch9wavefront6targetE1EEEvT1_
; %bb.0:
	.section	.rodata,"a",@progbits
	.p2align	6, 0x0
	.amdhsa_kernel _ZN7rocprim17ROCPRIM_400000_NS6detail17trampoline_kernelINS0_14default_configENS1_25partition_config_selectorILNS1_17partition_subalgoE8ElNS0_10empty_typeEbEEZZNS1_14partition_implILS5_8ELb0ES3_jPlPS6_PKS6_NS0_5tupleIJS9_S6_EEENSD_IJSA_SA_EEENS0_18inequality_wrapperIZN2at6native12_GLOBAL__N_124unique_dim_cuda_templateIhEESt5tupleIJNSH_6TensorESM_SM_EERKSM_lbbbEUlllE0_EEPmJS6_EEE10hipError_tPvRmT3_T4_T5_T6_T7_T9_mT8_P12ihipStream_tbDpT10_ENKUlT_T0_E_clISt17integral_constantIbLb1EES1C_EEDaS17_S18_EUlS17_E_NS1_11comp_targetILNS1_3genE4ELNS1_11target_archE910ELNS1_3gpuE8ELNS1_3repE0EEENS1_30default_config_static_selectorELNS0_4arch9wavefront6targetE1EEEvT1_
		.amdhsa_group_segment_fixed_size 0
		.amdhsa_private_segment_fixed_size 0
		.amdhsa_kernarg_size 136
		.amdhsa_user_sgpr_count 2
		.amdhsa_user_sgpr_dispatch_ptr 0
		.amdhsa_user_sgpr_queue_ptr 0
		.amdhsa_user_sgpr_kernarg_segment_ptr 1
		.amdhsa_user_sgpr_dispatch_id 0
		.amdhsa_user_sgpr_kernarg_preload_length 0
		.amdhsa_user_sgpr_kernarg_preload_offset 0
		.amdhsa_user_sgpr_private_segment_size 0
		.amdhsa_uses_dynamic_stack 0
		.amdhsa_enable_private_segment 0
		.amdhsa_system_sgpr_workgroup_id_x 1
		.amdhsa_system_sgpr_workgroup_id_y 0
		.amdhsa_system_sgpr_workgroup_id_z 0
		.amdhsa_system_sgpr_workgroup_info 0
		.amdhsa_system_vgpr_workitem_id 0
		.amdhsa_next_free_vgpr 1
		.amdhsa_next_free_sgpr 0
		.amdhsa_accum_offset 4
		.amdhsa_reserve_vcc 0
		.amdhsa_float_round_mode_32 0
		.amdhsa_float_round_mode_16_64 0
		.amdhsa_float_denorm_mode_32 3
		.amdhsa_float_denorm_mode_16_64 3
		.amdhsa_dx10_clamp 1
		.amdhsa_ieee_mode 1
		.amdhsa_fp16_overflow 0
		.amdhsa_tg_split 0
		.amdhsa_exception_fp_ieee_invalid_op 0
		.amdhsa_exception_fp_denorm_src 0
		.amdhsa_exception_fp_ieee_div_zero 0
		.amdhsa_exception_fp_ieee_overflow 0
		.amdhsa_exception_fp_ieee_underflow 0
		.amdhsa_exception_fp_ieee_inexact 0
		.amdhsa_exception_int_div_zero 0
	.end_amdhsa_kernel
	.section	.text._ZN7rocprim17ROCPRIM_400000_NS6detail17trampoline_kernelINS0_14default_configENS1_25partition_config_selectorILNS1_17partition_subalgoE8ElNS0_10empty_typeEbEEZZNS1_14partition_implILS5_8ELb0ES3_jPlPS6_PKS6_NS0_5tupleIJS9_S6_EEENSD_IJSA_SA_EEENS0_18inequality_wrapperIZN2at6native12_GLOBAL__N_124unique_dim_cuda_templateIhEESt5tupleIJNSH_6TensorESM_SM_EERKSM_lbbbEUlllE0_EEPmJS6_EEE10hipError_tPvRmT3_T4_T5_T6_T7_T9_mT8_P12ihipStream_tbDpT10_ENKUlT_T0_E_clISt17integral_constantIbLb1EES1C_EEDaS17_S18_EUlS17_E_NS1_11comp_targetILNS1_3genE4ELNS1_11target_archE910ELNS1_3gpuE8ELNS1_3repE0EEENS1_30default_config_static_selectorELNS0_4arch9wavefront6targetE1EEEvT1_,"axG",@progbits,_ZN7rocprim17ROCPRIM_400000_NS6detail17trampoline_kernelINS0_14default_configENS1_25partition_config_selectorILNS1_17partition_subalgoE8ElNS0_10empty_typeEbEEZZNS1_14partition_implILS5_8ELb0ES3_jPlPS6_PKS6_NS0_5tupleIJS9_S6_EEENSD_IJSA_SA_EEENS0_18inequality_wrapperIZN2at6native12_GLOBAL__N_124unique_dim_cuda_templateIhEESt5tupleIJNSH_6TensorESM_SM_EERKSM_lbbbEUlllE0_EEPmJS6_EEE10hipError_tPvRmT3_T4_T5_T6_T7_T9_mT8_P12ihipStream_tbDpT10_ENKUlT_T0_E_clISt17integral_constantIbLb1EES1C_EEDaS17_S18_EUlS17_E_NS1_11comp_targetILNS1_3genE4ELNS1_11target_archE910ELNS1_3gpuE8ELNS1_3repE0EEENS1_30default_config_static_selectorELNS0_4arch9wavefront6targetE1EEEvT1_,comdat
.Lfunc_end181:
	.size	_ZN7rocprim17ROCPRIM_400000_NS6detail17trampoline_kernelINS0_14default_configENS1_25partition_config_selectorILNS1_17partition_subalgoE8ElNS0_10empty_typeEbEEZZNS1_14partition_implILS5_8ELb0ES3_jPlPS6_PKS6_NS0_5tupleIJS9_S6_EEENSD_IJSA_SA_EEENS0_18inequality_wrapperIZN2at6native12_GLOBAL__N_124unique_dim_cuda_templateIhEESt5tupleIJNSH_6TensorESM_SM_EERKSM_lbbbEUlllE0_EEPmJS6_EEE10hipError_tPvRmT3_T4_T5_T6_T7_T9_mT8_P12ihipStream_tbDpT10_ENKUlT_T0_E_clISt17integral_constantIbLb1EES1C_EEDaS17_S18_EUlS17_E_NS1_11comp_targetILNS1_3genE4ELNS1_11target_archE910ELNS1_3gpuE8ELNS1_3repE0EEENS1_30default_config_static_selectorELNS0_4arch9wavefront6targetE1EEEvT1_, .Lfunc_end181-_ZN7rocprim17ROCPRIM_400000_NS6detail17trampoline_kernelINS0_14default_configENS1_25partition_config_selectorILNS1_17partition_subalgoE8ElNS0_10empty_typeEbEEZZNS1_14partition_implILS5_8ELb0ES3_jPlPS6_PKS6_NS0_5tupleIJS9_S6_EEENSD_IJSA_SA_EEENS0_18inequality_wrapperIZN2at6native12_GLOBAL__N_124unique_dim_cuda_templateIhEESt5tupleIJNSH_6TensorESM_SM_EERKSM_lbbbEUlllE0_EEPmJS6_EEE10hipError_tPvRmT3_T4_T5_T6_T7_T9_mT8_P12ihipStream_tbDpT10_ENKUlT_T0_E_clISt17integral_constantIbLb1EES1C_EEDaS17_S18_EUlS17_E_NS1_11comp_targetILNS1_3genE4ELNS1_11target_archE910ELNS1_3gpuE8ELNS1_3repE0EEENS1_30default_config_static_selectorELNS0_4arch9wavefront6targetE1EEEvT1_
                                        ; -- End function
	.section	.AMDGPU.csdata,"",@progbits
; Kernel info:
; codeLenInByte = 0
; NumSgprs: 6
; NumVgprs: 0
; NumAgprs: 0
; TotalNumVgprs: 0
; ScratchSize: 0
; MemoryBound: 0
; FloatMode: 240
; IeeeMode: 1
; LDSByteSize: 0 bytes/workgroup (compile time only)
; SGPRBlocks: 0
; VGPRBlocks: 0
; NumSGPRsForWavesPerEU: 6
; NumVGPRsForWavesPerEU: 1
; AccumOffset: 4
; Occupancy: 8
; WaveLimiterHint : 0
; COMPUTE_PGM_RSRC2:SCRATCH_EN: 0
; COMPUTE_PGM_RSRC2:USER_SGPR: 2
; COMPUTE_PGM_RSRC2:TRAP_HANDLER: 0
; COMPUTE_PGM_RSRC2:TGID_X_EN: 1
; COMPUTE_PGM_RSRC2:TGID_Y_EN: 0
; COMPUTE_PGM_RSRC2:TGID_Z_EN: 0
; COMPUTE_PGM_RSRC2:TIDIG_COMP_CNT: 0
; COMPUTE_PGM_RSRC3_GFX90A:ACCUM_OFFSET: 0
; COMPUTE_PGM_RSRC3_GFX90A:TG_SPLIT: 0
	.section	.text._ZN7rocprim17ROCPRIM_400000_NS6detail17trampoline_kernelINS0_14default_configENS1_25partition_config_selectorILNS1_17partition_subalgoE8ElNS0_10empty_typeEbEEZZNS1_14partition_implILS5_8ELb0ES3_jPlPS6_PKS6_NS0_5tupleIJS9_S6_EEENSD_IJSA_SA_EEENS0_18inequality_wrapperIZN2at6native12_GLOBAL__N_124unique_dim_cuda_templateIhEESt5tupleIJNSH_6TensorESM_SM_EERKSM_lbbbEUlllE0_EEPmJS6_EEE10hipError_tPvRmT3_T4_T5_T6_T7_T9_mT8_P12ihipStream_tbDpT10_ENKUlT_T0_E_clISt17integral_constantIbLb1EES1C_EEDaS17_S18_EUlS17_E_NS1_11comp_targetILNS1_3genE3ELNS1_11target_archE908ELNS1_3gpuE7ELNS1_3repE0EEENS1_30default_config_static_selectorELNS0_4arch9wavefront6targetE1EEEvT1_,"axG",@progbits,_ZN7rocprim17ROCPRIM_400000_NS6detail17trampoline_kernelINS0_14default_configENS1_25partition_config_selectorILNS1_17partition_subalgoE8ElNS0_10empty_typeEbEEZZNS1_14partition_implILS5_8ELb0ES3_jPlPS6_PKS6_NS0_5tupleIJS9_S6_EEENSD_IJSA_SA_EEENS0_18inequality_wrapperIZN2at6native12_GLOBAL__N_124unique_dim_cuda_templateIhEESt5tupleIJNSH_6TensorESM_SM_EERKSM_lbbbEUlllE0_EEPmJS6_EEE10hipError_tPvRmT3_T4_T5_T6_T7_T9_mT8_P12ihipStream_tbDpT10_ENKUlT_T0_E_clISt17integral_constantIbLb1EES1C_EEDaS17_S18_EUlS17_E_NS1_11comp_targetILNS1_3genE3ELNS1_11target_archE908ELNS1_3gpuE7ELNS1_3repE0EEENS1_30default_config_static_selectorELNS0_4arch9wavefront6targetE1EEEvT1_,comdat
	.globl	_ZN7rocprim17ROCPRIM_400000_NS6detail17trampoline_kernelINS0_14default_configENS1_25partition_config_selectorILNS1_17partition_subalgoE8ElNS0_10empty_typeEbEEZZNS1_14partition_implILS5_8ELb0ES3_jPlPS6_PKS6_NS0_5tupleIJS9_S6_EEENSD_IJSA_SA_EEENS0_18inequality_wrapperIZN2at6native12_GLOBAL__N_124unique_dim_cuda_templateIhEESt5tupleIJNSH_6TensorESM_SM_EERKSM_lbbbEUlllE0_EEPmJS6_EEE10hipError_tPvRmT3_T4_T5_T6_T7_T9_mT8_P12ihipStream_tbDpT10_ENKUlT_T0_E_clISt17integral_constantIbLb1EES1C_EEDaS17_S18_EUlS17_E_NS1_11comp_targetILNS1_3genE3ELNS1_11target_archE908ELNS1_3gpuE7ELNS1_3repE0EEENS1_30default_config_static_selectorELNS0_4arch9wavefront6targetE1EEEvT1_ ; -- Begin function _ZN7rocprim17ROCPRIM_400000_NS6detail17trampoline_kernelINS0_14default_configENS1_25partition_config_selectorILNS1_17partition_subalgoE8ElNS0_10empty_typeEbEEZZNS1_14partition_implILS5_8ELb0ES3_jPlPS6_PKS6_NS0_5tupleIJS9_S6_EEENSD_IJSA_SA_EEENS0_18inequality_wrapperIZN2at6native12_GLOBAL__N_124unique_dim_cuda_templateIhEESt5tupleIJNSH_6TensorESM_SM_EERKSM_lbbbEUlllE0_EEPmJS6_EEE10hipError_tPvRmT3_T4_T5_T6_T7_T9_mT8_P12ihipStream_tbDpT10_ENKUlT_T0_E_clISt17integral_constantIbLb1EES1C_EEDaS17_S18_EUlS17_E_NS1_11comp_targetILNS1_3genE3ELNS1_11target_archE908ELNS1_3gpuE7ELNS1_3repE0EEENS1_30default_config_static_selectorELNS0_4arch9wavefront6targetE1EEEvT1_
	.p2align	8
	.type	_ZN7rocprim17ROCPRIM_400000_NS6detail17trampoline_kernelINS0_14default_configENS1_25partition_config_selectorILNS1_17partition_subalgoE8ElNS0_10empty_typeEbEEZZNS1_14partition_implILS5_8ELb0ES3_jPlPS6_PKS6_NS0_5tupleIJS9_S6_EEENSD_IJSA_SA_EEENS0_18inequality_wrapperIZN2at6native12_GLOBAL__N_124unique_dim_cuda_templateIhEESt5tupleIJNSH_6TensorESM_SM_EERKSM_lbbbEUlllE0_EEPmJS6_EEE10hipError_tPvRmT3_T4_T5_T6_T7_T9_mT8_P12ihipStream_tbDpT10_ENKUlT_T0_E_clISt17integral_constantIbLb1EES1C_EEDaS17_S18_EUlS17_E_NS1_11comp_targetILNS1_3genE3ELNS1_11target_archE908ELNS1_3gpuE7ELNS1_3repE0EEENS1_30default_config_static_selectorELNS0_4arch9wavefront6targetE1EEEvT1_,@function
_ZN7rocprim17ROCPRIM_400000_NS6detail17trampoline_kernelINS0_14default_configENS1_25partition_config_selectorILNS1_17partition_subalgoE8ElNS0_10empty_typeEbEEZZNS1_14partition_implILS5_8ELb0ES3_jPlPS6_PKS6_NS0_5tupleIJS9_S6_EEENSD_IJSA_SA_EEENS0_18inequality_wrapperIZN2at6native12_GLOBAL__N_124unique_dim_cuda_templateIhEESt5tupleIJNSH_6TensorESM_SM_EERKSM_lbbbEUlllE0_EEPmJS6_EEE10hipError_tPvRmT3_T4_T5_T6_T7_T9_mT8_P12ihipStream_tbDpT10_ENKUlT_T0_E_clISt17integral_constantIbLb1EES1C_EEDaS17_S18_EUlS17_E_NS1_11comp_targetILNS1_3genE3ELNS1_11target_archE908ELNS1_3gpuE7ELNS1_3repE0EEENS1_30default_config_static_selectorELNS0_4arch9wavefront6targetE1EEEvT1_: ; @_ZN7rocprim17ROCPRIM_400000_NS6detail17trampoline_kernelINS0_14default_configENS1_25partition_config_selectorILNS1_17partition_subalgoE8ElNS0_10empty_typeEbEEZZNS1_14partition_implILS5_8ELb0ES3_jPlPS6_PKS6_NS0_5tupleIJS9_S6_EEENSD_IJSA_SA_EEENS0_18inequality_wrapperIZN2at6native12_GLOBAL__N_124unique_dim_cuda_templateIhEESt5tupleIJNSH_6TensorESM_SM_EERKSM_lbbbEUlllE0_EEPmJS6_EEE10hipError_tPvRmT3_T4_T5_T6_T7_T9_mT8_P12ihipStream_tbDpT10_ENKUlT_T0_E_clISt17integral_constantIbLb1EES1C_EEDaS17_S18_EUlS17_E_NS1_11comp_targetILNS1_3genE3ELNS1_11target_archE908ELNS1_3gpuE7ELNS1_3repE0EEENS1_30default_config_static_selectorELNS0_4arch9wavefront6targetE1EEEvT1_
; %bb.0:
	.section	.rodata,"a",@progbits
	.p2align	6, 0x0
	.amdhsa_kernel _ZN7rocprim17ROCPRIM_400000_NS6detail17trampoline_kernelINS0_14default_configENS1_25partition_config_selectorILNS1_17partition_subalgoE8ElNS0_10empty_typeEbEEZZNS1_14partition_implILS5_8ELb0ES3_jPlPS6_PKS6_NS0_5tupleIJS9_S6_EEENSD_IJSA_SA_EEENS0_18inequality_wrapperIZN2at6native12_GLOBAL__N_124unique_dim_cuda_templateIhEESt5tupleIJNSH_6TensorESM_SM_EERKSM_lbbbEUlllE0_EEPmJS6_EEE10hipError_tPvRmT3_T4_T5_T6_T7_T9_mT8_P12ihipStream_tbDpT10_ENKUlT_T0_E_clISt17integral_constantIbLb1EES1C_EEDaS17_S18_EUlS17_E_NS1_11comp_targetILNS1_3genE3ELNS1_11target_archE908ELNS1_3gpuE7ELNS1_3repE0EEENS1_30default_config_static_selectorELNS0_4arch9wavefront6targetE1EEEvT1_
		.amdhsa_group_segment_fixed_size 0
		.amdhsa_private_segment_fixed_size 0
		.amdhsa_kernarg_size 136
		.amdhsa_user_sgpr_count 2
		.amdhsa_user_sgpr_dispatch_ptr 0
		.amdhsa_user_sgpr_queue_ptr 0
		.amdhsa_user_sgpr_kernarg_segment_ptr 1
		.amdhsa_user_sgpr_dispatch_id 0
		.amdhsa_user_sgpr_kernarg_preload_length 0
		.amdhsa_user_sgpr_kernarg_preload_offset 0
		.amdhsa_user_sgpr_private_segment_size 0
		.amdhsa_uses_dynamic_stack 0
		.amdhsa_enable_private_segment 0
		.amdhsa_system_sgpr_workgroup_id_x 1
		.amdhsa_system_sgpr_workgroup_id_y 0
		.amdhsa_system_sgpr_workgroup_id_z 0
		.amdhsa_system_sgpr_workgroup_info 0
		.amdhsa_system_vgpr_workitem_id 0
		.amdhsa_next_free_vgpr 1
		.amdhsa_next_free_sgpr 0
		.amdhsa_accum_offset 4
		.amdhsa_reserve_vcc 0
		.amdhsa_float_round_mode_32 0
		.amdhsa_float_round_mode_16_64 0
		.amdhsa_float_denorm_mode_32 3
		.amdhsa_float_denorm_mode_16_64 3
		.amdhsa_dx10_clamp 1
		.amdhsa_ieee_mode 1
		.amdhsa_fp16_overflow 0
		.amdhsa_tg_split 0
		.amdhsa_exception_fp_ieee_invalid_op 0
		.amdhsa_exception_fp_denorm_src 0
		.amdhsa_exception_fp_ieee_div_zero 0
		.amdhsa_exception_fp_ieee_overflow 0
		.amdhsa_exception_fp_ieee_underflow 0
		.amdhsa_exception_fp_ieee_inexact 0
		.amdhsa_exception_int_div_zero 0
	.end_amdhsa_kernel
	.section	.text._ZN7rocprim17ROCPRIM_400000_NS6detail17trampoline_kernelINS0_14default_configENS1_25partition_config_selectorILNS1_17partition_subalgoE8ElNS0_10empty_typeEbEEZZNS1_14partition_implILS5_8ELb0ES3_jPlPS6_PKS6_NS0_5tupleIJS9_S6_EEENSD_IJSA_SA_EEENS0_18inequality_wrapperIZN2at6native12_GLOBAL__N_124unique_dim_cuda_templateIhEESt5tupleIJNSH_6TensorESM_SM_EERKSM_lbbbEUlllE0_EEPmJS6_EEE10hipError_tPvRmT3_T4_T5_T6_T7_T9_mT8_P12ihipStream_tbDpT10_ENKUlT_T0_E_clISt17integral_constantIbLb1EES1C_EEDaS17_S18_EUlS17_E_NS1_11comp_targetILNS1_3genE3ELNS1_11target_archE908ELNS1_3gpuE7ELNS1_3repE0EEENS1_30default_config_static_selectorELNS0_4arch9wavefront6targetE1EEEvT1_,"axG",@progbits,_ZN7rocprim17ROCPRIM_400000_NS6detail17trampoline_kernelINS0_14default_configENS1_25partition_config_selectorILNS1_17partition_subalgoE8ElNS0_10empty_typeEbEEZZNS1_14partition_implILS5_8ELb0ES3_jPlPS6_PKS6_NS0_5tupleIJS9_S6_EEENSD_IJSA_SA_EEENS0_18inequality_wrapperIZN2at6native12_GLOBAL__N_124unique_dim_cuda_templateIhEESt5tupleIJNSH_6TensorESM_SM_EERKSM_lbbbEUlllE0_EEPmJS6_EEE10hipError_tPvRmT3_T4_T5_T6_T7_T9_mT8_P12ihipStream_tbDpT10_ENKUlT_T0_E_clISt17integral_constantIbLb1EES1C_EEDaS17_S18_EUlS17_E_NS1_11comp_targetILNS1_3genE3ELNS1_11target_archE908ELNS1_3gpuE7ELNS1_3repE0EEENS1_30default_config_static_selectorELNS0_4arch9wavefront6targetE1EEEvT1_,comdat
.Lfunc_end182:
	.size	_ZN7rocprim17ROCPRIM_400000_NS6detail17trampoline_kernelINS0_14default_configENS1_25partition_config_selectorILNS1_17partition_subalgoE8ElNS0_10empty_typeEbEEZZNS1_14partition_implILS5_8ELb0ES3_jPlPS6_PKS6_NS0_5tupleIJS9_S6_EEENSD_IJSA_SA_EEENS0_18inequality_wrapperIZN2at6native12_GLOBAL__N_124unique_dim_cuda_templateIhEESt5tupleIJNSH_6TensorESM_SM_EERKSM_lbbbEUlllE0_EEPmJS6_EEE10hipError_tPvRmT3_T4_T5_T6_T7_T9_mT8_P12ihipStream_tbDpT10_ENKUlT_T0_E_clISt17integral_constantIbLb1EES1C_EEDaS17_S18_EUlS17_E_NS1_11comp_targetILNS1_3genE3ELNS1_11target_archE908ELNS1_3gpuE7ELNS1_3repE0EEENS1_30default_config_static_selectorELNS0_4arch9wavefront6targetE1EEEvT1_, .Lfunc_end182-_ZN7rocprim17ROCPRIM_400000_NS6detail17trampoline_kernelINS0_14default_configENS1_25partition_config_selectorILNS1_17partition_subalgoE8ElNS0_10empty_typeEbEEZZNS1_14partition_implILS5_8ELb0ES3_jPlPS6_PKS6_NS0_5tupleIJS9_S6_EEENSD_IJSA_SA_EEENS0_18inequality_wrapperIZN2at6native12_GLOBAL__N_124unique_dim_cuda_templateIhEESt5tupleIJNSH_6TensorESM_SM_EERKSM_lbbbEUlllE0_EEPmJS6_EEE10hipError_tPvRmT3_T4_T5_T6_T7_T9_mT8_P12ihipStream_tbDpT10_ENKUlT_T0_E_clISt17integral_constantIbLb1EES1C_EEDaS17_S18_EUlS17_E_NS1_11comp_targetILNS1_3genE3ELNS1_11target_archE908ELNS1_3gpuE7ELNS1_3repE0EEENS1_30default_config_static_selectorELNS0_4arch9wavefront6targetE1EEEvT1_
                                        ; -- End function
	.section	.AMDGPU.csdata,"",@progbits
; Kernel info:
; codeLenInByte = 0
; NumSgprs: 6
; NumVgprs: 0
; NumAgprs: 0
; TotalNumVgprs: 0
; ScratchSize: 0
; MemoryBound: 0
; FloatMode: 240
; IeeeMode: 1
; LDSByteSize: 0 bytes/workgroup (compile time only)
; SGPRBlocks: 0
; VGPRBlocks: 0
; NumSGPRsForWavesPerEU: 6
; NumVGPRsForWavesPerEU: 1
; AccumOffset: 4
; Occupancy: 8
; WaveLimiterHint : 0
; COMPUTE_PGM_RSRC2:SCRATCH_EN: 0
; COMPUTE_PGM_RSRC2:USER_SGPR: 2
; COMPUTE_PGM_RSRC2:TRAP_HANDLER: 0
; COMPUTE_PGM_RSRC2:TGID_X_EN: 1
; COMPUTE_PGM_RSRC2:TGID_Y_EN: 0
; COMPUTE_PGM_RSRC2:TGID_Z_EN: 0
; COMPUTE_PGM_RSRC2:TIDIG_COMP_CNT: 0
; COMPUTE_PGM_RSRC3_GFX90A:ACCUM_OFFSET: 0
; COMPUTE_PGM_RSRC3_GFX90A:TG_SPLIT: 0
	.section	.text._ZN7rocprim17ROCPRIM_400000_NS6detail17trampoline_kernelINS0_14default_configENS1_25partition_config_selectorILNS1_17partition_subalgoE8ElNS0_10empty_typeEbEEZZNS1_14partition_implILS5_8ELb0ES3_jPlPS6_PKS6_NS0_5tupleIJS9_S6_EEENSD_IJSA_SA_EEENS0_18inequality_wrapperIZN2at6native12_GLOBAL__N_124unique_dim_cuda_templateIhEESt5tupleIJNSH_6TensorESM_SM_EERKSM_lbbbEUlllE0_EEPmJS6_EEE10hipError_tPvRmT3_T4_T5_T6_T7_T9_mT8_P12ihipStream_tbDpT10_ENKUlT_T0_E_clISt17integral_constantIbLb1EES1C_EEDaS17_S18_EUlS17_E_NS1_11comp_targetILNS1_3genE2ELNS1_11target_archE906ELNS1_3gpuE6ELNS1_3repE0EEENS1_30default_config_static_selectorELNS0_4arch9wavefront6targetE1EEEvT1_,"axG",@progbits,_ZN7rocprim17ROCPRIM_400000_NS6detail17trampoline_kernelINS0_14default_configENS1_25partition_config_selectorILNS1_17partition_subalgoE8ElNS0_10empty_typeEbEEZZNS1_14partition_implILS5_8ELb0ES3_jPlPS6_PKS6_NS0_5tupleIJS9_S6_EEENSD_IJSA_SA_EEENS0_18inequality_wrapperIZN2at6native12_GLOBAL__N_124unique_dim_cuda_templateIhEESt5tupleIJNSH_6TensorESM_SM_EERKSM_lbbbEUlllE0_EEPmJS6_EEE10hipError_tPvRmT3_T4_T5_T6_T7_T9_mT8_P12ihipStream_tbDpT10_ENKUlT_T0_E_clISt17integral_constantIbLb1EES1C_EEDaS17_S18_EUlS17_E_NS1_11comp_targetILNS1_3genE2ELNS1_11target_archE906ELNS1_3gpuE6ELNS1_3repE0EEENS1_30default_config_static_selectorELNS0_4arch9wavefront6targetE1EEEvT1_,comdat
	.globl	_ZN7rocprim17ROCPRIM_400000_NS6detail17trampoline_kernelINS0_14default_configENS1_25partition_config_selectorILNS1_17partition_subalgoE8ElNS0_10empty_typeEbEEZZNS1_14partition_implILS5_8ELb0ES3_jPlPS6_PKS6_NS0_5tupleIJS9_S6_EEENSD_IJSA_SA_EEENS0_18inequality_wrapperIZN2at6native12_GLOBAL__N_124unique_dim_cuda_templateIhEESt5tupleIJNSH_6TensorESM_SM_EERKSM_lbbbEUlllE0_EEPmJS6_EEE10hipError_tPvRmT3_T4_T5_T6_T7_T9_mT8_P12ihipStream_tbDpT10_ENKUlT_T0_E_clISt17integral_constantIbLb1EES1C_EEDaS17_S18_EUlS17_E_NS1_11comp_targetILNS1_3genE2ELNS1_11target_archE906ELNS1_3gpuE6ELNS1_3repE0EEENS1_30default_config_static_selectorELNS0_4arch9wavefront6targetE1EEEvT1_ ; -- Begin function _ZN7rocprim17ROCPRIM_400000_NS6detail17trampoline_kernelINS0_14default_configENS1_25partition_config_selectorILNS1_17partition_subalgoE8ElNS0_10empty_typeEbEEZZNS1_14partition_implILS5_8ELb0ES3_jPlPS6_PKS6_NS0_5tupleIJS9_S6_EEENSD_IJSA_SA_EEENS0_18inequality_wrapperIZN2at6native12_GLOBAL__N_124unique_dim_cuda_templateIhEESt5tupleIJNSH_6TensorESM_SM_EERKSM_lbbbEUlllE0_EEPmJS6_EEE10hipError_tPvRmT3_T4_T5_T6_T7_T9_mT8_P12ihipStream_tbDpT10_ENKUlT_T0_E_clISt17integral_constantIbLb1EES1C_EEDaS17_S18_EUlS17_E_NS1_11comp_targetILNS1_3genE2ELNS1_11target_archE906ELNS1_3gpuE6ELNS1_3repE0EEENS1_30default_config_static_selectorELNS0_4arch9wavefront6targetE1EEEvT1_
	.p2align	8
	.type	_ZN7rocprim17ROCPRIM_400000_NS6detail17trampoline_kernelINS0_14default_configENS1_25partition_config_selectorILNS1_17partition_subalgoE8ElNS0_10empty_typeEbEEZZNS1_14partition_implILS5_8ELb0ES3_jPlPS6_PKS6_NS0_5tupleIJS9_S6_EEENSD_IJSA_SA_EEENS0_18inequality_wrapperIZN2at6native12_GLOBAL__N_124unique_dim_cuda_templateIhEESt5tupleIJNSH_6TensorESM_SM_EERKSM_lbbbEUlllE0_EEPmJS6_EEE10hipError_tPvRmT3_T4_T5_T6_T7_T9_mT8_P12ihipStream_tbDpT10_ENKUlT_T0_E_clISt17integral_constantIbLb1EES1C_EEDaS17_S18_EUlS17_E_NS1_11comp_targetILNS1_3genE2ELNS1_11target_archE906ELNS1_3gpuE6ELNS1_3repE0EEENS1_30default_config_static_selectorELNS0_4arch9wavefront6targetE1EEEvT1_,@function
_ZN7rocprim17ROCPRIM_400000_NS6detail17trampoline_kernelINS0_14default_configENS1_25partition_config_selectorILNS1_17partition_subalgoE8ElNS0_10empty_typeEbEEZZNS1_14partition_implILS5_8ELb0ES3_jPlPS6_PKS6_NS0_5tupleIJS9_S6_EEENSD_IJSA_SA_EEENS0_18inequality_wrapperIZN2at6native12_GLOBAL__N_124unique_dim_cuda_templateIhEESt5tupleIJNSH_6TensorESM_SM_EERKSM_lbbbEUlllE0_EEPmJS6_EEE10hipError_tPvRmT3_T4_T5_T6_T7_T9_mT8_P12ihipStream_tbDpT10_ENKUlT_T0_E_clISt17integral_constantIbLb1EES1C_EEDaS17_S18_EUlS17_E_NS1_11comp_targetILNS1_3genE2ELNS1_11target_archE906ELNS1_3gpuE6ELNS1_3repE0EEENS1_30default_config_static_selectorELNS0_4arch9wavefront6targetE1EEEvT1_: ; @_ZN7rocprim17ROCPRIM_400000_NS6detail17trampoline_kernelINS0_14default_configENS1_25partition_config_selectorILNS1_17partition_subalgoE8ElNS0_10empty_typeEbEEZZNS1_14partition_implILS5_8ELb0ES3_jPlPS6_PKS6_NS0_5tupleIJS9_S6_EEENSD_IJSA_SA_EEENS0_18inequality_wrapperIZN2at6native12_GLOBAL__N_124unique_dim_cuda_templateIhEESt5tupleIJNSH_6TensorESM_SM_EERKSM_lbbbEUlllE0_EEPmJS6_EEE10hipError_tPvRmT3_T4_T5_T6_T7_T9_mT8_P12ihipStream_tbDpT10_ENKUlT_T0_E_clISt17integral_constantIbLb1EES1C_EEDaS17_S18_EUlS17_E_NS1_11comp_targetILNS1_3genE2ELNS1_11target_archE906ELNS1_3gpuE6ELNS1_3repE0EEENS1_30default_config_static_selectorELNS0_4arch9wavefront6targetE1EEEvT1_
; %bb.0:
	.section	.rodata,"a",@progbits
	.p2align	6, 0x0
	.amdhsa_kernel _ZN7rocprim17ROCPRIM_400000_NS6detail17trampoline_kernelINS0_14default_configENS1_25partition_config_selectorILNS1_17partition_subalgoE8ElNS0_10empty_typeEbEEZZNS1_14partition_implILS5_8ELb0ES3_jPlPS6_PKS6_NS0_5tupleIJS9_S6_EEENSD_IJSA_SA_EEENS0_18inequality_wrapperIZN2at6native12_GLOBAL__N_124unique_dim_cuda_templateIhEESt5tupleIJNSH_6TensorESM_SM_EERKSM_lbbbEUlllE0_EEPmJS6_EEE10hipError_tPvRmT3_T4_T5_T6_T7_T9_mT8_P12ihipStream_tbDpT10_ENKUlT_T0_E_clISt17integral_constantIbLb1EES1C_EEDaS17_S18_EUlS17_E_NS1_11comp_targetILNS1_3genE2ELNS1_11target_archE906ELNS1_3gpuE6ELNS1_3repE0EEENS1_30default_config_static_selectorELNS0_4arch9wavefront6targetE1EEEvT1_
		.amdhsa_group_segment_fixed_size 0
		.amdhsa_private_segment_fixed_size 0
		.amdhsa_kernarg_size 136
		.amdhsa_user_sgpr_count 2
		.amdhsa_user_sgpr_dispatch_ptr 0
		.amdhsa_user_sgpr_queue_ptr 0
		.amdhsa_user_sgpr_kernarg_segment_ptr 1
		.amdhsa_user_sgpr_dispatch_id 0
		.amdhsa_user_sgpr_kernarg_preload_length 0
		.amdhsa_user_sgpr_kernarg_preload_offset 0
		.amdhsa_user_sgpr_private_segment_size 0
		.amdhsa_uses_dynamic_stack 0
		.amdhsa_enable_private_segment 0
		.amdhsa_system_sgpr_workgroup_id_x 1
		.amdhsa_system_sgpr_workgroup_id_y 0
		.amdhsa_system_sgpr_workgroup_id_z 0
		.amdhsa_system_sgpr_workgroup_info 0
		.amdhsa_system_vgpr_workitem_id 0
		.amdhsa_next_free_vgpr 1
		.amdhsa_next_free_sgpr 0
		.amdhsa_accum_offset 4
		.amdhsa_reserve_vcc 0
		.amdhsa_float_round_mode_32 0
		.amdhsa_float_round_mode_16_64 0
		.amdhsa_float_denorm_mode_32 3
		.amdhsa_float_denorm_mode_16_64 3
		.amdhsa_dx10_clamp 1
		.amdhsa_ieee_mode 1
		.amdhsa_fp16_overflow 0
		.amdhsa_tg_split 0
		.amdhsa_exception_fp_ieee_invalid_op 0
		.amdhsa_exception_fp_denorm_src 0
		.amdhsa_exception_fp_ieee_div_zero 0
		.amdhsa_exception_fp_ieee_overflow 0
		.amdhsa_exception_fp_ieee_underflow 0
		.amdhsa_exception_fp_ieee_inexact 0
		.amdhsa_exception_int_div_zero 0
	.end_amdhsa_kernel
	.section	.text._ZN7rocprim17ROCPRIM_400000_NS6detail17trampoline_kernelINS0_14default_configENS1_25partition_config_selectorILNS1_17partition_subalgoE8ElNS0_10empty_typeEbEEZZNS1_14partition_implILS5_8ELb0ES3_jPlPS6_PKS6_NS0_5tupleIJS9_S6_EEENSD_IJSA_SA_EEENS0_18inequality_wrapperIZN2at6native12_GLOBAL__N_124unique_dim_cuda_templateIhEESt5tupleIJNSH_6TensorESM_SM_EERKSM_lbbbEUlllE0_EEPmJS6_EEE10hipError_tPvRmT3_T4_T5_T6_T7_T9_mT8_P12ihipStream_tbDpT10_ENKUlT_T0_E_clISt17integral_constantIbLb1EES1C_EEDaS17_S18_EUlS17_E_NS1_11comp_targetILNS1_3genE2ELNS1_11target_archE906ELNS1_3gpuE6ELNS1_3repE0EEENS1_30default_config_static_selectorELNS0_4arch9wavefront6targetE1EEEvT1_,"axG",@progbits,_ZN7rocprim17ROCPRIM_400000_NS6detail17trampoline_kernelINS0_14default_configENS1_25partition_config_selectorILNS1_17partition_subalgoE8ElNS0_10empty_typeEbEEZZNS1_14partition_implILS5_8ELb0ES3_jPlPS6_PKS6_NS0_5tupleIJS9_S6_EEENSD_IJSA_SA_EEENS0_18inequality_wrapperIZN2at6native12_GLOBAL__N_124unique_dim_cuda_templateIhEESt5tupleIJNSH_6TensorESM_SM_EERKSM_lbbbEUlllE0_EEPmJS6_EEE10hipError_tPvRmT3_T4_T5_T6_T7_T9_mT8_P12ihipStream_tbDpT10_ENKUlT_T0_E_clISt17integral_constantIbLb1EES1C_EEDaS17_S18_EUlS17_E_NS1_11comp_targetILNS1_3genE2ELNS1_11target_archE906ELNS1_3gpuE6ELNS1_3repE0EEENS1_30default_config_static_selectorELNS0_4arch9wavefront6targetE1EEEvT1_,comdat
.Lfunc_end183:
	.size	_ZN7rocprim17ROCPRIM_400000_NS6detail17trampoline_kernelINS0_14default_configENS1_25partition_config_selectorILNS1_17partition_subalgoE8ElNS0_10empty_typeEbEEZZNS1_14partition_implILS5_8ELb0ES3_jPlPS6_PKS6_NS0_5tupleIJS9_S6_EEENSD_IJSA_SA_EEENS0_18inequality_wrapperIZN2at6native12_GLOBAL__N_124unique_dim_cuda_templateIhEESt5tupleIJNSH_6TensorESM_SM_EERKSM_lbbbEUlllE0_EEPmJS6_EEE10hipError_tPvRmT3_T4_T5_T6_T7_T9_mT8_P12ihipStream_tbDpT10_ENKUlT_T0_E_clISt17integral_constantIbLb1EES1C_EEDaS17_S18_EUlS17_E_NS1_11comp_targetILNS1_3genE2ELNS1_11target_archE906ELNS1_3gpuE6ELNS1_3repE0EEENS1_30default_config_static_selectorELNS0_4arch9wavefront6targetE1EEEvT1_, .Lfunc_end183-_ZN7rocprim17ROCPRIM_400000_NS6detail17trampoline_kernelINS0_14default_configENS1_25partition_config_selectorILNS1_17partition_subalgoE8ElNS0_10empty_typeEbEEZZNS1_14partition_implILS5_8ELb0ES3_jPlPS6_PKS6_NS0_5tupleIJS9_S6_EEENSD_IJSA_SA_EEENS0_18inequality_wrapperIZN2at6native12_GLOBAL__N_124unique_dim_cuda_templateIhEESt5tupleIJNSH_6TensorESM_SM_EERKSM_lbbbEUlllE0_EEPmJS6_EEE10hipError_tPvRmT3_T4_T5_T6_T7_T9_mT8_P12ihipStream_tbDpT10_ENKUlT_T0_E_clISt17integral_constantIbLb1EES1C_EEDaS17_S18_EUlS17_E_NS1_11comp_targetILNS1_3genE2ELNS1_11target_archE906ELNS1_3gpuE6ELNS1_3repE0EEENS1_30default_config_static_selectorELNS0_4arch9wavefront6targetE1EEEvT1_
                                        ; -- End function
	.section	.AMDGPU.csdata,"",@progbits
; Kernel info:
; codeLenInByte = 0
; NumSgprs: 6
; NumVgprs: 0
; NumAgprs: 0
; TotalNumVgprs: 0
; ScratchSize: 0
; MemoryBound: 0
; FloatMode: 240
; IeeeMode: 1
; LDSByteSize: 0 bytes/workgroup (compile time only)
; SGPRBlocks: 0
; VGPRBlocks: 0
; NumSGPRsForWavesPerEU: 6
; NumVGPRsForWavesPerEU: 1
; AccumOffset: 4
; Occupancy: 8
; WaveLimiterHint : 0
; COMPUTE_PGM_RSRC2:SCRATCH_EN: 0
; COMPUTE_PGM_RSRC2:USER_SGPR: 2
; COMPUTE_PGM_RSRC2:TRAP_HANDLER: 0
; COMPUTE_PGM_RSRC2:TGID_X_EN: 1
; COMPUTE_PGM_RSRC2:TGID_Y_EN: 0
; COMPUTE_PGM_RSRC2:TGID_Z_EN: 0
; COMPUTE_PGM_RSRC2:TIDIG_COMP_CNT: 0
; COMPUTE_PGM_RSRC3_GFX90A:ACCUM_OFFSET: 0
; COMPUTE_PGM_RSRC3_GFX90A:TG_SPLIT: 0
	.section	.text._ZN7rocprim17ROCPRIM_400000_NS6detail17trampoline_kernelINS0_14default_configENS1_25partition_config_selectorILNS1_17partition_subalgoE8ElNS0_10empty_typeEbEEZZNS1_14partition_implILS5_8ELb0ES3_jPlPS6_PKS6_NS0_5tupleIJS9_S6_EEENSD_IJSA_SA_EEENS0_18inequality_wrapperIZN2at6native12_GLOBAL__N_124unique_dim_cuda_templateIhEESt5tupleIJNSH_6TensorESM_SM_EERKSM_lbbbEUlllE0_EEPmJS6_EEE10hipError_tPvRmT3_T4_T5_T6_T7_T9_mT8_P12ihipStream_tbDpT10_ENKUlT_T0_E_clISt17integral_constantIbLb1EES1C_EEDaS17_S18_EUlS17_E_NS1_11comp_targetILNS1_3genE10ELNS1_11target_archE1200ELNS1_3gpuE4ELNS1_3repE0EEENS1_30default_config_static_selectorELNS0_4arch9wavefront6targetE1EEEvT1_,"axG",@progbits,_ZN7rocprim17ROCPRIM_400000_NS6detail17trampoline_kernelINS0_14default_configENS1_25partition_config_selectorILNS1_17partition_subalgoE8ElNS0_10empty_typeEbEEZZNS1_14partition_implILS5_8ELb0ES3_jPlPS6_PKS6_NS0_5tupleIJS9_S6_EEENSD_IJSA_SA_EEENS0_18inequality_wrapperIZN2at6native12_GLOBAL__N_124unique_dim_cuda_templateIhEESt5tupleIJNSH_6TensorESM_SM_EERKSM_lbbbEUlllE0_EEPmJS6_EEE10hipError_tPvRmT3_T4_T5_T6_T7_T9_mT8_P12ihipStream_tbDpT10_ENKUlT_T0_E_clISt17integral_constantIbLb1EES1C_EEDaS17_S18_EUlS17_E_NS1_11comp_targetILNS1_3genE10ELNS1_11target_archE1200ELNS1_3gpuE4ELNS1_3repE0EEENS1_30default_config_static_selectorELNS0_4arch9wavefront6targetE1EEEvT1_,comdat
	.globl	_ZN7rocprim17ROCPRIM_400000_NS6detail17trampoline_kernelINS0_14default_configENS1_25partition_config_selectorILNS1_17partition_subalgoE8ElNS0_10empty_typeEbEEZZNS1_14partition_implILS5_8ELb0ES3_jPlPS6_PKS6_NS0_5tupleIJS9_S6_EEENSD_IJSA_SA_EEENS0_18inequality_wrapperIZN2at6native12_GLOBAL__N_124unique_dim_cuda_templateIhEESt5tupleIJNSH_6TensorESM_SM_EERKSM_lbbbEUlllE0_EEPmJS6_EEE10hipError_tPvRmT3_T4_T5_T6_T7_T9_mT8_P12ihipStream_tbDpT10_ENKUlT_T0_E_clISt17integral_constantIbLb1EES1C_EEDaS17_S18_EUlS17_E_NS1_11comp_targetILNS1_3genE10ELNS1_11target_archE1200ELNS1_3gpuE4ELNS1_3repE0EEENS1_30default_config_static_selectorELNS0_4arch9wavefront6targetE1EEEvT1_ ; -- Begin function _ZN7rocprim17ROCPRIM_400000_NS6detail17trampoline_kernelINS0_14default_configENS1_25partition_config_selectorILNS1_17partition_subalgoE8ElNS0_10empty_typeEbEEZZNS1_14partition_implILS5_8ELb0ES3_jPlPS6_PKS6_NS0_5tupleIJS9_S6_EEENSD_IJSA_SA_EEENS0_18inequality_wrapperIZN2at6native12_GLOBAL__N_124unique_dim_cuda_templateIhEESt5tupleIJNSH_6TensorESM_SM_EERKSM_lbbbEUlllE0_EEPmJS6_EEE10hipError_tPvRmT3_T4_T5_T6_T7_T9_mT8_P12ihipStream_tbDpT10_ENKUlT_T0_E_clISt17integral_constantIbLb1EES1C_EEDaS17_S18_EUlS17_E_NS1_11comp_targetILNS1_3genE10ELNS1_11target_archE1200ELNS1_3gpuE4ELNS1_3repE0EEENS1_30default_config_static_selectorELNS0_4arch9wavefront6targetE1EEEvT1_
	.p2align	8
	.type	_ZN7rocprim17ROCPRIM_400000_NS6detail17trampoline_kernelINS0_14default_configENS1_25partition_config_selectorILNS1_17partition_subalgoE8ElNS0_10empty_typeEbEEZZNS1_14partition_implILS5_8ELb0ES3_jPlPS6_PKS6_NS0_5tupleIJS9_S6_EEENSD_IJSA_SA_EEENS0_18inequality_wrapperIZN2at6native12_GLOBAL__N_124unique_dim_cuda_templateIhEESt5tupleIJNSH_6TensorESM_SM_EERKSM_lbbbEUlllE0_EEPmJS6_EEE10hipError_tPvRmT3_T4_T5_T6_T7_T9_mT8_P12ihipStream_tbDpT10_ENKUlT_T0_E_clISt17integral_constantIbLb1EES1C_EEDaS17_S18_EUlS17_E_NS1_11comp_targetILNS1_3genE10ELNS1_11target_archE1200ELNS1_3gpuE4ELNS1_3repE0EEENS1_30default_config_static_selectorELNS0_4arch9wavefront6targetE1EEEvT1_,@function
_ZN7rocprim17ROCPRIM_400000_NS6detail17trampoline_kernelINS0_14default_configENS1_25partition_config_selectorILNS1_17partition_subalgoE8ElNS0_10empty_typeEbEEZZNS1_14partition_implILS5_8ELb0ES3_jPlPS6_PKS6_NS0_5tupleIJS9_S6_EEENSD_IJSA_SA_EEENS0_18inequality_wrapperIZN2at6native12_GLOBAL__N_124unique_dim_cuda_templateIhEESt5tupleIJNSH_6TensorESM_SM_EERKSM_lbbbEUlllE0_EEPmJS6_EEE10hipError_tPvRmT3_T4_T5_T6_T7_T9_mT8_P12ihipStream_tbDpT10_ENKUlT_T0_E_clISt17integral_constantIbLb1EES1C_EEDaS17_S18_EUlS17_E_NS1_11comp_targetILNS1_3genE10ELNS1_11target_archE1200ELNS1_3gpuE4ELNS1_3repE0EEENS1_30default_config_static_selectorELNS0_4arch9wavefront6targetE1EEEvT1_: ; @_ZN7rocprim17ROCPRIM_400000_NS6detail17trampoline_kernelINS0_14default_configENS1_25partition_config_selectorILNS1_17partition_subalgoE8ElNS0_10empty_typeEbEEZZNS1_14partition_implILS5_8ELb0ES3_jPlPS6_PKS6_NS0_5tupleIJS9_S6_EEENSD_IJSA_SA_EEENS0_18inequality_wrapperIZN2at6native12_GLOBAL__N_124unique_dim_cuda_templateIhEESt5tupleIJNSH_6TensorESM_SM_EERKSM_lbbbEUlllE0_EEPmJS6_EEE10hipError_tPvRmT3_T4_T5_T6_T7_T9_mT8_P12ihipStream_tbDpT10_ENKUlT_T0_E_clISt17integral_constantIbLb1EES1C_EEDaS17_S18_EUlS17_E_NS1_11comp_targetILNS1_3genE10ELNS1_11target_archE1200ELNS1_3gpuE4ELNS1_3repE0EEENS1_30default_config_static_selectorELNS0_4arch9wavefront6targetE1EEEvT1_
; %bb.0:
	.section	.rodata,"a",@progbits
	.p2align	6, 0x0
	.amdhsa_kernel _ZN7rocprim17ROCPRIM_400000_NS6detail17trampoline_kernelINS0_14default_configENS1_25partition_config_selectorILNS1_17partition_subalgoE8ElNS0_10empty_typeEbEEZZNS1_14partition_implILS5_8ELb0ES3_jPlPS6_PKS6_NS0_5tupleIJS9_S6_EEENSD_IJSA_SA_EEENS0_18inequality_wrapperIZN2at6native12_GLOBAL__N_124unique_dim_cuda_templateIhEESt5tupleIJNSH_6TensorESM_SM_EERKSM_lbbbEUlllE0_EEPmJS6_EEE10hipError_tPvRmT3_T4_T5_T6_T7_T9_mT8_P12ihipStream_tbDpT10_ENKUlT_T0_E_clISt17integral_constantIbLb1EES1C_EEDaS17_S18_EUlS17_E_NS1_11comp_targetILNS1_3genE10ELNS1_11target_archE1200ELNS1_3gpuE4ELNS1_3repE0EEENS1_30default_config_static_selectorELNS0_4arch9wavefront6targetE1EEEvT1_
		.amdhsa_group_segment_fixed_size 0
		.amdhsa_private_segment_fixed_size 0
		.amdhsa_kernarg_size 136
		.amdhsa_user_sgpr_count 2
		.amdhsa_user_sgpr_dispatch_ptr 0
		.amdhsa_user_sgpr_queue_ptr 0
		.amdhsa_user_sgpr_kernarg_segment_ptr 1
		.amdhsa_user_sgpr_dispatch_id 0
		.amdhsa_user_sgpr_kernarg_preload_length 0
		.amdhsa_user_sgpr_kernarg_preload_offset 0
		.amdhsa_user_sgpr_private_segment_size 0
		.amdhsa_uses_dynamic_stack 0
		.amdhsa_enable_private_segment 0
		.amdhsa_system_sgpr_workgroup_id_x 1
		.amdhsa_system_sgpr_workgroup_id_y 0
		.amdhsa_system_sgpr_workgroup_id_z 0
		.amdhsa_system_sgpr_workgroup_info 0
		.amdhsa_system_vgpr_workitem_id 0
		.amdhsa_next_free_vgpr 1
		.amdhsa_next_free_sgpr 0
		.amdhsa_accum_offset 4
		.amdhsa_reserve_vcc 0
		.amdhsa_float_round_mode_32 0
		.amdhsa_float_round_mode_16_64 0
		.amdhsa_float_denorm_mode_32 3
		.amdhsa_float_denorm_mode_16_64 3
		.amdhsa_dx10_clamp 1
		.amdhsa_ieee_mode 1
		.amdhsa_fp16_overflow 0
		.amdhsa_tg_split 0
		.amdhsa_exception_fp_ieee_invalid_op 0
		.amdhsa_exception_fp_denorm_src 0
		.amdhsa_exception_fp_ieee_div_zero 0
		.amdhsa_exception_fp_ieee_overflow 0
		.amdhsa_exception_fp_ieee_underflow 0
		.amdhsa_exception_fp_ieee_inexact 0
		.amdhsa_exception_int_div_zero 0
	.end_amdhsa_kernel
	.section	.text._ZN7rocprim17ROCPRIM_400000_NS6detail17trampoline_kernelINS0_14default_configENS1_25partition_config_selectorILNS1_17partition_subalgoE8ElNS0_10empty_typeEbEEZZNS1_14partition_implILS5_8ELb0ES3_jPlPS6_PKS6_NS0_5tupleIJS9_S6_EEENSD_IJSA_SA_EEENS0_18inequality_wrapperIZN2at6native12_GLOBAL__N_124unique_dim_cuda_templateIhEESt5tupleIJNSH_6TensorESM_SM_EERKSM_lbbbEUlllE0_EEPmJS6_EEE10hipError_tPvRmT3_T4_T5_T6_T7_T9_mT8_P12ihipStream_tbDpT10_ENKUlT_T0_E_clISt17integral_constantIbLb1EES1C_EEDaS17_S18_EUlS17_E_NS1_11comp_targetILNS1_3genE10ELNS1_11target_archE1200ELNS1_3gpuE4ELNS1_3repE0EEENS1_30default_config_static_selectorELNS0_4arch9wavefront6targetE1EEEvT1_,"axG",@progbits,_ZN7rocprim17ROCPRIM_400000_NS6detail17trampoline_kernelINS0_14default_configENS1_25partition_config_selectorILNS1_17partition_subalgoE8ElNS0_10empty_typeEbEEZZNS1_14partition_implILS5_8ELb0ES3_jPlPS6_PKS6_NS0_5tupleIJS9_S6_EEENSD_IJSA_SA_EEENS0_18inequality_wrapperIZN2at6native12_GLOBAL__N_124unique_dim_cuda_templateIhEESt5tupleIJNSH_6TensorESM_SM_EERKSM_lbbbEUlllE0_EEPmJS6_EEE10hipError_tPvRmT3_T4_T5_T6_T7_T9_mT8_P12ihipStream_tbDpT10_ENKUlT_T0_E_clISt17integral_constantIbLb1EES1C_EEDaS17_S18_EUlS17_E_NS1_11comp_targetILNS1_3genE10ELNS1_11target_archE1200ELNS1_3gpuE4ELNS1_3repE0EEENS1_30default_config_static_selectorELNS0_4arch9wavefront6targetE1EEEvT1_,comdat
.Lfunc_end184:
	.size	_ZN7rocprim17ROCPRIM_400000_NS6detail17trampoline_kernelINS0_14default_configENS1_25partition_config_selectorILNS1_17partition_subalgoE8ElNS0_10empty_typeEbEEZZNS1_14partition_implILS5_8ELb0ES3_jPlPS6_PKS6_NS0_5tupleIJS9_S6_EEENSD_IJSA_SA_EEENS0_18inequality_wrapperIZN2at6native12_GLOBAL__N_124unique_dim_cuda_templateIhEESt5tupleIJNSH_6TensorESM_SM_EERKSM_lbbbEUlllE0_EEPmJS6_EEE10hipError_tPvRmT3_T4_T5_T6_T7_T9_mT8_P12ihipStream_tbDpT10_ENKUlT_T0_E_clISt17integral_constantIbLb1EES1C_EEDaS17_S18_EUlS17_E_NS1_11comp_targetILNS1_3genE10ELNS1_11target_archE1200ELNS1_3gpuE4ELNS1_3repE0EEENS1_30default_config_static_selectorELNS0_4arch9wavefront6targetE1EEEvT1_, .Lfunc_end184-_ZN7rocprim17ROCPRIM_400000_NS6detail17trampoline_kernelINS0_14default_configENS1_25partition_config_selectorILNS1_17partition_subalgoE8ElNS0_10empty_typeEbEEZZNS1_14partition_implILS5_8ELb0ES3_jPlPS6_PKS6_NS0_5tupleIJS9_S6_EEENSD_IJSA_SA_EEENS0_18inequality_wrapperIZN2at6native12_GLOBAL__N_124unique_dim_cuda_templateIhEESt5tupleIJNSH_6TensorESM_SM_EERKSM_lbbbEUlllE0_EEPmJS6_EEE10hipError_tPvRmT3_T4_T5_T6_T7_T9_mT8_P12ihipStream_tbDpT10_ENKUlT_T0_E_clISt17integral_constantIbLb1EES1C_EEDaS17_S18_EUlS17_E_NS1_11comp_targetILNS1_3genE10ELNS1_11target_archE1200ELNS1_3gpuE4ELNS1_3repE0EEENS1_30default_config_static_selectorELNS0_4arch9wavefront6targetE1EEEvT1_
                                        ; -- End function
	.section	.AMDGPU.csdata,"",@progbits
; Kernel info:
; codeLenInByte = 0
; NumSgprs: 6
; NumVgprs: 0
; NumAgprs: 0
; TotalNumVgprs: 0
; ScratchSize: 0
; MemoryBound: 0
; FloatMode: 240
; IeeeMode: 1
; LDSByteSize: 0 bytes/workgroup (compile time only)
; SGPRBlocks: 0
; VGPRBlocks: 0
; NumSGPRsForWavesPerEU: 6
; NumVGPRsForWavesPerEU: 1
; AccumOffset: 4
; Occupancy: 8
; WaveLimiterHint : 0
; COMPUTE_PGM_RSRC2:SCRATCH_EN: 0
; COMPUTE_PGM_RSRC2:USER_SGPR: 2
; COMPUTE_PGM_RSRC2:TRAP_HANDLER: 0
; COMPUTE_PGM_RSRC2:TGID_X_EN: 1
; COMPUTE_PGM_RSRC2:TGID_Y_EN: 0
; COMPUTE_PGM_RSRC2:TGID_Z_EN: 0
; COMPUTE_PGM_RSRC2:TIDIG_COMP_CNT: 0
; COMPUTE_PGM_RSRC3_GFX90A:ACCUM_OFFSET: 0
; COMPUTE_PGM_RSRC3_GFX90A:TG_SPLIT: 0
	.section	.text._ZN7rocprim17ROCPRIM_400000_NS6detail17trampoline_kernelINS0_14default_configENS1_25partition_config_selectorILNS1_17partition_subalgoE8ElNS0_10empty_typeEbEEZZNS1_14partition_implILS5_8ELb0ES3_jPlPS6_PKS6_NS0_5tupleIJS9_S6_EEENSD_IJSA_SA_EEENS0_18inequality_wrapperIZN2at6native12_GLOBAL__N_124unique_dim_cuda_templateIhEESt5tupleIJNSH_6TensorESM_SM_EERKSM_lbbbEUlllE0_EEPmJS6_EEE10hipError_tPvRmT3_T4_T5_T6_T7_T9_mT8_P12ihipStream_tbDpT10_ENKUlT_T0_E_clISt17integral_constantIbLb1EES1C_EEDaS17_S18_EUlS17_E_NS1_11comp_targetILNS1_3genE9ELNS1_11target_archE1100ELNS1_3gpuE3ELNS1_3repE0EEENS1_30default_config_static_selectorELNS0_4arch9wavefront6targetE1EEEvT1_,"axG",@progbits,_ZN7rocprim17ROCPRIM_400000_NS6detail17trampoline_kernelINS0_14default_configENS1_25partition_config_selectorILNS1_17partition_subalgoE8ElNS0_10empty_typeEbEEZZNS1_14partition_implILS5_8ELb0ES3_jPlPS6_PKS6_NS0_5tupleIJS9_S6_EEENSD_IJSA_SA_EEENS0_18inequality_wrapperIZN2at6native12_GLOBAL__N_124unique_dim_cuda_templateIhEESt5tupleIJNSH_6TensorESM_SM_EERKSM_lbbbEUlllE0_EEPmJS6_EEE10hipError_tPvRmT3_T4_T5_T6_T7_T9_mT8_P12ihipStream_tbDpT10_ENKUlT_T0_E_clISt17integral_constantIbLb1EES1C_EEDaS17_S18_EUlS17_E_NS1_11comp_targetILNS1_3genE9ELNS1_11target_archE1100ELNS1_3gpuE3ELNS1_3repE0EEENS1_30default_config_static_selectorELNS0_4arch9wavefront6targetE1EEEvT1_,comdat
	.globl	_ZN7rocprim17ROCPRIM_400000_NS6detail17trampoline_kernelINS0_14default_configENS1_25partition_config_selectorILNS1_17partition_subalgoE8ElNS0_10empty_typeEbEEZZNS1_14partition_implILS5_8ELb0ES3_jPlPS6_PKS6_NS0_5tupleIJS9_S6_EEENSD_IJSA_SA_EEENS0_18inequality_wrapperIZN2at6native12_GLOBAL__N_124unique_dim_cuda_templateIhEESt5tupleIJNSH_6TensorESM_SM_EERKSM_lbbbEUlllE0_EEPmJS6_EEE10hipError_tPvRmT3_T4_T5_T6_T7_T9_mT8_P12ihipStream_tbDpT10_ENKUlT_T0_E_clISt17integral_constantIbLb1EES1C_EEDaS17_S18_EUlS17_E_NS1_11comp_targetILNS1_3genE9ELNS1_11target_archE1100ELNS1_3gpuE3ELNS1_3repE0EEENS1_30default_config_static_selectorELNS0_4arch9wavefront6targetE1EEEvT1_ ; -- Begin function _ZN7rocprim17ROCPRIM_400000_NS6detail17trampoline_kernelINS0_14default_configENS1_25partition_config_selectorILNS1_17partition_subalgoE8ElNS0_10empty_typeEbEEZZNS1_14partition_implILS5_8ELb0ES3_jPlPS6_PKS6_NS0_5tupleIJS9_S6_EEENSD_IJSA_SA_EEENS0_18inequality_wrapperIZN2at6native12_GLOBAL__N_124unique_dim_cuda_templateIhEESt5tupleIJNSH_6TensorESM_SM_EERKSM_lbbbEUlllE0_EEPmJS6_EEE10hipError_tPvRmT3_T4_T5_T6_T7_T9_mT8_P12ihipStream_tbDpT10_ENKUlT_T0_E_clISt17integral_constantIbLb1EES1C_EEDaS17_S18_EUlS17_E_NS1_11comp_targetILNS1_3genE9ELNS1_11target_archE1100ELNS1_3gpuE3ELNS1_3repE0EEENS1_30default_config_static_selectorELNS0_4arch9wavefront6targetE1EEEvT1_
	.p2align	8
	.type	_ZN7rocprim17ROCPRIM_400000_NS6detail17trampoline_kernelINS0_14default_configENS1_25partition_config_selectorILNS1_17partition_subalgoE8ElNS0_10empty_typeEbEEZZNS1_14partition_implILS5_8ELb0ES3_jPlPS6_PKS6_NS0_5tupleIJS9_S6_EEENSD_IJSA_SA_EEENS0_18inequality_wrapperIZN2at6native12_GLOBAL__N_124unique_dim_cuda_templateIhEESt5tupleIJNSH_6TensorESM_SM_EERKSM_lbbbEUlllE0_EEPmJS6_EEE10hipError_tPvRmT3_T4_T5_T6_T7_T9_mT8_P12ihipStream_tbDpT10_ENKUlT_T0_E_clISt17integral_constantIbLb1EES1C_EEDaS17_S18_EUlS17_E_NS1_11comp_targetILNS1_3genE9ELNS1_11target_archE1100ELNS1_3gpuE3ELNS1_3repE0EEENS1_30default_config_static_selectorELNS0_4arch9wavefront6targetE1EEEvT1_,@function
_ZN7rocprim17ROCPRIM_400000_NS6detail17trampoline_kernelINS0_14default_configENS1_25partition_config_selectorILNS1_17partition_subalgoE8ElNS0_10empty_typeEbEEZZNS1_14partition_implILS5_8ELb0ES3_jPlPS6_PKS6_NS0_5tupleIJS9_S6_EEENSD_IJSA_SA_EEENS0_18inequality_wrapperIZN2at6native12_GLOBAL__N_124unique_dim_cuda_templateIhEESt5tupleIJNSH_6TensorESM_SM_EERKSM_lbbbEUlllE0_EEPmJS6_EEE10hipError_tPvRmT3_T4_T5_T6_T7_T9_mT8_P12ihipStream_tbDpT10_ENKUlT_T0_E_clISt17integral_constantIbLb1EES1C_EEDaS17_S18_EUlS17_E_NS1_11comp_targetILNS1_3genE9ELNS1_11target_archE1100ELNS1_3gpuE3ELNS1_3repE0EEENS1_30default_config_static_selectorELNS0_4arch9wavefront6targetE1EEEvT1_: ; @_ZN7rocprim17ROCPRIM_400000_NS6detail17trampoline_kernelINS0_14default_configENS1_25partition_config_selectorILNS1_17partition_subalgoE8ElNS0_10empty_typeEbEEZZNS1_14partition_implILS5_8ELb0ES3_jPlPS6_PKS6_NS0_5tupleIJS9_S6_EEENSD_IJSA_SA_EEENS0_18inequality_wrapperIZN2at6native12_GLOBAL__N_124unique_dim_cuda_templateIhEESt5tupleIJNSH_6TensorESM_SM_EERKSM_lbbbEUlllE0_EEPmJS6_EEE10hipError_tPvRmT3_T4_T5_T6_T7_T9_mT8_P12ihipStream_tbDpT10_ENKUlT_T0_E_clISt17integral_constantIbLb1EES1C_EEDaS17_S18_EUlS17_E_NS1_11comp_targetILNS1_3genE9ELNS1_11target_archE1100ELNS1_3gpuE3ELNS1_3repE0EEENS1_30default_config_static_selectorELNS0_4arch9wavefront6targetE1EEEvT1_
; %bb.0:
	.section	.rodata,"a",@progbits
	.p2align	6, 0x0
	.amdhsa_kernel _ZN7rocprim17ROCPRIM_400000_NS6detail17trampoline_kernelINS0_14default_configENS1_25partition_config_selectorILNS1_17partition_subalgoE8ElNS0_10empty_typeEbEEZZNS1_14partition_implILS5_8ELb0ES3_jPlPS6_PKS6_NS0_5tupleIJS9_S6_EEENSD_IJSA_SA_EEENS0_18inequality_wrapperIZN2at6native12_GLOBAL__N_124unique_dim_cuda_templateIhEESt5tupleIJNSH_6TensorESM_SM_EERKSM_lbbbEUlllE0_EEPmJS6_EEE10hipError_tPvRmT3_T4_T5_T6_T7_T9_mT8_P12ihipStream_tbDpT10_ENKUlT_T0_E_clISt17integral_constantIbLb1EES1C_EEDaS17_S18_EUlS17_E_NS1_11comp_targetILNS1_3genE9ELNS1_11target_archE1100ELNS1_3gpuE3ELNS1_3repE0EEENS1_30default_config_static_selectorELNS0_4arch9wavefront6targetE1EEEvT1_
		.amdhsa_group_segment_fixed_size 0
		.amdhsa_private_segment_fixed_size 0
		.amdhsa_kernarg_size 136
		.amdhsa_user_sgpr_count 2
		.amdhsa_user_sgpr_dispatch_ptr 0
		.amdhsa_user_sgpr_queue_ptr 0
		.amdhsa_user_sgpr_kernarg_segment_ptr 1
		.amdhsa_user_sgpr_dispatch_id 0
		.amdhsa_user_sgpr_kernarg_preload_length 0
		.amdhsa_user_sgpr_kernarg_preload_offset 0
		.amdhsa_user_sgpr_private_segment_size 0
		.amdhsa_uses_dynamic_stack 0
		.amdhsa_enable_private_segment 0
		.amdhsa_system_sgpr_workgroup_id_x 1
		.amdhsa_system_sgpr_workgroup_id_y 0
		.amdhsa_system_sgpr_workgroup_id_z 0
		.amdhsa_system_sgpr_workgroup_info 0
		.amdhsa_system_vgpr_workitem_id 0
		.amdhsa_next_free_vgpr 1
		.amdhsa_next_free_sgpr 0
		.amdhsa_accum_offset 4
		.amdhsa_reserve_vcc 0
		.amdhsa_float_round_mode_32 0
		.amdhsa_float_round_mode_16_64 0
		.amdhsa_float_denorm_mode_32 3
		.amdhsa_float_denorm_mode_16_64 3
		.amdhsa_dx10_clamp 1
		.amdhsa_ieee_mode 1
		.amdhsa_fp16_overflow 0
		.amdhsa_tg_split 0
		.amdhsa_exception_fp_ieee_invalid_op 0
		.amdhsa_exception_fp_denorm_src 0
		.amdhsa_exception_fp_ieee_div_zero 0
		.amdhsa_exception_fp_ieee_overflow 0
		.amdhsa_exception_fp_ieee_underflow 0
		.amdhsa_exception_fp_ieee_inexact 0
		.amdhsa_exception_int_div_zero 0
	.end_amdhsa_kernel
	.section	.text._ZN7rocprim17ROCPRIM_400000_NS6detail17trampoline_kernelINS0_14default_configENS1_25partition_config_selectorILNS1_17partition_subalgoE8ElNS0_10empty_typeEbEEZZNS1_14partition_implILS5_8ELb0ES3_jPlPS6_PKS6_NS0_5tupleIJS9_S6_EEENSD_IJSA_SA_EEENS0_18inequality_wrapperIZN2at6native12_GLOBAL__N_124unique_dim_cuda_templateIhEESt5tupleIJNSH_6TensorESM_SM_EERKSM_lbbbEUlllE0_EEPmJS6_EEE10hipError_tPvRmT3_T4_T5_T6_T7_T9_mT8_P12ihipStream_tbDpT10_ENKUlT_T0_E_clISt17integral_constantIbLb1EES1C_EEDaS17_S18_EUlS17_E_NS1_11comp_targetILNS1_3genE9ELNS1_11target_archE1100ELNS1_3gpuE3ELNS1_3repE0EEENS1_30default_config_static_selectorELNS0_4arch9wavefront6targetE1EEEvT1_,"axG",@progbits,_ZN7rocprim17ROCPRIM_400000_NS6detail17trampoline_kernelINS0_14default_configENS1_25partition_config_selectorILNS1_17partition_subalgoE8ElNS0_10empty_typeEbEEZZNS1_14partition_implILS5_8ELb0ES3_jPlPS6_PKS6_NS0_5tupleIJS9_S6_EEENSD_IJSA_SA_EEENS0_18inequality_wrapperIZN2at6native12_GLOBAL__N_124unique_dim_cuda_templateIhEESt5tupleIJNSH_6TensorESM_SM_EERKSM_lbbbEUlllE0_EEPmJS6_EEE10hipError_tPvRmT3_T4_T5_T6_T7_T9_mT8_P12ihipStream_tbDpT10_ENKUlT_T0_E_clISt17integral_constantIbLb1EES1C_EEDaS17_S18_EUlS17_E_NS1_11comp_targetILNS1_3genE9ELNS1_11target_archE1100ELNS1_3gpuE3ELNS1_3repE0EEENS1_30default_config_static_selectorELNS0_4arch9wavefront6targetE1EEEvT1_,comdat
.Lfunc_end185:
	.size	_ZN7rocprim17ROCPRIM_400000_NS6detail17trampoline_kernelINS0_14default_configENS1_25partition_config_selectorILNS1_17partition_subalgoE8ElNS0_10empty_typeEbEEZZNS1_14partition_implILS5_8ELb0ES3_jPlPS6_PKS6_NS0_5tupleIJS9_S6_EEENSD_IJSA_SA_EEENS0_18inequality_wrapperIZN2at6native12_GLOBAL__N_124unique_dim_cuda_templateIhEESt5tupleIJNSH_6TensorESM_SM_EERKSM_lbbbEUlllE0_EEPmJS6_EEE10hipError_tPvRmT3_T4_T5_T6_T7_T9_mT8_P12ihipStream_tbDpT10_ENKUlT_T0_E_clISt17integral_constantIbLb1EES1C_EEDaS17_S18_EUlS17_E_NS1_11comp_targetILNS1_3genE9ELNS1_11target_archE1100ELNS1_3gpuE3ELNS1_3repE0EEENS1_30default_config_static_selectorELNS0_4arch9wavefront6targetE1EEEvT1_, .Lfunc_end185-_ZN7rocprim17ROCPRIM_400000_NS6detail17trampoline_kernelINS0_14default_configENS1_25partition_config_selectorILNS1_17partition_subalgoE8ElNS0_10empty_typeEbEEZZNS1_14partition_implILS5_8ELb0ES3_jPlPS6_PKS6_NS0_5tupleIJS9_S6_EEENSD_IJSA_SA_EEENS0_18inequality_wrapperIZN2at6native12_GLOBAL__N_124unique_dim_cuda_templateIhEESt5tupleIJNSH_6TensorESM_SM_EERKSM_lbbbEUlllE0_EEPmJS6_EEE10hipError_tPvRmT3_T4_T5_T6_T7_T9_mT8_P12ihipStream_tbDpT10_ENKUlT_T0_E_clISt17integral_constantIbLb1EES1C_EEDaS17_S18_EUlS17_E_NS1_11comp_targetILNS1_3genE9ELNS1_11target_archE1100ELNS1_3gpuE3ELNS1_3repE0EEENS1_30default_config_static_selectorELNS0_4arch9wavefront6targetE1EEEvT1_
                                        ; -- End function
	.section	.AMDGPU.csdata,"",@progbits
; Kernel info:
; codeLenInByte = 0
; NumSgprs: 6
; NumVgprs: 0
; NumAgprs: 0
; TotalNumVgprs: 0
; ScratchSize: 0
; MemoryBound: 0
; FloatMode: 240
; IeeeMode: 1
; LDSByteSize: 0 bytes/workgroup (compile time only)
; SGPRBlocks: 0
; VGPRBlocks: 0
; NumSGPRsForWavesPerEU: 6
; NumVGPRsForWavesPerEU: 1
; AccumOffset: 4
; Occupancy: 8
; WaveLimiterHint : 0
; COMPUTE_PGM_RSRC2:SCRATCH_EN: 0
; COMPUTE_PGM_RSRC2:USER_SGPR: 2
; COMPUTE_PGM_RSRC2:TRAP_HANDLER: 0
; COMPUTE_PGM_RSRC2:TGID_X_EN: 1
; COMPUTE_PGM_RSRC2:TGID_Y_EN: 0
; COMPUTE_PGM_RSRC2:TGID_Z_EN: 0
; COMPUTE_PGM_RSRC2:TIDIG_COMP_CNT: 0
; COMPUTE_PGM_RSRC3_GFX90A:ACCUM_OFFSET: 0
; COMPUTE_PGM_RSRC3_GFX90A:TG_SPLIT: 0
	.section	.text._ZN7rocprim17ROCPRIM_400000_NS6detail17trampoline_kernelINS0_14default_configENS1_25partition_config_selectorILNS1_17partition_subalgoE8ElNS0_10empty_typeEbEEZZNS1_14partition_implILS5_8ELb0ES3_jPlPS6_PKS6_NS0_5tupleIJS9_S6_EEENSD_IJSA_SA_EEENS0_18inequality_wrapperIZN2at6native12_GLOBAL__N_124unique_dim_cuda_templateIhEESt5tupleIJNSH_6TensorESM_SM_EERKSM_lbbbEUlllE0_EEPmJS6_EEE10hipError_tPvRmT3_T4_T5_T6_T7_T9_mT8_P12ihipStream_tbDpT10_ENKUlT_T0_E_clISt17integral_constantIbLb1EES1C_EEDaS17_S18_EUlS17_E_NS1_11comp_targetILNS1_3genE8ELNS1_11target_archE1030ELNS1_3gpuE2ELNS1_3repE0EEENS1_30default_config_static_selectorELNS0_4arch9wavefront6targetE1EEEvT1_,"axG",@progbits,_ZN7rocprim17ROCPRIM_400000_NS6detail17trampoline_kernelINS0_14default_configENS1_25partition_config_selectorILNS1_17partition_subalgoE8ElNS0_10empty_typeEbEEZZNS1_14partition_implILS5_8ELb0ES3_jPlPS6_PKS6_NS0_5tupleIJS9_S6_EEENSD_IJSA_SA_EEENS0_18inequality_wrapperIZN2at6native12_GLOBAL__N_124unique_dim_cuda_templateIhEESt5tupleIJNSH_6TensorESM_SM_EERKSM_lbbbEUlllE0_EEPmJS6_EEE10hipError_tPvRmT3_T4_T5_T6_T7_T9_mT8_P12ihipStream_tbDpT10_ENKUlT_T0_E_clISt17integral_constantIbLb1EES1C_EEDaS17_S18_EUlS17_E_NS1_11comp_targetILNS1_3genE8ELNS1_11target_archE1030ELNS1_3gpuE2ELNS1_3repE0EEENS1_30default_config_static_selectorELNS0_4arch9wavefront6targetE1EEEvT1_,comdat
	.globl	_ZN7rocprim17ROCPRIM_400000_NS6detail17trampoline_kernelINS0_14default_configENS1_25partition_config_selectorILNS1_17partition_subalgoE8ElNS0_10empty_typeEbEEZZNS1_14partition_implILS5_8ELb0ES3_jPlPS6_PKS6_NS0_5tupleIJS9_S6_EEENSD_IJSA_SA_EEENS0_18inequality_wrapperIZN2at6native12_GLOBAL__N_124unique_dim_cuda_templateIhEESt5tupleIJNSH_6TensorESM_SM_EERKSM_lbbbEUlllE0_EEPmJS6_EEE10hipError_tPvRmT3_T4_T5_T6_T7_T9_mT8_P12ihipStream_tbDpT10_ENKUlT_T0_E_clISt17integral_constantIbLb1EES1C_EEDaS17_S18_EUlS17_E_NS1_11comp_targetILNS1_3genE8ELNS1_11target_archE1030ELNS1_3gpuE2ELNS1_3repE0EEENS1_30default_config_static_selectorELNS0_4arch9wavefront6targetE1EEEvT1_ ; -- Begin function _ZN7rocprim17ROCPRIM_400000_NS6detail17trampoline_kernelINS0_14default_configENS1_25partition_config_selectorILNS1_17partition_subalgoE8ElNS0_10empty_typeEbEEZZNS1_14partition_implILS5_8ELb0ES3_jPlPS6_PKS6_NS0_5tupleIJS9_S6_EEENSD_IJSA_SA_EEENS0_18inequality_wrapperIZN2at6native12_GLOBAL__N_124unique_dim_cuda_templateIhEESt5tupleIJNSH_6TensorESM_SM_EERKSM_lbbbEUlllE0_EEPmJS6_EEE10hipError_tPvRmT3_T4_T5_T6_T7_T9_mT8_P12ihipStream_tbDpT10_ENKUlT_T0_E_clISt17integral_constantIbLb1EES1C_EEDaS17_S18_EUlS17_E_NS1_11comp_targetILNS1_3genE8ELNS1_11target_archE1030ELNS1_3gpuE2ELNS1_3repE0EEENS1_30default_config_static_selectorELNS0_4arch9wavefront6targetE1EEEvT1_
	.p2align	8
	.type	_ZN7rocprim17ROCPRIM_400000_NS6detail17trampoline_kernelINS0_14default_configENS1_25partition_config_selectorILNS1_17partition_subalgoE8ElNS0_10empty_typeEbEEZZNS1_14partition_implILS5_8ELb0ES3_jPlPS6_PKS6_NS0_5tupleIJS9_S6_EEENSD_IJSA_SA_EEENS0_18inequality_wrapperIZN2at6native12_GLOBAL__N_124unique_dim_cuda_templateIhEESt5tupleIJNSH_6TensorESM_SM_EERKSM_lbbbEUlllE0_EEPmJS6_EEE10hipError_tPvRmT3_T4_T5_T6_T7_T9_mT8_P12ihipStream_tbDpT10_ENKUlT_T0_E_clISt17integral_constantIbLb1EES1C_EEDaS17_S18_EUlS17_E_NS1_11comp_targetILNS1_3genE8ELNS1_11target_archE1030ELNS1_3gpuE2ELNS1_3repE0EEENS1_30default_config_static_selectorELNS0_4arch9wavefront6targetE1EEEvT1_,@function
_ZN7rocprim17ROCPRIM_400000_NS6detail17trampoline_kernelINS0_14default_configENS1_25partition_config_selectorILNS1_17partition_subalgoE8ElNS0_10empty_typeEbEEZZNS1_14partition_implILS5_8ELb0ES3_jPlPS6_PKS6_NS0_5tupleIJS9_S6_EEENSD_IJSA_SA_EEENS0_18inequality_wrapperIZN2at6native12_GLOBAL__N_124unique_dim_cuda_templateIhEESt5tupleIJNSH_6TensorESM_SM_EERKSM_lbbbEUlllE0_EEPmJS6_EEE10hipError_tPvRmT3_T4_T5_T6_T7_T9_mT8_P12ihipStream_tbDpT10_ENKUlT_T0_E_clISt17integral_constantIbLb1EES1C_EEDaS17_S18_EUlS17_E_NS1_11comp_targetILNS1_3genE8ELNS1_11target_archE1030ELNS1_3gpuE2ELNS1_3repE0EEENS1_30default_config_static_selectorELNS0_4arch9wavefront6targetE1EEEvT1_: ; @_ZN7rocprim17ROCPRIM_400000_NS6detail17trampoline_kernelINS0_14default_configENS1_25partition_config_selectorILNS1_17partition_subalgoE8ElNS0_10empty_typeEbEEZZNS1_14partition_implILS5_8ELb0ES3_jPlPS6_PKS6_NS0_5tupleIJS9_S6_EEENSD_IJSA_SA_EEENS0_18inequality_wrapperIZN2at6native12_GLOBAL__N_124unique_dim_cuda_templateIhEESt5tupleIJNSH_6TensorESM_SM_EERKSM_lbbbEUlllE0_EEPmJS6_EEE10hipError_tPvRmT3_T4_T5_T6_T7_T9_mT8_P12ihipStream_tbDpT10_ENKUlT_T0_E_clISt17integral_constantIbLb1EES1C_EEDaS17_S18_EUlS17_E_NS1_11comp_targetILNS1_3genE8ELNS1_11target_archE1030ELNS1_3gpuE2ELNS1_3repE0EEENS1_30default_config_static_selectorELNS0_4arch9wavefront6targetE1EEEvT1_
; %bb.0:
	.section	.rodata,"a",@progbits
	.p2align	6, 0x0
	.amdhsa_kernel _ZN7rocprim17ROCPRIM_400000_NS6detail17trampoline_kernelINS0_14default_configENS1_25partition_config_selectorILNS1_17partition_subalgoE8ElNS0_10empty_typeEbEEZZNS1_14partition_implILS5_8ELb0ES3_jPlPS6_PKS6_NS0_5tupleIJS9_S6_EEENSD_IJSA_SA_EEENS0_18inequality_wrapperIZN2at6native12_GLOBAL__N_124unique_dim_cuda_templateIhEESt5tupleIJNSH_6TensorESM_SM_EERKSM_lbbbEUlllE0_EEPmJS6_EEE10hipError_tPvRmT3_T4_T5_T6_T7_T9_mT8_P12ihipStream_tbDpT10_ENKUlT_T0_E_clISt17integral_constantIbLb1EES1C_EEDaS17_S18_EUlS17_E_NS1_11comp_targetILNS1_3genE8ELNS1_11target_archE1030ELNS1_3gpuE2ELNS1_3repE0EEENS1_30default_config_static_selectorELNS0_4arch9wavefront6targetE1EEEvT1_
		.amdhsa_group_segment_fixed_size 0
		.amdhsa_private_segment_fixed_size 0
		.amdhsa_kernarg_size 136
		.amdhsa_user_sgpr_count 2
		.amdhsa_user_sgpr_dispatch_ptr 0
		.amdhsa_user_sgpr_queue_ptr 0
		.amdhsa_user_sgpr_kernarg_segment_ptr 1
		.amdhsa_user_sgpr_dispatch_id 0
		.amdhsa_user_sgpr_kernarg_preload_length 0
		.amdhsa_user_sgpr_kernarg_preload_offset 0
		.amdhsa_user_sgpr_private_segment_size 0
		.amdhsa_uses_dynamic_stack 0
		.amdhsa_enable_private_segment 0
		.amdhsa_system_sgpr_workgroup_id_x 1
		.amdhsa_system_sgpr_workgroup_id_y 0
		.amdhsa_system_sgpr_workgroup_id_z 0
		.amdhsa_system_sgpr_workgroup_info 0
		.amdhsa_system_vgpr_workitem_id 0
		.amdhsa_next_free_vgpr 1
		.amdhsa_next_free_sgpr 0
		.amdhsa_accum_offset 4
		.amdhsa_reserve_vcc 0
		.amdhsa_float_round_mode_32 0
		.amdhsa_float_round_mode_16_64 0
		.amdhsa_float_denorm_mode_32 3
		.amdhsa_float_denorm_mode_16_64 3
		.amdhsa_dx10_clamp 1
		.amdhsa_ieee_mode 1
		.amdhsa_fp16_overflow 0
		.amdhsa_tg_split 0
		.amdhsa_exception_fp_ieee_invalid_op 0
		.amdhsa_exception_fp_denorm_src 0
		.amdhsa_exception_fp_ieee_div_zero 0
		.amdhsa_exception_fp_ieee_overflow 0
		.amdhsa_exception_fp_ieee_underflow 0
		.amdhsa_exception_fp_ieee_inexact 0
		.amdhsa_exception_int_div_zero 0
	.end_amdhsa_kernel
	.section	.text._ZN7rocprim17ROCPRIM_400000_NS6detail17trampoline_kernelINS0_14default_configENS1_25partition_config_selectorILNS1_17partition_subalgoE8ElNS0_10empty_typeEbEEZZNS1_14partition_implILS5_8ELb0ES3_jPlPS6_PKS6_NS0_5tupleIJS9_S6_EEENSD_IJSA_SA_EEENS0_18inequality_wrapperIZN2at6native12_GLOBAL__N_124unique_dim_cuda_templateIhEESt5tupleIJNSH_6TensorESM_SM_EERKSM_lbbbEUlllE0_EEPmJS6_EEE10hipError_tPvRmT3_T4_T5_T6_T7_T9_mT8_P12ihipStream_tbDpT10_ENKUlT_T0_E_clISt17integral_constantIbLb1EES1C_EEDaS17_S18_EUlS17_E_NS1_11comp_targetILNS1_3genE8ELNS1_11target_archE1030ELNS1_3gpuE2ELNS1_3repE0EEENS1_30default_config_static_selectorELNS0_4arch9wavefront6targetE1EEEvT1_,"axG",@progbits,_ZN7rocprim17ROCPRIM_400000_NS6detail17trampoline_kernelINS0_14default_configENS1_25partition_config_selectorILNS1_17partition_subalgoE8ElNS0_10empty_typeEbEEZZNS1_14partition_implILS5_8ELb0ES3_jPlPS6_PKS6_NS0_5tupleIJS9_S6_EEENSD_IJSA_SA_EEENS0_18inequality_wrapperIZN2at6native12_GLOBAL__N_124unique_dim_cuda_templateIhEESt5tupleIJNSH_6TensorESM_SM_EERKSM_lbbbEUlllE0_EEPmJS6_EEE10hipError_tPvRmT3_T4_T5_T6_T7_T9_mT8_P12ihipStream_tbDpT10_ENKUlT_T0_E_clISt17integral_constantIbLb1EES1C_EEDaS17_S18_EUlS17_E_NS1_11comp_targetILNS1_3genE8ELNS1_11target_archE1030ELNS1_3gpuE2ELNS1_3repE0EEENS1_30default_config_static_selectorELNS0_4arch9wavefront6targetE1EEEvT1_,comdat
.Lfunc_end186:
	.size	_ZN7rocprim17ROCPRIM_400000_NS6detail17trampoline_kernelINS0_14default_configENS1_25partition_config_selectorILNS1_17partition_subalgoE8ElNS0_10empty_typeEbEEZZNS1_14partition_implILS5_8ELb0ES3_jPlPS6_PKS6_NS0_5tupleIJS9_S6_EEENSD_IJSA_SA_EEENS0_18inequality_wrapperIZN2at6native12_GLOBAL__N_124unique_dim_cuda_templateIhEESt5tupleIJNSH_6TensorESM_SM_EERKSM_lbbbEUlllE0_EEPmJS6_EEE10hipError_tPvRmT3_T4_T5_T6_T7_T9_mT8_P12ihipStream_tbDpT10_ENKUlT_T0_E_clISt17integral_constantIbLb1EES1C_EEDaS17_S18_EUlS17_E_NS1_11comp_targetILNS1_3genE8ELNS1_11target_archE1030ELNS1_3gpuE2ELNS1_3repE0EEENS1_30default_config_static_selectorELNS0_4arch9wavefront6targetE1EEEvT1_, .Lfunc_end186-_ZN7rocprim17ROCPRIM_400000_NS6detail17trampoline_kernelINS0_14default_configENS1_25partition_config_selectorILNS1_17partition_subalgoE8ElNS0_10empty_typeEbEEZZNS1_14partition_implILS5_8ELb0ES3_jPlPS6_PKS6_NS0_5tupleIJS9_S6_EEENSD_IJSA_SA_EEENS0_18inequality_wrapperIZN2at6native12_GLOBAL__N_124unique_dim_cuda_templateIhEESt5tupleIJNSH_6TensorESM_SM_EERKSM_lbbbEUlllE0_EEPmJS6_EEE10hipError_tPvRmT3_T4_T5_T6_T7_T9_mT8_P12ihipStream_tbDpT10_ENKUlT_T0_E_clISt17integral_constantIbLb1EES1C_EEDaS17_S18_EUlS17_E_NS1_11comp_targetILNS1_3genE8ELNS1_11target_archE1030ELNS1_3gpuE2ELNS1_3repE0EEENS1_30default_config_static_selectorELNS0_4arch9wavefront6targetE1EEEvT1_
                                        ; -- End function
	.section	.AMDGPU.csdata,"",@progbits
; Kernel info:
; codeLenInByte = 0
; NumSgprs: 6
; NumVgprs: 0
; NumAgprs: 0
; TotalNumVgprs: 0
; ScratchSize: 0
; MemoryBound: 0
; FloatMode: 240
; IeeeMode: 1
; LDSByteSize: 0 bytes/workgroup (compile time only)
; SGPRBlocks: 0
; VGPRBlocks: 0
; NumSGPRsForWavesPerEU: 6
; NumVGPRsForWavesPerEU: 1
; AccumOffset: 4
; Occupancy: 8
; WaveLimiterHint : 0
; COMPUTE_PGM_RSRC2:SCRATCH_EN: 0
; COMPUTE_PGM_RSRC2:USER_SGPR: 2
; COMPUTE_PGM_RSRC2:TRAP_HANDLER: 0
; COMPUTE_PGM_RSRC2:TGID_X_EN: 1
; COMPUTE_PGM_RSRC2:TGID_Y_EN: 0
; COMPUTE_PGM_RSRC2:TGID_Z_EN: 0
; COMPUTE_PGM_RSRC2:TIDIG_COMP_CNT: 0
; COMPUTE_PGM_RSRC3_GFX90A:ACCUM_OFFSET: 0
; COMPUTE_PGM_RSRC3_GFX90A:TG_SPLIT: 0
	.section	.text._ZN7rocprim17ROCPRIM_400000_NS6detail31init_lookback_scan_state_kernelINS1_19lookback_scan_stateIjLb1ELb1EEENS1_16block_id_wrapperIjLb0EEEEEvT_jT0_jPNS7_10value_typeE,"axG",@progbits,_ZN7rocprim17ROCPRIM_400000_NS6detail31init_lookback_scan_state_kernelINS1_19lookback_scan_stateIjLb1ELb1EEENS1_16block_id_wrapperIjLb0EEEEEvT_jT0_jPNS7_10value_typeE,comdat
	.protected	_ZN7rocprim17ROCPRIM_400000_NS6detail31init_lookback_scan_state_kernelINS1_19lookback_scan_stateIjLb1ELb1EEENS1_16block_id_wrapperIjLb0EEEEEvT_jT0_jPNS7_10value_typeE ; -- Begin function _ZN7rocprim17ROCPRIM_400000_NS6detail31init_lookback_scan_state_kernelINS1_19lookback_scan_stateIjLb1ELb1EEENS1_16block_id_wrapperIjLb0EEEEEvT_jT0_jPNS7_10value_typeE
	.globl	_ZN7rocprim17ROCPRIM_400000_NS6detail31init_lookback_scan_state_kernelINS1_19lookback_scan_stateIjLb1ELb1EEENS1_16block_id_wrapperIjLb0EEEEEvT_jT0_jPNS7_10value_typeE
	.p2align	8
	.type	_ZN7rocprim17ROCPRIM_400000_NS6detail31init_lookback_scan_state_kernelINS1_19lookback_scan_stateIjLb1ELb1EEENS1_16block_id_wrapperIjLb0EEEEEvT_jT0_jPNS7_10value_typeE,@function
_ZN7rocprim17ROCPRIM_400000_NS6detail31init_lookback_scan_state_kernelINS1_19lookback_scan_stateIjLb1ELb1EEENS1_16block_id_wrapperIjLb0EEEEEvT_jT0_jPNS7_10value_typeE: ; @_ZN7rocprim17ROCPRIM_400000_NS6detail31init_lookback_scan_state_kernelINS1_19lookback_scan_stateIjLb1ELb1EEENS1_16block_id_wrapperIjLb0EEEEEvT_jT0_jPNS7_10value_typeE
; %bb.0:
	s_load_dword s3, s[0:1], 0x2c
	s_load_dwordx2 s[6:7], s[0:1], 0x18
	s_load_dwordx2 s[4:5], s[0:1], 0x0
	s_load_dword s8, s[0:1], 0x8
	s_waitcnt lgkmcnt(0)
	s_and_b32 s3, s3, 0xffff
	s_mul_i32 s2, s2, s3
	s_cmp_eq_u64 s[6:7], 0
	v_add_u32_e32 v0, s2, v0
	s_cbranch_scc1 .LBB187_9
; %bb.1:
	s_load_dword s2, s[0:1], 0x10
	s_mov_b32 s3, 0
	s_waitcnt lgkmcnt(0)
	s_cmp_lt_u32 s2, s8
	s_cselect_b32 s0, s2, 0
	v_cmp_eq_u32_e32 vcc, s0, v0
	s_and_saveexec_b64 s[0:1], vcc
	s_cbranch_execz .LBB187_8
; %bb.2:
	s_add_i32 s2, s2, 64
	s_lshl_b64 s[2:3], s[2:3], 3
	s_add_u32 s2, s4, s2
	s_addc_u32 s3, s5, s3
	v_mov_b32_e32 v2, 0
	global_load_dwordx2 v[4:5], v2, s[2:3] sc1
	s_waitcnt vmcnt(0)
	v_and_b32_e32 v3, 0xff, v5
	v_cmp_ne_u64_e32 vcc, 0, v[2:3]
	s_cbranch_vccnz .LBB187_7
; %bb.3:
	s_mov_b32 s9, 1
.LBB187_4:                              ; =>This Loop Header: Depth=1
                                        ;     Child Loop BB187_5 Depth 2
	s_max_u32 s10, s9, 1
.LBB187_5:                              ;   Parent Loop BB187_4 Depth=1
                                        ; =>  This Inner Loop Header: Depth=2
	s_add_i32 s10, s10, -1
	s_cmp_eq_u32 s10, 0
	s_sleep 1
	s_cbranch_scc0 .LBB187_5
; %bb.6:                                ;   in Loop: Header=BB187_4 Depth=1
	global_load_dwordx2 v[4:5], v2, s[2:3] sc1
	s_cmp_lt_u32 s9, 32
	s_cselect_b64 s[10:11], -1, 0
	s_cmp_lg_u64 s[10:11], 0
	s_addc_u32 s9, s9, 0
	s_waitcnt vmcnt(0)
	v_and_b32_e32 v3, 0xff, v5
	v_cmp_ne_u64_e32 vcc, 0, v[2:3]
	s_cbranch_vccz .LBB187_4
.LBB187_7:
	v_mov_b32_e32 v1, 0
	global_store_dword v1, v4, s[6:7]
.LBB187_8:
	s_or_b64 exec, exec, s[0:1]
.LBB187_9:
	v_cmp_gt_u32_e32 vcc, s8, v0
	s_and_saveexec_b64 s[0:1], vcc
	s_cbranch_execnz .LBB187_12
; %bb.10:
	s_or_b64 exec, exec, s[0:1]
	v_cmp_gt_u32_e32 vcc, 64, v0
	s_and_saveexec_b64 s[0:1], vcc
	s_cbranch_execnz .LBB187_13
.LBB187_11:
	s_endpgm
.LBB187_12:
	v_add_u32_e32 v2, 64, v0
	v_mov_b32_e32 v3, 0
	v_lshl_add_u64 v[4:5], v[2:3], 3, s[4:5]
	v_mov_b32_e32 v2, v3
	global_store_dwordx2 v[4:5], v[2:3], off
	s_or_b64 exec, exec, s[0:1]
	v_cmp_gt_u32_e32 vcc, 64, v0
	s_and_saveexec_b64 s[0:1], vcc
	s_cbranch_execz .LBB187_11
.LBB187_13:
	v_mov_b32_e32 v1, 0
	v_lshl_add_u64 v[2:3], v[0:1], 3, s[4:5]
	v_mov_b32_e32 v5, 0xff
	v_mov_b32_e32 v4, v1
	global_store_dwordx2 v[2:3], v[4:5], off
	s_endpgm
	.section	.rodata,"a",@progbits
	.p2align	6, 0x0
	.amdhsa_kernel _ZN7rocprim17ROCPRIM_400000_NS6detail31init_lookback_scan_state_kernelINS1_19lookback_scan_stateIjLb1ELb1EEENS1_16block_id_wrapperIjLb0EEEEEvT_jT0_jPNS7_10value_typeE
		.amdhsa_group_segment_fixed_size 0
		.amdhsa_private_segment_fixed_size 0
		.amdhsa_kernarg_size 288
		.amdhsa_user_sgpr_count 2
		.amdhsa_user_sgpr_dispatch_ptr 0
		.amdhsa_user_sgpr_queue_ptr 0
		.amdhsa_user_sgpr_kernarg_segment_ptr 1
		.amdhsa_user_sgpr_dispatch_id 0
		.amdhsa_user_sgpr_kernarg_preload_length 0
		.amdhsa_user_sgpr_kernarg_preload_offset 0
		.amdhsa_user_sgpr_private_segment_size 0
		.amdhsa_uses_dynamic_stack 0
		.amdhsa_enable_private_segment 0
		.amdhsa_system_sgpr_workgroup_id_x 1
		.amdhsa_system_sgpr_workgroup_id_y 0
		.amdhsa_system_sgpr_workgroup_id_z 0
		.amdhsa_system_sgpr_workgroup_info 0
		.amdhsa_system_vgpr_workitem_id 0
		.amdhsa_next_free_vgpr 6
		.amdhsa_next_free_sgpr 12
		.amdhsa_accum_offset 8
		.amdhsa_reserve_vcc 1
		.amdhsa_float_round_mode_32 0
		.amdhsa_float_round_mode_16_64 0
		.amdhsa_float_denorm_mode_32 3
		.amdhsa_float_denorm_mode_16_64 3
		.amdhsa_dx10_clamp 1
		.amdhsa_ieee_mode 1
		.amdhsa_fp16_overflow 0
		.amdhsa_tg_split 0
		.amdhsa_exception_fp_ieee_invalid_op 0
		.amdhsa_exception_fp_denorm_src 0
		.amdhsa_exception_fp_ieee_div_zero 0
		.amdhsa_exception_fp_ieee_overflow 0
		.amdhsa_exception_fp_ieee_underflow 0
		.amdhsa_exception_fp_ieee_inexact 0
		.amdhsa_exception_int_div_zero 0
	.end_amdhsa_kernel
	.section	.text._ZN7rocprim17ROCPRIM_400000_NS6detail31init_lookback_scan_state_kernelINS1_19lookback_scan_stateIjLb1ELb1EEENS1_16block_id_wrapperIjLb0EEEEEvT_jT0_jPNS7_10value_typeE,"axG",@progbits,_ZN7rocprim17ROCPRIM_400000_NS6detail31init_lookback_scan_state_kernelINS1_19lookback_scan_stateIjLb1ELb1EEENS1_16block_id_wrapperIjLb0EEEEEvT_jT0_jPNS7_10value_typeE,comdat
.Lfunc_end187:
	.size	_ZN7rocprim17ROCPRIM_400000_NS6detail31init_lookback_scan_state_kernelINS1_19lookback_scan_stateIjLb1ELb1EEENS1_16block_id_wrapperIjLb0EEEEEvT_jT0_jPNS7_10value_typeE, .Lfunc_end187-_ZN7rocprim17ROCPRIM_400000_NS6detail31init_lookback_scan_state_kernelINS1_19lookback_scan_stateIjLb1ELb1EEENS1_16block_id_wrapperIjLb0EEEEEvT_jT0_jPNS7_10value_typeE
                                        ; -- End function
	.section	.AMDGPU.csdata,"",@progbits
; Kernel info:
; codeLenInByte = 340
; NumSgprs: 18
; NumVgprs: 6
; NumAgprs: 0
; TotalNumVgprs: 6
; ScratchSize: 0
; MemoryBound: 0
; FloatMode: 240
; IeeeMode: 1
; LDSByteSize: 0 bytes/workgroup (compile time only)
; SGPRBlocks: 2
; VGPRBlocks: 0
; NumSGPRsForWavesPerEU: 18
; NumVGPRsForWavesPerEU: 6
; AccumOffset: 8
; Occupancy: 8
; WaveLimiterHint : 0
; COMPUTE_PGM_RSRC2:SCRATCH_EN: 0
; COMPUTE_PGM_RSRC2:USER_SGPR: 2
; COMPUTE_PGM_RSRC2:TRAP_HANDLER: 0
; COMPUTE_PGM_RSRC2:TGID_X_EN: 1
; COMPUTE_PGM_RSRC2:TGID_Y_EN: 0
; COMPUTE_PGM_RSRC2:TGID_Z_EN: 0
; COMPUTE_PGM_RSRC2:TIDIG_COMP_CNT: 0
; COMPUTE_PGM_RSRC3_GFX90A:ACCUM_OFFSET: 1
; COMPUTE_PGM_RSRC3_GFX90A:TG_SPLIT: 0
	.section	.text._ZN7rocprim17ROCPRIM_400000_NS6detail17trampoline_kernelINS0_14default_configENS1_25partition_config_selectorILNS1_17partition_subalgoE8ElNS0_10empty_typeEbEEZZNS1_14partition_implILS5_8ELb0ES3_jPlPS6_PKS6_NS0_5tupleIJS9_S6_EEENSD_IJSA_SA_EEENS0_18inequality_wrapperIZN2at6native12_GLOBAL__N_124unique_dim_cuda_templateIhEESt5tupleIJNSH_6TensorESM_SM_EERKSM_lbbbEUlllE0_EEPmJS6_EEE10hipError_tPvRmT3_T4_T5_T6_T7_T9_mT8_P12ihipStream_tbDpT10_ENKUlT_T0_E_clISt17integral_constantIbLb1EES1B_IbLb0EEEEDaS17_S18_EUlS17_E_NS1_11comp_targetILNS1_3genE0ELNS1_11target_archE4294967295ELNS1_3gpuE0ELNS1_3repE0EEENS1_30default_config_static_selectorELNS0_4arch9wavefront6targetE1EEEvT1_,"axG",@progbits,_ZN7rocprim17ROCPRIM_400000_NS6detail17trampoline_kernelINS0_14default_configENS1_25partition_config_selectorILNS1_17partition_subalgoE8ElNS0_10empty_typeEbEEZZNS1_14partition_implILS5_8ELb0ES3_jPlPS6_PKS6_NS0_5tupleIJS9_S6_EEENSD_IJSA_SA_EEENS0_18inequality_wrapperIZN2at6native12_GLOBAL__N_124unique_dim_cuda_templateIhEESt5tupleIJNSH_6TensorESM_SM_EERKSM_lbbbEUlllE0_EEPmJS6_EEE10hipError_tPvRmT3_T4_T5_T6_T7_T9_mT8_P12ihipStream_tbDpT10_ENKUlT_T0_E_clISt17integral_constantIbLb1EES1B_IbLb0EEEEDaS17_S18_EUlS17_E_NS1_11comp_targetILNS1_3genE0ELNS1_11target_archE4294967295ELNS1_3gpuE0ELNS1_3repE0EEENS1_30default_config_static_selectorELNS0_4arch9wavefront6targetE1EEEvT1_,comdat
	.globl	_ZN7rocprim17ROCPRIM_400000_NS6detail17trampoline_kernelINS0_14default_configENS1_25partition_config_selectorILNS1_17partition_subalgoE8ElNS0_10empty_typeEbEEZZNS1_14partition_implILS5_8ELb0ES3_jPlPS6_PKS6_NS0_5tupleIJS9_S6_EEENSD_IJSA_SA_EEENS0_18inequality_wrapperIZN2at6native12_GLOBAL__N_124unique_dim_cuda_templateIhEESt5tupleIJNSH_6TensorESM_SM_EERKSM_lbbbEUlllE0_EEPmJS6_EEE10hipError_tPvRmT3_T4_T5_T6_T7_T9_mT8_P12ihipStream_tbDpT10_ENKUlT_T0_E_clISt17integral_constantIbLb1EES1B_IbLb0EEEEDaS17_S18_EUlS17_E_NS1_11comp_targetILNS1_3genE0ELNS1_11target_archE4294967295ELNS1_3gpuE0ELNS1_3repE0EEENS1_30default_config_static_selectorELNS0_4arch9wavefront6targetE1EEEvT1_ ; -- Begin function _ZN7rocprim17ROCPRIM_400000_NS6detail17trampoline_kernelINS0_14default_configENS1_25partition_config_selectorILNS1_17partition_subalgoE8ElNS0_10empty_typeEbEEZZNS1_14partition_implILS5_8ELb0ES3_jPlPS6_PKS6_NS0_5tupleIJS9_S6_EEENSD_IJSA_SA_EEENS0_18inequality_wrapperIZN2at6native12_GLOBAL__N_124unique_dim_cuda_templateIhEESt5tupleIJNSH_6TensorESM_SM_EERKSM_lbbbEUlllE0_EEPmJS6_EEE10hipError_tPvRmT3_T4_T5_T6_T7_T9_mT8_P12ihipStream_tbDpT10_ENKUlT_T0_E_clISt17integral_constantIbLb1EES1B_IbLb0EEEEDaS17_S18_EUlS17_E_NS1_11comp_targetILNS1_3genE0ELNS1_11target_archE4294967295ELNS1_3gpuE0ELNS1_3repE0EEENS1_30default_config_static_selectorELNS0_4arch9wavefront6targetE1EEEvT1_
	.p2align	8
	.type	_ZN7rocprim17ROCPRIM_400000_NS6detail17trampoline_kernelINS0_14default_configENS1_25partition_config_selectorILNS1_17partition_subalgoE8ElNS0_10empty_typeEbEEZZNS1_14partition_implILS5_8ELb0ES3_jPlPS6_PKS6_NS0_5tupleIJS9_S6_EEENSD_IJSA_SA_EEENS0_18inequality_wrapperIZN2at6native12_GLOBAL__N_124unique_dim_cuda_templateIhEESt5tupleIJNSH_6TensorESM_SM_EERKSM_lbbbEUlllE0_EEPmJS6_EEE10hipError_tPvRmT3_T4_T5_T6_T7_T9_mT8_P12ihipStream_tbDpT10_ENKUlT_T0_E_clISt17integral_constantIbLb1EES1B_IbLb0EEEEDaS17_S18_EUlS17_E_NS1_11comp_targetILNS1_3genE0ELNS1_11target_archE4294967295ELNS1_3gpuE0ELNS1_3repE0EEENS1_30default_config_static_selectorELNS0_4arch9wavefront6targetE1EEEvT1_,@function
_ZN7rocprim17ROCPRIM_400000_NS6detail17trampoline_kernelINS0_14default_configENS1_25partition_config_selectorILNS1_17partition_subalgoE8ElNS0_10empty_typeEbEEZZNS1_14partition_implILS5_8ELb0ES3_jPlPS6_PKS6_NS0_5tupleIJS9_S6_EEENSD_IJSA_SA_EEENS0_18inequality_wrapperIZN2at6native12_GLOBAL__N_124unique_dim_cuda_templateIhEESt5tupleIJNSH_6TensorESM_SM_EERKSM_lbbbEUlllE0_EEPmJS6_EEE10hipError_tPvRmT3_T4_T5_T6_T7_T9_mT8_P12ihipStream_tbDpT10_ENKUlT_T0_E_clISt17integral_constantIbLb1EES1B_IbLb0EEEEDaS17_S18_EUlS17_E_NS1_11comp_targetILNS1_3genE0ELNS1_11target_archE4294967295ELNS1_3gpuE0ELNS1_3repE0EEENS1_30default_config_static_selectorELNS0_4arch9wavefront6targetE1EEEvT1_: ; @_ZN7rocprim17ROCPRIM_400000_NS6detail17trampoline_kernelINS0_14default_configENS1_25partition_config_selectorILNS1_17partition_subalgoE8ElNS0_10empty_typeEbEEZZNS1_14partition_implILS5_8ELb0ES3_jPlPS6_PKS6_NS0_5tupleIJS9_S6_EEENSD_IJSA_SA_EEENS0_18inequality_wrapperIZN2at6native12_GLOBAL__N_124unique_dim_cuda_templateIhEESt5tupleIJNSH_6TensorESM_SM_EERKSM_lbbbEUlllE0_EEPmJS6_EEE10hipError_tPvRmT3_T4_T5_T6_T7_T9_mT8_P12ihipStream_tbDpT10_ENKUlT_T0_E_clISt17integral_constantIbLb1EES1B_IbLb0EEEEDaS17_S18_EUlS17_E_NS1_11comp_targetILNS1_3genE0ELNS1_11target_archE4294967295ELNS1_3gpuE0ELNS1_3repE0EEENS1_30default_config_static_selectorELNS0_4arch9wavefront6targetE1EEEvT1_
; %bb.0:
	.section	.rodata,"a",@progbits
	.p2align	6, 0x0
	.amdhsa_kernel _ZN7rocprim17ROCPRIM_400000_NS6detail17trampoline_kernelINS0_14default_configENS1_25partition_config_selectorILNS1_17partition_subalgoE8ElNS0_10empty_typeEbEEZZNS1_14partition_implILS5_8ELb0ES3_jPlPS6_PKS6_NS0_5tupleIJS9_S6_EEENSD_IJSA_SA_EEENS0_18inequality_wrapperIZN2at6native12_GLOBAL__N_124unique_dim_cuda_templateIhEESt5tupleIJNSH_6TensorESM_SM_EERKSM_lbbbEUlllE0_EEPmJS6_EEE10hipError_tPvRmT3_T4_T5_T6_T7_T9_mT8_P12ihipStream_tbDpT10_ENKUlT_T0_E_clISt17integral_constantIbLb1EES1B_IbLb0EEEEDaS17_S18_EUlS17_E_NS1_11comp_targetILNS1_3genE0ELNS1_11target_archE4294967295ELNS1_3gpuE0ELNS1_3repE0EEENS1_30default_config_static_selectorELNS0_4arch9wavefront6targetE1EEEvT1_
		.amdhsa_group_segment_fixed_size 0
		.amdhsa_private_segment_fixed_size 0
		.amdhsa_kernarg_size 120
		.amdhsa_user_sgpr_count 2
		.amdhsa_user_sgpr_dispatch_ptr 0
		.amdhsa_user_sgpr_queue_ptr 0
		.amdhsa_user_sgpr_kernarg_segment_ptr 1
		.amdhsa_user_sgpr_dispatch_id 0
		.amdhsa_user_sgpr_kernarg_preload_length 0
		.amdhsa_user_sgpr_kernarg_preload_offset 0
		.amdhsa_user_sgpr_private_segment_size 0
		.amdhsa_uses_dynamic_stack 0
		.amdhsa_enable_private_segment 0
		.amdhsa_system_sgpr_workgroup_id_x 1
		.amdhsa_system_sgpr_workgroup_id_y 0
		.amdhsa_system_sgpr_workgroup_id_z 0
		.amdhsa_system_sgpr_workgroup_info 0
		.amdhsa_system_vgpr_workitem_id 0
		.amdhsa_next_free_vgpr 1
		.amdhsa_next_free_sgpr 0
		.amdhsa_accum_offset 4
		.amdhsa_reserve_vcc 0
		.amdhsa_float_round_mode_32 0
		.amdhsa_float_round_mode_16_64 0
		.amdhsa_float_denorm_mode_32 3
		.amdhsa_float_denorm_mode_16_64 3
		.amdhsa_dx10_clamp 1
		.amdhsa_ieee_mode 1
		.amdhsa_fp16_overflow 0
		.amdhsa_tg_split 0
		.amdhsa_exception_fp_ieee_invalid_op 0
		.amdhsa_exception_fp_denorm_src 0
		.amdhsa_exception_fp_ieee_div_zero 0
		.amdhsa_exception_fp_ieee_overflow 0
		.amdhsa_exception_fp_ieee_underflow 0
		.amdhsa_exception_fp_ieee_inexact 0
		.amdhsa_exception_int_div_zero 0
	.end_amdhsa_kernel
	.section	.text._ZN7rocprim17ROCPRIM_400000_NS6detail17trampoline_kernelINS0_14default_configENS1_25partition_config_selectorILNS1_17partition_subalgoE8ElNS0_10empty_typeEbEEZZNS1_14partition_implILS5_8ELb0ES3_jPlPS6_PKS6_NS0_5tupleIJS9_S6_EEENSD_IJSA_SA_EEENS0_18inequality_wrapperIZN2at6native12_GLOBAL__N_124unique_dim_cuda_templateIhEESt5tupleIJNSH_6TensorESM_SM_EERKSM_lbbbEUlllE0_EEPmJS6_EEE10hipError_tPvRmT3_T4_T5_T6_T7_T9_mT8_P12ihipStream_tbDpT10_ENKUlT_T0_E_clISt17integral_constantIbLb1EES1B_IbLb0EEEEDaS17_S18_EUlS17_E_NS1_11comp_targetILNS1_3genE0ELNS1_11target_archE4294967295ELNS1_3gpuE0ELNS1_3repE0EEENS1_30default_config_static_selectorELNS0_4arch9wavefront6targetE1EEEvT1_,"axG",@progbits,_ZN7rocprim17ROCPRIM_400000_NS6detail17trampoline_kernelINS0_14default_configENS1_25partition_config_selectorILNS1_17partition_subalgoE8ElNS0_10empty_typeEbEEZZNS1_14partition_implILS5_8ELb0ES3_jPlPS6_PKS6_NS0_5tupleIJS9_S6_EEENSD_IJSA_SA_EEENS0_18inequality_wrapperIZN2at6native12_GLOBAL__N_124unique_dim_cuda_templateIhEESt5tupleIJNSH_6TensorESM_SM_EERKSM_lbbbEUlllE0_EEPmJS6_EEE10hipError_tPvRmT3_T4_T5_T6_T7_T9_mT8_P12ihipStream_tbDpT10_ENKUlT_T0_E_clISt17integral_constantIbLb1EES1B_IbLb0EEEEDaS17_S18_EUlS17_E_NS1_11comp_targetILNS1_3genE0ELNS1_11target_archE4294967295ELNS1_3gpuE0ELNS1_3repE0EEENS1_30default_config_static_selectorELNS0_4arch9wavefront6targetE1EEEvT1_,comdat
.Lfunc_end188:
	.size	_ZN7rocprim17ROCPRIM_400000_NS6detail17trampoline_kernelINS0_14default_configENS1_25partition_config_selectorILNS1_17partition_subalgoE8ElNS0_10empty_typeEbEEZZNS1_14partition_implILS5_8ELb0ES3_jPlPS6_PKS6_NS0_5tupleIJS9_S6_EEENSD_IJSA_SA_EEENS0_18inequality_wrapperIZN2at6native12_GLOBAL__N_124unique_dim_cuda_templateIhEESt5tupleIJNSH_6TensorESM_SM_EERKSM_lbbbEUlllE0_EEPmJS6_EEE10hipError_tPvRmT3_T4_T5_T6_T7_T9_mT8_P12ihipStream_tbDpT10_ENKUlT_T0_E_clISt17integral_constantIbLb1EES1B_IbLb0EEEEDaS17_S18_EUlS17_E_NS1_11comp_targetILNS1_3genE0ELNS1_11target_archE4294967295ELNS1_3gpuE0ELNS1_3repE0EEENS1_30default_config_static_selectorELNS0_4arch9wavefront6targetE1EEEvT1_, .Lfunc_end188-_ZN7rocprim17ROCPRIM_400000_NS6detail17trampoline_kernelINS0_14default_configENS1_25partition_config_selectorILNS1_17partition_subalgoE8ElNS0_10empty_typeEbEEZZNS1_14partition_implILS5_8ELb0ES3_jPlPS6_PKS6_NS0_5tupleIJS9_S6_EEENSD_IJSA_SA_EEENS0_18inequality_wrapperIZN2at6native12_GLOBAL__N_124unique_dim_cuda_templateIhEESt5tupleIJNSH_6TensorESM_SM_EERKSM_lbbbEUlllE0_EEPmJS6_EEE10hipError_tPvRmT3_T4_T5_T6_T7_T9_mT8_P12ihipStream_tbDpT10_ENKUlT_T0_E_clISt17integral_constantIbLb1EES1B_IbLb0EEEEDaS17_S18_EUlS17_E_NS1_11comp_targetILNS1_3genE0ELNS1_11target_archE4294967295ELNS1_3gpuE0ELNS1_3repE0EEENS1_30default_config_static_selectorELNS0_4arch9wavefront6targetE1EEEvT1_
                                        ; -- End function
	.section	.AMDGPU.csdata,"",@progbits
; Kernel info:
; codeLenInByte = 0
; NumSgprs: 6
; NumVgprs: 0
; NumAgprs: 0
; TotalNumVgprs: 0
; ScratchSize: 0
; MemoryBound: 0
; FloatMode: 240
; IeeeMode: 1
; LDSByteSize: 0 bytes/workgroup (compile time only)
; SGPRBlocks: 0
; VGPRBlocks: 0
; NumSGPRsForWavesPerEU: 6
; NumVGPRsForWavesPerEU: 1
; AccumOffset: 4
; Occupancy: 8
; WaveLimiterHint : 0
; COMPUTE_PGM_RSRC2:SCRATCH_EN: 0
; COMPUTE_PGM_RSRC2:USER_SGPR: 2
; COMPUTE_PGM_RSRC2:TRAP_HANDLER: 0
; COMPUTE_PGM_RSRC2:TGID_X_EN: 1
; COMPUTE_PGM_RSRC2:TGID_Y_EN: 0
; COMPUTE_PGM_RSRC2:TGID_Z_EN: 0
; COMPUTE_PGM_RSRC2:TIDIG_COMP_CNT: 0
; COMPUTE_PGM_RSRC3_GFX90A:ACCUM_OFFSET: 0
; COMPUTE_PGM_RSRC3_GFX90A:TG_SPLIT: 0
	.section	.text._ZN7rocprim17ROCPRIM_400000_NS6detail17trampoline_kernelINS0_14default_configENS1_25partition_config_selectorILNS1_17partition_subalgoE8ElNS0_10empty_typeEbEEZZNS1_14partition_implILS5_8ELb0ES3_jPlPS6_PKS6_NS0_5tupleIJS9_S6_EEENSD_IJSA_SA_EEENS0_18inequality_wrapperIZN2at6native12_GLOBAL__N_124unique_dim_cuda_templateIhEESt5tupleIJNSH_6TensorESM_SM_EERKSM_lbbbEUlllE0_EEPmJS6_EEE10hipError_tPvRmT3_T4_T5_T6_T7_T9_mT8_P12ihipStream_tbDpT10_ENKUlT_T0_E_clISt17integral_constantIbLb1EES1B_IbLb0EEEEDaS17_S18_EUlS17_E_NS1_11comp_targetILNS1_3genE5ELNS1_11target_archE942ELNS1_3gpuE9ELNS1_3repE0EEENS1_30default_config_static_selectorELNS0_4arch9wavefront6targetE1EEEvT1_,"axG",@progbits,_ZN7rocprim17ROCPRIM_400000_NS6detail17trampoline_kernelINS0_14default_configENS1_25partition_config_selectorILNS1_17partition_subalgoE8ElNS0_10empty_typeEbEEZZNS1_14partition_implILS5_8ELb0ES3_jPlPS6_PKS6_NS0_5tupleIJS9_S6_EEENSD_IJSA_SA_EEENS0_18inequality_wrapperIZN2at6native12_GLOBAL__N_124unique_dim_cuda_templateIhEESt5tupleIJNSH_6TensorESM_SM_EERKSM_lbbbEUlllE0_EEPmJS6_EEE10hipError_tPvRmT3_T4_T5_T6_T7_T9_mT8_P12ihipStream_tbDpT10_ENKUlT_T0_E_clISt17integral_constantIbLb1EES1B_IbLb0EEEEDaS17_S18_EUlS17_E_NS1_11comp_targetILNS1_3genE5ELNS1_11target_archE942ELNS1_3gpuE9ELNS1_3repE0EEENS1_30default_config_static_selectorELNS0_4arch9wavefront6targetE1EEEvT1_,comdat
	.globl	_ZN7rocprim17ROCPRIM_400000_NS6detail17trampoline_kernelINS0_14default_configENS1_25partition_config_selectorILNS1_17partition_subalgoE8ElNS0_10empty_typeEbEEZZNS1_14partition_implILS5_8ELb0ES3_jPlPS6_PKS6_NS0_5tupleIJS9_S6_EEENSD_IJSA_SA_EEENS0_18inequality_wrapperIZN2at6native12_GLOBAL__N_124unique_dim_cuda_templateIhEESt5tupleIJNSH_6TensorESM_SM_EERKSM_lbbbEUlllE0_EEPmJS6_EEE10hipError_tPvRmT3_T4_T5_T6_T7_T9_mT8_P12ihipStream_tbDpT10_ENKUlT_T0_E_clISt17integral_constantIbLb1EES1B_IbLb0EEEEDaS17_S18_EUlS17_E_NS1_11comp_targetILNS1_3genE5ELNS1_11target_archE942ELNS1_3gpuE9ELNS1_3repE0EEENS1_30default_config_static_selectorELNS0_4arch9wavefront6targetE1EEEvT1_ ; -- Begin function _ZN7rocprim17ROCPRIM_400000_NS6detail17trampoline_kernelINS0_14default_configENS1_25partition_config_selectorILNS1_17partition_subalgoE8ElNS0_10empty_typeEbEEZZNS1_14partition_implILS5_8ELb0ES3_jPlPS6_PKS6_NS0_5tupleIJS9_S6_EEENSD_IJSA_SA_EEENS0_18inequality_wrapperIZN2at6native12_GLOBAL__N_124unique_dim_cuda_templateIhEESt5tupleIJNSH_6TensorESM_SM_EERKSM_lbbbEUlllE0_EEPmJS6_EEE10hipError_tPvRmT3_T4_T5_T6_T7_T9_mT8_P12ihipStream_tbDpT10_ENKUlT_T0_E_clISt17integral_constantIbLb1EES1B_IbLb0EEEEDaS17_S18_EUlS17_E_NS1_11comp_targetILNS1_3genE5ELNS1_11target_archE942ELNS1_3gpuE9ELNS1_3repE0EEENS1_30default_config_static_selectorELNS0_4arch9wavefront6targetE1EEEvT1_
	.p2align	8
	.type	_ZN7rocprim17ROCPRIM_400000_NS6detail17trampoline_kernelINS0_14default_configENS1_25partition_config_selectorILNS1_17partition_subalgoE8ElNS0_10empty_typeEbEEZZNS1_14partition_implILS5_8ELb0ES3_jPlPS6_PKS6_NS0_5tupleIJS9_S6_EEENSD_IJSA_SA_EEENS0_18inequality_wrapperIZN2at6native12_GLOBAL__N_124unique_dim_cuda_templateIhEESt5tupleIJNSH_6TensorESM_SM_EERKSM_lbbbEUlllE0_EEPmJS6_EEE10hipError_tPvRmT3_T4_T5_T6_T7_T9_mT8_P12ihipStream_tbDpT10_ENKUlT_T0_E_clISt17integral_constantIbLb1EES1B_IbLb0EEEEDaS17_S18_EUlS17_E_NS1_11comp_targetILNS1_3genE5ELNS1_11target_archE942ELNS1_3gpuE9ELNS1_3repE0EEENS1_30default_config_static_selectorELNS0_4arch9wavefront6targetE1EEEvT1_,@function
_ZN7rocprim17ROCPRIM_400000_NS6detail17trampoline_kernelINS0_14default_configENS1_25partition_config_selectorILNS1_17partition_subalgoE8ElNS0_10empty_typeEbEEZZNS1_14partition_implILS5_8ELb0ES3_jPlPS6_PKS6_NS0_5tupleIJS9_S6_EEENSD_IJSA_SA_EEENS0_18inequality_wrapperIZN2at6native12_GLOBAL__N_124unique_dim_cuda_templateIhEESt5tupleIJNSH_6TensorESM_SM_EERKSM_lbbbEUlllE0_EEPmJS6_EEE10hipError_tPvRmT3_T4_T5_T6_T7_T9_mT8_P12ihipStream_tbDpT10_ENKUlT_T0_E_clISt17integral_constantIbLb1EES1B_IbLb0EEEEDaS17_S18_EUlS17_E_NS1_11comp_targetILNS1_3genE5ELNS1_11target_archE942ELNS1_3gpuE9ELNS1_3repE0EEENS1_30default_config_static_selectorELNS0_4arch9wavefront6targetE1EEEvT1_: ; @_ZN7rocprim17ROCPRIM_400000_NS6detail17trampoline_kernelINS0_14default_configENS1_25partition_config_selectorILNS1_17partition_subalgoE8ElNS0_10empty_typeEbEEZZNS1_14partition_implILS5_8ELb0ES3_jPlPS6_PKS6_NS0_5tupleIJS9_S6_EEENSD_IJSA_SA_EEENS0_18inequality_wrapperIZN2at6native12_GLOBAL__N_124unique_dim_cuda_templateIhEESt5tupleIJNSH_6TensorESM_SM_EERKSM_lbbbEUlllE0_EEPmJS6_EEE10hipError_tPvRmT3_T4_T5_T6_T7_T9_mT8_P12ihipStream_tbDpT10_ENKUlT_T0_E_clISt17integral_constantIbLb1EES1B_IbLb0EEEEDaS17_S18_EUlS17_E_NS1_11comp_targetILNS1_3genE5ELNS1_11target_archE942ELNS1_3gpuE9ELNS1_3repE0EEENS1_30default_config_static_selectorELNS0_4arch9wavefront6targetE1EEEvT1_
; %bb.0:
	s_load_dwordx8 s[20:27], s[0:1], 0x40
	s_load_dwordx4 s[4:7], s[0:1], 0x8
	s_load_dwordx4 s[28:31], s[0:1], 0x60
	s_load_dword s3, s[0:1], 0x70
	s_waitcnt lgkmcnt(0)
	v_mov_b32_e32 v2, s24
	s_lshl_b64 s[8:9], s[6:7], 3
	s_add_u32 s12, s4, s8
	s_mul_i32 s8, s3, 0xe00
	s_addc_u32 s13, s5, s9
	s_add_i32 s10, s3, -1
	s_add_i32 s3, s8, s6
	s_sub_i32 s3, s24, s3
	s_add_u32 s8, s6, s8
	s_addc_u32 s9, s7, 0
	v_mov_b32_e32 v3, s25
	s_cmp_eq_u32 s2, s10
	s_load_dwordx2 s[22:23], s[22:23], 0x0
	v_cmp_ge_u64_e32 vcc, s[8:9], v[2:3]
	s_cselect_b64 s[24:25], -1, 0
	s_mul_i32 s4, s2, 0xe00
	s_mov_b32 s5, 0
	s_and_b64 s[8:9], s[24:25], vcc
	s_xor_b64 s[34:35], s[8:9], -1
	s_lshl_b64 s[4:5], s[4:5], 3
	s_add_u32 s4, s12, s4
	s_mov_b64 s[10:11], -1
	s_addc_u32 s5, s13, s5
	s_and_b64 vcc, exec, s[34:35]
	s_cbranch_vccz .LBB189_2
; %bb.1:
	v_lshlrev_b32_e32 v2, 3, v0
	v_mov_b32_e32 v3, 0
	v_lshl_add_u64 v[4:5], s[4:5], 0, v[2:3]
	v_add_co_u32_e32 v8, vcc, 0x1000, v4
	global_load_dwordx2 v[6:7], v2, s[4:5]
	s_nop 0
	v_addc_co_u32_e32 v9, vcc, 0, v5, vcc
	v_add_co_u32_e32 v10, vcc, 0x2000, v4
	s_mov_b64 s[10:11], 0
	s_nop 0
	v_addc_co_u32_e32 v11, vcc, 0, v5, vcc
	v_add_co_u32_e32 v12, vcc, 0x3000, v4
	s_nop 1
	v_addc_co_u32_e32 v13, vcc, 0, v5, vcc
	v_add_co_u32_e32 v14, vcc, 0x4000, v4
	s_nop 1
	v_addc_co_u32_e32 v15, vcc, 0, v5, vcc
	global_load_dwordx2 v[16:17], v[8:9], off
	global_load_dwordx2 v[18:19], v[10:11], off
	;; [unrolled: 1-line block ×4, first 2 shown]
	v_add_co_u32_e32 v8, vcc, 0x5000, v4
	s_nop 1
	v_addc_co_u32_e32 v9, vcc, 0, v5, vcc
	v_add_co_u32_e32 v4, vcc, 0x6000, v4
	global_load_dwordx2 v[8:9], v[8:9], off
	s_nop 0
	v_addc_co_u32_e32 v5, vcc, 0, v5, vcc
	global_load_dwordx2 v[4:5], v[4:5], off
	s_waitcnt vmcnt(5)
	ds_write2st64_b64 v2, v[6:7], v[16:17] offset1:8
	s_waitcnt vmcnt(3)
	ds_write2st64_b64 v2, v[18:19], v[20:21] offset0:16 offset1:24
	s_waitcnt vmcnt(1)
	ds_write2st64_b64 v2, v[22:23], v[8:9] offset0:32 offset1:40
	s_waitcnt vmcnt(0)
	ds_write_b64 v2, v[4:5] offset:24576
	s_waitcnt lgkmcnt(0)
	s_barrier
.LBB189_2:
	s_andn2_b64 vcc, exec, s[10:11]
	s_addk_i32 s3, 0xe00
	s_cbranch_vccnz .LBB189_18
; %bb.3:
	v_cmp_gt_u32_e32 vcc, s3, v0
                                        ; implicit-def: $vgpr2_vgpr3_vgpr4_vgpr5_vgpr6_vgpr7_vgpr8_vgpr9_vgpr10_vgpr11_vgpr12_vgpr13_vgpr14_vgpr15_vgpr16_vgpr17
	s_and_saveexec_b64 s[10:11], vcc
	s_cbranch_execz .LBB189_5
; %bb.4:
	v_lshlrev_b32_e32 v1, 3, v0
	global_load_dwordx2 v[2:3], v1, s[4:5]
.LBB189_5:
	s_or_b64 exec, exec, s[10:11]
	v_or_b32_e32 v1, 0x200, v0
	v_cmp_gt_u32_e32 vcc, s3, v1
	s_and_saveexec_b64 s[10:11], vcc
	s_cbranch_execz .LBB189_7
; %bb.6:
	v_lshlrev_b32_e32 v1, 3, v1
	global_load_dwordx2 v[4:5], v1, s[4:5]
.LBB189_7:
	s_or_b64 exec, exec, s[10:11]
	v_or_b32_e32 v1, 0x400, v0
	v_cmp_gt_u32_e32 vcc, s3, v1
	;; [unrolled: 9-line block ×6, first 2 shown]
	s_and_saveexec_b64 s[10:11], vcc
	s_cbranch_execz .LBB189_17
; %bb.16:
	v_lshlrev_b32_e32 v1, 3, v1
	global_load_dwordx2 v[14:15], v1, s[4:5]
.LBB189_17:
	s_or_b64 exec, exec, s[10:11]
	v_lshlrev_b32_e32 v1, 3, v0
	s_waitcnt vmcnt(0)
	ds_write2st64_b64 v1, v[2:3], v[4:5] offset1:8
	ds_write2st64_b64 v1, v[6:7], v[8:9] offset0:16 offset1:24
	ds_write2st64_b64 v1, v[10:11], v[12:13] offset0:32 offset1:40
	ds_write_b64 v1, v[14:15] offset:24576
	s_waitcnt lgkmcnt(0)
	s_barrier
.LBB189_18:
	v_mul_u32_u24_e32 v1, 7, v0
	v_lshlrev_b32_e32 v22, 3, v1
	s_waitcnt lgkmcnt(0)
	ds_read2_b64 v[10:13], v22 offset1:1
	ds_read2_b64 v[6:9], v22 offset0:2 offset1:3
	ds_read2_b64 v[2:5], v22 offset0:4 offset1:5
	ds_read_b64 v[14:15], v22 offset:48
	s_cmp_lg_u32 s2, 0
	s_cselect_b64 s[16:17], -1, 0
	s_cmp_lg_u64 s[6:7], 0
	s_cselect_b64 s[6:7], -1, 0
	s_or_b64 s[6:7], s[16:17], s[6:7]
	v_mad_u32_u24 v25, v0, 7, 1
	v_mad_u32_u24 v24, v0, 7, 2
	;; [unrolled: 1-line block ×6, first 2 shown]
	s_mov_b64 s[10:11], 0
	s_and_b64 vcc, exec, s[6:7]
	v_cmp_gt_i64_e64 s[12:13], s[26:27], 0
	s_waitcnt lgkmcnt(0)
	s_barrier
	s_cbranch_vccz .LBB189_27
; %bb.19:
	s_add_u32 s4, s4, -8
	s_addc_u32 s5, s5, -1
	s_load_dwordx2 s[6:7], s[4:5], 0x0
	v_cndmask_b32_e64 v16, 0, 1, s[12:13]
	v_lshlrev_b32_e32 v23, 3, v0
	s_and_b64 vcc, exec, s[34:35]
	v_cmp_ne_u32_e64 s[4:5], 1, v16
	ds_write_b64 v23, v[14:15]
	s_cbranch_vccz .LBB189_29
; %bb.20:
	v_mul_lo_u32 v18, v5, s26
	v_mul_lo_u32 v19, v4, s27
	v_mad_u64_u32 v[16:17], s[12:13], v4, s26, 0
	v_add3_u32 v17, v17, v19, v18
	s_and_b64 vcc, exec, s[4:5]
	v_lshl_add_u64 v[16:17], s[28:29], 0, v[16:17]
	s_cbranch_vccnz .LBB189_32
; %bb.21:
	v_mov_b64_e32 v[18:19], s[28:29]
	v_mad_u64_u32 v[18:19], s[10:11], v14, s26, v[18:19]
	v_mul_lo_u32 v20, v14, s27
	v_mul_lo_u32 v21, v15, s26
	v_add3_u32 v19, v21, v19, v20
	global_load_ubyte v20, v[16:17], off
	global_load_ubyte v21, v[18:19], off
	s_mov_b64 s[10:11], -1
	s_waitcnt vmcnt(0)
	v_cmp_eq_u16_e32 vcc, v20, v21
	s_and_saveexec_b64 s[12:13], vcc
	s_cbranch_execz .LBB189_31
; %bb.22:
	s_mov_b64 s[18:19], 1
	s_mov_b64 s[10:11], 0
                                        ; implicit-def: $sgpr14_sgpr15
	s_branch .LBB189_25
.LBB189_23:                             ;   in Loop: Header=BB189_25 Depth=1
	v_lshl_add_u64 v[20:21], v[16:17], 0, s[18:19]
	v_lshl_add_u64 v[30:31], v[18:19], 0, s[18:19]
	global_load_ubyte v32, v[20:21], off
	global_load_ubyte v33, v[30:31], off
	s_add_u32 s36, s18, 1
	s_addc_u32 s37, s19, 0
	s_andn2_b64 s[14:15], s[14:15], exec
	s_waitcnt vmcnt(0)
	v_cmp_ne_u16_e32 vcc, v32, v33
	s_and_b64 s[38:39], vcc, exec
	s_or_b64 s[14:15], s[14:15], s[38:39]
.LBB189_24:                             ;   in Loop: Header=BB189_25 Depth=1
	s_and_b64 s[38:39], exec, s[14:15]
	s_or_b64 s[10:11], s[38:39], s[10:11]
	v_mov_b64_e32 v[20:21], s[18:19]
	s_mov_b64 s[18:19], s[36:37]
	s_andn2_b64 exec, exec, s[10:11]
	s_cbranch_execz .LBB189_30
.LBB189_25:                             ; =>This Inner Loop Header: Depth=1
	s_or_b64 s[14:15], s[14:15], exec
	s_cmp_eq_u64 s[26:27], s[18:19]
	s_cbranch_scc0 .LBB189_23
; %bb.26:                               ;   in Loop: Header=BB189_25 Depth=1
                                        ; implicit-def: $sgpr36_sgpr37
	s_mov_b64 s[18:19], s[26:27]
	s_branch .LBB189_24
.LBB189_27:
                                        ; implicit-def: $sgpr18_sgpr19
                                        ; implicit-def: $vgpr33
                                        ; implicit-def: $vgpr32
                                        ; implicit-def: $vgpr31
                                        ; implicit-def: $vgpr20
	s_branch .LBB189_170
.LBB189_28:
                                        ; implicit-def: $vgpr16_vgpr17
	s_branch .LBB189_318
.LBB189_29:
                                        ; implicit-def: $sgpr18_sgpr19
                                        ; implicit-def: $vgpr33
                                        ; implicit-def: $vgpr32
                                        ; implicit-def: $vgpr31
                                        ; implicit-def: $vgpr20
	s_cbranch_execnz .LBB189_89
	s_branch .LBB189_169
.LBB189_30:
	s_or_b64 exec, exec, s[10:11]
	v_cmp_gt_i64_e32 vcc, s[26:27], v[20:21]
	s_orn2_b64 s[10:11], vcc, exec
.LBB189_31:
	s_or_b64 exec, exec, s[12:13]
.LBB189_32:
	v_mul_lo_u32 v20, v3, s26
	v_mul_lo_u32 v21, v2, s27
	v_mad_u64_u32 v[18:19], s[12:13], v2, s26, 0
	v_add3_u32 v19, v19, v21, v20
	s_mov_b64 s[12:13], 0
	s_and_b64 vcc, exec, s[4:5]
	v_lshl_add_u64 v[18:19], s[28:29], 0, v[18:19]
	s_mov_b64 s[14:15], 0
	s_cbranch_vccnz .LBB189_41
; %bb.33:
	global_load_ubyte v20, v[18:19], off
	global_load_ubyte v21, v[16:17], off
	s_mov_b64 s[14:15], -1
	s_waitcnt vmcnt(0)
	v_cmp_eq_u16_e32 vcc, v20, v21
	s_and_saveexec_b64 s[18:19], vcc
	s_cbranch_execz .LBB189_40
; %bb.34:
	s_mov_b64 s[38:39], 1
	s_mov_b64 s[14:15], 0
                                        ; implicit-def: $sgpr36_sgpr37
	s_branch .LBB189_37
.LBB189_35:                             ;   in Loop: Header=BB189_37 Depth=1
	v_lshl_add_u64 v[20:21], v[18:19], 0, s[38:39]
	v_lshl_add_u64 v[30:31], v[16:17], 0, s[38:39]
	global_load_ubyte v32, v[20:21], off
	global_load_ubyte v33, v[30:31], off
	s_add_u32 s40, s38, 1
	s_addc_u32 s41, s39, 0
	s_andn2_b64 s[36:37], s[36:37], exec
	s_waitcnt vmcnt(0)
	v_cmp_ne_u16_e32 vcc, v32, v33
	s_and_b64 s[42:43], vcc, exec
	s_or_b64 s[36:37], s[36:37], s[42:43]
.LBB189_36:                             ;   in Loop: Header=BB189_37 Depth=1
	s_and_b64 s[42:43], exec, s[36:37]
	s_or_b64 s[14:15], s[42:43], s[14:15]
	v_mov_b64_e32 v[20:21], s[38:39]
	s_mov_b64 s[38:39], s[40:41]
	s_andn2_b64 exec, exec, s[14:15]
	s_cbranch_execz .LBB189_39
.LBB189_37:                             ; =>This Inner Loop Header: Depth=1
	s_or_b64 s[36:37], s[36:37], exec
	s_cmp_eq_u64 s[26:27], s[38:39]
	s_cbranch_scc0 .LBB189_35
; %bb.38:                               ;   in Loop: Header=BB189_37 Depth=1
                                        ; implicit-def: $sgpr40_sgpr41
	s_mov_b64 s[38:39], s[26:27]
	s_branch .LBB189_36
.LBB189_39:
	s_or_b64 exec, exec, s[14:15]
	v_cmp_gt_i64_e32 vcc, s[26:27], v[20:21]
	s_orn2_b64 s[14:15], vcc, exec
.LBB189_40:
	s_or_b64 exec, exec, s[18:19]
.LBB189_41:
	v_mul_lo_u32 v20, v9, s26
	v_mul_lo_u32 v21, v8, s27
	v_mad_u64_u32 v[16:17], s[18:19], v8, s26, 0
	v_add3_u32 v17, v17, v21, v20
	s_and_b64 vcc, exec, s[4:5]
	v_lshl_add_u64 v[16:17], s[28:29], 0, v[16:17]
	s_cbranch_vccnz .LBB189_50
; %bb.42:
	global_load_ubyte v20, v[16:17], off
	global_load_ubyte v21, v[18:19], off
	s_mov_b64 s[12:13], -1
	s_waitcnt vmcnt(0)
	v_cmp_eq_u16_e32 vcc, v20, v21
	s_and_saveexec_b64 s[18:19], vcc
	s_cbranch_execz .LBB189_49
; %bb.43:
	s_mov_b64 s[38:39], 1
	s_mov_b64 s[12:13], 0
                                        ; implicit-def: $sgpr36_sgpr37
	s_branch .LBB189_46
.LBB189_44:                             ;   in Loop: Header=BB189_46 Depth=1
	v_lshl_add_u64 v[20:21], v[16:17], 0, s[38:39]
	v_lshl_add_u64 v[30:31], v[18:19], 0, s[38:39]
	global_load_ubyte v32, v[20:21], off
	global_load_ubyte v33, v[30:31], off
	s_add_u32 s40, s38, 1
	s_addc_u32 s41, s39, 0
	s_andn2_b64 s[36:37], s[36:37], exec
	s_waitcnt vmcnt(0)
	v_cmp_ne_u16_e32 vcc, v32, v33
	s_and_b64 s[42:43], vcc, exec
	s_or_b64 s[36:37], s[36:37], s[42:43]
.LBB189_45:                             ;   in Loop: Header=BB189_46 Depth=1
	s_and_b64 s[42:43], exec, s[36:37]
	s_or_b64 s[12:13], s[42:43], s[12:13]
	v_mov_b64_e32 v[20:21], s[38:39]
	s_mov_b64 s[38:39], s[40:41]
	s_andn2_b64 exec, exec, s[12:13]
	s_cbranch_execz .LBB189_48
.LBB189_46:                             ; =>This Inner Loop Header: Depth=1
	s_or_b64 s[36:37], s[36:37], exec
	s_cmp_eq_u64 s[26:27], s[38:39]
	s_cbranch_scc0 .LBB189_44
; %bb.47:                               ;   in Loop: Header=BB189_46 Depth=1
                                        ; implicit-def: $sgpr40_sgpr41
	s_mov_b64 s[38:39], s[26:27]
	s_branch .LBB189_45
.LBB189_48:
	s_or_b64 exec, exec, s[12:13]
	v_cmp_gt_i64_e32 vcc, s[26:27], v[20:21]
	s_orn2_b64 s[12:13], vcc, exec
.LBB189_49:
	s_or_b64 exec, exec, s[18:19]
.LBB189_50:
	v_mul_lo_u32 v20, v7, s26
	v_mul_lo_u32 v21, v6, s27
	v_mad_u64_u32 v[18:19], s[18:19], v6, s26, 0
	v_add3_u32 v19, v19, v21, v20
	s_mov_b64 s[18:19], 0
	s_and_b64 vcc, exec, s[4:5]
	v_lshl_add_u64 v[20:21], s[28:29], 0, v[18:19]
	s_mov_b64 s[36:37], 0
	s_cbranch_vccnz .LBB189_59
; %bb.51:
	global_load_ubyte v18, v[20:21], off
	global_load_ubyte v19, v[16:17], off
	s_mov_b64 s[36:37], -1
	s_waitcnt vmcnt(0)
	v_cmp_eq_u16_e32 vcc, v18, v19
	s_and_saveexec_b64 s[38:39], vcc
	s_cbranch_execz .LBB189_58
; %bb.52:
	s_mov_b64 s[42:43], 1
	s_mov_b64 s[36:37], 0
                                        ; implicit-def: $sgpr40_sgpr41
	s_branch .LBB189_55
.LBB189_53:                             ;   in Loop: Header=BB189_55 Depth=1
	v_lshl_add_u64 v[18:19], v[20:21], 0, s[42:43]
	v_lshl_add_u64 v[30:31], v[16:17], 0, s[42:43]
	global_load_ubyte v32, v[18:19], off
	global_load_ubyte v33, v[30:31], off
	s_add_u32 s44, s42, 1
	s_addc_u32 s45, s43, 0
	s_andn2_b64 s[40:41], s[40:41], exec
	s_waitcnt vmcnt(0)
	v_cmp_ne_u16_e32 vcc, v32, v33
	s_and_b64 s[46:47], vcc, exec
	s_or_b64 s[40:41], s[40:41], s[46:47]
.LBB189_54:                             ;   in Loop: Header=BB189_55 Depth=1
	s_and_b64 s[46:47], exec, s[40:41]
	s_or_b64 s[36:37], s[46:47], s[36:37]
	v_mov_b64_e32 v[18:19], s[42:43]
	s_mov_b64 s[42:43], s[44:45]
	s_andn2_b64 exec, exec, s[36:37]
	s_cbranch_execz .LBB189_57
.LBB189_55:                             ; =>This Inner Loop Header: Depth=1
	s_or_b64 s[40:41], s[40:41], exec
	s_cmp_eq_u64 s[26:27], s[42:43]
	s_cbranch_scc0 .LBB189_53
; %bb.56:                               ;   in Loop: Header=BB189_55 Depth=1
                                        ; implicit-def: $sgpr44_sgpr45
	s_mov_b64 s[42:43], s[26:27]
	s_branch .LBB189_54
.LBB189_57:
	s_or_b64 exec, exec, s[36:37]
	v_cmp_gt_i64_e32 vcc, s[26:27], v[18:19]
	s_orn2_b64 s[36:37], vcc, exec
.LBB189_58:
	s_or_b64 exec, exec, s[38:39]
.LBB189_59:
	v_mul_lo_u32 v18, v13, s26
	v_mul_lo_u32 v19, v12, s27
	v_mad_u64_u32 v[16:17], s[38:39], v12, s26, 0
	v_add3_u32 v17, v17, v19, v18
	s_and_b64 vcc, exec, s[4:5]
	v_lshl_add_u64 v[18:19], s[28:29], 0, v[16:17]
	s_cbranch_vccnz .LBB189_68
; %bb.60:
	global_load_ubyte v16, v[18:19], off
	global_load_ubyte v17, v[20:21], off
	s_mov_b64 s[18:19], -1
	s_waitcnt vmcnt(0)
	v_cmp_eq_u16_e32 vcc, v16, v17
	s_and_saveexec_b64 s[38:39], vcc
	s_cbranch_execz .LBB189_67
; %bb.61:
	s_mov_b64 s[42:43], 1
	s_mov_b64 s[18:19], 0
                                        ; implicit-def: $sgpr40_sgpr41
	s_branch .LBB189_64
.LBB189_62:                             ;   in Loop: Header=BB189_64 Depth=1
	v_lshl_add_u64 v[16:17], v[18:19], 0, s[42:43]
	v_lshl_add_u64 v[30:31], v[20:21], 0, s[42:43]
	global_load_ubyte v32, v[16:17], off
	global_load_ubyte v33, v[30:31], off
	s_add_u32 s44, s42, 1
	s_addc_u32 s45, s43, 0
	s_andn2_b64 s[40:41], s[40:41], exec
	s_waitcnt vmcnt(0)
	v_cmp_ne_u16_e32 vcc, v32, v33
	s_and_b64 s[46:47], vcc, exec
	s_or_b64 s[40:41], s[40:41], s[46:47]
.LBB189_63:                             ;   in Loop: Header=BB189_64 Depth=1
	s_and_b64 s[46:47], exec, s[40:41]
	s_or_b64 s[18:19], s[46:47], s[18:19]
	v_mov_b64_e32 v[16:17], s[42:43]
	s_mov_b64 s[42:43], s[44:45]
	s_andn2_b64 exec, exec, s[18:19]
	s_cbranch_execz .LBB189_66
.LBB189_64:                             ; =>This Inner Loop Header: Depth=1
	s_or_b64 s[40:41], s[40:41], exec
	s_cmp_eq_u64 s[26:27], s[42:43]
	s_cbranch_scc0 .LBB189_62
; %bb.65:                               ;   in Loop: Header=BB189_64 Depth=1
                                        ; implicit-def: $sgpr44_sgpr45
	s_mov_b64 s[42:43], s[26:27]
	s_branch .LBB189_63
.LBB189_66:
	s_or_b64 exec, exec, s[18:19]
	v_cmp_gt_i64_e32 vcc, s[26:27], v[16:17]
	s_orn2_b64 s[18:19], vcc, exec
.LBB189_67:
	s_or_b64 exec, exec, s[38:39]
.LBB189_68:
	v_mul_lo_u32 v20, v11, s26
	v_mul_lo_u32 v21, v10, s27
	v_mad_u64_u32 v[16:17], s[38:39], v10, s26, 0
	v_add3_u32 v17, v17, v21, v20
	s_mov_b64 s[40:41], 0
	s_and_b64 vcc, exec, s[4:5]
	v_lshl_add_u64 v[16:17], s[28:29], 0, v[16:17]
	s_cbranch_vccnz .LBB189_77
; %bb.69:
	global_load_ubyte v20, v[16:17], off
	global_load_ubyte v21, v[18:19], off
	s_mov_b64 s[40:41], -1
	s_waitcnt vmcnt(0)
	v_cmp_eq_u16_e32 vcc, v20, v21
	s_and_saveexec_b64 s[38:39], vcc
	s_cbranch_execz .LBB189_76
; %bb.70:
	s_mov_b64 s[44:45], 1
	s_mov_b64 s[40:41], 0
                                        ; implicit-def: $sgpr42_sgpr43
	s_branch .LBB189_73
.LBB189_71:                             ;   in Loop: Header=BB189_73 Depth=1
	v_lshl_add_u64 v[20:21], v[16:17], 0, s[44:45]
	v_lshl_add_u64 v[30:31], v[18:19], 0, s[44:45]
	global_load_ubyte v32, v[20:21], off
	global_load_ubyte v33, v[30:31], off
	s_add_u32 s46, s44, 1
	s_addc_u32 s47, s45, 0
	s_andn2_b64 s[42:43], s[42:43], exec
	s_waitcnt vmcnt(0)
	v_cmp_ne_u16_e32 vcc, v32, v33
	s_and_b64 s[48:49], vcc, exec
	s_or_b64 s[42:43], s[42:43], s[48:49]
.LBB189_72:                             ;   in Loop: Header=BB189_73 Depth=1
	s_and_b64 s[48:49], exec, s[42:43]
	s_or_b64 s[40:41], s[48:49], s[40:41]
	v_mov_b64_e32 v[20:21], s[44:45]
	s_mov_b64 s[44:45], s[46:47]
	s_andn2_b64 exec, exec, s[40:41]
	s_cbranch_execz .LBB189_75
.LBB189_73:                             ; =>This Inner Loop Header: Depth=1
	s_or_b64 s[42:43], s[42:43], exec
	s_cmp_eq_u64 s[26:27], s[44:45]
	s_cbranch_scc0 .LBB189_71
; %bb.74:                               ;   in Loop: Header=BB189_73 Depth=1
                                        ; implicit-def: $sgpr46_sgpr47
	s_mov_b64 s[44:45], s[26:27]
	s_branch .LBB189_72
.LBB189_75:
	s_or_b64 exec, exec, s[40:41]
	v_cmp_gt_i64_e32 vcc, s[26:27], v[20:21]
	s_orn2_b64 s[40:41], vcc, exec
.LBB189_76:
	s_or_b64 exec, exec, s[38:39]
.LBB189_77:
	v_cmp_ne_u32_e32 vcc, 0, v0
	s_waitcnt lgkmcnt(0)
	v_mov_b64_e32 v[20:21], s[6:7]
	s_barrier
	s_and_saveexec_b64 s[38:39], vcc
	s_cbranch_execz .LBB189_79
; %bb.78:
	v_add_u32_e32 v18, -8, v23
	ds_read_b64 v[20:21], v18
.LBB189_79:
	s_or_b64 exec, exec, s[38:39]
	v_cndmask_b32_e64 v19, 0, 1, s[36:37]
	v_cndmask_b32_e64 v18, 0, 1, s[18:19]
	;; [unrolled: 1-line block ×3, first 2 shown]
	v_lshlrev_b16_e32 v19, 8, v19
	v_lshlrev_b16_e32 v30, 8, v30
	v_or_b32_sdwa v34, v18, v19 dst_sel:WORD_1 dst_unused:UNUSED_PAD src0_sel:DWORD src1_sel:DWORD
	s_mov_b64 s[36:37], 0
	s_and_b64 vcc, exec, s[4:5]
	s_mov_b64 s[18:19], 0
	s_cbranch_vccnz .LBB189_88
; %bb.80:
	v_mov_b64_e32 v[18:19], s[28:29]
	s_waitcnt lgkmcnt(0)
	v_mad_u64_u32 v[18:19], s[18:19], v20, s26, v[18:19]
	v_mul_lo_u32 v20, v20, s27
	v_mul_lo_u32 v21, v21, s26
	v_add3_u32 v19, v21, v19, v20
	global_load_ubyte v20, v[18:19], off
	global_load_ubyte v21, v[16:17], off
	s_mov_b64 s[18:19], -1
	s_waitcnt vmcnt(0)
	v_cmp_eq_u16_e32 vcc, v20, v21
	s_and_saveexec_b64 s[38:39], vcc
	s_cbranch_execz .LBB189_87
; %bb.81:
	s_mov_b64 s[42:43], 1
	s_mov_b64 s[18:19], 0
                                        ; implicit-def: $sgpr40_sgpr41
	s_branch .LBB189_84
.LBB189_82:                             ;   in Loop: Header=BB189_84 Depth=1
	v_lshl_add_u64 v[20:21], v[18:19], 0, s[42:43]
	v_lshl_add_u64 v[32:33], v[16:17], 0, s[42:43]
	global_load_ubyte v31, v[20:21], off
	global_load_ubyte v35, v[32:33], off
	s_add_u32 s44, s42, 1
	s_addc_u32 s45, s43, 0
	s_andn2_b64 s[40:41], s[40:41], exec
	s_waitcnt vmcnt(0)
	v_cmp_ne_u16_e32 vcc, v31, v35
	s_and_b64 s[46:47], vcc, exec
	s_or_b64 s[40:41], s[40:41], s[46:47]
.LBB189_83:                             ;   in Loop: Header=BB189_84 Depth=1
	s_and_b64 s[46:47], exec, s[40:41]
	s_or_b64 s[18:19], s[46:47], s[18:19]
	v_mov_b64_e32 v[20:21], s[42:43]
	s_mov_b64 s[42:43], s[44:45]
	s_andn2_b64 exec, exec, s[18:19]
	s_cbranch_execz .LBB189_86
.LBB189_84:                             ; =>This Inner Loop Header: Depth=1
	s_or_b64 s[40:41], s[40:41], exec
	s_cmp_eq_u64 s[26:27], s[42:43]
	s_cbranch_scc0 .LBB189_82
; %bb.85:                               ;   in Loop: Header=BB189_84 Depth=1
                                        ; implicit-def: $sgpr44_sgpr45
	s_mov_b64 s[42:43], s[26:27]
	s_branch .LBB189_83
.LBB189_86:
	s_or_b64 exec, exec, s[18:19]
	v_cmp_gt_i64_e32 vcc, s[26:27], v[20:21]
	s_orn2_b64 s[18:19], vcc, exec
.LBB189_87:
	s_or_b64 exec, exec, s[38:39]
.LBB189_88:
	v_cndmask_b32_e64 v31, 0, 1, s[12:13]
	v_cndmask_b32_e64 v32, 0, 1, s[14:15]
	;; [unrolled: 1-line block ×3, first 2 shown]
	s_waitcnt lgkmcnt(0)
	v_or_b32_e32 v20, v30, v34
	s_and_b64 vcc, exec, s[36:37]
	s_cbranch_vccz .LBB189_169
.LBB189_89:
	v_cmp_gt_u32_e32 vcc, s3, v27
	s_mov_b64 s[12:13], 0
	s_mov_b64 s[10:11], 0
	s_and_saveexec_b64 s[14:15], vcc
	s_cbranch_execz .LBB189_100
; %bb.90:
	s_and_b64 vcc, exec, s[4:5]
	s_mov_b64 s[18:19], 0
	s_cbranch_vccnz .LBB189_99
; %bb.91:
	v_mov_b64_e32 v[18:19], s[28:29]
	v_mad_u64_u32 v[16:17], s[10:11], v4, s26, v[18:19]
	v_mul_lo_u32 v20, v4, s27
	v_mul_lo_u32 v21, v5, s26
	v_add3_u32 v17, v21, v17, v20
	v_mad_u64_u32 v[18:19], s[10:11], v14, s26, v[18:19]
	v_mul_lo_u32 v20, v14, s27
	v_mul_lo_u32 v21, v15, s26
	v_add3_u32 v19, v21, v19, v20
	global_load_ubyte v20, v[16:17], off
	global_load_ubyte v21, v[18:19], off
	s_mov_b64 s[18:19], -1
	s_waitcnt vmcnt(0)
	v_cmp_eq_u16_e32 vcc, v20, v21
	s_and_saveexec_b64 s[10:11], vcc
	s_cbranch_execz .LBB189_98
; %bb.92:
	s_mov_b64 s[38:39], 1
	s_mov_b64 s[18:19], 0
                                        ; implicit-def: $sgpr36_sgpr37
	s_branch .LBB189_95
.LBB189_93:                             ;   in Loop: Header=BB189_95 Depth=1
	v_lshl_add_u64 v[20:21], v[16:17], 0, s[38:39]
	v_lshl_add_u64 v[30:31], v[18:19], 0, s[38:39]
	global_load_ubyte v32, v[20:21], off
	global_load_ubyte v33, v[30:31], off
	s_add_u32 s40, s38, 1
	s_addc_u32 s41, s39, 0
	s_andn2_b64 s[36:37], s[36:37], exec
	s_waitcnt vmcnt(0)
	v_cmp_ne_u16_e32 vcc, v32, v33
	s_and_b64 s[42:43], vcc, exec
	s_or_b64 s[36:37], s[36:37], s[42:43]
.LBB189_94:                             ;   in Loop: Header=BB189_95 Depth=1
	s_and_b64 s[42:43], exec, s[36:37]
	s_or_b64 s[18:19], s[42:43], s[18:19]
	v_mov_b64_e32 v[20:21], s[38:39]
	s_mov_b64 s[38:39], s[40:41]
	s_andn2_b64 exec, exec, s[18:19]
	s_cbranch_execz .LBB189_97
.LBB189_95:                             ; =>This Inner Loop Header: Depth=1
	s_or_b64 s[36:37], s[36:37], exec
	s_cmp_eq_u64 s[26:27], s[38:39]
	s_cbranch_scc0 .LBB189_93
; %bb.96:                               ;   in Loop: Header=BB189_95 Depth=1
                                        ; implicit-def: $sgpr40_sgpr41
	s_mov_b64 s[38:39], s[26:27]
	s_branch .LBB189_94
.LBB189_97:
	s_or_b64 exec, exec, s[18:19]
	v_cmp_gt_i64_e32 vcc, s[26:27], v[20:21]
	s_orn2_b64 s[18:19], vcc, exec
.LBB189_98:
	s_or_b64 exec, exec, s[10:11]
.LBB189_99:
	s_and_b64 s[10:11], s[18:19], exec
.LBB189_100:
	s_or_b64 exec, exec, s[14:15]
	v_cmp_gt_u32_e32 vcc, s3, v29
	s_and_saveexec_b64 s[14:15], vcc
	s_cbranch_execz .LBB189_111
; %bb.101:
	s_and_b64 vcc, exec, s[4:5]
	s_mov_b64 s[18:19], 0
	s_cbranch_vccnz .LBB189_110
; %bb.102:
	v_mov_b64_e32 v[18:19], s[28:29]
	v_mad_u64_u32 v[16:17], s[12:13], v2, s26, v[18:19]
	v_mul_lo_u32 v20, v2, s27
	v_mul_lo_u32 v21, v3, s26
	v_add3_u32 v17, v21, v17, v20
	v_mad_u64_u32 v[18:19], s[12:13], v4, s26, v[18:19]
	v_mul_lo_u32 v20, v4, s27
	v_mul_lo_u32 v21, v5, s26
	v_add3_u32 v19, v21, v19, v20
	global_load_ubyte v20, v[16:17], off
	global_load_ubyte v21, v[18:19], off
	s_mov_b64 s[18:19], -1
	s_waitcnt vmcnt(0)
	v_cmp_eq_u16_e32 vcc, v20, v21
	s_and_saveexec_b64 s[12:13], vcc
	s_cbranch_execz .LBB189_109
; %bb.103:
	s_mov_b64 s[38:39], 1
	s_mov_b64 s[18:19], 0
                                        ; implicit-def: $sgpr36_sgpr37
	s_branch .LBB189_106
.LBB189_104:                            ;   in Loop: Header=BB189_106 Depth=1
	v_lshl_add_u64 v[20:21], v[16:17], 0, s[38:39]
	v_lshl_add_u64 v[30:31], v[18:19], 0, s[38:39]
	global_load_ubyte v32, v[20:21], off
	global_load_ubyte v33, v[30:31], off
	s_add_u32 s40, s38, 1
	s_addc_u32 s41, s39, 0
	s_andn2_b64 s[36:37], s[36:37], exec
	s_waitcnt vmcnt(0)
	v_cmp_ne_u16_e32 vcc, v32, v33
	s_and_b64 s[42:43], vcc, exec
	s_or_b64 s[36:37], s[36:37], s[42:43]
.LBB189_105:                            ;   in Loop: Header=BB189_106 Depth=1
	s_and_b64 s[42:43], exec, s[36:37]
	s_or_b64 s[18:19], s[42:43], s[18:19]
	v_mov_b64_e32 v[20:21], s[38:39]
	s_mov_b64 s[38:39], s[40:41]
	s_andn2_b64 exec, exec, s[18:19]
	s_cbranch_execz .LBB189_108
.LBB189_106:                            ; =>This Inner Loop Header: Depth=1
	s_or_b64 s[36:37], s[36:37], exec
	s_cmp_eq_u64 s[26:27], s[38:39]
	s_cbranch_scc0 .LBB189_104
; %bb.107:                              ;   in Loop: Header=BB189_106 Depth=1
                                        ; implicit-def: $sgpr40_sgpr41
	s_mov_b64 s[38:39], s[26:27]
	s_branch .LBB189_105
.LBB189_108:
	s_or_b64 exec, exec, s[18:19]
	v_cmp_gt_i64_e32 vcc, s[26:27], v[20:21]
	s_orn2_b64 s[18:19], vcc, exec
.LBB189_109:
	s_or_b64 exec, exec, s[12:13]
.LBB189_110:
	s_and_b64 s[12:13], s[18:19], exec
.LBB189_111:
	s_or_b64 exec, exec, s[14:15]
	v_cmp_gt_u32_e32 vcc, s3, v26
	s_mov_b64 s[18:19], 0
	s_mov_b64 s[14:15], 0
	s_and_saveexec_b64 s[36:37], vcc
	s_cbranch_execz .LBB189_122
; %bb.112:
	s_and_b64 vcc, exec, s[4:5]
	s_mov_b64 s[38:39], 0
	s_cbranch_vccnz .LBB189_121
; %bb.113:
	v_mov_b64_e32 v[18:19], s[28:29]
	v_mad_u64_u32 v[16:17], s[14:15], v8, s26, v[18:19]
	v_mul_lo_u32 v20, v8, s27
	v_mul_lo_u32 v21, v9, s26
	v_add3_u32 v17, v21, v17, v20
	v_mad_u64_u32 v[18:19], s[14:15], v2, s26, v[18:19]
	v_mul_lo_u32 v20, v2, s27
	v_mul_lo_u32 v21, v3, s26
	v_add3_u32 v19, v21, v19, v20
	global_load_ubyte v20, v[16:17], off
	global_load_ubyte v21, v[18:19], off
	s_mov_b64 s[38:39], -1
	s_waitcnt vmcnt(0)
	v_cmp_eq_u16_e32 vcc, v20, v21
	s_and_saveexec_b64 s[14:15], vcc
	s_cbranch_execz .LBB189_120
; %bb.114:
	s_mov_b64 s[42:43], 1
	s_mov_b64 s[38:39], 0
                                        ; implicit-def: $sgpr40_sgpr41
	s_branch .LBB189_117
.LBB189_115:                            ;   in Loop: Header=BB189_117 Depth=1
	v_lshl_add_u64 v[20:21], v[16:17], 0, s[42:43]
	v_lshl_add_u64 v[30:31], v[18:19], 0, s[42:43]
	global_load_ubyte v32, v[20:21], off
	global_load_ubyte v33, v[30:31], off
	s_add_u32 s44, s42, 1
	s_addc_u32 s45, s43, 0
	s_andn2_b64 s[40:41], s[40:41], exec
	s_waitcnt vmcnt(0)
	v_cmp_ne_u16_e32 vcc, v32, v33
	s_and_b64 s[46:47], vcc, exec
	s_or_b64 s[40:41], s[40:41], s[46:47]
.LBB189_116:                            ;   in Loop: Header=BB189_117 Depth=1
	s_and_b64 s[46:47], exec, s[40:41]
	s_or_b64 s[38:39], s[46:47], s[38:39]
	v_mov_b64_e32 v[20:21], s[42:43]
	s_mov_b64 s[42:43], s[44:45]
	s_andn2_b64 exec, exec, s[38:39]
	s_cbranch_execz .LBB189_119
.LBB189_117:                            ; =>This Inner Loop Header: Depth=1
	s_or_b64 s[40:41], s[40:41], exec
	s_cmp_eq_u64 s[26:27], s[42:43]
	s_cbranch_scc0 .LBB189_115
; %bb.118:                              ;   in Loop: Header=BB189_117 Depth=1
                                        ; implicit-def: $sgpr44_sgpr45
	s_mov_b64 s[42:43], s[26:27]
	s_branch .LBB189_116
.LBB189_119:
	s_or_b64 exec, exec, s[38:39]
	v_cmp_gt_i64_e32 vcc, s[26:27], v[20:21]
	s_orn2_b64 s[38:39], vcc, exec
.LBB189_120:
	s_or_b64 exec, exec, s[14:15]
.LBB189_121:
	s_and_b64 s[14:15], s[38:39], exec
.LBB189_122:
	s_or_b64 exec, exec, s[36:37]
	v_cmp_gt_u32_e32 vcc, s3, v28
	s_and_saveexec_b64 s[36:37], vcc
	s_cbranch_execz .LBB189_133
; %bb.123:
	s_and_b64 vcc, exec, s[4:5]
	s_mov_b64 s[38:39], 0
	s_cbranch_vccnz .LBB189_132
; %bb.124:
	v_mov_b64_e32 v[18:19], s[28:29]
	v_mad_u64_u32 v[16:17], s[18:19], v6, s26, v[18:19]
	v_mul_lo_u32 v20, v6, s27
	v_mul_lo_u32 v21, v7, s26
	v_add3_u32 v17, v21, v17, v20
	v_mad_u64_u32 v[18:19], s[18:19], v8, s26, v[18:19]
	v_mul_lo_u32 v20, v8, s27
	v_mul_lo_u32 v21, v9, s26
	v_add3_u32 v19, v21, v19, v20
	global_load_ubyte v20, v[16:17], off
	global_load_ubyte v21, v[18:19], off
	s_mov_b64 s[38:39], -1
	s_waitcnt vmcnt(0)
	v_cmp_eq_u16_e32 vcc, v20, v21
	s_and_saveexec_b64 s[18:19], vcc
	s_cbranch_execz .LBB189_131
; %bb.125:
	s_mov_b64 s[42:43], 1
	s_mov_b64 s[38:39], 0
                                        ; implicit-def: $sgpr40_sgpr41
	s_branch .LBB189_128
.LBB189_126:                            ;   in Loop: Header=BB189_128 Depth=1
	v_lshl_add_u64 v[20:21], v[16:17], 0, s[42:43]
	v_lshl_add_u64 v[30:31], v[18:19], 0, s[42:43]
	global_load_ubyte v32, v[20:21], off
	global_load_ubyte v33, v[30:31], off
	s_add_u32 s44, s42, 1
	s_addc_u32 s45, s43, 0
	s_andn2_b64 s[40:41], s[40:41], exec
	s_waitcnt vmcnt(0)
	v_cmp_ne_u16_e32 vcc, v32, v33
	s_and_b64 s[46:47], vcc, exec
	s_or_b64 s[40:41], s[40:41], s[46:47]
.LBB189_127:                            ;   in Loop: Header=BB189_128 Depth=1
	s_and_b64 s[46:47], exec, s[40:41]
	s_or_b64 s[38:39], s[46:47], s[38:39]
	v_mov_b64_e32 v[20:21], s[42:43]
	s_mov_b64 s[42:43], s[44:45]
	s_andn2_b64 exec, exec, s[38:39]
	s_cbranch_execz .LBB189_130
.LBB189_128:                            ; =>This Inner Loop Header: Depth=1
	s_or_b64 s[40:41], s[40:41], exec
	s_cmp_eq_u64 s[26:27], s[42:43]
	s_cbranch_scc0 .LBB189_126
; %bb.129:                              ;   in Loop: Header=BB189_128 Depth=1
                                        ; implicit-def: $sgpr44_sgpr45
	s_mov_b64 s[42:43], s[26:27]
	s_branch .LBB189_127
.LBB189_130:
	s_or_b64 exec, exec, s[38:39]
	v_cmp_gt_i64_e32 vcc, s[26:27], v[20:21]
	s_orn2_b64 s[38:39], vcc, exec
.LBB189_131:
	s_or_b64 exec, exec, s[18:19]
.LBB189_132:
	s_and_b64 s[18:19], s[38:39], exec
.LBB189_133:
	s_or_b64 exec, exec, s[36:37]
	v_cmp_gt_u32_e32 vcc, s3, v24
	s_mov_b64 s[36:37], 0
	s_mov_b64 s[38:39], 0
	s_and_saveexec_b64 s[40:41], vcc
	s_cbranch_execz .LBB189_144
; %bb.134:
	s_and_b64 vcc, exec, s[4:5]
	s_mov_b64 s[42:43], 0
	s_cbranch_vccnz .LBB189_143
; %bb.135:
	v_mov_b64_e32 v[18:19], s[28:29]
	v_mad_u64_u32 v[16:17], s[38:39], v12, s26, v[18:19]
	v_mul_lo_u32 v20, v12, s27
	v_mul_lo_u32 v21, v13, s26
	v_add3_u32 v17, v21, v17, v20
	v_mad_u64_u32 v[18:19], s[38:39], v6, s26, v[18:19]
	v_mul_lo_u32 v20, v6, s27
	v_mul_lo_u32 v21, v7, s26
	v_add3_u32 v19, v21, v19, v20
	global_load_ubyte v20, v[16:17], off
	global_load_ubyte v21, v[18:19], off
	s_mov_b64 s[42:43], -1
	s_waitcnt vmcnt(0)
	v_cmp_eq_u16_e32 vcc, v20, v21
	s_and_saveexec_b64 s[38:39], vcc
	s_cbranch_execz .LBB189_142
; %bb.136:
	s_mov_b64 s[46:47], 1
	s_mov_b64 s[42:43], 0
                                        ; implicit-def: $sgpr44_sgpr45
	s_branch .LBB189_139
.LBB189_137:                            ;   in Loop: Header=BB189_139 Depth=1
	v_lshl_add_u64 v[20:21], v[16:17], 0, s[46:47]
	v_lshl_add_u64 v[30:31], v[18:19], 0, s[46:47]
	global_load_ubyte v32, v[20:21], off
	global_load_ubyte v33, v[30:31], off
	s_add_u32 s48, s46, 1
	s_addc_u32 s49, s47, 0
	s_andn2_b64 s[44:45], s[44:45], exec
	s_waitcnt vmcnt(0)
	v_cmp_ne_u16_e32 vcc, v32, v33
	s_and_b64 s[50:51], vcc, exec
	s_or_b64 s[44:45], s[44:45], s[50:51]
.LBB189_138:                            ;   in Loop: Header=BB189_139 Depth=1
	s_and_b64 s[50:51], exec, s[44:45]
	s_or_b64 s[42:43], s[50:51], s[42:43]
	v_mov_b64_e32 v[20:21], s[46:47]
	s_mov_b64 s[46:47], s[48:49]
	s_andn2_b64 exec, exec, s[42:43]
	s_cbranch_execz .LBB189_141
.LBB189_139:                            ; =>This Inner Loop Header: Depth=1
	s_or_b64 s[44:45], s[44:45], exec
	s_cmp_eq_u64 s[26:27], s[46:47]
	s_cbranch_scc0 .LBB189_137
; %bb.140:                              ;   in Loop: Header=BB189_139 Depth=1
                                        ; implicit-def: $sgpr48_sgpr49
	s_mov_b64 s[46:47], s[26:27]
	s_branch .LBB189_138
.LBB189_141:
	s_or_b64 exec, exec, s[42:43]
	v_cmp_gt_i64_e32 vcc, s[26:27], v[20:21]
	s_orn2_b64 s[42:43], vcc, exec
.LBB189_142:
	s_or_b64 exec, exec, s[38:39]
.LBB189_143:
	s_and_b64 s[38:39], s[42:43], exec
.LBB189_144:
	s_or_b64 exec, exec, s[40:41]
	v_cmp_gt_u32_e32 vcc, s3, v25
	s_and_saveexec_b64 s[40:41], vcc
	s_cbranch_execz .LBB189_155
; %bb.145:
	s_and_b64 vcc, exec, s[4:5]
	s_mov_b64 s[42:43], 0
	s_cbranch_vccnz .LBB189_154
; %bb.146:
	v_mov_b64_e32 v[18:19], s[28:29]
	v_mad_u64_u32 v[16:17], s[36:37], v10, s26, v[18:19]
	v_mul_lo_u32 v20, v10, s27
	v_mul_lo_u32 v21, v11, s26
	v_add3_u32 v17, v21, v17, v20
	v_mad_u64_u32 v[18:19], s[36:37], v12, s26, v[18:19]
	v_mul_lo_u32 v20, v12, s27
	v_mul_lo_u32 v21, v13, s26
	v_add3_u32 v19, v21, v19, v20
	global_load_ubyte v20, v[16:17], off
	global_load_ubyte v21, v[18:19], off
	s_mov_b64 s[42:43], -1
	s_waitcnt vmcnt(0)
	v_cmp_eq_u16_e32 vcc, v20, v21
	s_and_saveexec_b64 s[36:37], vcc
	s_cbranch_execz .LBB189_153
; %bb.147:
	s_mov_b64 s[46:47], 1
	s_mov_b64 s[42:43], 0
                                        ; implicit-def: $sgpr44_sgpr45
	s_branch .LBB189_150
.LBB189_148:                            ;   in Loop: Header=BB189_150 Depth=1
	v_lshl_add_u64 v[20:21], v[16:17], 0, s[46:47]
	v_lshl_add_u64 v[30:31], v[18:19], 0, s[46:47]
	global_load_ubyte v32, v[20:21], off
	global_load_ubyte v33, v[30:31], off
	s_add_u32 s48, s46, 1
	s_addc_u32 s49, s47, 0
	s_andn2_b64 s[44:45], s[44:45], exec
	s_waitcnt vmcnt(0)
	v_cmp_ne_u16_e32 vcc, v32, v33
	s_and_b64 s[50:51], vcc, exec
	s_or_b64 s[44:45], s[44:45], s[50:51]
.LBB189_149:                            ;   in Loop: Header=BB189_150 Depth=1
	s_and_b64 s[50:51], exec, s[44:45]
	s_or_b64 s[42:43], s[50:51], s[42:43]
	v_mov_b64_e32 v[20:21], s[46:47]
	s_mov_b64 s[46:47], s[48:49]
	s_andn2_b64 exec, exec, s[42:43]
	s_cbranch_execz .LBB189_152
.LBB189_150:                            ; =>This Inner Loop Header: Depth=1
	s_or_b64 s[44:45], s[44:45], exec
	s_cmp_eq_u64 s[26:27], s[46:47]
	s_cbranch_scc0 .LBB189_148
; %bb.151:                              ;   in Loop: Header=BB189_150 Depth=1
                                        ; implicit-def: $sgpr48_sgpr49
	s_mov_b64 s[46:47], s[26:27]
	s_branch .LBB189_149
.LBB189_152:
	s_or_b64 exec, exec, s[42:43]
	v_cmp_gt_i64_e32 vcc, s[26:27], v[20:21]
	s_orn2_b64 s[42:43], vcc, exec
.LBB189_153:
	s_or_b64 exec, exec, s[36:37]
.LBB189_154:
	s_and_b64 s[36:37], s[42:43], exec
.LBB189_155:
	s_or_b64 exec, exec, s[40:41]
	v_cmp_ne_u32_e32 vcc, 0, v0
	s_waitcnt lgkmcnt(0)
	v_mov_b64_e32 v[18:19], s[6:7]
	s_barrier
	s_and_saveexec_b64 s[6:7], vcc
	s_cbranch_execz .LBB189_157
; %bb.156:
	v_add_u32_e32 v16, -8, v23
	ds_read_b64 v[18:19], v16
.LBB189_157:
	s_or_b64 exec, exec, s[6:7]
	v_cndmask_b32_e64 v17, 0, 1, s[18:19]
	v_cndmask_b32_e64 v16, 0, 1, s[38:39]
	;; [unrolled: 1-line block ×3, first 2 shown]
	v_lshlrev_b16_e32 v17, 8, v17
	v_cmp_gt_u32_e32 vcc, s3, v1
	v_lshlrev_b16_e32 v23, 8, v20
	v_or_b32_sdwa v30, v16, v17 dst_sel:WORD_1 dst_unused:UNUSED_PAD src0_sel:DWORD src1_sel:DWORD
	s_mov_b64 s[18:19], 0
	s_and_saveexec_b64 s[6:7], vcc
	s_cbranch_execz .LBB189_168
; %bb.158:
	s_and_b64 vcc, exec, s[4:5]
	s_cbranch_vccnz .LBB189_167
; %bb.159:
	v_mov_b64_e32 v[20:21], s[28:29]
	s_waitcnt lgkmcnt(0)
	v_mad_u64_u32 v[16:17], s[4:5], v18, s26, v[20:21]
	v_mul_lo_u32 v18, v18, s27
	v_mul_lo_u32 v19, v19, s26
	v_add3_u32 v17, v19, v17, v18
	v_mad_u64_u32 v[18:19], s[4:5], v10, s26, v[20:21]
	v_mul_lo_u32 v20, v10, s27
	v_mul_lo_u32 v21, v11, s26
	v_add3_u32 v19, v21, v19, v20
	global_load_ubyte v20, v[16:17], off
	global_load_ubyte v21, v[18:19], off
	s_mov_b64 s[18:19], -1
	s_waitcnt vmcnt(0)
	v_cmp_eq_u16_e32 vcc, v20, v21
	s_and_saveexec_b64 s[4:5], vcc
	s_cbranch_execz .LBB189_166
; %bb.160:
	s_mov_b64 s[38:39], 1
	s_mov_b64 s[18:19], 0
                                        ; implicit-def: $sgpr36_sgpr37
	s_branch .LBB189_163
.LBB189_161:                            ;   in Loop: Header=BB189_163 Depth=1
	v_lshl_add_u64 v[20:21], v[16:17], 0, s[38:39]
	v_lshl_add_u64 v[32:33], v[18:19], 0, s[38:39]
	global_load_ubyte v31, v[20:21], off
	global_load_ubyte v34, v[32:33], off
	s_add_u32 s40, s38, 1
	s_addc_u32 s41, s39, 0
	s_andn2_b64 s[36:37], s[36:37], exec
	s_waitcnt vmcnt(0)
	v_cmp_ne_u16_e32 vcc, v31, v34
	s_and_b64 s[42:43], vcc, exec
	s_or_b64 s[36:37], s[36:37], s[42:43]
.LBB189_162:                            ;   in Loop: Header=BB189_163 Depth=1
	s_and_b64 s[42:43], exec, s[36:37]
	s_or_b64 s[18:19], s[42:43], s[18:19]
	v_mov_b64_e32 v[20:21], s[38:39]
	s_mov_b64 s[38:39], s[40:41]
	s_andn2_b64 exec, exec, s[18:19]
	s_cbranch_execz .LBB189_165
.LBB189_163:                            ; =>This Inner Loop Header: Depth=1
	s_or_b64 s[36:37], s[36:37], exec
	s_cmp_eq_u64 s[26:27], s[38:39]
	s_cbranch_scc0 .LBB189_161
; %bb.164:                              ;   in Loop: Header=BB189_163 Depth=1
                                        ; implicit-def: $sgpr40_sgpr41
	s_mov_b64 s[38:39], s[26:27]
	s_branch .LBB189_162
.LBB189_165:
	s_or_b64 exec, exec, s[18:19]
	v_cmp_gt_i64_e32 vcc, s[26:27], v[20:21]
	s_orn2_b64 s[18:19], vcc, exec
.LBB189_166:
	s_or_b64 exec, exec, s[4:5]
.LBB189_167:
	s_and_b64 s[18:19], s[18:19], exec
.LBB189_168:
	s_or_b64 exec, exec, s[6:7]
	v_cndmask_b32_e64 v31, 0, 1, s[14:15]
	v_cndmask_b32_e64 v32, 0, 1, s[12:13]
	;; [unrolled: 1-line block ×3, first 2 shown]
	v_or_b32_e32 v20, v23, v30
.LBB189_169:
	s_mov_b64 s[10:11], -1
	s_cbranch_execnz .LBB189_28
.LBB189_170:
	s_movk_i32 s4, 0xffd0
	v_mad_i32_i24 v30, v0, s4, v22
	s_mov_b64 s[12:13], 0
	s_waitcnt lgkmcnt(0)
	v_cmp_gt_i64_e64 s[6:7], s[26:27], 0
	s_and_b64 vcc, exec, s[34:35]
	ds_write_b64 v30, v[14:15]
	s_cbranch_vccz .LBB189_178
; %bb.171:
	v_mul_lo_u32 v18, v5, s26
	v_mul_lo_u32 v19, v4, s27
	v_mad_u64_u32 v[16:17], s[4:5], v4, s26, 0
	v_add3_u32 v17, v17, v19, v18
	v_cndmask_b32_e64 v18, 0, 1, s[6:7]
	v_cmp_ne_u32_e64 s[4:5], 1, v18
	s_andn2_b64 vcc, exec, s[6:7]
	v_lshl_add_u64 v[16:17], s[28:29], 0, v[16:17]
	s_cbranch_vccnz .LBB189_181
; %bb.172:
	v_mov_b64_e32 v[18:19], s[28:29]
	v_mad_u64_u32 v[18:19], s[12:13], v14, s26, v[18:19]
	v_mul_lo_u32 v20, v14, s27
	v_mul_lo_u32 v21, v15, s26
	v_add3_u32 v19, v21, v19, v20
	global_load_ubyte v20, v[16:17], off
	global_load_ubyte v21, v[18:19], off
	s_mov_b64 s[12:13], -1
	s_waitcnt vmcnt(0)
	v_cmp_eq_u16_e32 vcc, v20, v21
	s_and_saveexec_b64 s[14:15], vcc
	s_cbranch_execz .LBB189_180
; %bb.173:
	s_mov_b64 s[36:37], 1
	s_mov_b64 s[12:13], 0
                                        ; implicit-def: $sgpr18_sgpr19
	s_branch .LBB189_176
.LBB189_174:                            ;   in Loop: Header=BB189_176 Depth=1
	v_lshl_add_u64 v[20:21], v[16:17], 0, s[36:37]
	v_lshl_add_u64 v[22:23], v[18:19], 0, s[36:37]
	global_load_ubyte v31, v[20:21], off
	global_load_ubyte v32, v[22:23], off
	s_add_u32 s38, s36, 1
	s_addc_u32 s39, s37, 0
	s_andn2_b64 s[18:19], s[18:19], exec
	s_waitcnt vmcnt(0)
	v_cmp_ne_u16_e32 vcc, v31, v32
	s_and_b64 s[40:41], vcc, exec
	s_or_b64 s[18:19], s[18:19], s[40:41]
.LBB189_175:                            ;   in Loop: Header=BB189_176 Depth=1
	s_and_b64 s[40:41], exec, s[18:19]
	s_or_b64 s[12:13], s[40:41], s[12:13]
	v_mov_b64_e32 v[20:21], s[36:37]
	s_mov_b64 s[36:37], s[38:39]
	s_andn2_b64 exec, exec, s[12:13]
	s_cbranch_execz .LBB189_179
.LBB189_176:                            ; =>This Inner Loop Header: Depth=1
	s_or_b64 s[18:19], s[18:19], exec
	s_cmp_eq_u64 s[26:27], s[36:37]
	s_cbranch_scc0 .LBB189_174
; %bb.177:                              ;   in Loop: Header=BB189_176 Depth=1
                                        ; implicit-def: $sgpr38_sgpr39
	s_mov_b64 s[36:37], s[26:27]
	s_branch .LBB189_175
.LBB189_178:
                                        ; implicit-def: $sgpr18_sgpr19
                                        ; implicit-def: $vgpr33
                                        ; implicit-def: $vgpr32
                                        ; implicit-def: $vgpr31
                                        ; implicit-def: $vgpr20
                                        ; implicit-def: $vgpr16_vgpr17
	s_cbranch_execnz .LBB189_238
	s_branch .LBB189_318
.LBB189_179:
	s_or_b64 exec, exec, s[12:13]
	v_cmp_gt_i64_e32 vcc, s[26:27], v[20:21]
	s_orn2_b64 s[12:13], vcc, exec
.LBB189_180:
	s_or_b64 exec, exec, s[14:15]
.LBB189_181:
	v_mul_lo_u32 v20, v3, s26
	v_mul_lo_u32 v21, v2, s27
	v_mad_u64_u32 v[18:19], s[14:15], v2, s26, 0
	v_add3_u32 v19, v19, v21, v20
	s_mov_b64 s[14:15], 0
	s_and_b64 vcc, exec, s[4:5]
	v_lshl_add_u64 v[18:19], s[28:29], 0, v[18:19]
	s_mov_b64 s[18:19], 0
	s_cbranch_vccnz .LBB189_190
; %bb.182:
	global_load_ubyte v20, v[18:19], off
	global_load_ubyte v21, v[16:17], off
	s_mov_b64 s[18:19], -1
	s_waitcnt vmcnt(0)
	v_cmp_eq_u16_e32 vcc, v20, v21
	s_and_saveexec_b64 s[36:37], vcc
	s_cbranch_execz .LBB189_189
; %bb.183:
	s_mov_b64 s[40:41], 1
	s_mov_b64 s[18:19], 0
                                        ; implicit-def: $sgpr38_sgpr39
	s_branch .LBB189_186
.LBB189_184:                            ;   in Loop: Header=BB189_186 Depth=1
	v_lshl_add_u64 v[20:21], v[18:19], 0, s[40:41]
	v_lshl_add_u64 v[22:23], v[16:17], 0, s[40:41]
	global_load_ubyte v31, v[20:21], off
	global_load_ubyte v32, v[22:23], off
	s_add_u32 s42, s40, 1
	s_addc_u32 s43, s41, 0
	s_andn2_b64 s[38:39], s[38:39], exec
	s_waitcnt vmcnt(0)
	v_cmp_ne_u16_e32 vcc, v31, v32
	s_and_b64 s[44:45], vcc, exec
	s_or_b64 s[38:39], s[38:39], s[44:45]
.LBB189_185:                            ;   in Loop: Header=BB189_186 Depth=1
	s_and_b64 s[44:45], exec, s[38:39]
	s_or_b64 s[18:19], s[44:45], s[18:19]
	v_mov_b64_e32 v[20:21], s[40:41]
	s_mov_b64 s[40:41], s[42:43]
	s_andn2_b64 exec, exec, s[18:19]
	s_cbranch_execz .LBB189_188
.LBB189_186:                            ; =>This Inner Loop Header: Depth=1
	s_or_b64 s[38:39], s[38:39], exec
	s_cmp_eq_u64 s[26:27], s[40:41]
	s_cbranch_scc0 .LBB189_184
; %bb.187:                              ;   in Loop: Header=BB189_186 Depth=1
                                        ; implicit-def: $sgpr42_sgpr43
	s_mov_b64 s[40:41], s[26:27]
	s_branch .LBB189_185
.LBB189_188:
	s_or_b64 exec, exec, s[18:19]
	v_cmp_gt_i64_e32 vcc, s[26:27], v[20:21]
	s_orn2_b64 s[18:19], vcc, exec
.LBB189_189:
	s_or_b64 exec, exec, s[36:37]
.LBB189_190:
	v_mul_lo_u32 v20, v9, s26
	v_mul_lo_u32 v21, v8, s27
	v_mad_u64_u32 v[16:17], s[36:37], v8, s26, 0
	v_add3_u32 v17, v17, v21, v20
	s_and_b64 vcc, exec, s[4:5]
	v_lshl_add_u64 v[16:17], s[28:29], 0, v[16:17]
	s_cbranch_vccnz .LBB189_199
; %bb.191:
	global_load_ubyte v20, v[16:17], off
	global_load_ubyte v21, v[18:19], off
	s_mov_b64 s[14:15], -1
	s_waitcnt vmcnt(0)
	v_cmp_eq_u16_e32 vcc, v20, v21
	s_and_saveexec_b64 s[36:37], vcc
	s_cbranch_execz .LBB189_198
; %bb.192:
	s_mov_b64 s[40:41], 1
	s_mov_b64 s[14:15], 0
                                        ; implicit-def: $sgpr38_sgpr39
	s_branch .LBB189_195
.LBB189_193:                            ;   in Loop: Header=BB189_195 Depth=1
	v_lshl_add_u64 v[20:21], v[16:17], 0, s[40:41]
	v_lshl_add_u64 v[22:23], v[18:19], 0, s[40:41]
	global_load_ubyte v31, v[20:21], off
	global_load_ubyte v32, v[22:23], off
	s_add_u32 s42, s40, 1
	s_addc_u32 s43, s41, 0
	s_andn2_b64 s[38:39], s[38:39], exec
	s_waitcnt vmcnt(0)
	v_cmp_ne_u16_e32 vcc, v31, v32
	s_and_b64 s[44:45], vcc, exec
	s_or_b64 s[38:39], s[38:39], s[44:45]
.LBB189_194:                            ;   in Loop: Header=BB189_195 Depth=1
	s_and_b64 s[44:45], exec, s[38:39]
	s_or_b64 s[14:15], s[44:45], s[14:15]
	v_mov_b64_e32 v[20:21], s[40:41]
	s_mov_b64 s[40:41], s[42:43]
	s_andn2_b64 exec, exec, s[14:15]
	s_cbranch_execz .LBB189_197
.LBB189_195:                            ; =>This Inner Loop Header: Depth=1
	s_or_b64 s[38:39], s[38:39], exec
	s_cmp_eq_u64 s[26:27], s[40:41]
	s_cbranch_scc0 .LBB189_193
; %bb.196:                              ;   in Loop: Header=BB189_195 Depth=1
                                        ; implicit-def: $sgpr42_sgpr43
	s_mov_b64 s[40:41], s[26:27]
	s_branch .LBB189_194
.LBB189_197:
	s_or_b64 exec, exec, s[14:15]
	v_cmp_gt_i64_e32 vcc, s[26:27], v[20:21]
	s_orn2_b64 s[14:15], vcc, exec
.LBB189_198:
	s_or_b64 exec, exec, s[36:37]
.LBB189_199:
	v_mul_lo_u32 v20, v7, s26
	v_mul_lo_u32 v21, v6, s27
	v_mad_u64_u32 v[18:19], s[36:37], v6, s26, 0
	v_add3_u32 v19, v19, v21, v20
	s_mov_b64 s[36:37], 0
	s_and_b64 vcc, exec, s[4:5]
	v_lshl_add_u64 v[18:19], s[28:29], 0, v[18:19]
	s_mov_b64 s[38:39], 0
	s_cbranch_vccnz .LBB189_208
; %bb.200:
	global_load_ubyte v20, v[18:19], off
	global_load_ubyte v21, v[16:17], off
	s_mov_b64 s[38:39], -1
	s_waitcnt vmcnt(0)
	v_cmp_eq_u16_e32 vcc, v20, v21
	s_and_saveexec_b64 s[40:41], vcc
	s_cbranch_execz .LBB189_207
; %bb.201:
	s_mov_b64 s[44:45], 1
	s_mov_b64 s[38:39], 0
                                        ; implicit-def: $sgpr42_sgpr43
	s_branch .LBB189_204
.LBB189_202:                            ;   in Loop: Header=BB189_204 Depth=1
	v_lshl_add_u64 v[20:21], v[18:19], 0, s[44:45]
	v_lshl_add_u64 v[22:23], v[16:17], 0, s[44:45]
	global_load_ubyte v31, v[20:21], off
	global_load_ubyte v32, v[22:23], off
	s_add_u32 s46, s44, 1
	s_addc_u32 s47, s45, 0
	s_andn2_b64 s[42:43], s[42:43], exec
	s_waitcnt vmcnt(0)
	v_cmp_ne_u16_e32 vcc, v31, v32
	s_and_b64 s[48:49], vcc, exec
	s_or_b64 s[42:43], s[42:43], s[48:49]
.LBB189_203:                            ;   in Loop: Header=BB189_204 Depth=1
	s_and_b64 s[48:49], exec, s[42:43]
	s_or_b64 s[38:39], s[48:49], s[38:39]
	v_mov_b64_e32 v[20:21], s[44:45]
	s_mov_b64 s[44:45], s[46:47]
	s_andn2_b64 exec, exec, s[38:39]
	s_cbranch_execz .LBB189_206
.LBB189_204:                            ; =>This Inner Loop Header: Depth=1
	s_or_b64 s[42:43], s[42:43], exec
	s_cmp_eq_u64 s[26:27], s[44:45]
	s_cbranch_scc0 .LBB189_202
; %bb.205:                              ;   in Loop: Header=BB189_204 Depth=1
                                        ; implicit-def: $sgpr46_sgpr47
	s_mov_b64 s[44:45], s[26:27]
	s_branch .LBB189_203
.LBB189_206:
	s_or_b64 exec, exec, s[38:39]
	v_cmp_gt_i64_e32 vcc, s[26:27], v[20:21]
	s_orn2_b64 s[38:39], vcc, exec
.LBB189_207:
	s_or_b64 exec, exec, s[40:41]
.LBB189_208:
	v_mul_lo_u32 v20, v13, s26
	v_mul_lo_u32 v21, v12, s27
	v_mad_u64_u32 v[16:17], s[40:41], v12, s26, 0
	v_add3_u32 v17, v17, v21, v20
	s_and_b64 vcc, exec, s[4:5]
	v_lshl_add_u64 v[16:17], s[28:29], 0, v[16:17]
	s_cbranch_vccnz .LBB189_217
; %bb.209:
	global_load_ubyte v20, v[16:17], off
	global_load_ubyte v21, v[18:19], off
	s_mov_b64 s[36:37], -1
	s_waitcnt vmcnt(0)
	v_cmp_eq_u16_e32 vcc, v20, v21
	s_and_saveexec_b64 s[40:41], vcc
	s_cbranch_execz .LBB189_216
; %bb.210:
	s_mov_b64 s[44:45], 1
	s_mov_b64 s[36:37], 0
                                        ; implicit-def: $sgpr42_sgpr43
	s_branch .LBB189_213
.LBB189_211:                            ;   in Loop: Header=BB189_213 Depth=1
	v_lshl_add_u64 v[20:21], v[16:17], 0, s[44:45]
	v_lshl_add_u64 v[22:23], v[18:19], 0, s[44:45]
	global_load_ubyte v31, v[20:21], off
	global_load_ubyte v32, v[22:23], off
	s_add_u32 s46, s44, 1
	s_addc_u32 s47, s45, 0
	s_andn2_b64 s[42:43], s[42:43], exec
	s_waitcnt vmcnt(0)
	v_cmp_ne_u16_e32 vcc, v31, v32
	s_and_b64 s[48:49], vcc, exec
	s_or_b64 s[42:43], s[42:43], s[48:49]
.LBB189_212:                            ;   in Loop: Header=BB189_213 Depth=1
	s_and_b64 s[48:49], exec, s[42:43]
	s_or_b64 s[36:37], s[48:49], s[36:37]
	v_mov_b64_e32 v[20:21], s[44:45]
	s_mov_b64 s[44:45], s[46:47]
	s_andn2_b64 exec, exec, s[36:37]
	s_cbranch_execz .LBB189_215
.LBB189_213:                            ; =>This Inner Loop Header: Depth=1
	s_or_b64 s[42:43], s[42:43], exec
	s_cmp_eq_u64 s[26:27], s[44:45]
	s_cbranch_scc0 .LBB189_211
; %bb.214:                              ;   in Loop: Header=BB189_213 Depth=1
                                        ; implicit-def: $sgpr46_sgpr47
	s_mov_b64 s[44:45], s[26:27]
	s_branch .LBB189_212
.LBB189_215:
	s_or_b64 exec, exec, s[36:37]
	v_cmp_gt_i64_e32 vcc, s[26:27], v[20:21]
	s_orn2_b64 s[36:37], vcc, exec
.LBB189_216:
	s_or_b64 exec, exec, s[40:41]
.LBB189_217:
	v_mul_lo_u32 v20, v11, s26
	v_mul_lo_u32 v21, v10, s27
	v_mad_u64_u32 v[18:19], s[40:41], v10, s26, 0
	v_add3_u32 v19, v19, v21, v20
	s_and_b64 vcc, exec, s[4:5]
	s_mov_b64 s[42:43], 0
	s_cbranch_vccnz .LBB189_226
; %bb.218:
	v_lshl_add_u64 v[20:21], s[28:29], 0, v[18:19]
	global_load_ubyte v22, v[20:21], off
	global_load_ubyte v23, v[16:17], off
	s_mov_b64 s[42:43], -1
	s_waitcnt vmcnt(0)
	v_cmp_eq_u16_e32 vcc, v22, v23
	s_and_saveexec_b64 s[40:41], vcc
	s_cbranch_execz .LBB189_225
; %bb.219:
	s_mov_b64 s[46:47], 1
	s_mov_b64 s[42:43], 0
                                        ; implicit-def: $sgpr44_sgpr45
	s_branch .LBB189_222
.LBB189_220:                            ;   in Loop: Header=BB189_222 Depth=1
	v_lshl_add_u64 v[22:23], v[20:21], 0, s[46:47]
	v_lshl_add_u64 v[32:33], v[16:17], 0, s[46:47]
	global_load_ubyte v31, v[22:23], off
	global_load_ubyte v34, v[32:33], off
	s_add_u32 s48, s46, 1
	s_addc_u32 s49, s47, 0
	s_andn2_b64 s[44:45], s[44:45], exec
	s_waitcnt vmcnt(0)
	v_cmp_ne_u16_e32 vcc, v31, v34
	s_and_b64 s[50:51], vcc, exec
	s_or_b64 s[44:45], s[44:45], s[50:51]
.LBB189_221:                            ;   in Loop: Header=BB189_222 Depth=1
	s_and_b64 s[50:51], exec, s[44:45]
	s_or_b64 s[42:43], s[50:51], s[42:43]
	v_mov_b64_e32 v[22:23], s[46:47]
	s_mov_b64 s[46:47], s[48:49]
	s_andn2_b64 exec, exec, s[42:43]
	s_cbranch_execz .LBB189_224
.LBB189_222:                            ; =>This Inner Loop Header: Depth=1
	s_or_b64 s[44:45], s[44:45], exec
	s_cmp_eq_u64 s[26:27], s[46:47]
	s_cbranch_scc0 .LBB189_220
; %bb.223:                              ;   in Loop: Header=BB189_222 Depth=1
                                        ; implicit-def: $sgpr48_sgpr49
	s_mov_b64 s[46:47], s[26:27]
	s_branch .LBB189_221
.LBB189_224:
	s_or_b64 exec, exec, s[42:43]
	v_cmp_gt_i64_e32 vcc, s[26:27], v[22:23]
	s_orn2_b64 s[42:43], vcc, exec
.LBB189_225:
	s_or_b64 exec, exec, s[40:41]
.LBB189_226:
	v_cndmask_b32_e64 v17, 0, 1, s[38:39]
	v_cndmask_b32_e64 v16, 0, 1, s[36:37]
	;; [unrolled: 1-line block ×3, first 2 shown]
	v_lshlrev_b16_e32 v17, 8, v17
	v_cndmask_b32_e64 v31, 0, 1, s[14:15]
	v_cndmask_b32_e64 v20, 0, 1, s[42:43]
	v_or_b32_sdwa v16, v16, v17 dst_sel:WORD_1 dst_unused:UNUSED_PAD src0_sel:DWORD src1_sel:DWORD
	v_lshlrev_b16_e32 v17, 8, v32
	v_lshlrev_b16_e32 v20, 8, v20
	v_or_b32_e32 v17, v31, v17
	v_or_b32_e32 v20, 1, v20
	v_and_b32_e32 v17, 0xffff, v17
	v_cndmask_b32_e64 v33, 0, 1, s[12:13]
	v_or_b32_sdwa v16, v20, v16 dst_sel:DWORD dst_unused:UNUSED_PAD src0_sel:WORD_0 src1_sel:DWORD
	v_lshl_or_b32 v17, v33, 16, v17
	v_cmp_ne_u32_e32 vcc, 0, v0
	s_waitcnt lgkmcnt(0)
	s_barrier
	s_waitcnt lgkmcnt(0)
                                        ; implicit-def: $sgpr18_sgpr19
                                        ; implicit-def: $vgpr20
	s_and_saveexec_b64 s[12:13], vcc
	s_xor_b64 s[12:13], exec, s[12:13]
	s_cbranch_execz .LBB189_237
; %bb.227:
	s_mov_b32 s33, 0x3020104
	s_and_b64 vcc, exec, s[4:5]
	s_mov_b64 s[14:15], 0
	s_cbranch_vccnz .LBB189_236
; %bb.228:
	v_add_u32_e32 v17, -8, v30
	ds_read_b64 v[20:21], v17
	v_mov_b64_e32 v[22:23], s[28:29]
	v_lshl_add_u64 v[18:19], s[28:29], 0, v[18:19]
	s_mov_b64 s[14:15], -1
	s_waitcnt lgkmcnt(0)
	v_mul_lo_u32 v17, v20, s27
	v_mul_lo_u32 v34, v21, s26
	v_mad_u64_u32 v[20:21], s[4:5], v20, s26, v[22:23]
	v_add3_u32 v21, v34, v21, v17
	global_load_ubyte v17, v[18:19], off
	global_load_ubyte v22, v[20:21], off
	s_waitcnt vmcnt(0)
	v_cmp_eq_u16_e32 vcc, v22, v17
	s_and_saveexec_b64 s[4:5], vcc
	s_cbranch_execz .LBB189_235
; %bb.229:
	s_mov_b64 s[36:37], 1
	s_mov_b64 s[14:15], 0
                                        ; implicit-def: $sgpr18_sgpr19
	s_branch .LBB189_232
.LBB189_230:                            ;   in Loop: Header=BB189_232 Depth=1
	v_lshl_add_u64 v[22:23], v[20:21], 0, s[36:37]
	v_lshl_add_u64 v[34:35], v[18:19], 0, s[36:37]
	global_load_ubyte v17, v[22:23], off
	global_load_ubyte v36, v[34:35], off
	s_add_u32 s38, s36, 1
	s_addc_u32 s39, s37, 0
	s_andn2_b64 s[18:19], s[18:19], exec
	s_waitcnt vmcnt(0)
	v_cmp_ne_u16_e32 vcc, v17, v36
	s_and_b64 s[40:41], vcc, exec
	s_or_b64 s[18:19], s[18:19], s[40:41]
.LBB189_231:                            ;   in Loop: Header=BB189_232 Depth=1
	s_and_b64 s[40:41], exec, s[18:19]
	s_or_b64 s[14:15], s[40:41], s[14:15]
	v_mov_b64_e32 v[22:23], s[36:37]
	s_mov_b64 s[36:37], s[38:39]
	s_andn2_b64 exec, exec, s[14:15]
	s_cbranch_execz .LBB189_234
.LBB189_232:                            ; =>This Inner Loop Header: Depth=1
	s_or_b64 s[18:19], s[18:19], exec
	s_cmp_eq_u64 s[26:27], s[36:37]
	s_cbranch_scc0 .LBB189_230
; %bb.233:                              ;   in Loop: Header=BB189_232 Depth=1
                                        ; implicit-def: $sgpr38_sgpr39
	s_mov_b64 s[36:37], s[26:27]
	s_branch .LBB189_231
.LBB189_234:
	s_or_b64 exec, exec, s[14:15]
	v_cmp_gt_i64_e32 vcc, s[26:27], v[22:23]
	s_orn2_b64 s[14:15], vcc, exec
.LBB189_235:
	s_or_b64 exec, exec, s[4:5]
.LBB189_236:
	v_perm_b32 v20, v16, v16, s33
	s_and_b64 s[18:19], s[14:15], exec
	s_or_b64 s[10:11], s[10:11], exec
                                        ; implicit-def: $vgpr16_vgpr17
.LBB189_237:
	s_or_b64 exec, exec, s[12:13]
	s_branch .LBB189_318
.LBB189_238:
	v_cmp_gt_u32_e32 vcc, s3, v27
	s_mov_b64 s[12:13], 0
	s_mov_b64 s[4:5], 0
	s_and_saveexec_b64 s[14:15], vcc
	s_cbranch_execz .LBB189_249
; %bb.239:
	s_andn2_b64 vcc, exec, s[6:7]
	s_mov_b64 s[18:19], 0
	s_cbranch_vccnz .LBB189_248
; %bb.240:
	v_mov_b64_e32 v[18:19], s[28:29]
	v_mad_u64_u32 v[16:17], s[4:5], v4, s26, v[18:19]
	v_mul_lo_u32 v20, v4, s27
	v_mul_lo_u32 v21, v5, s26
	v_add3_u32 v17, v21, v17, v20
	v_mad_u64_u32 v[18:19], s[4:5], v14, s26, v[18:19]
	v_mul_lo_u32 v20, v14, s27
	v_mul_lo_u32 v21, v15, s26
	v_add3_u32 v19, v21, v19, v20
	global_load_ubyte v20, v[16:17], off
	global_load_ubyte v21, v[18:19], off
	s_mov_b64 s[18:19], -1
	s_waitcnt vmcnt(0)
	v_cmp_eq_u16_e32 vcc, v20, v21
	s_and_saveexec_b64 s[4:5], vcc
	s_cbranch_execz .LBB189_247
; %bb.241:
	s_mov_b64 s[38:39], 1
	s_mov_b64 s[18:19], 0
                                        ; implicit-def: $sgpr36_sgpr37
	s_branch .LBB189_244
.LBB189_242:                            ;   in Loop: Header=BB189_244 Depth=1
	v_lshl_add_u64 v[20:21], v[16:17], 0, s[38:39]
	v_lshl_add_u64 v[22:23], v[18:19], 0, s[38:39]
	global_load_ubyte v31, v[20:21], off
	global_load_ubyte v32, v[22:23], off
	s_add_u32 s40, s38, 1
	s_addc_u32 s41, s39, 0
	s_andn2_b64 s[36:37], s[36:37], exec
	s_waitcnt vmcnt(0)
	v_cmp_ne_u16_e32 vcc, v31, v32
	s_and_b64 s[42:43], vcc, exec
	s_or_b64 s[36:37], s[36:37], s[42:43]
.LBB189_243:                            ;   in Loop: Header=BB189_244 Depth=1
	s_and_b64 s[42:43], exec, s[36:37]
	s_or_b64 s[18:19], s[42:43], s[18:19]
	v_mov_b64_e32 v[20:21], s[38:39]
	s_mov_b64 s[38:39], s[40:41]
	s_andn2_b64 exec, exec, s[18:19]
	s_cbranch_execz .LBB189_246
.LBB189_244:                            ; =>This Inner Loop Header: Depth=1
	s_or_b64 s[36:37], s[36:37], exec
	s_cmp_eq_u64 s[26:27], s[38:39]
	s_cbranch_scc0 .LBB189_242
; %bb.245:                              ;   in Loop: Header=BB189_244 Depth=1
                                        ; implicit-def: $sgpr40_sgpr41
	s_mov_b64 s[38:39], s[26:27]
	s_branch .LBB189_243
.LBB189_246:
	s_or_b64 exec, exec, s[18:19]
	v_cmp_gt_i64_e32 vcc, s[26:27], v[20:21]
	s_orn2_b64 s[18:19], vcc, exec
.LBB189_247:
	s_or_b64 exec, exec, s[4:5]
.LBB189_248:
	s_and_b64 s[4:5], s[18:19], exec
.LBB189_249:
	s_or_b64 exec, exec, s[14:15]
	v_cmp_gt_u32_e32 vcc, s3, v29
	s_and_saveexec_b64 s[14:15], vcc
	s_cbranch_execz .LBB189_260
; %bb.250:
	s_andn2_b64 vcc, exec, s[6:7]
	s_mov_b64 s[18:19], 0
	s_cbranch_vccnz .LBB189_259
; %bb.251:
	v_mov_b64_e32 v[18:19], s[28:29]
	v_mad_u64_u32 v[16:17], s[12:13], v2, s26, v[18:19]
	v_mul_lo_u32 v20, v2, s27
	v_mul_lo_u32 v21, v3, s26
	v_add3_u32 v17, v21, v17, v20
	v_mad_u64_u32 v[18:19], s[12:13], v4, s26, v[18:19]
	v_mul_lo_u32 v20, v4, s27
	v_mul_lo_u32 v21, v5, s26
	v_add3_u32 v19, v21, v19, v20
	global_load_ubyte v20, v[16:17], off
	global_load_ubyte v21, v[18:19], off
	s_mov_b64 s[18:19], -1
	s_waitcnt vmcnt(0)
	v_cmp_eq_u16_e32 vcc, v20, v21
	s_and_saveexec_b64 s[12:13], vcc
	s_cbranch_execz .LBB189_258
; %bb.252:
	s_mov_b64 s[38:39], 1
	s_mov_b64 s[18:19], 0
                                        ; implicit-def: $sgpr36_sgpr37
	s_branch .LBB189_255
.LBB189_253:                            ;   in Loop: Header=BB189_255 Depth=1
	v_lshl_add_u64 v[20:21], v[16:17], 0, s[38:39]
	v_lshl_add_u64 v[22:23], v[18:19], 0, s[38:39]
	global_load_ubyte v31, v[20:21], off
	global_load_ubyte v32, v[22:23], off
	s_add_u32 s40, s38, 1
	s_addc_u32 s41, s39, 0
	s_andn2_b64 s[36:37], s[36:37], exec
	s_waitcnt vmcnt(0)
	v_cmp_ne_u16_e32 vcc, v31, v32
	s_and_b64 s[42:43], vcc, exec
	s_or_b64 s[36:37], s[36:37], s[42:43]
.LBB189_254:                            ;   in Loop: Header=BB189_255 Depth=1
	s_and_b64 s[42:43], exec, s[36:37]
	s_or_b64 s[18:19], s[42:43], s[18:19]
	v_mov_b64_e32 v[20:21], s[38:39]
	s_mov_b64 s[38:39], s[40:41]
	s_andn2_b64 exec, exec, s[18:19]
	s_cbranch_execz .LBB189_257
.LBB189_255:                            ; =>This Inner Loop Header: Depth=1
	s_or_b64 s[36:37], s[36:37], exec
	s_cmp_eq_u64 s[26:27], s[38:39]
	s_cbranch_scc0 .LBB189_253
; %bb.256:                              ;   in Loop: Header=BB189_255 Depth=1
                                        ; implicit-def: $sgpr40_sgpr41
	s_mov_b64 s[38:39], s[26:27]
	s_branch .LBB189_254
.LBB189_257:
	s_or_b64 exec, exec, s[18:19]
	v_cmp_gt_i64_e32 vcc, s[26:27], v[20:21]
	s_orn2_b64 s[18:19], vcc, exec
.LBB189_258:
	s_or_b64 exec, exec, s[12:13]
.LBB189_259:
	s_and_b64 s[12:13], s[18:19], exec
.LBB189_260:
	s_or_b64 exec, exec, s[14:15]
	v_cmp_gt_u32_e32 vcc, s3, v26
	s_mov_b64 s[18:19], 0
	s_mov_b64 s[14:15], 0
	s_and_saveexec_b64 s[36:37], vcc
	s_cbranch_execz .LBB189_271
; %bb.261:
	s_andn2_b64 vcc, exec, s[6:7]
	s_mov_b64 s[38:39], 0
	s_cbranch_vccnz .LBB189_270
; %bb.262:
	v_mov_b64_e32 v[18:19], s[28:29]
	v_mad_u64_u32 v[16:17], s[14:15], v8, s26, v[18:19]
	v_mul_lo_u32 v20, v8, s27
	v_mul_lo_u32 v21, v9, s26
	v_add3_u32 v17, v21, v17, v20
	v_mad_u64_u32 v[18:19], s[14:15], v2, s26, v[18:19]
	v_mul_lo_u32 v20, v2, s27
	v_mul_lo_u32 v21, v3, s26
	v_add3_u32 v19, v21, v19, v20
	global_load_ubyte v20, v[16:17], off
	global_load_ubyte v21, v[18:19], off
	s_mov_b64 s[38:39], -1
	s_waitcnt vmcnt(0)
	v_cmp_eq_u16_e32 vcc, v20, v21
	s_and_saveexec_b64 s[14:15], vcc
	s_cbranch_execz .LBB189_269
; %bb.263:
	s_mov_b64 s[42:43], 1
	s_mov_b64 s[38:39], 0
                                        ; implicit-def: $sgpr40_sgpr41
	s_branch .LBB189_266
.LBB189_264:                            ;   in Loop: Header=BB189_266 Depth=1
	v_lshl_add_u64 v[20:21], v[16:17], 0, s[42:43]
	v_lshl_add_u64 v[22:23], v[18:19], 0, s[42:43]
	global_load_ubyte v31, v[20:21], off
	global_load_ubyte v32, v[22:23], off
	s_add_u32 s44, s42, 1
	s_addc_u32 s45, s43, 0
	s_andn2_b64 s[40:41], s[40:41], exec
	s_waitcnt vmcnt(0)
	v_cmp_ne_u16_e32 vcc, v31, v32
	s_and_b64 s[46:47], vcc, exec
	s_or_b64 s[40:41], s[40:41], s[46:47]
.LBB189_265:                            ;   in Loop: Header=BB189_266 Depth=1
	s_and_b64 s[46:47], exec, s[40:41]
	s_or_b64 s[38:39], s[46:47], s[38:39]
	v_mov_b64_e32 v[20:21], s[42:43]
	s_mov_b64 s[42:43], s[44:45]
	s_andn2_b64 exec, exec, s[38:39]
	s_cbranch_execz .LBB189_268
.LBB189_266:                            ; =>This Inner Loop Header: Depth=1
	s_or_b64 s[40:41], s[40:41], exec
	s_cmp_eq_u64 s[26:27], s[42:43]
	s_cbranch_scc0 .LBB189_264
; %bb.267:                              ;   in Loop: Header=BB189_266 Depth=1
                                        ; implicit-def: $sgpr44_sgpr45
	s_mov_b64 s[42:43], s[26:27]
	s_branch .LBB189_265
.LBB189_268:
	s_or_b64 exec, exec, s[38:39]
	v_cmp_gt_i64_e32 vcc, s[26:27], v[20:21]
	s_orn2_b64 s[38:39], vcc, exec
.LBB189_269:
	s_or_b64 exec, exec, s[14:15]
.LBB189_270:
	s_and_b64 s[14:15], s[38:39], exec
.LBB189_271:
	s_or_b64 exec, exec, s[36:37]
	v_cmp_gt_u32_e32 vcc, s3, v28
	s_and_saveexec_b64 s[36:37], vcc
	s_cbranch_execz .LBB189_282
; %bb.272:
	s_andn2_b64 vcc, exec, s[6:7]
	s_mov_b64 s[38:39], 0
	s_cbranch_vccnz .LBB189_281
; %bb.273:
	v_mov_b64_e32 v[18:19], s[28:29]
	v_mad_u64_u32 v[16:17], s[18:19], v6, s26, v[18:19]
	v_mul_lo_u32 v20, v6, s27
	v_mul_lo_u32 v21, v7, s26
	v_add3_u32 v17, v21, v17, v20
	v_mad_u64_u32 v[18:19], s[18:19], v8, s26, v[18:19]
	v_mul_lo_u32 v20, v8, s27
	v_mul_lo_u32 v21, v9, s26
	v_add3_u32 v19, v21, v19, v20
	global_load_ubyte v20, v[16:17], off
	global_load_ubyte v21, v[18:19], off
	s_mov_b64 s[38:39], -1
	s_waitcnt vmcnt(0)
	v_cmp_eq_u16_e32 vcc, v20, v21
	s_and_saveexec_b64 s[18:19], vcc
	s_cbranch_execz .LBB189_280
; %bb.274:
	s_mov_b64 s[42:43], 1
	s_mov_b64 s[38:39], 0
                                        ; implicit-def: $sgpr40_sgpr41
	s_branch .LBB189_277
.LBB189_275:                            ;   in Loop: Header=BB189_277 Depth=1
	v_lshl_add_u64 v[20:21], v[16:17], 0, s[42:43]
	v_lshl_add_u64 v[22:23], v[18:19], 0, s[42:43]
	global_load_ubyte v31, v[20:21], off
	global_load_ubyte v32, v[22:23], off
	s_add_u32 s44, s42, 1
	s_addc_u32 s45, s43, 0
	s_andn2_b64 s[40:41], s[40:41], exec
	s_waitcnt vmcnt(0)
	v_cmp_ne_u16_e32 vcc, v31, v32
	s_and_b64 s[46:47], vcc, exec
	s_or_b64 s[40:41], s[40:41], s[46:47]
.LBB189_276:                            ;   in Loop: Header=BB189_277 Depth=1
	s_and_b64 s[46:47], exec, s[40:41]
	s_or_b64 s[38:39], s[46:47], s[38:39]
	v_mov_b64_e32 v[20:21], s[42:43]
	s_mov_b64 s[42:43], s[44:45]
	s_andn2_b64 exec, exec, s[38:39]
	s_cbranch_execz .LBB189_279
.LBB189_277:                            ; =>This Inner Loop Header: Depth=1
	s_or_b64 s[40:41], s[40:41], exec
	s_cmp_eq_u64 s[26:27], s[42:43]
	s_cbranch_scc0 .LBB189_275
; %bb.278:                              ;   in Loop: Header=BB189_277 Depth=1
                                        ; implicit-def: $sgpr44_sgpr45
	s_mov_b64 s[42:43], s[26:27]
	s_branch .LBB189_276
.LBB189_279:
	s_or_b64 exec, exec, s[38:39]
	v_cmp_gt_i64_e32 vcc, s[26:27], v[20:21]
	s_orn2_b64 s[38:39], vcc, exec
.LBB189_280:
	s_or_b64 exec, exec, s[18:19]
.LBB189_281:
	s_and_b64 s[18:19], s[38:39], exec
.LBB189_282:
	s_or_b64 exec, exec, s[36:37]
	v_cmp_gt_u32_e32 vcc, s3, v24
	s_mov_b64 s[36:37], 0
	s_mov_b64 s[38:39], 0
	s_and_saveexec_b64 s[40:41], vcc
	s_cbranch_execz .LBB189_293
; %bb.283:
	s_andn2_b64 vcc, exec, s[6:7]
	s_mov_b64 s[42:43], 0
	s_cbranch_vccnz .LBB189_292
; %bb.284:
	v_mov_b64_e32 v[18:19], s[28:29]
	v_mad_u64_u32 v[16:17], s[38:39], v12, s26, v[18:19]
	v_mul_lo_u32 v20, v12, s27
	v_mul_lo_u32 v21, v13, s26
	v_add3_u32 v17, v21, v17, v20
	v_mad_u64_u32 v[18:19], s[38:39], v6, s26, v[18:19]
	v_mul_lo_u32 v20, v6, s27
	v_mul_lo_u32 v21, v7, s26
	v_add3_u32 v19, v21, v19, v20
	global_load_ubyte v20, v[16:17], off
	global_load_ubyte v21, v[18:19], off
	s_mov_b64 s[42:43], -1
	s_waitcnt vmcnt(0)
	v_cmp_eq_u16_e32 vcc, v20, v21
	s_and_saveexec_b64 s[38:39], vcc
	s_cbranch_execz .LBB189_291
; %bb.285:
	s_mov_b64 s[46:47], 1
	s_mov_b64 s[42:43], 0
                                        ; implicit-def: $sgpr44_sgpr45
	s_branch .LBB189_288
.LBB189_286:                            ;   in Loop: Header=BB189_288 Depth=1
	v_lshl_add_u64 v[20:21], v[16:17], 0, s[46:47]
	v_lshl_add_u64 v[22:23], v[18:19], 0, s[46:47]
	global_load_ubyte v31, v[20:21], off
	global_load_ubyte v32, v[22:23], off
	s_add_u32 s48, s46, 1
	s_addc_u32 s49, s47, 0
	s_andn2_b64 s[44:45], s[44:45], exec
	s_waitcnt vmcnt(0)
	v_cmp_ne_u16_e32 vcc, v31, v32
	s_and_b64 s[50:51], vcc, exec
	s_or_b64 s[44:45], s[44:45], s[50:51]
.LBB189_287:                            ;   in Loop: Header=BB189_288 Depth=1
	s_and_b64 s[50:51], exec, s[44:45]
	s_or_b64 s[42:43], s[50:51], s[42:43]
	v_mov_b64_e32 v[20:21], s[46:47]
	s_mov_b64 s[46:47], s[48:49]
	s_andn2_b64 exec, exec, s[42:43]
	s_cbranch_execz .LBB189_290
.LBB189_288:                            ; =>This Inner Loop Header: Depth=1
	s_or_b64 s[44:45], s[44:45], exec
	s_cmp_eq_u64 s[26:27], s[46:47]
	s_cbranch_scc0 .LBB189_286
; %bb.289:                              ;   in Loop: Header=BB189_288 Depth=1
                                        ; implicit-def: $sgpr48_sgpr49
	s_mov_b64 s[46:47], s[26:27]
	s_branch .LBB189_287
.LBB189_290:
	s_or_b64 exec, exec, s[42:43]
	v_cmp_gt_i64_e32 vcc, s[26:27], v[20:21]
	s_orn2_b64 s[42:43], vcc, exec
.LBB189_291:
	s_or_b64 exec, exec, s[38:39]
.LBB189_292:
	s_and_b64 s[38:39], s[42:43], exec
.LBB189_293:
	s_or_b64 exec, exec, s[40:41]
	v_cmp_gt_u32_e32 vcc, s3, v25
	s_and_saveexec_b64 s[40:41], vcc
	s_cbranch_execz .LBB189_304
; %bb.294:
	s_andn2_b64 vcc, exec, s[6:7]
	s_mov_b64 s[42:43], 0
	s_cbranch_vccnz .LBB189_303
; %bb.295:
	v_mov_b64_e32 v[18:19], s[28:29]
	v_mad_u64_u32 v[16:17], s[36:37], v10, s26, v[18:19]
	v_mul_lo_u32 v20, v10, s27
	v_mul_lo_u32 v21, v11, s26
	v_add3_u32 v17, v21, v17, v20
	v_mad_u64_u32 v[18:19], s[36:37], v12, s26, v[18:19]
	v_mul_lo_u32 v20, v12, s27
	v_mul_lo_u32 v21, v13, s26
	v_add3_u32 v19, v21, v19, v20
	global_load_ubyte v20, v[16:17], off
	global_load_ubyte v21, v[18:19], off
	s_mov_b64 s[42:43], -1
	s_waitcnt vmcnt(0)
	v_cmp_eq_u16_e32 vcc, v20, v21
	s_and_saveexec_b64 s[36:37], vcc
	s_cbranch_execz .LBB189_302
; %bb.296:
	s_mov_b64 s[46:47], 1
	s_mov_b64 s[42:43], 0
                                        ; implicit-def: $sgpr44_sgpr45
	s_branch .LBB189_299
.LBB189_297:                            ;   in Loop: Header=BB189_299 Depth=1
	v_lshl_add_u64 v[20:21], v[16:17], 0, s[46:47]
	v_lshl_add_u64 v[22:23], v[18:19], 0, s[46:47]
	global_load_ubyte v31, v[20:21], off
	global_load_ubyte v32, v[22:23], off
	s_add_u32 s48, s46, 1
	s_addc_u32 s49, s47, 0
	s_andn2_b64 s[44:45], s[44:45], exec
	s_waitcnt vmcnt(0)
	v_cmp_ne_u16_e32 vcc, v31, v32
	s_and_b64 s[50:51], vcc, exec
	s_or_b64 s[44:45], s[44:45], s[50:51]
.LBB189_298:                            ;   in Loop: Header=BB189_299 Depth=1
	s_and_b64 s[50:51], exec, s[44:45]
	s_or_b64 s[42:43], s[50:51], s[42:43]
	v_mov_b64_e32 v[20:21], s[46:47]
	s_mov_b64 s[46:47], s[48:49]
	s_andn2_b64 exec, exec, s[42:43]
	s_cbranch_execz .LBB189_301
.LBB189_299:                            ; =>This Inner Loop Header: Depth=1
	s_or_b64 s[44:45], s[44:45], exec
	s_cmp_eq_u64 s[26:27], s[46:47]
	s_cbranch_scc0 .LBB189_297
; %bb.300:                              ;   in Loop: Header=BB189_299 Depth=1
                                        ; implicit-def: $sgpr48_sgpr49
	s_mov_b64 s[46:47], s[26:27]
	s_branch .LBB189_298
.LBB189_301:
	s_or_b64 exec, exec, s[42:43]
	v_cmp_gt_i64_e32 vcc, s[26:27], v[20:21]
	s_orn2_b64 s[42:43], vcc, exec
.LBB189_302:
	s_or_b64 exec, exec, s[36:37]
.LBB189_303:
	s_and_b64 s[36:37], s[42:43], exec
.LBB189_304:
	s_or_b64 exec, exec, s[40:41]
	v_cndmask_b32_e64 v17, 0, 1, s[18:19]
	v_cndmask_b32_e64 v16, 0, 1, s[38:39]
	;; [unrolled: 1-line block ×3, first 2 shown]
	v_lshlrev_b16_e32 v17, 8, v17
	v_cndmask_b32_e64 v31, 0, 1, s[14:15]
	v_cndmask_b32_e64 v18, 0, 1, s[36:37]
	v_or_b32_sdwa v16, v16, v17 dst_sel:WORD_1 dst_unused:UNUSED_PAD src0_sel:DWORD src1_sel:DWORD
	v_lshlrev_b16_e32 v17, 8, v32
	v_lshlrev_b16_e32 v18, 8, v18
	v_or_b32_e32 v17, v31, v17
	v_or_b32_e32 v18, 1, v18
	v_and_b32_e32 v17, 0xffff, v17
	v_cndmask_b32_e64 v33, 0, 1, s[4:5]
	v_or_b32_sdwa v16, v18, v16 dst_sel:DWORD dst_unused:UNUSED_PAD src0_sel:WORD_0 src1_sel:DWORD
	v_lshl_or_b32 v17, v33, 16, v17
	v_cmp_ne_u32_e32 vcc, 0, v0
	s_waitcnt lgkmcnt(0)
	s_barrier
	s_waitcnt lgkmcnt(0)
                                        ; implicit-def: $sgpr18_sgpr19
                                        ; implicit-def: $vgpr20
	s_and_saveexec_b64 s[4:5], vcc
	s_cbranch_execz .LBB189_317
; %bb.305:
	v_cmp_gt_u32_e32 vcc, s3, v1
	s_mov_b32 s33, 0x3020104
	s_mov_b64 s[14:15], 0
	s_and_saveexec_b64 s[12:13], vcc
	s_cbranch_execz .LBB189_316
; %bb.306:
	s_andn2_b64 vcc, exec, s[6:7]
	s_cbranch_vccnz .LBB189_315
; %bb.307:
	v_add_u32_e32 v17, -8, v30
	ds_read_b64 v[18:19], v17
	v_mov_b64_e32 v[20:21], s[28:29]
	s_mov_b64 s[14:15], -1
	s_waitcnt lgkmcnt(0)
	v_mul_lo_u32 v17, v18, s27
	v_mul_lo_u32 v22, v19, s26
	v_mad_u64_u32 v[18:19], s[6:7], v18, s26, v[20:21]
	v_add3_u32 v19, v22, v19, v17
	v_mad_u64_u32 v[20:21], s[6:7], v10, s26, v[20:21]
	v_mul_lo_u32 v17, v10, s27
	v_mul_lo_u32 v22, v11, s26
	v_add3_u32 v21, v22, v21, v17
	global_load_ubyte v17, v[18:19], off
	global_load_ubyte v22, v[20:21], off
	s_waitcnt vmcnt(0)
	v_cmp_eq_u16_e32 vcc, v17, v22
	s_and_saveexec_b64 s[6:7], vcc
	s_cbranch_execz .LBB189_314
; %bb.308:
	s_mov_b64 s[28:29], 1
	s_mov_b64 s[14:15], 0
                                        ; implicit-def: $sgpr18_sgpr19
	s_branch .LBB189_311
.LBB189_309:                            ;   in Loop: Header=BB189_311 Depth=1
	v_lshl_add_u64 v[22:23], v[18:19], 0, s[28:29]
	v_lshl_add_u64 v[34:35], v[20:21], 0, s[28:29]
	global_load_ubyte v17, v[22:23], off
	global_load_ubyte v30, v[34:35], off
	s_add_u32 s36, s28, 1
	s_addc_u32 s37, s29, 0
	s_andn2_b64 s[18:19], s[18:19], exec
	s_waitcnt vmcnt(0)
	v_cmp_ne_u16_e32 vcc, v17, v30
	s_and_b64 s[38:39], vcc, exec
	s_or_b64 s[18:19], s[18:19], s[38:39]
.LBB189_310:                            ;   in Loop: Header=BB189_311 Depth=1
	s_and_b64 s[38:39], exec, s[18:19]
	s_or_b64 s[14:15], s[38:39], s[14:15]
	v_mov_b64_e32 v[22:23], s[28:29]
	s_mov_b64 s[28:29], s[36:37]
	s_andn2_b64 exec, exec, s[14:15]
	s_cbranch_execz .LBB189_313
.LBB189_311:                            ; =>This Inner Loop Header: Depth=1
	s_or_b64 s[18:19], s[18:19], exec
	s_cmp_eq_u64 s[26:27], s[28:29]
	s_cbranch_scc0 .LBB189_309
; %bb.312:                              ;   in Loop: Header=BB189_311 Depth=1
                                        ; implicit-def: $sgpr36_sgpr37
	s_mov_b64 s[28:29], s[26:27]
	s_branch .LBB189_310
.LBB189_313:
	s_or_b64 exec, exec, s[14:15]
	v_cmp_gt_i64_e32 vcc, s[26:27], v[22:23]
	s_orn2_b64 s[14:15], vcc, exec
.LBB189_314:
	s_or_b64 exec, exec, s[6:7]
.LBB189_315:
	s_and_b64 s[14:15], s[14:15], exec
.LBB189_316:
	s_or_b64 exec, exec, s[12:13]
	v_perm_b32 v20, v16, v16, s33
	s_and_b64 s[18:19], s[14:15], exec
	s_or_b64 s[10:11], s[10:11], exec
                                        ; implicit-def: $vgpr16_vgpr17
.LBB189_317:
	s_or_b64 exec, exec, s[4:5]
.LBB189_318:
	s_and_saveexec_b64 s[4:5], s[10:11]
	s_cbranch_execz .LBB189_320
; %bb.319:
	v_lshlrev_b16_e32 v17, 8, v32
	s_waitcnt lgkmcnt(0)
	v_and_b32_e32 v18, 0xff, v33
	v_or_b32_sdwa v17, v31, v17 dst_sel:DWORD dst_unused:UNUSED_PAD src0_sel:BYTE_0 src1_sel:DWORD
	v_lshlrev_b32_e32 v18, 16, v18
	s_movk_i32 s6, 0xff
	v_or_b32_sdwa v17, v17, v18 dst_sel:DWORD dst_unused:UNUSED_PAD src0_sel:WORD_0 src1_sel:DWORD
	v_lshrrev_b32_e32 v18, 24, v20
	v_lshlrev_b16_e32 v18, 8, v18
	v_and_b32_sdwa v19, v20, s6 dst_sel:DWORD dst_unused:UNUSED_PAD src0_sel:WORD_1 src1_sel:DWORD
	v_or_b32_sdwa v18, v19, v18 dst_sel:WORD_1 dst_unused:UNUSED_PAD src0_sel:DWORD src1_sel:DWORD
	v_mov_b32_e32 v19, 8
	v_cndmask_b32_e64 v16, 0, 1, s[18:19]
	v_lshrrev_b32_sdwa v19, v19, v20 dst_sel:BYTE_1 dst_unused:UNUSED_PAD src0_sel:DWORD src1_sel:DWORD
	s_nop 0
	v_or_b32_e32 v16, v16, v19
	v_or_b32_sdwa v16, v16, v18 dst_sel:DWORD dst_unused:UNUSED_PAD src0_sel:WORD_0 src1_sel:DWORD
.LBB189_320:
	s_or_b64 exec, exec, s[4:5]
	s_andn2_b64 vcc, exec, s[8:9]
	s_cbranch_vccnz .LBB189_322
; %bb.321:
	s_waitcnt lgkmcnt(0)
	v_and_b32_e32 v18, 0xffff0000, v16
	v_cmp_gt_u32_e32 vcc, s3, v1
	s_mov_b32 s4, 0x40c0100
	s_nop 0
	v_cndmask_b32_e32 v1, v18, v16, vcc
	v_and_b32_e32 v1, 0xffff00ff, v1
	v_cmp_gt_u32_e32 vcc, s3, v25
	s_nop 1
	v_cndmask_b32_e32 v1, v1, v16, vcc
	v_lshrrev_b32_e32 v18, 24, v1
	v_perm_b32 v1, v18, v1, s4
	v_cmp_gt_u32_e32 vcc, s3, v24
	v_and_b32_e32 v18, 0xffffff00, v17
	s_nop 0
	v_cndmask_b32_e32 v1, v1, v16, vcc
	v_and_b32_e32 v1, 0xffffff, v1
	v_cmp_gt_u32_e32 vcc, s3, v28
	s_nop 1
	v_cndmask_b32_e32 v1, v1, v16, vcc
	v_cmp_gt_u32_e32 vcc, s3, v26
	s_nop 1
	v_cndmask_b32_e32 v18, v18, v17, vcc
	v_and_b32_e32 v18, 0xffff00ff, v18
	v_cndmask_b32_e32 v1, v1, v16, vcc
	v_cmp_gt_u32_e32 vcc, s3, v29
	s_nop 1
	v_cndmask_b32_e32 v18, v18, v17, vcc
	v_lshrrev_b32_e32 v19, 24, v18
	v_cndmask_b32_e32 v1, v1, v16, vcc
	v_perm_b32 v18, v19, v18, s4
	v_cmp_gt_u32_e32 vcc, s3, v27
	s_mov_b32 s3, 0x3020104
	s_nop 0
	v_cndmask_b32_e32 v1, v1, v16, vcc
	v_cndmask_b32_e32 v16, v18, v17, vcc
	v_mov_b32_e32 v17, 8
	v_lshrrev_b32_sdwa v17, v17, v16 dst_sel:BYTE_1 dst_unused:UNUSED_PAD src0_sel:DWORD src1_sel:DWORD
	s_nop 0
	v_or_b32_sdwa v17, v16, v17 dst_sel:DWORD dst_unused:UNUSED_PAD src0_sel:BYTE_0 src1_sel:DWORD
	v_and_b32_e32 v17, 0xffff, v17
	v_bfe_u32 v16, v16, 16, 8
	v_lshl_or_b32 v17, v16, 16, v17
	v_perm_b32 v16, v1, v1, s3
.LBB189_322:
	v_and_b32_e32 v1, 0xff, v16
	v_bfe_u32 v29, v16, 8, 8
	v_bfe_u32 v31, v16, 16, 8
	s_waitcnt lgkmcnt(0)
	v_alignbit_b32 v18, v17, v16, 24
	v_and_b32_e32 v33, 0xff, v18
	v_and_b32_e32 v35, 0xff, v17
	v_add3_u32 v19, v29, v1, v31
	v_bfe_u32 v36, v17, 8, 8
	v_bfe_u32 v18, v17, 16, 8
	v_add3_u32 v19, v19, v33, v35
	v_add3_u32 v39, v19, v36, v18
	v_mbcnt_lo_u32_b32 v18, -1, 0
	v_mbcnt_hi_u32_b32 v37, -1, v18
	v_and_b32_e32 v18, 15, v37
	v_cmp_eq_u32_e64 s[14:15], 0, v18
	v_cmp_lt_u32_e64 s[12:13], 1, v18
	v_cmp_lt_u32_e64 s[10:11], 3, v18
	;; [unrolled: 1-line block ×3, first 2 shown]
	v_and_b32_e32 v18, 16, v37
	v_cmp_eq_u32_e64 s[6:7], 0, v18
	v_or_b32_e32 v18, 63, v0
	v_cmp_lt_u32_e64 s[18:19], 31, v37
	v_lshrrev_b32_e32 v38, 6, v0
	v_cmp_eq_u32_e64 s[4:5], v18, v0
	s_and_b64 vcc, exec, s[16:17]
	s_barrier
	s_cbranch_vccz .LBB189_353
; %bb.323:
	v_mov_b32_dpp v18, v39 row_shr:1 row_mask:0xf bank_mask:0xf
	v_cndmask_b32_e64 v18, v18, 0, s[14:15]
	v_add_u32_e32 v18, v18, v39
	s_nop 1
	v_mov_b32_dpp v19, v18 row_shr:2 row_mask:0xf bank_mask:0xf
	v_cndmask_b32_e64 v19, 0, v19, s[12:13]
	v_add_u32_e32 v18, v18, v19
	s_nop 1
	;; [unrolled: 4-line block ×4, first 2 shown]
	v_mov_b32_dpp v19, v18 row_bcast:15 row_mask:0xf bank_mask:0xf
	v_cndmask_b32_e64 v19, v19, 0, s[6:7]
	v_add_u32_e32 v18, v18, v19
	s_nop 1
	v_mov_b32_dpp v19, v18 row_bcast:31 row_mask:0xf bank_mask:0xf
	v_cndmask_b32_e64 v19, 0, v19, s[18:19]
	v_add_u32_e32 v18, v18, v19
	s_and_saveexec_b64 s[16:17], s[4:5]
	s_cbranch_execz .LBB189_325
; %bb.324:
	v_lshlrev_b32_e32 v19, 2, v38
	ds_write_b32 v19, v18
.LBB189_325:
	s_or_b64 exec, exec, s[16:17]
	v_cmp_gt_u32_e32 vcc, 8, v0
	s_waitcnt lgkmcnt(0)
	s_barrier
	s_and_saveexec_b64 s[16:17], vcc
	s_cbranch_execz .LBB189_327
; %bb.326:
	v_lshlrev_b32_e32 v19, 2, v0
	ds_read_b32 v20, v19
	v_and_b32_e32 v21, 7, v37
	v_cmp_ne_u32_e32 vcc, 0, v21
	s_waitcnt lgkmcnt(0)
	v_mov_b32_dpp v22, v20 row_shr:1 row_mask:0xf bank_mask:0xf
	v_cndmask_b32_e32 v22, 0, v22, vcc
	v_add_u32_e32 v20, v22, v20
	v_cmp_lt_u32_e32 vcc, 1, v21
	s_nop 0
	v_mov_b32_dpp v22, v20 row_shr:2 row_mask:0xf bank_mask:0xf
	v_cndmask_b32_e32 v22, 0, v22, vcc
	v_add_u32_e32 v20, v20, v22
	v_cmp_lt_u32_e32 vcc, 3, v21
	s_nop 0
	v_mov_b32_dpp v22, v20 row_shr:4 row_mask:0xf bank_mask:0xf
	v_cndmask_b32_e32 v21, 0, v22, vcc
	v_add_u32_e32 v20, v20, v21
	ds_write_b32 v19, v20
.LBB189_327:
	s_or_b64 exec, exec, s[16:17]
	v_cmp_gt_u32_e32 vcc, 64, v0
	v_cmp_lt_u32_e64 s[16:17], 63, v0
	s_waitcnt lgkmcnt(0)
	s_barrier
	s_waitcnt lgkmcnt(0)
                                        ; implicit-def: $vgpr28
	s_and_saveexec_b64 s[26:27], s[16:17]
	s_cbranch_execz .LBB189_329
; %bb.328:
	v_lshl_add_u32 v19, v38, 2, -4
	ds_read_b32 v28, v19
	s_waitcnt lgkmcnt(0)
	v_add_u32_e32 v18, v28, v18
.LBB189_329:
	s_or_b64 exec, exec, s[26:27]
	v_add_u32_e32 v19, -1, v37
	v_and_b32_e32 v20, 64, v37
	v_cmp_lt_i32_e64 s[16:17], v19, v20
	s_nop 1
	v_cndmask_b32_e64 v19, v19, v37, s[16:17]
	v_lshlrev_b32_e32 v19, 2, v19
	ds_bpermute_b32 v30, v19, v18
	v_cmp_eq_u32_e64 s[16:17], 0, v37
	s_and_saveexec_b64 s[26:27], vcc
	s_cbranch_execz .LBB189_352
; %bb.330:
	v_mov_b32_e32 v27, 0
	ds_read_b32 v18, v27 offset:28
	s_and_saveexec_b64 s[28:29], s[16:17]
	s_cbranch_execz .LBB189_332
; %bb.331:
	s_add_i32 s36, s2, 64
	s_mov_b32 s37, 0
	s_lshl_b64 s[36:37], s[36:37], 3
	s_add_u32 s36, s30, s36
	v_mov_b32_e32 v19, 1
	s_addc_u32 s37, s31, s37
	s_waitcnt lgkmcnt(0)
	global_store_dwordx2 v27, v[18:19], s[36:37] sc1
.LBB189_332:
	s_or_b64 exec, exec, s[28:29]
	v_xad_u32 v20, v37, -1, s2
	v_add_u32_e32 v26, 64, v20
	v_lshl_add_u64 v[22:23], v[26:27], 3, s[30:31]
	global_load_dwordx2 v[24:25], v[22:23], off sc1
	s_waitcnt vmcnt(0)
	v_cmp_eq_u16_sdwa s[36:37], v25, v27 src0_sel:BYTE_0 src1_sel:DWORD
	s_and_saveexec_b64 s[28:29], s[36:37]
	s_cbranch_execz .LBB189_338
; %bb.333:
	s_mov_b32 s3, 1
	s_mov_b64 s[36:37], 0
	v_mov_b32_e32 v19, 0
.LBB189_334:                            ; =>This Loop Header: Depth=1
                                        ;     Child Loop BB189_335 Depth 2
	s_max_u32 s33, s3, 1
.LBB189_335:                            ;   Parent Loop BB189_334 Depth=1
                                        ; =>  This Inner Loop Header: Depth=2
	s_add_i32 s33, s33, -1
	s_cmp_eq_u32 s33, 0
	s_sleep 1
	s_cbranch_scc0 .LBB189_335
; %bb.336:                              ;   in Loop: Header=BB189_334 Depth=1
	global_load_dwordx2 v[24:25], v[22:23], off sc1
	s_cmp_lt_u32 s3, 32
	s_cselect_b64 s[38:39], -1, 0
	s_cmp_lg_u64 s[38:39], 0
	s_addc_u32 s3, s3, 0
	s_waitcnt vmcnt(0)
	v_cmp_ne_u16_sdwa s[38:39], v25, v19 src0_sel:BYTE_0 src1_sel:DWORD
	s_or_b64 s[36:37], s[38:39], s[36:37]
	s_andn2_b64 exec, exec, s[36:37]
	s_cbranch_execnz .LBB189_334
; %bb.337:
	s_or_b64 exec, exec, s[36:37]
.LBB189_338:
	s_or_b64 exec, exec, s[28:29]
	v_and_b32_e32 v32, 63, v37
	v_mov_b32_e32 v19, 2
	v_cmp_ne_u32_e32 vcc, 63, v32
	v_cmp_eq_u16_sdwa s[28:29], v25, v19 src0_sel:BYTE_0 src1_sel:DWORD
	v_lshlrev_b64 v[22:23], v37, -1
	v_addc_co_u32_e32 v27, vcc, 0, v37, vcc
	v_and_b32_e32 v21, s29, v23
	v_lshlrev_b32_e32 v34, 2, v27
	v_or_b32_e32 v21, 0x80000000, v21
	ds_bpermute_b32 v27, v34, v24
	v_and_b32_e32 v26, s28, v22
	v_ffbl_b32_e32 v21, v21
	v_add_u32_e32 v21, 32, v21
	v_ffbl_b32_e32 v26, v26
	v_min_u32_e32 v21, v26, v21
	v_cmp_lt_u32_e32 vcc, v32, v21
	v_add_u32_e32 v41, 2, v32
	v_add_u32_e32 v43, 4, v32
	s_waitcnt lgkmcnt(0)
	v_cndmask_b32_e32 v26, 0, v27, vcc
	v_cmp_gt_u32_e32 vcc, 62, v32
	v_add_u32_e32 v24, v26, v24
	v_add_u32_e32 v45, 8, v32
	v_cndmask_b32_e64 v26, 0, 1, vcc
	v_lshlrev_b32_e32 v26, 1, v26
	v_add_lshl_u32 v40, v26, v37, 2
	ds_bpermute_b32 v26, v40, v24
	v_cmp_le_u32_e32 vcc, v41, v21
	v_add_u32_e32 v48, 16, v32
	v_add_u32_e32 v50, 32, v32
	s_waitcnt lgkmcnt(0)
	v_cndmask_b32_e32 v26, 0, v26, vcc
	v_cmp_gt_u32_e32 vcc, 60, v32
	v_add_u32_e32 v24, v24, v26
	s_nop 0
	v_cndmask_b32_e64 v26, 0, 1, vcc
	v_lshlrev_b32_e32 v26, 2, v26
	v_add_lshl_u32 v42, v26, v37, 2
	ds_bpermute_b32 v26, v42, v24
	v_cmp_le_u32_e32 vcc, v43, v21
	s_waitcnt lgkmcnt(0)
	s_nop 0
	v_cndmask_b32_e32 v26, 0, v26, vcc
	v_cmp_gt_u32_e32 vcc, 56, v32
	v_add_u32_e32 v24, v24, v26
	s_nop 0
	v_cndmask_b32_e64 v26, 0, 1, vcc
	v_lshlrev_b32_e32 v26, 3, v26
	v_add_lshl_u32 v44, v26, v37, 2
	ds_bpermute_b32 v26, v44, v24
	v_cmp_le_u32_e32 vcc, v45, v21
	s_waitcnt lgkmcnt(0)
	s_nop 0
	;; [unrolled: 11-line block ×4, first 2 shown]
	v_cndmask_b32_e32 v21, 0, v26, vcc
	v_add_u32_e32 v24, v24, v21
	v_mov_b32_e32 v21, 0
	s_branch .LBB189_340
.LBB189_339:                            ;   in Loop: Header=BB189_340 Depth=1
	s_or_b64 exec, exec, s[28:29]
	v_cmp_eq_u16_sdwa s[28:29], v25, v19 src0_sel:BYTE_0 src1_sel:DWORD
	ds_bpermute_b32 v51, v34, v24
	v_subrev_u32_e32 v20, 64, v20
	v_and_b32_e32 v26, s29, v23
	v_or_b32_e32 v26, 0x80000000, v26
	v_and_b32_e32 v27, s28, v22
	v_ffbl_b32_e32 v26, v26
	v_add_u32_e32 v26, 32, v26
	v_ffbl_b32_e32 v27, v27
	v_min_u32_e32 v26, v27, v26
	v_cmp_lt_u32_e32 vcc, v32, v26
	s_waitcnt lgkmcnt(0)
	s_nop 0
	v_cndmask_b32_e32 v27, 0, v51, vcc
	v_add_u32_e32 v24, v27, v24
	ds_bpermute_b32 v27, v40, v24
	v_cmp_le_u32_e32 vcc, v41, v26
	s_waitcnt lgkmcnt(0)
	s_nop 0
	v_cndmask_b32_e32 v27, 0, v27, vcc
	v_add_u32_e32 v24, v24, v27
	ds_bpermute_b32 v27, v42, v24
	v_cmp_le_u32_e32 vcc, v43, v26
	s_waitcnt lgkmcnt(0)
	s_nop 0
	v_cndmask_b32_e32 v27, 0, v27, vcc
	v_add_u32_e32 v24, v24, v27
	ds_bpermute_b32 v27, v44, v24
	v_cmp_le_u32_e32 vcc, v45, v26
	s_waitcnt lgkmcnt(0)
	s_nop 0
	v_cndmask_b32_e32 v27, 0, v27, vcc
	v_add_u32_e32 v24, v24, v27
	ds_bpermute_b32 v27, v47, v24
	v_cmp_le_u32_e32 vcc, v48, v26
	s_waitcnt lgkmcnt(0)
	s_nop 0
	v_cndmask_b32_e32 v27, 0, v27, vcc
	v_add_u32_e32 v24, v24, v27
	ds_bpermute_b32 v27, v49, v24
	v_cmp_le_u32_e32 vcc, v50, v26
	s_waitcnt lgkmcnt(0)
	s_nop 0
	v_cndmask_b32_e32 v26, 0, v27, vcc
	v_add3_u32 v24, v26, v46, v24
.LBB189_340:                            ; =>This Loop Header: Depth=1
                                        ;     Child Loop BB189_343 Depth 2
                                        ;       Child Loop BB189_344 Depth 3
	v_cmp_ne_u16_sdwa s[28:29], v25, v19 src0_sel:BYTE_0 src1_sel:DWORD
	v_mov_b32_e32 v46, v24
	s_nop 0
	v_cndmask_b32_e64 v25, 0, 1, s[28:29]
	;;#ASMSTART
	;;#ASMEND
	s_nop 0
	v_cmp_ne_u32_e32 vcc, 0, v25
	s_cmp_lg_u64 vcc, exec
	s_cbranch_scc1 .LBB189_347
; %bb.341:                              ;   in Loop: Header=BB189_340 Depth=1
	v_lshl_add_u64 v[26:27], v[20:21], 3, s[30:31]
	global_load_dwordx2 v[24:25], v[26:27], off sc1
	s_waitcnt vmcnt(0)
	v_cmp_eq_u16_sdwa s[36:37], v25, v21 src0_sel:BYTE_0 src1_sel:DWORD
	s_and_saveexec_b64 s[28:29], s[36:37]
	s_cbranch_execz .LBB189_339
; %bb.342:                              ;   in Loop: Header=BB189_340 Depth=1
	s_mov_b32 s3, 1
	s_mov_b64 s[36:37], 0
.LBB189_343:                            ;   Parent Loop BB189_340 Depth=1
                                        ; =>  This Loop Header: Depth=2
                                        ;       Child Loop BB189_344 Depth 3
	s_max_u32 s33, s3, 1
.LBB189_344:                            ;   Parent Loop BB189_340 Depth=1
                                        ;     Parent Loop BB189_343 Depth=2
                                        ; =>    This Inner Loop Header: Depth=3
	s_add_i32 s33, s33, -1
	s_cmp_eq_u32 s33, 0
	s_sleep 1
	s_cbranch_scc0 .LBB189_344
; %bb.345:                              ;   in Loop: Header=BB189_343 Depth=2
	global_load_dwordx2 v[24:25], v[26:27], off sc1
	s_cmp_lt_u32 s3, 32
	s_cselect_b64 s[38:39], -1, 0
	s_cmp_lg_u64 s[38:39], 0
	s_addc_u32 s3, s3, 0
	s_waitcnt vmcnt(0)
	v_cmp_ne_u16_sdwa s[38:39], v25, v21 src0_sel:BYTE_0 src1_sel:DWORD
	s_or_b64 s[36:37], s[38:39], s[36:37]
	s_andn2_b64 exec, exec, s[36:37]
	s_cbranch_execnz .LBB189_343
; %bb.346:                              ;   in Loop: Header=BB189_340 Depth=1
	s_or_b64 exec, exec, s[36:37]
	s_branch .LBB189_339
.LBB189_347:                            ;   in Loop: Header=BB189_340 Depth=1
                                        ; implicit-def: $vgpr24
                                        ; implicit-def: $vgpr25
	s_cbranch_execz .LBB189_340
; %bb.348:
	s_and_saveexec_b64 s[28:29], s[16:17]
	s_cbranch_execz .LBB189_350
; %bb.349:
	s_add_i32 s2, s2, 64
	s_mov_b32 s3, 0
	s_lshl_b64 s[2:3], s[2:3], 3
	s_add_u32 s2, s30, s2
	v_add_u32_e32 v20, v46, v18
	v_mov_b32_e32 v21, 2
	s_addc_u32 s3, s31, s3
	v_mov_b32_e32 v19, 0
	global_store_dwordx2 v19, v[20:21], s[2:3] sc1
	s_movk_i32 s2, 0x7000
	v_add_u32_e64 v19, s2, 0
	ds_write2_b32 v19, v18, v46 offset1:2
.LBB189_350:
	s_or_b64 exec, exec, s[28:29]
	v_cmp_eq_u32_e32 vcc, 0, v0
	s_and_b64 exec, exec, vcc
	s_cbranch_execz .LBB189_352
; %bb.351:
	v_mov_b32_e32 v18, 0
	ds_write_b32 v18, v46 offset:28
.LBB189_352:
	s_or_b64 exec, exec, s[26:27]
	v_mov_b32_e32 v18, 0
	s_waitcnt lgkmcnt(0)
	s_barrier
	ds_read_b32 v18, v18 offset:28
	v_cndmask_b32_e64 v19, v30, v28, s[16:17]
	v_cmp_ne_u32_e32 vcc, 0, v0
	s_movk_i32 s2, 0x7000
	s_waitcnt lgkmcnt(0)
	v_cndmask_b32_e32 v19, 0, v19, vcc
	v_add_u32_e32 v34, v18, v19
	v_add_u32_e32 v32, v34, v1
	v_add_u32_e64 v18, s2, 0
	v_add_u32_e32 v30, v32, v29
	s_barrier
	ds_read2_b32 v[18:19], v18 offset1:2
	v_add_u32_e32 v28, v30, v31
	v_add_u32_e32 v26, v28, v33
	;; [unrolled: 1-line block ×4, first 2 shown]
	s_load_dwordx2 s[2:3], s[0:1], 0x28
	v_lshrrev_b64 v[20:21], 24, v[16:17]
	s_branch .LBB189_363
.LBB189_353:
                                        ; implicit-def: $vgpr22
                                        ; implicit-def: $vgpr24
                                        ; implicit-def: $vgpr26
                                        ; implicit-def: $vgpr28
                                        ; implicit-def: $vgpr30
                                        ; implicit-def: $vgpr32
                                        ; implicit-def: $vgpr34
                                        ; implicit-def: $vgpr19
	s_load_dwordx2 s[2:3], s[0:1], 0x28
	v_lshrrev_b64 v[20:21], 24, v[16:17]
	s_cbranch_execz .LBB189_363
; %bb.354:
	s_waitcnt lgkmcnt(0)
	v_mov_b32_dpp v18, v39 row_shr:1 row_mask:0xf bank_mask:0xf
	v_cndmask_b32_e64 v18, v18, 0, s[14:15]
	v_add_u32_e32 v18, v18, v39
	s_nop 1
	v_mov_b32_dpp v19, v18 row_shr:2 row_mask:0xf bank_mask:0xf
	v_cndmask_b32_e64 v19, 0, v19, s[12:13]
	v_add_u32_e32 v18, v18, v19
	s_nop 1
	;; [unrolled: 4-line block ×4, first 2 shown]
	v_mov_b32_dpp v19, v18 row_bcast:15 row_mask:0xf bank_mask:0xf
	v_cndmask_b32_e64 v19, v19, 0, s[6:7]
	v_add_u32_e32 v18, v18, v19
	s_nop 1
	v_mov_b32_dpp v19, v18 row_bcast:31 row_mask:0xf bank_mask:0xf
	v_cndmask_b32_e64 v19, 0, v19, s[18:19]
	v_add_u32_e32 v18, v18, v19
	s_and_saveexec_b64 s[0:1], s[4:5]
	s_cbranch_execz .LBB189_356
; %bb.355:
	v_lshlrev_b32_e32 v19, 2, v38
	ds_write_b32 v19, v18
.LBB189_356:
	s_or_b64 exec, exec, s[0:1]
	v_cmp_gt_u32_e32 vcc, 8, v0
	s_waitcnt lgkmcnt(0)
	s_barrier
	s_and_saveexec_b64 s[0:1], vcc
	s_cbranch_execz .LBB189_358
; %bb.357:
	v_lshlrev_b32_e32 v19, 2, v0
	ds_read_b32 v21, v19
	v_and_b32_e32 v22, 7, v37
	v_cmp_ne_u32_e32 vcc, 0, v22
	s_waitcnt lgkmcnt(0)
	v_mov_b32_dpp v23, v21 row_shr:1 row_mask:0xf bank_mask:0xf
	v_cndmask_b32_e32 v23, 0, v23, vcc
	v_add_u32_e32 v21, v23, v21
	v_cmp_lt_u32_e32 vcc, 1, v22
	s_nop 0
	v_mov_b32_dpp v23, v21 row_shr:2 row_mask:0xf bank_mask:0xf
	v_cndmask_b32_e32 v23, 0, v23, vcc
	v_add_u32_e32 v21, v21, v23
	v_cmp_lt_u32_e32 vcc, 3, v22
	s_nop 0
	v_mov_b32_dpp v23, v21 row_shr:4 row_mask:0xf bank_mask:0xf
	v_cndmask_b32_e32 v22, 0, v23, vcc
	v_add_u32_e32 v21, v21, v22
	ds_write_b32 v19, v21
.LBB189_358:
	s_or_b64 exec, exec, s[0:1]
	v_cmp_lt_u32_e32 vcc, 63, v0
	v_mov_b32_e32 v19, 0
	v_mov_b32_e32 v21, 0
	s_waitcnt lgkmcnt(0)
	s_barrier
	s_and_saveexec_b64 s[0:1], vcc
	s_cbranch_execz .LBB189_360
; %bb.359:
	v_lshl_add_u32 v21, v38, 2, -4
	ds_read_b32 v21, v21
.LBB189_360:
	s_or_b64 exec, exec, s[0:1]
	v_add_u32_e32 v22, -1, v37
	v_and_b32_e32 v23, 64, v37
	v_cmp_lt_i32_e32 vcc, v22, v23
	s_waitcnt lgkmcnt(0)
	v_add_u32_e32 v18, v21, v18
	v_cndmask_b32_e32 v22, v22, v37, vcc
	v_lshlrev_b32_e32 v22, 2, v22
	ds_bpermute_b32 v22, v22, v18
	ds_read_b32 v18, v19 offset:28
	v_cmp_eq_u32_e32 vcc, 0, v0
	s_and_saveexec_b64 s[0:1], vcc
	s_cbranch_execz .LBB189_362
; %bb.361:
	v_mov_b32_e32 v23, 0
	v_mov_b32_e32 v19, 2
	s_waitcnt lgkmcnt(0)
	global_store_dwordx2 v23, v[18:19], s[30:31] offset:512 sc1
.LBB189_362:
	s_or_b64 exec, exec, s[0:1]
	v_cmp_eq_u32_e64 s[0:1], 0, v37
	v_mov_b32_e32 v19, 0
	s_waitcnt lgkmcnt(0)
	v_cndmask_b32_e64 v21, v22, v21, s[0:1]
	v_cndmask_b32_e64 v34, v21, 0, vcc
	v_add_u32_e32 v32, v34, v1
	v_add_u32_e32 v30, v32, v29
	;; [unrolled: 1-line block ×6, first 2 shown]
	s_barrier
.LBB189_363:
	s_movk_i32 s0, 0x201
	s_waitcnt lgkmcnt(0)
	v_cmp_gt_u32_e32 vcc, s0, v18
	v_lshrrev_b32_e32 v21, 8, v16
	v_lshrrev_b32_e32 v1, 8, v17
	s_mov_b64 s[0:1], -1
	s_cbranch_vccnz .LBB189_367
; %bb.364:
	s_and_b64 vcc, exec, s[0:1]
	s_cbranch_vccnz .LBB189_389
.LBB189_365:
	v_cmp_eq_u32_e32 vcc, 0, v0
	s_and_b64 s[0:1], vcc, s[24:25]
	s_and_saveexec_b64 s[2:3], s[0:1]
	s_cbranch_execnz .LBB189_407
.LBB189_366:
	s_endpgm
.LBB189_367:
	v_add_u32_e32 v23, v19, v18
	v_cmp_lt_u32_e32 vcc, v34, v23
	s_or_b64 s[4:5], s[34:35], vcc
	s_and_saveexec_b64 s[0:1], s[4:5]
	s_cbranch_execz .LBB189_370
; %bb.368:
	v_and_b32_e32 v25, 1, v16
	v_cmp_eq_u32_e32 vcc, 1, v25
	s_and_b64 exec, exec, vcc
	s_cbranch_execz .LBB189_370
; %bb.369:
	s_lshl_b64 s[4:5], s[22:23], 3
	s_add_u32 s4, s2, s4
	s_addc_u32 s5, s3, s5
	v_mov_b32_e32 v35, 0
	v_lshl_add_u64 v[36:37], v[34:35], 3, s[4:5]
	global_store_dwordx2 v[36:37], v[10:11], off
.LBB189_370:
	s_or_b64 exec, exec, s[0:1]
	v_cmp_lt_u32_e32 vcc, v32, v23
	s_or_b64 s[4:5], s[34:35], vcc
	s_and_saveexec_b64 s[0:1], s[4:5]
	s_cbranch_execz .LBB189_373
; %bb.371:
	v_and_b32_e32 v25, 1, v21
	v_cmp_eq_u32_e32 vcc, 1, v25
	s_and_b64 exec, exec, vcc
	s_cbranch_execz .LBB189_373
; %bb.372:
	s_lshl_b64 s[4:5], s[22:23], 3
	s_add_u32 s4, s2, s4
	s_addc_u32 s5, s3, s5
	v_mov_b32_e32 v33, 0
	v_lshl_add_u64 v[36:37], v[32:33], 3, s[4:5]
	global_store_dwordx2 v[36:37], v[12:13], off
.LBB189_373:
	s_or_b64 exec, exec, s[0:1]
	v_cmp_lt_u32_e32 vcc, v30, v23
	s_or_b64 s[4:5], s[34:35], vcc
	s_and_saveexec_b64 s[0:1], s[4:5]
	s_cbranch_execz .LBB189_376
; %bb.374:
	v_mov_b32_e32 v25, 1
	v_and_b32_sdwa v25, v25, v16 dst_sel:DWORD dst_unused:UNUSED_PAD src0_sel:DWORD src1_sel:WORD_1
	v_cmp_eq_u32_e32 vcc, 1, v25
	s_and_b64 exec, exec, vcc
	s_cbranch_execz .LBB189_376
; %bb.375:
	s_lshl_b64 s[4:5], s[22:23], 3
	s_add_u32 s4, s2, s4
	s_addc_u32 s5, s3, s5
	v_mov_b32_e32 v31, 0
	v_lshl_add_u64 v[36:37], v[30:31], 3, s[4:5]
	global_store_dwordx2 v[36:37], v[6:7], off
.LBB189_376:
	s_or_b64 exec, exec, s[0:1]
	v_cmp_lt_u32_e32 vcc, v28, v23
	s_or_b64 s[4:5], s[34:35], vcc
	s_and_saveexec_b64 s[0:1], s[4:5]
	s_cbranch_execz .LBB189_379
; %bb.377:
	v_and_b32_e32 v25, 1, v20
	v_cmp_eq_u32_e32 vcc, 1, v25
	s_and_b64 exec, exec, vcc
	s_cbranch_execz .LBB189_379
; %bb.378:
	s_lshl_b64 s[4:5], s[22:23], 3
	s_add_u32 s4, s2, s4
	s_addc_u32 s5, s3, s5
	v_mov_b32_e32 v29, 0
	v_lshl_add_u64 v[36:37], v[28:29], 3, s[4:5]
	global_store_dwordx2 v[36:37], v[8:9], off
.LBB189_379:
	s_or_b64 exec, exec, s[0:1]
	v_cmp_lt_u32_e32 vcc, v26, v23
	s_or_b64 s[4:5], s[34:35], vcc
	s_and_saveexec_b64 s[0:1], s[4:5]
	s_cbranch_execz .LBB189_382
; %bb.380:
	v_and_b32_e32 v25, 1, v17
	v_cmp_eq_u32_e32 vcc, 1, v25
	s_and_b64 exec, exec, vcc
	s_cbranch_execz .LBB189_382
; %bb.381:
	s_lshl_b64 s[4:5], s[22:23], 3
	s_add_u32 s4, s2, s4
	s_addc_u32 s5, s3, s5
	v_mov_b32_e32 v27, 0
	v_lshl_add_u64 v[36:37], v[26:27], 3, s[4:5]
	global_store_dwordx2 v[36:37], v[2:3], off
.LBB189_382:
	;; [unrolled: 18-line block ×3, first 2 shown]
	s_or_b64 exec, exec, s[0:1]
	v_cmp_lt_u32_e32 vcc, v22, v23
	s_or_b64 s[4:5], s[34:35], vcc
	s_and_saveexec_b64 s[0:1], s[4:5]
	s_cbranch_execz .LBB189_388
; %bb.386:
	v_mov_b32_e32 v23, 1
	v_and_b32_sdwa v23, v23, v17 dst_sel:DWORD dst_unused:UNUSED_PAD src0_sel:DWORD src1_sel:WORD_1
	v_cmp_eq_u32_e32 vcc, 1, v23
	s_and_b64 exec, exec, vcc
	s_cbranch_execz .LBB189_388
; %bb.387:
	s_lshl_b64 s[4:5], s[22:23], 3
	s_add_u32 s4, s2, s4
	s_addc_u32 s5, s3, s5
	v_mov_b32_e32 v23, 0
	v_lshl_add_u64 v[36:37], v[22:23], 3, s[4:5]
	global_store_dwordx2 v[36:37], v[14:15], off
.LBB189_388:
	s_or_b64 exec, exec, s[0:1]
	s_branch .LBB189_365
.LBB189_389:
	v_and_b32_e32 v23, 1, v16
	v_cmp_eq_u32_e32 vcc, 1, v23
	s_and_saveexec_b64 s[0:1], vcc
	s_cbranch_execz .LBB189_391
; %bb.390:
	v_sub_u32_e32 v23, v34, v19
	v_lshlrev_b32_e32 v23, 3, v23
	ds_write_b64 v23, v[10:11]
.LBB189_391:
	s_or_b64 exec, exec, s[0:1]
	v_and_b32_e32 v10, 1, v21
	v_cmp_eq_u32_e32 vcc, 1, v10
	s_and_saveexec_b64 s[0:1], vcc
	s_cbranch_execz .LBB189_393
; %bb.392:
	v_sub_u32_e32 v10, v32, v19
	v_lshlrev_b32_e32 v10, 3, v10
	ds_write_b64 v10, v[12:13]
.LBB189_393:
	s_or_b64 exec, exec, s[0:1]
	v_mov_b32_e32 v10, 1
	v_and_b32_sdwa v10, v10, v16 dst_sel:DWORD dst_unused:UNUSED_PAD src0_sel:DWORD src1_sel:WORD_1
	v_cmp_eq_u32_e32 vcc, 1, v10
	s_and_saveexec_b64 s[0:1], vcc
	s_cbranch_execz .LBB189_395
; %bb.394:
	v_sub_u32_e32 v10, v30, v19
	v_lshlrev_b32_e32 v10, 3, v10
	ds_write_b64 v10, v[6:7]
.LBB189_395:
	s_or_b64 exec, exec, s[0:1]
	v_and_b32_e32 v6, 1, v20
	v_cmp_eq_u32_e32 vcc, 1, v6
	s_and_saveexec_b64 s[0:1], vcc
	s_cbranch_execz .LBB189_397
; %bb.396:
	v_sub_u32_e32 v6, v28, v19
	v_lshlrev_b32_e32 v6, 3, v6
	ds_write_b64 v6, v[8:9]
.LBB189_397:
	s_or_b64 exec, exec, s[0:1]
	v_and_b32_e32 v6, 1, v17
	;; [unrolled: 10-line block ×3, first 2 shown]
	v_cmp_eq_u32_e32 vcc, 1, v1
	s_and_saveexec_b64 s[0:1], vcc
	s_cbranch_execz .LBB189_401
; %bb.400:
	v_sub_u32_e32 v1, v24, v19
	v_lshlrev_b32_e32 v1, 3, v1
	ds_write_b64 v1, v[4:5]
.LBB189_401:
	s_or_b64 exec, exec, s[0:1]
	v_mov_b32_e32 v1, 1
	v_and_b32_sdwa v1, v1, v17 dst_sel:DWORD dst_unused:UNUSED_PAD src0_sel:DWORD src1_sel:WORD_1
	v_cmp_eq_u32_e32 vcc, 1, v1
	s_and_saveexec_b64 s[0:1], vcc
	s_cbranch_execz .LBB189_403
; %bb.402:
	v_sub_u32_e32 v1, v22, v19
	v_lshlrev_b32_e32 v1, 3, v1
	ds_write_b64 v1, v[14:15]
.LBB189_403:
	s_or_b64 exec, exec, s[0:1]
	v_cmp_lt_u32_e32 vcc, v0, v18
	s_waitcnt lgkmcnt(0)
	s_barrier
	s_and_saveexec_b64 s[0:1], vcc
	s_cbranch_execz .LBB189_406
; %bb.404:
	v_mov_b32_e32 v5, 0
	v_mov_b32_e32 v4, v19
	s_lshl_b64 s[4:5], s[22:23], 3
	v_lshlrev_b64 v[6:7], 3, v[4:5]
	v_lshl_add_u64 v[6:7], s[4:5], 0, v[6:7]
	v_lshlrev_b32_e32 v2, 3, v0
	v_mov_b32_e32 v3, v5
	v_lshl_add_u64 v[4:5], s[2:3], 0, v[6:7]
	v_lshl_add_u64 v[4:5], v[4:5], 0, v[2:3]
	s_mov_b64 s[2:3], 0
	s_mov_b64 s[4:5], 0x1000
	v_mov_b32_e32 v1, v0
.LBB189_405:                            ; =>This Inner Loop Header: Depth=1
	ds_read_b64 v[6:7], v2
	v_add_u32_e32 v1, 0x200, v1
	v_cmp_ge_u32_e32 vcc, v1, v18
	v_add_u32_e32 v2, 0x1000, v2
	s_or_b64 s[2:3], vcc, s[2:3]
	s_waitcnt lgkmcnt(0)
	global_store_dwordx2 v[4:5], v[6:7], off
	v_lshl_add_u64 v[4:5], v[4:5], 0, s[4:5]
	s_andn2_b64 exec, exec, s[2:3]
	s_cbranch_execnz .LBB189_405
.LBB189_406:
	s_or_b64 exec, exec, s[0:1]
	v_cmp_eq_u32_e32 vcc, 0, v0
	s_and_b64 s[0:1], vcc, s[24:25]
	s_and_saveexec_b64 s[2:3], s[0:1]
	s_cbranch_execz .LBB189_366
.LBB189_407:
	v_mov_b32_e32 v1, 0
	v_mov_b32_e32 v0, v18
	v_lshl_add_u64 v[2:3], s[22:23], 0, v[0:1]
	v_mov_b32_e32 v0, v19
	v_lshl_add_u64 v[2:3], v[2:3], 0, v[0:1]
	global_store_dwordx2 v1, v[2:3], s[20:21]
	s_endpgm
	.section	.rodata,"a",@progbits
	.p2align	6, 0x0
	.amdhsa_kernel _ZN7rocprim17ROCPRIM_400000_NS6detail17trampoline_kernelINS0_14default_configENS1_25partition_config_selectorILNS1_17partition_subalgoE8ElNS0_10empty_typeEbEEZZNS1_14partition_implILS5_8ELb0ES3_jPlPS6_PKS6_NS0_5tupleIJS9_S6_EEENSD_IJSA_SA_EEENS0_18inequality_wrapperIZN2at6native12_GLOBAL__N_124unique_dim_cuda_templateIhEESt5tupleIJNSH_6TensorESM_SM_EERKSM_lbbbEUlllE0_EEPmJS6_EEE10hipError_tPvRmT3_T4_T5_T6_T7_T9_mT8_P12ihipStream_tbDpT10_ENKUlT_T0_E_clISt17integral_constantIbLb1EES1B_IbLb0EEEEDaS17_S18_EUlS17_E_NS1_11comp_targetILNS1_3genE5ELNS1_11target_archE942ELNS1_3gpuE9ELNS1_3repE0EEENS1_30default_config_static_selectorELNS0_4arch9wavefront6targetE1EEEvT1_
		.amdhsa_group_segment_fixed_size 28684
		.amdhsa_private_segment_fixed_size 0
		.amdhsa_kernarg_size 120
		.amdhsa_user_sgpr_count 2
		.amdhsa_user_sgpr_dispatch_ptr 0
		.amdhsa_user_sgpr_queue_ptr 0
		.amdhsa_user_sgpr_kernarg_segment_ptr 1
		.amdhsa_user_sgpr_dispatch_id 0
		.amdhsa_user_sgpr_kernarg_preload_length 0
		.amdhsa_user_sgpr_kernarg_preload_offset 0
		.amdhsa_user_sgpr_private_segment_size 0
		.amdhsa_uses_dynamic_stack 0
		.amdhsa_enable_private_segment 0
		.amdhsa_system_sgpr_workgroup_id_x 1
		.amdhsa_system_sgpr_workgroup_id_y 0
		.amdhsa_system_sgpr_workgroup_id_z 0
		.amdhsa_system_sgpr_workgroup_info 0
		.amdhsa_system_vgpr_workitem_id 0
		.amdhsa_next_free_vgpr 52
		.amdhsa_next_free_sgpr 52
		.amdhsa_accum_offset 52
		.amdhsa_reserve_vcc 1
		.amdhsa_float_round_mode_32 0
		.amdhsa_float_round_mode_16_64 0
		.amdhsa_float_denorm_mode_32 3
		.amdhsa_float_denorm_mode_16_64 3
		.amdhsa_dx10_clamp 1
		.amdhsa_ieee_mode 1
		.amdhsa_fp16_overflow 0
		.amdhsa_tg_split 0
		.amdhsa_exception_fp_ieee_invalid_op 0
		.amdhsa_exception_fp_denorm_src 0
		.amdhsa_exception_fp_ieee_div_zero 0
		.amdhsa_exception_fp_ieee_overflow 0
		.amdhsa_exception_fp_ieee_underflow 0
		.amdhsa_exception_fp_ieee_inexact 0
		.amdhsa_exception_int_div_zero 0
	.end_amdhsa_kernel
	.section	.text._ZN7rocprim17ROCPRIM_400000_NS6detail17trampoline_kernelINS0_14default_configENS1_25partition_config_selectorILNS1_17partition_subalgoE8ElNS0_10empty_typeEbEEZZNS1_14partition_implILS5_8ELb0ES3_jPlPS6_PKS6_NS0_5tupleIJS9_S6_EEENSD_IJSA_SA_EEENS0_18inequality_wrapperIZN2at6native12_GLOBAL__N_124unique_dim_cuda_templateIhEESt5tupleIJNSH_6TensorESM_SM_EERKSM_lbbbEUlllE0_EEPmJS6_EEE10hipError_tPvRmT3_T4_T5_T6_T7_T9_mT8_P12ihipStream_tbDpT10_ENKUlT_T0_E_clISt17integral_constantIbLb1EES1B_IbLb0EEEEDaS17_S18_EUlS17_E_NS1_11comp_targetILNS1_3genE5ELNS1_11target_archE942ELNS1_3gpuE9ELNS1_3repE0EEENS1_30default_config_static_selectorELNS0_4arch9wavefront6targetE1EEEvT1_,"axG",@progbits,_ZN7rocprim17ROCPRIM_400000_NS6detail17trampoline_kernelINS0_14default_configENS1_25partition_config_selectorILNS1_17partition_subalgoE8ElNS0_10empty_typeEbEEZZNS1_14partition_implILS5_8ELb0ES3_jPlPS6_PKS6_NS0_5tupleIJS9_S6_EEENSD_IJSA_SA_EEENS0_18inequality_wrapperIZN2at6native12_GLOBAL__N_124unique_dim_cuda_templateIhEESt5tupleIJNSH_6TensorESM_SM_EERKSM_lbbbEUlllE0_EEPmJS6_EEE10hipError_tPvRmT3_T4_T5_T6_T7_T9_mT8_P12ihipStream_tbDpT10_ENKUlT_T0_E_clISt17integral_constantIbLb1EES1B_IbLb0EEEEDaS17_S18_EUlS17_E_NS1_11comp_targetILNS1_3genE5ELNS1_11target_archE942ELNS1_3gpuE9ELNS1_3repE0EEENS1_30default_config_static_selectorELNS0_4arch9wavefront6targetE1EEEvT1_,comdat
.Lfunc_end189:
	.size	_ZN7rocprim17ROCPRIM_400000_NS6detail17trampoline_kernelINS0_14default_configENS1_25partition_config_selectorILNS1_17partition_subalgoE8ElNS0_10empty_typeEbEEZZNS1_14partition_implILS5_8ELb0ES3_jPlPS6_PKS6_NS0_5tupleIJS9_S6_EEENSD_IJSA_SA_EEENS0_18inequality_wrapperIZN2at6native12_GLOBAL__N_124unique_dim_cuda_templateIhEESt5tupleIJNSH_6TensorESM_SM_EERKSM_lbbbEUlllE0_EEPmJS6_EEE10hipError_tPvRmT3_T4_T5_T6_T7_T9_mT8_P12ihipStream_tbDpT10_ENKUlT_T0_E_clISt17integral_constantIbLb1EES1B_IbLb0EEEEDaS17_S18_EUlS17_E_NS1_11comp_targetILNS1_3genE5ELNS1_11target_archE942ELNS1_3gpuE9ELNS1_3repE0EEENS1_30default_config_static_selectorELNS0_4arch9wavefront6targetE1EEEvT1_, .Lfunc_end189-_ZN7rocprim17ROCPRIM_400000_NS6detail17trampoline_kernelINS0_14default_configENS1_25partition_config_selectorILNS1_17partition_subalgoE8ElNS0_10empty_typeEbEEZZNS1_14partition_implILS5_8ELb0ES3_jPlPS6_PKS6_NS0_5tupleIJS9_S6_EEENSD_IJSA_SA_EEENS0_18inequality_wrapperIZN2at6native12_GLOBAL__N_124unique_dim_cuda_templateIhEESt5tupleIJNSH_6TensorESM_SM_EERKSM_lbbbEUlllE0_EEPmJS6_EEE10hipError_tPvRmT3_T4_T5_T6_T7_T9_mT8_P12ihipStream_tbDpT10_ENKUlT_T0_E_clISt17integral_constantIbLb1EES1B_IbLb0EEEEDaS17_S18_EUlS17_E_NS1_11comp_targetILNS1_3genE5ELNS1_11target_archE942ELNS1_3gpuE9ELNS1_3repE0EEENS1_30default_config_static_selectorELNS0_4arch9wavefront6targetE1EEEvT1_
                                        ; -- End function
	.section	.AMDGPU.csdata,"",@progbits
; Kernel info:
; codeLenInByte = 12152
; NumSgprs: 58
; NumVgprs: 52
; NumAgprs: 0
; TotalNumVgprs: 52
; ScratchSize: 0
; MemoryBound: 0
; FloatMode: 240
; IeeeMode: 1
; LDSByteSize: 28684 bytes/workgroup (compile time only)
; SGPRBlocks: 7
; VGPRBlocks: 6
; NumSGPRsForWavesPerEU: 58
; NumVGPRsForWavesPerEU: 52
; AccumOffset: 52
; Occupancy: 4
; WaveLimiterHint : 1
; COMPUTE_PGM_RSRC2:SCRATCH_EN: 0
; COMPUTE_PGM_RSRC2:USER_SGPR: 2
; COMPUTE_PGM_RSRC2:TRAP_HANDLER: 0
; COMPUTE_PGM_RSRC2:TGID_X_EN: 1
; COMPUTE_PGM_RSRC2:TGID_Y_EN: 0
; COMPUTE_PGM_RSRC2:TGID_Z_EN: 0
; COMPUTE_PGM_RSRC2:TIDIG_COMP_CNT: 0
; COMPUTE_PGM_RSRC3_GFX90A:ACCUM_OFFSET: 12
; COMPUTE_PGM_RSRC3_GFX90A:TG_SPLIT: 0
	.section	.text._ZN7rocprim17ROCPRIM_400000_NS6detail17trampoline_kernelINS0_14default_configENS1_25partition_config_selectorILNS1_17partition_subalgoE8ElNS0_10empty_typeEbEEZZNS1_14partition_implILS5_8ELb0ES3_jPlPS6_PKS6_NS0_5tupleIJS9_S6_EEENSD_IJSA_SA_EEENS0_18inequality_wrapperIZN2at6native12_GLOBAL__N_124unique_dim_cuda_templateIhEESt5tupleIJNSH_6TensorESM_SM_EERKSM_lbbbEUlllE0_EEPmJS6_EEE10hipError_tPvRmT3_T4_T5_T6_T7_T9_mT8_P12ihipStream_tbDpT10_ENKUlT_T0_E_clISt17integral_constantIbLb1EES1B_IbLb0EEEEDaS17_S18_EUlS17_E_NS1_11comp_targetILNS1_3genE4ELNS1_11target_archE910ELNS1_3gpuE8ELNS1_3repE0EEENS1_30default_config_static_selectorELNS0_4arch9wavefront6targetE1EEEvT1_,"axG",@progbits,_ZN7rocprim17ROCPRIM_400000_NS6detail17trampoline_kernelINS0_14default_configENS1_25partition_config_selectorILNS1_17partition_subalgoE8ElNS0_10empty_typeEbEEZZNS1_14partition_implILS5_8ELb0ES3_jPlPS6_PKS6_NS0_5tupleIJS9_S6_EEENSD_IJSA_SA_EEENS0_18inequality_wrapperIZN2at6native12_GLOBAL__N_124unique_dim_cuda_templateIhEESt5tupleIJNSH_6TensorESM_SM_EERKSM_lbbbEUlllE0_EEPmJS6_EEE10hipError_tPvRmT3_T4_T5_T6_T7_T9_mT8_P12ihipStream_tbDpT10_ENKUlT_T0_E_clISt17integral_constantIbLb1EES1B_IbLb0EEEEDaS17_S18_EUlS17_E_NS1_11comp_targetILNS1_3genE4ELNS1_11target_archE910ELNS1_3gpuE8ELNS1_3repE0EEENS1_30default_config_static_selectorELNS0_4arch9wavefront6targetE1EEEvT1_,comdat
	.globl	_ZN7rocprim17ROCPRIM_400000_NS6detail17trampoline_kernelINS0_14default_configENS1_25partition_config_selectorILNS1_17partition_subalgoE8ElNS0_10empty_typeEbEEZZNS1_14partition_implILS5_8ELb0ES3_jPlPS6_PKS6_NS0_5tupleIJS9_S6_EEENSD_IJSA_SA_EEENS0_18inequality_wrapperIZN2at6native12_GLOBAL__N_124unique_dim_cuda_templateIhEESt5tupleIJNSH_6TensorESM_SM_EERKSM_lbbbEUlllE0_EEPmJS6_EEE10hipError_tPvRmT3_T4_T5_T6_T7_T9_mT8_P12ihipStream_tbDpT10_ENKUlT_T0_E_clISt17integral_constantIbLb1EES1B_IbLb0EEEEDaS17_S18_EUlS17_E_NS1_11comp_targetILNS1_3genE4ELNS1_11target_archE910ELNS1_3gpuE8ELNS1_3repE0EEENS1_30default_config_static_selectorELNS0_4arch9wavefront6targetE1EEEvT1_ ; -- Begin function _ZN7rocprim17ROCPRIM_400000_NS6detail17trampoline_kernelINS0_14default_configENS1_25partition_config_selectorILNS1_17partition_subalgoE8ElNS0_10empty_typeEbEEZZNS1_14partition_implILS5_8ELb0ES3_jPlPS6_PKS6_NS0_5tupleIJS9_S6_EEENSD_IJSA_SA_EEENS0_18inequality_wrapperIZN2at6native12_GLOBAL__N_124unique_dim_cuda_templateIhEESt5tupleIJNSH_6TensorESM_SM_EERKSM_lbbbEUlllE0_EEPmJS6_EEE10hipError_tPvRmT3_T4_T5_T6_T7_T9_mT8_P12ihipStream_tbDpT10_ENKUlT_T0_E_clISt17integral_constantIbLb1EES1B_IbLb0EEEEDaS17_S18_EUlS17_E_NS1_11comp_targetILNS1_3genE4ELNS1_11target_archE910ELNS1_3gpuE8ELNS1_3repE0EEENS1_30default_config_static_selectorELNS0_4arch9wavefront6targetE1EEEvT1_
	.p2align	8
	.type	_ZN7rocprim17ROCPRIM_400000_NS6detail17trampoline_kernelINS0_14default_configENS1_25partition_config_selectorILNS1_17partition_subalgoE8ElNS0_10empty_typeEbEEZZNS1_14partition_implILS5_8ELb0ES3_jPlPS6_PKS6_NS0_5tupleIJS9_S6_EEENSD_IJSA_SA_EEENS0_18inequality_wrapperIZN2at6native12_GLOBAL__N_124unique_dim_cuda_templateIhEESt5tupleIJNSH_6TensorESM_SM_EERKSM_lbbbEUlllE0_EEPmJS6_EEE10hipError_tPvRmT3_T4_T5_T6_T7_T9_mT8_P12ihipStream_tbDpT10_ENKUlT_T0_E_clISt17integral_constantIbLb1EES1B_IbLb0EEEEDaS17_S18_EUlS17_E_NS1_11comp_targetILNS1_3genE4ELNS1_11target_archE910ELNS1_3gpuE8ELNS1_3repE0EEENS1_30default_config_static_selectorELNS0_4arch9wavefront6targetE1EEEvT1_,@function
_ZN7rocprim17ROCPRIM_400000_NS6detail17trampoline_kernelINS0_14default_configENS1_25partition_config_selectorILNS1_17partition_subalgoE8ElNS0_10empty_typeEbEEZZNS1_14partition_implILS5_8ELb0ES3_jPlPS6_PKS6_NS0_5tupleIJS9_S6_EEENSD_IJSA_SA_EEENS0_18inequality_wrapperIZN2at6native12_GLOBAL__N_124unique_dim_cuda_templateIhEESt5tupleIJNSH_6TensorESM_SM_EERKSM_lbbbEUlllE0_EEPmJS6_EEE10hipError_tPvRmT3_T4_T5_T6_T7_T9_mT8_P12ihipStream_tbDpT10_ENKUlT_T0_E_clISt17integral_constantIbLb1EES1B_IbLb0EEEEDaS17_S18_EUlS17_E_NS1_11comp_targetILNS1_3genE4ELNS1_11target_archE910ELNS1_3gpuE8ELNS1_3repE0EEENS1_30default_config_static_selectorELNS0_4arch9wavefront6targetE1EEEvT1_: ; @_ZN7rocprim17ROCPRIM_400000_NS6detail17trampoline_kernelINS0_14default_configENS1_25partition_config_selectorILNS1_17partition_subalgoE8ElNS0_10empty_typeEbEEZZNS1_14partition_implILS5_8ELb0ES3_jPlPS6_PKS6_NS0_5tupleIJS9_S6_EEENSD_IJSA_SA_EEENS0_18inequality_wrapperIZN2at6native12_GLOBAL__N_124unique_dim_cuda_templateIhEESt5tupleIJNSH_6TensorESM_SM_EERKSM_lbbbEUlllE0_EEPmJS6_EEE10hipError_tPvRmT3_T4_T5_T6_T7_T9_mT8_P12ihipStream_tbDpT10_ENKUlT_T0_E_clISt17integral_constantIbLb1EES1B_IbLb0EEEEDaS17_S18_EUlS17_E_NS1_11comp_targetILNS1_3genE4ELNS1_11target_archE910ELNS1_3gpuE8ELNS1_3repE0EEENS1_30default_config_static_selectorELNS0_4arch9wavefront6targetE1EEEvT1_
; %bb.0:
	.section	.rodata,"a",@progbits
	.p2align	6, 0x0
	.amdhsa_kernel _ZN7rocprim17ROCPRIM_400000_NS6detail17trampoline_kernelINS0_14default_configENS1_25partition_config_selectorILNS1_17partition_subalgoE8ElNS0_10empty_typeEbEEZZNS1_14partition_implILS5_8ELb0ES3_jPlPS6_PKS6_NS0_5tupleIJS9_S6_EEENSD_IJSA_SA_EEENS0_18inequality_wrapperIZN2at6native12_GLOBAL__N_124unique_dim_cuda_templateIhEESt5tupleIJNSH_6TensorESM_SM_EERKSM_lbbbEUlllE0_EEPmJS6_EEE10hipError_tPvRmT3_T4_T5_T6_T7_T9_mT8_P12ihipStream_tbDpT10_ENKUlT_T0_E_clISt17integral_constantIbLb1EES1B_IbLb0EEEEDaS17_S18_EUlS17_E_NS1_11comp_targetILNS1_3genE4ELNS1_11target_archE910ELNS1_3gpuE8ELNS1_3repE0EEENS1_30default_config_static_selectorELNS0_4arch9wavefront6targetE1EEEvT1_
		.amdhsa_group_segment_fixed_size 0
		.amdhsa_private_segment_fixed_size 0
		.amdhsa_kernarg_size 120
		.amdhsa_user_sgpr_count 2
		.amdhsa_user_sgpr_dispatch_ptr 0
		.amdhsa_user_sgpr_queue_ptr 0
		.amdhsa_user_sgpr_kernarg_segment_ptr 1
		.amdhsa_user_sgpr_dispatch_id 0
		.amdhsa_user_sgpr_kernarg_preload_length 0
		.amdhsa_user_sgpr_kernarg_preload_offset 0
		.amdhsa_user_sgpr_private_segment_size 0
		.amdhsa_uses_dynamic_stack 0
		.amdhsa_enable_private_segment 0
		.amdhsa_system_sgpr_workgroup_id_x 1
		.amdhsa_system_sgpr_workgroup_id_y 0
		.amdhsa_system_sgpr_workgroup_id_z 0
		.amdhsa_system_sgpr_workgroup_info 0
		.amdhsa_system_vgpr_workitem_id 0
		.amdhsa_next_free_vgpr 1
		.amdhsa_next_free_sgpr 0
		.amdhsa_accum_offset 4
		.amdhsa_reserve_vcc 0
		.amdhsa_float_round_mode_32 0
		.amdhsa_float_round_mode_16_64 0
		.amdhsa_float_denorm_mode_32 3
		.amdhsa_float_denorm_mode_16_64 3
		.amdhsa_dx10_clamp 1
		.amdhsa_ieee_mode 1
		.amdhsa_fp16_overflow 0
		.amdhsa_tg_split 0
		.amdhsa_exception_fp_ieee_invalid_op 0
		.amdhsa_exception_fp_denorm_src 0
		.amdhsa_exception_fp_ieee_div_zero 0
		.amdhsa_exception_fp_ieee_overflow 0
		.amdhsa_exception_fp_ieee_underflow 0
		.amdhsa_exception_fp_ieee_inexact 0
		.amdhsa_exception_int_div_zero 0
	.end_amdhsa_kernel
	.section	.text._ZN7rocprim17ROCPRIM_400000_NS6detail17trampoline_kernelINS0_14default_configENS1_25partition_config_selectorILNS1_17partition_subalgoE8ElNS0_10empty_typeEbEEZZNS1_14partition_implILS5_8ELb0ES3_jPlPS6_PKS6_NS0_5tupleIJS9_S6_EEENSD_IJSA_SA_EEENS0_18inequality_wrapperIZN2at6native12_GLOBAL__N_124unique_dim_cuda_templateIhEESt5tupleIJNSH_6TensorESM_SM_EERKSM_lbbbEUlllE0_EEPmJS6_EEE10hipError_tPvRmT3_T4_T5_T6_T7_T9_mT8_P12ihipStream_tbDpT10_ENKUlT_T0_E_clISt17integral_constantIbLb1EES1B_IbLb0EEEEDaS17_S18_EUlS17_E_NS1_11comp_targetILNS1_3genE4ELNS1_11target_archE910ELNS1_3gpuE8ELNS1_3repE0EEENS1_30default_config_static_selectorELNS0_4arch9wavefront6targetE1EEEvT1_,"axG",@progbits,_ZN7rocprim17ROCPRIM_400000_NS6detail17trampoline_kernelINS0_14default_configENS1_25partition_config_selectorILNS1_17partition_subalgoE8ElNS0_10empty_typeEbEEZZNS1_14partition_implILS5_8ELb0ES3_jPlPS6_PKS6_NS0_5tupleIJS9_S6_EEENSD_IJSA_SA_EEENS0_18inequality_wrapperIZN2at6native12_GLOBAL__N_124unique_dim_cuda_templateIhEESt5tupleIJNSH_6TensorESM_SM_EERKSM_lbbbEUlllE0_EEPmJS6_EEE10hipError_tPvRmT3_T4_T5_T6_T7_T9_mT8_P12ihipStream_tbDpT10_ENKUlT_T0_E_clISt17integral_constantIbLb1EES1B_IbLb0EEEEDaS17_S18_EUlS17_E_NS1_11comp_targetILNS1_3genE4ELNS1_11target_archE910ELNS1_3gpuE8ELNS1_3repE0EEENS1_30default_config_static_selectorELNS0_4arch9wavefront6targetE1EEEvT1_,comdat
.Lfunc_end190:
	.size	_ZN7rocprim17ROCPRIM_400000_NS6detail17trampoline_kernelINS0_14default_configENS1_25partition_config_selectorILNS1_17partition_subalgoE8ElNS0_10empty_typeEbEEZZNS1_14partition_implILS5_8ELb0ES3_jPlPS6_PKS6_NS0_5tupleIJS9_S6_EEENSD_IJSA_SA_EEENS0_18inequality_wrapperIZN2at6native12_GLOBAL__N_124unique_dim_cuda_templateIhEESt5tupleIJNSH_6TensorESM_SM_EERKSM_lbbbEUlllE0_EEPmJS6_EEE10hipError_tPvRmT3_T4_T5_T6_T7_T9_mT8_P12ihipStream_tbDpT10_ENKUlT_T0_E_clISt17integral_constantIbLb1EES1B_IbLb0EEEEDaS17_S18_EUlS17_E_NS1_11comp_targetILNS1_3genE4ELNS1_11target_archE910ELNS1_3gpuE8ELNS1_3repE0EEENS1_30default_config_static_selectorELNS0_4arch9wavefront6targetE1EEEvT1_, .Lfunc_end190-_ZN7rocprim17ROCPRIM_400000_NS6detail17trampoline_kernelINS0_14default_configENS1_25partition_config_selectorILNS1_17partition_subalgoE8ElNS0_10empty_typeEbEEZZNS1_14partition_implILS5_8ELb0ES3_jPlPS6_PKS6_NS0_5tupleIJS9_S6_EEENSD_IJSA_SA_EEENS0_18inequality_wrapperIZN2at6native12_GLOBAL__N_124unique_dim_cuda_templateIhEESt5tupleIJNSH_6TensorESM_SM_EERKSM_lbbbEUlllE0_EEPmJS6_EEE10hipError_tPvRmT3_T4_T5_T6_T7_T9_mT8_P12ihipStream_tbDpT10_ENKUlT_T0_E_clISt17integral_constantIbLb1EES1B_IbLb0EEEEDaS17_S18_EUlS17_E_NS1_11comp_targetILNS1_3genE4ELNS1_11target_archE910ELNS1_3gpuE8ELNS1_3repE0EEENS1_30default_config_static_selectorELNS0_4arch9wavefront6targetE1EEEvT1_
                                        ; -- End function
	.section	.AMDGPU.csdata,"",@progbits
; Kernel info:
; codeLenInByte = 0
; NumSgprs: 6
; NumVgprs: 0
; NumAgprs: 0
; TotalNumVgprs: 0
; ScratchSize: 0
; MemoryBound: 0
; FloatMode: 240
; IeeeMode: 1
; LDSByteSize: 0 bytes/workgroup (compile time only)
; SGPRBlocks: 0
; VGPRBlocks: 0
; NumSGPRsForWavesPerEU: 6
; NumVGPRsForWavesPerEU: 1
; AccumOffset: 4
; Occupancy: 8
; WaveLimiterHint : 0
; COMPUTE_PGM_RSRC2:SCRATCH_EN: 0
; COMPUTE_PGM_RSRC2:USER_SGPR: 2
; COMPUTE_PGM_RSRC2:TRAP_HANDLER: 0
; COMPUTE_PGM_RSRC2:TGID_X_EN: 1
; COMPUTE_PGM_RSRC2:TGID_Y_EN: 0
; COMPUTE_PGM_RSRC2:TGID_Z_EN: 0
; COMPUTE_PGM_RSRC2:TIDIG_COMP_CNT: 0
; COMPUTE_PGM_RSRC3_GFX90A:ACCUM_OFFSET: 0
; COMPUTE_PGM_RSRC3_GFX90A:TG_SPLIT: 0
	.section	.text._ZN7rocprim17ROCPRIM_400000_NS6detail17trampoline_kernelINS0_14default_configENS1_25partition_config_selectorILNS1_17partition_subalgoE8ElNS0_10empty_typeEbEEZZNS1_14partition_implILS5_8ELb0ES3_jPlPS6_PKS6_NS0_5tupleIJS9_S6_EEENSD_IJSA_SA_EEENS0_18inequality_wrapperIZN2at6native12_GLOBAL__N_124unique_dim_cuda_templateIhEESt5tupleIJNSH_6TensorESM_SM_EERKSM_lbbbEUlllE0_EEPmJS6_EEE10hipError_tPvRmT3_T4_T5_T6_T7_T9_mT8_P12ihipStream_tbDpT10_ENKUlT_T0_E_clISt17integral_constantIbLb1EES1B_IbLb0EEEEDaS17_S18_EUlS17_E_NS1_11comp_targetILNS1_3genE3ELNS1_11target_archE908ELNS1_3gpuE7ELNS1_3repE0EEENS1_30default_config_static_selectorELNS0_4arch9wavefront6targetE1EEEvT1_,"axG",@progbits,_ZN7rocprim17ROCPRIM_400000_NS6detail17trampoline_kernelINS0_14default_configENS1_25partition_config_selectorILNS1_17partition_subalgoE8ElNS0_10empty_typeEbEEZZNS1_14partition_implILS5_8ELb0ES3_jPlPS6_PKS6_NS0_5tupleIJS9_S6_EEENSD_IJSA_SA_EEENS0_18inequality_wrapperIZN2at6native12_GLOBAL__N_124unique_dim_cuda_templateIhEESt5tupleIJNSH_6TensorESM_SM_EERKSM_lbbbEUlllE0_EEPmJS6_EEE10hipError_tPvRmT3_T4_T5_T6_T7_T9_mT8_P12ihipStream_tbDpT10_ENKUlT_T0_E_clISt17integral_constantIbLb1EES1B_IbLb0EEEEDaS17_S18_EUlS17_E_NS1_11comp_targetILNS1_3genE3ELNS1_11target_archE908ELNS1_3gpuE7ELNS1_3repE0EEENS1_30default_config_static_selectorELNS0_4arch9wavefront6targetE1EEEvT1_,comdat
	.globl	_ZN7rocprim17ROCPRIM_400000_NS6detail17trampoline_kernelINS0_14default_configENS1_25partition_config_selectorILNS1_17partition_subalgoE8ElNS0_10empty_typeEbEEZZNS1_14partition_implILS5_8ELb0ES3_jPlPS6_PKS6_NS0_5tupleIJS9_S6_EEENSD_IJSA_SA_EEENS0_18inequality_wrapperIZN2at6native12_GLOBAL__N_124unique_dim_cuda_templateIhEESt5tupleIJNSH_6TensorESM_SM_EERKSM_lbbbEUlllE0_EEPmJS6_EEE10hipError_tPvRmT3_T4_T5_T6_T7_T9_mT8_P12ihipStream_tbDpT10_ENKUlT_T0_E_clISt17integral_constantIbLb1EES1B_IbLb0EEEEDaS17_S18_EUlS17_E_NS1_11comp_targetILNS1_3genE3ELNS1_11target_archE908ELNS1_3gpuE7ELNS1_3repE0EEENS1_30default_config_static_selectorELNS0_4arch9wavefront6targetE1EEEvT1_ ; -- Begin function _ZN7rocprim17ROCPRIM_400000_NS6detail17trampoline_kernelINS0_14default_configENS1_25partition_config_selectorILNS1_17partition_subalgoE8ElNS0_10empty_typeEbEEZZNS1_14partition_implILS5_8ELb0ES3_jPlPS6_PKS6_NS0_5tupleIJS9_S6_EEENSD_IJSA_SA_EEENS0_18inequality_wrapperIZN2at6native12_GLOBAL__N_124unique_dim_cuda_templateIhEESt5tupleIJNSH_6TensorESM_SM_EERKSM_lbbbEUlllE0_EEPmJS6_EEE10hipError_tPvRmT3_T4_T5_T6_T7_T9_mT8_P12ihipStream_tbDpT10_ENKUlT_T0_E_clISt17integral_constantIbLb1EES1B_IbLb0EEEEDaS17_S18_EUlS17_E_NS1_11comp_targetILNS1_3genE3ELNS1_11target_archE908ELNS1_3gpuE7ELNS1_3repE0EEENS1_30default_config_static_selectorELNS0_4arch9wavefront6targetE1EEEvT1_
	.p2align	8
	.type	_ZN7rocprim17ROCPRIM_400000_NS6detail17trampoline_kernelINS0_14default_configENS1_25partition_config_selectorILNS1_17partition_subalgoE8ElNS0_10empty_typeEbEEZZNS1_14partition_implILS5_8ELb0ES3_jPlPS6_PKS6_NS0_5tupleIJS9_S6_EEENSD_IJSA_SA_EEENS0_18inequality_wrapperIZN2at6native12_GLOBAL__N_124unique_dim_cuda_templateIhEESt5tupleIJNSH_6TensorESM_SM_EERKSM_lbbbEUlllE0_EEPmJS6_EEE10hipError_tPvRmT3_T4_T5_T6_T7_T9_mT8_P12ihipStream_tbDpT10_ENKUlT_T0_E_clISt17integral_constantIbLb1EES1B_IbLb0EEEEDaS17_S18_EUlS17_E_NS1_11comp_targetILNS1_3genE3ELNS1_11target_archE908ELNS1_3gpuE7ELNS1_3repE0EEENS1_30default_config_static_selectorELNS0_4arch9wavefront6targetE1EEEvT1_,@function
_ZN7rocprim17ROCPRIM_400000_NS6detail17trampoline_kernelINS0_14default_configENS1_25partition_config_selectorILNS1_17partition_subalgoE8ElNS0_10empty_typeEbEEZZNS1_14partition_implILS5_8ELb0ES3_jPlPS6_PKS6_NS0_5tupleIJS9_S6_EEENSD_IJSA_SA_EEENS0_18inequality_wrapperIZN2at6native12_GLOBAL__N_124unique_dim_cuda_templateIhEESt5tupleIJNSH_6TensorESM_SM_EERKSM_lbbbEUlllE0_EEPmJS6_EEE10hipError_tPvRmT3_T4_T5_T6_T7_T9_mT8_P12ihipStream_tbDpT10_ENKUlT_T0_E_clISt17integral_constantIbLb1EES1B_IbLb0EEEEDaS17_S18_EUlS17_E_NS1_11comp_targetILNS1_3genE3ELNS1_11target_archE908ELNS1_3gpuE7ELNS1_3repE0EEENS1_30default_config_static_selectorELNS0_4arch9wavefront6targetE1EEEvT1_: ; @_ZN7rocprim17ROCPRIM_400000_NS6detail17trampoline_kernelINS0_14default_configENS1_25partition_config_selectorILNS1_17partition_subalgoE8ElNS0_10empty_typeEbEEZZNS1_14partition_implILS5_8ELb0ES3_jPlPS6_PKS6_NS0_5tupleIJS9_S6_EEENSD_IJSA_SA_EEENS0_18inequality_wrapperIZN2at6native12_GLOBAL__N_124unique_dim_cuda_templateIhEESt5tupleIJNSH_6TensorESM_SM_EERKSM_lbbbEUlllE0_EEPmJS6_EEE10hipError_tPvRmT3_T4_T5_T6_T7_T9_mT8_P12ihipStream_tbDpT10_ENKUlT_T0_E_clISt17integral_constantIbLb1EES1B_IbLb0EEEEDaS17_S18_EUlS17_E_NS1_11comp_targetILNS1_3genE3ELNS1_11target_archE908ELNS1_3gpuE7ELNS1_3repE0EEENS1_30default_config_static_selectorELNS0_4arch9wavefront6targetE1EEEvT1_
; %bb.0:
	.section	.rodata,"a",@progbits
	.p2align	6, 0x0
	.amdhsa_kernel _ZN7rocprim17ROCPRIM_400000_NS6detail17trampoline_kernelINS0_14default_configENS1_25partition_config_selectorILNS1_17partition_subalgoE8ElNS0_10empty_typeEbEEZZNS1_14partition_implILS5_8ELb0ES3_jPlPS6_PKS6_NS0_5tupleIJS9_S6_EEENSD_IJSA_SA_EEENS0_18inequality_wrapperIZN2at6native12_GLOBAL__N_124unique_dim_cuda_templateIhEESt5tupleIJNSH_6TensorESM_SM_EERKSM_lbbbEUlllE0_EEPmJS6_EEE10hipError_tPvRmT3_T4_T5_T6_T7_T9_mT8_P12ihipStream_tbDpT10_ENKUlT_T0_E_clISt17integral_constantIbLb1EES1B_IbLb0EEEEDaS17_S18_EUlS17_E_NS1_11comp_targetILNS1_3genE3ELNS1_11target_archE908ELNS1_3gpuE7ELNS1_3repE0EEENS1_30default_config_static_selectorELNS0_4arch9wavefront6targetE1EEEvT1_
		.amdhsa_group_segment_fixed_size 0
		.amdhsa_private_segment_fixed_size 0
		.amdhsa_kernarg_size 120
		.amdhsa_user_sgpr_count 2
		.amdhsa_user_sgpr_dispatch_ptr 0
		.amdhsa_user_sgpr_queue_ptr 0
		.amdhsa_user_sgpr_kernarg_segment_ptr 1
		.amdhsa_user_sgpr_dispatch_id 0
		.amdhsa_user_sgpr_kernarg_preload_length 0
		.amdhsa_user_sgpr_kernarg_preload_offset 0
		.amdhsa_user_sgpr_private_segment_size 0
		.amdhsa_uses_dynamic_stack 0
		.amdhsa_enable_private_segment 0
		.amdhsa_system_sgpr_workgroup_id_x 1
		.amdhsa_system_sgpr_workgroup_id_y 0
		.amdhsa_system_sgpr_workgroup_id_z 0
		.amdhsa_system_sgpr_workgroup_info 0
		.amdhsa_system_vgpr_workitem_id 0
		.amdhsa_next_free_vgpr 1
		.amdhsa_next_free_sgpr 0
		.amdhsa_accum_offset 4
		.amdhsa_reserve_vcc 0
		.amdhsa_float_round_mode_32 0
		.amdhsa_float_round_mode_16_64 0
		.amdhsa_float_denorm_mode_32 3
		.amdhsa_float_denorm_mode_16_64 3
		.amdhsa_dx10_clamp 1
		.amdhsa_ieee_mode 1
		.amdhsa_fp16_overflow 0
		.amdhsa_tg_split 0
		.amdhsa_exception_fp_ieee_invalid_op 0
		.amdhsa_exception_fp_denorm_src 0
		.amdhsa_exception_fp_ieee_div_zero 0
		.amdhsa_exception_fp_ieee_overflow 0
		.amdhsa_exception_fp_ieee_underflow 0
		.amdhsa_exception_fp_ieee_inexact 0
		.amdhsa_exception_int_div_zero 0
	.end_amdhsa_kernel
	.section	.text._ZN7rocprim17ROCPRIM_400000_NS6detail17trampoline_kernelINS0_14default_configENS1_25partition_config_selectorILNS1_17partition_subalgoE8ElNS0_10empty_typeEbEEZZNS1_14partition_implILS5_8ELb0ES3_jPlPS6_PKS6_NS0_5tupleIJS9_S6_EEENSD_IJSA_SA_EEENS0_18inequality_wrapperIZN2at6native12_GLOBAL__N_124unique_dim_cuda_templateIhEESt5tupleIJNSH_6TensorESM_SM_EERKSM_lbbbEUlllE0_EEPmJS6_EEE10hipError_tPvRmT3_T4_T5_T6_T7_T9_mT8_P12ihipStream_tbDpT10_ENKUlT_T0_E_clISt17integral_constantIbLb1EES1B_IbLb0EEEEDaS17_S18_EUlS17_E_NS1_11comp_targetILNS1_3genE3ELNS1_11target_archE908ELNS1_3gpuE7ELNS1_3repE0EEENS1_30default_config_static_selectorELNS0_4arch9wavefront6targetE1EEEvT1_,"axG",@progbits,_ZN7rocprim17ROCPRIM_400000_NS6detail17trampoline_kernelINS0_14default_configENS1_25partition_config_selectorILNS1_17partition_subalgoE8ElNS0_10empty_typeEbEEZZNS1_14partition_implILS5_8ELb0ES3_jPlPS6_PKS6_NS0_5tupleIJS9_S6_EEENSD_IJSA_SA_EEENS0_18inequality_wrapperIZN2at6native12_GLOBAL__N_124unique_dim_cuda_templateIhEESt5tupleIJNSH_6TensorESM_SM_EERKSM_lbbbEUlllE0_EEPmJS6_EEE10hipError_tPvRmT3_T4_T5_T6_T7_T9_mT8_P12ihipStream_tbDpT10_ENKUlT_T0_E_clISt17integral_constantIbLb1EES1B_IbLb0EEEEDaS17_S18_EUlS17_E_NS1_11comp_targetILNS1_3genE3ELNS1_11target_archE908ELNS1_3gpuE7ELNS1_3repE0EEENS1_30default_config_static_selectorELNS0_4arch9wavefront6targetE1EEEvT1_,comdat
.Lfunc_end191:
	.size	_ZN7rocprim17ROCPRIM_400000_NS6detail17trampoline_kernelINS0_14default_configENS1_25partition_config_selectorILNS1_17partition_subalgoE8ElNS0_10empty_typeEbEEZZNS1_14partition_implILS5_8ELb0ES3_jPlPS6_PKS6_NS0_5tupleIJS9_S6_EEENSD_IJSA_SA_EEENS0_18inequality_wrapperIZN2at6native12_GLOBAL__N_124unique_dim_cuda_templateIhEESt5tupleIJNSH_6TensorESM_SM_EERKSM_lbbbEUlllE0_EEPmJS6_EEE10hipError_tPvRmT3_T4_T5_T6_T7_T9_mT8_P12ihipStream_tbDpT10_ENKUlT_T0_E_clISt17integral_constantIbLb1EES1B_IbLb0EEEEDaS17_S18_EUlS17_E_NS1_11comp_targetILNS1_3genE3ELNS1_11target_archE908ELNS1_3gpuE7ELNS1_3repE0EEENS1_30default_config_static_selectorELNS0_4arch9wavefront6targetE1EEEvT1_, .Lfunc_end191-_ZN7rocprim17ROCPRIM_400000_NS6detail17trampoline_kernelINS0_14default_configENS1_25partition_config_selectorILNS1_17partition_subalgoE8ElNS0_10empty_typeEbEEZZNS1_14partition_implILS5_8ELb0ES3_jPlPS6_PKS6_NS0_5tupleIJS9_S6_EEENSD_IJSA_SA_EEENS0_18inequality_wrapperIZN2at6native12_GLOBAL__N_124unique_dim_cuda_templateIhEESt5tupleIJNSH_6TensorESM_SM_EERKSM_lbbbEUlllE0_EEPmJS6_EEE10hipError_tPvRmT3_T4_T5_T6_T7_T9_mT8_P12ihipStream_tbDpT10_ENKUlT_T0_E_clISt17integral_constantIbLb1EES1B_IbLb0EEEEDaS17_S18_EUlS17_E_NS1_11comp_targetILNS1_3genE3ELNS1_11target_archE908ELNS1_3gpuE7ELNS1_3repE0EEENS1_30default_config_static_selectorELNS0_4arch9wavefront6targetE1EEEvT1_
                                        ; -- End function
	.section	.AMDGPU.csdata,"",@progbits
; Kernel info:
; codeLenInByte = 0
; NumSgprs: 6
; NumVgprs: 0
; NumAgprs: 0
; TotalNumVgprs: 0
; ScratchSize: 0
; MemoryBound: 0
; FloatMode: 240
; IeeeMode: 1
; LDSByteSize: 0 bytes/workgroup (compile time only)
; SGPRBlocks: 0
; VGPRBlocks: 0
; NumSGPRsForWavesPerEU: 6
; NumVGPRsForWavesPerEU: 1
; AccumOffset: 4
; Occupancy: 8
; WaveLimiterHint : 0
; COMPUTE_PGM_RSRC2:SCRATCH_EN: 0
; COMPUTE_PGM_RSRC2:USER_SGPR: 2
; COMPUTE_PGM_RSRC2:TRAP_HANDLER: 0
; COMPUTE_PGM_RSRC2:TGID_X_EN: 1
; COMPUTE_PGM_RSRC2:TGID_Y_EN: 0
; COMPUTE_PGM_RSRC2:TGID_Z_EN: 0
; COMPUTE_PGM_RSRC2:TIDIG_COMP_CNT: 0
; COMPUTE_PGM_RSRC3_GFX90A:ACCUM_OFFSET: 0
; COMPUTE_PGM_RSRC3_GFX90A:TG_SPLIT: 0
	.section	.text._ZN7rocprim17ROCPRIM_400000_NS6detail17trampoline_kernelINS0_14default_configENS1_25partition_config_selectorILNS1_17partition_subalgoE8ElNS0_10empty_typeEbEEZZNS1_14partition_implILS5_8ELb0ES3_jPlPS6_PKS6_NS0_5tupleIJS9_S6_EEENSD_IJSA_SA_EEENS0_18inequality_wrapperIZN2at6native12_GLOBAL__N_124unique_dim_cuda_templateIhEESt5tupleIJNSH_6TensorESM_SM_EERKSM_lbbbEUlllE0_EEPmJS6_EEE10hipError_tPvRmT3_T4_T5_T6_T7_T9_mT8_P12ihipStream_tbDpT10_ENKUlT_T0_E_clISt17integral_constantIbLb1EES1B_IbLb0EEEEDaS17_S18_EUlS17_E_NS1_11comp_targetILNS1_3genE2ELNS1_11target_archE906ELNS1_3gpuE6ELNS1_3repE0EEENS1_30default_config_static_selectorELNS0_4arch9wavefront6targetE1EEEvT1_,"axG",@progbits,_ZN7rocprim17ROCPRIM_400000_NS6detail17trampoline_kernelINS0_14default_configENS1_25partition_config_selectorILNS1_17partition_subalgoE8ElNS0_10empty_typeEbEEZZNS1_14partition_implILS5_8ELb0ES3_jPlPS6_PKS6_NS0_5tupleIJS9_S6_EEENSD_IJSA_SA_EEENS0_18inequality_wrapperIZN2at6native12_GLOBAL__N_124unique_dim_cuda_templateIhEESt5tupleIJNSH_6TensorESM_SM_EERKSM_lbbbEUlllE0_EEPmJS6_EEE10hipError_tPvRmT3_T4_T5_T6_T7_T9_mT8_P12ihipStream_tbDpT10_ENKUlT_T0_E_clISt17integral_constantIbLb1EES1B_IbLb0EEEEDaS17_S18_EUlS17_E_NS1_11comp_targetILNS1_3genE2ELNS1_11target_archE906ELNS1_3gpuE6ELNS1_3repE0EEENS1_30default_config_static_selectorELNS0_4arch9wavefront6targetE1EEEvT1_,comdat
	.globl	_ZN7rocprim17ROCPRIM_400000_NS6detail17trampoline_kernelINS0_14default_configENS1_25partition_config_selectorILNS1_17partition_subalgoE8ElNS0_10empty_typeEbEEZZNS1_14partition_implILS5_8ELb0ES3_jPlPS6_PKS6_NS0_5tupleIJS9_S6_EEENSD_IJSA_SA_EEENS0_18inequality_wrapperIZN2at6native12_GLOBAL__N_124unique_dim_cuda_templateIhEESt5tupleIJNSH_6TensorESM_SM_EERKSM_lbbbEUlllE0_EEPmJS6_EEE10hipError_tPvRmT3_T4_T5_T6_T7_T9_mT8_P12ihipStream_tbDpT10_ENKUlT_T0_E_clISt17integral_constantIbLb1EES1B_IbLb0EEEEDaS17_S18_EUlS17_E_NS1_11comp_targetILNS1_3genE2ELNS1_11target_archE906ELNS1_3gpuE6ELNS1_3repE0EEENS1_30default_config_static_selectorELNS0_4arch9wavefront6targetE1EEEvT1_ ; -- Begin function _ZN7rocprim17ROCPRIM_400000_NS6detail17trampoline_kernelINS0_14default_configENS1_25partition_config_selectorILNS1_17partition_subalgoE8ElNS0_10empty_typeEbEEZZNS1_14partition_implILS5_8ELb0ES3_jPlPS6_PKS6_NS0_5tupleIJS9_S6_EEENSD_IJSA_SA_EEENS0_18inequality_wrapperIZN2at6native12_GLOBAL__N_124unique_dim_cuda_templateIhEESt5tupleIJNSH_6TensorESM_SM_EERKSM_lbbbEUlllE0_EEPmJS6_EEE10hipError_tPvRmT3_T4_T5_T6_T7_T9_mT8_P12ihipStream_tbDpT10_ENKUlT_T0_E_clISt17integral_constantIbLb1EES1B_IbLb0EEEEDaS17_S18_EUlS17_E_NS1_11comp_targetILNS1_3genE2ELNS1_11target_archE906ELNS1_3gpuE6ELNS1_3repE0EEENS1_30default_config_static_selectorELNS0_4arch9wavefront6targetE1EEEvT1_
	.p2align	8
	.type	_ZN7rocprim17ROCPRIM_400000_NS6detail17trampoline_kernelINS0_14default_configENS1_25partition_config_selectorILNS1_17partition_subalgoE8ElNS0_10empty_typeEbEEZZNS1_14partition_implILS5_8ELb0ES3_jPlPS6_PKS6_NS0_5tupleIJS9_S6_EEENSD_IJSA_SA_EEENS0_18inequality_wrapperIZN2at6native12_GLOBAL__N_124unique_dim_cuda_templateIhEESt5tupleIJNSH_6TensorESM_SM_EERKSM_lbbbEUlllE0_EEPmJS6_EEE10hipError_tPvRmT3_T4_T5_T6_T7_T9_mT8_P12ihipStream_tbDpT10_ENKUlT_T0_E_clISt17integral_constantIbLb1EES1B_IbLb0EEEEDaS17_S18_EUlS17_E_NS1_11comp_targetILNS1_3genE2ELNS1_11target_archE906ELNS1_3gpuE6ELNS1_3repE0EEENS1_30default_config_static_selectorELNS0_4arch9wavefront6targetE1EEEvT1_,@function
_ZN7rocprim17ROCPRIM_400000_NS6detail17trampoline_kernelINS0_14default_configENS1_25partition_config_selectorILNS1_17partition_subalgoE8ElNS0_10empty_typeEbEEZZNS1_14partition_implILS5_8ELb0ES3_jPlPS6_PKS6_NS0_5tupleIJS9_S6_EEENSD_IJSA_SA_EEENS0_18inequality_wrapperIZN2at6native12_GLOBAL__N_124unique_dim_cuda_templateIhEESt5tupleIJNSH_6TensorESM_SM_EERKSM_lbbbEUlllE0_EEPmJS6_EEE10hipError_tPvRmT3_T4_T5_T6_T7_T9_mT8_P12ihipStream_tbDpT10_ENKUlT_T0_E_clISt17integral_constantIbLb1EES1B_IbLb0EEEEDaS17_S18_EUlS17_E_NS1_11comp_targetILNS1_3genE2ELNS1_11target_archE906ELNS1_3gpuE6ELNS1_3repE0EEENS1_30default_config_static_selectorELNS0_4arch9wavefront6targetE1EEEvT1_: ; @_ZN7rocprim17ROCPRIM_400000_NS6detail17trampoline_kernelINS0_14default_configENS1_25partition_config_selectorILNS1_17partition_subalgoE8ElNS0_10empty_typeEbEEZZNS1_14partition_implILS5_8ELb0ES3_jPlPS6_PKS6_NS0_5tupleIJS9_S6_EEENSD_IJSA_SA_EEENS0_18inequality_wrapperIZN2at6native12_GLOBAL__N_124unique_dim_cuda_templateIhEESt5tupleIJNSH_6TensorESM_SM_EERKSM_lbbbEUlllE0_EEPmJS6_EEE10hipError_tPvRmT3_T4_T5_T6_T7_T9_mT8_P12ihipStream_tbDpT10_ENKUlT_T0_E_clISt17integral_constantIbLb1EES1B_IbLb0EEEEDaS17_S18_EUlS17_E_NS1_11comp_targetILNS1_3genE2ELNS1_11target_archE906ELNS1_3gpuE6ELNS1_3repE0EEENS1_30default_config_static_selectorELNS0_4arch9wavefront6targetE1EEEvT1_
; %bb.0:
	.section	.rodata,"a",@progbits
	.p2align	6, 0x0
	.amdhsa_kernel _ZN7rocprim17ROCPRIM_400000_NS6detail17trampoline_kernelINS0_14default_configENS1_25partition_config_selectorILNS1_17partition_subalgoE8ElNS0_10empty_typeEbEEZZNS1_14partition_implILS5_8ELb0ES3_jPlPS6_PKS6_NS0_5tupleIJS9_S6_EEENSD_IJSA_SA_EEENS0_18inequality_wrapperIZN2at6native12_GLOBAL__N_124unique_dim_cuda_templateIhEESt5tupleIJNSH_6TensorESM_SM_EERKSM_lbbbEUlllE0_EEPmJS6_EEE10hipError_tPvRmT3_T4_T5_T6_T7_T9_mT8_P12ihipStream_tbDpT10_ENKUlT_T0_E_clISt17integral_constantIbLb1EES1B_IbLb0EEEEDaS17_S18_EUlS17_E_NS1_11comp_targetILNS1_3genE2ELNS1_11target_archE906ELNS1_3gpuE6ELNS1_3repE0EEENS1_30default_config_static_selectorELNS0_4arch9wavefront6targetE1EEEvT1_
		.amdhsa_group_segment_fixed_size 0
		.amdhsa_private_segment_fixed_size 0
		.amdhsa_kernarg_size 120
		.amdhsa_user_sgpr_count 2
		.amdhsa_user_sgpr_dispatch_ptr 0
		.amdhsa_user_sgpr_queue_ptr 0
		.amdhsa_user_sgpr_kernarg_segment_ptr 1
		.amdhsa_user_sgpr_dispatch_id 0
		.amdhsa_user_sgpr_kernarg_preload_length 0
		.amdhsa_user_sgpr_kernarg_preload_offset 0
		.amdhsa_user_sgpr_private_segment_size 0
		.amdhsa_uses_dynamic_stack 0
		.amdhsa_enable_private_segment 0
		.amdhsa_system_sgpr_workgroup_id_x 1
		.amdhsa_system_sgpr_workgroup_id_y 0
		.amdhsa_system_sgpr_workgroup_id_z 0
		.amdhsa_system_sgpr_workgroup_info 0
		.amdhsa_system_vgpr_workitem_id 0
		.amdhsa_next_free_vgpr 1
		.amdhsa_next_free_sgpr 0
		.amdhsa_accum_offset 4
		.amdhsa_reserve_vcc 0
		.amdhsa_float_round_mode_32 0
		.amdhsa_float_round_mode_16_64 0
		.amdhsa_float_denorm_mode_32 3
		.amdhsa_float_denorm_mode_16_64 3
		.amdhsa_dx10_clamp 1
		.amdhsa_ieee_mode 1
		.amdhsa_fp16_overflow 0
		.amdhsa_tg_split 0
		.amdhsa_exception_fp_ieee_invalid_op 0
		.amdhsa_exception_fp_denorm_src 0
		.amdhsa_exception_fp_ieee_div_zero 0
		.amdhsa_exception_fp_ieee_overflow 0
		.amdhsa_exception_fp_ieee_underflow 0
		.amdhsa_exception_fp_ieee_inexact 0
		.amdhsa_exception_int_div_zero 0
	.end_amdhsa_kernel
	.section	.text._ZN7rocprim17ROCPRIM_400000_NS6detail17trampoline_kernelINS0_14default_configENS1_25partition_config_selectorILNS1_17partition_subalgoE8ElNS0_10empty_typeEbEEZZNS1_14partition_implILS5_8ELb0ES3_jPlPS6_PKS6_NS0_5tupleIJS9_S6_EEENSD_IJSA_SA_EEENS0_18inequality_wrapperIZN2at6native12_GLOBAL__N_124unique_dim_cuda_templateIhEESt5tupleIJNSH_6TensorESM_SM_EERKSM_lbbbEUlllE0_EEPmJS6_EEE10hipError_tPvRmT3_T4_T5_T6_T7_T9_mT8_P12ihipStream_tbDpT10_ENKUlT_T0_E_clISt17integral_constantIbLb1EES1B_IbLb0EEEEDaS17_S18_EUlS17_E_NS1_11comp_targetILNS1_3genE2ELNS1_11target_archE906ELNS1_3gpuE6ELNS1_3repE0EEENS1_30default_config_static_selectorELNS0_4arch9wavefront6targetE1EEEvT1_,"axG",@progbits,_ZN7rocprim17ROCPRIM_400000_NS6detail17trampoline_kernelINS0_14default_configENS1_25partition_config_selectorILNS1_17partition_subalgoE8ElNS0_10empty_typeEbEEZZNS1_14partition_implILS5_8ELb0ES3_jPlPS6_PKS6_NS0_5tupleIJS9_S6_EEENSD_IJSA_SA_EEENS0_18inequality_wrapperIZN2at6native12_GLOBAL__N_124unique_dim_cuda_templateIhEESt5tupleIJNSH_6TensorESM_SM_EERKSM_lbbbEUlllE0_EEPmJS6_EEE10hipError_tPvRmT3_T4_T5_T6_T7_T9_mT8_P12ihipStream_tbDpT10_ENKUlT_T0_E_clISt17integral_constantIbLb1EES1B_IbLb0EEEEDaS17_S18_EUlS17_E_NS1_11comp_targetILNS1_3genE2ELNS1_11target_archE906ELNS1_3gpuE6ELNS1_3repE0EEENS1_30default_config_static_selectorELNS0_4arch9wavefront6targetE1EEEvT1_,comdat
.Lfunc_end192:
	.size	_ZN7rocprim17ROCPRIM_400000_NS6detail17trampoline_kernelINS0_14default_configENS1_25partition_config_selectorILNS1_17partition_subalgoE8ElNS0_10empty_typeEbEEZZNS1_14partition_implILS5_8ELb0ES3_jPlPS6_PKS6_NS0_5tupleIJS9_S6_EEENSD_IJSA_SA_EEENS0_18inequality_wrapperIZN2at6native12_GLOBAL__N_124unique_dim_cuda_templateIhEESt5tupleIJNSH_6TensorESM_SM_EERKSM_lbbbEUlllE0_EEPmJS6_EEE10hipError_tPvRmT3_T4_T5_T6_T7_T9_mT8_P12ihipStream_tbDpT10_ENKUlT_T0_E_clISt17integral_constantIbLb1EES1B_IbLb0EEEEDaS17_S18_EUlS17_E_NS1_11comp_targetILNS1_3genE2ELNS1_11target_archE906ELNS1_3gpuE6ELNS1_3repE0EEENS1_30default_config_static_selectorELNS0_4arch9wavefront6targetE1EEEvT1_, .Lfunc_end192-_ZN7rocprim17ROCPRIM_400000_NS6detail17trampoline_kernelINS0_14default_configENS1_25partition_config_selectorILNS1_17partition_subalgoE8ElNS0_10empty_typeEbEEZZNS1_14partition_implILS5_8ELb0ES3_jPlPS6_PKS6_NS0_5tupleIJS9_S6_EEENSD_IJSA_SA_EEENS0_18inequality_wrapperIZN2at6native12_GLOBAL__N_124unique_dim_cuda_templateIhEESt5tupleIJNSH_6TensorESM_SM_EERKSM_lbbbEUlllE0_EEPmJS6_EEE10hipError_tPvRmT3_T4_T5_T6_T7_T9_mT8_P12ihipStream_tbDpT10_ENKUlT_T0_E_clISt17integral_constantIbLb1EES1B_IbLb0EEEEDaS17_S18_EUlS17_E_NS1_11comp_targetILNS1_3genE2ELNS1_11target_archE906ELNS1_3gpuE6ELNS1_3repE0EEENS1_30default_config_static_selectorELNS0_4arch9wavefront6targetE1EEEvT1_
                                        ; -- End function
	.section	.AMDGPU.csdata,"",@progbits
; Kernel info:
; codeLenInByte = 0
; NumSgprs: 6
; NumVgprs: 0
; NumAgprs: 0
; TotalNumVgprs: 0
; ScratchSize: 0
; MemoryBound: 0
; FloatMode: 240
; IeeeMode: 1
; LDSByteSize: 0 bytes/workgroup (compile time only)
; SGPRBlocks: 0
; VGPRBlocks: 0
; NumSGPRsForWavesPerEU: 6
; NumVGPRsForWavesPerEU: 1
; AccumOffset: 4
; Occupancy: 8
; WaveLimiterHint : 0
; COMPUTE_PGM_RSRC2:SCRATCH_EN: 0
; COMPUTE_PGM_RSRC2:USER_SGPR: 2
; COMPUTE_PGM_RSRC2:TRAP_HANDLER: 0
; COMPUTE_PGM_RSRC2:TGID_X_EN: 1
; COMPUTE_PGM_RSRC2:TGID_Y_EN: 0
; COMPUTE_PGM_RSRC2:TGID_Z_EN: 0
; COMPUTE_PGM_RSRC2:TIDIG_COMP_CNT: 0
; COMPUTE_PGM_RSRC3_GFX90A:ACCUM_OFFSET: 0
; COMPUTE_PGM_RSRC3_GFX90A:TG_SPLIT: 0
	.section	.text._ZN7rocprim17ROCPRIM_400000_NS6detail17trampoline_kernelINS0_14default_configENS1_25partition_config_selectorILNS1_17partition_subalgoE8ElNS0_10empty_typeEbEEZZNS1_14partition_implILS5_8ELb0ES3_jPlPS6_PKS6_NS0_5tupleIJS9_S6_EEENSD_IJSA_SA_EEENS0_18inequality_wrapperIZN2at6native12_GLOBAL__N_124unique_dim_cuda_templateIhEESt5tupleIJNSH_6TensorESM_SM_EERKSM_lbbbEUlllE0_EEPmJS6_EEE10hipError_tPvRmT3_T4_T5_T6_T7_T9_mT8_P12ihipStream_tbDpT10_ENKUlT_T0_E_clISt17integral_constantIbLb1EES1B_IbLb0EEEEDaS17_S18_EUlS17_E_NS1_11comp_targetILNS1_3genE10ELNS1_11target_archE1200ELNS1_3gpuE4ELNS1_3repE0EEENS1_30default_config_static_selectorELNS0_4arch9wavefront6targetE1EEEvT1_,"axG",@progbits,_ZN7rocprim17ROCPRIM_400000_NS6detail17trampoline_kernelINS0_14default_configENS1_25partition_config_selectorILNS1_17partition_subalgoE8ElNS0_10empty_typeEbEEZZNS1_14partition_implILS5_8ELb0ES3_jPlPS6_PKS6_NS0_5tupleIJS9_S6_EEENSD_IJSA_SA_EEENS0_18inequality_wrapperIZN2at6native12_GLOBAL__N_124unique_dim_cuda_templateIhEESt5tupleIJNSH_6TensorESM_SM_EERKSM_lbbbEUlllE0_EEPmJS6_EEE10hipError_tPvRmT3_T4_T5_T6_T7_T9_mT8_P12ihipStream_tbDpT10_ENKUlT_T0_E_clISt17integral_constantIbLb1EES1B_IbLb0EEEEDaS17_S18_EUlS17_E_NS1_11comp_targetILNS1_3genE10ELNS1_11target_archE1200ELNS1_3gpuE4ELNS1_3repE0EEENS1_30default_config_static_selectorELNS0_4arch9wavefront6targetE1EEEvT1_,comdat
	.globl	_ZN7rocprim17ROCPRIM_400000_NS6detail17trampoline_kernelINS0_14default_configENS1_25partition_config_selectorILNS1_17partition_subalgoE8ElNS0_10empty_typeEbEEZZNS1_14partition_implILS5_8ELb0ES3_jPlPS6_PKS6_NS0_5tupleIJS9_S6_EEENSD_IJSA_SA_EEENS0_18inequality_wrapperIZN2at6native12_GLOBAL__N_124unique_dim_cuda_templateIhEESt5tupleIJNSH_6TensorESM_SM_EERKSM_lbbbEUlllE0_EEPmJS6_EEE10hipError_tPvRmT3_T4_T5_T6_T7_T9_mT8_P12ihipStream_tbDpT10_ENKUlT_T0_E_clISt17integral_constantIbLb1EES1B_IbLb0EEEEDaS17_S18_EUlS17_E_NS1_11comp_targetILNS1_3genE10ELNS1_11target_archE1200ELNS1_3gpuE4ELNS1_3repE0EEENS1_30default_config_static_selectorELNS0_4arch9wavefront6targetE1EEEvT1_ ; -- Begin function _ZN7rocprim17ROCPRIM_400000_NS6detail17trampoline_kernelINS0_14default_configENS1_25partition_config_selectorILNS1_17partition_subalgoE8ElNS0_10empty_typeEbEEZZNS1_14partition_implILS5_8ELb0ES3_jPlPS6_PKS6_NS0_5tupleIJS9_S6_EEENSD_IJSA_SA_EEENS0_18inequality_wrapperIZN2at6native12_GLOBAL__N_124unique_dim_cuda_templateIhEESt5tupleIJNSH_6TensorESM_SM_EERKSM_lbbbEUlllE0_EEPmJS6_EEE10hipError_tPvRmT3_T4_T5_T6_T7_T9_mT8_P12ihipStream_tbDpT10_ENKUlT_T0_E_clISt17integral_constantIbLb1EES1B_IbLb0EEEEDaS17_S18_EUlS17_E_NS1_11comp_targetILNS1_3genE10ELNS1_11target_archE1200ELNS1_3gpuE4ELNS1_3repE0EEENS1_30default_config_static_selectorELNS0_4arch9wavefront6targetE1EEEvT1_
	.p2align	8
	.type	_ZN7rocprim17ROCPRIM_400000_NS6detail17trampoline_kernelINS0_14default_configENS1_25partition_config_selectorILNS1_17partition_subalgoE8ElNS0_10empty_typeEbEEZZNS1_14partition_implILS5_8ELb0ES3_jPlPS6_PKS6_NS0_5tupleIJS9_S6_EEENSD_IJSA_SA_EEENS0_18inequality_wrapperIZN2at6native12_GLOBAL__N_124unique_dim_cuda_templateIhEESt5tupleIJNSH_6TensorESM_SM_EERKSM_lbbbEUlllE0_EEPmJS6_EEE10hipError_tPvRmT3_T4_T5_T6_T7_T9_mT8_P12ihipStream_tbDpT10_ENKUlT_T0_E_clISt17integral_constantIbLb1EES1B_IbLb0EEEEDaS17_S18_EUlS17_E_NS1_11comp_targetILNS1_3genE10ELNS1_11target_archE1200ELNS1_3gpuE4ELNS1_3repE0EEENS1_30default_config_static_selectorELNS0_4arch9wavefront6targetE1EEEvT1_,@function
_ZN7rocprim17ROCPRIM_400000_NS6detail17trampoline_kernelINS0_14default_configENS1_25partition_config_selectorILNS1_17partition_subalgoE8ElNS0_10empty_typeEbEEZZNS1_14partition_implILS5_8ELb0ES3_jPlPS6_PKS6_NS0_5tupleIJS9_S6_EEENSD_IJSA_SA_EEENS0_18inequality_wrapperIZN2at6native12_GLOBAL__N_124unique_dim_cuda_templateIhEESt5tupleIJNSH_6TensorESM_SM_EERKSM_lbbbEUlllE0_EEPmJS6_EEE10hipError_tPvRmT3_T4_T5_T6_T7_T9_mT8_P12ihipStream_tbDpT10_ENKUlT_T0_E_clISt17integral_constantIbLb1EES1B_IbLb0EEEEDaS17_S18_EUlS17_E_NS1_11comp_targetILNS1_3genE10ELNS1_11target_archE1200ELNS1_3gpuE4ELNS1_3repE0EEENS1_30default_config_static_selectorELNS0_4arch9wavefront6targetE1EEEvT1_: ; @_ZN7rocprim17ROCPRIM_400000_NS6detail17trampoline_kernelINS0_14default_configENS1_25partition_config_selectorILNS1_17partition_subalgoE8ElNS0_10empty_typeEbEEZZNS1_14partition_implILS5_8ELb0ES3_jPlPS6_PKS6_NS0_5tupleIJS9_S6_EEENSD_IJSA_SA_EEENS0_18inequality_wrapperIZN2at6native12_GLOBAL__N_124unique_dim_cuda_templateIhEESt5tupleIJNSH_6TensorESM_SM_EERKSM_lbbbEUlllE0_EEPmJS6_EEE10hipError_tPvRmT3_T4_T5_T6_T7_T9_mT8_P12ihipStream_tbDpT10_ENKUlT_T0_E_clISt17integral_constantIbLb1EES1B_IbLb0EEEEDaS17_S18_EUlS17_E_NS1_11comp_targetILNS1_3genE10ELNS1_11target_archE1200ELNS1_3gpuE4ELNS1_3repE0EEENS1_30default_config_static_selectorELNS0_4arch9wavefront6targetE1EEEvT1_
; %bb.0:
	.section	.rodata,"a",@progbits
	.p2align	6, 0x0
	.amdhsa_kernel _ZN7rocprim17ROCPRIM_400000_NS6detail17trampoline_kernelINS0_14default_configENS1_25partition_config_selectorILNS1_17partition_subalgoE8ElNS0_10empty_typeEbEEZZNS1_14partition_implILS5_8ELb0ES3_jPlPS6_PKS6_NS0_5tupleIJS9_S6_EEENSD_IJSA_SA_EEENS0_18inequality_wrapperIZN2at6native12_GLOBAL__N_124unique_dim_cuda_templateIhEESt5tupleIJNSH_6TensorESM_SM_EERKSM_lbbbEUlllE0_EEPmJS6_EEE10hipError_tPvRmT3_T4_T5_T6_T7_T9_mT8_P12ihipStream_tbDpT10_ENKUlT_T0_E_clISt17integral_constantIbLb1EES1B_IbLb0EEEEDaS17_S18_EUlS17_E_NS1_11comp_targetILNS1_3genE10ELNS1_11target_archE1200ELNS1_3gpuE4ELNS1_3repE0EEENS1_30default_config_static_selectorELNS0_4arch9wavefront6targetE1EEEvT1_
		.amdhsa_group_segment_fixed_size 0
		.amdhsa_private_segment_fixed_size 0
		.amdhsa_kernarg_size 120
		.amdhsa_user_sgpr_count 2
		.amdhsa_user_sgpr_dispatch_ptr 0
		.amdhsa_user_sgpr_queue_ptr 0
		.amdhsa_user_sgpr_kernarg_segment_ptr 1
		.amdhsa_user_sgpr_dispatch_id 0
		.amdhsa_user_sgpr_kernarg_preload_length 0
		.amdhsa_user_sgpr_kernarg_preload_offset 0
		.amdhsa_user_sgpr_private_segment_size 0
		.amdhsa_uses_dynamic_stack 0
		.amdhsa_enable_private_segment 0
		.amdhsa_system_sgpr_workgroup_id_x 1
		.amdhsa_system_sgpr_workgroup_id_y 0
		.amdhsa_system_sgpr_workgroup_id_z 0
		.amdhsa_system_sgpr_workgroup_info 0
		.amdhsa_system_vgpr_workitem_id 0
		.amdhsa_next_free_vgpr 1
		.amdhsa_next_free_sgpr 0
		.amdhsa_accum_offset 4
		.amdhsa_reserve_vcc 0
		.amdhsa_float_round_mode_32 0
		.amdhsa_float_round_mode_16_64 0
		.amdhsa_float_denorm_mode_32 3
		.amdhsa_float_denorm_mode_16_64 3
		.amdhsa_dx10_clamp 1
		.amdhsa_ieee_mode 1
		.amdhsa_fp16_overflow 0
		.amdhsa_tg_split 0
		.amdhsa_exception_fp_ieee_invalid_op 0
		.amdhsa_exception_fp_denorm_src 0
		.amdhsa_exception_fp_ieee_div_zero 0
		.amdhsa_exception_fp_ieee_overflow 0
		.amdhsa_exception_fp_ieee_underflow 0
		.amdhsa_exception_fp_ieee_inexact 0
		.amdhsa_exception_int_div_zero 0
	.end_amdhsa_kernel
	.section	.text._ZN7rocprim17ROCPRIM_400000_NS6detail17trampoline_kernelINS0_14default_configENS1_25partition_config_selectorILNS1_17partition_subalgoE8ElNS0_10empty_typeEbEEZZNS1_14partition_implILS5_8ELb0ES3_jPlPS6_PKS6_NS0_5tupleIJS9_S6_EEENSD_IJSA_SA_EEENS0_18inequality_wrapperIZN2at6native12_GLOBAL__N_124unique_dim_cuda_templateIhEESt5tupleIJNSH_6TensorESM_SM_EERKSM_lbbbEUlllE0_EEPmJS6_EEE10hipError_tPvRmT3_T4_T5_T6_T7_T9_mT8_P12ihipStream_tbDpT10_ENKUlT_T0_E_clISt17integral_constantIbLb1EES1B_IbLb0EEEEDaS17_S18_EUlS17_E_NS1_11comp_targetILNS1_3genE10ELNS1_11target_archE1200ELNS1_3gpuE4ELNS1_3repE0EEENS1_30default_config_static_selectorELNS0_4arch9wavefront6targetE1EEEvT1_,"axG",@progbits,_ZN7rocprim17ROCPRIM_400000_NS6detail17trampoline_kernelINS0_14default_configENS1_25partition_config_selectorILNS1_17partition_subalgoE8ElNS0_10empty_typeEbEEZZNS1_14partition_implILS5_8ELb0ES3_jPlPS6_PKS6_NS0_5tupleIJS9_S6_EEENSD_IJSA_SA_EEENS0_18inequality_wrapperIZN2at6native12_GLOBAL__N_124unique_dim_cuda_templateIhEESt5tupleIJNSH_6TensorESM_SM_EERKSM_lbbbEUlllE0_EEPmJS6_EEE10hipError_tPvRmT3_T4_T5_T6_T7_T9_mT8_P12ihipStream_tbDpT10_ENKUlT_T0_E_clISt17integral_constantIbLb1EES1B_IbLb0EEEEDaS17_S18_EUlS17_E_NS1_11comp_targetILNS1_3genE10ELNS1_11target_archE1200ELNS1_3gpuE4ELNS1_3repE0EEENS1_30default_config_static_selectorELNS0_4arch9wavefront6targetE1EEEvT1_,comdat
.Lfunc_end193:
	.size	_ZN7rocprim17ROCPRIM_400000_NS6detail17trampoline_kernelINS0_14default_configENS1_25partition_config_selectorILNS1_17partition_subalgoE8ElNS0_10empty_typeEbEEZZNS1_14partition_implILS5_8ELb0ES3_jPlPS6_PKS6_NS0_5tupleIJS9_S6_EEENSD_IJSA_SA_EEENS0_18inequality_wrapperIZN2at6native12_GLOBAL__N_124unique_dim_cuda_templateIhEESt5tupleIJNSH_6TensorESM_SM_EERKSM_lbbbEUlllE0_EEPmJS6_EEE10hipError_tPvRmT3_T4_T5_T6_T7_T9_mT8_P12ihipStream_tbDpT10_ENKUlT_T0_E_clISt17integral_constantIbLb1EES1B_IbLb0EEEEDaS17_S18_EUlS17_E_NS1_11comp_targetILNS1_3genE10ELNS1_11target_archE1200ELNS1_3gpuE4ELNS1_3repE0EEENS1_30default_config_static_selectorELNS0_4arch9wavefront6targetE1EEEvT1_, .Lfunc_end193-_ZN7rocprim17ROCPRIM_400000_NS6detail17trampoline_kernelINS0_14default_configENS1_25partition_config_selectorILNS1_17partition_subalgoE8ElNS0_10empty_typeEbEEZZNS1_14partition_implILS5_8ELb0ES3_jPlPS6_PKS6_NS0_5tupleIJS9_S6_EEENSD_IJSA_SA_EEENS0_18inequality_wrapperIZN2at6native12_GLOBAL__N_124unique_dim_cuda_templateIhEESt5tupleIJNSH_6TensorESM_SM_EERKSM_lbbbEUlllE0_EEPmJS6_EEE10hipError_tPvRmT3_T4_T5_T6_T7_T9_mT8_P12ihipStream_tbDpT10_ENKUlT_T0_E_clISt17integral_constantIbLb1EES1B_IbLb0EEEEDaS17_S18_EUlS17_E_NS1_11comp_targetILNS1_3genE10ELNS1_11target_archE1200ELNS1_3gpuE4ELNS1_3repE0EEENS1_30default_config_static_selectorELNS0_4arch9wavefront6targetE1EEEvT1_
                                        ; -- End function
	.section	.AMDGPU.csdata,"",@progbits
; Kernel info:
; codeLenInByte = 0
; NumSgprs: 6
; NumVgprs: 0
; NumAgprs: 0
; TotalNumVgprs: 0
; ScratchSize: 0
; MemoryBound: 0
; FloatMode: 240
; IeeeMode: 1
; LDSByteSize: 0 bytes/workgroup (compile time only)
; SGPRBlocks: 0
; VGPRBlocks: 0
; NumSGPRsForWavesPerEU: 6
; NumVGPRsForWavesPerEU: 1
; AccumOffset: 4
; Occupancy: 8
; WaveLimiterHint : 0
; COMPUTE_PGM_RSRC2:SCRATCH_EN: 0
; COMPUTE_PGM_RSRC2:USER_SGPR: 2
; COMPUTE_PGM_RSRC2:TRAP_HANDLER: 0
; COMPUTE_PGM_RSRC2:TGID_X_EN: 1
; COMPUTE_PGM_RSRC2:TGID_Y_EN: 0
; COMPUTE_PGM_RSRC2:TGID_Z_EN: 0
; COMPUTE_PGM_RSRC2:TIDIG_COMP_CNT: 0
; COMPUTE_PGM_RSRC3_GFX90A:ACCUM_OFFSET: 0
; COMPUTE_PGM_RSRC3_GFX90A:TG_SPLIT: 0
	.section	.text._ZN7rocprim17ROCPRIM_400000_NS6detail17trampoline_kernelINS0_14default_configENS1_25partition_config_selectorILNS1_17partition_subalgoE8ElNS0_10empty_typeEbEEZZNS1_14partition_implILS5_8ELb0ES3_jPlPS6_PKS6_NS0_5tupleIJS9_S6_EEENSD_IJSA_SA_EEENS0_18inequality_wrapperIZN2at6native12_GLOBAL__N_124unique_dim_cuda_templateIhEESt5tupleIJNSH_6TensorESM_SM_EERKSM_lbbbEUlllE0_EEPmJS6_EEE10hipError_tPvRmT3_T4_T5_T6_T7_T9_mT8_P12ihipStream_tbDpT10_ENKUlT_T0_E_clISt17integral_constantIbLb1EES1B_IbLb0EEEEDaS17_S18_EUlS17_E_NS1_11comp_targetILNS1_3genE9ELNS1_11target_archE1100ELNS1_3gpuE3ELNS1_3repE0EEENS1_30default_config_static_selectorELNS0_4arch9wavefront6targetE1EEEvT1_,"axG",@progbits,_ZN7rocprim17ROCPRIM_400000_NS6detail17trampoline_kernelINS0_14default_configENS1_25partition_config_selectorILNS1_17partition_subalgoE8ElNS0_10empty_typeEbEEZZNS1_14partition_implILS5_8ELb0ES3_jPlPS6_PKS6_NS0_5tupleIJS9_S6_EEENSD_IJSA_SA_EEENS0_18inequality_wrapperIZN2at6native12_GLOBAL__N_124unique_dim_cuda_templateIhEESt5tupleIJNSH_6TensorESM_SM_EERKSM_lbbbEUlllE0_EEPmJS6_EEE10hipError_tPvRmT3_T4_T5_T6_T7_T9_mT8_P12ihipStream_tbDpT10_ENKUlT_T0_E_clISt17integral_constantIbLb1EES1B_IbLb0EEEEDaS17_S18_EUlS17_E_NS1_11comp_targetILNS1_3genE9ELNS1_11target_archE1100ELNS1_3gpuE3ELNS1_3repE0EEENS1_30default_config_static_selectorELNS0_4arch9wavefront6targetE1EEEvT1_,comdat
	.globl	_ZN7rocprim17ROCPRIM_400000_NS6detail17trampoline_kernelINS0_14default_configENS1_25partition_config_selectorILNS1_17partition_subalgoE8ElNS0_10empty_typeEbEEZZNS1_14partition_implILS5_8ELb0ES3_jPlPS6_PKS6_NS0_5tupleIJS9_S6_EEENSD_IJSA_SA_EEENS0_18inequality_wrapperIZN2at6native12_GLOBAL__N_124unique_dim_cuda_templateIhEESt5tupleIJNSH_6TensorESM_SM_EERKSM_lbbbEUlllE0_EEPmJS6_EEE10hipError_tPvRmT3_T4_T5_T6_T7_T9_mT8_P12ihipStream_tbDpT10_ENKUlT_T0_E_clISt17integral_constantIbLb1EES1B_IbLb0EEEEDaS17_S18_EUlS17_E_NS1_11comp_targetILNS1_3genE9ELNS1_11target_archE1100ELNS1_3gpuE3ELNS1_3repE0EEENS1_30default_config_static_selectorELNS0_4arch9wavefront6targetE1EEEvT1_ ; -- Begin function _ZN7rocprim17ROCPRIM_400000_NS6detail17trampoline_kernelINS0_14default_configENS1_25partition_config_selectorILNS1_17partition_subalgoE8ElNS0_10empty_typeEbEEZZNS1_14partition_implILS5_8ELb0ES3_jPlPS6_PKS6_NS0_5tupleIJS9_S6_EEENSD_IJSA_SA_EEENS0_18inequality_wrapperIZN2at6native12_GLOBAL__N_124unique_dim_cuda_templateIhEESt5tupleIJNSH_6TensorESM_SM_EERKSM_lbbbEUlllE0_EEPmJS6_EEE10hipError_tPvRmT3_T4_T5_T6_T7_T9_mT8_P12ihipStream_tbDpT10_ENKUlT_T0_E_clISt17integral_constantIbLb1EES1B_IbLb0EEEEDaS17_S18_EUlS17_E_NS1_11comp_targetILNS1_3genE9ELNS1_11target_archE1100ELNS1_3gpuE3ELNS1_3repE0EEENS1_30default_config_static_selectorELNS0_4arch9wavefront6targetE1EEEvT1_
	.p2align	8
	.type	_ZN7rocprim17ROCPRIM_400000_NS6detail17trampoline_kernelINS0_14default_configENS1_25partition_config_selectorILNS1_17partition_subalgoE8ElNS0_10empty_typeEbEEZZNS1_14partition_implILS5_8ELb0ES3_jPlPS6_PKS6_NS0_5tupleIJS9_S6_EEENSD_IJSA_SA_EEENS0_18inequality_wrapperIZN2at6native12_GLOBAL__N_124unique_dim_cuda_templateIhEESt5tupleIJNSH_6TensorESM_SM_EERKSM_lbbbEUlllE0_EEPmJS6_EEE10hipError_tPvRmT3_T4_T5_T6_T7_T9_mT8_P12ihipStream_tbDpT10_ENKUlT_T0_E_clISt17integral_constantIbLb1EES1B_IbLb0EEEEDaS17_S18_EUlS17_E_NS1_11comp_targetILNS1_3genE9ELNS1_11target_archE1100ELNS1_3gpuE3ELNS1_3repE0EEENS1_30default_config_static_selectorELNS0_4arch9wavefront6targetE1EEEvT1_,@function
_ZN7rocprim17ROCPRIM_400000_NS6detail17trampoline_kernelINS0_14default_configENS1_25partition_config_selectorILNS1_17partition_subalgoE8ElNS0_10empty_typeEbEEZZNS1_14partition_implILS5_8ELb0ES3_jPlPS6_PKS6_NS0_5tupleIJS9_S6_EEENSD_IJSA_SA_EEENS0_18inequality_wrapperIZN2at6native12_GLOBAL__N_124unique_dim_cuda_templateIhEESt5tupleIJNSH_6TensorESM_SM_EERKSM_lbbbEUlllE0_EEPmJS6_EEE10hipError_tPvRmT3_T4_T5_T6_T7_T9_mT8_P12ihipStream_tbDpT10_ENKUlT_T0_E_clISt17integral_constantIbLb1EES1B_IbLb0EEEEDaS17_S18_EUlS17_E_NS1_11comp_targetILNS1_3genE9ELNS1_11target_archE1100ELNS1_3gpuE3ELNS1_3repE0EEENS1_30default_config_static_selectorELNS0_4arch9wavefront6targetE1EEEvT1_: ; @_ZN7rocprim17ROCPRIM_400000_NS6detail17trampoline_kernelINS0_14default_configENS1_25partition_config_selectorILNS1_17partition_subalgoE8ElNS0_10empty_typeEbEEZZNS1_14partition_implILS5_8ELb0ES3_jPlPS6_PKS6_NS0_5tupleIJS9_S6_EEENSD_IJSA_SA_EEENS0_18inequality_wrapperIZN2at6native12_GLOBAL__N_124unique_dim_cuda_templateIhEESt5tupleIJNSH_6TensorESM_SM_EERKSM_lbbbEUlllE0_EEPmJS6_EEE10hipError_tPvRmT3_T4_T5_T6_T7_T9_mT8_P12ihipStream_tbDpT10_ENKUlT_T0_E_clISt17integral_constantIbLb1EES1B_IbLb0EEEEDaS17_S18_EUlS17_E_NS1_11comp_targetILNS1_3genE9ELNS1_11target_archE1100ELNS1_3gpuE3ELNS1_3repE0EEENS1_30default_config_static_selectorELNS0_4arch9wavefront6targetE1EEEvT1_
; %bb.0:
	.section	.rodata,"a",@progbits
	.p2align	6, 0x0
	.amdhsa_kernel _ZN7rocprim17ROCPRIM_400000_NS6detail17trampoline_kernelINS0_14default_configENS1_25partition_config_selectorILNS1_17partition_subalgoE8ElNS0_10empty_typeEbEEZZNS1_14partition_implILS5_8ELb0ES3_jPlPS6_PKS6_NS0_5tupleIJS9_S6_EEENSD_IJSA_SA_EEENS0_18inequality_wrapperIZN2at6native12_GLOBAL__N_124unique_dim_cuda_templateIhEESt5tupleIJNSH_6TensorESM_SM_EERKSM_lbbbEUlllE0_EEPmJS6_EEE10hipError_tPvRmT3_T4_T5_T6_T7_T9_mT8_P12ihipStream_tbDpT10_ENKUlT_T0_E_clISt17integral_constantIbLb1EES1B_IbLb0EEEEDaS17_S18_EUlS17_E_NS1_11comp_targetILNS1_3genE9ELNS1_11target_archE1100ELNS1_3gpuE3ELNS1_3repE0EEENS1_30default_config_static_selectorELNS0_4arch9wavefront6targetE1EEEvT1_
		.amdhsa_group_segment_fixed_size 0
		.amdhsa_private_segment_fixed_size 0
		.amdhsa_kernarg_size 120
		.amdhsa_user_sgpr_count 2
		.amdhsa_user_sgpr_dispatch_ptr 0
		.amdhsa_user_sgpr_queue_ptr 0
		.amdhsa_user_sgpr_kernarg_segment_ptr 1
		.amdhsa_user_sgpr_dispatch_id 0
		.amdhsa_user_sgpr_kernarg_preload_length 0
		.amdhsa_user_sgpr_kernarg_preload_offset 0
		.amdhsa_user_sgpr_private_segment_size 0
		.amdhsa_uses_dynamic_stack 0
		.amdhsa_enable_private_segment 0
		.amdhsa_system_sgpr_workgroup_id_x 1
		.amdhsa_system_sgpr_workgroup_id_y 0
		.amdhsa_system_sgpr_workgroup_id_z 0
		.amdhsa_system_sgpr_workgroup_info 0
		.amdhsa_system_vgpr_workitem_id 0
		.amdhsa_next_free_vgpr 1
		.amdhsa_next_free_sgpr 0
		.amdhsa_accum_offset 4
		.amdhsa_reserve_vcc 0
		.amdhsa_float_round_mode_32 0
		.amdhsa_float_round_mode_16_64 0
		.amdhsa_float_denorm_mode_32 3
		.amdhsa_float_denorm_mode_16_64 3
		.amdhsa_dx10_clamp 1
		.amdhsa_ieee_mode 1
		.amdhsa_fp16_overflow 0
		.amdhsa_tg_split 0
		.amdhsa_exception_fp_ieee_invalid_op 0
		.amdhsa_exception_fp_denorm_src 0
		.amdhsa_exception_fp_ieee_div_zero 0
		.amdhsa_exception_fp_ieee_overflow 0
		.amdhsa_exception_fp_ieee_underflow 0
		.amdhsa_exception_fp_ieee_inexact 0
		.amdhsa_exception_int_div_zero 0
	.end_amdhsa_kernel
	.section	.text._ZN7rocprim17ROCPRIM_400000_NS6detail17trampoline_kernelINS0_14default_configENS1_25partition_config_selectorILNS1_17partition_subalgoE8ElNS0_10empty_typeEbEEZZNS1_14partition_implILS5_8ELb0ES3_jPlPS6_PKS6_NS0_5tupleIJS9_S6_EEENSD_IJSA_SA_EEENS0_18inequality_wrapperIZN2at6native12_GLOBAL__N_124unique_dim_cuda_templateIhEESt5tupleIJNSH_6TensorESM_SM_EERKSM_lbbbEUlllE0_EEPmJS6_EEE10hipError_tPvRmT3_T4_T5_T6_T7_T9_mT8_P12ihipStream_tbDpT10_ENKUlT_T0_E_clISt17integral_constantIbLb1EES1B_IbLb0EEEEDaS17_S18_EUlS17_E_NS1_11comp_targetILNS1_3genE9ELNS1_11target_archE1100ELNS1_3gpuE3ELNS1_3repE0EEENS1_30default_config_static_selectorELNS0_4arch9wavefront6targetE1EEEvT1_,"axG",@progbits,_ZN7rocprim17ROCPRIM_400000_NS6detail17trampoline_kernelINS0_14default_configENS1_25partition_config_selectorILNS1_17partition_subalgoE8ElNS0_10empty_typeEbEEZZNS1_14partition_implILS5_8ELb0ES3_jPlPS6_PKS6_NS0_5tupleIJS9_S6_EEENSD_IJSA_SA_EEENS0_18inequality_wrapperIZN2at6native12_GLOBAL__N_124unique_dim_cuda_templateIhEESt5tupleIJNSH_6TensorESM_SM_EERKSM_lbbbEUlllE0_EEPmJS6_EEE10hipError_tPvRmT3_T4_T5_T6_T7_T9_mT8_P12ihipStream_tbDpT10_ENKUlT_T0_E_clISt17integral_constantIbLb1EES1B_IbLb0EEEEDaS17_S18_EUlS17_E_NS1_11comp_targetILNS1_3genE9ELNS1_11target_archE1100ELNS1_3gpuE3ELNS1_3repE0EEENS1_30default_config_static_selectorELNS0_4arch9wavefront6targetE1EEEvT1_,comdat
.Lfunc_end194:
	.size	_ZN7rocprim17ROCPRIM_400000_NS6detail17trampoline_kernelINS0_14default_configENS1_25partition_config_selectorILNS1_17partition_subalgoE8ElNS0_10empty_typeEbEEZZNS1_14partition_implILS5_8ELb0ES3_jPlPS6_PKS6_NS0_5tupleIJS9_S6_EEENSD_IJSA_SA_EEENS0_18inequality_wrapperIZN2at6native12_GLOBAL__N_124unique_dim_cuda_templateIhEESt5tupleIJNSH_6TensorESM_SM_EERKSM_lbbbEUlllE0_EEPmJS6_EEE10hipError_tPvRmT3_T4_T5_T6_T7_T9_mT8_P12ihipStream_tbDpT10_ENKUlT_T0_E_clISt17integral_constantIbLb1EES1B_IbLb0EEEEDaS17_S18_EUlS17_E_NS1_11comp_targetILNS1_3genE9ELNS1_11target_archE1100ELNS1_3gpuE3ELNS1_3repE0EEENS1_30default_config_static_selectorELNS0_4arch9wavefront6targetE1EEEvT1_, .Lfunc_end194-_ZN7rocprim17ROCPRIM_400000_NS6detail17trampoline_kernelINS0_14default_configENS1_25partition_config_selectorILNS1_17partition_subalgoE8ElNS0_10empty_typeEbEEZZNS1_14partition_implILS5_8ELb0ES3_jPlPS6_PKS6_NS0_5tupleIJS9_S6_EEENSD_IJSA_SA_EEENS0_18inequality_wrapperIZN2at6native12_GLOBAL__N_124unique_dim_cuda_templateIhEESt5tupleIJNSH_6TensorESM_SM_EERKSM_lbbbEUlllE0_EEPmJS6_EEE10hipError_tPvRmT3_T4_T5_T6_T7_T9_mT8_P12ihipStream_tbDpT10_ENKUlT_T0_E_clISt17integral_constantIbLb1EES1B_IbLb0EEEEDaS17_S18_EUlS17_E_NS1_11comp_targetILNS1_3genE9ELNS1_11target_archE1100ELNS1_3gpuE3ELNS1_3repE0EEENS1_30default_config_static_selectorELNS0_4arch9wavefront6targetE1EEEvT1_
                                        ; -- End function
	.section	.AMDGPU.csdata,"",@progbits
; Kernel info:
; codeLenInByte = 0
; NumSgprs: 6
; NumVgprs: 0
; NumAgprs: 0
; TotalNumVgprs: 0
; ScratchSize: 0
; MemoryBound: 0
; FloatMode: 240
; IeeeMode: 1
; LDSByteSize: 0 bytes/workgroup (compile time only)
; SGPRBlocks: 0
; VGPRBlocks: 0
; NumSGPRsForWavesPerEU: 6
; NumVGPRsForWavesPerEU: 1
; AccumOffset: 4
; Occupancy: 8
; WaveLimiterHint : 0
; COMPUTE_PGM_RSRC2:SCRATCH_EN: 0
; COMPUTE_PGM_RSRC2:USER_SGPR: 2
; COMPUTE_PGM_RSRC2:TRAP_HANDLER: 0
; COMPUTE_PGM_RSRC2:TGID_X_EN: 1
; COMPUTE_PGM_RSRC2:TGID_Y_EN: 0
; COMPUTE_PGM_RSRC2:TGID_Z_EN: 0
; COMPUTE_PGM_RSRC2:TIDIG_COMP_CNT: 0
; COMPUTE_PGM_RSRC3_GFX90A:ACCUM_OFFSET: 0
; COMPUTE_PGM_RSRC3_GFX90A:TG_SPLIT: 0
	.section	.text._ZN7rocprim17ROCPRIM_400000_NS6detail17trampoline_kernelINS0_14default_configENS1_25partition_config_selectorILNS1_17partition_subalgoE8ElNS0_10empty_typeEbEEZZNS1_14partition_implILS5_8ELb0ES3_jPlPS6_PKS6_NS0_5tupleIJS9_S6_EEENSD_IJSA_SA_EEENS0_18inequality_wrapperIZN2at6native12_GLOBAL__N_124unique_dim_cuda_templateIhEESt5tupleIJNSH_6TensorESM_SM_EERKSM_lbbbEUlllE0_EEPmJS6_EEE10hipError_tPvRmT3_T4_T5_T6_T7_T9_mT8_P12ihipStream_tbDpT10_ENKUlT_T0_E_clISt17integral_constantIbLb1EES1B_IbLb0EEEEDaS17_S18_EUlS17_E_NS1_11comp_targetILNS1_3genE8ELNS1_11target_archE1030ELNS1_3gpuE2ELNS1_3repE0EEENS1_30default_config_static_selectorELNS0_4arch9wavefront6targetE1EEEvT1_,"axG",@progbits,_ZN7rocprim17ROCPRIM_400000_NS6detail17trampoline_kernelINS0_14default_configENS1_25partition_config_selectorILNS1_17partition_subalgoE8ElNS0_10empty_typeEbEEZZNS1_14partition_implILS5_8ELb0ES3_jPlPS6_PKS6_NS0_5tupleIJS9_S6_EEENSD_IJSA_SA_EEENS0_18inequality_wrapperIZN2at6native12_GLOBAL__N_124unique_dim_cuda_templateIhEESt5tupleIJNSH_6TensorESM_SM_EERKSM_lbbbEUlllE0_EEPmJS6_EEE10hipError_tPvRmT3_T4_T5_T6_T7_T9_mT8_P12ihipStream_tbDpT10_ENKUlT_T0_E_clISt17integral_constantIbLb1EES1B_IbLb0EEEEDaS17_S18_EUlS17_E_NS1_11comp_targetILNS1_3genE8ELNS1_11target_archE1030ELNS1_3gpuE2ELNS1_3repE0EEENS1_30default_config_static_selectorELNS0_4arch9wavefront6targetE1EEEvT1_,comdat
	.globl	_ZN7rocprim17ROCPRIM_400000_NS6detail17trampoline_kernelINS0_14default_configENS1_25partition_config_selectorILNS1_17partition_subalgoE8ElNS0_10empty_typeEbEEZZNS1_14partition_implILS5_8ELb0ES3_jPlPS6_PKS6_NS0_5tupleIJS9_S6_EEENSD_IJSA_SA_EEENS0_18inequality_wrapperIZN2at6native12_GLOBAL__N_124unique_dim_cuda_templateIhEESt5tupleIJNSH_6TensorESM_SM_EERKSM_lbbbEUlllE0_EEPmJS6_EEE10hipError_tPvRmT3_T4_T5_T6_T7_T9_mT8_P12ihipStream_tbDpT10_ENKUlT_T0_E_clISt17integral_constantIbLb1EES1B_IbLb0EEEEDaS17_S18_EUlS17_E_NS1_11comp_targetILNS1_3genE8ELNS1_11target_archE1030ELNS1_3gpuE2ELNS1_3repE0EEENS1_30default_config_static_selectorELNS0_4arch9wavefront6targetE1EEEvT1_ ; -- Begin function _ZN7rocprim17ROCPRIM_400000_NS6detail17trampoline_kernelINS0_14default_configENS1_25partition_config_selectorILNS1_17partition_subalgoE8ElNS0_10empty_typeEbEEZZNS1_14partition_implILS5_8ELb0ES3_jPlPS6_PKS6_NS0_5tupleIJS9_S6_EEENSD_IJSA_SA_EEENS0_18inequality_wrapperIZN2at6native12_GLOBAL__N_124unique_dim_cuda_templateIhEESt5tupleIJNSH_6TensorESM_SM_EERKSM_lbbbEUlllE0_EEPmJS6_EEE10hipError_tPvRmT3_T4_T5_T6_T7_T9_mT8_P12ihipStream_tbDpT10_ENKUlT_T0_E_clISt17integral_constantIbLb1EES1B_IbLb0EEEEDaS17_S18_EUlS17_E_NS1_11comp_targetILNS1_3genE8ELNS1_11target_archE1030ELNS1_3gpuE2ELNS1_3repE0EEENS1_30default_config_static_selectorELNS0_4arch9wavefront6targetE1EEEvT1_
	.p2align	8
	.type	_ZN7rocprim17ROCPRIM_400000_NS6detail17trampoline_kernelINS0_14default_configENS1_25partition_config_selectorILNS1_17partition_subalgoE8ElNS0_10empty_typeEbEEZZNS1_14partition_implILS5_8ELb0ES3_jPlPS6_PKS6_NS0_5tupleIJS9_S6_EEENSD_IJSA_SA_EEENS0_18inequality_wrapperIZN2at6native12_GLOBAL__N_124unique_dim_cuda_templateIhEESt5tupleIJNSH_6TensorESM_SM_EERKSM_lbbbEUlllE0_EEPmJS6_EEE10hipError_tPvRmT3_T4_T5_T6_T7_T9_mT8_P12ihipStream_tbDpT10_ENKUlT_T0_E_clISt17integral_constantIbLb1EES1B_IbLb0EEEEDaS17_S18_EUlS17_E_NS1_11comp_targetILNS1_3genE8ELNS1_11target_archE1030ELNS1_3gpuE2ELNS1_3repE0EEENS1_30default_config_static_selectorELNS0_4arch9wavefront6targetE1EEEvT1_,@function
_ZN7rocprim17ROCPRIM_400000_NS6detail17trampoline_kernelINS0_14default_configENS1_25partition_config_selectorILNS1_17partition_subalgoE8ElNS0_10empty_typeEbEEZZNS1_14partition_implILS5_8ELb0ES3_jPlPS6_PKS6_NS0_5tupleIJS9_S6_EEENSD_IJSA_SA_EEENS0_18inequality_wrapperIZN2at6native12_GLOBAL__N_124unique_dim_cuda_templateIhEESt5tupleIJNSH_6TensorESM_SM_EERKSM_lbbbEUlllE0_EEPmJS6_EEE10hipError_tPvRmT3_T4_T5_T6_T7_T9_mT8_P12ihipStream_tbDpT10_ENKUlT_T0_E_clISt17integral_constantIbLb1EES1B_IbLb0EEEEDaS17_S18_EUlS17_E_NS1_11comp_targetILNS1_3genE8ELNS1_11target_archE1030ELNS1_3gpuE2ELNS1_3repE0EEENS1_30default_config_static_selectorELNS0_4arch9wavefront6targetE1EEEvT1_: ; @_ZN7rocprim17ROCPRIM_400000_NS6detail17trampoline_kernelINS0_14default_configENS1_25partition_config_selectorILNS1_17partition_subalgoE8ElNS0_10empty_typeEbEEZZNS1_14partition_implILS5_8ELb0ES3_jPlPS6_PKS6_NS0_5tupleIJS9_S6_EEENSD_IJSA_SA_EEENS0_18inequality_wrapperIZN2at6native12_GLOBAL__N_124unique_dim_cuda_templateIhEESt5tupleIJNSH_6TensorESM_SM_EERKSM_lbbbEUlllE0_EEPmJS6_EEE10hipError_tPvRmT3_T4_T5_T6_T7_T9_mT8_P12ihipStream_tbDpT10_ENKUlT_T0_E_clISt17integral_constantIbLb1EES1B_IbLb0EEEEDaS17_S18_EUlS17_E_NS1_11comp_targetILNS1_3genE8ELNS1_11target_archE1030ELNS1_3gpuE2ELNS1_3repE0EEENS1_30default_config_static_selectorELNS0_4arch9wavefront6targetE1EEEvT1_
; %bb.0:
	.section	.rodata,"a",@progbits
	.p2align	6, 0x0
	.amdhsa_kernel _ZN7rocprim17ROCPRIM_400000_NS6detail17trampoline_kernelINS0_14default_configENS1_25partition_config_selectorILNS1_17partition_subalgoE8ElNS0_10empty_typeEbEEZZNS1_14partition_implILS5_8ELb0ES3_jPlPS6_PKS6_NS0_5tupleIJS9_S6_EEENSD_IJSA_SA_EEENS0_18inequality_wrapperIZN2at6native12_GLOBAL__N_124unique_dim_cuda_templateIhEESt5tupleIJNSH_6TensorESM_SM_EERKSM_lbbbEUlllE0_EEPmJS6_EEE10hipError_tPvRmT3_T4_T5_T6_T7_T9_mT8_P12ihipStream_tbDpT10_ENKUlT_T0_E_clISt17integral_constantIbLb1EES1B_IbLb0EEEEDaS17_S18_EUlS17_E_NS1_11comp_targetILNS1_3genE8ELNS1_11target_archE1030ELNS1_3gpuE2ELNS1_3repE0EEENS1_30default_config_static_selectorELNS0_4arch9wavefront6targetE1EEEvT1_
		.amdhsa_group_segment_fixed_size 0
		.amdhsa_private_segment_fixed_size 0
		.amdhsa_kernarg_size 120
		.amdhsa_user_sgpr_count 2
		.amdhsa_user_sgpr_dispatch_ptr 0
		.amdhsa_user_sgpr_queue_ptr 0
		.amdhsa_user_sgpr_kernarg_segment_ptr 1
		.amdhsa_user_sgpr_dispatch_id 0
		.amdhsa_user_sgpr_kernarg_preload_length 0
		.amdhsa_user_sgpr_kernarg_preload_offset 0
		.amdhsa_user_sgpr_private_segment_size 0
		.amdhsa_uses_dynamic_stack 0
		.amdhsa_enable_private_segment 0
		.amdhsa_system_sgpr_workgroup_id_x 1
		.amdhsa_system_sgpr_workgroup_id_y 0
		.amdhsa_system_sgpr_workgroup_id_z 0
		.amdhsa_system_sgpr_workgroup_info 0
		.amdhsa_system_vgpr_workitem_id 0
		.amdhsa_next_free_vgpr 1
		.amdhsa_next_free_sgpr 0
		.amdhsa_accum_offset 4
		.amdhsa_reserve_vcc 0
		.amdhsa_float_round_mode_32 0
		.amdhsa_float_round_mode_16_64 0
		.amdhsa_float_denorm_mode_32 3
		.amdhsa_float_denorm_mode_16_64 3
		.amdhsa_dx10_clamp 1
		.amdhsa_ieee_mode 1
		.amdhsa_fp16_overflow 0
		.amdhsa_tg_split 0
		.amdhsa_exception_fp_ieee_invalid_op 0
		.amdhsa_exception_fp_denorm_src 0
		.amdhsa_exception_fp_ieee_div_zero 0
		.amdhsa_exception_fp_ieee_overflow 0
		.amdhsa_exception_fp_ieee_underflow 0
		.amdhsa_exception_fp_ieee_inexact 0
		.amdhsa_exception_int_div_zero 0
	.end_amdhsa_kernel
	.section	.text._ZN7rocprim17ROCPRIM_400000_NS6detail17trampoline_kernelINS0_14default_configENS1_25partition_config_selectorILNS1_17partition_subalgoE8ElNS0_10empty_typeEbEEZZNS1_14partition_implILS5_8ELb0ES3_jPlPS6_PKS6_NS0_5tupleIJS9_S6_EEENSD_IJSA_SA_EEENS0_18inequality_wrapperIZN2at6native12_GLOBAL__N_124unique_dim_cuda_templateIhEESt5tupleIJNSH_6TensorESM_SM_EERKSM_lbbbEUlllE0_EEPmJS6_EEE10hipError_tPvRmT3_T4_T5_T6_T7_T9_mT8_P12ihipStream_tbDpT10_ENKUlT_T0_E_clISt17integral_constantIbLb1EES1B_IbLb0EEEEDaS17_S18_EUlS17_E_NS1_11comp_targetILNS1_3genE8ELNS1_11target_archE1030ELNS1_3gpuE2ELNS1_3repE0EEENS1_30default_config_static_selectorELNS0_4arch9wavefront6targetE1EEEvT1_,"axG",@progbits,_ZN7rocprim17ROCPRIM_400000_NS6detail17trampoline_kernelINS0_14default_configENS1_25partition_config_selectorILNS1_17partition_subalgoE8ElNS0_10empty_typeEbEEZZNS1_14partition_implILS5_8ELb0ES3_jPlPS6_PKS6_NS0_5tupleIJS9_S6_EEENSD_IJSA_SA_EEENS0_18inequality_wrapperIZN2at6native12_GLOBAL__N_124unique_dim_cuda_templateIhEESt5tupleIJNSH_6TensorESM_SM_EERKSM_lbbbEUlllE0_EEPmJS6_EEE10hipError_tPvRmT3_T4_T5_T6_T7_T9_mT8_P12ihipStream_tbDpT10_ENKUlT_T0_E_clISt17integral_constantIbLb1EES1B_IbLb0EEEEDaS17_S18_EUlS17_E_NS1_11comp_targetILNS1_3genE8ELNS1_11target_archE1030ELNS1_3gpuE2ELNS1_3repE0EEENS1_30default_config_static_selectorELNS0_4arch9wavefront6targetE1EEEvT1_,comdat
.Lfunc_end195:
	.size	_ZN7rocprim17ROCPRIM_400000_NS6detail17trampoline_kernelINS0_14default_configENS1_25partition_config_selectorILNS1_17partition_subalgoE8ElNS0_10empty_typeEbEEZZNS1_14partition_implILS5_8ELb0ES3_jPlPS6_PKS6_NS0_5tupleIJS9_S6_EEENSD_IJSA_SA_EEENS0_18inequality_wrapperIZN2at6native12_GLOBAL__N_124unique_dim_cuda_templateIhEESt5tupleIJNSH_6TensorESM_SM_EERKSM_lbbbEUlllE0_EEPmJS6_EEE10hipError_tPvRmT3_T4_T5_T6_T7_T9_mT8_P12ihipStream_tbDpT10_ENKUlT_T0_E_clISt17integral_constantIbLb1EES1B_IbLb0EEEEDaS17_S18_EUlS17_E_NS1_11comp_targetILNS1_3genE8ELNS1_11target_archE1030ELNS1_3gpuE2ELNS1_3repE0EEENS1_30default_config_static_selectorELNS0_4arch9wavefront6targetE1EEEvT1_, .Lfunc_end195-_ZN7rocprim17ROCPRIM_400000_NS6detail17trampoline_kernelINS0_14default_configENS1_25partition_config_selectorILNS1_17partition_subalgoE8ElNS0_10empty_typeEbEEZZNS1_14partition_implILS5_8ELb0ES3_jPlPS6_PKS6_NS0_5tupleIJS9_S6_EEENSD_IJSA_SA_EEENS0_18inequality_wrapperIZN2at6native12_GLOBAL__N_124unique_dim_cuda_templateIhEESt5tupleIJNSH_6TensorESM_SM_EERKSM_lbbbEUlllE0_EEPmJS6_EEE10hipError_tPvRmT3_T4_T5_T6_T7_T9_mT8_P12ihipStream_tbDpT10_ENKUlT_T0_E_clISt17integral_constantIbLb1EES1B_IbLb0EEEEDaS17_S18_EUlS17_E_NS1_11comp_targetILNS1_3genE8ELNS1_11target_archE1030ELNS1_3gpuE2ELNS1_3repE0EEENS1_30default_config_static_selectorELNS0_4arch9wavefront6targetE1EEEvT1_
                                        ; -- End function
	.section	.AMDGPU.csdata,"",@progbits
; Kernel info:
; codeLenInByte = 0
; NumSgprs: 6
; NumVgprs: 0
; NumAgprs: 0
; TotalNumVgprs: 0
; ScratchSize: 0
; MemoryBound: 0
; FloatMode: 240
; IeeeMode: 1
; LDSByteSize: 0 bytes/workgroup (compile time only)
; SGPRBlocks: 0
; VGPRBlocks: 0
; NumSGPRsForWavesPerEU: 6
; NumVGPRsForWavesPerEU: 1
; AccumOffset: 4
; Occupancy: 8
; WaveLimiterHint : 0
; COMPUTE_PGM_RSRC2:SCRATCH_EN: 0
; COMPUTE_PGM_RSRC2:USER_SGPR: 2
; COMPUTE_PGM_RSRC2:TRAP_HANDLER: 0
; COMPUTE_PGM_RSRC2:TGID_X_EN: 1
; COMPUTE_PGM_RSRC2:TGID_Y_EN: 0
; COMPUTE_PGM_RSRC2:TGID_Z_EN: 0
; COMPUTE_PGM_RSRC2:TIDIG_COMP_CNT: 0
; COMPUTE_PGM_RSRC3_GFX90A:ACCUM_OFFSET: 0
; COMPUTE_PGM_RSRC3_GFX90A:TG_SPLIT: 0
	.section	.text._ZN7rocprim17ROCPRIM_400000_NS6detail31init_lookback_scan_state_kernelINS1_19lookback_scan_stateIjLb0ELb1EEENS1_16block_id_wrapperIjLb1EEEEEvT_jT0_jPNS7_10value_typeE,"axG",@progbits,_ZN7rocprim17ROCPRIM_400000_NS6detail31init_lookback_scan_state_kernelINS1_19lookback_scan_stateIjLb0ELb1EEENS1_16block_id_wrapperIjLb1EEEEEvT_jT0_jPNS7_10value_typeE,comdat
	.protected	_ZN7rocprim17ROCPRIM_400000_NS6detail31init_lookback_scan_state_kernelINS1_19lookback_scan_stateIjLb0ELb1EEENS1_16block_id_wrapperIjLb1EEEEEvT_jT0_jPNS7_10value_typeE ; -- Begin function _ZN7rocprim17ROCPRIM_400000_NS6detail31init_lookback_scan_state_kernelINS1_19lookback_scan_stateIjLb0ELb1EEENS1_16block_id_wrapperIjLb1EEEEEvT_jT0_jPNS7_10value_typeE
	.globl	_ZN7rocprim17ROCPRIM_400000_NS6detail31init_lookback_scan_state_kernelINS1_19lookback_scan_stateIjLb0ELb1EEENS1_16block_id_wrapperIjLb1EEEEEvT_jT0_jPNS7_10value_typeE
	.p2align	8
	.type	_ZN7rocprim17ROCPRIM_400000_NS6detail31init_lookback_scan_state_kernelINS1_19lookback_scan_stateIjLb0ELb1EEENS1_16block_id_wrapperIjLb1EEEEEvT_jT0_jPNS7_10value_typeE,@function
_ZN7rocprim17ROCPRIM_400000_NS6detail31init_lookback_scan_state_kernelINS1_19lookback_scan_stateIjLb0ELb1EEENS1_16block_id_wrapperIjLb1EEEEEvT_jT0_jPNS7_10value_typeE: ; @_ZN7rocprim17ROCPRIM_400000_NS6detail31init_lookback_scan_state_kernelINS1_19lookback_scan_stateIjLb0ELb1EEENS1_16block_id_wrapperIjLb1EEEEEvT_jT0_jPNS7_10value_typeE
; %bb.0:
	s_load_dword s3, s[0:1], 0x34
	s_load_dwordx2 s[6:7], s[0:1], 0x20
	s_load_dwordx2 s[4:5], s[0:1], 0x0
	s_load_dword s10, s[0:1], 0x8
	s_waitcnt lgkmcnt(0)
	s_and_b32 s3, s3, 0xffff
	s_mul_i32 s2, s2, s3
	s_cmp_eq_u64 s[6:7], 0
	v_add_u32_e32 v0, s2, v0
	s_cbranch_scc1 .LBB196_6
; %bb.1:
	s_load_dword s8, s[0:1], 0x18
	s_mov_b32 s9, 0
	s_waitcnt lgkmcnt(0)
	s_cmp_lt_u32 s8, s10
	s_cselect_b32 s2, s8, 0
	v_cmp_eq_u32_e32 vcc, s2, v0
	s_and_saveexec_b64 s[2:3], vcc
	s_cbranch_execz .LBB196_5
; %bb.2:
	s_add_i32 s8, s8, 64
	s_lshl_b64 s[8:9], s[8:9], 3
	s_add_u32 s8, s4, s8
	s_addc_u32 s9, s5, s9
	v_mov_b32_e32 v4, 0
	global_load_dwordx2 v[2:3], v4, s[8:9] sc1
	s_waitcnt vmcnt(0)
	v_and_b32_e32 v5, 0xff, v3
	v_cmp_ne_u64_e32 vcc, 0, v[4:5]
	s_cbranch_vccnz .LBB196_4
.LBB196_3:                              ; =>This Inner Loop Header: Depth=1
	global_load_dwordx2 v[2:3], v4, s[8:9] sc1
	s_waitcnt vmcnt(0)
	v_and_b32_e32 v5, 0xff, v3
	v_cmp_eq_u64_e32 vcc, 0, v[4:5]
	s_cbranch_vccnz .LBB196_3
.LBB196_4:
	v_mov_b32_e32 v1, 0
	global_store_dword v1, v2, s[6:7]
.LBB196_5:
	s_or_b64 exec, exec, s[2:3]
.LBB196_6:
	v_cmp_eq_u32_e32 vcc, 0, v0
	s_and_saveexec_b64 s[2:3], vcc
	s_cbranch_execnz .LBB196_10
; %bb.7:
	s_or_b64 exec, exec, s[2:3]
	v_cmp_gt_u32_e32 vcc, s10, v0
	s_and_saveexec_b64 s[0:1], vcc
	s_cbranch_execnz .LBB196_11
.LBB196_8:
	s_or_b64 exec, exec, s[0:1]
	v_cmp_gt_u32_e32 vcc, 64, v0
	s_and_saveexec_b64 s[0:1], vcc
	s_cbranch_execnz .LBB196_12
.LBB196_9:
	s_endpgm
.LBB196_10:
	s_load_dwordx2 s[0:1], s[0:1], 0x10
	v_mov_b32_e32 v1, 0
	s_waitcnt lgkmcnt(0)
	global_store_dword v1, v1, s[0:1]
	s_or_b64 exec, exec, s[2:3]
	v_cmp_gt_u32_e32 vcc, s10, v0
	s_and_saveexec_b64 s[0:1], vcc
	s_cbranch_execz .LBB196_8
.LBB196_11:
	v_add_u32_e32 v2, 64, v0
	v_mov_b32_e32 v3, 0
	v_lshl_add_u64 v[4:5], v[2:3], 3, s[4:5]
	v_mov_b32_e32 v2, v3
	global_store_dwordx2 v[4:5], v[2:3], off
	s_or_b64 exec, exec, s[0:1]
	v_cmp_gt_u32_e32 vcc, 64, v0
	s_and_saveexec_b64 s[0:1], vcc
	s_cbranch_execz .LBB196_9
.LBB196_12:
	v_mov_b32_e32 v1, 0
	v_lshl_add_u64 v[2:3], v[0:1], 3, s[4:5]
	v_mov_b32_e32 v5, 0xff
	v_mov_b32_e32 v4, v1
	global_store_dwordx2 v[2:3], v[4:5], off
	s_endpgm
	.section	.rodata,"a",@progbits
	.p2align	6, 0x0
	.amdhsa_kernel _ZN7rocprim17ROCPRIM_400000_NS6detail31init_lookback_scan_state_kernelINS1_19lookback_scan_stateIjLb0ELb1EEENS1_16block_id_wrapperIjLb1EEEEEvT_jT0_jPNS7_10value_typeE
		.amdhsa_group_segment_fixed_size 0
		.amdhsa_private_segment_fixed_size 0
		.amdhsa_kernarg_size 296
		.amdhsa_user_sgpr_count 2
		.amdhsa_user_sgpr_dispatch_ptr 0
		.amdhsa_user_sgpr_queue_ptr 0
		.amdhsa_user_sgpr_kernarg_segment_ptr 1
		.amdhsa_user_sgpr_dispatch_id 0
		.amdhsa_user_sgpr_kernarg_preload_length 0
		.amdhsa_user_sgpr_kernarg_preload_offset 0
		.amdhsa_user_sgpr_private_segment_size 0
		.amdhsa_uses_dynamic_stack 0
		.amdhsa_enable_private_segment 0
		.amdhsa_system_sgpr_workgroup_id_x 1
		.amdhsa_system_sgpr_workgroup_id_y 0
		.amdhsa_system_sgpr_workgroup_id_z 0
		.amdhsa_system_sgpr_workgroup_info 0
		.amdhsa_system_vgpr_workitem_id 0
		.amdhsa_next_free_vgpr 6
		.amdhsa_next_free_sgpr 11
		.amdhsa_accum_offset 8
		.amdhsa_reserve_vcc 1
		.amdhsa_float_round_mode_32 0
		.amdhsa_float_round_mode_16_64 0
		.amdhsa_float_denorm_mode_32 3
		.amdhsa_float_denorm_mode_16_64 3
		.amdhsa_dx10_clamp 1
		.amdhsa_ieee_mode 1
		.amdhsa_fp16_overflow 0
		.amdhsa_tg_split 0
		.amdhsa_exception_fp_ieee_invalid_op 0
		.amdhsa_exception_fp_denorm_src 0
		.amdhsa_exception_fp_ieee_div_zero 0
		.amdhsa_exception_fp_ieee_overflow 0
		.amdhsa_exception_fp_ieee_underflow 0
		.amdhsa_exception_fp_ieee_inexact 0
		.amdhsa_exception_int_div_zero 0
	.end_amdhsa_kernel
	.section	.text._ZN7rocprim17ROCPRIM_400000_NS6detail31init_lookback_scan_state_kernelINS1_19lookback_scan_stateIjLb0ELb1EEENS1_16block_id_wrapperIjLb1EEEEEvT_jT0_jPNS7_10value_typeE,"axG",@progbits,_ZN7rocprim17ROCPRIM_400000_NS6detail31init_lookback_scan_state_kernelINS1_19lookback_scan_stateIjLb0ELb1EEENS1_16block_id_wrapperIjLb1EEEEEvT_jT0_jPNS7_10value_typeE,comdat
.Lfunc_end196:
	.size	_ZN7rocprim17ROCPRIM_400000_NS6detail31init_lookback_scan_state_kernelINS1_19lookback_scan_stateIjLb0ELb1EEENS1_16block_id_wrapperIjLb1EEEEEvT_jT0_jPNS7_10value_typeE, .Lfunc_end196-_ZN7rocprim17ROCPRIM_400000_NS6detail31init_lookback_scan_state_kernelINS1_19lookback_scan_stateIjLb0ELb1EEENS1_16block_id_wrapperIjLb1EEEEEvT_jT0_jPNS7_10value_typeE
                                        ; -- End function
	.section	.AMDGPU.csdata,"",@progbits
; Kernel info:
; codeLenInByte = 356
; NumSgprs: 17
; NumVgprs: 6
; NumAgprs: 0
; TotalNumVgprs: 6
; ScratchSize: 0
; MemoryBound: 0
; FloatMode: 240
; IeeeMode: 1
; LDSByteSize: 0 bytes/workgroup (compile time only)
; SGPRBlocks: 2
; VGPRBlocks: 0
; NumSGPRsForWavesPerEU: 17
; NumVGPRsForWavesPerEU: 6
; AccumOffset: 8
; Occupancy: 8
; WaveLimiterHint : 0
; COMPUTE_PGM_RSRC2:SCRATCH_EN: 0
; COMPUTE_PGM_RSRC2:USER_SGPR: 2
; COMPUTE_PGM_RSRC2:TRAP_HANDLER: 0
; COMPUTE_PGM_RSRC2:TGID_X_EN: 1
; COMPUTE_PGM_RSRC2:TGID_Y_EN: 0
; COMPUTE_PGM_RSRC2:TGID_Z_EN: 0
; COMPUTE_PGM_RSRC2:TIDIG_COMP_CNT: 0
; COMPUTE_PGM_RSRC3_GFX90A:ACCUM_OFFSET: 1
; COMPUTE_PGM_RSRC3_GFX90A:TG_SPLIT: 0
	.section	.text._ZN7rocprim17ROCPRIM_400000_NS6detail17trampoline_kernelINS0_14default_configENS1_25partition_config_selectorILNS1_17partition_subalgoE8ElNS0_10empty_typeEbEEZZNS1_14partition_implILS5_8ELb0ES3_jPlPS6_PKS6_NS0_5tupleIJS9_S6_EEENSD_IJSA_SA_EEENS0_18inequality_wrapperIZN2at6native12_GLOBAL__N_124unique_dim_cuda_templateIhEESt5tupleIJNSH_6TensorESM_SM_EERKSM_lbbbEUlllE0_EEPmJS6_EEE10hipError_tPvRmT3_T4_T5_T6_T7_T9_mT8_P12ihipStream_tbDpT10_ENKUlT_T0_E_clISt17integral_constantIbLb0EES1B_IbLb1EEEEDaS17_S18_EUlS17_E_NS1_11comp_targetILNS1_3genE0ELNS1_11target_archE4294967295ELNS1_3gpuE0ELNS1_3repE0EEENS1_30default_config_static_selectorELNS0_4arch9wavefront6targetE1EEEvT1_,"axG",@progbits,_ZN7rocprim17ROCPRIM_400000_NS6detail17trampoline_kernelINS0_14default_configENS1_25partition_config_selectorILNS1_17partition_subalgoE8ElNS0_10empty_typeEbEEZZNS1_14partition_implILS5_8ELb0ES3_jPlPS6_PKS6_NS0_5tupleIJS9_S6_EEENSD_IJSA_SA_EEENS0_18inequality_wrapperIZN2at6native12_GLOBAL__N_124unique_dim_cuda_templateIhEESt5tupleIJNSH_6TensorESM_SM_EERKSM_lbbbEUlllE0_EEPmJS6_EEE10hipError_tPvRmT3_T4_T5_T6_T7_T9_mT8_P12ihipStream_tbDpT10_ENKUlT_T0_E_clISt17integral_constantIbLb0EES1B_IbLb1EEEEDaS17_S18_EUlS17_E_NS1_11comp_targetILNS1_3genE0ELNS1_11target_archE4294967295ELNS1_3gpuE0ELNS1_3repE0EEENS1_30default_config_static_selectorELNS0_4arch9wavefront6targetE1EEEvT1_,comdat
	.globl	_ZN7rocprim17ROCPRIM_400000_NS6detail17trampoline_kernelINS0_14default_configENS1_25partition_config_selectorILNS1_17partition_subalgoE8ElNS0_10empty_typeEbEEZZNS1_14partition_implILS5_8ELb0ES3_jPlPS6_PKS6_NS0_5tupleIJS9_S6_EEENSD_IJSA_SA_EEENS0_18inequality_wrapperIZN2at6native12_GLOBAL__N_124unique_dim_cuda_templateIhEESt5tupleIJNSH_6TensorESM_SM_EERKSM_lbbbEUlllE0_EEPmJS6_EEE10hipError_tPvRmT3_T4_T5_T6_T7_T9_mT8_P12ihipStream_tbDpT10_ENKUlT_T0_E_clISt17integral_constantIbLb0EES1B_IbLb1EEEEDaS17_S18_EUlS17_E_NS1_11comp_targetILNS1_3genE0ELNS1_11target_archE4294967295ELNS1_3gpuE0ELNS1_3repE0EEENS1_30default_config_static_selectorELNS0_4arch9wavefront6targetE1EEEvT1_ ; -- Begin function _ZN7rocprim17ROCPRIM_400000_NS6detail17trampoline_kernelINS0_14default_configENS1_25partition_config_selectorILNS1_17partition_subalgoE8ElNS0_10empty_typeEbEEZZNS1_14partition_implILS5_8ELb0ES3_jPlPS6_PKS6_NS0_5tupleIJS9_S6_EEENSD_IJSA_SA_EEENS0_18inequality_wrapperIZN2at6native12_GLOBAL__N_124unique_dim_cuda_templateIhEESt5tupleIJNSH_6TensorESM_SM_EERKSM_lbbbEUlllE0_EEPmJS6_EEE10hipError_tPvRmT3_T4_T5_T6_T7_T9_mT8_P12ihipStream_tbDpT10_ENKUlT_T0_E_clISt17integral_constantIbLb0EES1B_IbLb1EEEEDaS17_S18_EUlS17_E_NS1_11comp_targetILNS1_3genE0ELNS1_11target_archE4294967295ELNS1_3gpuE0ELNS1_3repE0EEENS1_30default_config_static_selectorELNS0_4arch9wavefront6targetE1EEEvT1_
	.p2align	8
	.type	_ZN7rocprim17ROCPRIM_400000_NS6detail17trampoline_kernelINS0_14default_configENS1_25partition_config_selectorILNS1_17partition_subalgoE8ElNS0_10empty_typeEbEEZZNS1_14partition_implILS5_8ELb0ES3_jPlPS6_PKS6_NS0_5tupleIJS9_S6_EEENSD_IJSA_SA_EEENS0_18inequality_wrapperIZN2at6native12_GLOBAL__N_124unique_dim_cuda_templateIhEESt5tupleIJNSH_6TensorESM_SM_EERKSM_lbbbEUlllE0_EEPmJS6_EEE10hipError_tPvRmT3_T4_T5_T6_T7_T9_mT8_P12ihipStream_tbDpT10_ENKUlT_T0_E_clISt17integral_constantIbLb0EES1B_IbLb1EEEEDaS17_S18_EUlS17_E_NS1_11comp_targetILNS1_3genE0ELNS1_11target_archE4294967295ELNS1_3gpuE0ELNS1_3repE0EEENS1_30default_config_static_selectorELNS0_4arch9wavefront6targetE1EEEvT1_,@function
_ZN7rocprim17ROCPRIM_400000_NS6detail17trampoline_kernelINS0_14default_configENS1_25partition_config_selectorILNS1_17partition_subalgoE8ElNS0_10empty_typeEbEEZZNS1_14partition_implILS5_8ELb0ES3_jPlPS6_PKS6_NS0_5tupleIJS9_S6_EEENSD_IJSA_SA_EEENS0_18inequality_wrapperIZN2at6native12_GLOBAL__N_124unique_dim_cuda_templateIhEESt5tupleIJNSH_6TensorESM_SM_EERKSM_lbbbEUlllE0_EEPmJS6_EEE10hipError_tPvRmT3_T4_T5_T6_T7_T9_mT8_P12ihipStream_tbDpT10_ENKUlT_T0_E_clISt17integral_constantIbLb0EES1B_IbLb1EEEEDaS17_S18_EUlS17_E_NS1_11comp_targetILNS1_3genE0ELNS1_11target_archE4294967295ELNS1_3gpuE0ELNS1_3repE0EEENS1_30default_config_static_selectorELNS0_4arch9wavefront6targetE1EEEvT1_: ; @_ZN7rocprim17ROCPRIM_400000_NS6detail17trampoline_kernelINS0_14default_configENS1_25partition_config_selectorILNS1_17partition_subalgoE8ElNS0_10empty_typeEbEEZZNS1_14partition_implILS5_8ELb0ES3_jPlPS6_PKS6_NS0_5tupleIJS9_S6_EEENSD_IJSA_SA_EEENS0_18inequality_wrapperIZN2at6native12_GLOBAL__N_124unique_dim_cuda_templateIhEESt5tupleIJNSH_6TensorESM_SM_EERKSM_lbbbEUlllE0_EEPmJS6_EEE10hipError_tPvRmT3_T4_T5_T6_T7_T9_mT8_P12ihipStream_tbDpT10_ENKUlT_T0_E_clISt17integral_constantIbLb0EES1B_IbLb1EEEEDaS17_S18_EUlS17_E_NS1_11comp_targetILNS1_3genE0ELNS1_11target_archE4294967295ELNS1_3gpuE0ELNS1_3repE0EEENS1_30default_config_static_selectorELNS0_4arch9wavefront6targetE1EEEvT1_
; %bb.0:
	.section	.rodata,"a",@progbits
	.p2align	6, 0x0
	.amdhsa_kernel _ZN7rocprim17ROCPRIM_400000_NS6detail17trampoline_kernelINS0_14default_configENS1_25partition_config_selectorILNS1_17partition_subalgoE8ElNS0_10empty_typeEbEEZZNS1_14partition_implILS5_8ELb0ES3_jPlPS6_PKS6_NS0_5tupleIJS9_S6_EEENSD_IJSA_SA_EEENS0_18inequality_wrapperIZN2at6native12_GLOBAL__N_124unique_dim_cuda_templateIhEESt5tupleIJNSH_6TensorESM_SM_EERKSM_lbbbEUlllE0_EEPmJS6_EEE10hipError_tPvRmT3_T4_T5_T6_T7_T9_mT8_P12ihipStream_tbDpT10_ENKUlT_T0_E_clISt17integral_constantIbLb0EES1B_IbLb1EEEEDaS17_S18_EUlS17_E_NS1_11comp_targetILNS1_3genE0ELNS1_11target_archE4294967295ELNS1_3gpuE0ELNS1_3repE0EEENS1_30default_config_static_selectorELNS0_4arch9wavefront6targetE1EEEvT1_
		.amdhsa_group_segment_fixed_size 0
		.amdhsa_private_segment_fixed_size 0
		.amdhsa_kernarg_size 136
		.amdhsa_user_sgpr_count 2
		.amdhsa_user_sgpr_dispatch_ptr 0
		.amdhsa_user_sgpr_queue_ptr 0
		.amdhsa_user_sgpr_kernarg_segment_ptr 1
		.amdhsa_user_sgpr_dispatch_id 0
		.amdhsa_user_sgpr_kernarg_preload_length 0
		.amdhsa_user_sgpr_kernarg_preload_offset 0
		.amdhsa_user_sgpr_private_segment_size 0
		.amdhsa_uses_dynamic_stack 0
		.amdhsa_enable_private_segment 0
		.amdhsa_system_sgpr_workgroup_id_x 1
		.amdhsa_system_sgpr_workgroup_id_y 0
		.amdhsa_system_sgpr_workgroup_id_z 0
		.amdhsa_system_sgpr_workgroup_info 0
		.amdhsa_system_vgpr_workitem_id 0
		.amdhsa_next_free_vgpr 1
		.amdhsa_next_free_sgpr 0
		.amdhsa_accum_offset 4
		.amdhsa_reserve_vcc 0
		.amdhsa_float_round_mode_32 0
		.amdhsa_float_round_mode_16_64 0
		.amdhsa_float_denorm_mode_32 3
		.amdhsa_float_denorm_mode_16_64 3
		.amdhsa_dx10_clamp 1
		.amdhsa_ieee_mode 1
		.amdhsa_fp16_overflow 0
		.amdhsa_tg_split 0
		.amdhsa_exception_fp_ieee_invalid_op 0
		.amdhsa_exception_fp_denorm_src 0
		.amdhsa_exception_fp_ieee_div_zero 0
		.amdhsa_exception_fp_ieee_overflow 0
		.amdhsa_exception_fp_ieee_underflow 0
		.amdhsa_exception_fp_ieee_inexact 0
		.amdhsa_exception_int_div_zero 0
	.end_amdhsa_kernel
	.section	.text._ZN7rocprim17ROCPRIM_400000_NS6detail17trampoline_kernelINS0_14default_configENS1_25partition_config_selectorILNS1_17partition_subalgoE8ElNS0_10empty_typeEbEEZZNS1_14partition_implILS5_8ELb0ES3_jPlPS6_PKS6_NS0_5tupleIJS9_S6_EEENSD_IJSA_SA_EEENS0_18inequality_wrapperIZN2at6native12_GLOBAL__N_124unique_dim_cuda_templateIhEESt5tupleIJNSH_6TensorESM_SM_EERKSM_lbbbEUlllE0_EEPmJS6_EEE10hipError_tPvRmT3_T4_T5_T6_T7_T9_mT8_P12ihipStream_tbDpT10_ENKUlT_T0_E_clISt17integral_constantIbLb0EES1B_IbLb1EEEEDaS17_S18_EUlS17_E_NS1_11comp_targetILNS1_3genE0ELNS1_11target_archE4294967295ELNS1_3gpuE0ELNS1_3repE0EEENS1_30default_config_static_selectorELNS0_4arch9wavefront6targetE1EEEvT1_,"axG",@progbits,_ZN7rocprim17ROCPRIM_400000_NS6detail17trampoline_kernelINS0_14default_configENS1_25partition_config_selectorILNS1_17partition_subalgoE8ElNS0_10empty_typeEbEEZZNS1_14partition_implILS5_8ELb0ES3_jPlPS6_PKS6_NS0_5tupleIJS9_S6_EEENSD_IJSA_SA_EEENS0_18inequality_wrapperIZN2at6native12_GLOBAL__N_124unique_dim_cuda_templateIhEESt5tupleIJNSH_6TensorESM_SM_EERKSM_lbbbEUlllE0_EEPmJS6_EEE10hipError_tPvRmT3_T4_T5_T6_T7_T9_mT8_P12ihipStream_tbDpT10_ENKUlT_T0_E_clISt17integral_constantIbLb0EES1B_IbLb1EEEEDaS17_S18_EUlS17_E_NS1_11comp_targetILNS1_3genE0ELNS1_11target_archE4294967295ELNS1_3gpuE0ELNS1_3repE0EEENS1_30default_config_static_selectorELNS0_4arch9wavefront6targetE1EEEvT1_,comdat
.Lfunc_end197:
	.size	_ZN7rocprim17ROCPRIM_400000_NS6detail17trampoline_kernelINS0_14default_configENS1_25partition_config_selectorILNS1_17partition_subalgoE8ElNS0_10empty_typeEbEEZZNS1_14partition_implILS5_8ELb0ES3_jPlPS6_PKS6_NS0_5tupleIJS9_S6_EEENSD_IJSA_SA_EEENS0_18inequality_wrapperIZN2at6native12_GLOBAL__N_124unique_dim_cuda_templateIhEESt5tupleIJNSH_6TensorESM_SM_EERKSM_lbbbEUlllE0_EEPmJS6_EEE10hipError_tPvRmT3_T4_T5_T6_T7_T9_mT8_P12ihipStream_tbDpT10_ENKUlT_T0_E_clISt17integral_constantIbLb0EES1B_IbLb1EEEEDaS17_S18_EUlS17_E_NS1_11comp_targetILNS1_3genE0ELNS1_11target_archE4294967295ELNS1_3gpuE0ELNS1_3repE0EEENS1_30default_config_static_selectorELNS0_4arch9wavefront6targetE1EEEvT1_, .Lfunc_end197-_ZN7rocprim17ROCPRIM_400000_NS6detail17trampoline_kernelINS0_14default_configENS1_25partition_config_selectorILNS1_17partition_subalgoE8ElNS0_10empty_typeEbEEZZNS1_14partition_implILS5_8ELb0ES3_jPlPS6_PKS6_NS0_5tupleIJS9_S6_EEENSD_IJSA_SA_EEENS0_18inequality_wrapperIZN2at6native12_GLOBAL__N_124unique_dim_cuda_templateIhEESt5tupleIJNSH_6TensorESM_SM_EERKSM_lbbbEUlllE0_EEPmJS6_EEE10hipError_tPvRmT3_T4_T5_T6_T7_T9_mT8_P12ihipStream_tbDpT10_ENKUlT_T0_E_clISt17integral_constantIbLb0EES1B_IbLb1EEEEDaS17_S18_EUlS17_E_NS1_11comp_targetILNS1_3genE0ELNS1_11target_archE4294967295ELNS1_3gpuE0ELNS1_3repE0EEENS1_30default_config_static_selectorELNS0_4arch9wavefront6targetE1EEEvT1_
                                        ; -- End function
	.section	.AMDGPU.csdata,"",@progbits
; Kernel info:
; codeLenInByte = 0
; NumSgprs: 6
; NumVgprs: 0
; NumAgprs: 0
; TotalNumVgprs: 0
; ScratchSize: 0
; MemoryBound: 0
; FloatMode: 240
; IeeeMode: 1
; LDSByteSize: 0 bytes/workgroup (compile time only)
; SGPRBlocks: 0
; VGPRBlocks: 0
; NumSGPRsForWavesPerEU: 6
; NumVGPRsForWavesPerEU: 1
; AccumOffset: 4
; Occupancy: 8
; WaveLimiterHint : 0
; COMPUTE_PGM_RSRC2:SCRATCH_EN: 0
; COMPUTE_PGM_RSRC2:USER_SGPR: 2
; COMPUTE_PGM_RSRC2:TRAP_HANDLER: 0
; COMPUTE_PGM_RSRC2:TGID_X_EN: 1
; COMPUTE_PGM_RSRC2:TGID_Y_EN: 0
; COMPUTE_PGM_RSRC2:TGID_Z_EN: 0
; COMPUTE_PGM_RSRC2:TIDIG_COMP_CNT: 0
; COMPUTE_PGM_RSRC3_GFX90A:ACCUM_OFFSET: 0
; COMPUTE_PGM_RSRC3_GFX90A:TG_SPLIT: 0
	.section	.text._ZN7rocprim17ROCPRIM_400000_NS6detail17trampoline_kernelINS0_14default_configENS1_25partition_config_selectorILNS1_17partition_subalgoE8ElNS0_10empty_typeEbEEZZNS1_14partition_implILS5_8ELb0ES3_jPlPS6_PKS6_NS0_5tupleIJS9_S6_EEENSD_IJSA_SA_EEENS0_18inequality_wrapperIZN2at6native12_GLOBAL__N_124unique_dim_cuda_templateIhEESt5tupleIJNSH_6TensorESM_SM_EERKSM_lbbbEUlllE0_EEPmJS6_EEE10hipError_tPvRmT3_T4_T5_T6_T7_T9_mT8_P12ihipStream_tbDpT10_ENKUlT_T0_E_clISt17integral_constantIbLb0EES1B_IbLb1EEEEDaS17_S18_EUlS17_E_NS1_11comp_targetILNS1_3genE5ELNS1_11target_archE942ELNS1_3gpuE9ELNS1_3repE0EEENS1_30default_config_static_selectorELNS0_4arch9wavefront6targetE1EEEvT1_,"axG",@progbits,_ZN7rocprim17ROCPRIM_400000_NS6detail17trampoline_kernelINS0_14default_configENS1_25partition_config_selectorILNS1_17partition_subalgoE8ElNS0_10empty_typeEbEEZZNS1_14partition_implILS5_8ELb0ES3_jPlPS6_PKS6_NS0_5tupleIJS9_S6_EEENSD_IJSA_SA_EEENS0_18inequality_wrapperIZN2at6native12_GLOBAL__N_124unique_dim_cuda_templateIhEESt5tupleIJNSH_6TensorESM_SM_EERKSM_lbbbEUlllE0_EEPmJS6_EEE10hipError_tPvRmT3_T4_T5_T6_T7_T9_mT8_P12ihipStream_tbDpT10_ENKUlT_T0_E_clISt17integral_constantIbLb0EES1B_IbLb1EEEEDaS17_S18_EUlS17_E_NS1_11comp_targetILNS1_3genE5ELNS1_11target_archE942ELNS1_3gpuE9ELNS1_3repE0EEENS1_30default_config_static_selectorELNS0_4arch9wavefront6targetE1EEEvT1_,comdat
	.globl	_ZN7rocprim17ROCPRIM_400000_NS6detail17trampoline_kernelINS0_14default_configENS1_25partition_config_selectorILNS1_17partition_subalgoE8ElNS0_10empty_typeEbEEZZNS1_14partition_implILS5_8ELb0ES3_jPlPS6_PKS6_NS0_5tupleIJS9_S6_EEENSD_IJSA_SA_EEENS0_18inequality_wrapperIZN2at6native12_GLOBAL__N_124unique_dim_cuda_templateIhEESt5tupleIJNSH_6TensorESM_SM_EERKSM_lbbbEUlllE0_EEPmJS6_EEE10hipError_tPvRmT3_T4_T5_T6_T7_T9_mT8_P12ihipStream_tbDpT10_ENKUlT_T0_E_clISt17integral_constantIbLb0EES1B_IbLb1EEEEDaS17_S18_EUlS17_E_NS1_11comp_targetILNS1_3genE5ELNS1_11target_archE942ELNS1_3gpuE9ELNS1_3repE0EEENS1_30default_config_static_selectorELNS0_4arch9wavefront6targetE1EEEvT1_ ; -- Begin function _ZN7rocprim17ROCPRIM_400000_NS6detail17trampoline_kernelINS0_14default_configENS1_25partition_config_selectorILNS1_17partition_subalgoE8ElNS0_10empty_typeEbEEZZNS1_14partition_implILS5_8ELb0ES3_jPlPS6_PKS6_NS0_5tupleIJS9_S6_EEENSD_IJSA_SA_EEENS0_18inequality_wrapperIZN2at6native12_GLOBAL__N_124unique_dim_cuda_templateIhEESt5tupleIJNSH_6TensorESM_SM_EERKSM_lbbbEUlllE0_EEPmJS6_EEE10hipError_tPvRmT3_T4_T5_T6_T7_T9_mT8_P12ihipStream_tbDpT10_ENKUlT_T0_E_clISt17integral_constantIbLb0EES1B_IbLb1EEEEDaS17_S18_EUlS17_E_NS1_11comp_targetILNS1_3genE5ELNS1_11target_archE942ELNS1_3gpuE9ELNS1_3repE0EEENS1_30default_config_static_selectorELNS0_4arch9wavefront6targetE1EEEvT1_
	.p2align	8
	.type	_ZN7rocprim17ROCPRIM_400000_NS6detail17trampoline_kernelINS0_14default_configENS1_25partition_config_selectorILNS1_17partition_subalgoE8ElNS0_10empty_typeEbEEZZNS1_14partition_implILS5_8ELb0ES3_jPlPS6_PKS6_NS0_5tupleIJS9_S6_EEENSD_IJSA_SA_EEENS0_18inequality_wrapperIZN2at6native12_GLOBAL__N_124unique_dim_cuda_templateIhEESt5tupleIJNSH_6TensorESM_SM_EERKSM_lbbbEUlllE0_EEPmJS6_EEE10hipError_tPvRmT3_T4_T5_T6_T7_T9_mT8_P12ihipStream_tbDpT10_ENKUlT_T0_E_clISt17integral_constantIbLb0EES1B_IbLb1EEEEDaS17_S18_EUlS17_E_NS1_11comp_targetILNS1_3genE5ELNS1_11target_archE942ELNS1_3gpuE9ELNS1_3repE0EEENS1_30default_config_static_selectorELNS0_4arch9wavefront6targetE1EEEvT1_,@function
_ZN7rocprim17ROCPRIM_400000_NS6detail17trampoline_kernelINS0_14default_configENS1_25partition_config_selectorILNS1_17partition_subalgoE8ElNS0_10empty_typeEbEEZZNS1_14partition_implILS5_8ELb0ES3_jPlPS6_PKS6_NS0_5tupleIJS9_S6_EEENSD_IJSA_SA_EEENS0_18inequality_wrapperIZN2at6native12_GLOBAL__N_124unique_dim_cuda_templateIhEESt5tupleIJNSH_6TensorESM_SM_EERKSM_lbbbEUlllE0_EEPmJS6_EEE10hipError_tPvRmT3_T4_T5_T6_T7_T9_mT8_P12ihipStream_tbDpT10_ENKUlT_T0_E_clISt17integral_constantIbLb0EES1B_IbLb1EEEEDaS17_S18_EUlS17_E_NS1_11comp_targetILNS1_3genE5ELNS1_11target_archE942ELNS1_3gpuE9ELNS1_3repE0EEENS1_30default_config_static_selectorELNS0_4arch9wavefront6targetE1EEEvT1_: ; @_ZN7rocprim17ROCPRIM_400000_NS6detail17trampoline_kernelINS0_14default_configENS1_25partition_config_selectorILNS1_17partition_subalgoE8ElNS0_10empty_typeEbEEZZNS1_14partition_implILS5_8ELb0ES3_jPlPS6_PKS6_NS0_5tupleIJS9_S6_EEENSD_IJSA_SA_EEENS0_18inequality_wrapperIZN2at6native12_GLOBAL__N_124unique_dim_cuda_templateIhEESt5tupleIJNSH_6TensorESM_SM_EERKSM_lbbbEUlllE0_EEPmJS6_EEE10hipError_tPvRmT3_T4_T5_T6_T7_T9_mT8_P12ihipStream_tbDpT10_ENKUlT_T0_E_clISt17integral_constantIbLb0EES1B_IbLb1EEEEDaS17_S18_EUlS17_E_NS1_11comp_targetILNS1_3genE5ELNS1_11target_archE942ELNS1_3gpuE9ELNS1_3repE0EEENS1_30default_config_static_selectorELNS0_4arch9wavefront6targetE1EEEvT1_
; %bb.0:
	s_load_dwordx2 s[34:35], s[0:1], 0x28
	s_load_dwordx8 s[20:27], s[0:1], 0x40
	s_load_dwordx4 s[28:31], s[0:1], 0x60
	v_cmp_ne_u32_e64 s[2:3], 0, v0
	v_cmp_eq_u32_e64 s[18:19], 0, v0
	s_and_saveexec_b64 s[4:5], s[18:19]
	s_cbranch_execz .LBB198_4
; %bb.1:
	s_mov_b64 s[8:9], exec
	v_mbcnt_lo_u32_b32 v1, s8, 0
	v_mbcnt_hi_u32_b32 v1, s9, v1
	v_cmp_eq_u32_e32 vcc, 0, v1
                                        ; implicit-def: $vgpr2
	s_and_saveexec_b64 s[6:7], vcc
	s_cbranch_execz .LBB198_3
; %bb.2:
	s_load_dwordx2 s[10:11], s[0:1], 0x78
	s_bcnt1_i32_b64 s8, s[8:9]
	v_mov_b32_e32 v2, 0
	v_mov_b32_e32 v3, s8
	s_waitcnt lgkmcnt(0)
	global_atomic_add v2, v2, v3, s[10:11] sc0
.LBB198_3:
	s_or_b64 exec, exec, s[6:7]
	s_waitcnt vmcnt(0)
	v_readfirstlane_b32 s6, v2
	v_mov_b32_e32 v2, 0
	s_nop 0
	v_add_u32_e32 v1, s6, v1
	ds_write_b32 v2, v1
.LBB198_4:
	s_or_b64 exec, exec, s[4:5]
	v_mov_b32_e32 v3, 0
	s_load_dwordx4 s[4:7], s[0:1], 0x8
	s_load_dword s10, s[0:1], 0x70
	s_waitcnt lgkmcnt(0)
	s_barrier
	ds_read_b32 v1, v3
	s_waitcnt lgkmcnt(0)
	s_barrier
	global_load_dwordx2 v[4:5], v3, s[22:23]
	s_lshl_b64 s[0:1], s[6:7], 3
	s_mul_i32 s12, s10, 0xe00
	s_add_u32 s0, s4, s0
	s_addc_u32 s1, s5, s1
	s_add_i32 s4, s12, s6
	s_add_i32 s10, s10, -1
	s_sub_i32 s52, s24, s4
	s_add_u32 s4, s6, s12
	s_movk_i32 s11, 0xe00
	s_addc_u32 s5, s7, 0
	v_readfirstlane_b32 s33, v1
	v_mov_b32_e32 v6, s24
	v_mov_b32_e32 v7, s25
	v_mul_lo_u32 v2, v1, s11
	s_cmp_eq_u32 s33, s10
	v_cmp_ge_u64_e32 vcc, s[4:5], v[6:7]
	v_lshlrev_b64 v[6:7], 3, v[2:3]
	s_cselect_b64 s[24:25], -1, 0
	v_lshl_add_u64 v[18:19], s[0:1], 0, v[6:7]
	s_and_b64 s[0:1], vcc, s[24:25]
	s_xor_b64 s[36:37], s[0:1], -1
	s_mov_b64 s[8:9], -1
	s_and_b64 vcc, exec, s[36:37]
	s_waitcnt vmcnt(0)
	v_readfirstlane_b32 s22, v4
	v_readfirstlane_b32 s23, v5
	s_cbranch_vccz .LBB198_6
; %bb.5:
	v_lshlrev_b32_e32 v2, 3, v0
	v_lshl_add_u64 v[4:5], v[18:19], 0, v[2:3]
	v_add_co_u32_e32 v8, vcc, 0x1000, v4
	v_readfirstlane_b32 s4, v18
	s_nop 0
	v_addc_co_u32_e32 v9, vcc, 0, v5, vcc
	v_add_co_u32_e32 v10, vcc, 0x2000, v4
	v_readfirstlane_b32 s5, v19
	s_nop 0
	v_addc_co_u32_e32 v11, vcc, 0, v5, vcc
	v_add_co_u32_e32 v12, vcc, 0x3000, v4
	s_mov_b64 s[8:9], 0
	s_nop 0
	v_addc_co_u32_e32 v13, vcc, 0, v5, vcc
	v_add_co_u32_e32 v14, vcc, 0x4000, v4
	global_load_dwordx2 v[6:7], v2, s[4:5]
	s_nop 0
	v_addc_co_u32_e32 v15, vcc, 0, v5, vcc
	global_load_dwordx2 v[16:17], v[8:9], off
	global_load_dwordx2 v[20:21], v[10:11], off
	;; [unrolled: 1-line block ×4, first 2 shown]
	v_add_co_u32_e32 v8, vcc, 0x5000, v4
	s_nop 1
	v_addc_co_u32_e32 v9, vcc, 0, v5, vcc
	v_add_co_u32_e32 v4, vcc, 0x6000, v4
	global_load_dwordx2 v[8:9], v[8:9], off
	s_nop 0
	v_addc_co_u32_e32 v5, vcc, 0, v5, vcc
	global_load_dwordx2 v[4:5], v[4:5], off
	s_waitcnt vmcnt(5)
	ds_write2st64_b64 v2, v[6:7], v[16:17] offset1:8
	s_waitcnt vmcnt(3)
	ds_write2st64_b64 v2, v[20:21], v[22:23] offset0:16 offset1:24
	s_waitcnt vmcnt(1)
	ds_write2st64_b64 v2, v[24:25], v[8:9] offset0:32 offset1:40
	s_waitcnt vmcnt(0)
	ds_write_b64 v2, v[4:5] offset:24576
	s_waitcnt lgkmcnt(0)
	s_barrier
.LBB198_6:
	s_andn2_b64 vcc, exec, s[8:9]
	s_addk_i32 s52, 0xe00
	s_cbranch_vccnz .LBB198_22
; %bb.7:
	v_cmp_gt_u32_e32 vcc, s52, v0
                                        ; implicit-def: $vgpr2_vgpr3_vgpr4_vgpr5_vgpr6_vgpr7_vgpr8_vgpr9_vgpr10_vgpr11_vgpr12_vgpr13_vgpr14_vgpr15_vgpr16_vgpr17
	s_and_saveexec_b64 s[4:5], vcc
	s_cbranch_execz .LBB198_9
; %bb.8:
	v_lshlrev_b32_e32 v1, 3, v0
	v_readfirstlane_b32 s8, v18
	v_readfirstlane_b32 s9, v19
	s_nop 4
	global_load_dwordx2 v[2:3], v1, s[8:9]
.LBB198_9:
	s_or_b64 exec, exec, s[4:5]
	v_or_b32_e32 v1, 0x200, v0
	v_cmp_gt_u32_e32 vcc, s52, v1
	s_and_saveexec_b64 s[4:5], vcc
	s_cbranch_execz .LBB198_11
; %bb.10:
	v_lshlrev_b32_e32 v1, 3, v1
	v_readfirstlane_b32 s8, v18
	v_readfirstlane_b32 s9, v19
	s_nop 4
	global_load_dwordx2 v[4:5], v1, s[8:9]
.LBB198_11:
	s_or_b64 exec, exec, s[4:5]
	v_or_b32_e32 v1, 0x400, v0
	v_cmp_gt_u32_e32 vcc, s52, v1
	;; [unrolled: 12-line block ×6, first 2 shown]
	s_and_saveexec_b64 s[4:5], vcc
	s_cbranch_execz .LBB198_21
; %bb.20:
	v_lshlrev_b32_e32 v1, 3, v1
	v_readfirstlane_b32 s8, v18
	v_readfirstlane_b32 s9, v19
	s_nop 4
	global_load_dwordx2 v[14:15], v1, s[8:9]
.LBB198_21:
	s_or_b64 exec, exec, s[4:5]
	v_lshlrev_b32_e32 v1, 3, v0
	s_waitcnt vmcnt(0)
	ds_write2st64_b64 v1, v[2:3], v[4:5] offset1:8
	ds_write2st64_b64 v1, v[6:7], v[8:9] offset0:16 offset1:24
	ds_write2st64_b64 v1, v[10:11], v[12:13] offset0:32 offset1:40
	ds_write_b64 v1, v[14:15] offset:24576
	s_waitcnt lgkmcnt(0)
	s_barrier
.LBB198_22:
	v_mul_u32_u24_e32 v1, 7, v0
	v_lshlrev_b32_e32 v30, 3, v1
	ds_read2_b64 v[10:13], v30 offset1:1
	ds_read2_b64 v[6:9], v30 offset0:2 offset1:3
	ds_read2_b64 v[2:5], v30 offset0:4 offset1:5
	ds_read_b64 v[14:15], v30 offset:48
	s_cmp_lg_u32 s33, 0
	s_cselect_b64 s[16:17], -1, 0
	s_cmp_lg_u64 s[6:7], 0
	s_cselect_b64 s[4:5], -1, 0
	s_or_b64 s[4:5], s[4:5], s[16:17]
	v_mad_u32_u24 v25, v0, 7, 1
	v_mad_u32_u24 v24, v0, 7, 2
	;; [unrolled: 1-line block ×6, first 2 shown]
	s_mov_b64 s[8:9], 0
	s_and_b64 vcc, exec, s[4:5]
	v_cmp_gt_i64_e64 s[4:5], s[26:27], 0
	s_waitcnt lgkmcnt(0)
	s_barrier
	s_cbranch_vccz .LBB198_31
; %bb.23:
	global_load_dwordx2 v[16:17], v[18:19], off offset:-8
	v_cndmask_b32_e64 v18, 0, 1, s[4:5]
	v_lshlrev_b32_e32 v31, 3, v0
	s_mov_b64 s[6:7], 0
	s_and_b64 vcc, exec, s[36:37]
	v_cmp_ne_u32_e64 s[4:5], 1, v18
	ds_write_b64 v31, v[14:15]
	s_cbranch_vccz .LBB198_33
; %bb.24:
	v_mul_lo_u32 v20, v5, s26
	v_mul_lo_u32 v21, v4, s27
	v_mad_u64_u32 v[18:19], s[8:9], v4, s26, 0
	v_add3_u32 v19, v19, v21, v20
	s_and_b64 vcc, exec, s[4:5]
	v_lshl_add_u64 v[18:19], s[28:29], 0, v[18:19]
	s_cbranch_vccnz .LBB198_36
; %bb.25:
	v_mov_b64_e32 v[20:21], s[28:29]
	v_mad_u64_u32 v[20:21], s[6:7], v14, s26, v[20:21]
	v_mul_lo_u32 v22, v14, s27
	v_mul_lo_u32 v23, v15, s26
	v_add3_u32 v21, v23, v21, v22
	global_load_ubyte v22, v[18:19], off
	global_load_ubyte v23, v[20:21], off
	s_mov_b64 s[6:7], -1
	s_waitcnt vmcnt(0)
	v_cmp_eq_u16_e32 vcc, v22, v23
	s_and_saveexec_b64 s[8:9], vcc
	s_cbranch_execz .LBB198_35
; %bb.26:
	s_mov_b64 s[12:13], 1
	s_mov_b64 s[6:7], 0
                                        ; implicit-def: $sgpr10_sgpr11
	s_branch .LBB198_29
.LBB198_27:                             ;   in Loop: Header=BB198_29 Depth=1
	v_lshl_add_u64 v[22:23], v[18:19], 0, s[12:13]
	v_lshl_add_u64 v[32:33], v[20:21], 0, s[12:13]
	global_load_ubyte v34, v[22:23], off
	global_load_ubyte v35, v[32:33], off
	s_add_u32 s14, s12, 1
	s_addc_u32 s15, s13, 0
	s_andn2_b64 s[10:11], s[10:11], exec
	s_waitcnt vmcnt(0)
	v_cmp_ne_u16_e32 vcc, v34, v35
	s_and_b64 s[38:39], vcc, exec
	s_or_b64 s[10:11], s[10:11], s[38:39]
.LBB198_28:                             ;   in Loop: Header=BB198_29 Depth=1
	s_and_b64 s[38:39], exec, s[10:11]
	s_or_b64 s[6:7], s[38:39], s[6:7]
	v_mov_b64_e32 v[22:23], s[12:13]
	s_mov_b64 s[12:13], s[14:15]
	s_andn2_b64 exec, exec, s[6:7]
	s_cbranch_execz .LBB198_34
.LBB198_29:                             ; =>This Inner Loop Header: Depth=1
	s_or_b64 s[10:11], s[10:11], exec
	s_cmp_eq_u64 s[26:27], s[12:13]
	s_cbranch_scc0 .LBB198_27
; %bb.30:                               ;   in Loop: Header=BB198_29 Depth=1
                                        ; implicit-def: $sgpr14_sgpr15
	s_mov_b64 s[12:13], s[26:27]
	s_branch .LBB198_28
.LBB198_31:
                                        ; implicit-def: $sgpr12_sgpr13
                                        ; implicit-def: $vgpr34
                                        ; implicit-def: $vgpr33
                                        ; implicit-def: $vgpr32
                                        ; implicit-def: $vgpr20
	s_branch .LBB198_174
.LBB198_32:
                                        ; implicit-def: $vgpr16_vgpr17
	s_branch .LBB198_322
.LBB198_33:
                                        ; implicit-def: $sgpr12_sgpr13
                                        ; implicit-def: $vgpr34
                                        ; implicit-def: $vgpr33
                                        ; implicit-def: $vgpr32
                                        ; implicit-def: $vgpr20
	s_cbranch_execnz .LBB198_93
	s_branch .LBB198_173
.LBB198_34:
	s_or_b64 exec, exec, s[6:7]
	v_cmp_gt_i64_e32 vcc, s[26:27], v[22:23]
	s_orn2_b64 s[6:7], vcc, exec
.LBB198_35:
	s_or_b64 exec, exec, s[8:9]
.LBB198_36:
	v_mul_lo_u32 v22, v3, s26
	v_mul_lo_u32 v23, v2, s27
	v_mad_u64_u32 v[20:21], s[8:9], v2, s26, 0
	v_add3_u32 v21, v21, v23, v22
	s_mov_b64 s[8:9], 0
	s_and_b64 vcc, exec, s[4:5]
	v_lshl_add_u64 v[20:21], s[28:29], 0, v[20:21]
	s_mov_b64 s[10:11], 0
	s_cbranch_vccnz .LBB198_45
; %bb.37:
	global_load_ubyte v22, v[20:21], off
	global_load_ubyte v23, v[18:19], off
	s_mov_b64 s[10:11], -1
	s_waitcnt vmcnt(0)
	v_cmp_eq_u16_e32 vcc, v22, v23
	s_and_saveexec_b64 s[12:13], vcc
	s_cbranch_execz .LBB198_44
; %bb.38:
	s_mov_b64 s[38:39], 1
	s_mov_b64 s[10:11], 0
                                        ; implicit-def: $sgpr14_sgpr15
	s_branch .LBB198_41
.LBB198_39:                             ;   in Loop: Header=BB198_41 Depth=1
	v_lshl_add_u64 v[22:23], v[20:21], 0, s[38:39]
	v_lshl_add_u64 v[32:33], v[18:19], 0, s[38:39]
	global_load_ubyte v34, v[22:23], off
	global_load_ubyte v35, v[32:33], off
	s_add_u32 s40, s38, 1
	s_addc_u32 s41, s39, 0
	s_andn2_b64 s[14:15], s[14:15], exec
	s_waitcnt vmcnt(0)
	v_cmp_ne_u16_e32 vcc, v34, v35
	s_and_b64 s[42:43], vcc, exec
	s_or_b64 s[14:15], s[14:15], s[42:43]
.LBB198_40:                             ;   in Loop: Header=BB198_41 Depth=1
	s_and_b64 s[42:43], exec, s[14:15]
	s_or_b64 s[10:11], s[42:43], s[10:11]
	v_mov_b64_e32 v[22:23], s[38:39]
	s_mov_b64 s[38:39], s[40:41]
	s_andn2_b64 exec, exec, s[10:11]
	s_cbranch_execz .LBB198_43
.LBB198_41:                             ; =>This Inner Loop Header: Depth=1
	s_or_b64 s[14:15], s[14:15], exec
	s_cmp_eq_u64 s[26:27], s[38:39]
	s_cbranch_scc0 .LBB198_39
; %bb.42:                               ;   in Loop: Header=BB198_41 Depth=1
                                        ; implicit-def: $sgpr40_sgpr41
	s_mov_b64 s[38:39], s[26:27]
	s_branch .LBB198_40
.LBB198_43:
	s_or_b64 exec, exec, s[10:11]
	v_cmp_gt_i64_e32 vcc, s[26:27], v[22:23]
	s_orn2_b64 s[10:11], vcc, exec
.LBB198_44:
	s_or_b64 exec, exec, s[12:13]
.LBB198_45:
	v_mul_lo_u32 v22, v9, s26
	v_mul_lo_u32 v23, v8, s27
	v_mad_u64_u32 v[18:19], s[12:13], v8, s26, 0
	v_add3_u32 v19, v19, v23, v22
	s_and_b64 vcc, exec, s[4:5]
	v_lshl_add_u64 v[18:19], s[28:29], 0, v[18:19]
	s_cbranch_vccnz .LBB198_54
; %bb.46:
	global_load_ubyte v22, v[18:19], off
	global_load_ubyte v23, v[20:21], off
	s_mov_b64 s[8:9], -1
	s_waitcnt vmcnt(0)
	v_cmp_eq_u16_e32 vcc, v22, v23
	s_and_saveexec_b64 s[12:13], vcc
	s_cbranch_execz .LBB198_53
; %bb.47:
	s_mov_b64 s[38:39], 1
	s_mov_b64 s[8:9], 0
                                        ; implicit-def: $sgpr14_sgpr15
	s_branch .LBB198_50
.LBB198_48:                             ;   in Loop: Header=BB198_50 Depth=1
	v_lshl_add_u64 v[22:23], v[18:19], 0, s[38:39]
	v_lshl_add_u64 v[32:33], v[20:21], 0, s[38:39]
	global_load_ubyte v34, v[22:23], off
	global_load_ubyte v35, v[32:33], off
	s_add_u32 s40, s38, 1
	s_addc_u32 s41, s39, 0
	s_andn2_b64 s[14:15], s[14:15], exec
	s_waitcnt vmcnt(0)
	v_cmp_ne_u16_e32 vcc, v34, v35
	s_and_b64 s[42:43], vcc, exec
	s_or_b64 s[14:15], s[14:15], s[42:43]
.LBB198_49:                             ;   in Loop: Header=BB198_50 Depth=1
	s_and_b64 s[42:43], exec, s[14:15]
	s_or_b64 s[8:9], s[42:43], s[8:9]
	v_mov_b64_e32 v[22:23], s[38:39]
	s_mov_b64 s[38:39], s[40:41]
	s_andn2_b64 exec, exec, s[8:9]
	s_cbranch_execz .LBB198_52
.LBB198_50:                             ; =>This Inner Loop Header: Depth=1
	s_or_b64 s[14:15], s[14:15], exec
	s_cmp_eq_u64 s[26:27], s[38:39]
	s_cbranch_scc0 .LBB198_48
; %bb.51:                               ;   in Loop: Header=BB198_50 Depth=1
                                        ; implicit-def: $sgpr40_sgpr41
	s_mov_b64 s[38:39], s[26:27]
	s_branch .LBB198_49
.LBB198_52:
	s_or_b64 exec, exec, s[8:9]
	v_cmp_gt_i64_e32 vcc, s[26:27], v[22:23]
	s_orn2_b64 s[8:9], vcc, exec
.LBB198_53:
	s_or_b64 exec, exec, s[12:13]
.LBB198_54:
	v_mul_lo_u32 v22, v7, s26
	v_mul_lo_u32 v23, v6, s27
	v_mad_u64_u32 v[20:21], s[12:13], v6, s26, 0
	v_add3_u32 v21, v21, v23, v22
	s_mov_b64 s[12:13], 0
	s_and_b64 vcc, exec, s[4:5]
	v_lshl_add_u64 v[22:23], s[28:29], 0, v[20:21]
	s_mov_b64 s[14:15], 0
	s_cbranch_vccnz .LBB198_63
; %bb.55:
	global_load_ubyte v20, v[22:23], off
	global_load_ubyte v21, v[18:19], off
	s_mov_b64 s[14:15], -1
	s_waitcnt vmcnt(0)
	v_cmp_eq_u16_e32 vcc, v20, v21
	s_and_saveexec_b64 s[38:39], vcc
	s_cbranch_execz .LBB198_62
; %bb.56:
	s_mov_b64 s[42:43], 1
	s_mov_b64 s[14:15], 0
                                        ; implicit-def: $sgpr40_sgpr41
	s_branch .LBB198_59
.LBB198_57:                             ;   in Loop: Header=BB198_59 Depth=1
	v_lshl_add_u64 v[20:21], v[22:23], 0, s[42:43]
	v_lshl_add_u64 v[32:33], v[18:19], 0, s[42:43]
	global_load_ubyte v34, v[20:21], off
	global_load_ubyte v35, v[32:33], off
	s_add_u32 s44, s42, 1
	s_addc_u32 s45, s43, 0
	s_andn2_b64 s[40:41], s[40:41], exec
	s_waitcnt vmcnt(0)
	v_cmp_ne_u16_e32 vcc, v34, v35
	s_and_b64 s[46:47], vcc, exec
	s_or_b64 s[40:41], s[40:41], s[46:47]
.LBB198_58:                             ;   in Loop: Header=BB198_59 Depth=1
	s_and_b64 s[46:47], exec, s[40:41]
	s_or_b64 s[14:15], s[46:47], s[14:15]
	v_mov_b64_e32 v[20:21], s[42:43]
	s_mov_b64 s[42:43], s[44:45]
	s_andn2_b64 exec, exec, s[14:15]
	s_cbranch_execz .LBB198_61
.LBB198_59:                             ; =>This Inner Loop Header: Depth=1
	s_or_b64 s[40:41], s[40:41], exec
	s_cmp_eq_u64 s[26:27], s[42:43]
	s_cbranch_scc0 .LBB198_57
; %bb.60:                               ;   in Loop: Header=BB198_59 Depth=1
                                        ; implicit-def: $sgpr44_sgpr45
	s_mov_b64 s[42:43], s[26:27]
	s_branch .LBB198_58
.LBB198_61:
	s_or_b64 exec, exec, s[14:15]
	v_cmp_gt_i64_e32 vcc, s[26:27], v[20:21]
	s_orn2_b64 s[14:15], vcc, exec
.LBB198_62:
	s_or_b64 exec, exec, s[38:39]
.LBB198_63:
	v_mul_lo_u32 v20, v13, s26
	v_mul_lo_u32 v21, v12, s27
	v_mad_u64_u32 v[18:19], s[38:39], v12, s26, 0
	v_add3_u32 v19, v19, v21, v20
	s_and_b64 vcc, exec, s[4:5]
	v_lshl_add_u64 v[20:21], s[28:29], 0, v[18:19]
	s_cbranch_vccnz .LBB198_72
; %bb.64:
	global_load_ubyte v18, v[20:21], off
	global_load_ubyte v19, v[22:23], off
	s_mov_b64 s[12:13], -1
	s_waitcnt vmcnt(0)
	v_cmp_eq_u16_e32 vcc, v18, v19
	s_and_saveexec_b64 s[38:39], vcc
	s_cbranch_execz .LBB198_71
; %bb.65:
	s_mov_b64 s[42:43], 1
	s_mov_b64 s[12:13], 0
                                        ; implicit-def: $sgpr40_sgpr41
	s_branch .LBB198_68
.LBB198_66:                             ;   in Loop: Header=BB198_68 Depth=1
	v_lshl_add_u64 v[18:19], v[20:21], 0, s[42:43]
	v_lshl_add_u64 v[32:33], v[22:23], 0, s[42:43]
	global_load_ubyte v34, v[18:19], off
	global_load_ubyte v35, v[32:33], off
	s_add_u32 s44, s42, 1
	s_addc_u32 s45, s43, 0
	s_andn2_b64 s[40:41], s[40:41], exec
	s_waitcnt vmcnt(0)
	v_cmp_ne_u16_e32 vcc, v34, v35
	s_and_b64 s[46:47], vcc, exec
	s_or_b64 s[40:41], s[40:41], s[46:47]
.LBB198_67:                             ;   in Loop: Header=BB198_68 Depth=1
	s_and_b64 s[46:47], exec, s[40:41]
	s_or_b64 s[12:13], s[46:47], s[12:13]
	v_mov_b64_e32 v[18:19], s[42:43]
	s_mov_b64 s[42:43], s[44:45]
	s_andn2_b64 exec, exec, s[12:13]
	s_cbranch_execz .LBB198_70
.LBB198_68:                             ; =>This Inner Loop Header: Depth=1
	s_or_b64 s[40:41], s[40:41], exec
	s_cmp_eq_u64 s[26:27], s[42:43]
	s_cbranch_scc0 .LBB198_66
; %bb.69:                               ;   in Loop: Header=BB198_68 Depth=1
                                        ; implicit-def: $sgpr44_sgpr45
	s_mov_b64 s[42:43], s[26:27]
	s_branch .LBB198_67
.LBB198_70:
	s_or_b64 exec, exec, s[12:13]
	v_cmp_gt_i64_e32 vcc, s[26:27], v[18:19]
	s_orn2_b64 s[12:13], vcc, exec
.LBB198_71:
	s_or_b64 exec, exec, s[38:39]
.LBB198_72:
	v_mul_lo_u32 v22, v11, s26
	v_mul_lo_u32 v23, v10, s27
	v_mad_u64_u32 v[18:19], s[38:39], v10, s26, 0
	v_add3_u32 v19, v19, v23, v22
	s_mov_b64 s[40:41], 0
	s_and_b64 vcc, exec, s[4:5]
	v_lshl_add_u64 v[18:19], s[28:29], 0, v[18:19]
	s_cbranch_vccnz .LBB198_81
; %bb.73:
	global_load_ubyte v22, v[18:19], off
	global_load_ubyte v23, v[20:21], off
	s_mov_b64 s[40:41], -1
	s_waitcnt vmcnt(0)
	v_cmp_eq_u16_e32 vcc, v22, v23
	s_and_saveexec_b64 s[38:39], vcc
	s_cbranch_execz .LBB198_80
; %bb.74:
	s_mov_b64 s[44:45], 1
	s_mov_b64 s[40:41], 0
                                        ; implicit-def: $sgpr42_sgpr43
	s_branch .LBB198_77
.LBB198_75:                             ;   in Loop: Header=BB198_77 Depth=1
	v_lshl_add_u64 v[22:23], v[18:19], 0, s[44:45]
	v_lshl_add_u64 v[32:33], v[20:21], 0, s[44:45]
	global_load_ubyte v34, v[22:23], off
	global_load_ubyte v35, v[32:33], off
	s_add_u32 s46, s44, 1
	s_addc_u32 s47, s45, 0
	s_andn2_b64 s[42:43], s[42:43], exec
	s_waitcnt vmcnt(0)
	v_cmp_ne_u16_e32 vcc, v34, v35
	s_and_b64 s[48:49], vcc, exec
	s_or_b64 s[42:43], s[42:43], s[48:49]
.LBB198_76:                             ;   in Loop: Header=BB198_77 Depth=1
	s_and_b64 s[48:49], exec, s[42:43]
	s_or_b64 s[40:41], s[48:49], s[40:41]
	v_mov_b64_e32 v[22:23], s[44:45]
	s_mov_b64 s[44:45], s[46:47]
	s_andn2_b64 exec, exec, s[40:41]
	s_cbranch_execz .LBB198_79
.LBB198_77:                             ; =>This Inner Loop Header: Depth=1
	s_or_b64 s[42:43], s[42:43], exec
	s_cmp_eq_u64 s[26:27], s[44:45]
	s_cbranch_scc0 .LBB198_75
; %bb.78:                               ;   in Loop: Header=BB198_77 Depth=1
                                        ; implicit-def: $sgpr46_sgpr47
	s_mov_b64 s[44:45], s[26:27]
	s_branch .LBB198_76
.LBB198_79:
	s_or_b64 exec, exec, s[40:41]
	v_cmp_gt_i64_e32 vcc, s[26:27], v[22:23]
	s_orn2_b64 s[40:41], vcc, exec
.LBB198_80:
	s_or_b64 exec, exec, s[38:39]
.LBB198_81:
	s_waitcnt vmcnt(0)
	v_mov_b64_e32 v[22:23], v[16:17]
	s_waitcnt lgkmcnt(0)
	s_barrier
	s_and_saveexec_b64 s[38:39], s[2:3]
	s_cbranch_execz .LBB198_83
; %bb.82:
	v_add_u32_e32 v20, -8, v31
	ds_read_b64 v[22:23], v20
.LBB198_83:
	s_or_b64 exec, exec, s[38:39]
	v_cndmask_b32_e64 v21, 0, 1, s[14:15]
	v_cndmask_b32_e64 v20, 0, 1, s[12:13]
	v_cndmask_b32_e64 v32, 0, 1, s[40:41]
	v_lshlrev_b16_e32 v21, 8, v21
	v_lshlrev_b16_e32 v35, 8, v32
	v_or_b32_sdwa v36, v20, v21 dst_sel:WORD_1 dst_unused:UNUSED_PAD src0_sel:DWORD src1_sel:DWORD
	s_mov_b64 s[14:15], 0
	s_and_b64 vcc, exec, s[4:5]
	s_mov_b64 s[12:13], 0
	s_cbranch_vccnz .LBB198_92
; %bb.84:
	v_mov_b64_e32 v[20:21], s[28:29]
	s_waitcnt lgkmcnt(0)
	v_mad_u64_u32 v[20:21], s[12:13], v22, s26, v[20:21]
	v_mul_lo_u32 v22, v22, s27
	v_mul_lo_u32 v23, v23, s26
	v_add3_u32 v21, v23, v21, v22
	global_load_ubyte v22, v[20:21], off
	global_load_ubyte v23, v[18:19], off
	s_mov_b64 s[12:13], -1
	s_waitcnt vmcnt(0)
	v_cmp_eq_u16_e32 vcc, v22, v23
	s_and_saveexec_b64 s[38:39], vcc
	s_cbranch_execz .LBB198_91
; %bb.85:
	s_mov_b64 s[42:43], 1
	s_mov_b64 s[12:13], 0
                                        ; implicit-def: $sgpr40_sgpr41
	s_branch .LBB198_88
.LBB198_86:                             ;   in Loop: Header=BB198_88 Depth=1
	v_lshl_add_u64 v[22:23], v[20:21], 0, s[42:43]
	v_lshl_add_u64 v[32:33], v[18:19], 0, s[42:43]
	global_load_ubyte v34, v[22:23], off
	global_load_ubyte v37, v[32:33], off
	s_add_u32 s44, s42, 1
	s_addc_u32 s45, s43, 0
	s_andn2_b64 s[40:41], s[40:41], exec
	s_waitcnt vmcnt(0)
	v_cmp_ne_u16_e32 vcc, v34, v37
	s_and_b64 s[46:47], vcc, exec
	s_or_b64 s[40:41], s[40:41], s[46:47]
.LBB198_87:                             ;   in Loop: Header=BB198_88 Depth=1
	s_and_b64 s[46:47], exec, s[40:41]
	s_or_b64 s[12:13], s[46:47], s[12:13]
	v_mov_b64_e32 v[22:23], s[42:43]
	s_mov_b64 s[42:43], s[44:45]
	s_andn2_b64 exec, exec, s[12:13]
	s_cbranch_execz .LBB198_90
.LBB198_88:                             ; =>This Inner Loop Header: Depth=1
	s_or_b64 s[40:41], s[40:41], exec
	s_cmp_eq_u64 s[26:27], s[42:43]
	s_cbranch_scc0 .LBB198_86
; %bb.89:                               ;   in Loop: Header=BB198_88 Depth=1
                                        ; implicit-def: $sgpr44_sgpr45
	s_mov_b64 s[42:43], s[26:27]
	s_branch .LBB198_87
.LBB198_90:
	s_or_b64 exec, exec, s[12:13]
	v_cmp_gt_i64_e32 vcc, s[26:27], v[22:23]
	s_orn2_b64 s[12:13], vcc, exec
.LBB198_91:
	s_or_b64 exec, exec, s[38:39]
.LBB198_92:
	v_cndmask_b32_e64 v32, 0, 1, s[8:9]
	v_cndmask_b32_e64 v33, 0, 1, s[10:11]
	;; [unrolled: 1-line block ×3, first 2 shown]
	v_or_b32_e32 v20, v35, v36
	s_and_b64 vcc, exec, s[14:15]
	s_cbranch_vccz .LBB198_173
.LBB198_93:
	v_cmp_gt_u32_e32 vcc, s52, v27
	s_mov_b64 s[8:9], 0
	s_mov_b64 s[6:7], 0
	s_and_saveexec_b64 s[10:11], vcc
	s_cbranch_execz .LBB198_104
; %bb.94:
	s_and_b64 vcc, exec, s[4:5]
	s_mov_b64 s[12:13], 0
	s_cbranch_vccnz .LBB198_103
; %bb.95:
	v_mov_b64_e32 v[20:21], s[28:29]
	v_mad_u64_u32 v[18:19], s[6:7], v4, s26, v[20:21]
	s_waitcnt lgkmcnt(0)
	v_mul_lo_u32 v22, v4, s27
	v_mul_lo_u32 v23, v5, s26
	v_add3_u32 v19, v23, v19, v22
	v_mad_u64_u32 v[20:21], s[6:7], v14, s26, v[20:21]
	v_mul_lo_u32 v22, v14, s27
	v_mul_lo_u32 v23, v15, s26
	v_add3_u32 v21, v23, v21, v22
	global_load_ubyte v22, v[18:19], off
	global_load_ubyte v23, v[20:21], off
	s_mov_b64 s[12:13], -1
	s_waitcnt vmcnt(0)
	v_cmp_eq_u16_e32 vcc, v22, v23
	s_and_saveexec_b64 s[6:7], vcc
	s_cbranch_execz .LBB198_102
; %bb.96:
	s_mov_b64 s[38:39], 1
	s_mov_b64 s[12:13], 0
                                        ; implicit-def: $sgpr14_sgpr15
	s_branch .LBB198_99
.LBB198_97:                             ;   in Loop: Header=BB198_99 Depth=1
	v_lshl_add_u64 v[22:23], v[18:19], 0, s[38:39]
	v_lshl_add_u64 v[32:33], v[20:21], 0, s[38:39]
	global_load_ubyte v34, v[22:23], off
	global_load_ubyte v35, v[32:33], off
	s_add_u32 s40, s38, 1
	s_addc_u32 s41, s39, 0
	s_andn2_b64 s[14:15], s[14:15], exec
	s_waitcnt vmcnt(0)
	v_cmp_ne_u16_e32 vcc, v34, v35
	s_and_b64 s[42:43], vcc, exec
	s_or_b64 s[14:15], s[14:15], s[42:43]
.LBB198_98:                             ;   in Loop: Header=BB198_99 Depth=1
	s_and_b64 s[42:43], exec, s[14:15]
	s_or_b64 s[12:13], s[42:43], s[12:13]
	v_mov_b64_e32 v[22:23], s[38:39]
	s_mov_b64 s[38:39], s[40:41]
	s_andn2_b64 exec, exec, s[12:13]
	s_cbranch_execz .LBB198_101
.LBB198_99:                             ; =>This Inner Loop Header: Depth=1
	s_or_b64 s[14:15], s[14:15], exec
	s_cmp_eq_u64 s[26:27], s[38:39]
	s_cbranch_scc0 .LBB198_97
; %bb.100:                              ;   in Loop: Header=BB198_99 Depth=1
                                        ; implicit-def: $sgpr40_sgpr41
	s_mov_b64 s[38:39], s[26:27]
	s_branch .LBB198_98
.LBB198_101:
	s_or_b64 exec, exec, s[12:13]
	v_cmp_gt_i64_e32 vcc, s[26:27], v[22:23]
	s_orn2_b64 s[12:13], vcc, exec
.LBB198_102:
	s_or_b64 exec, exec, s[6:7]
.LBB198_103:
	s_and_b64 s[6:7], s[12:13], exec
.LBB198_104:
	s_or_b64 exec, exec, s[10:11]
	v_cmp_gt_u32_e32 vcc, s52, v29
	s_and_saveexec_b64 s[10:11], vcc
	s_cbranch_execz .LBB198_115
; %bb.105:
	s_and_b64 vcc, exec, s[4:5]
	s_mov_b64 s[12:13], 0
	s_cbranch_vccnz .LBB198_114
; %bb.106:
	v_mov_b64_e32 v[20:21], s[28:29]
	v_mad_u64_u32 v[18:19], s[8:9], v2, s26, v[20:21]
	s_waitcnt lgkmcnt(0)
	v_mul_lo_u32 v22, v2, s27
	v_mul_lo_u32 v23, v3, s26
	v_add3_u32 v19, v23, v19, v22
	v_mad_u64_u32 v[20:21], s[8:9], v4, s26, v[20:21]
	v_mul_lo_u32 v22, v4, s27
	v_mul_lo_u32 v23, v5, s26
	v_add3_u32 v21, v23, v21, v22
	global_load_ubyte v22, v[18:19], off
	global_load_ubyte v23, v[20:21], off
	s_mov_b64 s[12:13], -1
	s_waitcnt vmcnt(0)
	v_cmp_eq_u16_e32 vcc, v22, v23
	s_and_saveexec_b64 s[8:9], vcc
	s_cbranch_execz .LBB198_113
; %bb.107:
	s_mov_b64 s[38:39], 1
	s_mov_b64 s[12:13], 0
                                        ; implicit-def: $sgpr14_sgpr15
	s_branch .LBB198_110
.LBB198_108:                            ;   in Loop: Header=BB198_110 Depth=1
	v_lshl_add_u64 v[22:23], v[18:19], 0, s[38:39]
	v_lshl_add_u64 v[32:33], v[20:21], 0, s[38:39]
	global_load_ubyte v34, v[22:23], off
	global_load_ubyte v35, v[32:33], off
	s_add_u32 s40, s38, 1
	s_addc_u32 s41, s39, 0
	s_andn2_b64 s[14:15], s[14:15], exec
	s_waitcnt vmcnt(0)
	v_cmp_ne_u16_e32 vcc, v34, v35
	s_and_b64 s[42:43], vcc, exec
	s_or_b64 s[14:15], s[14:15], s[42:43]
.LBB198_109:                            ;   in Loop: Header=BB198_110 Depth=1
	s_and_b64 s[42:43], exec, s[14:15]
	s_or_b64 s[12:13], s[42:43], s[12:13]
	v_mov_b64_e32 v[22:23], s[38:39]
	s_mov_b64 s[38:39], s[40:41]
	s_andn2_b64 exec, exec, s[12:13]
	s_cbranch_execz .LBB198_112
.LBB198_110:                            ; =>This Inner Loop Header: Depth=1
	s_or_b64 s[14:15], s[14:15], exec
	s_cmp_eq_u64 s[26:27], s[38:39]
	s_cbranch_scc0 .LBB198_108
; %bb.111:                              ;   in Loop: Header=BB198_110 Depth=1
                                        ; implicit-def: $sgpr40_sgpr41
	s_mov_b64 s[38:39], s[26:27]
	s_branch .LBB198_109
.LBB198_112:
	s_or_b64 exec, exec, s[12:13]
	v_cmp_gt_i64_e32 vcc, s[26:27], v[22:23]
	s_orn2_b64 s[12:13], vcc, exec
.LBB198_113:
	s_or_b64 exec, exec, s[8:9]
.LBB198_114:
	s_and_b64 s[8:9], s[12:13], exec
.LBB198_115:
	s_or_b64 exec, exec, s[10:11]
	v_cmp_gt_u32_e32 vcc, s52, v26
	s_mov_b64 s[12:13], 0
	s_mov_b64 s[10:11], 0
	s_and_saveexec_b64 s[14:15], vcc
	s_cbranch_execz .LBB198_126
; %bb.116:
	s_and_b64 vcc, exec, s[4:5]
	s_mov_b64 s[38:39], 0
	s_cbranch_vccnz .LBB198_125
; %bb.117:
	v_mov_b64_e32 v[20:21], s[28:29]
	v_mad_u64_u32 v[18:19], s[10:11], v8, s26, v[20:21]
	s_waitcnt lgkmcnt(0)
	v_mul_lo_u32 v22, v8, s27
	v_mul_lo_u32 v23, v9, s26
	v_add3_u32 v19, v23, v19, v22
	v_mad_u64_u32 v[20:21], s[10:11], v2, s26, v[20:21]
	v_mul_lo_u32 v22, v2, s27
	v_mul_lo_u32 v23, v3, s26
	v_add3_u32 v21, v23, v21, v22
	global_load_ubyte v22, v[18:19], off
	global_load_ubyte v23, v[20:21], off
	s_mov_b64 s[38:39], -1
	s_waitcnt vmcnt(0)
	v_cmp_eq_u16_e32 vcc, v22, v23
	s_and_saveexec_b64 s[10:11], vcc
	s_cbranch_execz .LBB198_124
; %bb.118:
	s_mov_b64 s[42:43], 1
	s_mov_b64 s[38:39], 0
                                        ; implicit-def: $sgpr40_sgpr41
	s_branch .LBB198_121
.LBB198_119:                            ;   in Loop: Header=BB198_121 Depth=1
	v_lshl_add_u64 v[22:23], v[18:19], 0, s[42:43]
	v_lshl_add_u64 v[32:33], v[20:21], 0, s[42:43]
	global_load_ubyte v34, v[22:23], off
	global_load_ubyte v35, v[32:33], off
	s_add_u32 s44, s42, 1
	s_addc_u32 s45, s43, 0
	s_andn2_b64 s[40:41], s[40:41], exec
	s_waitcnt vmcnt(0)
	v_cmp_ne_u16_e32 vcc, v34, v35
	s_and_b64 s[46:47], vcc, exec
	s_or_b64 s[40:41], s[40:41], s[46:47]
.LBB198_120:                            ;   in Loop: Header=BB198_121 Depth=1
	s_and_b64 s[46:47], exec, s[40:41]
	s_or_b64 s[38:39], s[46:47], s[38:39]
	v_mov_b64_e32 v[22:23], s[42:43]
	s_mov_b64 s[42:43], s[44:45]
	s_andn2_b64 exec, exec, s[38:39]
	s_cbranch_execz .LBB198_123
.LBB198_121:                            ; =>This Inner Loop Header: Depth=1
	s_or_b64 s[40:41], s[40:41], exec
	s_cmp_eq_u64 s[26:27], s[42:43]
	s_cbranch_scc0 .LBB198_119
; %bb.122:                              ;   in Loop: Header=BB198_121 Depth=1
                                        ; implicit-def: $sgpr44_sgpr45
	s_mov_b64 s[42:43], s[26:27]
	s_branch .LBB198_120
.LBB198_123:
	s_or_b64 exec, exec, s[38:39]
	v_cmp_gt_i64_e32 vcc, s[26:27], v[22:23]
	s_orn2_b64 s[38:39], vcc, exec
.LBB198_124:
	s_or_b64 exec, exec, s[10:11]
.LBB198_125:
	s_and_b64 s[10:11], s[38:39], exec
.LBB198_126:
	s_or_b64 exec, exec, s[14:15]
	v_cmp_gt_u32_e32 vcc, s52, v28
	s_and_saveexec_b64 s[14:15], vcc
	s_cbranch_execz .LBB198_137
; %bb.127:
	s_and_b64 vcc, exec, s[4:5]
	s_mov_b64 s[38:39], 0
	s_cbranch_vccnz .LBB198_136
; %bb.128:
	v_mov_b64_e32 v[20:21], s[28:29]
	v_mad_u64_u32 v[18:19], s[12:13], v6, s26, v[20:21]
	s_waitcnt lgkmcnt(0)
	v_mul_lo_u32 v22, v6, s27
	v_mul_lo_u32 v23, v7, s26
	v_add3_u32 v19, v23, v19, v22
	v_mad_u64_u32 v[20:21], s[12:13], v8, s26, v[20:21]
	v_mul_lo_u32 v22, v8, s27
	v_mul_lo_u32 v23, v9, s26
	v_add3_u32 v21, v23, v21, v22
	global_load_ubyte v22, v[18:19], off
	global_load_ubyte v23, v[20:21], off
	s_mov_b64 s[38:39], -1
	s_waitcnt vmcnt(0)
	v_cmp_eq_u16_e32 vcc, v22, v23
	s_and_saveexec_b64 s[12:13], vcc
	s_cbranch_execz .LBB198_135
; %bb.129:
	s_mov_b64 s[42:43], 1
	s_mov_b64 s[38:39], 0
                                        ; implicit-def: $sgpr40_sgpr41
	s_branch .LBB198_132
.LBB198_130:                            ;   in Loop: Header=BB198_132 Depth=1
	v_lshl_add_u64 v[22:23], v[18:19], 0, s[42:43]
	v_lshl_add_u64 v[32:33], v[20:21], 0, s[42:43]
	global_load_ubyte v34, v[22:23], off
	global_load_ubyte v35, v[32:33], off
	s_add_u32 s44, s42, 1
	s_addc_u32 s45, s43, 0
	s_andn2_b64 s[40:41], s[40:41], exec
	s_waitcnt vmcnt(0)
	v_cmp_ne_u16_e32 vcc, v34, v35
	s_and_b64 s[46:47], vcc, exec
	s_or_b64 s[40:41], s[40:41], s[46:47]
.LBB198_131:                            ;   in Loop: Header=BB198_132 Depth=1
	s_and_b64 s[46:47], exec, s[40:41]
	s_or_b64 s[38:39], s[46:47], s[38:39]
	v_mov_b64_e32 v[22:23], s[42:43]
	s_mov_b64 s[42:43], s[44:45]
	s_andn2_b64 exec, exec, s[38:39]
	s_cbranch_execz .LBB198_134
.LBB198_132:                            ; =>This Inner Loop Header: Depth=1
	s_or_b64 s[40:41], s[40:41], exec
	s_cmp_eq_u64 s[26:27], s[42:43]
	s_cbranch_scc0 .LBB198_130
; %bb.133:                              ;   in Loop: Header=BB198_132 Depth=1
                                        ; implicit-def: $sgpr44_sgpr45
	s_mov_b64 s[42:43], s[26:27]
	s_branch .LBB198_131
.LBB198_134:
	s_or_b64 exec, exec, s[38:39]
	v_cmp_gt_i64_e32 vcc, s[26:27], v[22:23]
	s_orn2_b64 s[38:39], vcc, exec
.LBB198_135:
	s_or_b64 exec, exec, s[12:13]
.LBB198_136:
	s_and_b64 s[12:13], s[38:39], exec
.LBB198_137:
	s_or_b64 exec, exec, s[14:15]
	v_cmp_gt_u32_e32 vcc, s52, v24
	s_mov_b64 s[14:15], 0
	s_mov_b64 s[38:39], 0
	s_and_saveexec_b64 s[40:41], vcc
	s_cbranch_execz .LBB198_148
; %bb.138:
	s_and_b64 vcc, exec, s[4:5]
	s_mov_b64 s[42:43], 0
	s_cbranch_vccnz .LBB198_147
; %bb.139:
	v_mov_b64_e32 v[20:21], s[28:29]
	v_mad_u64_u32 v[18:19], s[38:39], v12, s26, v[20:21]
	s_waitcnt lgkmcnt(0)
	v_mul_lo_u32 v22, v12, s27
	v_mul_lo_u32 v23, v13, s26
	v_add3_u32 v19, v23, v19, v22
	v_mad_u64_u32 v[20:21], s[38:39], v6, s26, v[20:21]
	v_mul_lo_u32 v22, v6, s27
	v_mul_lo_u32 v23, v7, s26
	v_add3_u32 v21, v23, v21, v22
	global_load_ubyte v22, v[18:19], off
	global_load_ubyte v23, v[20:21], off
	s_mov_b64 s[42:43], -1
	s_waitcnt vmcnt(0)
	v_cmp_eq_u16_e32 vcc, v22, v23
	s_and_saveexec_b64 s[38:39], vcc
	s_cbranch_execz .LBB198_146
; %bb.140:
	s_mov_b64 s[46:47], 1
	s_mov_b64 s[42:43], 0
                                        ; implicit-def: $sgpr44_sgpr45
	s_branch .LBB198_143
.LBB198_141:                            ;   in Loop: Header=BB198_143 Depth=1
	v_lshl_add_u64 v[22:23], v[18:19], 0, s[46:47]
	v_lshl_add_u64 v[32:33], v[20:21], 0, s[46:47]
	global_load_ubyte v34, v[22:23], off
	global_load_ubyte v35, v[32:33], off
	s_add_u32 s48, s46, 1
	s_addc_u32 s49, s47, 0
	s_andn2_b64 s[44:45], s[44:45], exec
	s_waitcnt vmcnt(0)
	v_cmp_ne_u16_e32 vcc, v34, v35
	s_and_b64 s[50:51], vcc, exec
	s_or_b64 s[44:45], s[44:45], s[50:51]
.LBB198_142:                            ;   in Loop: Header=BB198_143 Depth=1
	s_and_b64 s[50:51], exec, s[44:45]
	s_or_b64 s[42:43], s[50:51], s[42:43]
	v_mov_b64_e32 v[22:23], s[46:47]
	s_mov_b64 s[46:47], s[48:49]
	s_andn2_b64 exec, exec, s[42:43]
	s_cbranch_execz .LBB198_145
.LBB198_143:                            ; =>This Inner Loop Header: Depth=1
	s_or_b64 s[44:45], s[44:45], exec
	s_cmp_eq_u64 s[26:27], s[46:47]
	s_cbranch_scc0 .LBB198_141
; %bb.144:                              ;   in Loop: Header=BB198_143 Depth=1
                                        ; implicit-def: $sgpr48_sgpr49
	s_mov_b64 s[46:47], s[26:27]
	s_branch .LBB198_142
.LBB198_145:
	s_or_b64 exec, exec, s[42:43]
	v_cmp_gt_i64_e32 vcc, s[26:27], v[22:23]
	s_orn2_b64 s[42:43], vcc, exec
.LBB198_146:
	s_or_b64 exec, exec, s[38:39]
.LBB198_147:
	s_and_b64 s[38:39], s[42:43], exec
.LBB198_148:
	s_or_b64 exec, exec, s[40:41]
	v_cmp_gt_u32_e32 vcc, s52, v25
	s_and_saveexec_b64 s[40:41], vcc
	s_cbranch_execz .LBB198_159
; %bb.149:
	s_and_b64 vcc, exec, s[4:5]
	s_mov_b64 s[42:43], 0
	s_cbranch_vccnz .LBB198_158
; %bb.150:
	v_mov_b64_e32 v[20:21], s[28:29]
	v_mad_u64_u32 v[18:19], s[14:15], v10, s26, v[20:21]
	s_waitcnt lgkmcnt(0)
	v_mul_lo_u32 v22, v10, s27
	v_mul_lo_u32 v23, v11, s26
	v_add3_u32 v19, v23, v19, v22
	v_mad_u64_u32 v[20:21], s[14:15], v12, s26, v[20:21]
	v_mul_lo_u32 v22, v12, s27
	v_mul_lo_u32 v23, v13, s26
	v_add3_u32 v21, v23, v21, v22
	global_load_ubyte v22, v[18:19], off
	global_load_ubyte v23, v[20:21], off
	s_mov_b64 s[42:43], -1
	s_waitcnt vmcnt(0)
	v_cmp_eq_u16_e32 vcc, v22, v23
	s_and_saveexec_b64 s[14:15], vcc
	s_cbranch_execz .LBB198_157
; %bb.151:
	s_mov_b64 s[46:47], 1
	s_mov_b64 s[42:43], 0
                                        ; implicit-def: $sgpr44_sgpr45
	s_branch .LBB198_154
.LBB198_152:                            ;   in Loop: Header=BB198_154 Depth=1
	v_lshl_add_u64 v[22:23], v[18:19], 0, s[46:47]
	v_lshl_add_u64 v[32:33], v[20:21], 0, s[46:47]
	global_load_ubyte v34, v[22:23], off
	global_load_ubyte v35, v[32:33], off
	s_add_u32 s48, s46, 1
	s_addc_u32 s49, s47, 0
	s_andn2_b64 s[44:45], s[44:45], exec
	s_waitcnt vmcnt(0)
	v_cmp_ne_u16_e32 vcc, v34, v35
	s_and_b64 s[50:51], vcc, exec
	s_or_b64 s[44:45], s[44:45], s[50:51]
.LBB198_153:                            ;   in Loop: Header=BB198_154 Depth=1
	s_and_b64 s[50:51], exec, s[44:45]
	s_or_b64 s[42:43], s[50:51], s[42:43]
	v_mov_b64_e32 v[22:23], s[46:47]
	s_mov_b64 s[46:47], s[48:49]
	s_andn2_b64 exec, exec, s[42:43]
	s_cbranch_execz .LBB198_156
.LBB198_154:                            ; =>This Inner Loop Header: Depth=1
	s_or_b64 s[44:45], s[44:45], exec
	s_cmp_eq_u64 s[26:27], s[46:47]
	s_cbranch_scc0 .LBB198_152
; %bb.155:                              ;   in Loop: Header=BB198_154 Depth=1
                                        ; implicit-def: $sgpr48_sgpr49
	s_mov_b64 s[46:47], s[26:27]
	s_branch .LBB198_153
.LBB198_156:
	s_or_b64 exec, exec, s[42:43]
	v_cmp_gt_i64_e32 vcc, s[26:27], v[22:23]
	s_orn2_b64 s[42:43], vcc, exec
.LBB198_157:
	s_or_b64 exec, exec, s[14:15]
.LBB198_158:
	s_and_b64 s[14:15], s[42:43], exec
.LBB198_159:
	s_or_b64 exec, exec, s[40:41]
	s_waitcnt lgkmcnt(0)
	s_barrier
	s_and_saveexec_b64 s[40:41], s[2:3]
	s_cbranch_execz .LBB198_161
; %bb.160:
	s_waitcnt vmcnt(0)
	v_add_u32_e32 v16, -8, v31
	ds_read_b64 v[16:17], v16
.LBB198_161:
	s_or_b64 exec, exec, s[40:41]
	v_cndmask_b32_e64 v19, 0, 1, s[12:13]
	v_cndmask_b32_e64 v18, 0, 1, s[38:39]
	;; [unrolled: 1-line block ×3, first 2 shown]
	v_lshlrev_b16_e32 v19, 8, v19
	v_cmp_gt_u32_e32 vcc, s52, v1
	v_lshlrev_b16_e32 v22, 8, v20
	v_or_b32_sdwa v23, v18, v19 dst_sel:WORD_1 dst_unused:UNUSED_PAD src0_sel:DWORD src1_sel:DWORD
	s_mov_b64 s[12:13], 0
	s_and_saveexec_b64 s[14:15], vcc
	s_cbranch_execz .LBB198_172
; %bb.162:
	s_and_b64 vcc, exec, s[4:5]
	s_cbranch_vccnz .LBB198_171
; %bb.163:
	v_mov_b64_e32 v[20:21], s[28:29]
	s_waitcnt vmcnt(0) lgkmcnt(0)
	v_mad_u64_u32 v[18:19], s[4:5], v16, s26, v[20:21]
	v_mul_lo_u32 v16, v16, s27
	v_mul_lo_u32 v17, v17, s26
	v_add3_u32 v19, v17, v19, v16
	v_mad_u64_u32 v[16:17], s[4:5], v10, s26, v[20:21]
	v_mul_lo_u32 v20, v10, s27
	v_mul_lo_u32 v21, v11, s26
	v_add3_u32 v17, v21, v17, v20
	global_load_ubyte v20, v[18:19], off
	global_load_ubyte v21, v[16:17], off
	s_mov_b64 s[12:13], -1
	s_waitcnt vmcnt(0)
	v_cmp_eq_u16_e32 vcc, v20, v21
	s_and_saveexec_b64 s[4:5], vcc
	s_cbranch_execz .LBB198_170
; %bb.164:
	s_mov_b64 s[40:41], 1
	s_mov_b64 s[12:13], 0
                                        ; implicit-def: $sgpr38_sgpr39
	s_branch .LBB198_167
.LBB198_165:                            ;   in Loop: Header=BB198_167 Depth=1
	v_lshl_add_u64 v[20:21], v[18:19], 0, s[40:41]
	v_lshl_add_u64 v[32:33], v[16:17], 0, s[40:41]
	global_load_ubyte v31, v[20:21], off
	global_load_ubyte v34, v[32:33], off
	s_add_u32 s42, s40, 1
	s_addc_u32 s43, s41, 0
	s_andn2_b64 s[38:39], s[38:39], exec
	s_waitcnt vmcnt(0)
	v_cmp_ne_u16_e32 vcc, v31, v34
	s_and_b64 s[44:45], vcc, exec
	s_or_b64 s[38:39], s[38:39], s[44:45]
.LBB198_166:                            ;   in Loop: Header=BB198_167 Depth=1
	s_and_b64 s[44:45], exec, s[38:39]
	s_or_b64 s[12:13], s[44:45], s[12:13]
	v_mov_b64_e32 v[20:21], s[40:41]
	s_mov_b64 s[40:41], s[42:43]
	s_andn2_b64 exec, exec, s[12:13]
	s_cbranch_execz .LBB198_169
.LBB198_167:                            ; =>This Inner Loop Header: Depth=1
	s_or_b64 s[38:39], s[38:39], exec
	s_cmp_eq_u64 s[26:27], s[40:41]
	s_cbranch_scc0 .LBB198_165
; %bb.168:                              ;   in Loop: Header=BB198_167 Depth=1
                                        ; implicit-def: $sgpr42_sgpr43
	s_mov_b64 s[40:41], s[26:27]
	s_branch .LBB198_166
.LBB198_169:
	s_or_b64 exec, exec, s[12:13]
	v_cmp_gt_i64_e32 vcc, s[26:27], v[20:21]
	s_orn2_b64 s[12:13], vcc, exec
.LBB198_170:
	s_or_b64 exec, exec, s[4:5]
.LBB198_171:
	s_and_b64 s[12:13], s[12:13], exec
.LBB198_172:
	s_or_b64 exec, exec, s[14:15]
	v_cndmask_b32_e64 v32, 0, 1, s[10:11]
	v_cndmask_b32_e64 v33, 0, 1, s[8:9]
	;; [unrolled: 1-line block ×3, first 2 shown]
	v_or_b32_e32 v20, v22, v23
.LBB198_173:
	s_mov_b64 s[8:9], -1
	s_cbranch_execnz .LBB198_32
.LBB198_174:
	s_movk_i32 s4, 0xffd0
	v_mad_i32_i24 v30, v0, s4, v30
	s_mov_b64 s[10:11], 0
	v_cmp_gt_i64_e64 s[6:7], s[26:27], 0
	s_and_b64 vcc, exec, s[36:37]
	ds_write_b64 v30, v[14:15]
	s_cbranch_vccz .LBB198_182
; %bb.175:
	v_mul_lo_u32 v18, v5, s26
	v_mul_lo_u32 v19, v4, s27
	s_waitcnt vmcnt(0) lgkmcnt(1)
	v_mad_u64_u32 v[16:17], s[4:5], v4, s26, 0
	v_add3_u32 v17, v17, v19, v18
	v_cndmask_b32_e64 v18, 0, 1, s[6:7]
	v_cmp_ne_u32_e64 s[4:5], 1, v18
	s_andn2_b64 vcc, exec, s[6:7]
	v_lshl_add_u64 v[16:17], s[28:29], 0, v[16:17]
	s_cbranch_vccnz .LBB198_185
; %bb.176:
	v_mov_b64_e32 v[18:19], s[28:29]
	v_mad_u64_u32 v[18:19], s[10:11], v14, s26, v[18:19]
	v_mul_lo_u32 v20, v14, s27
	v_mul_lo_u32 v21, v15, s26
	v_add3_u32 v19, v21, v19, v20
	global_load_ubyte v20, v[16:17], off
	global_load_ubyte v21, v[18:19], off
	s_mov_b64 s[10:11], -1
	s_waitcnt vmcnt(0)
	v_cmp_eq_u16_e32 vcc, v20, v21
	s_and_saveexec_b64 s[12:13], vcc
	s_cbranch_execz .LBB198_184
; %bb.177:
	s_mov_b64 s[38:39], 1
	s_mov_b64 s[10:11], 0
                                        ; implicit-def: $sgpr14_sgpr15
	s_branch .LBB198_180
.LBB198_178:                            ;   in Loop: Header=BB198_180 Depth=1
	v_lshl_add_u64 v[20:21], v[16:17], 0, s[38:39]
	v_lshl_add_u64 v[22:23], v[18:19], 0, s[38:39]
	global_load_ubyte v31, v[20:21], off
	global_load_ubyte v32, v[22:23], off
	s_add_u32 s40, s38, 1
	s_addc_u32 s41, s39, 0
	s_andn2_b64 s[14:15], s[14:15], exec
	s_waitcnt vmcnt(0)
	v_cmp_ne_u16_e32 vcc, v31, v32
	s_and_b64 s[42:43], vcc, exec
	s_or_b64 s[14:15], s[14:15], s[42:43]
.LBB198_179:                            ;   in Loop: Header=BB198_180 Depth=1
	s_and_b64 s[42:43], exec, s[14:15]
	s_or_b64 s[10:11], s[42:43], s[10:11]
	v_mov_b64_e32 v[20:21], s[38:39]
	s_mov_b64 s[38:39], s[40:41]
	s_andn2_b64 exec, exec, s[10:11]
	s_cbranch_execz .LBB198_183
.LBB198_180:                            ; =>This Inner Loop Header: Depth=1
	s_or_b64 s[14:15], s[14:15], exec
	s_cmp_eq_u64 s[26:27], s[38:39]
	s_cbranch_scc0 .LBB198_178
; %bb.181:                              ;   in Loop: Header=BB198_180 Depth=1
                                        ; implicit-def: $sgpr40_sgpr41
	s_mov_b64 s[38:39], s[26:27]
	s_branch .LBB198_179
.LBB198_182:
                                        ; implicit-def: $sgpr12_sgpr13
                                        ; implicit-def: $vgpr34
                                        ; implicit-def: $vgpr33
                                        ; implicit-def: $vgpr32
                                        ; implicit-def: $vgpr20
                                        ; implicit-def: $vgpr16_vgpr17
	s_cbranch_execnz .LBB198_242
	s_branch .LBB198_322
.LBB198_183:
	s_or_b64 exec, exec, s[10:11]
	v_cmp_gt_i64_e32 vcc, s[26:27], v[20:21]
	s_orn2_b64 s[10:11], vcc, exec
.LBB198_184:
	s_or_b64 exec, exec, s[12:13]
.LBB198_185:
	v_mul_lo_u32 v20, v3, s26
	v_mul_lo_u32 v21, v2, s27
	v_mad_u64_u32 v[18:19], s[12:13], v2, s26, 0
	v_add3_u32 v19, v19, v21, v20
	s_mov_b64 s[12:13], 0
	s_and_b64 vcc, exec, s[4:5]
	v_lshl_add_u64 v[18:19], s[28:29], 0, v[18:19]
	s_mov_b64 s[14:15], 0
	s_cbranch_vccnz .LBB198_194
; %bb.186:
	global_load_ubyte v20, v[18:19], off
	global_load_ubyte v21, v[16:17], off
	s_mov_b64 s[14:15], -1
	s_waitcnt vmcnt(0)
	v_cmp_eq_u16_e32 vcc, v20, v21
	s_and_saveexec_b64 s[38:39], vcc
	s_cbranch_execz .LBB198_193
; %bb.187:
	s_mov_b64 s[42:43], 1
	s_mov_b64 s[14:15], 0
                                        ; implicit-def: $sgpr40_sgpr41
	s_branch .LBB198_190
.LBB198_188:                            ;   in Loop: Header=BB198_190 Depth=1
	v_lshl_add_u64 v[20:21], v[18:19], 0, s[42:43]
	v_lshl_add_u64 v[22:23], v[16:17], 0, s[42:43]
	global_load_ubyte v31, v[20:21], off
	global_load_ubyte v32, v[22:23], off
	s_add_u32 s44, s42, 1
	s_addc_u32 s45, s43, 0
	s_andn2_b64 s[40:41], s[40:41], exec
	s_waitcnt vmcnt(0)
	v_cmp_ne_u16_e32 vcc, v31, v32
	s_and_b64 s[46:47], vcc, exec
	s_or_b64 s[40:41], s[40:41], s[46:47]
.LBB198_189:                            ;   in Loop: Header=BB198_190 Depth=1
	s_and_b64 s[46:47], exec, s[40:41]
	s_or_b64 s[14:15], s[46:47], s[14:15]
	v_mov_b64_e32 v[20:21], s[42:43]
	s_mov_b64 s[42:43], s[44:45]
	s_andn2_b64 exec, exec, s[14:15]
	s_cbranch_execz .LBB198_192
.LBB198_190:                            ; =>This Inner Loop Header: Depth=1
	s_or_b64 s[40:41], s[40:41], exec
	s_cmp_eq_u64 s[26:27], s[42:43]
	s_cbranch_scc0 .LBB198_188
; %bb.191:                              ;   in Loop: Header=BB198_190 Depth=1
                                        ; implicit-def: $sgpr44_sgpr45
	s_mov_b64 s[42:43], s[26:27]
	s_branch .LBB198_189
.LBB198_192:
	s_or_b64 exec, exec, s[14:15]
	v_cmp_gt_i64_e32 vcc, s[26:27], v[20:21]
	s_orn2_b64 s[14:15], vcc, exec
.LBB198_193:
	s_or_b64 exec, exec, s[38:39]
.LBB198_194:
	v_mul_lo_u32 v20, v9, s26
	v_mul_lo_u32 v21, v8, s27
	v_mad_u64_u32 v[16:17], s[38:39], v8, s26, 0
	v_add3_u32 v17, v17, v21, v20
	s_and_b64 vcc, exec, s[4:5]
	v_lshl_add_u64 v[16:17], s[28:29], 0, v[16:17]
	s_cbranch_vccnz .LBB198_203
; %bb.195:
	global_load_ubyte v20, v[16:17], off
	global_load_ubyte v21, v[18:19], off
	s_mov_b64 s[12:13], -1
	s_waitcnt vmcnt(0)
	v_cmp_eq_u16_e32 vcc, v20, v21
	s_and_saveexec_b64 s[38:39], vcc
	s_cbranch_execz .LBB198_202
; %bb.196:
	s_mov_b64 s[42:43], 1
	s_mov_b64 s[12:13], 0
                                        ; implicit-def: $sgpr40_sgpr41
	s_branch .LBB198_199
.LBB198_197:                            ;   in Loop: Header=BB198_199 Depth=1
	v_lshl_add_u64 v[20:21], v[16:17], 0, s[42:43]
	v_lshl_add_u64 v[22:23], v[18:19], 0, s[42:43]
	global_load_ubyte v31, v[20:21], off
	global_load_ubyte v32, v[22:23], off
	s_add_u32 s44, s42, 1
	s_addc_u32 s45, s43, 0
	s_andn2_b64 s[40:41], s[40:41], exec
	s_waitcnt vmcnt(0)
	v_cmp_ne_u16_e32 vcc, v31, v32
	s_and_b64 s[46:47], vcc, exec
	s_or_b64 s[40:41], s[40:41], s[46:47]
.LBB198_198:                            ;   in Loop: Header=BB198_199 Depth=1
	s_and_b64 s[46:47], exec, s[40:41]
	s_or_b64 s[12:13], s[46:47], s[12:13]
	v_mov_b64_e32 v[20:21], s[42:43]
	s_mov_b64 s[42:43], s[44:45]
	s_andn2_b64 exec, exec, s[12:13]
	s_cbranch_execz .LBB198_201
.LBB198_199:                            ; =>This Inner Loop Header: Depth=1
	s_or_b64 s[40:41], s[40:41], exec
	s_cmp_eq_u64 s[26:27], s[42:43]
	s_cbranch_scc0 .LBB198_197
; %bb.200:                              ;   in Loop: Header=BB198_199 Depth=1
                                        ; implicit-def: $sgpr44_sgpr45
	s_mov_b64 s[42:43], s[26:27]
	s_branch .LBB198_198
.LBB198_201:
	s_or_b64 exec, exec, s[12:13]
	v_cmp_gt_i64_e32 vcc, s[26:27], v[20:21]
	s_orn2_b64 s[12:13], vcc, exec
.LBB198_202:
	s_or_b64 exec, exec, s[38:39]
.LBB198_203:
	v_mul_lo_u32 v20, v7, s26
	v_mul_lo_u32 v21, v6, s27
	v_mad_u64_u32 v[18:19], s[38:39], v6, s26, 0
	v_add3_u32 v19, v19, v21, v20
	s_mov_b64 s[38:39], 0
	s_and_b64 vcc, exec, s[4:5]
	v_lshl_add_u64 v[18:19], s[28:29], 0, v[18:19]
	s_mov_b64 s[40:41], 0
	s_cbranch_vccnz .LBB198_212
; %bb.204:
	global_load_ubyte v20, v[18:19], off
	global_load_ubyte v21, v[16:17], off
	s_mov_b64 s[40:41], -1
	s_waitcnt vmcnt(0)
	v_cmp_eq_u16_e32 vcc, v20, v21
	s_and_saveexec_b64 s[42:43], vcc
	s_cbranch_execz .LBB198_211
; %bb.205:
	s_mov_b64 s[46:47], 1
	s_mov_b64 s[40:41], 0
                                        ; implicit-def: $sgpr44_sgpr45
	s_branch .LBB198_208
.LBB198_206:                            ;   in Loop: Header=BB198_208 Depth=1
	v_lshl_add_u64 v[20:21], v[18:19], 0, s[46:47]
	v_lshl_add_u64 v[22:23], v[16:17], 0, s[46:47]
	global_load_ubyte v31, v[20:21], off
	global_load_ubyte v32, v[22:23], off
	s_add_u32 s48, s46, 1
	s_addc_u32 s49, s47, 0
	s_andn2_b64 s[44:45], s[44:45], exec
	s_waitcnt vmcnt(0)
	v_cmp_ne_u16_e32 vcc, v31, v32
	s_and_b64 s[50:51], vcc, exec
	s_or_b64 s[44:45], s[44:45], s[50:51]
.LBB198_207:                            ;   in Loop: Header=BB198_208 Depth=1
	s_and_b64 s[50:51], exec, s[44:45]
	s_or_b64 s[40:41], s[50:51], s[40:41]
	v_mov_b64_e32 v[20:21], s[46:47]
	s_mov_b64 s[46:47], s[48:49]
	s_andn2_b64 exec, exec, s[40:41]
	s_cbranch_execz .LBB198_210
.LBB198_208:                            ; =>This Inner Loop Header: Depth=1
	s_or_b64 s[44:45], s[44:45], exec
	s_cmp_eq_u64 s[26:27], s[46:47]
	s_cbranch_scc0 .LBB198_206
; %bb.209:                              ;   in Loop: Header=BB198_208 Depth=1
                                        ; implicit-def: $sgpr48_sgpr49
	s_mov_b64 s[46:47], s[26:27]
	s_branch .LBB198_207
.LBB198_210:
	s_or_b64 exec, exec, s[40:41]
	v_cmp_gt_i64_e32 vcc, s[26:27], v[20:21]
	s_orn2_b64 s[40:41], vcc, exec
.LBB198_211:
	s_or_b64 exec, exec, s[42:43]
.LBB198_212:
	v_mul_lo_u32 v20, v13, s26
	v_mul_lo_u32 v21, v12, s27
	v_mad_u64_u32 v[16:17], s[42:43], v12, s26, 0
	v_add3_u32 v17, v17, v21, v20
	s_and_b64 vcc, exec, s[4:5]
	v_lshl_add_u64 v[16:17], s[28:29], 0, v[16:17]
	s_cbranch_vccnz .LBB198_221
; %bb.213:
	global_load_ubyte v20, v[16:17], off
	global_load_ubyte v21, v[18:19], off
	s_mov_b64 s[38:39], -1
	s_waitcnt vmcnt(0)
	v_cmp_eq_u16_e32 vcc, v20, v21
	s_and_saveexec_b64 s[42:43], vcc
	s_cbranch_execz .LBB198_220
; %bb.214:
	s_mov_b64 s[46:47], 1
	s_mov_b64 s[38:39], 0
                                        ; implicit-def: $sgpr44_sgpr45
	s_branch .LBB198_217
.LBB198_215:                            ;   in Loop: Header=BB198_217 Depth=1
	v_lshl_add_u64 v[20:21], v[16:17], 0, s[46:47]
	v_lshl_add_u64 v[22:23], v[18:19], 0, s[46:47]
	global_load_ubyte v31, v[20:21], off
	global_load_ubyte v32, v[22:23], off
	s_add_u32 s48, s46, 1
	s_addc_u32 s49, s47, 0
	s_andn2_b64 s[44:45], s[44:45], exec
	s_waitcnt vmcnt(0)
	v_cmp_ne_u16_e32 vcc, v31, v32
	s_and_b64 s[50:51], vcc, exec
	s_or_b64 s[44:45], s[44:45], s[50:51]
.LBB198_216:                            ;   in Loop: Header=BB198_217 Depth=1
	s_and_b64 s[50:51], exec, s[44:45]
	s_or_b64 s[38:39], s[50:51], s[38:39]
	v_mov_b64_e32 v[20:21], s[46:47]
	s_mov_b64 s[46:47], s[48:49]
	s_andn2_b64 exec, exec, s[38:39]
	s_cbranch_execz .LBB198_219
.LBB198_217:                            ; =>This Inner Loop Header: Depth=1
	s_or_b64 s[44:45], s[44:45], exec
	s_cmp_eq_u64 s[26:27], s[46:47]
	s_cbranch_scc0 .LBB198_215
; %bb.218:                              ;   in Loop: Header=BB198_217 Depth=1
                                        ; implicit-def: $sgpr48_sgpr49
	s_mov_b64 s[46:47], s[26:27]
	s_branch .LBB198_216
.LBB198_219:
	s_or_b64 exec, exec, s[38:39]
	v_cmp_gt_i64_e32 vcc, s[26:27], v[20:21]
	s_orn2_b64 s[38:39], vcc, exec
.LBB198_220:
	s_or_b64 exec, exec, s[42:43]
.LBB198_221:
	v_mul_lo_u32 v20, v11, s26
	v_mul_lo_u32 v21, v10, s27
	v_mad_u64_u32 v[18:19], s[42:43], v10, s26, 0
	v_add3_u32 v19, v19, v21, v20
	s_and_b64 vcc, exec, s[4:5]
	s_mov_b64 s[44:45], 0
	s_cbranch_vccnz .LBB198_230
; %bb.222:
	v_lshl_add_u64 v[20:21], s[28:29], 0, v[18:19]
	global_load_ubyte v22, v[20:21], off
	global_load_ubyte v23, v[16:17], off
	s_mov_b64 s[44:45], -1
	s_waitcnt vmcnt(0)
	v_cmp_eq_u16_e32 vcc, v22, v23
	s_and_saveexec_b64 s[42:43], vcc
	s_cbranch_execz .LBB198_229
; %bb.223:
	s_mov_b64 s[48:49], 1
	s_mov_b64 s[44:45], 0
                                        ; implicit-def: $sgpr46_sgpr47
	s_branch .LBB198_226
.LBB198_224:                            ;   in Loop: Header=BB198_226 Depth=1
	v_lshl_add_u64 v[22:23], v[20:21], 0, s[48:49]
	v_lshl_add_u64 v[32:33], v[16:17], 0, s[48:49]
	global_load_ubyte v22, v[22:23], off
	s_nop 0
	global_load_ubyte v23, v[32:33], off
	s_add_u32 s50, s48, 1
	s_addc_u32 s51, s49, 0
	s_andn2_b64 s[46:47], s[46:47], exec
	s_waitcnt vmcnt(0)
	v_cmp_ne_u16_e32 vcc, v22, v23
	s_and_b64 s[54:55], vcc, exec
	s_or_b64 s[46:47], s[46:47], s[54:55]
.LBB198_225:                            ;   in Loop: Header=BB198_226 Depth=1
	s_and_b64 s[54:55], exec, s[46:47]
	s_or_b64 s[44:45], s[54:55], s[44:45]
	v_mov_b64_e32 v[22:23], s[48:49]
	s_mov_b64 s[48:49], s[50:51]
	s_andn2_b64 exec, exec, s[44:45]
	s_cbranch_execz .LBB198_228
.LBB198_226:                            ; =>This Inner Loop Header: Depth=1
	s_or_b64 s[46:47], s[46:47], exec
	s_cmp_eq_u64 s[26:27], s[48:49]
	s_cbranch_scc0 .LBB198_224
; %bb.227:                              ;   in Loop: Header=BB198_226 Depth=1
                                        ; implicit-def: $sgpr50_sgpr51
	s_mov_b64 s[48:49], s[26:27]
	s_branch .LBB198_225
.LBB198_228:
	s_or_b64 exec, exec, s[44:45]
	v_cmp_gt_i64_e32 vcc, s[26:27], v[22:23]
	s_orn2_b64 s[44:45], vcc, exec
.LBB198_229:
	s_or_b64 exec, exec, s[42:43]
.LBB198_230:
	v_cndmask_b32_e64 v17, 0, 1, s[40:41]
	v_cndmask_b32_e64 v16, 0, 1, s[38:39]
	;; [unrolled: 1-line block ×3, first 2 shown]
	v_lshlrev_b16_e32 v17, 8, v17
	v_cndmask_b32_e64 v32, 0, 1, s[12:13]
	v_cndmask_b32_e64 v20, 0, 1, s[44:45]
	v_or_b32_sdwa v16, v16, v17 dst_sel:WORD_1 dst_unused:UNUSED_PAD src0_sel:DWORD src1_sel:DWORD
	v_lshlrev_b16_e32 v17, 8, v33
	v_lshlrev_b16_e32 v20, 8, v20
	v_or_b32_e32 v17, v32, v17
	v_or_b32_e32 v20, 1, v20
	v_and_b32_e32 v17, 0xffff, v17
	v_cndmask_b32_e64 v34, 0, 1, s[10:11]
	v_or_b32_sdwa v16, v20, v16 dst_sel:DWORD dst_unused:UNUSED_PAD src0_sel:WORD_0 src1_sel:DWORD
	v_lshl_or_b32 v17, v34, 16, v17
	s_waitcnt lgkmcnt(0)
	s_barrier
	s_waitcnt lgkmcnt(0)
                                        ; implicit-def: $sgpr12_sgpr13
                                        ; implicit-def: $vgpr20
	s_and_saveexec_b64 s[10:11], s[2:3]
	s_xor_b64 s[10:11], exec, s[10:11]
	s_cbranch_execz .LBB198_241
; %bb.231:
	s_mov_b32 s42, 0x3020104
	s_and_b64 vcc, exec, s[4:5]
	s_mov_b64 s[12:13], 0
	s_cbranch_vccnz .LBB198_240
; %bb.232:
	v_add_u32_e32 v17, -8, v30
	ds_read_b64 v[20:21], v17
	v_mov_b64_e32 v[22:23], s[28:29]
	v_lshl_add_u64 v[18:19], s[28:29], 0, v[18:19]
	s_mov_b64 s[12:13], -1
	s_waitcnt lgkmcnt(0)
	v_mul_lo_u32 v17, v20, s27
	v_mul_lo_u32 v31, v21, s26
	v_mad_u64_u32 v[20:21], s[4:5], v20, s26, v[22:23]
	v_add3_u32 v21, v31, v21, v17
	global_load_ubyte v17, v[18:19], off
	global_load_ubyte v22, v[20:21], off
	s_waitcnt vmcnt(0)
	v_cmp_eq_u16_e32 vcc, v22, v17
	s_and_saveexec_b64 s[4:5], vcc
	s_cbranch_execz .LBB198_239
; %bb.233:
	s_mov_b64 s[38:39], 1
	s_mov_b64 s[12:13], 0
                                        ; implicit-def: $sgpr14_sgpr15
	s_branch .LBB198_236
.LBB198_234:                            ;   in Loop: Header=BB198_236 Depth=1
	v_lshl_add_u64 v[22:23], v[20:21], 0, s[38:39]
	v_lshl_add_u64 v[36:37], v[18:19], 0, s[38:39]
	global_load_ubyte v17, v[22:23], off
	global_load_ubyte v31, v[36:37], off
	s_add_u32 s40, s38, 1
	s_addc_u32 s41, s39, 0
	s_andn2_b64 s[14:15], s[14:15], exec
	s_waitcnt vmcnt(0)
	v_cmp_ne_u16_e32 vcc, v17, v31
	s_and_b64 s[44:45], vcc, exec
	s_or_b64 s[14:15], s[14:15], s[44:45]
.LBB198_235:                            ;   in Loop: Header=BB198_236 Depth=1
	s_and_b64 s[44:45], exec, s[14:15]
	s_or_b64 s[12:13], s[44:45], s[12:13]
	v_mov_b64_e32 v[22:23], s[38:39]
	s_mov_b64 s[38:39], s[40:41]
	s_andn2_b64 exec, exec, s[12:13]
	s_cbranch_execz .LBB198_238
.LBB198_236:                            ; =>This Inner Loop Header: Depth=1
	s_or_b64 s[14:15], s[14:15], exec
	s_cmp_eq_u64 s[26:27], s[38:39]
	s_cbranch_scc0 .LBB198_234
; %bb.237:                              ;   in Loop: Header=BB198_236 Depth=1
                                        ; implicit-def: $sgpr40_sgpr41
	s_mov_b64 s[38:39], s[26:27]
	s_branch .LBB198_235
.LBB198_238:
	s_or_b64 exec, exec, s[12:13]
	v_cmp_gt_i64_e32 vcc, s[26:27], v[22:23]
	s_orn2_b64 s[12:13], vcc, exec
.LBB198_239:
	s_or_b64 exec, exec, s[4:5]
.LBB198_240:
	v_perm_b32 v20, v16, v16, s42
	s_and_b64 s[12:13], s[12:13], exec
	s_or_b64 s[8:9], s[8:9], exec
                                        ; implicit-def: $vgpr16_vgpr17
.LBB198_241:
	s_or_b64 exec, exec, s[10:11]
	s_branch .LBB198_322
.LBB198_242:
	v_cmp_gt_u32_e32 vcc, s52, v27
	s_mov_b64 s[10:11], 0
	s_mov_b64 s[4:5], 0
	s_and_saveexec_b64 s[12:13], vcc
	s_cbranch_execz .LBB198_253
; %bb.243:
	s_andn2_b64 vcc, exec, s[6:7]
	s_mov_b64 s[14:15], 0
	s_cbranch_vccnz .LBB198_252
; %bb.244:
	v_mov_b64_e32 v[18:19], s[28:29]
	s_waitcnt vmcnt(0) lgkmcnt(1)
	v_mad_u64_u32 v[16:17], s[4:5], v4, s26, v[18:19]
	v_mul_lo_u32 v20, v4, s27
	v_mul_lo_u32 v21, v5, s26
	v_add3_u32 v17, v21, v17, v20
	v_mad_u64_u32 v[18:19], s[4:5], v14, s26, v[18:19]
	v_mul_lo_u32 v20, v14, s27
	v_mul_lo_u32 v21, v15, s26
	v_add3_u32 v19, v21, v19, v20
	global_load_ubyte v20, v[16:17], off
	global_load_ubyte v21, v[18:19], off
	s_mov_b64 s[14:15], -1
	s_waitcnt vmcnt(0)
	v_cmp_eq_u16_e32 vcc, v20, v21
	s_and_saveexec_b64 s[4:5], vcc
	s_cbranch_execz .LBB198_251
; %bb.245:
	s_mov_b64 s[40:41], 1
	s_mov_b64 s[14:15], 0
                                        ; implicit-def: $sgpr38_sgpr39
	s_branch .LBB198_248
.LBB198_246:                            ;   in Loop: Header=BB198_248 Depth=1
	v_lshl_add_u64 v[20:21], v[16:17], 0, s[40:41]
	v_lshl_add_u64 v[22:23], v[18:19], 0, s[40:41]
	global_load_ubyte v31, v[20:21], off
	global_load_ubyte v32, v[22:23], off
	s_add_u32 s42, s40, 1
	s_addc_u32 s43, s41, 0
	s_andn2_b64 s[38:39], s[38:39], exec
	s_waitcnt vmcnt(0)
	v_cmp_ne_u16_e32 vcc, v31, v32
	s_and_b64 s[44:45], vcc, exec
	s_or_b64 s[38:39], s[38:39], s[44:45]
.LBB198_247:                            ;   in Loop: Header=BB198_248 Depth=1
	s_and_b64 s[44:45], exec, s[38:39]
	s_or_b64 s[14:15], s[44:45], s[14:15]
	v_mov_b64_e32 v[20:21], s[40:41]
	s_mov_b64 s[40:41], s[42:43]
	s_andn2_b64 exec, exec, s[14:15]
	s_cbranch_execz .LBB198_250
.LBB198_248:                            ; =>This Inner Loop Header: Depth=1
	s_or_b64 s[38:39], s[38:39], exec
	s_cmp_eq_u64 s[26:27], s[40:41]
	s_cbranch_scc0 .LBB198_246
; %bb.249:                              ;   in Loop: Header=BB198_248 Depth=1
                                        ; implicit-def: $sgpr42_sgpr43
	s_mov_b64 s[40:41], s[26:27]
	s_branch .LBB198_247
.LBB198_250:
	s_or_b64 exec, exec, s[14:15]
	v_cmp_gt_i64_e32 vcc, s[26:27], v[20:21]
	s_orn2_b64 s[14:15], vcc, exec
.LBB198_251:
	s_or_b64 exec, exec, s[4:5]
.LBB198_252:
	s_and_b64 s[4:5], s[14:15], exec
.LBB198_253:
	s_or_b64 exec, exec, s[12:13]
	v_cmp_gt_u32_e32 vcc, s52, v29
	s_and_saveexec_b64 s[12:13], vcc
	s_cbranch_execz .LBB198_264
; %bb.254:
	s_andn2_b64 vcc, exec, s[6:7]
	s_mov_b64 s[14:15], 0
	s_cbranch_vccnz .LBB198_263
; %bb.255:
	v_mov_b64_e32 v[18:19], s[28:29]
	s_waitcnt vmcnt(0) lgkmcnt(1)
	v_mad_u64_u32 v[16:17], s[10:11], v2, s26, v[18:19]
	v_mul_lo_u32 v20, v2, s27
	v_mul_lo_u32 v21, v3, s26
	v_add3_u32 v17, v21, v17, v20
	v_mad_u64_u32 v[18:19], s[10:11], v4, s26, v[18:19]
	v_mul_lo_u32 v20, v4, s27
	v_mul_lo_u32 v21, v5, s26
	v_add3_u32 v19, v21, v19, v20
	global_load_ubyte v20, v[16:17], off
	global_load_ubyte v21, v[18:19], off
	s_mov_b64 s[14:15], -1
	s_waitcnt vmcnt(0)
	v_cmp_eq_u16_e32 vcc, v20, v21
	s_and_saveexec_b64 s[10:11], vcc
	s_cbranch_execz .LBB198_262
; %bb.256:
	s_mov_b64 s[40:41], 1
	s_mov_b64 s[14:15], 0
                                        ; implicit-def: $sgpr38_sgpr39
	s_branch .LBB198_259
.LBB198_257:                            ;   in Loop: Header=BB198_259 Depth=1
	v_lshl_add_u64 v[20:21], v[16:17], 0, s[40:41]
	v_lshl_add_u64 v[22:23], v[18:19], 0, s[40:41]
	global_load_ubyte v31, v[20:21], off
	global_load_ubyte v32, v[22:23], off
	s_add_u32 s42, s40, 1
	s_addc_u32 s43, s41, 0
	s_andn2_b64 s[38:39], s[38:39], exec
	s_waitcnt vmcnt(0)
	v_cmp_ne_u16_e32 vcc, v31, v32
	s_and_b64 s[44:45], vcc, exec
	s_or_b64 s[38:39], s[38:39], s[44:45]
.LBB198_258:                            ;   in Loop: Header=BB198_259 Depth=1
	s_and_b64 s[44:45], exec, s[38:39]
	s_or_b64 s[14:15], s[44:45], s[14:15]
	v_mov_b64_e32 v[20:21], s[40:41]
	s_mov_b64 s[40:41], s[42:43]
	s_andn2_b64 exec, exec, s[14:15]
	s_cbranch_execz .LBB198_261
.LBB198_259:                            ; =>This Inner Loop Header: Depth=1
	s_or_b64 s[38:39], s[38:39], exec
	s_cmp_eq_u64 s[26:27], s[40:41]
	s_cbranch_scc0 .LBB198_257
; %bb.260:                              ;   in Loop: Header=BB198_259 Depth=1
                                        ; implicit-def: $sgpr42_sgpr43
	s_mov_b64 s[40:41], s[26:27]
	s_branch .LBB198_258
.LBB198_261:
	s_or_b64 exec, exec, s[14:15]
	v_cmp_gt_i64_e32 vcc, s[26:27], v[20:21]
	s_orn2_b64 s[14:15], vcc, exec
.LBB198_262:
	s_or_b64 exec, exec, s[10:11]
.LBB198_263:
	s_and_b64 s[10:11], s[14:15], exec
.LBB198_264:
	s_or_b64 exec, exec, s[12:13]
	v_cmp_gt_u32_e32 vcc, s52, v26
	s_mov_b64 s[14:15], 0
	s_mov_b64 s[12:13], 0
	s_and_saveexec_b64 s[38:39], vcc
	s_cbranch_execz .LBB198_275
; %bb.265:
	s_andn2_b64 vcc, exec, s[6:7]
	s_mov_b64 s[40:41], 0
	s_cbranch_vccnz .LBB198_274
; %bb.266:
	v_mov_b64_e32 v[18:19], s[28:29]
	s_waitcnt vmcnt(0) lgkmcnt(1)
	v_mad_u64_u32 v[16:17], s[12:13], v8, s26, v[18:19]
	v_mul_lo_u32 v20, v8, s27
	v_mul_lo_u32 v21, v9, s26
	v_add3_u32 v17, v21, v17, v20
	v_mad_u64_u32 v[18:19], s[12:13], v2, s26, v[18:19]
	v_mul_lo_u32 v20, v2, s27
	v_mul_lo_u32 v21, v3, s26
	v_add3_u32 v19, v21, v19, v20
	global_load_ubyte v20, v[16:17], off
	global_load_ubyte v21, v[18:19], off
	s_mov_b64 s[40:41], -1
	s_waitcnt vmcnt(0)
	v_cmp_eq_u16_e32 vcc, v20, v21
	s_and_saveexec_b64 s[12:13], vcc
	s_cbranch_execz .LBB198_273
; %bb.267:
	s_mov_b64 s[44:45], 1
	s_mov_b64 s[40:41], 0
                                        ; implicit-def: $sgpr42_sgpr43
	s_branch .LBB198_270
.LBB198_268:                            ;   in Loop: Header=BB198_270 Depth=1
	v_lshl_add_u64 v[20:21], v[16:17], 0, s[44:45]
	v_lshl_add_u64 v[22:23], v[18:19], 0, s[44:45]
	global_load_ubyte v31, v[20:21], off
	global_load_ubyte v32, v[22:23], off
	s_add_u32 s46, s44, 1
	s_addc_u32 s47, s45, 0
	s_andn2_b64 s[42:43], s[42:43], exec
	s_waitcnt vmcnt(0)
	v_cmp_ne_u16_e32 vcc, v31, v32
	s_and_b64 s[48:49], vcc, exec
	s_or_b64 s[42:43], s[42:43], s[48:49]
.LBB198_269:                            ;   in Loop: Header=BB198_270 Depth=1
	s_and_b64 s[48:49], exec, s[42:43]
	s_or_b64 s[40:41], s[48:49], s[40:41]
	v_mov_b64_e32 v[20:21], s[44:45]
	s_mov_b64 s[44:45], s[46:47]
	s_andn2_b64 exec, exec, s[40:41]
	s_cbranch_execz .LBB198_272
.LBB198_270:                            ; =>This Inner Loop Header: Depth=1
	s_or_b64 s[42:43], s[42:43], exec
	s_cmp_eq_u64 s[26:27], s[44:45]
	s_cbranch_scc0 .LBB198_268
; %bb.271:                              ;   in Loop: Header=BB198_270 Depth=1
                                        ; implicit-def: $sgpr46_sgpr47
	s_mov_b64 s[44:45], s[26:27]
	s_branch .LBB198_269
.LBB198_272:
	s_or_b64 exec, exec, s[40:41]
	v_cmp_gt_i64_e32 vcc, s[26:27], v[20:21]
	s_orn2_b64 s[40:41], vcc, exec
.LBB198_273:
	s_or_b64 exec, exec, s[12:13]
.LBB198_274:
	s_and_b64 s[12:13], s[40:41], exec
.LBB198_275:
	s_or_b64 exec, exec, s[38:39]
	v_cmp_gt_u32_e32 vcc, s52, v28
	s_and_saveexec_b64 s[38:39], vcc
	s_cbranch_execz .LBB198_286
; %bb.276:
	s_andn2_b64 vcc, exec, s[6:7]
	s_mov_b64 s[40:41], 0
	s_cbranch_vccnz .LBB198_285
; %bb.277:
	v_mov_b64_e32 v[18:19], s[28:29]
	s_waitcnt vmcnt(0) lgkmcnt(1)
	v_mad_u64_u32 v[16:17], s[14:15], v6, s26, v[18:19]
	v_mul_lo_u32 v20, v6, s27
	v_mul_lo_u32 v21, v7, s26
	v_add3_u32 v17, v21, v17, v20
	v_mad_u64_u32 v[18:19], s[14:15], v8, s26, v[18:19]
	v_mul_lo_u32 v20, v8, s27
	v_mul_lo_u32 v21, v9, s26
	v_add3_u32 v19, v21, v19, v20
	global_load_ubyte v20, v[16:17], off
	global_load_ubyte v21, v[18:19], off
	s_mov_b64 s[40:41], -1
	s_waitcnt vmcnt(0)
	v_cmp_eq_u16_e32 vcc, v20, v21
	s_and_saveexec_b64 s[14:15], vcc
	s_cbranch_execz .LBB198_284
; %bb.278:
	s_mov_b64 s[44:45], 1
	s_mov_b64 s[40:41], 0
                                        ; implicit-def: $sgpr42_sgpr43
	s_branch .LBB198_281
.LBB198_279:                            ;   in Loop: Header=BB198_281 Depth=1
	v_lshl_add_u64 v[20:21], v[16:17], 0, s[44:45]
	v_lshl_add_u64 v[22:23], v[18:19], 0, s[44:45]
	global_load_ubyte v31, v[20:21], off
	global_load_ubyte v32, v[22:23], off
	s_add_u32 s46, s44, 1
	s_addc_u32 s47, s45, 0
	s_andn2_b64 s[42:43], s[42:43], exec
	s_waitcnt vmcnt(0)
	v_cmp_ne_u16_e32 vcc, v31, v32
	s_and_b64 s[48:49], vcc, exec
	s_or_b64 s[42:43], s[42:43], s[48:49]
.LBB198_280:                            ;   in Loop: Header=BB198_281 Depth=1
	s_and_b64 s[48:49], exec, s[42:43]
	s_or_b64 s[40:41], s[48:49], s[40:41]
	v_mov_b64_e32 v[20:21], s[44:45]
	s_mov_b64 s[44:45], s[46:47]
	s_andn2_b64 exec, exec, s[40:41]
	s_cbranch_execz .LBB198_283
.LBB198_281:                            ; =>This Inner Loop Header: Depth=1
	s_or_b64 s[42:43], s[42:43], exec
	s_cmp_eq_u64 s[26:27], s[44:45]
	s_cbranch_scc0 .LBB198_279
; %bb.282:                              ;   in Loop: Header=BB198_281 Depth=1
                                        ; implicit-def: $sgpr46_sgpr47
	s_mov_b64 s[44:45], s[26:27]
	s_branch .LBB198_280
.LBB198_283:
	s_or_b64 exec, exec, s[40:41]
	v_cmp_gt_i64_e32 vcc, s[26:27], v[20:21]
	s_orn2_b64 s[40:41], vcc, exec
.LBB198_284:
	s_or_b64 exec, exec, s[14:15]
.LBB198_285:
	s_and_b64 s[14:15], s[40:41], exec
.LBB198_286:
	s_or_b64 exec, exec, s[38:39]
	v_cmp_gt_u32_e32 vcc, s52, v24
	s_mov_b64 s[38:39], 0
	s_mov_b64 s[40:41], 0
	s_and_saveexec_b64 s[42:43], vcc
	s_cbranch_execz .LBB198_297
; %bb.287:
	s_andn2_b64 vcc, exec, s[6:7]
	s_mov_b64 s[44:45], 0
	s_cbranch_vccnz .LBB198_296
; %bb.288:
	v_mov_b64_e32 v[18:19], s[28:29]
	s_waitcnt vmcnt(0) lgkmcnt(1)
	v_mad_u64_u32 v[16:17], s[40:41], v12, s26, v[18:19]
	v_mul_lo_u32 v20, v12, s27
	v_mul_lo_u32 v21, v13, s26
	v_add3_u32 v17, v21, v17, v20
	v_mad_u64_u32 v[18:19], s[40:41], v6, s26, v[18:19]
	v_mul_lo_u32 v20, v6, s27
	v_mul_lo_u32 v21, v7, s26
	v_add3_u32 v19, v21, v19, v20
	global_load_ubyte v20, v[16:17], off
	global_load_ubyte v21, v[18:19], off
	s_mov_b64 s[44:45], -1
	s_waitcnt vmcnt(0)
	v_cmp_eq_u16_e32 vcc, v20, v21
	s_and_saveexec_b64 s[40:41], vcc
	s_cbranch_execz .LBB198_295
; %bb.289:
	s_mov_b64 s[48:49], 1
	s_mov_b64 s[44:45], 0
                                        ; implicit-def: $sgpr46_sgpr47
	s_branch .LBB198_292
.LBB198_290:                            ;   in Loop: Header=BB198_292 Depth=1
	v_lshl_add_u64 v[20:21], v[16:17], 0, s[48:49]
	v_lshl_add_u64 v[22:23], v[18:19], 0, s[48:49]
	global_load_ubyte v20, v[20:21], off
	s_nop 0
	global_load_ubyte v21, v[22:23], off
	s_add_u32 s50, s48, 1
	s_addc_u32 s51, s49, 0
	s_andn2_b64 s[46:47], s[46:47], exec
	s_waitcnt vmcnt(0)
	v_cmp_ne_u16_e32 vcc, v20, v21
	s_and_b64 s[54:55], vcc, exec
	s_or_b64 s[46:47], s[46:47], s[54:55]
.LBB198_291:                            ;   in Loop: Header=BB198_292 Depth=1
	s_and_b64 s[54:55], exec, s[46:47]
	s_or_b64 s[44:45], s[54:55], s[44:45]
	v_mov_b64_e32 v[20:21], s[48:49]
	s_mov_b64 s[48:49], s[50:51]
	s_andn2_b64 exec, exec, s[44:45]
	s_cbranch_execz .LBB198_294
.LBB198_292:                            ; =>This Inner Loop Header: Depth=1
	s_or_b64 s[46:47], s[46:47], exec
	s_cmp_eq_u64 s[26:27], s[48:49]
	s_cbranch_scc0 .LBB198_290
; %bb.293:                              ;   in Loop: Header=BB198_292 Depth=1
                                        ; implicit-def: $sgpr50_sgpr51
	s_mov_b64 s[48:49], s[26:27]
	s_branch .LBB198_291
.LBB198_294:
	s_or_b64 exec, exec, s[44:45]
	v_cmp_gt_i64_e32 vcc, s[26:27], v[20:21]
	s_orn2_b64 s[44:45], vcc, exec
.LBB198_295:
	s_or_b64 exec, exec, s[40:41]
.LBB198_296:
	s_and_b64 s[40:41], s[44:45], exec
.LBB198_297:
	s_or_b64 exec, exec, s[42:43]
	v_cmp_gt_u32_e32 vcc, s52, v25
	s_and_saveexec_b64 s[42:43], vcc
	s_cbranch_execz .LBB198_308
; %bb.298:
	s_andn2_b64 vcc, exec, s[6:7]
	s_mov_b64 s[44:45], 0
	s_cbranch_vccnz .LBB198_307
; %bb.299:
	v_mov_b64_e32 v[18:19], s[28:29]
	s_waitcnt vmcnt(0) lgkmcnt(1)
	v_mad_u64_u32 v[16:17], s[38:39], v10, s26, v[18:19]
	v_mul_lo_u32 v20, v10, s27
	v_mul_lo_u32 v21, v11, s26
	v_add3_u32 v17, v21, v17, v20
	v_mad_u64_u32 v[18:19], s[38:39], v12, s26, v[18:19]
	v_mul_lo_u32 v20, v12, s27
	v_mul_lo_u32 v21, v13, s26
	v_add3_u32 v19, v21, v19, v20
	global_load_ubyte v20, v[16:17], off
	global_load_ubyte v21, v[18:19], off
	s_mov_b64 s[44:45], -1
	s_waitcnt vmcnt(0)
	v_cmp_eq_u16_e32 vcc, v20, v21
	s_and_saveexec_b64 s[38:39], vcc
	s_cbranch_execz .LBB198_306
; %bb.300:
	s_mov_b64 s[48:49], 1
	s_mov_b64 s[44:45], 0
                                        ; implicit-def: $sgpr46_sgpr47
	s_branch .LBB198_303
.LBB198_301:                            ;   in Loop: Header=BB198_303 Depth=1
	v_lshl_add_u64 v[20:21], v[16:17], 0, s[48:49]
	v_lshl_add_u64 v[22:23], v[18:19], 0, s[48:49]
	global_load_ubyte v20, v[20:21], off
	s_nop 0
	global_load_ubyte v21, v[22:23], off
	s_add_u32 s50, s48, 1
	s_addc_u32 s51, s49, 0
	s_andn2_b64 s[46:47], s[46:47], exec
	s_waitcnt vmcnt(0)
	v_cmp_ne_u16_e32 vcc, v20, v21
	s_and_b64 s[54:55], vcc, exec
	s_or_b64 s[46:47], s[46:47], s[54:55]
.LBB198_302:                            ;   in Loop: Header=BB198_303 Depth=1
	s_and_b64 s[54:55], exec, s[46:47]
	s_or_b64 s[44:45], s[54:55], s[44:45]
	v_mov_b64_e32 v[20:21], s[48:49]
	s_mov_b64 s[48:49], s[50:51]
	s_andn2_b64 exec, exec, s[44:45]
	s_cbranch_execz .LBB198_305
.LBB198_303:                            ; =>This Inner Loop Header: Depth=1
	s_or_b64 s[46:47], s[46:47], exec
	s_cmp_eq_u64 s[26:27], s[48:49]
	s_cbranch_scc0 .LBB198_301
; %bb.304:                              ;   in Loop: Header=BB198_303 Depth=1
                                        ; implicit-def: $sgpr50_sgpr51
	s_mov_b64 s[48:49], s[26:27]
	s_branch .LBB198_302
.LBB198_305:
	s_or_b64 exec, exec, s[44:45]
	v_cmp_gt_i64_e32 vcc, s[26:27], v[20:21]
	s_orn2_b64 s[44:45], vcc, exec
.LBB198_306:
	s_or_b64 exec, exec, s[38:39]
.LBB198_307:
	s_and_b64 s[38:39], s[44:45], exec
.LBB198_308:
	s_or_b64 exec, exec, s[42:43]
	s_waitcnt vmcnt(0) lgkmcnt(1)
	v_cndmask_b32_e64 v17, 0, 1, s[14:15]
	v_cndmask_b32_e64 v16, 0, 1, s[40:41]
	;; [unrolled: 1-line block ×3, first 2 shown]
	v_lshlrev_b16_e32 v17, 8, v17
	v_cndmask_b32_e64 v32, 0, 1, s[12:13]
	v_cndmask_b32_e64 v18, 0, 1, s[38:39]
	v_or_b32_sdwa v16, v16, v17 dst_sel:WORD_1 dst_unused:UNUSED_PAD src0_sel:DWORD src1_sel:DWORD
	v_lshlrev_b16_e32 v17, 8, v33
	v_lshlrev_b16_e32 v18, 8, v18
	v_or_b32_e32 v17, v32, v17
	v_or_b32_e32 v18, 1, v18
	v_and_b32_e32 v17, 0xffff, v17
	v_cndmask_b32_e64 v34, 0, 1, s[4:5]
	v_or_b32_sdwa v16, v18, v16 dst_sel:DWORD dst_unused:UNUSED_PAD src0_sel:WORD_0 src1_sel:DWORD
	v_lshl_or_b32 v17, v34, 16, v17
	s_waitcnt lgkmcnt(0)
	s_barrier
	s_waitcnt lgkmcnt(0)
                                        ; implicit-def: $sgpr12_sgpr13
                                        ; implicit-def: $vgpr20
	s_and_saveexec_b64 s[4:5], s[2:3]
	s_cbranch_execz .LBB198_321
; %bb.309:
	v_cmp_gt_u32_e32 vcc, s52, v1
	s_mov_b32 s38, 0x3020104
	s_mov_b64 s[10:11], 0
	s_and_saveexec_b64 s[2:3], vcc
	s_cbranch_execz .LBB198_320
; %bb.310:
	s_andn2_b64 vcc, exec, s[6:7]
	s_cbranch_vccnz .LBB198_319
; %bb.311:
	v_add_u32_e32 v17, -8, v30
	ds_read_b64 v[18:19], v17
	v_mov_b64_e32 v[20:21], s[28:29]
	s_mov_b64 s[10:11], -1
	s_waitcnt lgkmcnt(0)
	v_mul_lo_u32 v17, v18, s27
	v_mul_lo_u32 v22, v19, s26
	v_mad_u64_u32 v[18:19], s[6:7], v18, s26, v[20:21]
	v_add3_u32 v19, v22, v19, v17
	v_mad_u64_u32 v[20:21], s[6:7], v10, s26, v[20:21]
	v_mul_lo_u32 v17, v10, s27
	v_mul_lo_u32 v22, v11, s26
	v_add3_u32 v21, v22, v21, v17
	global_load_ubyte v17, v[18:19], off
	global_load_ubyte v22, v[20:21], off
	s_waitcnt vmcnt(0)
	v_cmp_eq_u16_e32 vcc, v17, v22
	s_and_saveexec_b64 s[6:7], vcc
	s_cbranch_execz .LBB198_318
; %bb.312:
	s_mov_b64 s[14:15], 1
	s_mov_b64 s[10:11], 0
                                        ; implicit-def: $sgpr12_sgpr13
	s_branch .LBB198_315
.LBB198_313:                            ;   in Loop: Header=BB198_315 Depth=1
	v_lshl_add_u64 v[22:23], v[18:19], 0, s[14:15]
	v_lshl_add_u64 v[30:31], v[20:21], 0, s[14:15]
	global_load_ubyte v17, v[22:23], off
	global_load_ubyte v35, v[30:31], off
	s_add_u32 s28, s14, 1
	s_addc_u32 s29, s15, 0
	s_andn2_b64 s[12:13], s[12:13], exec
	s_waitcnt vmcnt(0)
	v_cmp_ne_u16_e32 vcc, v17, v35
	s_and_b64 s[40:41], vcc, exec
	s_or_b64 s[12:13], s[12:13], s[40:41]
.LBB198_314:                            ;   in Loop: Header=BB198_315 Depth=1
	s_and_b64 s[40:41], exec, s[12:13]
	s_or_b64 s[10:11], s[40:41], s[10:11]
	v_mov_b64_e32 v[22:23], s[14:15]
	s_mov_b64 s[14:15], s[28:29]
	s_andn2_b64 exec, exec, s[10:11]
	s_cbranch_execz .LBB198_317
.LBB198_315:                            ; =>This Inner Loop Header: Depth=1
	s_or_b64 s[12:13], s[12:13], exec
	s_cmp_eq_u64 s[26:27], s[14:15]
	s_cbranch_scc0 .LBB198_313
; %bb.316:                              ;   in Loop: Header=BB198_315 Depth=1
                                        ; implicit-def: $sgpr28_sgpr29
	s_mov_b64 s[14:15], s[26:27]
	s_branch .LBB198_314
.LBB198_317:
	s_or_b64 exec, exec, s[10:11]
	v_cmp_gt_i64_e32 vcc, s[26:27], v[22:23]
	s_orn2_b64 s[10:11], vcc, exec
.LBB198_318:
	s_or_b64 exec, exec, s[6:7]
.LBB198_319:
	s_and_b64 s[10:11], s[10:11], exec
.LBB198_320:
	s_or_b64 exec, exec, s[2:3]
	v_perm_b32 v20, v16, v16, s38
	s_and_b64 s[12:13], s[10:11], exec
	s_or_b64 s[8:9], s[8:9], exec
                                        ; implicit-def: $vgpr16_vgpr17
.LBB198_321:
	s_or_b64 exec, exec, s[4:5]
.LBB198_322:
	s_and_saveexec_b64 s[2:3], s[8:9]
	s_cbranch_execz .LBB198_324
; %bb.323:
	s_waitcnt vmcnt(0) lgkmcnt(0)
	v_lshlrev_b16_e32 v17, 8, v33
	v_and_b32_e32 v18, 0xff, v34
	v_or_b32_sdwa v17, v32, v17 dst_sel:DWORD dst_unused:UNUSED_PAD src0_sel:BYTE_0 src1_sel:DWORD
	v_lshlrev_b32_e32 v18, 16, v18
	s_movk_i32 s4, 0xff
	v_or_b32_sdwa v17, v17, v18 dst_sel:DWORD dst_unused:UNUSED_PAD src0_sel:WORD_0 src1_sel:DWORD
	v_lshrrev_b32_e32 v18, 24, v20
	v_lshlrev_b16_e32 v18, 8, v18
	v_and_b32_sdwa v19, v20, s4 dst_sel:DWORD dst_unused:UNUSED_PAD src0_sel:WORD_1 src1_sel:DWORD
	v_or_b32_sdwa v18, v19, v18 dst_sel:WORD_1 dst_unused:UNUSED_PAD src0_sel:DWORD src1_sel:DWORD
	v_mov_b32_e32 v19, 8
	v_cndmask_b32_e64 v16, 0, 1, s[12:13]
	v_lshrrev_b32_sdwa v19, v19, v20 dst_sel:BYTE_1 dst_unused:UNUSED_PAD src0_sel:DWORD src1_sel:DWORD
	s_nop 0
	v_or_b32_e32 v16, v16, v19
	v_or_b32_sdwa v16, v16, v18 dst_sel:DWORD dst_unused:UNUSED_PAD src0_sel:WORD_0 src1_sel:DWORD
.LBB198_324:
	s_or_b64 exec, exec, s[2:3]
	s_andn2_b64 vcc, exec, s[0:1]
	s_cbranch_vccnz .LBB198_326
; %bb.325:
	s_waitcnt vmcnt(0) lgkmcnt(0)
	v_and_b32_e32 v18, 0xffff0000, v16
	v_cmp_gt_u32_e32 vcc, s52, v1
	s_mov_b32 s0, 0x40c0100
	s_nop 0
	v_cndmask_b32_e32 v1, v18, v16, vcc
	v_and_b32_e32 v1, 0xffff00ff, v1
	v_cmp_gt_u32_e32 vcc, s52, v25
	s_nop 1
	v_cndmask_b32_e32 v1, v1, v16, vcc
	v_lshrrev_b32_e32 v18, 24, v1
	v_perm_b32 v1, v18, v1, s0
	v_cmp_gt_u32_e32 vcc, s52, v24
	v_and_b32_e32 v18, 0xffffff00, v17
	s_nop 0
	v_cndmask_b32_e32 v1, v1, v16, vcc
	v_and_b32_e32 v1, 0xffffff, v1
	v_cmp_gt_u32_e32 vcc, s52, v28
	s_nop 1
	v_cndmask_b32_e32 v1, v1, v16, vcc
	v_cmp_gt_u32_e32 vcc, s52, v26
	s_nop 1
	v_cndmask_b32_e32 v18, v18, v17, vcc
	v_and_b32_e32 v18, 0xffff00ff, v18
	v_cndmask_b32_e32 v1, v1, v16, vcc
	v_cmp_gt_u32_e32 vcc, s52, v29
	s_nop 1
	v_cndmask_b32_e32 v18, v18, v17, vcc
	v_lshrrev_b32_e32 v19, 24, v18
	v_cndmask_b32_e32 v1, v1, v16, vcc
	v_perm_b32 v18, v19, v18, s0
	v_cmp_gt_u32_e32 vcc, s52, v27
	s_mov_b32 s0, 0x3020104
	s_nop 0
	v_cndmask_b32_e32 v1, v1, v16, vcc
	v_cndmask_b32_e32 v16, v18, v17, vcc
	v_mov_b32_e32 v17, 8
	v_lshrrev_b32_sdwa v17, v17, v16 dst_sel:BYTE_1 dst_unused:UNUSED_PAD src0_sel:DWORD src1_sel:DWORD
	s_nop 0
	v_or_b32_sdwa v17, v16, v17 dst_sel:DWORD dst_unused:UNUSED_PAD src0_sel:BYTE_0 src1_sel:DWORD
	v_and_b32_e32 v17, 0xffff, v17
	v_bfe_u32 v16, v16, 16, 8
	v_lshl_or_b32 v17, v16, 16, v17
	v_perm_b32 v16, v1, v1, s0
.LBB198_326:
	s_waitcnt vmcnt(0) lgkmcnt(0)
	v_and_b32_e32 v1, 0xff, v16
	v_bfe_u32 v29, v16, 8, 8
	v_bfe_u32 v31, v16, 16, 8
	v_alignbit_b32 v18, v17, v16, 24
	v_and_b32_e32 v33, 0xff, v18
	v_and_b32_e32 v35, 0xff, v17
	v_add3_u32 v19, v29, v1, v31
	v_bfe_u32 v36, v17, 8, 8
	v_bfe_u32 v18, v17, 16, 8
	v_add3_u32 v19, v19, v33, v35
	v_add3_u32 v39, v19, v36, v18
	v_mbcnt_lo_u32_b32 v18, -1, 0
	v_mbcnt_hi_u32_b32 v37, -1, v18
	v_and_b32_e32 v18, 15, v37
	v_cmp_eq_u32_e64 s[14:15], 0, v18
	v_cmp_lt_u32_e64 s[12:13], 1, v18
	v_cmp_lt_u32_e64 s[10:11], 3, v18
	;; [unrolled: 1-line block ×3, first 2 shown]
	v_and_b32_e32 v18, 16, v37
	v_cmp_eq_u32_e64 s[6:7], 0, v18
	v_or_b32_e32 v18, 63, v0
	v_cmp_lt_u32_e64 s[2:3], 31, v37
	v_lshrrev_b32_e32 v38, 6, v0
	v_cmp_eq_u32_e64 s[4:5], v18, v0
	s_and_b64 vcc, exec, s[16:17]
	s_barrier
	s_cbranch_vccz .LBB198_353
; %bb.327:
	v_mov_b32_dpp v18, v39 row_shr:1 row_mask:0xf bank_mask:0xf
	v_cndmask_b32_e64 v18, v18, 0, s[14:15]
	v_add_u32_e32 v18, v18, v39
	s_nop 1
	v_mov_b32_dpp v19, v18 row_shr:2 row_mask:0xf bank_mask:0xf
	v_cndmask_b32_e64 v19, 0, v19, s[12:13]
	v_add_u32_e32 v18, v18, v19
	s_nop 1
	;; [unrolled: 4-line block ×4, first 2 shown]
	v_mov_b32_dpp v19, v18 row_bcast:15 row_mask:0xf bank_mask:0xf
	v_cndmask_b32_e64 v19, v19, 0, s[6:7]
	v_add_u32_e32 v18, v18, v19
	s_nop 1
	v_mov_b32_dpp v19, v18 row_bcast:31 row_mask:0xf bank_mask:0xf
	v_cndmask_b32_e64 v19, 0, v19, s[2:3]
	v_add_u32_e32 v18, v18, v19
	s_and_saveexec_b64 s[0:1], s[4:5]
	s_cbranch_execz .LBB198_329
; %bb.328:
	v_lshlrev_b32_e32 v19, 2, v38
	ds_write_b32 v19, v18
.LBB198_329:
	s_or_b64 exec, exec, s[0:1]
	v_cmp_gt_u32_e32 vcc, 8, v0
	s_waitcnt lgkmcnt(0)
	s_barrier
	s_and_saveexec_b64 s[0:1], vcc
	s_cbranch_execz .LBB198_331
; %bb.330:
	v_lshlrev_b32_e32 v19, 2, v0
	ds_read_b32 v20, v19
	v_and_b32_e32 v21, 7, v37
	v_cmp_ne_u32_e32 vcc, 0, v21
	s_waitcnt lgkmcnt(0)
	v_mov_b32_dpp v22, v20 row_shr:1 row_mask:0xf bank_mask:0xf
	v_cndmask_b32_e32 v22, 0, v22, vcc
	v_add_u32_e32 v20, v22, v20
	v_cmp_lt_u32_e32 vcc, 1, v21
	s_nop 0
	v_mov_b32_dpp v22, v20 row_shr:2 row_mask:0xf bank_mask:0xf
	v_cndmask_b32_e32 v22, 0, v22, vcc
	v_add_u32_e32 v20, v20, v22
	v_cmp_lt_u32_e32 vcc, 3, v21
	s_nop 0
	v_mov_b32_dpp v22, v20 row_shr:4 row_mask:0xf bank_mask:0xf
	v_cndmask_b32_e32 v21, 0, v22, vcc
	v_add_u32_e32 v20, v20, v21
	ds_write_b32 v19, v20
.LBB198_331:
	s_or_b64 exec, exec, s[0:1]
	v_cmp_gt_u32_e32 vcc, 64, v0
	v_cmp_lt_u32_e64 s[0:1], 63, v0
	s_waitcnt lgkmcnt(0)
	s_barrier
	s_waitcnt lgkmcnt(0)
                                        ; implicit-def: $vgpr28
	s_and_saveexec_b64 s[16:17], s[0:1]
	s_cbranch_execz .LBB198_333
; %bb.332:
	v_lshl_add_u32 v19, v38, 2, -4
	ds_read_b32 v28, v19
	s_waitcnt lgkmcnt(0)
	v_add_u32_e32 v18, v28, v18
.LBB198_333:
	s_or_b64 exec, exec, s[16:17]
	v_add_u32_e32 v19, -1, v37
	v_and_b32_e32 v20, 64, v37
	v_cmp_lt_i32_e64 s[0:1], v19, v20
	v_cmp_eq_u32_e64 s[16:17], 0, v37
	s_nop 0
	v_cndmask_b32_e64 v19, v19, v37, s[0:1]
	v_lshlrev_b32_e32 v19, 2, v19
	ds_bpermute_b32 v30, v19, v18
	s_and_saveexec_b64 s[0:1], vcc
	s_cbranch_execz .LBB198_352
; %bb.334:
	v_mov_b32_e32 v25, 0
	ds_read_b32 v18, v25 offset:28
	s_and_saveexec_b64 s[26:27], s[16:17]
	s_cbranch_execz .LBB198_336
; %bb.335:
	s_add_i32 s28, s33, 64
	s_mov_b32 s29, 0
	s_lshl_b64 s[28:29], s[28:29], 3
	s_add_u32 s28, s30, s28
	v_mov_b32_e32 v19, 1
	s_addc_u32 s29, s31, s29
	s_waitcnt lgkmcnt(0)
	global_store_dwordx2 v25, v[18:19], s[28:29] sc1
.LBB198_336:
	s_or_b64 exec, exec, s[26:27]
	v_xad_u32 v20, v37, -1, s33
	v_add_u32_e32 v24, 64, v20
	v_lshl_add_u64 v[26:27], v[24:25], 3, s[30:31]
	global_load_dwordx2 v[22:23], v[26:27], off sc1
	s_waitcnt vmcnt(0)
	v_cmp_eq_u16_sdwa s[28:29], v23, v25 src0_sel:BYTE_0 src1_sel:DWORD
	s_and_saveexec_b64 s[26:27], s[28:29]
	s_cbranch_execz .LBB198_340
; %bb.337:
	s_mov_b64 s[28:29], 0
	v_mov_b32_e32 v19, 0
.LBB198_338:                            ; =>This Inner Loop Header: Depth=1
	global_load_dwordx2 v[22:23], v[26:27], off sc1
	s_waitcnt vmcnt(0)
	v_cmp_ne_u16_sdwa s[38:39], v23, v19 src0_sel:BYTE_0 src1_sel:DWORD
	s_or_b64 s[28:29], s[38:39], s[28:29]
	s_andn2_b64 exec, exec, s[28:29]
	s_cbranch_execnz .LBB198_338
; %bb.339:
	s_or_b64 exec, exec, s[28:29]
.LBB198_340:
	s_or_b64 exec, exec, s[26:27]
	v_and_b32_e32 v32, 63, v37
	v_mov_b32_e32 v19, 2
	v_cmp_ne_u32_e32 vcc, 63, v32
	v_cmp_eq_u16_sdwa s[26:27], v23, v19 src0_sel:BYTE_0 src1_sel:DWORD
	v_lshlrev_b64 v[24:25], v37, -1
	v_addc_co_u32_e32 v27, vcc, 0, v37, vcc
	v_and_b32_e32 v21, s27, v25
	v_lshlrev_b32_e32 v34, 2, v27
	v_or_b32_e32 v21, 0x80000000, v21
	ds_bpermute_b32 v27, v34, v22
	v_and_b32_e32 v26, s26, v24
	v_ffbl_b32_e32 v21, v21
	v_add_u32_e32 v21, 32, v21
	v_ffbl_b32_e32 v26, v26
	v_min_u32_e32 v21, v26, v21
	v_cmp_lt_u32_e32 vcc, v32, v21
	v_add_u32_e32 v41, 2, v32
	v_add_u32_e32 v43, 4, v32
	s_waitcnt lgkmcnt(0)
	v_cndmask_b32_e32 v26, 0, v27, vcc
	v_cmp_gt_u32_e32 vcc, 62, v32
	v_add_u32_e32 v22, v26, v22
	v_add_u32_e32 v45, 8, v32
	v_cndmask_b32_e64 v26, 0, 1, vcc
	v_lshlrev_b32_e32 v26, 1, v26
	v_add_lshl_u32 v40, v26, v37, 2
	ds_bpermute_b32 v26, v40, v22
	v_cmp_le_u32_e32 vcc, v41, v21
	v_add_u32_e32 v48, 16, v32
	v_add_u32_e32 v50, 32, v32
	s_waitcnt lgkmcnt(0)
	v_cndmask_b32_e32 v26, 0, v26, vcc
	v_cmp_gt_u32_e32 vcc, 60, v32
	v_add_u32_e32 v22, v22, v26
	s_nop 0
	v_cndmask_b32_e64 v26, 0, 1, vcc
	v_lshlrev_b32_e32 v26, 2, v26
	v_add_lshl_u32 v42, v26, v37, 2
	ds_bpermute_b32 v26, v42, v22
	v_cmp_le_u32_e32 vcc, v43, v21
	s_waitcnt lgkmcnt(0)
	s_nop 0
	v_cndmask_b32_e32 v26, 0, v26, vcc
	v_cmp_gt_u32_e32 vcc, 56, v32
	v_add_u32_e32 v22, v22, v26
	s_nop 0
	v_cndmask_b32_e64 v26, 0, 1, vcc
	v_lshlrev_b32_e32 v26, 3, v26
	v_add_lshl_u32 v44, v26, v37, 2
	ds_bpermute_b32 v26, v44, v22
	v_cmp_le_u32_e32 vcc, v45, v21
	s_waitcnt lgkmcnt(0)
	s_nop 0
	;; [unrolled: 11-line block ×4, first 2 shown]
	v_cndmask_b32_e32 v21, 0, v26, vcc
	v_add_u32_e32 v22, v22, v21
	v_mov_b32_e32 v21, 0
	s_branch .LBB198_342
.LBB198_341:                            ;   in Loop: Header=BB198_342 Depth=1
	s_or_b64 exec, exec, s[26:27]
	v_cmp_eq_u16_sdwa s[26:27], v23, v19 src0_sel:BYTE_0 src1_sel:DWORD
	ds_bpermute_b32 v51, v34, v22
	v_subrev_u32_e32 v20, 64, v20
	v_and_b32_e32 v26, s27, v25
	v_or_b32_e32 v26, 0x80000000, v26
	v_and_b32_e32 v27, s26, v24
	v_ffbl_b32_e32 v26, v26
	v_add_u32_e32 v26, 32, v26
	v_ffbl_b32_e32 v27, v27
	v_min_u32_e32 v26, v27, v26
	v_cmp_lt_u32_e32 vcc, v32, v26
	s_waitcnt lgkmcnt(0)
	s_nop 0
	v_cndmask_b32_e32 v27, 0, v51, vcc
	v_add_u32_e32 v22, v27, v22
	ds_bpermute_b32 v27, v40, v22
	v_cmp_le_u32_e32 vcc, v41, v26
	s_waitcnt lgkmcnt(0)
	s_nop 0
	v_cndmask_b32_e32 v27, 0, v27, vcc
	v_add_u32_e32 v22, v22, v27
	ds_bpermute_b32 v27, v42, v22
	v_cmp_le_u32_e32 vcc, v43, v26
	;; [unrolled: 6-line block ×5, first 2 shown]
	s_waitcnt lgkmcnt(0)
	s_nop 0
	v_cndmask_b32_e32 v26, 0, v27, vcc
	v_add3_u32 v22, v26, v46, v22
.LBB198_342:                            ; =>This Loop Header: Depth=1
                                        ;     Child Loop BB198_345 Depth 2
	v_cmp_ne_u16_sdwa s[26:27], v23, v19 src0_sel:BYTE_0 src1_sel:DWORD
	v_mov_b32_e32 v46, v22
	s_nop 0
	v_cndmask_b32_e64 v23, 0, 1, s[26:27]
	;;#ASMSTART
	;;#ASMEND
	s_nop 0
	v_cmp_ne_u32_e32 vcc, 0, v23
	s_cmp_lg_u64 vcc, exec
	s_cbranch_scc1 .LBB198_347
; %bb.343:                              ;   in Loop: Header=BB198_342 Depth=1
	v_lshl_add_u64 v[26:27], v[20:21], 3, s[30:31]
	global_load_dwordx2 v[22:23], v[26:27], off sc1
	s_waitcnt vmcnt(0)
	v_cmp_eq_u16_sdwa s[28:29], v23, v21 src0_sel:BYTE_0 src1_sel:DWORD
	s_and_saveexec_b64 s[26:27], s[28:29]
	s_cbranch_execz .LBB198_341
; %bb.344:                              ;   in Loop: Header=BB198_342 Depth=1
	s_mov_b64 s[28:29], 0
.LBB198_345:                            ;   Parent Loop BB198_342 Depth=1
                                        ; =>  This Inner Loop Header: Depth=2
	global_load_dwordx2 v[22:23], v[26:27], off sc1
	s_waitcnt vmcnt(0)
	v_cmp_ne_u16_sdwa s[38:39], v23, v21 src0_sel:BYTE_0 src1_sel:DWORD
	s_or_b64 s[28:29], s[38:39], s[28:29]
	s_andn2_b64 exec, exec, s[28:29]
	s_cbranch_execnz .LBB198_345
; %bb.346:                              ;   in Loop: Header=BB198_342 Depth=1
	s_or_b64 exec, exec, s[28:29]
	s_branch .LBB198_341
.LBB198_347:                            ;   in Loop: Header=BB198_342 Depth=1
                                        ; implicit-def: $vgpr22
                                        ; implicit-def: $vgpr23
	s_cbranch_execz .LBB198_342
; %bb.348:
	s_and_saveexec_b64 s[26:27], s[16:17]
	s_cbranch_execz .LBB198_350
; %bb.349:
	s_add_i32 s28, s33, 64
	s_mov_b32 s29, 0
	s_lshl_b64 s[28:29], s[28:29], 3
	s_add_u32 s28, s30, s28
	v_add_u32_e32 v20, v46, v18
	v_mov_b32_e32 v21, 2
	s_addc_u32 s29, s31, s29
	v_mov_b32_e32 v19, 0
	global_store_dwordx2 v19, v[20:21], s[28:29] sc1
	s_movk_i32 s28, 0x7000
	v_add_u32_e64 v19, s28, 0
	ds_write2_b32 v19, v18, v46 offset1:2
.LBB198_350:
	s_or_b64 exec, exec, s[26:27]
	s_and_b64 exec, exec, s[18:19]
	s_cbranch_execz .LBB198_352
; %bb.351:
	v_mov_b32_e32 v18, 0
	ds_write_b32 v18, v46 offset:28
.LBB198_352:
	s_or_b64 exec, exec, s[0:1]
	v_mov_b32_e32 v18, 0
	s_waitcnt lgkmcnt(0)
	s_barrier
	ds_read_b32 v18, v18 offset:28
	v_cndmask_b32_e64 v19, v30, v28, s[16:17]
	v_cndmask_b32_e64 v19, v19, 0, s[18:19]
	s_movk_i32 s0, 0x7000
	s_waitcnt lgkmcnt(0)
	v_add_u32_e32 v34, v18, v19
	v_add_u32_e32 v32, v34, v1
	v_add_u32_e64 v18, s0, 0
	v_add_u32_e32 v30, v32, v29
	s_barrier
	ds_read2_b32 v[18:19], v18 offset1:2
	v_add_u32_e32 v28, v30, v31
	v_add_u32_e32 v26, v28, v33
	;; [unrolled: 1-line block ×4, first 2 shown]
	v_lshrrev_b64 v[20:21], 24, v[16:17]
	s_branch .LBB198_363
.LBB198_353:
                                        ; implicit-def: $vgpr22
                                        ; implicit-def: $vgpr24
                                        ; implicit-def: $vgpr26
                                        ; implicit-def: $vgpr28
                                        ; implicit-def: $vgpr30
                                        ; implicit-def: $vgpr32
                                        ; implicit-def: $vgpr34
                                        ; implicit-def: $vgpr19
	v_lshrrev_b64 v[20:21], 24, v[16:17]
	s_cbranch_execz .LBB198_363
; %bb.354:
	s_waitcnt lgkmcnt(0)
	v_mov_b32_dpp v18, v39 row_shr:1 row_mask:0xf bank_mask:0xf
	v_cndmask_b32_e64 v18, v18, 0, s[14:15]
	v_add_u32_e32 v18, v18, v39
	s_nop 1
	v_mov_b32_dpp v19, v18 row_shr:2 row_mask:0xf bank_mask:0xf
	v_cndmask_b32_e64 v19, 0, v19, s[12:13]
	v_add_u32_e32 v18, v18, v19
	s_nop 1
	;; [unrolled: 4-line block ×4, first 2 shown]
	v_mov_b32_dpp v19, v18 row_bcast:15 row_mask:0xf bank_mask:0xf
	v_cndmask_b32_e64 v19, v19, 0, s[6:7]
	v_add_u32_e32 v18, v18, v19
	s_nop 1
	v_mov_b32_dpp v19, v18 row_bcast:31 row_mask:0xf bank_mask:0xf
	v_cndmask_b32_e64 v19, 0, v19, s[2:3]
	v_add_u32_e32 v18, v18, v19
	s_and_saveexec_b64 s[0:1], s[4:5]
	s_cbranch_execz .LBB198_356
; %bb.355:
	v_lshlrev_b32_e32 v19, 2, v38
	ds_write_b32 v19, v18
.LBB198_356:
	s_or_b64 exec, exec, s[0:1]
	v_cmp_gt_u32_e32 vcc, 8, v0
	s_waitcnt lgkmcnt(0)
	s_barrier
	s_and_saveexec_b64 s[0:1], vcc
	s_cbranch_execz .LBB198_358
; %bb.357:
	v_lshlrev_b32_e32 v19, 2, v0
	ds_read_b32 v21, v19
	v_and_b32_e32 v22, 7, v37
	v_cmp_ne_u32_e32 vcc, 0, v22
	s_waitcnt lgkmcnt(0)
	v_mov_b32_dpp v23, v21 row_shr:1 row_mask:0xf bank_mask:0xf
	v_cndmask_b32_e32 v23, 0, v23, vcc
	v_add_u32_e32 v21, v23, v21
	v_cmp_lt_u32_e32 vcc, 1, v22
	s_nop 0
	v_mov_b32_dpp v23, v21 row_shr:2 row_mask:0xf bank_mask:0xf
	v_cndmask_b32_e32 v23, 0, v23, vcc
	v_add_u32_e32 v21, v21, v23
	v_cmp_lt_u32_e32 vcc, 3, v22
	s_nop 0
	v_mov_b32_dpp v23, v21 row_shr:4 row_mask:0xf bank_mask:0xf
	v_cndmask_b32_e32 v22, 0, v23, vcc
	v_add_u32_e32 v21, v21, v22
	ds_write_b32 v19, v21
.LBB198_358:
	s_or_b64 exec, exec, s[0:1]
	v_cmp_lt_u32_e32 vcc, 63, v0
	v_mov_b32_e32 v19, 0
	v_mov_b32_e32 v21, 0
	s_waitcnt lgkmcnt(0)
	s_barrier
	s_and_saveexec_b64 s[0:1], vcc
	s_cbranch_execz .LBB198_360
; %bb.359:
	v_lshl_add_u32 v21, v38, 2, -4
	ds_read_b32 v21, v21
.LBB198_360:
	s_or_b64 exec, exec, s[0:1]
	v_add_u32_e32 v22, -1, v37
	v_and_b32_e32 v23, 64, v37
	v_cmp_lt_i32_e32 vcc, v22, v23
	s_waitcnt lgkmcnt(0)
	v_add_u32_e32 v18, v21, v18
	v_cndmask_b32_e32 v22, v22, v37, vcc
	v_lshlrev_b32_e32 v22, 2, v22
	ds_bpermute_b32 v22, v22, v18
	ds_read_b32 v18, v19 offset:28
	s_and_saveexec_b64 s[0:1], s[18:19]
	s_cbranch_execz .LBB198_362
; %bb.361:
	v_mov_b32_e32 v23, 0
	v_mov_b32_e32 v19, 2
	s_waitcnt lgkmcnt(0)
	global_store_dwordx2 v23, v[18:19], s[30:31] offset:512 sc1
.LBB198_362:
	s_or_b64 exec, exec, s[0:1]
	v_cmp_eq_u32_e32 vcc, 0, v37
	v_mov_b32_e32 v19, 0
	s_waitcnt lgkmcnt(0)
	v_cndmask_b32_e32 v21, v22, v21, vcc
	v_cndmask_b32_e64 v34, v21, 0, s[18:19]
	v_add_u32_e32 v32, v34, v1
	v_add_u32_e32 v30, v32, v29
	;; [unrolled: 1-line block ×6, first 2 shown]
	s_barrier
.LBB198_363:
	s_movk_i32 s0, 0x201
	s_waitcnt lgkmcnt(0)
	v_cmp_gt_u32_e32 vcc, s0, v18
	v_lshrrev_b32_e32 v21, 8, v16
	v_lshrrev_b32_e32 v1, 8, v17
	s_mov_b64 s[0:1], -1
	s_cbranch_vccnz .LBB198_367
; %bb.364:
	s_and_b64 vcc, exec, s[0:1]
	s_cbranch_vccnz .LBB198_389
.LBB198_365:
	s_and_b64 s[0:1], s[18:19], s[24:25]
	s_and_saveexec_b64 s[2:3], s[0:1]
	s_cbranch_execnz .LBB198_407
.LBB198_366:
	s_endpgm
.LBB198_367:
	v_add_u32_e32 v23, v19, v18
	v_cmp_lt_u32_e32 vcc, v34, v23
	s_or_b64 s[2:3], s[36:37], vcc
	s_and_saveexec_b64 s[0:1], s[2:3]
	s_cbranch_execz .LBB198_370
; %bb.368:
	v_and_b32_e32 v25, 1, v16
	v_cmp_eq_u32_e32 vcc, 1, v25
	s_and_b64 exec, exec, vcc
	s_cbranch_execz .LBB198_370
; %bb.369:
	s_lshl_b64 s[2:3], s[22:23], 3
	s_add_u32 s2, s34, s2
	s_addc_u32 s3, s35, s3
	v_mov_b32_e32 v35, 0
	v_lshl_add_u64 v[36:37], v[34:35], 3, s[2:3]
	global_store_dwordx2 v[36:37], v[10:11], off
.LBB198_370:
	s_or_b64 exec, exec, s[0:1]
	v_cmp_lt_u32_e32 vcc, v32, v23
	s_or_b64 s[2:3], s[36:37], vcc
	s_and_saveexec_b64 s[0:1], s[2:3]
	s_cbranch_execz .LBB198_373
; %bb.371:
	v_and_b32_e32 v25, 1, v21
	v_cmp_eq_u32_e32 vcc, 1, v25
	s_and_b64 exec, exec, vcc
	s_cbranch_execz .LBB198_373
; %bb.372:
	s_lshl_b64 s[2:3], s[22:23], 3
	s_add_u32 s2, s34, s2
	s_addc_u32 s3, s35, s3
	v_mov_b32_e32 v33, 0
	v_lshl_add_u64 v[36:37], v[32:33], 3, s[2:3]
	global_store_dwordx2 v[36:37], v[12:13], off
.LBB198_373:
	s_or_b64 exec, exec, s[0:1]
	v_cmp_lt_u32_e32 vcc, v30, v23
	s_or_b64 s[2:3], s[36:37], vcc
	s_and_saveexec_b64 s[0:1], s[2:3]
	s_cbranch_execz .LBB198_376
; %bb.374:
	v_mov_b32_e32 v25, 1
	v_and_b32_sdwa v25, v25, v16 dst_sel:DWORD dst_unused:UNUSED_PAD src0_sel:DWORD src1_sel:WORD_1
	v_cmp_eq_u32_e32 vcc, 1, v25
	s_and_b64 exec, exec, vcc
	s_cbranch_execz .LBB198_376
; %bb.375:
	s_lshl_b64 s[2:3], s[22:23], 3
	s_add_u32 s2, s34, s2
	s_addc_u32 s3, s35, s3
	v_mov_b32_e32 v31, 0
	v_lshl_add_u64 v[36:37], v[30:31], 3, s[2:3]
	global_store_dwordx2 v[36:37], v[6:7], off
.LBB198_376:
	s_or_b64 exec, exec, s[0:1]
	v_cmp_lt_u32_e32 vcc, v28, v23
	s_or_b64 s[2:3], s[36:37], vcc
	s_and_saveexec_b64 s[0:1], s[2:3]
	s_cbranch_execz .LBB198_379
; %bb.377:
	v_and_b32_e32 v25, 1, v20
	v_cmp_eq_u32_e32 vcc, 1, v25
	s_and_b64 exec, exec, vcc
	s_cbranch_execz .LBB198_379
; %bb.378:
	s_lshl_b64 s[2:3], s[22:23], 3
	s_add_u32 s2, s34, s2
	s_addc_u32 s3, s35, s3
	v_mov_b32_e32 v29, 0
	v_lshl_add_u64 v[36:37], v[28:29], 3, s[2:3]
	global_store_dwordx2 v[36:37], v[8:9], off
.LBB198_379:
	s_or_b64 exec, exec, s[0:1]
	v_cmp_lt_u32_e32 vcc, v26, v23
	s_or_b64 s[2:3], s[36:37], vcc
	s_and_saveexec_b64 s[0:1], s[2:3]
	s_cbranch_execz .LBB198_382
; %bb.380:
	v_and_b32_e32 v25, 1, v17
	v_cmp_eq_u32_e32 vcc, 1, v25
	s_and_b64 exec, exec, vcc
	s_cbranch_execz .LBB198_382
; %bb.381:
	s_lshl_b64 s[2:3], s[22:23], 3
	s_add_u32 s2, s34, s2
	s_addc_u32 s3, s35, s3
	v_mov_b32_e32 v27, 0
	v_lshl_add_u64 v[36:37], v[26:27], 3, s[2:3]
	global_store_dwordx2 v[36:37], v[2:3], off
.LBB198_382:
	;; [unrolled: 18-line block ×3, first 2 shown]
	s_or_b64 exec, exec, s[0:1]
	v_cmp_lt_u32_e32 vcc, v22, v23
	s_or_b64 s[2:3], s[36:37], vcc
	s_and_saveexec_b64 s[0:1], s[2:3]
	s_cbranch_execz .LBB198_388
; %bb.386:
	v_mov_b32_e32 v23, 1
	v_and_b32_sdwa v23, v23, v17 dst_sel:DWORD dst_unused:UNUSED_PAD src0_sel:DWORD src1_sel:WORD_1
	v_cmp_eq_u32_e32 vcc, 1, v23
	s_and_b64 exec, exec, vcc
	s_cbranch_execz .LBB198_388
; %bb.387:
	s_lshl_b64 s[2:3], s[22:23], 3
	s_add_u32 s2, s34, s2
	s_addc_u32 s3, s35, s3
	v_mov_b32_e32 v23, 0
	v_lshl_add_u64 v[36:37], v[22:23], 3, s[2:3]
	global_store_dwordx2 v[36:37], v[14:15], off
.LBB198_388:
	s_or_b64 exec, exec, s[0:1]
	s_branch .LBB198_365
.LBB198_389:
	v_and_b32_e32 v23, 1, v16
	v_cmp_eq_u32_e32 vcc, 1, v23
	s_and_saveexec_b64 s[0:1], vcc
	s_cbranch_execz .LBB198_391
; %bb.390:
	v_sub_u32_e32 v23, v34, v19
	v_lshlrev_b32_e32 v23, 3, v23
	ds_write_b64 v23, v[10:11]
.LBB198_391:
	s_or_b64 exec, exec, s[0:1]
	v_and_b32_e32 v10, 1, v21
	v_cmp_eq_u32_e32 vcc, 1, v10
	s_and_saveexec_b64 s[0:1], vcc
	s_cbranch_execz .LBB198_393
; %bb.392:
	v_sub_u32_e32 v10, v32, v19
	v_lshlrev_b32_e32 v10, 3, v10
	ds_write_b64 v10, v[12:13]
.LBB198_393:
	s_or_b64 exec, exec, s[0:1]
	v_mov_b32_e32 v10, 1
	v_and_b32_sdwa v10, v10, v16 dst_sel:DWORD dst_unused:UNUSED_PAD src0_sel:DWORD src1_sel:WORD_1
	v_cmp_eq_u32_e32 vcc, 1, v10
	s_and_saveexec_b64 s[0:1], vcc
	s_cbranch_execz .LBB198_395
; %bb.394:
	v_sub_u32_e32 v10, v30, v19
	v_lshlrev_b32_e32 v10, 3, v10
	ds_write_b64 v10, v[6:7]
.LBB198_395:
	s_or_b64 exec, exec, s[0:1]
	v_and_b32_e32 v6, 1, v20
	v_cmp_eq_u32_e32 vcc, 1, v6
	s_and_saveexec_b64 s[0:1], vcc
	s_cbranch_execz .LBB198_397
; %bb.396:
	v_sub_u32_e32 v6, v28, v19
	v_lshlrev_b32_e32 v6, 3, v6
	ds_write_b64 v6, v[8:9]
.LBB198_397:
	s_or_b64 exec, exec, s[0:1]
	v_and_b32_e32 v6, 1, v17
	v_cmp_eq_u32_e32 vcc, 1, v6
	s_and_saveexec_b64 s[0:1], vcc
	s_cbranch_execz .LBB198_399
; %bb.398:
	v_sub_u32_e32 v6, v26, v19
	v_lshlrev_b32_e32 v6, 3, v6
	ds_write_b64 v6, v[2:3]
.LBB198_399:
	s_or_b64 exec, exec, s[0:1]
	v_and_b32_e32 v1, 1, v1
	v_cmp_eq_u32_e32 vcc, 1, v1
	s_and_saveexec_b64 s[0:1], vcc
	s_cbranch_execz .LBB198_401
; %bb.400:
	v_sub_u32_e32 v1, v24, v19
	v_lshlrev_b32_e32 v1, 3, v1
	ds_write_b64 v1, v[4:5]
.LBB198_401:
	s_or_b64 exec, exec, s[0:1]
	v_mov_b32_e32 v1, 1
	v_and_b32_sdwa v1, v1, v17 dst_sel:DWORD dst_unused:UNUSED_PAD src0_sel:DWORD src1_sel:WORD_1
	v_cmp_eq_u32_e32 vcc, 1, v1
	s_and_saveexec_b64 s[0:1], vcc
	s_cbranch_execz .LBB198_403
; %bb.402:
	v_sub_u32_e32 v1, v22, v19
	v_lshlrev_b32_e32 v1, 3, v1
	ds_write_b64 v1, v[14:15]
.LBB198_403:
	s_or_b64 exec, exec, s[0:1]
	v_cmp_lt_u32_e32 vcc, v0, v18
	s_waitcnt lgkmcnt(0)
	s_barrier
	s_and_saveexec_b64 s[0:1], vcc
	s_cbranch_execz .LBB198_406
; %bb.404:
	v_mov_b32_e32 v5, 0
	v_mov_b32_e32 v4, v19
	s_lshl_b64 s[2:3], s[22:23], 3
	v_lshlrev_b64 v[6:7], 3, v[4:5]
	v_lshl_add_u64 v[6:7], s[2:3], 0, v[6:7]
	v_lshlrev_b32_e32 v2, 3, v0
	v_mov_b32_e32 v3, v5
	v_lshl_add_u64 v[4:5], s[34:35], 0, v[6:7]
	v_lshl_add_u64 v[4:5], v[4:5], 0, v[2:3]
	s_mov_b64 s[2:3], 0
	s_mov_b64 s[4:5], 0x1000
.LBB198_405:                            ; =>This Inner Loop Header: Depth=1
	ds_read_b64 v[6:7], v2
	v_add_u32_e32 v0, 0x200, v0
	v_cmp_ge_u32_e32 vcc, v0, v18
	v_add_u32_e32 v2, 0x1000, v2
	s_or_b64 s[2:3], vcc, s[2:3]
	s_waitcnt lgkmcnt(0)
	global_store_dwordx2 v[4:5], v[6:7], off
	v_lshl_add_u64 v[4:5], v[4:5], 0, s[4:5]
	s_andn2_b64 exec, exec, s[2:3]
	s_cbranch_execnz .LBB198_405
.LBB198_406:
	s_or_b64 exec, exec, s[0:1]
	s_and_b64 s[0:1], s[18:19], s[24:25]
	s_and_saveexec_b64 s[2:3], s[0:1]
	s_cbranch_execz .LBB198_366
.LBB198_407:
	v_mov_b32_e32 v1, 0
	v_mov_b32_e32 v0, v18
	v_lshl_add_u64 v[2:3], s[22:23], 0, v[0:1]
	v_mov_b32_e32 v0, v19
	v_lshl_add_u64 v[2:3], v[2:3], 0, v[0:1]
	global_store_dwordx2 v1, v[2:3], s[20:21]
	s_endpgm
	.section	.rodata,"a",@progbits
	.p2align	6, 0x0
	.amdhsa_kernel _ZN7rocprim17ROCPRIM_400000_NS6detail17trampoline_kernelINS0_14default_configENS1_25partition_config_selectorILNS1_17partition_subalgoE8ElNS0_10empty_typeEbEEZZNS1_14partition_implILS5_8ELb0ES3_jPlPS6_PKS6_NS0_5tupleIJS9_S6_EEENSD_IJSA_SA_EEENS0_18inequality_wrapperIZN2at6native12_GLOBAL__N_124unique_dim_cuda_templateIhEESt5tupleIJNSH_6TensorESM_SM_EERKSM_lbbbEUlllE0_EEPmJS6_EEE10hipError_tPvRmT3_T4_T5_T6_T7_T9_mT8_P12ihipStream_tbDpT10_ENKUlT_T0_E_clISt17integral_constantIbLb0EES1B_IbLb1EEEEDaS17_S18_EUlS17_E_NS1_11comp_targetILNS1_3genE5ELNS1_11target_archE942ELNS1_3gpuE9ELNS1_3repE0EEENS1_30default_config_static_selectorELNS0_4arch9wavefront6targetE1EEEvT1_
		.amdhsa_group_segment_fixed_size 28684
		.amdhsa_private_segment_fixed_size 0
		.amdhsa_kernarg_size 136
		.amdhsa_user_sgpr_count 2
		.amdhsa_user_sgpr_dispatch_ptr 0
		.amdhsa_user_sgpr_queue_ptr 0
		.amdhsa_user_sgpr_kernarg_segment_ptr 1
		.amdhsa_user_sgpr_dispatch_id 0
		.amdhsa_user_sgpr_kernarg_preload_length 0
		.amdhsa_user_sgpr_kernarg_preload_offset 0
		.amdhsa_user_sgpr_private_segment_size 0
		.amdhsa_uses_dynamic_stack 0
		.amdhsa_enable_private_segment 0
		.amdhsa_system_sgpr_workgroup_id_x 1
		.amdhsa_system_sgpr_workgroup_id_y 0
		.amdhsa_system_sgpr_workgroup_id_z 0
		.amdhsa_system_sgpr_workgroup_info 0
		.amdhsa_system_vgpr_workitem_id 0
		.amdhsa_next_free_vgpr 52
		.amdhsa_next_free_sgpr 56
		.amdhsa_accum_offset 52
		.amdhsa_reserve_vcc 1
		.amdhsa_float_round_mode_32 0
		.amdhsa_float_round_mode_16_64 0
		.amdhsa_float_denorm_mode_32 3
		.amdhsa_float_denorm_mode_16_64 3
		.amdhsa_dx10_clamp 1
		.amdhsa_ieee_mode 1
		.amdhsa_fp16_overflow 0
		.amdhsa_tg_split 0
		.amdhsa_exception_fp_ieee_invalid_op 0
		.amdhsa_exception_fp_denorm_src 0
		.amdhsa_exception_fp_ieee_div_zero 0
		.amdhsa_exception_fp_ieee_overflow 0
		.amdhsa_exception_fp_ieee_underflow 0
		.amdhsa_exception_fp_ieee_inexact 0
		.amdhsa_exception_int_div_zero 0
	.end_amdhsa_kernel
	.section	.text._ZN7rocprim17ROCPRIM_400000_NS6detail17trampoline_kernelINS0_14default_configENS1_25partition_config_selectorILNS1_17partition_subalgoE8ElNS0_10empty_typeEbEEZZNS1_14partition_implILS5_8ELb0ES3_jPlPS6_PKS6_NS0_5tupleIJS9_S6_EEENSD_IJSA_SA_EEENS0_18inequality_wrapperIZN2at6native12_GLOBAL__N_124unique_dim_cuda_templateIhEESt5tupleIJNSH_6TensorESM_SM_EERKSM_lbbbEUlllE0_EEPmJS6_EEE10hipError_tPvRmT3_T4_T5_T6_T7_T9_mT8_P12ihipStream_tbDpT10_ENKUlT_T0_E_clISt17integral_constantIbLb0EES1B_IbLb1EEEEDaS17_S18_EUlS17_E_NS1_11comp_targetILNS1_3genE5ELNS1_11target_archE942ELNS1_3gpuE9ELNS1_3repE0EEENS1_30default_config_static_selectorELNS0_4arch9wavefront6targetE1EEEvT1_,"axG",@progbits,_ZN7rocprim17ROCPRIM_400000_NS6detail17trampoline_kernelINS0_14default_configENS1_25partition_config_selectorILNS1_17partition_subalgoE8ElNS0_10empty_typeEbEEZZNS1_14partition_implILS5_8ELb0ES3_jPlPS6_PKS6_NS0_5tupleIJS9_S6_EEENSD_IJSA_SA_EEENS0_18inequality_wrapperIZN2at6native12_GLOBAL__N_124unique_dim_cuda_templateIhEESt5tupleIJNSH_6TensorESM_SM_EERKSM_lbbbEUlllE0_EEPmJS6_EEE10hipError_tPvRmT3_T4_T5_T6_T7_T9_mT8_P12ihipStream_tbDpT10_ENKUlT_T0_E_clISt17integral_constantIbLb0EES1B_IbLb1EEEEDaS17_S18_EUlS17_E_NS1_11comp_targetILNS1_3genE5ELNS1_11target_archE942ELNS1_3gpuE9ELNS1_3repE0EEENS1_30default_config_static_selectorELNS0_4arch9wavefront6targetE1EEEvT1_,comdat
.Lfunc_end198:
	.size	_ZN7rocprim17ROCPRIM_400000_NS6detail17trampoline_kernelINS0_14default_configENS1_25partition_config_selectorILNS1_17partition_subalgoE8ElNS0_10empty_typeEbEEZZNS1_14partition_implILS5_8ELb0ES3_jPlPS6_PKS6_NS0_5tupleIJS9_S6_EEENSD_IJSA_SA_EEENS0_18inequality_wrapperIZN2at6native12_GLOBAL__N_124unique_dim_cuda_templateIhEESt5tupleIJNSH_6TensorESM_SM_EERKSM_lbbbEUlllE0_EEPmJS6_EEE10hipError_tPvRmT3_T4_T5_T6_T7_T9_mT8_P12ihipStream_tbDpT10_ENKUlT_T0_E_clISt17integral_constantIbLb0EES1B_IbLb1EEEEDaS17_S18_EUlS17_E_NS1_11comp_targetILNS1_3genE5ELNS1_11target_archE942ELNS1_3gpuE9ELNS1_3repE0EEENS1_30default_config_static_selectorELNS0_4arch9wavefront6targetE1EEEvT1_, .Lfunc_end198-_ZN7rocprim17ROCPRIM_400000_NS6detail17trampoline_kernelINS0_14default_configENS1_25partition_config_selectorILNS1_17partition_subalgoE8ElNS0_10empty_typeEbEEZZNS1_14partition_implILS5_8ELb0ES3_jPlPS6_PKS6_NS0_5tupleIJS9_S6_EEENSD_IJSA_SA_EEENS0_18inequality_wrapperIZN2at6native12_GLOBAL__N_124unique_dim_cuda_templateIhEESt5tupleIJNSH_6TensorESM_SM_EERKSM_lbbbEUlllE0_EEPmJS6_EEE10hipError_tPvRmT3_T4_T5_T6_T7_T9_mT8_P12ihipStream_tbDpT10_ENKUlT_T0_E_clISt17integral_constantIbLb0EES1B_IbLb1EEEEDaS17_S18_EUlS17_E_NS1_11comp_targetILNS1_3genE5ELNS1_11target_archE942ELNS1_3gpuE9ELNS1_3repE0EEENS1_30default_config_static_selectorELNS0_4arch9wavefront6targetE1EEEvT1_
                                        ; -- End function
	.section	.AMDGPU.csdata,"",@progbits
; Kernel info:
; codeLenInByte = 12332
; NumSgprs: 62
; NumVgprs: 52
; NumAgprs: 0
; TotalNumVgprs: 52
; ScratchSize: 0
; MemoryBound: 0
; FloatMode: 240
; IeeeMode: 1
; LDSByteSize: 28684 bytes/workgroup (compile time only)
; SGPRBlocks: 7
; VGPRBlocks: 6
; NumSGPRsForWavesPerEU: 62
; NumVGPRsForWavesPerEU: 52
; AccumOffset: 52
; Occupancy: 4
; WaveLimiterHint : 1
; COMPUTE_PGM_RSRC2:SCRATCH_EN: 0
; COMPUTE_PGM_RSRC2:USER_SGPR: 2
; COMPUTE_PGM_RSRC2:TRAP_HANDLER: 0
; COMPUTE_PGM_RSRC2:TGID_X_EN: 1
; COMPUTE_PGM_RSRC2:TGID_Y_EN: 0
; COMPUTE_PGM_RSRC2:TGID_Z_EN: 0
; COMPUTE_PGM_RSRC2:TIDIG_COMP_CNT: 0
; COMPUTE_PGM_RSRC3_GFX90A:ACCUM_OFFSET: 12
; COMPUTE_PGM_RSRC3_GFX90A:TG_SPLIT: 0
	.section	.text._ZN7rocprim17ROCPRIM_400000_NS6detail17trampoline_kernelINS0_14default_configENS1_25partition_config_selectorILNS1_17partition_subalgoE8ElNS0_10empty_typeEbEEZZNS1_14partition_implILS5_8ELb0ES3_jPlPS6_PKS6_NS0_5tupleIJS9_S6_EEENSD_IJSA_SA_EEENS0_18inequality_wrapperIZN2at6native12_GLOBAL__N_124unique_dim_cuda_templateIhEESt5tupleIJNSH_6TensorESM_SM_EERKSM_lbbbEUlllE0_EEPmJS6_EEE10hipError_tPvRmT3_T4_T5_T6_T7_T9_mT8_P12ihipStream_tbDpT10_ENKUlT_T0_E_clISt17integral_constantIbLb0EES1B_IbLb1EEEEDaS17_S18_EUlS17_E_NS1_11comp_targetILNS1_3genE4ELNS1_11target_archE910ELNS1_3gpuE8ELNS1_3repE0EEENS1_30default_config_static_selectorELNS0_4arch9wavefront6targetE1EEEvT1_,"axG",@progbits,_ZN7rocprim17ROCPRIM_400000_NS6detail17trampoline_kernelINS0_14default_configENS1_25partition_config_selectorILNS1_17partition_subalgoE8ElNS0_10empty_typeEbEEZZNS1_14partition_implILS5_8ELb0ES3_jPlPS6_PKS6_NS0_5tupleIJS9_S6_EEENSD_IJSA_SA_EEENS0_18inequality_wrapperIZN2at6native12_GLOBAL__N_124unique_dim_cuda_templateIhEESt5tupleIJNSH_6TensorESM_SM_EERKSM_lbbbEUlllE0_EEPmJS6_EEE10hipError_tPvRmT3_T4_T5_T6_T7_T9_mT8_P12ihipStream_tbDpT10_ENKUlT_T0_E_clISt17integral_constantIbLb0EES1B_IbLb1EEEEDaS17_S18_EUlS17_E_NS1_11comp_targetILNS1_3genE4ELNS1_11target_archE910ELNS1_3gpuE8ELNS1_3repE0EEENS1_30default_config_static_selectorELNS0_4arch9wavefront6targetE1EEEvT1_,comdat
	.globl	_ZN7rocprim17ROCPRIM_400000_NS6detail17trampoline_kernelINS0_14default_configENS1_25partition_config_selectorILNS1_17partition_subalgoE8ElNS0_10empty_typeEbEEZZNS1_14partition_implILS5_8ELb0ES3_jPlPS6_PKS6_NS0_5tupleIJS9_S6_EEENSD_IJSA_SA_EEENS0_18inequality_wrapperIZN2at6native12_GLOBAL__N_124unique_dim_cuda_templateIhEESt5tupleIJNSH_6TensorESM_SM_EERKSM_lbbbEUlllE0_EEPmJS6_EEE10hipError_tPvRmT3_T4_T5_T6_T7_T9_mT8_P12ihipStream_tbDpT10_ENKUlT_T0_E_clISt17integral_constantIbLb0EES1B_IbLb1EEEEDaS17_S18_EUlS17_E_NS1_11comp_targetILNS1_3genE4ELNS1_11target_archE910ELNS1_3gpuE8ELNS1_3repE0EEENS1_30default_config_static_selectorELNS0_4arch9wavefront6targetE1EEEvT1_ ; -- Begin function _ZN7rocprim17ROCPRIM_400000_NS6detail17trampoline_kernelINS0_14default_configENS1_25partition_config_selectorILNS1_17partition_subalgoE8ElNS0_10empty_typeEbEEZZNS1_14partition_implILS5_8ELb0ES3_jPlPS6_PKS6_NS0_5tupleIJS9_S6_EEENSD_IJSA_SA_EEENS0_18inequality_wrapperIZN2at6native12_GLOBAL__N_124unique_dim_cuda_templateIhEESt5tupleIJNSH_6TensorESM_SM_EERKSM_lbbbEUlllE0_EEPmJS6_EEE10hipError_tPvRmT3_T4_T5_T6_T7_T9_mT8_P12ihipStream_tbDpT10_ENKUlT_T0_E_clISt17integral_constantIbLb0EES1B_IbLb1EEEEDaS17_S18_EUlS17_E_NS1_11comp_targetILNS1_3genE4ELNS1_11target_archE910ELNS1_3gpuE8ELNS1_3repE0EEENS1_30default_config_static_selectorELNS0_4arch9wavefront6targetE1EEEvT1_
	.p2align	8
	.type	_ZN7rocprim17ROCPRIM_400000_NS6detail17trampoline_kernelINS0_14default_configENS1_25partition_config_selectorILNS1_17partition_subalgoE8ElNS0_10empty_typeEbEEZZNS1_14partition_implILS5_8ELb0ES3_jPlPS6_PKS6_NS0_5tupleIJS9_S6_EEENSD_IJSA_SA_EEENS0_18inequality_wrapperIZN2at6native12_GLOBAL__N_124unique_dim_cuda_templateIhEESt5tupleIJNSH_6TensorESM_SM_EERKSM_lbbbEUlllE0_EEPmJS6_EEE10hipError_tPvRmT3_T4_T5_T6_T7_T9_mT8_P12ihipStream_tbDpT10_ENKUlT_T0_E_clISt17integral_constantIbLb0EES1B_IbLb1EEEEDaS17_S18_EUlS17_E_NS1_11comp_targetILNS1_3genE4ELNS1_11target_archE910ELNS1_3gpuE8ELNS1_3repE0EEENS1_30default_config_static_selectorELNS0_4arch9wavefront6targetE1EEEvT1_,@function
_ZN7rocprim17ROCPRIM_400000_NS6detail17trampoline_kernelINS0_14default_configENS1_25partition_config_selectorILNS1_17partition_subalgoE8ElNS0_10empty_typeEbEEZZNS1_14partition_implILS5_8ELb0ES3_jPlPS6_PKS6_NS0_5tupleIJS9_S6_EEENSD_IJSA_SA_EEENS0_18inequality_wrapperIZN2at6native12_GLOBAL__N_124unique_dim_cuda_templateIhEESt5tupleIJNSH_6TensorESM_SM_EERKSM_lbbbEUlllE0_EEPmJS6_EEE10hipError_tPvRmT3_T4_T5_T6_T7_T9_mT8_P12ihipStream_tbDpT10_ENKUlT_T0_E_clISt17integral_constantIbLb0EES1B_IbLb1EEEEDaS17_S18_EUlS17_E_NS1_11comp_targetILNS1_3genE4ELNS1_11target_archE910ELNS1_3gpuE8ELNS1_3repE0EEENS1_30default_config_static_selectorELNS0_4arch9wavefront6targetE1EEEvT1_: ; @_ZN7rocprim17ROCPRIM_400000_NS6detail17trampoline_kernelINS0_14default_configENS1_25partition_config_selectorILNS1_17partition_subalgoE8ElNS0_10empty_typeEbEEZZNS1_14partition_implILS5_8ELb0ES3_jPlPS6_PKS6_NS0_5tupleIJS9_S6_EEENSD_IJSA_SA_EEENS0_18inequality_wrapperIZN2at6native12_GLOBAL__N_124unique_dim_cuda_templateIhEESt5tupleIJNSH_6TensorESM_SM_EERKSM_lbbbEUlllE0_EEPmJS6_EEE10hipError_tPvRmT3_T4_T5_T6_T7_T9_mT8_P12ihipStream_tbDpT10_ENKUlT_T0_E_clISt17integral_constantIbLb0EES1B_IbLb1EEEEDaS17_S18_EUlS17_E_NS1_11comp_targetILNS1_3genE4ELNS1_11target_archE910ELNS1_3gpuE8ELNS1_3repE0EEENS1_30default_config_static_selectorELNS0_4arch9wavefront6targetE1EEEvT1_
; %bb.0:
	.section	.rodata,"a",@progbits
	.p2align	6, 0x0
	.amdhsa_kernel _ZN7rocprim17ROCPRIM_400000_NS6detail17trampoline_kernelINS0_14default_configENS1_25partition_config_selectorILNS1_17partition_subalgoE8ElNS0_10empty_typeEbEEZZNS1_14partition_implILS5_8ELb0ES3_jPlPS6_PKS6_NS0_5tupleIJS9_S6_EEENSD_IJSA_SA_EEENS0_18inequality_wrapperIZN2at6native12_GLOBAL__N_124unique_dim_cuda_templateIhEESt5tupleIJNSH_6TensorESM_SM_EERKSM_lbbbEUlllE0_EEPmJS6_EEE10hipError_tPvRmT3_T4_T5_T6_T7_T9_mT8_P12ihipStream_tbDpT10_ENKUlT_T0_E_clISt17integral_constantIbLb0EES1B_IbLb1EEEEDaS17_S18_EUlS17_E_NS1_11comp_targetILNS1_3genE4ELNS1_11target_archE910ELNS1_3gpuE8ELNS1_3repE0EEENS1_30default_config_static_selectorELNS0_4arch9wavefront6targetE1EEEvT1_
		.amdhsa_group_segment_fixed_size 0
		.amdhsa_private_segment_fixed_size 0
		.amdhsa_kernarg_size 136
		.amdhsa_user_sgpr_count 2
		.amdhsa_user_sgpr_dispatch_ptr 0
		.amdhsa_user_sgpr_queue_ptr 0
		.amdhsa_user_sgpr_kernarg_segment_ptr 1
		.amdhsa_user_sgpr_dispatch_id 0
		.amdhsa_user_sgpr_kernarg_preload_length 0
		.amdhsa_user_sgpr_kernarg_preload_offset 0
		.amdhsa_user_sgpr_private_segment_size 0
		.amdhsa_uses_dynamic_stack 0
		.amdhsa_enable_private_segment 0
		.amdhsa_system_sgpr_workgroup_id_x 1
		.amdhsa_system_sgpr_workgroup_id_y 0
		.amdhsa_system_sgpr_workgroup_id_z 0
		.amdhsa_system_sgpr_workgroup_info 0
		.amdhsa_system_vgpr_workitem_id 0
		.amdhsa_next_free_vgpr 1
		.amdhsa_next_free_sgpr 0
		.amdhsa_accum_offset 4
		.amdhsa_reserve_vcc 0
		.amdhsa_float_round_mode_32 0
		.amdhsa_float_round_mode_16_64 0
		.amdhsa_float_denorm_mode_32 3
		.amdhsa_float_denorm_mode_16_64 3
		.amdhsa_dx10_clamp 1
		.amdhsa_ieee_mode 1
		.amdhsa_fp16_overflow 0
		.amdhsa_tg_split 0
		.amdhsa_exception_fp_ieee_invalid_op 0
		.amdhsa_exception_fp_denorm_src 0
		.amdhsa_exception_fp_ieee_div_zero 0
		.amdhsa_exception_fp_ieee_overflow 0
		.amdhsa_exception_fp_ieee_underflow 0
		.amdhsa_exception_fp_ieee_inexact 0
		.amdhsa_exception_int_div_zero 0
	.end_amdhsa_kernel
	.section	.text._ZN7rocprim17ROCPRIM_400000_NS6detail17trampoline_kernelINS0_14default_configENS1_25partition_config_selectorILNS1_17partition_subalgoE8ElNS0_10empty_typeEbEEZZNS1_14partition_implILS5_8ELb0ES3_jPlPS6_PKS6_NS0_5tupleIJS9_S6_EEENSD_IJSA_SA_EEENS0_18inequality_wrapperIZN2at6native12_GLOBAL__N_124unique_dim_cuda_templateIhEESt5tupleIJNSH_6TensorESM_SM_EERKSM_lbbbEUlllE0_EEPmJS6_EEE10hipError_tPvRmT3_T4_T5_T6_T7_T9_mT8_P12ihipStream_tbDpT10_ENKUlT_T0_E_clISt17integral_constantIbLb0EES1B_IbLb1EEEEDaS17_S18_EUlS17_E_NS1_11comp_targetILNS1_3genE4ELNS1_11target_archE910ELNS1_3gpuE8ELNS1_3repE0EEENS1_30default_config_static_selectorELNS0_4arch9wavefront6targetE1EEEvT1_,"axG",@progbits,_ZN7rocprim17ROCPRIM_400000_NS6detail17trampoline_kernelINS0_14default_configENS1_25partition_config_selectorILNS1_17partition_subalgoE8ElNS0_10empty_typeEbEEZZNS1_14partition_implILS5_8ELb0ES3_jPlPS6_PKS6_NS0_5tupleIJS9_S6_EEENSD_IJSA_SA_EEENS0_18inequality_wrapperIZN2at6native12_GLOBAL__N_124unique_dim_cuda_templateIhEESt5tupleIJNSH_6TensorESM_SM_EERKSM_lbbbEUlllE0_EEPmJS6_EEE10hipError_tPvRmT3_T4_T5_T6_T7_T9_mT8_P12ihipStream_tbDpT10_ENKUlT_T0_E_clISt17integral_constantIbLb0EES1B_IbLb1EEEEDaS17_S18_EUlS17_E_NS1_11comp_targetILNS1_3genE4ELNS1_11target_archE910ELNS1_3gpuE8ELNS1_3repE0EEENS1_30default_config_static_selectorELNS0_4arch9wavefront6targetE1EEEvT1_,comdat
.Lfunc_end199:
	.size	_ZN7rocprim17ROCPRIM_400000_NS6detail17trampoline_kernelINS0_14default_configENS1_25partition_config_selectorILNS1_17partition_subalgoE8ElNS0_10empty_typeEbEEZZNS1_14partition_implILS5_8ELb0ES3_jPlPS6_PKS6_NS0_5tupleIJS9_S6_EEENSD_IJSA_SA_EEENS0_18inequality_wrapperIZN2at6native12_GLOBAL__N_124unique_dim_cuda_templateIhEESt5tupleIJNSH_6TensorESM_SM_EERKSM_lbbbEUlllE0_EEPmJS6_EEE10hipError_tPvRmT3_T4_T5_T6_T7_T9_mT8_P12ihipStream_tbDpT10_ENKUlT_T0_E_clISt17integral_constantIbLb0EES1B_IbLb1EEEEDaS17_S18_EUlS17_E_NS1_11comp_targetILNS1_3genE4ELNS1_11target_archE910ELNS1_3gpuE8ELNS1_3repE0EEENS1_30default_config_static_selectorELNS0_4arch9wavefront6targetE1EEEvT1_, .Lfunc_end199-_ZN7rocprim17ROCPRIM_400000_NS6detail17trampoline_kernelINS0_14default_configENS1_25partition_config_selectorILNS1_17partition_subalgoE8ElNS0_10empty_typeEbEEZZNS1_14partition_implILS5_8ELb0ES3_jPlPS6_PKS6_NS0_5tupleIJS9_S6_EEENSD_IJSA_SA_EEENS0_18inequality_wrapperIZN2at6native12_GLOBAL__N_124unique_dim_cuda_templateIhEESt5tupleIJNSH_6TensorESM_SM_EERKSM_lbbbEUlllE0_EEPmJS6_EEE10hipError_tPvRmT3_T4_T5_T6_T7_T9_mT8_P12ihipStream_tbDpT10_ENKUlT_T0_E_clISt17integral_constantIbLb0EES1B_IbLb1EEEEDaS17_S18_EUlS17_E_NS1_11comp_targetILNS1_3genE4ELNS1_11target_archE910ELNS1_3gpuE8ELNS1_3repE0EEENS1_30default_config_static_selectorELNS0_4arch9wavefront6targetE1EEEvT1_
                                        ; -- End function
	.section	.AMDGPU.csdata,"",@progbits
; Kernel info:
; codeLenInByte = 0
; NumSgprs: 6
; NumVgprs: 0
; NumAgprs: 0
; TotalNumVgprs: 0
; ScratchSize: 0
; MemoryBound: 0
; FloatMode: 240
; IeeeMode: 1
; LDSByteSize: 0 bytes/workgroup (compile time only)
; SGPRBlocks: 0
; VGPRBlocks: 0
; NumSGPRsForWavesPerEU: 6
; NumVGPRsForWavesPerEU: 1
; AccumOffset: 4
; Occupancy: 8
; WaveLimiterHint : 0
; COMPUTE_PGM_RSRC2:SCRATCH_EN: 0
; COMPUTE_PGM_RSRC2:USER_SGPR: 2
; COMPUTE_PGM_RSRC2:TRAP_HANDLER: 0
; COMPUTE_PGM_RSRC2:TGID_X_EN: 1
; COMPUTE_PGM_RSRC2:TGID_Y_EN: 0
; COMPUTE_PGM_RSRC2:TGID_Z_EN: 0
; COMPUTE_PGM_RSRC2:TIDIG_COMP_CNT: 0
; COMPUTE_PGM_RSRC3_GFX90A:ACCUM_OFFSET: 0
; COMPUTE_PGM_RSRC3_GFX90A:TG_SPLIT: 0
	.section	.text._ZN7rocprim17ROCPRIM_400000_NS6detail17trampoline_kernelINS0_14default_configENS1_25partition_config_selectorILNS1_17partition_subalgoE8ElNS0_10empty_typeEbEEZZNS1_14partition_implILS5_8ELb0ES3_jPlPS6_PKS6_NS0_5tupleIJS9_S6_EEENSD_IJSA_SA_EEENS0_18inequality_wrapperIZN2at6native12_GLOBAL__N_124unique_dim_cuda_templateIhEESt5tupleIJNSH_6TensorESM_SM_EERKSM_lbbbEUlllE0_EEPmJS6_EEE10hipError_tPvRmT3_T4_T5_T6_T7_T9_mT8_P12ihipStream_tbDpT10_ENKUlT_T0_E_clISt17integral_constantIbLb0EES1B_IbLb1EEEEDaS17_S18_EUlS17_E_NS1_11comp_targetILNS1_3genE3ELNS1_11target_archE908ELNS1_3gpuE7ELNS1_3repE0EEENS1_30default_config_static_selectorELNS0_4arch9wavefront6targetE1EEEvT1_,"axG",@progbits,_ZN7rocprim17ROCPRIM_400000_NS6detail17trampoline_kernelINS0_14default_configENS1_25partition_config_selectorILNS1_17partition_subalgoE8ElNS0_10empty_typeEbEEZZNS1_14partition_implILS5_8ELb0ES3_jPlPS6_PKS6_NS0_5tupleIJS9_S6_EEENSD_IJSA_SA_EEENS0_18inequality_wrapperIZN2at6native12_GLOBAL__N_124unique_dim_cuda_templateIhEESt5tupleIJNSH_6TensorESM_SM_EERKSM_lbbbEUlllE0_EEPmJS6_EEE10hipError_tPvRmT3_T4_T5_T6_T7_T9_mT8_P12ihipStream_tbDpT10_ENKUlT_T0_E_clISt17integral_constantIbLb0EES1B_IbLb1EEEEDaS17_S18_EUlS17_E_NS1_11comp_targetILNS1_3genE3ELNS1_11target_archE908ELNS1_3gpuE7ELNS1_3repE0EEENS1_30default_config_static_selectorELNS0_4arch9wavefront6targetE1EEEvT1_,comdat
	.globl	_ZN7rocprim17ROCPRIM_400000_NS6detail17trampoline_kernelINS0_14default_configENS1_25partition_config_selectorILNS1_17partition_subalgoE8ElNS0_10empty_typeEbEEZZNS1_14partition_implILS5_8ELb0ES3_jPlPS6_PKS6_NS0_5tupleIJS9_S6_EEENSD_IJSA_SA_EEENS0_18inequality_wrapperIZN2at6native12_GLOBAL__N_124unique_dim_cuda_templateIhEESt5tupleIJNSH_6TensorESM_SM_EERKSM_lbbbEUlllE0_EEPmJS6_EEE10hipError_tPvRmT3_T4_T5_T6_T7_T9_mT8_P12ihipStream_tbDpT10_ENKUlT_T0_E_clISt17integral_constantIbLb0EES1B_IbLb1EEEEDaS17_S18_EUlS17_E_NS1_11comp_targetILNS1_3genE3ELNS1_11target_archE908ELNS1_3gpuE7ELNS1_3repE0EEENS1_30default_config_static_selectorELNS0_4arch9wavefront6targetE1EEEvT1_ ; -- Begin function _ZN7rocprim17ROCPRIM_400000_NS6detail17trampoline_kernelINS0_14default_configENS1_25partition_config_selectorILNS1_17partition_subalgoE8ElNS0_10empty_typeEbEEZZNS1_14partition_implILS5_8ELb0ES3_jPlPS6_PKS6_NS0_5tupleIJS9_S6_EEENSD_IJSA_SA_EEENS0_18inequality_wrapperIZN2at6native12_GLOBAL__N_124unique_dim_cuda_templateIhEESt5tupleIJNSH_6TensorESM_SM_EERKSM_lbbbEUlllE0_EEPmJS6_EEE10hipError_tPvRmT3_T4_T5_T6_T7_T9_mT8_P12ihipStream_tbDpT10_ENKUlT_T0_E_clISt17integral_constantIbLb0EES1B_IbLb1EEEEDaS17_S18_EUlS17_E_NS1_11comp_targetILNS1_3genE3ELNS1_11target_archE908ELNS1_3gpuE7ELNS1_3repE0EEENS1_30default_config_static_selectorELNS0_4arch9wavefront6targetE1EEEvT1_
	.p2align	8
	.type	_ZN7rocprim17ROCPRIM_400000_NS6detail17trampoline_kernelINS0_14default_configENS1_25partition_config_selectorILNS1_17partition_subalgoE8ElNS0_10empty_typeEbEEZZNS1_14partition_implILS5_8ELb0ES3_jPlPS6_PKS6_NS0_5tupleIJS9_S6_EEENSD_IJSA_SA_EEENS0_18inequality_wrapperIZN2at6native12_GLOBAL__N_124unique_dim_cuda_templateIhEESt5tupleIJNSH_6TensorESM_SM_EERKSM_lbbbEUlllE0_EEPmJS6_EEE10hipError_tPvRmT3_T4_T5_T6_T7_T9_mT8_P12ihipStream_tbDpT10_ENKUlT_T0_E_clISt17integral_constantIbLb0EES1B_IbLb1EEEEDaS17_S18_EUlS17_E_NS1_11comp_targetILNS1_3genE3ELNS1_11target_archE908ELNS1_3gpuE7ELNS1_3repE0EEENS1_30default_config_static_selectorELNS0_4arch9wavefront6targetE1EEEvT1_,@function
_ZN7rocprim17ROCPRIM_400000_NS6detail17trampoline_kernelINS0_14default_configENS1_25partition_config_selectorILNS1_17partition_subalgoE8ElNS0_10empty_typeEbEEZZNS1_14partition_implILS5_8ELb0ES3_jPlPS6_PKS6_NS0_5tupleIJS9_S6_EEENSD_IJSA_SA_EEENS0_18inequality_wrapperIZN2at6native12_GLOBAL__N_124unique_dim_cuda_templateIhEESt5tupleIJNSH_6TensorESM_SM_EERKSM_lbbbEUlllE0_EEPmJS6_EEE10hipError_tPvRmT3_T4_T5_T6_T7_T9_mT8_P12ihipStream_tbDpT10_ENKUlT_T0_E_clISt17integral_constantIbLb0EES1B_IbLb1EEEEDaS17_S18_EUlS17_E_NS1_11comp_targetILNS1_3genE3ELNS1_11target_archE908ELNS1_3gpuE7ELNS1_3repE0EEENS1_30default_config_static_selectorELNS0_4arch9wavefront6targetE1EEEvT1_: ; @_ZN7rocprim17ROCPRIM_400000_NS6detail17trampoline_kernelINS0_14default_configENS1_25partition_config_selectorILNS1_17partition_subalgoE8ElNS0_10empty_typeEbEEZZNS1_14partition_implILS5_8ELb0ES3_jPlPS6_PKS6_NS0_5tupleIJS9_S6_EEENSD_IJSA_SA_EEENS0_18inequality_wrapperIZN2at6native12_GLOBAL__N_124unique_dim_cuda_templateIhEESt5tupleIJNSH_6TensorESM_SM_EERKSM_lbbbEUlllE0_EEPmJS6_EEE10hipError_tPvRmT3_T4_T5_T6_T7_T9_mT8_P12ihipStream_tbDpT10_ENKUlT_T0_E_clISt17integral_constantIbLb0EES1B_IbLb1EEEEDaS17_S18_EUlS17_E_NS1_11comp_targetILNS1_3genE3ELNS1_11target_archE908ELNS1_3gpuE7ELNS1_3repE0EEENS1_30default_config_static_selectorELNS0_4arch9wavefront6targetE1EEEvT1_
; %bb.0:
	.section	.rodata,"a",@progbits
	.p2align	6, 0x0
	.amdhsa_kernel _ZN7rocprim17ROCPRIM_400000_NS6detail17trampoline_kernelINS0_14default_configENS1_25partition_config_selectorILNS1_17partition_subalgoE8ElNS0_10empty_typeEbEEZZNS1_14partition_implILS5_8ELb0ES3_jPlPS6_PKS6_NS0_5tupleIJS9_S6_EEENSD_IJSA_SA_EEENS0_18inequality_wrapperIZN2at6native12_GLOBAL__N_124unique_dim_cuda_templateIhEESt5tupleIJNSH_6TensorESM_SM_EERKSM_lbbbEUlllE0_EEPmJS6_EEE10hipError_tPvRmT3_T4_T5_T6_T7_T9_mT8_P12ihipStream_tbDpT10_ENKUlT_T0_E_clISt17integral_constantIbLb0EES1B_IbLb1EEEEDaS17_S18_EUlS17_E_NS1_11comp_targetILNS1_3genE3ELNS1_11target_archE908ELNS1_3gpuE7ELNS1_3repE0EEENS1_30default_config_static_selectorELNS0_4arch9wavefront6targetE1EEEvT1_
		.amdhsa_group_segment_fixed_size 0
		.amdhsa_private_segment_fixed_size 0
		.amdhsa_kernarg_size 136
		.amdhsa_user_sgpr_count 2
		.amdhsa_user_sgpr_dispatch_ptr 0
		.amdhsa_user_sgpr_queue_ptr 0
		.amdhsa_user_sgpr_kernarg_segment_ptr 1
		.amdhsa_user_sgpr_dispatch_id 0
		.amdhsa_user_sgpr_kernarg_preload_length 0
		.amdhsa_user_sgpr_kernarg_preload_offset 0
		.amdhsa_user_sgpr_private_segment_size 0
		.amdhsa_uses_dynamic_stack 0
		.amdhsa_enable_private_segment 0
		.amdhsa_system_sgpr_workgroup_id_x 1
		.amdhsa_system_sgpr_workgroup_id_y 0
		.amdhsa_system_sgpr_workgroup_id_z 0
		.amdhsa_system_sgpr_workgroup_info 0
		.amdhsa_system_vgpr_workitem_id 0
		.amdhsa_next_free_vgpr 1
		.amdhsa_next_free_sgpr 0
		.amdhsa_accum_offset 4
		.amdhsa_reserve_vcc 0
		.amdhsa_float_round_mode_32 0
		.amdhsa_float_round_mode_16_64 0
		.amdhsa_float_denorm_mode_32 3
		.amdhsa_float_denorm_mode_16_64 3
		.amdhsa_dx10_clamp 1
		.amdhsa_ieee_mode 1
		.amdhsa_fp16_overflow 0
		.amdhsa_tg_split 0
		.amdhsa_exception_fp_ieee_invalid_op 0
		.amdhsa_exception_fp_denorm_src 0
		.amdhsa_exception_fp_ieee_div_zero 0
		.amdhsa_exception_fp_ieee_overflow 0
		.amdhsa_exception_fp_ieee_underflow 0
		.amdhsa_exception_fp_ieee_inexact 0
		.amdhsa_exception_int_div_zero 0
	.end_amdhsa_kernel
	.section	.text._ZN7rocprim17ROCPRIM_400000_NS6detail17trampoline_kernelINS0_14default_configENS1_25partition_config_selectorILNS1_17partition_subalgoE8ElNS0_10empty_typeEbEEZZNS1_14partition_implILS5_8ELb0ES3_jPlPS6_PKS6_NS0_5tupleIJS9_S6_EEENSD_IJSA_SA_EEENS0_18inequality_wrapperIZN2at6native12_GLOBAL__N_124unique_dim_cuda_templateIhEESt5tupleIJNSH_6TensorESM_SM_EERKSM_lbbbEUlllE0_EEPmJS6_EEE10hipError_tPvRmT3_T4_T5_T6_T7_T9_mT8_P12ihipStream_tbDpT10_ENKUlT_T0_E_clISt17integral_constantIbLb0EES1B_IbLb1EEEEDaS17_S18_EUlS17_E_NS1_11comp_targetILNS1_3genE3ELNS1_11target_archE908ELNS1_3gpuE7ELNS1_3repE0EEENS1_30default_config_static_selectorELNS0_4arch9wavefront6targetE1EEEvT1_,"axG",@progbits,_ZN7rocprim17ROCPRIM_400000_NS6detail17trampoline_kernelINS0_14default_configENS1_25partition_config_selectorILNS1_17partition_subalgoE8ElNS0_10empty_typeEbEEZZNS1_14partition_implILS5_8ELb0ES3_jPlPS6_PKS6_NS0_5tupleIJS9_S6_EEENSD_IJSA_SA_EEENS0_18inequality_wrapperIZN2at6native12_GLOBAL__N_124unique_dim_cuda_templateIhEESt5tupleIJNSH_6TensorESM_SM_EERKSM_lbbbEUlllE0_EEPmJS6_EEE10hipError_tPvRmT3_T4_T5_T6_T7_T9_mT8_P12ihipStream_tbDpT10_ENKUlT_T0_E_clISt17integral_constantIbLb0EES1B_IbLb1EEEEDaS17_S18_EUlS17_E_NS1_11comp_targetILNS1_3genE3ELNS1_11target_archE908ELNS1_3gpuE7ELNS1_3repE0EEENS1_30default_config_static_selectorELNS0_4arch9wavefront6targetE1EEEvT1_,comdat
.Lfunc_end200:
	.size	_ZN7rocprim17ROCPRIM_400000_NS6detail17trampoline_kernelINS0_14default_configENS1_25partition_config_selectorILNS1_17partition_subalgoE8ElNS0_10empty_typeEbEEZZNS1_14partition_implILS5_8ELb0ES3_jPlPS6_PKS6_NS0_5tupleIJS9_S6_EEENSD_IJSA_SA_EEENS0_18inequality_wrapperIZN2at6native12_GLOBAL__N_124unique_dim_cuda_templateIhEESt5tupleIJNSH_6TensorESM_SM_EERKSM_lbbbEUlllE0_EEPmJS6_EEE10hipError_tPvRmT3_T4_T5_T6_T7_T9_mT8_P12ihipStream_tbDpT10_ENKUlT_T0_E_clISt17integral_constantIbLb0EES1B_IbLb1EEEEDaS17_S18_EUlS17_E_NS1_11comp_targetILNS1_3genE3ELNS1_11target_archE908ELNS1_3gpuE7ELNS1_3repE0EEENS1_30default_config_static_selectorELNS0_4arch9wavefront6targetE1EEEvT1_, .Lfunc_end200-_ZN7rocprim17ROCPRIM_400000_NS6detail17trampoline_kernelINS0_14default_configENS1_25partition_config_selectorILNS1_17partition_subalgoE8ElNS0_10empty_typeEbEEZZNS1_14partition_implILS5_8ELb0ES3_jPlPS6_PKS6_NS0_5tupleIJS9_S6_EEENSD_IJSA_SA_EEENS0_18inequality_wrapperIZN2at6native12_GLOBAL__N_124unique_dim_cuda_templateIhEESt5tupleIJNSH_6TensorESM_SM_EERKSM_lbbbEUlllE0_EEPmJS6_EEE10hipError_tPvRmT3_T4_T5_T6_T7_T9_mT8_P12ihipStream_tbDpT10_ENKUlT_T0_E_clISt17integral_constantIbLb0EES1B_IbLb1EEEEDaS17_S18_EUlS17_E_NS1_11comp_targetILNS1_3genE3ELNS1_11target_archE908ELNS1_3gpuE7ELNS1_3repE0EEENS1_30default_config_static_selectorELNS0_4arch9wavefront6targetE1EEEvT1_
                                        ; -- End function
	.section	.AMDGPU.csdata,"",@progbits
; Kernel info:
; codeLenInByte = 0
; NumSgprs: 6
; NumVgprs: 0
; NumAgprs: 0
; TotalNumVgprs: 0
; ScratchSize: 0
; MemoryBound: 0
; FloatMode: 240
; IeeeMode: 1
; LDSByteSize: 0 bytes/workgroup (compile time only)
; SGPRBlocks: 0
; VGPRBlocks: 0
; NumSGPRsForWavesPerEU: 6
; NumVGPRsForWavesPerEU: 1
; AccumOffset: 4
; Occupancy: 8
; WaveLimiterHint : 0
; COMPUTE_PGM_RSRC2:SCRATCH_EN: 0
; COMPUTE_PGM_RSRC2:USER_SGPR: 2
; COMPUTE_PGM_RSRC2:TRAP_HANDLER: 0
; COMPUTE_PGM_RSRC2:TGID_X_EN: 1
; COMPUTE_PGM_RSRC2:TGID_Y_EN: 0
; COMPUTE_PGM_RSRC2:TGID_Z_EN: 0
; COMPUTE_PGM_RSRC2:TIDIG_COMP_CNT: 0
; COMPUTE_PGM_RSRC3_GFX90A:ACCUM_OFFSET: 0
; COMPUTE_PGM_RSRC3_GFX90A:TG_SPLIT: 0
	.section	.text._ZN7rocprim17ROCPRIM_400000_NS6detail17trampoline_kernelINS0_14default_configENS1_25partition_config_selectorILNS1_17partition_subalgoE8ElNS0_10empty_typeEbEEZZNS1_14partition_implILS5_8ELb0ES3_jPlPS6_PKS6_NS0_5tupleIJS9_S6_EEENSD_IJSA_SA_EEENS0_18inequality_wrapperIZN2at6native12_GLOBAL__N_124unique_dim_cuda_templateIhEESt5tupleIJNSH_6TensorESM_SM_EERKSM_lbbbEUlllE0_EEPmJS6_EEE10hipError_tPvRmT3_T4_T5_T6_T7_T9_mT8_P12ihipStream_tbDpT10_ENKUlT_T0_E_clISt17integral_constantIbLb0EES1B_IbLb1EEEEDaS17_S18_EUlS17_E_NS1_11comp_targetILNS1_3genE2ELNS1_11target_archE906ELNS1_3gpuE6ELNS1_3repE0EEENS1_30default_config_static_selectorELNS0_4arch9wavefront6targetE1EEEvT1_,"axG",@progbits,_ZN7rocprim17ROCPRIM_400000_NS6detail17trampoline_kernelINS0_14default_configENS1_25partition_config_selectorILNS1_17partition_subalgoE8ElNS0_10empty_typeEbEEZZNS1_14partition_implILS5_8ELb0ES3_jPlPS6_PKS6_NS0_5tupleIJS9_S6_EEENSD_IJSA_SA_EEENS0_18inequality_wrapperIZN2at6native12_GLOBAL__N_124unique_dim_cuda_templateIhEESt5tupleIJNSH_6TensorESM_SM_EERKSM_lbbbEUlllE0_EEPmJS6_EEE10hipError_tPvRmT3_T4_T5_T6_T7_T9_mT8_P12ihipStream_tbDpT10_ENKUlT_T0_E_clISt17integral_constantIbLb0EES1B_IbLb1EEEEDaS17_S18_EUlS17_E_NS1_11comp_targetILNS1_3genE2ELNS1_11target_archE906ELNS1_3gpuE6ELNS1_3repE0EEENS1_30default_config_static_selectorELNS0_4arch9wavefront6targetE1EEEvT1_,comdat
	.globl	_ZN7rocprim17ROCPRIM_400000_NS6detail17trampoline_kernelINS0_14default_configENS1_25partition_config_selectorILNS1_17partition_subalgoE8ElNS0_10empty_typeEbEEZZNS1_14partition_implILS5_8ELb0ES3_jPlPS6_PKS6_NS0_5tupleIJS9_S6_EEENSD_IJSA_SA_EEENS0_18inequality_wrapperIZN2at6native12_GLOBAL__N_124unique_dim_cuda_templateIhEESt5tupleIJNSH_6TensorESM_SM_EERKSM_lbbbEUlllE0_EEPmJS6_EEE10hipError_tPvRmT3_T4_T5_T6_T7_T9_mT8_P12ihipStream_tbDpT10_ENKUlT_T0_E_clISt17integral_constantIbLb0EES1B_IbLb1EEEEDaS17_S18_EUlS17_E_NS1_11comp_targetILNS1_3genE2ELNS1_11target_archE906ELNS1_3gpuE6ELNS1_3repE0EEENS1_30default_config_static_selectorELNS0_4arch9wavefront6targetE1EEEvT1_ ; -- Begin function _ZN7rocprim17ROCPRIM_400000_NS6detail17trampoline_kernelINS0_14default_configENS1_25partition_config_selectorILNS1_17partition_subalgoE8ElNS0_10empty_typeEbEEZZNS1_14partition_implILS5_8ELb0ES3_jPlPS6_PKS6_NS0_5tupleIJS9_S6_EEENSD_IJSA_SA_EEENS0_18inequality_wrapperIZN2at6native12_GLOBAL__N_124unique_dim_cuda_templateIhEESt5tupleIJNSH_6TensorESM_SM_EERKSM_lbbbEUlllE0_EEPmJS6_EEE10hipError_tPvRmT3_T4_T5_T6_T7_T9_mT8_P12ihipStream_tbDpT10_ENKUlT_T0_E_clISt17integral_constantIbLb0EES1B_IbLb1EEEEDaS17_S18_EUlS17_E_NS1_11comp_targetILNS1_3genE2ELNS1_11target_archE906ELNS1_3gpuE6ELNS1_3repE0EEENS1_30default_config_static_selectorELNS0_4arch9wavefront6targetE1EEEvT1_
	.p2align	8
	.type	_ZN7rocprim17ROCPRIM_400000_NS6detail17trampoline_kernelINS0_14default_configENS1_25partition_config_selectorILNS1_17partition_subalgoE8ElNS0_10empty_typeEbEEZZNS1_14partition_implILS5_8ELb0ES3_jPlPS6_PKS6_NS0_5tupleIJS9_S6_EEENSD_IJSA_SA_EEENS0_18inequality_wrapperIZN2at6native12_GLOBAL__N_124unique_dim_cuda_templateIhEESt5tupleIJNSH_6TensorESM_SM_EERKSM_lbbbEUlllE0_EEPmJS6_EEE10hipError_tPvRmT3_T4_T5_T6_T7_T9_mT8_P12ihipStream_tbDpT10_ENKUlT_T0_E_clISt17integral_constantIbLb0EES1B_IbLb1EEEEDaS17_S18_EUlS17_E_NS1_11comp_targetILNS1_3genE2ELNS1_11target_archE906ELNS1_3gpuE6ELNS1_3repE0EEENS1_30default_config_static_selectorELNS0_4arch9wavefront6targetE1EEEvT1_,@function
_ZN7rocprim17ROCPRIM_400000_NS6detail17trampoline_kernelINS0_14default_configENS1_25partition_config_selectorILNS1_17partition_subalgoE8ElNS0_10empty_typeEbEEZZNS1_14partition_implILS5_8ELb0ES3_jPlPS6_PKS6_NS0_5tupleIJS9_S6_EEENSD_IJSA_SA_EEENS0_18inequality_wrapperIZN2at6native12_GLOBAL__N_124unique_dim_cuda_templateIhEESt5tupleIJNSH_6TensorESM_SM_EERKSM_lbbbEUlllE0_EEPmJS6_EEE10hipError_tPvRmT3_T4_T5_T6_T7_T9_mT8_P12ihipStream_tbDpT10_ENKUlT_T0_E_clISt17integral_constantIbLb0EES1B_IbLb1EEEEDaS17_S18_EUlS17_E_NS1_11comp_targetILNS1_3genE2ELNS1_11target_archE906ELNS1_3gpuE6ELNS1_3repE0EEENS1_30default_config_static_selectorELNS0_4arch9wavefront6targetE1EEEvT1_: ; @_ZN7rocprim17ROCPRIM_400000_NS6detail17trampoline_kernelINS0_14default_configENS1_25partition_config_selectorILNS1_17partition_subalgoE8ElNS0_10empty_typeEbEEZZNS1_14partition_implILS5_8ELb0ES3_jPlPS6_PKS6_NS0_5tupleIJS9_S6_EEENSD_IJSA_SA_EEENS0_18inequality_wrapperIZN2at6native12_GLOBAL__N_124unique_dim_cuda_templateIhEESt5tupleIJNSH_6TensorESM_SM_EERKSM_lbbbEUlllE0_EEPmJS6_EEE10hipError_tPvRmT3_T4_T5_T6_T7_T9_mT8_P12ihipStream_tbDpT10_ENKUlT_T0_E_clISt17integral_constantIbLb0EES1B_IbLb1EEEEDaS17_S18_EUlS17_E_NS1_11comp_targetILNS1_3genE2ELNS1_11target_archE906ELNS1_3gpuE6ELNS1_3repE0EEENS1_30default_config_static_selectorELNS0_4arch9wavefront6targetE1EEEvT1_
; %bb.0:
	.section	.rodata,"a",@progbits
	.p2align	6, 0x0
	.amdhsa_kernel _ZN7rocprim17ROCPRIM_400000_NS6detail17trampoline_kernelINS0_14default_configENS1_25partition_config_selectorILNS1_17partition_subalgoE8ElNS0_10empty_typeEbEEZZNS1_14partition_implILS5_8ELb0ES3_jPlPS6_PKS6_NS0_5tupleIJS9_S6_EEENSD_IJSA_SA_EEENS0_18inequality_wrapperIZN2at6native12_GLOBAL__N_124unique_dim_cuda_templateIhEESt5tupleIJNSH_6TensorESM_SM_EERKSM_lbbbEUlllE0_EEPmJS6_EEE10hipError_tPvRmT3_T4_T5_T6_T7_T9_mT8_P12ihipStream_tbDpT10_ENKUlT_T0_E_clISt17integral_constantIbLb0EES1B_IbLb1EEEEDaS17_S18_EUlS17_E_NS1_11comp_targetILNS1_3genE2ELNS1_11target_archE906ELNS1_3gpuE6ELNS1_3repE0EEENS1_30default_config_static_selectorELNS0_4arch9wavefront6targetE1EEEvT1_
		.amdhsa_group_segment_fixed_size 0
		.amdhsa_private_segment_fixed_size 0
		.amdhsa_kernarg_size 136
		.amdhsa_user_sgpr_count 2
		.amdhsa_user_sgpr_dispatch_ptr 0
		.amdhsa_user_sgpr_queue_ptr 0
		.amdhsa_user_sgpr_kernarg_segment_ptr 1
		.amdhsa_user_sgpr_dispatch_id 0
		.amdhsa_user_sgpr_kernarg_preload_length 0
		.amdhsa_user_sgpr_kernarg_preload_offset 0
		.amdhsa_user_sgpr_private_segment_size 0
		.amdhsa_uses_dynamic_stack 0
		.amdhsa_enable_private_segment 0
		.amdhsa_system_sgpr_workgroup_id_x 1
		.amdhsa_system_sgpr_workgroup_id_y 0
		.amdhsa_system_sgpr_workgroup_id_z 0
		.amdhsa_system_sgpr_workgroup_info 0
		.amdhsa_system_vgpr_workitem_id 0
		.amdhsa_next_free_vgpr 1
		.amdhsa_next_free_sgpr 0
		.amdhsa_accum_offset 4
		.amdhsa_reserve_vcc 0
		.amdhsa_float_round_mode_32 0
		.amdhsa_float_round_mode_16_64 0
		.amdhsa_float_denorm_mode_32 3
		.amdhsa_float_denorm_mode_16_64 3
		.amdhsa_dx10_clamp 1
		.amdhsa_ieee_mode 1
		.amdhsa_fp16_overflow 0
		.amdhsa_tg_split 0
		.amdhsa_exception_fp_ieee_invalid_op 0
		.amdhsa_exception_fp_denorm_src 0
		.amdhsa_exception_fp_ieee_div_zero 0
		.amdhsa_exception_fp_ieee_overflow 0
		.amdhsa_exception_fp_ieee_underflow 0
		.amdhsa_exception_fp_ieee_inexact 0
		.amdhsa_exception_int_div_zero 0
	.end_amdhsa_kernel
	.section	.text._ZN7rocprim17ROCPRIM_400000_NS6detail17trampoline_kernelINS0_14default_configENS1_25partition_config_selectorILNS1_17partition_subalgoE8ElNS0_10empty_typeEbEEZZNS1_14partition_implILS5_8ELb0ES3_jPlPS6_PKS6_NS0_5tupleIJS9_S6_EEENSD_IJSA_SA_EEENS0_18inequality_wrapperIZN2at6native12_GLOBAL__N_124unique_dim_cuda_templateIhEESt5tupleIJNSH_6TensorESM_SM_EERKSM_lbbbEUlllE0_EEPmJS6_EEE10hipError_tPvRmT3_T4_T5_T6_T7_T9_mT8_P12ihipStream_tbDpT10_ENKUlT_T0_E_clISt17integral_constantIbLb0EES1B_IbLb1EEEEDaS17_S18_EUlS17_E_NS1_11comp_targetILNS1_3genE2ELNS1_11target_archE906ELNS1_3gpuE6ELNS1_3repE0EEENS1_30default_config_static_selectorELNS0_4arch9wavefront6targetE1EEEvT1_,"axG",@progbits,_ZN7rocprim17ROCPRIM_400000_NS6detail17trampoline_kernelINS0_14default_configENS1_25partition_config_selectorILNS1_17partition_subalgoE8ElNS0_10empty_typeEbEEZZNS1_14partition_implILS5_8ELb0ES3_jPlPS6_PKS6_NS0_5tupleIJS9_S6_EEENSD_IJSA_SA_EEENS0_18inequality_wrapperIZN2at6native12_GLOBAL__N_124unique_dim_cuda_templateIhEESt5tupleIJNSH_6TensorESM_SM_EERKSM_lbbbEUlllE0_EEPmJS6_EEE10hipError_tPvRmT3_T4_T5_T6_T7_T9_mT8_P12ihipStream_tbDpT10_ENKUlT_T0_E_clISt17integral_constantIbLb0EES1B_IbLb1EEEEDaS17_S18_EUlS17_E_NS1_11comp_targetILNS1_3genE2ELNS1_11target_archE906ELNS1_3gpuE6ELNS1_3repE0EEENS1_30default_config_static_selectorELNS0_4arch9wavefront6targetE1EEEvT1_,comdat
.Lfunc_end201:
	.size	_ZN7rocprim17ROCPRIM_400000_NS6detail17trampoline_kernelINS0_14default_configENS1_25partition_config_selectorILNS1_17partition_subalgoE8ElNS0_10empty_typeEbEEZZNS1_14partition_implILS5_8ELb0ES3_jPlPS6_PKS6_NS0_5tupleIJS9_S6_EEENSD_IJSA_SA_EEENS0_18inequality_wrapperIZN2at6native12_GLOBAL__N_124unique_dim_cuda_templateIhEESt5tupleIJNSH_6TensorESM_SM_EERKSM_lbbbEUlllE0_EEPmJS6_EEE10hipError_tPvRmT3_T4_T5_T6_T7_T9_mT8_P12ihipStream_tbDpT10_ENKUlT_T0_E_clISt17integral_constantIbLb0EES1B_IbLb1EEEEDaS17_S18_EUlS17_E_NS1_11comp_targetILNS1_3genE2ELNS1_11target_archE906ELNS1_3gpuE6ELNS1_3repE0EEENS1_30default_config_static_selectorELNS0_4arch9wavefront6targetE1EEEvT1_, .Lfunc_end201-_ZN7rocprim17ROCPRIM_400000_NS6detail17trampoline_kernelINS0_14default_configENS1_25partition_config_selectorILNS1_17partition_subalgoE8ElNS0_10empty_typeEbEEZZNS1_14partition_implILS5_8ELb0ES3_jPlPS6_PKS6_NS0_5tupleIJS9_S6_EEENSD_IJSA_SA_EEENS0_18inequality_wrapperIZN2at6native12_GLOBAL__N_124unique_dim_cuda_templateIhEESt5tupleIJNSH_6TensorESM_SM_EERKSM_lbbbEUlllE0_EEPmJS6_EEE10hipError_tPvRmT3_T4_T5_T6_T7_T9_mT8_P12ihipStream_tbDpT10_ENKUlT_T0_E_clISt17integral_constantIbLb0EES1B_IbLb1EEEEDaS17_S18_EUlS17_E_NS1_11comp_targetILNS1_3genE2ELNS1_11target_archE906ELNS1_3gpuE6ELNS1_3repE0EEENS1_30default_config_static_selectorELNS0_4arch9wavefront6targetE1EEEvT1_
                                        ; -- End function
	.section	.AMDGPU.csdata,"",@progbits
; Kernel info:
; codeLenInByte = 0
; NumSgprs: 6
; NumVgprs: 0
; NumAgprs: 0
; TotalNumVgprs: 0
; ScratchSize: 0
; MemoryBound: 0
; FloatMode: 240
; IeeeMode: 1
; LDSByteSize: 0 bytes/workgroup (compile time only)
; SGPRBlocks: 0
; VGPRBlocks: 0
; NumSGPRsForWavesPerEU: 6
; NumVGPRsForWavesPerEU: 1
; AccumOffset: 4
; Occupancy: 8
; WaveLimiterHint : 0
; COMPUTE_PGM_RSRC2:SCRATCH_EN: 0
; COMPUTE_PGM_RSRC2:USER_SGPR: 2
; COMPUTE_PGM_RSRC2:TRAP_HANDLER: 0
; COMPUTE_PGM_RSRC2:TGID_X_EN: 1
; COMPUTE_PGM_RSRC2:TGID_Y_EN: 0
; COMPUTE_PGM_RSRC2:TGID_Z_EN: 0
; COMPUTE_PGM_RSRC2:TIDIG_COMP_CNT: 0
; COMPUTE_PGM_RSRC3_GFX90A:ACCUM_OFFSET: 0
; COMPUTE_PGM_RSRC3_GFX90A:TG_SPLIT: 0
	.section	.text._ZN7rocprim17ROCPRIM_400000_NS6detail17trampoline_kernelINS0_14default_configENS1_25partition_config_selectorILNS1_17partition_subalgoE8ElNS0_10empty_typeEbEEZZNS1_14partition_implILS5_8ELb0ES3_jPlPS6_PKS6_NS0_5tupleIJS9_S6_EEENSD_IJSA_SA_EEENS0_18inequality_wrapperIZN2at6native12_GLOBAL__N_124unique_dim_cuda_templateIhEESt5tupleIJNSH_6TensorESM_SM_EERKSM_lbbbEUlllE0_EEPmJS6_EEE10hipError_tPvRmT3_T4_T5_T6_T7_T9_mT8_P12ihipStream_tbDpT10_ENKUlT_T0_E_clISt17integral_constantIbLb0EES1B_IbLb1EEEEDaS17_S18_EUlS17_E_NS1_11comp_targetILNS1_3genE10ELNS1_11target_archE1200ELNS1_3gpuE4ELNS1_3repE0EEENS1_30default_config_static_selectorELNS0_4arch9wavefront6targetE1EEEvT1_,"axG",@progbits,_ZN7rocprim17ROCPRIM_400000_NS6detail17trampoline_kernelINS0_14default_configENS1_25partition_config_selectorILNS1_17partition_subalgoE8ElNS0_10empty_typeEbEEZZNS1_14partition_implILS5_8ELb0ES3_jPlPS6_PKS6_NS0_5tupleIJS9_S6_EEENSD_IJSA_SA_EEENS0_18inequality_wrapperIZN2at6native12_GLOBAL__N_124unique_dim_cuda_templateIhEESt5tupleIJNSH_6TensorESM_SM_EERKSM_lbbbEUlllE0_EEPmJS6_EEE10hipError_tPvRmT3_T4_T5_T6_T7_T9_mT8_P12ihipStream_tbDpT10_ENKUlT_T0_E_clISt17integral_constantIbLb0EES1B_IbLb1EEEEDaS17_S18_EUlS17_E_NS1_11comp_targetILNS1_3genE10ELNS1_11target_archE1200ELNS1_3gpuE4ELNS1_3repE0EEENS1_30default_config_static_selectorELNS0_4arch9wavefront6targetE1EEEvT1_,comdat
	.globl	_ZN7rocprim17ROCPRIM_400000_NS6detail17trampoline_kernelINS0_14default_configENS1_25partition_config_selectorILNS1_17partition_subalgoE8ElNS0_10empty_typeEbEEZZNS1_14partition_implILS5_8ELb0ES3_jPlPS6_PKS6_NS0_5tupleIJS9_S6_EEENSD_IJSA_SA_EEENS0_18inequality_wrapperIZN2at6native12_GLOBAL__N_124unique_dim_cuda_templateIhEESt5tupleIJNSH_6TensorESM_SM_EERKSM_lbbbEUlllE0_EEPmJS6_EEE10hipError_tPvRmT3_T4_T5_T6_T7_T9_mT8_P12ihipStream_tbDpT10_ENKUlT_T0_E_clISt17integral_constantIbLb0EES1B_IbLb1EEEEDaS17_S18_EUlS17_E_NS1_11comp_targetILNS1_3genE10ELNS1_11target_archE1200ELNS1_3gpuE4ELNS1_3repE0EEENS1_30default_config_static_selectorELNS0_4arch9wavefront6targetE1EEEvT1_ ; -- Begin function _ZN7rocprim17ROCPRIM_400000_NS6detail17trampoline_kernelINS0_14default_configENS1_25partition_config_selectorILNS1_17partition_subalgoE8ElNS0_10empty_typeEbEEZZNS1_14partition_implILS5_8ELb0ES3_jPlPS6_PKS6_NS0_5tupleIJS9_S6_EEENSD_IJSA_SA_EEENS0_18inequality_wrapperIZN2at6native12_GLOBAL__N_124unique_dim_cuda_templateIhEESt5tupleIJNSH_6TensorESM_SM_EERKSM_lbbbEUlllE0_EEPmJS6_EEE10hipError_tPvRmT3_T4_T5_T6_T7_T9_mT8_P12ihipStream_tbDpT10_ENKUlT_T0_E_clISt17integral_constantIbLb0EES1B_IbLb1EEEEDaS17_S18_EUlS17_E_NS1_11comp_targetILNS1_3genE10ELNS1_11target_archE1200ELNS1_3gpuE4ELNS1_3repE0EEENS1_30default_config_static_selectorELNS0_4arch9wavefront6targetE1EEEvT1_
	.p2align	8
	.type	_ZN7rocprim17ROCPRIM_400000_NS6detail17trampoline_kernelINS0_14default_configENS1_25partition_config_selectorILNS1_17partition_subalgoE8ElNS0_10empty_typeEbEEZZNS1_14partition_implILS5_8ELb0ES3_jPlPS6_PKS6_NS0_5tupleIJS9_S6_EEENSD_IJSA_SA_EEENS0_18inequality_wrapperIZN2at6native12_GLOBAL__N_124unique_dim_cuda_templateIhEESt5tupleIJNSH_6TensorESM_SM_EERKSM_lbbbEUlllE0_EEPmJS6_EEE10hipError_tPvRmT3_T4_T5_T6_T7_T9_mT8_P12ihipStream_tbDpT10_ENKUlT_T0_E_clISt17integral_constantIbLb0EES1B_IbLb1EEEEDaS17_S18_EUlS17_E_NS1_11comp_targetILNS1_3genE10ELNS1_11target_archE1200ELNS1_3gpuE4ELNS1_3repE0EEENS1_30default_config_static_selectorELNS0_4arch9wavefront6targetE1EEEvT1_,@function
_ZN7rocprim17ROCPRIM_400000_NS6detail17trampoline_kernelINS0_14default_configENS1_25partition_config_selectorILNS1_17partition_subalgoE8ElNS0_10empty_typeEbEEZZNS1_14partition_implILS5_8ELb0ES3_jPlPS6_PKS6_NS0_5tupleIJS9_S6_EEENSD_IJSA_SA_EEENS0_18inequality_wrapperIZN2at6native12_GLOBAL__N_124unique_dim_cuda_templateIhEESt5tupleIJNSH_6TensorESM_SM_EERKSM_lbbbEUlllE0_EEPmJS6_EEE10hipError_tPvRmT3_T4_T5_T6_T7_T9_mT8_P12ihipStream_tbDpT10_ENKUlT_T0_E_clISt17integral_constantIbLb0EES1B_IbLb1EEEEDaS17_S18_EUlS17_E_NS1_11comp_targetILNS1_3genE10ELNS1_11target_archE1200ELNS1_3gpuE4ELNS1_3repE0EEENS1_30default_config_static_selectorELNS0_4arch9wavefront6targetE1EEEvT1_: ; @_ZN7rocprim17ROCPRIM_400000_NS6detail17trampoline_kernelINS0_14default_configENS1_25partition_config_selectorILNS1_17partition_subalgoE8ElNS0_10empty_typeEbEEZZNS1_14partition_implILS5_8ELb0ES3_jPlPS6_PKS6_NS0_5tupleIJS9_S6_EEENSD_IJSA_SA_EEENS0_18inequality_wrapperIZN2at6native12_GLOBAL__N_124unique_dim_cuda_templateIhEESt5tupleIJNSH_6TensorESM_SM_EERKSM_lbbbEUlllE0_EEPmJS6_EEE10hipError_tPvRmT3_T4_T5_T6_T7_T9_mT8_P12ihipStream_tbDpT10_ENKUlT_T0_E_clISt17integral_constantIbLb0EES1B_IbLb1EEEEDaS17_S18_EUlS17_E_NS1_11comp_targetILNS1_3genE10ELNS1_11target_archE1200ELNS1_3gpuE4ELNS1_3repE0EEENS1_30default_config_static_selectorELNS0_4arch9wavefront6targetE1EEEvT1_
; %bb.0:
	.section	.rodata,"a",@progbits
	.p2align	6, 0x0
	.amdhsa_kernel _ZN7rocprim17ROCPRIM_400000_NS6detail17trampoline_kernelINS0_14default_configENS1_25partition_config_selectorILNS1_17partition_subalgoE8ElNS0_10empty_typeEbEEZZNS1_14partition_implILS5_8ELb0ES3_jPlPS6_PKS6_NS0_5tupleIJS9_S6_EEENSD_IJSA_SA_EEENS0_18inequality_wrapperIZN2at6native12_GLOBAL__N_124unique_dim_cuda_templateIhEESt5tupleIJNSH_6TensorESM_SM_EERKSM_lbbbEUlllE0_EEPmJS6_EEE10hipError_tPvRmT3_T4_T5_T6_T7_T9_mT8_P12ihipStream_tbDpT10_ENKUlT_T0_E_clISt17integral_constantIbLb0EES1B_IbLb1EEEEDaS17_S18_EUlS17_E_NS1_11comp_targetILNS1_3genE10ELNS1_11target_archE1200ELNS1_3gpuE4ELNS1_3repE0EEENS1_30default_config_static_selectorELNS0_4arch9wavefront6targetE1EEEvT1_
		.amdhsa_group_segment_fixed_size 0
		.amdhsa_private_segment_fixed_size 0
		.amdhsa_kernarg_size 136
		.amdhsa_user_sgpr_count 2
		.amdhsa_user_sgpr_dispatch_ptr 0
		.amdhsa_user_sgpr_queue_ptr 0
		.amdhsa_user_sgpr_kernarg_segment_ptr 1
		.amdhsa_user_sgpr_dispatch_id 0
		.amdhsa_user_sgpr_kernarg_preload_length 0
		.amdhsa_user_sgpr_kernarg_preload_offset 0
		.amdhsa_user_sgpr_private_segment_size 0
		.amdhsa_uses_dynamic_stack 0
		.amdhsa_enable_private_segment 0
		.amdhsa_system_sgpr_workgroup_id_x 1
		.amdhsa_system_sgpr_workgroup_id_y 0
		.amdhsa_system_sgpr_workgroup_id_z 0
		.amdhsa_system_sgpr_workgroup_info 0
		.amdhsa_system_vgpr_workitem_id 0
		.amdhsa_next_free_vgpr 1
		.amdhsa_next_free_sgpr 0
		.amdhsa_accum_offset 4
		.amdhsa_reserve_vcc 0
		.amdhsa_float_round_mode_32 0
		.amdhsa_float_round_mode_16_64 0
		.amdhsa_float_denorm_mode_32 3
		.amdhsa_float_denorm_mode_16_64 3
		.amdhsa_dx10_clamp 1
		.amdhsa_ieee_mode 1
		.amdhsa_fp16_overflow 0
		.amdhsa_tg_split 0
		.amdhsa_exception_fp_ieee_invalid_op 0
		.amdhsa_exception_fp_denorm_src 0
		.amdhsa_exception_fp_ieee_div_zero 0
		.amdhsa_exception_fp_ieee_overflow 0
		.amdhsa_exception_fp_ieee_underflow 0
		.amdhsa_exception_fp_ieee_inexact 0
		.amdhsa_exception_int_div_zero 0
	.end_amdhsa_kernel
	.section	.text._ZN7rocprim17ROCPRIM_400000_NS6detail17trampoline_kernelINS0_14default_configENS1_25partition_config_selectorILNS1_17partition_subalgoE8ElNS0_10empty_typeEbEEZZNS1_14partition_implILS5_8ELb0ES3_jPlPS6_PKS6_NS0_5tupleIJS9_S6_EEENSD_IJSA_SA_EEENS0_18inequality_wrapperIZN2at6native12_GLOBAL__N_124unique_dim_cuda_templateIhEESt5tupleIJNSH_6TensorESM_SM_EERKSM_lbbbEUlllE0_EEPmJS6_EEE10hipError_tPvRmT3_T4_T5_T6_T7_T9_mT8_P12ihipStream_tbDpT10_ENKUlT_T0_E_clISt17integral_constantIbLb0EES1B_IbLb1EEEEDaS17_S18_EUlS17_E_NS1_11comp_targetILNS1_3genE10ELNS1_11target_archE1200ELNS1_3gpuE4ELNS1_3repE0EEENS1_30default_config_static_selectorELNS0_4arch9wavefront6targetE1EEEvT1_,"axG",@progbits,_ZN7rocprim17ROCPRIM_400000_NS6detail17trampoline_kernelINS0_14default_configENS1_25partition_config_selectorILNS1_17partition_subalgoE8ElNS0_10empty_typeEbEEZZNS1_14partition_implILS5_8ELb0ES3_jPlPS6_PKS6_NS0_5tupleIJS9_S6_EEENSD_IJSA_SA_EEENS0_18inequality_wrapperIZN2at6native12_GLOBAL__N_124unique_dim_cuda_templateIhEESt5tupleIJNSH_6TensorESM_SM_EERKSM_lbbbEUlllE0_EEPmJS6_EEE10hipError_tPvRmT3_T4_T5_T6_T7_T9_mT8_P12ihipStream_tbDpT10_ENKUlT_T0_E_clISt17integral_constantIbLb0EES1B_IbLb1EEEEDaS17_S18_EUlS17_E_NS1_11comp_targetILNS1_3genE10ELNS1_11target_archE1200ELNS1_3gpuE4ELNS1_3repE0EEENS1_30default_config_static_selectorELNS0_4arch9wavefront6targetE1EEEvT1_,comdat
.Lfunc_end202:
	.size	_ZN7rocprim17ROCPRIM_400000_NS6detail17trampoline_kernelINS0_14default_configENS1_25partition_config_selectorILNS1_17partition_subalgoE8ElNS0_10empty_typeEbEEZZNS1_14partition_implILS5_8ELb0ES3_jPlPS6_PKS6_NS0_5tupleIJS9_S6_EEENSD_IJSA_SA_EEENS0_18inequality_wrapperIZN2at6native12_GLOBAL__N_124unique_dim_cuda_templateIhEESt5tupleIJNSH_6TensorESM_SM_EERKSM_lbbbEUlllE0_EEPmJS6_EEE10hipError_tPvRmT3_T4_T5_T6_T7_T9_mT8_P12ihipStream_tbDpT10_ENKUlT_T0_E_clISt17integral_constantIbLb0EES1B_IbLb1EEEEDaS17_S18_EUlS17_E_NS1_11comp_targetILNS1_3genE10ELNS1_11target_archE1200ELNS1_3gpuE4ELNS1_3repE0EEENS1_30default_config_static_selectorELNS0_4arch9wavefront6targetE1EEEvT1_, .Lfunc_end202-_ZN7rocprim17ROCPRIM_400000_NS6detail17trampoline_kernelINS0_14default_configENS1_25partition_config_selectorILNS1_17partition_subalgoE8ElNS0_10empty_typeEbEEZZNS1_14partition_implILS5_8ELb0ES3_jPlPS6_PKS6_NS0_5tupleIJS9_S6_EEENSD_IJSA_SA_EEENS0_18inequality_wrapperIZN2at6native12_GLOBAL__N_124unique_dim_cuda_templateIhEESt5tupleIJNSH_6TensorESM_SM_EERKSM_lbbbEUlllE0_EEPmJS6_EEE10hipError_tPvRmT3_T4_T5_T6_T7_T9_mT8_P12ihipStream_tbDpT10_ENKUlT_T0_E_clISt17integral_constantIbLb0EES1B_IbLb1EEEEDaS17_S18_EUlS17_E_NS1_11comp_targetILNS1_3genE10ELNS1_11target_archE1200ELNS1_3gpuE4ELNS1_3repE0EEENS1_30default_config_static_selectorELNS0_4arch9wavefront6targetE1EEEvT1_
                                        ; -- End function
	.section	.AMDGPU.csdata,"",@progbits
; Kernel info:
; codeLenInByte = 0
; NumSgprs: 6
; NumVgprs: 0
; NumAgprs: 0
; TotalNumVgprs: 0
; ScratchSize: 0
; MemoryBound: 0
; FloatMode: 240
; IeeeMode: 1
; LDSByteSize: 0 bytes/workgroup (compile time only)
; SGPRBlocks: 0
; VGPRBlocks: 0
; NumSGPRsForWavesPerEU: 6
; NumVGPRsForWavesPerEU: 1
; AccumOffset: 4
; Occupancy: 8
; WaveLimiterHint : 0
; COMPUTE_PGM_RSRC2:SCRATCH_EN: 0
; COMPUTE_PGM_RSRC2:USER_SGPR: 2
; COMPUTE_PGM_RSRC2:TRAP_HANDLER: 0
; COMPUTE_PGM_RSRC2:TGID_X_EN: 1
; COMPUTE_PGM_RSRC2:TGID_Y_EN: 0
; COMPUTE_PGM_RSRC2:TGID_Z_EN: 0
; COMPUTE_PGM_RSRC2:TIDIG_COMP_CNT: 0
; COMPUTE_PGM_RSRC3_GFX90A:ACCUM_OFFSET: 0
; COMPUTE_PGM_RSRC3_GFX90A:TG_SPLIT: 0
	.section	.text._ZN7rocprim17ROCPRIM_400000_NS6detail17trampoline_kernelINS0_14default_configENS1_25partition_config_selectorILNS1_17partition_subalgoE8ElNS0_10empty_typeEbEEZZNS1_14partition_implILS5_8ELb0ES3_jPlPS6_PKS6_NS0_5tupleIJS9_S6_EEENSD_IJSA_SA_EEENS0_18inequality_wrapperIZN2at6native12_GLOBAL__N_124unique_dim_cuda_templateIhEESt5tupleIJNSH_6TensorESM_SM_EERKSM_lbbbEUlllE0_EEPmJS6_EEE10hipError_tPvRmT3_T4_T5_T6_T7_T9_mT8_P12ihipStream_tbDpT10_ENKUlT_T0_E_clISt17integral_constantIbLb0EES1B_IbLb1EEEEDaS17_S18_EUlS17_E_NS1_11comp_targetILNS1_3genE9ELNS1_11target_archE1100ELNS1_3gpuE3ELNS1_3repE0EEENS1_30default_config_static_selectorELNS0_4arch9wavefront6targetE1EEEvT1_,"axG",@progbits,_ZN7rocprim17ROCPRIM_400000_NS6detail17trampoline_kernelINS0_14default_configENS1_25partition_config_selectorILNS1_17partition_subalgoE8ElNS0_10empty_typeEbEEZZNS1_14partition_implILS5_8ELb0ES3_jPlPS6_PKS6_NS0_5tupleIJS9_S6_EEENSD_IJSA_SA_EEENS0_18inequality_wrapperIZN2at6native12_GLOBAL__N_124unique_dim_cuda_templateIhEESt5tupleIJNSH_6TensorESM_SM_EERKSM_lbbbEUlllE0_EEPmJS6_EEE10hipError_tPvRmT3_T4_T5_T6_T7_T9_mT8_P12ihipStream_tbDpT10_ENKUlT_T0_E_clISt17integral_constantIbLb0EES1B_IbLb1EEEEDaS17_S18_EUlS17_E_NS1_11comp_targetILNS1_3genE9ELNS1_11target_archE1100ELNS1_3gpuE3ELNS1_3repE0EEENS1_30default_config_static_selectorELNS0_4arch9wavefront6targetE1EEEvT1_,comdat
	.globl	_ZN7rocprim17ROCPRIM_400000_NS6detail17trampoline_kernelINS0_14default_configENS1_25partition_config_selectorILNS1_17partition_subalgoE8ElNS0_10empty_typeEbEEZZNS1_14partition_implILS5_8ELb0ES3_jPlPS6_PKS6_NS0_5tupleIJS9_S6_EEENSD_IJSA_SA_EEENS0_18inequality_wrapperIZN2at6native12_GLOBAL__N_124unique_dim_cuda_templateIhEESt5tupleIJNSH_6TensorESM_SM_EERKSM_lbbbEUlllE0_EEPmJS6_EEE10hipError_tPvRmT3_T4_T5_T6_T7_T9_mT8_P12ihipStream_tbDpT10_ENKUlT_T0_E_clISt17integral_constantIbLb0EES1B_IbLb1EEEEDaS17_S18_EUlS17_E_NS1_11comp_targetILNS1_3genE9ELNS1_11target_archE1100ELNS1_3gpuE3ELNS1_3repE0EEENS1_30default_config_static_selectorELNS0_4arch9wavefront6targetE1EEEvT1_ ; -- Begin function _ZN7rocprim17ROCPRIM_400000_NS6detail17trampoline_kernelINS0_14default_configENS1_25partition_config_selectorILNS1_17partition_subalgoE8ElNS0_10empty_typeEbEEZZNS1_14partition_implILS5_8ELb0ES3_jPlPS6_PKS6_NS0_5tupleIJS9_S6_EEENSD_IJSA_SA_EEENS0_18inequality_wrapperIZN2at6native12_GLOBAL__N_124unique_dim_cuda_templateIhEESt5tupleIJNSH_6TensorESM_SM_EERKSM_lbbbEUlllE0_EEPmJS6_EEE10hipError_tPvRmT3_T4_T5_T6_T7_T9_mT8_P12ihipStream_tbDpT10_ENKUlT_T0_E_clISt17integral_constantIbLb0EES1B_IbLb1EEEEDaS17_S18_EUlS17_E_NS1_11comp_targetILNS1_3genE9ELNS1_11target_archE1100ELNS1_3gpuE3ELNS1_3repE0EEENS1_30default_config_static_selectorELNS0_4arch9wavefront6targetE1EEEvT1_
	.p2align	8
	.type	_ZN7rocprim17ROCPRIM_400000_NS6detail17trampoline_kernelINS0_14default_configENS1_25partition_config_selectorILNS1_17partition_subalgoE8ElNS0_10empty_typeEbEEZZNS1_14partition_implILS5_8ELb0ES3_jPlPS6_PKS6_NS0_5tupleIJS9_S6_EEENSD_IJSA_SA_EEENS0_18inequality_wrapperIZN2at6native12_GLOBAL__N_124unique_dim_cuda_templateIhEESt5tupleIJNSH_6TensorESM_SM_EERKSM_lbbbEUlllE0_EEPmJS6_EEE10hipError_tPvRmT3_T4_T5_T6_T7_T9_mT8_P12ihipStream_tbDpT10_ENKUlT_T0_E_clISt17integral_constantIbLb0EES1B_IbLb1EEEEDaS17_S18_EUlS17_E_NS1_11comp_targetILNS1_3genE9ELNS1_11target_archE1100ELNS1_3gpuE3ELNS1_3repE0EEENS1_30default_config_static_selectorELNS0_4arch9wavefront6targetE1EEEvT1_,@function
_ZN7rocprim17ROCPRIM_400000_NS6detail17trampoline_kernelINS0_14default_configENS1_25partition_config_selectorILNS1_17partition_subalgoE8ElNS0_10empty_typeEbEEZZNS1_14partition_implILS5_8ELb0ES3_jPlPS6_PKS6_NS0_5tupleIJS9_S6_EEENSD_IJSA_SA_EEENS0_18inequality_wrapperIZN2at6native12_GLOBAL__N_124unique_dim_cuda_templateIhEESt5tupleIJNSH_6TensorESM_SM_EERKSM_lbbbEUlllE0_EEPmJS6_EEE10hipError_tPvRmT3_T4_T5_T6_T7_T9_mT8_P12ihipStream_tbDpT10_ENKUlT_T0_E_clISt17integral_constantIbLb0EES1B_IbLb1EEEEDaS17_S18_EUlS17_E_NS1_11comp_targetILNS1_3genE9ELNS1_11target_archE1100ELNS1_3gpuE3ELNS1_3repE0EEENS1_30default_config_static_selectorELNS0_4arch9wavefront6targetE1EEEvT1_: ; @_ZN7rocprim17ROCPRIM_400000_NS6detail17trampoline_kernelINS0_14default_configENS1_25partition_config_selectorILNS1_17partition_subalgoE8ElNS0_10empty_typeEbEEZZNS1_14partition_implILS5_8ELb0ES3_jPlPS6_PKS6_NS0_5tupleIJS9_S6_EEENSD_IJSA_SA_EEENS0_18inequality_wrapperIZN2at6native12_GLOBAL__N_124unique_dim_cuda_templateIhEESt5tupleIJNSH_6TensorESM_SM_EERKSM_lbbbEUlllE0_EEPmJS6_EEE10hipError_tPvRmT3_T4_T5_T6_T7_T9_mT8_P12ihipStream_tbDpT10_ENKUlT_T0_E_clISt17integral_constantIbLb0EES1B_IbLb1EEEEDaS17_S18_EUlS17_E_NS1_11comp_targetILNS1_3genE9ELNS1_11target_archE1100ELNS1_3gpuE3ELNS1_3repE0EEENS1_30default_config_static_selectorELNS0_4arch9wavefront6targetE1EEEvT1_
; %bb.0:
	.section	.rodata,"a",@progbits
	.p2align	6, 0x0
	.amdhsa_kernel _ZN7rocprim17ROCPRIM_400000_NS6detail17trampoline_kernelINS0_14default_configENS1_25partition_config_selectorILNS1_17partition_subalgoE8ElNS0_10empty_typeEbEEZZNS1_14partition_implILS5_8ELb0ES3_jPlPS6_PKS6_NS0_5tupleIJS9_S6_EEENSD_IJSA_SA_EEENS0_18inequality_wrapperIZN2at6native12_GLOBAL__N_124unique_dim_cuda_templateIhEESt5tupleIJNSH_6TensorESM_SM_EERKSM_lbbbEUlllE0_EEPmJS6_EEE10hipError_tPvRmT3_T4_T5_T6_T7_T9_mT8_P12ihipStream_tbDpT10_ENKUlT_T0_E_clISt17integral_constantIbLb0EES1B_IbLb1EEEEDaS17_S18_EUlS17_E_NS1_11comp_targetILNS1_3genE9ELNS1_11target_archE1100ELNS1_3gpuE3ELNS1_3repE0EEENS1_30default_config_static_selectorELNS0_4arch9wavefront6targetE1EEEvT1_
		.amdhsa_group_segment_fixed_size 0
		.amdhsa_private_segment_fixed_size 0
		.amdhsa_kernarg_size 136
		.amdhsa_user_sgpr_count 2
		.amdhsa_user_sgpr_dispatch_ptr 0
		.amdhsa_user_sgpr_queue_ptr 0
		.amdhsa_user_sgpr_kernarg_segment_ptr 1
		.amdhsa_user_sgpr_dispatch_id 0
		.amdhsa_user_sgpr_kernarg_preload_length 0
		.amdhsa_user_sgpr_kernarg_preload_offset 0
		.amdhsa_user_sgpr_private_segment_size 0
		.amdhsa_uses_dynamic_stack 0
		.amdhsa_enable_private_segment 0
		.amdhsa_system_sgpr_workgroup_id_x 1
		.amdhsa_system_sgpr_workgroup_id_y 0
		.amdhsa_system_sgpr_workgroup_id_z 0
		.amdhsa_system_sgpr_workgroup_info 0
		.amdhsa_system_vgpr_workitem_id 0
		.amdhsa_next_free_vgpr 1
		.amdhsa_next_free_sgpr 0
		.amdhsa_accum_offset 4
		.amdhsa_reserve_vcc 0
		.amdhsa_float_round_mode_32 0
		.amdhsa_float_round_mode_16_64 0
		.amdhsa_float_denorm_mode_32 3
		.amdhsa_float_denorm_mode_16_64 3
		.amdhsa_dx10_clamp 1
		.amdhsa_ieee_mode 1
		.amdhsa_fp16_overflow 0
		.amdhsa_tg_split 0
		.amdhsa_exception_fp_ieee_invalid_op 0
		.amdhsa_exception_fp_denorm_src 0
		.amdhsa_exception_fp_ieee_div_zero 0
		.amdhsa_exception_fp_ieee_overflow 0
		.amdhsa_exception_fp_ieee_underflow 0
		.amdhsa_exception_fp_ieee_inexact 0
		.amdhsa_exception_int_div_zero 0
	.end_amdhsa_kernel
	.section	.text._ZN7rocprim17ROCPRIM_400000_NS6detail17trampoline_kernelINS0_14default_configENS1_25partition_config_selectorILNS1_17partition_subalgoE8ElNS0_10empty_typeEbEEZZNS1_14partition_implILS5_8ELb0ES3_jPlPS6_PKS6_NS0_5tupleIJS9_S6_EEENSD_IJSA_SA_EEENS0_18inequality_wrapperIZN2at6native12_GLOBAL__N_124unique_dim_cuda_templateIhEESt5tupleIJNSH_6TensorESM_SM_EERKSM_lbbbEUlllE0_EEPmJS6_EEE10hipError_tPvRmT3_T4_T5_T6_T7_T9_mT8_P12ihipStream_tbDpT10_ENKUlT_T0_E_clISt17integral_constantIbLb0EES1B_IbLb1EEEEDaS17_S18_EUlS17_E_NS1_11comp_targetILNS1_3genE9ELNS1_11target_archE1100ELNS1_3gpuE3ELNS1_3repE0EEENS1_30default_config_static_selectorELNS0_4arch9wavefront6targetE1EEEvT1_,"axG",@progbits,_ZN7rocprim17ROCPRIM_400000_NS6detail17trampoline_kernelINS0_14default_configENS1_25partition_config_selectorILNS1_17partition_subalgoE8ElNS0_10empty_typeEbEEZZNS1_14partition_implILS5_8ELb0ES3_jPlPS6_PKS6_NS0_5tupleIJS9_S6_EEENSD_IJSA_SA_EEENS0_18inequality_wrapperIZN2at6native12_GLOBAL__N_124unique_dim_cuda_templateIhEESt5tupleIJNSH_6TensorESM_SM_EERKSM_lbbbEUlllE0_EEPmJS6_EEE10hipError_tPvRmT3_T4_T5_T6_T7_T9_mT8_P12ihipStream_tbDpT10_ENKUlT_T0_E_clISt17integral_constantIbLb0EES1B_IbLb1EEEEDaS17_S18_EUlS17_E_NS1_11comp_targetILNS1_3genE9ELNS1_11target_archE1100ELNS1_3gpuE3ELNS1_3repE0EEENS1_30default_config_static_selectorELNS0_4arch9wavefront6targetE1EEEvT1_,comdat
.Lfunc_end203:
	.size	_ZN7rocprim17ROCPRIM_400000_NS6detail17trampoline_kernelINS0_14default_configENS1_25partition_config_selectorILNS1_17partition_subalgoE8ElNS0_10empty_typeEbEEZZNS1_14partition_implILS5_8ELb0ES3_jPlPS6_PKS6_NS0_5tupleIJS9_S6_EEENSD_IJSA_SA_EEENS0_18inequality_wrapperIZN2at6native12_GLOBAL__N_124unique_dim_cuda_templateIhEESt5tupleIJNSH_6TensorESM_SM_EERKSM_lbbbEUlllE0_EEPmJS6_EEE10hipError_tPvRmT3_T4_T5_T6_T7_T9_mT8_P12ihipStream_tbDpT10_ENKUlT_T0_E_clISt17integral_constantIbLb0EES1B_IbLb1EEEEDaS17_S18_EUlS17_E_NS1_11comp_targetILNS1_3genE9ELNS1_11target_archE1100ELNS1_3gpuE3ELNS1_3repE0EEENS1_30default_config_static_selectorELNS0_4arch9wavefront6targetE1EEEvT1_, .Lfunc_end203-_ZN7rocprim17ROCPRIM_400000_NS6detail17trampoline_kernelINS0_14default_configENS1_25partition_config_selectorILNS1_17partition_subalgoE8ElNS0_10empty_typeEbEEZZNS1_14partition_implILS5_8ELb0ES3_jPlPS6_PKS6_NS0_5tupleIJS9_S6_EEENSD_IJSA_SA_EEENS0_18inequality_wrapperIZN2at6native12_GLOBAL__N_124unique_dim_cuda_templateIhEESt5tupleIJNSH_6TensorESM_SM_EERKSM_lbbbEUlllE0_EEPmJS6_EEE10hipError_tPvRmT3_T4_T5_T6_T7_T9_mT8_P12ihipStream_tbDpT10_ENKUlT_T0_E_clISt17integral_constantIbLb0EES1B_IbLb1EEEEDaS17_S18_EUlS17_E_NS1_11comp_targetILNS1_3genE9ELNS1_11target_archE1100ELNS1_3gpuE3ELNS1_3repE0EEENS1_30default_config_static_selectorELNS0_4arch9wavefront6targetE1EEEvT1_
                                        ; -- End function
	.section	.AMDGPU.csdata,"",@progbits
; Kernel info:
; codeLenInByte = 0
; NumSgprs: 6
; NumVgprs: 0
; NumAgprs: 0
; TotalNumVgprs: 0
; ScratchSize: 0
; MemoryBound: 0
; FloatMode: 240
; IeeeMode: 1
; LDSByteSize: 0 bytes/workgroup (compile time only)
; SGPRBlocks: 0
; VGPRBlocks: 0
; NumSGPRsForWavesPerEU: 6
; NumVGPRsForWavesPerEU: 1
; AccumOffset: 4
; Occupancy: 8
; WaveLimiterHint : 0
; COMPUTE_PGM_RSRC2:SCRATCH_EN: 0
; COMPUTE_PGM_RSRC2:USER_SGPR: 2
; COMPUTE_PGM_RSRC2:TRAP_HANDLER: 0
; COMPUTE_PGM_RSRC2:TGID_X_EN: 1
; COMPUTE_PGM_RSRC2:TGID_Y_EN: 0
; COMPUTE_PGM_RSRC2:TGID_Z_EN: 0
; COMPUTE_PGM_RSRC2:TIDIG_COMP_CNT: 0
; COMPUTE_PGM_RSRC3_GFX90A:ACCUM_OFFSET: 0
; COMPUTE_PGM_RSRC3_GFX90A:TG_SPLIT: 0
	.section	.text._ZN7rocprim17ROCPRIM_400000_NS6detail17trampoline_kernelINS0_14default_configENS1_25partition_config_selectorILNS1_17partition_subalgoE8ElNS0_10empty_typeEbEEZZNS1_14partition_implILS5_8ELb0ES3_jPlPS6_PKS6_NS0_5tupleIJS9_S6_EEENSD_IJSA_SA_EEENS0_18inequality_wrapperIZN2at6native12_GLOBAL__N_124unique_dim_cuda_templateIhEESt5tupleIJNSH_6TensorESM_SM_EERKSM_lbbbEUlllE0_EEPmJS6_EEE10hipError_tPvRmT3_T4_T5_T6_T7_T9_mT8_P12ihipStream_tbDpT10_ENKUlT_T0_E_clISt17integral_constantIbLb0EES1B_IbLb1EEEEDaS17_S18_EUlS17_E_NS1_11comp_targetILNS1_3genE8ELNS1_11target_archE1030ELNS1_3gpuE2ELNS1_3repE0EEENS1_30default_config_static_selectorELNS0_4arch9wavefront6targetE1EEEvT1_,"axG",@progbits,_ZN7rocprim17ROCPRIM_400000_NS6detail17trampoline_kernelINS0_14default_configENS1_25partition_config_selectorILNS1_17partition_subalgoE8ElNS0_10empty_typeEbEEZZNS1_14partition_implILS5_8ELb0ES3_jPlPS6_PKS6_NS0_5tupleIJS9_S6_EEENSD_IJSA_SA_EEENS0_18inequality_wrapperIZN2at6native12_GLOBAL__N_124unique_dim_cuda_templateIhEESt5tupleIJNSH_6TensorESM_SM_EERKSM_lbbbEUlllE0_EEPmJS6_EEE10hipError_tPvRmT3_T4_T5_T6_T7_T9_mT8_P12ihipStream_tbDpT10_ENKUlT_T0_E_clISt17integral_constantIbLb0EES1B_IbLb1EEEEDaS17_S18_EUlS17_E_NS1_11comp_targetILNS1_3genE8ELNS1_11target_archE1030ELNS1_3gpuE2ELNS1_3repE0EEENS1_30default_config_static_selectorELNS0_4arch9wavefront6targetE1EEEvT1_,comdat
	.globl	_ZN7rocprim17ROCPRIM_400000_NS6detail17trampoline_kernelINS0_14default_configENS1_25partition_config_selectorILNS1_17partition_subalgoE8ElNS0_10empty_typeEbEEZZNS1_14partition_implILS5_8ELb0ES3_jPlPS6_PKS6_NS0_5tupleIJS9_S6_EEENSD_IJSA_SA_EEENS0_18inequality_wrapperIZN2at6native12_GLOBAL__N_124unique_dim_cuda_templateIhEESt5tupleIJNSH_6TensorESM_SM_EERKSM_lbbbEUlllE0_EEPmJS6_EEE10hipError_tPvRmT3_T4_T5_T6_T7_T9_mT8_P12ihipStream_tbDpT10_ENKUlT_T0_E_clISt17integral_constantIbLb0EES1B_IbLb1EEEEDaS17_S18_EUlS17_E_NS1_11comp_targetILNS1_3genE8ELNS1_11target_archE1030ELNS1_3gpuE2ELNS1_3repE0EEENS1_30default_config_static_selectorELNS0_4arch9wavefront6targetE1EEEvT1_ ; -- Begin function _ZN7rocprim17ROCPRIM_400000_NS6detail17trampoline_kernelINS0_14default_configENS1_25partition_config_selectorILNS1_17partition_subalgoE8ElNS0_10empty_typeEbEEZZNS1_14partition_implILS5_8ELb0ES3_jPlPS6_PKS6_NS0_5tupleIJS9_S6_EEENSD_IJSA_SA_EEENS0_18inequality_wrapperIZN2at6native12_GLOBAL__N_124unique_dim_cuda_templateIhEESt5tupleIJNSH_6TensorESM_SM_EERKSM_lbbbEUlllE0_EEPmJS6_EEE10hipError_tPvRmT3_T4_T5_T6_T7_T9_mT8_P12ihipStream_tbDpT10_ENKUlT_T0_E_clISt17integral_constantIbLb0EES1B_IbLb1EEEEDaS17_S18_EUlS17_E_NS1_11comp_targetILNS1_3genE8ELNS1_11target_archE1030ELNS1_3gpuE2ELNS1_3repE0EEENS1_30default_config_static_selectorELNS0_4arch9wavefront6targetE1EEEvT1_
	.p2align	8
	.type	_ZN7rocprim17ROCPRIM_400000_NS6detail17trampoline_kernelINS0_14default_configENS1_25partition_config_selectorILNS1_17partition_subalgoE8ElNS0_10empty_typeEbEEZZNS1_14partition_implILS5_8ELb0ES3_jPlPS6_PKS6_NS0_5tupleIJS9_S6_EEENSD_IJSA_SA_EEENS0_18inequality_wrapperIZN2at6native12_GLOBAL__N_124unique_dim_cuda_templateIhEESt5tupleIJNSH_6TensorESM_SM_EERKSM_lbbbEUlllE0_EEPmJS6_EEE10hipError_tPvRmT3_T4_T5_T6_T7_T9_mT8_P12ihipStream_tbDpT10_ENKUlT_T0_E_clISt17integral_constantIbLb0EES1B_IbLb1EEEEDaS17_S18_EUlS17_E_NS1_11comp_targetILNS1_3genE8ELNS1_11target_archE1030ELNS1_3gpuE2ELNS1_3repE0EEENS1_30default_config_static_selectorELNS0_4arch9wavefront6targetE1EEEvT1_,@function
_ZN7rocprim17ROCPRIM_400000_NS6detail17trampoline_kernelINS0_14default_configENS1_25partition_config_selectorILNS1_17partition_subalgoE8ElNS0_10empty_typeEbEEZZNS1_14partition_implILS5_8ELb0ES3_jPlPS6_PKS6_NS0_5tupleIJS9_S6_EEENSD_IJSA_SA_EEENS0_18inequality_wrapperIZN2at6native12_GLOBAL__N_124unique_dim_cuda_templateIhEESt5tupleIJNSH_6TensorESM_SM_EERKSM_lbbbEUlllE0_EEPmJS6_EEE10hipError_tPvRmT3_T4_T5_T6_T7_T9_mT8_P12ihipStream_tbDpT10_ENKUlT_T0_E_clISt17integral_constantIbLb0EES1B_IbLb1EEEEDaS17_S18_EUlS17_E_NS1_11comp_targetILNS1_3genE8ELNS1_11target_archE1030ELNS1_3gpuE2ELNS1_3repE0EEENS1_30default_config_static_selectorELNS0_4arch9wavefront6targetE1EEEvT1_: ; @_ZN7rocprim17ROCPRIM_400000_NS6detail17trampoline_kernelINS0_14default_configENS1_25partition_config_selectorILNS1_17partition_subalgoE8ElNS0_10empty_typeEbEEZZNS1_14partition_implILS5_8ELb0ES3_jPlPS6_PKS6_NS0_5tupleIJS9_S6_EEENSD_IJSA_SA_EEENS0_18inequality_wrapperIZN2at6native12_GLOBAL__N_124unique_dim_cuda_templateIhEESt5tupleIJNSH_6TensorESM_SM_EERKSM_lbbbEUlllE0_EEPmJS6_EEE10hipError_tPvRmT3_T4_T5_T6_T7_T9_mT8_P12ihipStream_tbDpT10_ENKUlT_T0_E_clISt17integral_constantIbLb0EES1B_IbLb1EEEEDaS17_S18_EUlS17_E_NS1_11comp_targetILNS1_3genE8ELNS1_11target_archE1030ELNS1_3gpuE2ELNS1_3repE0EEENS1_30default_config_static_selectorELNS0_4arch9wavefront6targetE1EEEvT1_
; %bb.0:
	.section	.rodata,"a",@progbits
	.p2align	6, 0x0
	.amdhsa_kernel _ZN7rocprim17ROCPRIM_400000_NS6detail17trampoline_kernelINS0_14default_configENS1_25partition_config_selectorILNS1_17partition_subalgoE8ElNS0_10empty_typeEbEEZZNS1_14partition_implILS5_8ELb0ES3_jPlPS6_PKS6_NS0_5tupleIJS9_S6_EEENSD_IJSA_SA_EEENS0_18inequality_wrapperIZN2at6native12_GLOBAL__N_124unique_dim_cuda_templateIhEESt5tupleIJNSH_6TensorESM_SM_EERKSM_lbbbEUlllE0_EEPmJS6_EEE10hipError_tPvRmT3_T4_T5_T6_T7_T9_mT8_P12ihipStream_tbDpT10_ENKUlT_T0_E_clISt17integral_constantIbLb0EES1B_IbLb1EEEEDaS17_S18_EUlS17_E_NS1_11comp_targetILNS1_3genE8ELNS1_11target_archE1030ELNS1_3gpuE2ELNS1_3repE0EEENS1_30default_config_static_selectorELNS0_4arch9wavefront6targetE1EEEvT1_
		.amdhsa_group_segment_fixed_size 0
		.amdhsa_private_segment_fixed_size 0
		.amdhsa_kernarg_size 136
		.amdhsa_user_sgpr_count 2
		.amdhsa_user_sgpr_dispatch_ptr 0
		.amdhsa_user_sgpr_queue_ptr 0
		.amdhsa_user_sgpr_kernarg_segment_ptr 1
		.amdhsa_user_sgpr_dispatch_id 0
		.amdhsa_user_sgpr_kernarg_preload_length 0
		.amdhsa_user_sgpr_kernarg_preload_offset 0
		.amdhsa_user_sgpr_private_segment_size 0
		.amdhsa_uses_dynamic_stack 0
		.amdhsa_enable_private_segment 0
		.amdhsa_system_sgpr_workgroup_id_x 1
		.amdhsa_system_sgpr_workgroup_id_y 0
		.amdhsa_system_sgpr_workgroup_id_z 0
		.amdhsa_system_sgpr_workgroup_info 0
		.amdhsa_system_vgpr_workitem_id 0
		.amdhsa_next_free_vgpr 1
		.amdhsa_next_free_sgpr 0
		.amdhsa_accum_offset 4
		.amdhsa_reserve_vcc 0
		.amdhsa_float_round_mode_32 0
		.amdhsa_float_round_mode_16_64 0
		.amdhsa_float_denorm_mode_32 3
		.amdhsa_float_denorm_mode_16_64 3
		.amdhsa_dx10_clamp 1
		.amdhsa_ieee_mode 1
		.amdhsa_fp16_overflow 0
		.amdhsa_tg_split 0
		.amdhsa_exception_fp_ieee_invalid_op 0
		.amdhsa_exception_fp_denorm_src 0
		.amdhsa_exception_fp_ieee_div_zero 0
		.amdhsa_exception_fp_ieee_overflow 0
		.amdhsa_exception_fp_ieee_underflow 0
		.amdhsa_exception_fp_ieee_inexact 0
		.amdhsa_exception_int_div_zero 0
	.end_amdhsa_kernel
	.section	.text._ZN7rocprim17ROCPRIM_400000_NS6detail17trampoline_kernelINS0_14default_configENS1_25partition_config_selectorILNS1_17partition_subalgoE8ElNS0_10empty_typeEbEEZZNS1_14partition_implILS5_8ELb0ES3_jPlPS6_PKS6_NS0_5tupleIJS9_S6_EEENSD_IJSA_SA_EEENS0_18inequality_wrapperIZN2at6native12_GLOBAL__N_124unique_dim_cuda_templateIhEESt5tupleIJNSH_6TensorESM_SM_EERKSM_lbbbEUlllE0_EEPmJS6_EEE10hipError_tPvRmT3_T4_T5_T6_T7_T9_mT8_P12ihipStream_tbDpT10_ENKUlT_T0_E_clISt17integral_constantIbLb0EES1B_IbLb1EEEEDaS17_S18_EUlS17_E_NS1_11comp_targetILNS1_3genE8ELNS1_11target_archE1030ELNS1_3gpuE2ELNS1_3repE0EEENS1_30default_config_static_selectorELNS0_4arch9wavefront6targetE1EEEvT1_,"axG",@progbits,_ZN7rocprim17ROCPRIM_400000_NS6detail17trampoline_kernelINS0_14default_configENS1_25partition_config_selectorILNS1_17partition_subalgoE8ElNS0_10empty_typeEbEEZZNS1_14partition_implILS5_8ELb0ES3_jPlPS6_PKS6_NS0_5tupleIJS9_S6_EEENSD_IJSA_SA_EEENS0_18inequality_wrapperIZN2at6native12_GLOBAL__N_124unique_dim_cuda_templateIhEESt5tupleIJNSH_6TensorESM_SM_EERKSM_lbbbEUlllE0_EEPmJS6_EEE10hipError_tPvRmT3_T4_T5_T6_T7_T9_mT8_P12ihipStream_tbDpT10_ENKUlT_T0_E_clISt17integral_constantIbLb0EES1B_IbLb1EEEEDaS17_S18_EUlS17_E_NS1_11comp_targetILNS1_3genE8ELNS1_11target_archE1030ELNS1_3gpuE2ELNS1_3repE0EEENS1_30default_config_static_selectorELNS0_4arch9wavefront6targetE1EEEvT1_,comdat
.Lfunc_end204:
	.size	_ZN7rocprim17ROCPRIM_400000_NS6detail17trampoline_kernelINS0_14default_configENS1_25partition_config_selectorILNS1_17partition_subalgoE8ElNS0_10empty_typeEbEEZZNS1_14partition_implILS5_8ELb0ES3_jPlPS6_PKS6_NS0_5tupleIJS9_S6_EEENSD_IJSA_SA_EEENS0_18inequality_wrapperIZN2at6native12_GLOBAL__N_124unique_dim_cuda_templateIhEESt5tupleIJNSH_6TensorESM_SM_EERKSM_lbbbEUlllE0_EEPmJS6_EEE10hipError_tPvRmT3_T4_T5_T6_T7_T9_mT8_P12ihipStream_tbDpT10_ENKUlT_T0_E_clISt17integral_constantIbLb0EES1B_IbLb1EEEEDaS17_S18_EUlS17_E_NS1_11comp_targetILNS1_3genE8ELNS1_11target_archE1030ELNS1_3gpuE2ELNS1_3repE0EEENS1_30default_config_static_selectorELNS0_4arch9wavefront6targetE1EEEvT1_, .Lfunc_end204-_ZN7rocprim17ROCPRIM_400000_NS6detail17trampoline_kernelINS0_14default_configENS1_25partition_config_selectorILNS1_17partition_subalgoE8ElNS0_10empty_typeEbEEZZNS1_14partition_implILS5_8ELb0ES3_jPlPS6_PKS6_NS0_5tupleIJS9_S6_EEENSD_IJSA_SA_EEENS0_18inequality_wrapperIZN2at6native12_GLOBAL__N_124unique_dim_cuda_templateIhEESt5tupleIJNSH_6TensorESM_SM_EERKSM_lbbbEUlllE0_EEPmJS6_EEE10hipError_tPvRmT3_T4_T5_T6_T7_T9_mT8_P12ihipStream_tbDpT10_ENKUlT_T0_E_clISt17integral_constantIbLb0EES1B_IbLb1EEEEDaS17_S18_EUlS17_E_NS1_11comp_targetILNS1_3genE8ELNS1_11target_archE1030ELNS1_3gpuE2ELNS1_3repE0EEENS1_30default_config_static_selectorELNS0_4arch9wavefront6targetE1EEEvT1_
                                        ; -- End function
	.section	.AMDGPU.csdata,"",@progbits
; Kernel info:
; codeLenInByte = 0
; NumSgprs: 6
; NumVgprs: 0
; NumAgprs: 0
; TotalNumVgprs: 0
; ScratchSize: 0
; MemoryBound: 0
; FloatMode: 240
; IeeeMode: 1
; LDSByteSize: 0 bytes/workgroup (compile time only)
; SGPRBlocks: 0
; VGPRBlocks: 0
; NumSGPRsForWavesPerEU: 6
; NumVGPRsForWavesPerEU: 1
; AccumOffset: 4
; Occupancy: 8
; WaveLimiterHint : 0
; COMPUTE_PGM_RSRC2:SCRATCH_EN: 0
; COMPUTE_PGM_RSRC2:USER_SGPR: 2
; COMPUTE_PGM_RSRC2:TRAP_HANDLER: 0
; COMPUTE_PGM_RSRC2:TGID_X_EN: 1
; COMPUTE_PGM_RSRC2:TGID_Y_EN: 0
; COMPUTE_PGM_RSRC2:TGID_Z_EN: 0
; COMPUTE_PGM_RSRC2:TIDIG_COMP_CNT: 0
; COMPUTE_PGM_RSRC3_GFX90A:ACCUM_OFFSET: 0
; COMPUTE_PGM_RSRC3_GFX90A:TG_SPLIT: 0
	.section	.text._ZN7rocprim17ROCPRIM_400000_NS6detail17trampoline_kernelINS0_14default_configENS1_25partition_config_selectorILNS1_17partition_subalgoE9EllbEEZZNS1_14partition_implILS5_9ELb0ES3_jPlS8_PNS0_10empty_typeENS0_5tupleIJS8_S9_EEENSB_IJS8_SA_EEENS0_18inequality_wrapperIZN2at6native12_GLOBAL__N_124unique_dim_cuda_templateIhEESt5tupleIJNSF_6TensorESK_SK_EERKSK_lbbbEUlllE0_EEPmJS9_EEE10hipError_tPvRmT3_T4_T5_T6_T7_T9_mT8_P12ihipStream_tbDpT10_ENKUlT_T0_E_clISt17integral_constantIbLb0EES1A_EEDaS15_S16_EUlS15_E_NS1_11comp_targetILNS1_3genE0ELNS1_11target_archE4294967295ELNS1_3gpuE0ELNS1_3repE0EEENS1_30default_config_static_selectorELNS0_4arch9wavefront6targetE1EEEvT1_,"axG",@progbits,_ZN7rocprim17ROCPRIM_400000_NS6detail17trampoline_kernelINS0_14default_configENS1_25partition_config_selectorILNS1_17partition_subalgoE9EllbEEZZNS1_14partition_implILS5_9ELb0ES3_jPlS8_PNS0_10empty_typeENS0_5tupleIJS8_S9_EEENSB_IJS8_SA_EEENS0_18inequality_wrapperIZN2at6native12_GLOBAL__N_124unique_dim_cuda_templateIhEESt5tupleIJNSF_6TensorESK_SK_EERKSK_lbbbEUlllE0_EEPmJS9_EEE10hipError_tPvRmT3_T4_T5_T6_T7_T9_mT8_P12ihipStream_tbDpT10_ENKUlT_T0_E_clISt17integral_constantIbLb0EES1A_EEDaS15_S16_EUlS15_E_NS1_11comp_targetILNS1_3genE0ELNS1_11target_archE4294967295ELNS1_3gpuE0ELNS1_3repE0EEENS1_30default_config_static_selectorELNS0_4arch9wavefront6targetE1EEEvT1_,comdat
	.globl	_ZN7rocprim17ROCPRIM_400000_NS6detail17trampoline_kernelINS0_14default_configENS1_25partition_config_selectorILNS1_17partition_subalgoE9EllbEEZZNS1_14partition_implILS5_9ELb0ES3_jPlS8_PNS0_10empty_typeENS0_5tupleIJS8_S9_EEENSB_IJS8_SA_EEENS0_18inequality_wrapperIZN2at6native12_GLOBAL__N_124unique_dim_cuda_templateIhEESt5tupleIJNSF_6TensorESK_SK_EERKSK_lbbbEUlllE0_EEPmJS9_EEE10hipError_tPvRmT3_T4_T5_T6_T7_T9_mT8_P12ihipStream_tbDpT10_ENKUlT_T0_E_clISt17integral_constantIbLb0EES1A_EEDaS15_S16_EUlS15_E_NS1_11comp_targetILNS1_3genE0ELNS1_11target_archE4294967295ELNS1_3gpuE0ELNS1_3repE0EEENS1_30default_config_static_selectorELNS0_4arch9wavefront6targetE1EEEvT1_ ; -- Begin function _ZN7rocprim17ROCPRIM_400000_NS6detail17trampoline_kernelINS0_14default_configENS1_25partition_config_selectorILNS1_17partition_subalgoE9EllbEEZZNS1_14partition_implILS5_9ELb0ES3_jPlS8_PNS0_10empty_typeENS0_5tupleIJS8_S9_EEENSB_IJS8_SA_EEENS0_18inequality_wrapperIZN2at6native12_GLOBAL__N_124unique_dim_cuda_templateIhEESt5tupleIJNSF_6TensorESK_SK_EERKSK_lbbbEUlllE0_EEPmJS9_EEE10hipError_tPvRmT3_T4_T5_T6_T7_T9_mT8_P12ihipStream_tbDpT10_ENKUlT_T0_E_clISt17integral_constantIbLb0EES1A_EEDaS15_S16_EUlS15_E_NS1_11comp_targetILNS1_3genE0ELNS1_11target_archE4294967295ELNS1_3gpuE0ELNS1_3repE0EEENS1_30default_config_static_selectorELNS0_4arch9wavefront6targetE1EEEvT1_
	.p2align	8
	.type	_ZN7rocprim17ROCPRIM_400000_NS6detail17trampoline_kernelINS0_14default_configENS1_25partition_config_selectorILNS1_17partition_subalgoE9EllbEEZZNS1_14partition_implILS5_9ELb0ES3_jPlS8_PNS0_10empty_typeENS0_5tupleIJS8_S9_EEENSB_IJS8_SA_EEENS0_18inequality_wrapperIZN2at6native12_GLOBAL__N_124unique_dim_cuda_templateIhEESt5tupleIJNSF_6TensorESK_SK_EERKSK_lbbbEUlllE0_EEPmJS9_EEE10hipError_tPvRmT3_T4_T5_T6_T7_T9_mT8_P12ihipStream_tbDpT10_ENKUlT_T0_E_clISt17integral_constantIbLb0EES1A_EEDaS15_S16_EUlS15_E_NS1_11comp_targetILNS1_3genE0ELNS1_11target_archE4294967295ELNS1_3gpuE0ELNS1_3repE0EEENS1_30default_config_static_selectorELNS0_4arch9wavefront6targetE1EEEvT1_,@function
_ZN7rocprim17ROCPRIM_400000_NS6detail17trampoline_kernelINS0_14default_configENS1_25partition_config_selectorILNS1_17partition_subalgoE9EllbEEZZNS1_14partition_implILS5_9ELb0ES3_jPlS8_PNS0_10empty_typeENS0_5tupleIJS8_S9_EEENSB_IJS8_SA_EEENS0_18inequality_wrapperIZN2at6native12_GLOBAL__N_124unique_dim_cuda_templateIhEESt5tupleIJNSF_6TensorESK_SK_EERKSK_lbbbEUlllE0_EEPmJS9_EEE10hipError_tPvRmT3_T4_T5_T6_T7_T9_mT8_P12ihipStream_tbDpT10_ENKUlT_T0_E_clISt17integral_constantIbLb0EES1A_EEDaS15_S16_EUlS15_E_NS1_11comp_targetILNS1_3genE0ELNS1_11target_archE4294967295ELNS1_3gpuE0ELNS1_3repE0EEENS1_30default_config_static_selectorELNS0_4arch9wavefront6targetE1EEEvT1_: ; @_ZN7rocprim17ROCPRIM_400000_NS6detail17trampoline_kernelINS0_14default_configENS1_25partition_config_selectorILNS1_17partition_subalgoE9EllbEEZZNS1_14partition_implILS5_9ELb0ES3_jPlS8_PNS0_10empty_typeENS0_5tupleIJS8_S9_EEENSB_IJS8_SA_EEENS0_18inequality_wrapperIZN2at6native12_GLOBAL__N_124unique_dim_cuda_templateIhEESt5tupleIJNSF_6TensorESK_SK_EERKSK_lbbbEUlllE0_EEPmJS9_EEE10hipError_tPvRmT3_T4_T5_T6_T7_T9_mT8_P12ihipStream_tbDpT10_ENKUlT_T0_E_clISt17integral_constantIbLb0EES1A_EEDaS15_S16_EUlS15_E_NS1_11comp_targetILNS1_3genE0ELNS1_11target_archE4294967295ELNS1_3gpuE0ELNS1_3repE0EEENS1_30default_config_static_selectorELNS0_4arch9wavefront6targetE1EEEvT1_
; %bb.0:
	.section	.rodata,"a",@progbits
	.p2align	6, 0x0
	.amdhsa_kernel _ZN7rocprim17ROCPRIM_400000_NS6detail17trampoline_kernelINS0_14default_configENS1_25partition_config_selectorILNS1_17partition_subalgoE9EllbEEZZNS1_14partition_implILS5_9ELb0ES3_jPlS8_PNS0_10empty_typeENS0_5tupleIJS8_S9_EEENSB_IJS8_SA_EEENS0_18inequality_wrapperIZN2at6native12_GLOBAL__N_124unique_dim_cuda_templateIhEESt5tupleIJNSF_6TensorESK_SK_EERKSK_lbbbEUlllE0_EEPmJS9_EEE10hipError_tPvRmT3_T4_T5_T6_T7_T9_mT8_P12ihipStream_tbDpT10_ENKUlT_T0_E_clISt17integral_constantIbLb0EES1A_EEDaS15_S16_EUlS15_E_NS1_11comp_targetILNS1_3genE0ELNS1_11target_archE4294967295ELNS1_3gpuE0ELNS1_3repE0EEENS1_30default_config_static_selectorELNS0_4arch9wavefront6targetE1EEEvT1_
		.amdhsa_group_segment_fixed_size 0
		.amdhsa_private_segment_fixed_size 0
		.amdhsa_kernarg_size 120
		.amdhsa_user_sgpr_count 2
		.amdhsa_user_sgpr_dispatch_ptr 0
		.amdhsa_user_sgpr_queue_ptr 0
		.amdhsa_user_sgpr_kernarg_segment_ptr 1
		.amdhsa_user_sgpr_dispatch_id 0
		.amdhsa_user_sgpr_kernarg_preload_length 0
		.amdhsa_user_sgpr_kernarg_preload_offset 0
		.amdhsa_user_sgpr_private_segment_size 0
		.amdhsa_uses_dynamic_stack 0
		.amdhsa_enable_private_segment 0
		.amdhsa_system_sgpr_workgroup_id_x 1
		.amdhsa_system_sgpr_workgroup_id_y 0
		.amdhsa_system_sgpr_workgroup_id_z 0
		.amdhsa_system_sgpr_workgroup_info 0
		.amdhsa_system_vgpr_workitem_id 0
		.amdhsa_next_free_vgpr 1
		.amdhsa_next_free_sgpr 0
		.amdhsa_accum_offset 4
		.amdhsa_reserve_vcc 0
		.amdhsa_float_round_mode_32 0
		.amdhsa_float_round_mode_16_64 0
		.amdhsa_float_denorm_mode_32 3
		.amdhsa_float_denorm_mode_16_64 3
		.amdhsa_dx10_clamp 1
		.amdhsa_ieee_mode 1
		.amdhsa_fp16_overflow 0
		.amdhsa_tg_split 0
		.amdhsa_exception_fp_ieee_invalid_op 0
		.amdhsa_exception_fp_denorm_src 0
		.amdhsa_exception_fp_ieee_div_zero 0
		.amdhsa_exception_fp_ieee_overflow 0
		.amdhsa_exception_fp_ieee_underflow 0
		.amdhsa_exception_fp_ieee_inexact 0
		.amdhsa_exception_int_div_zero 0
	.end_amdhsa_kernel
	.section	.text._ZN7rocprim17ROCPRIM_400000_NS6detail17trampoline_kernelINS0_14default_configENS1_25partition_config_selectorILNS1_17partition_subalgoE9EllbEEZZNS1_14partition_implILS5_9ELb0ES3_jPlS8_PNS0_10empty_typeENS0_5tupleIJS8_S9_EEENSB_IJS8_SA_EEENS0_18inequality_wrapperIZN2at6native12_GLOBAL__N_124unique_dim_cuda_templateIhEESt5tupleIJNSF_6TensorESK_SK_EERKSK_lbbbEUlllE0_EEPmJS9_EEE10hipError_tPvRmT3_T4_T5_T6_T7_T9_mT8_P12ihipStream_tbDpT10_ENKUlT_T0_E_clISt17integral_constantIbLb0EES1A_EEDaS15_S16_EUlS15_E_NS1_11comp_targetILNS1_3genE0ELNS1_11target_archE4294967295ELNS1_3gpuE0ELNS1_3repE0EEENS1_30default_config_static_selectorELNS0_4arch9wavefront6targetE1EEEvT1_,"axG",@progbits,_ZN7rocprim17ROCPRIM_400000_NS6detail17trampoline_kernelINS0_14default_configENS1_25partition_config_selectorILNS1_17partition_subalgoE9EllbEEZZNS1_14partition_implILS5_9ELb0ES3_jPlS8_PNS0_10empty_typeENS0_5tupleIJS8_S9_EEENSB_IJS8_SA_EEENS0_18inequality_wrapperIZN2at6native12_GLOBAL__N_124unique_dim_cuda_templateIhEESt5tupleIJNSF_6TensorESK_SK_EERKSK_lbbbEUlllE0_EEPmJS9_EEE10hipError_tPvRmT3_T4_T5_T6_T7_T9_mT8_P12ihipStream_tbDpT10_ENKUlT_T0_E_clISt17integral_constantIbLb0EES1A_EEDaS15_S16_EUlS15_E_NS1_11comp_targetILNS1_3genE0ELNS1_11target_archE4294967295ELNS1_3gpuE0ELNS1_3repE0EEENS1_30default_config_static_selectorELNS0_4arch9wavefront6targetE1EEEvT1_,comdat
.Lfunc_end205:
	.size	_ZN7rocprim17ROCPRIM_400000_NS6detail17trampoline_kernelINS0_14default_configENS1_25partition_config_selectorILNS1_17partition_subalgoE9EllbEEZZNS1_14partition_implILS5_9ELb0ES3_jPlS8_PNS0_10empty_typeENS0_5tupleIJS8_S9_EEENSB_IJS8_SA_EEENS0_18inequality_wrapperIZN2at6native12_GLOBAL__N_124unique_dim_cuda_templateIhEESt5tupleIJNSF_6TensorESK_SK_EERKSK_lbbbEUlllE0_EEPmJS9_EEE10hipError_tPvRmT3_T4_T5_T6_T7_T9_mT8_P12ihipStream_tbDpT10_ENKUlT_T0_E_clISt17integral_constantIbLb0EES1A_EEDaS15_S16_EUlS15_E_NS1_11comp_targetILNS1_3genE0ELNS1_11target_archE4294967295ELNS1_3gpuE0ELNS1_3repE0EEENS1_30default_config_static_selectorELNS0_4arch9wavefront6targetE1EEEvT1_, .Lfunc_end205-_ZN7rocprim17ROCPRIM_400000_NS6detail17trampoline_kernelINS0_14default_configENS1_25partition_config_selectorILNS1_17partition_subalgoE9EllbEEZZNS1_14partition_implILS5_9ELb0ES3_jPlS8_PNS0_10empty_typeENS0_5tupleIJS8_S9_EEENSB_IJS8_SA_EEENS0_18inequality_wrapperIZN2at6native12_GLOBAL__N_124unique_dim_cuda_templateIhEESt5tupleIJNSF_6TensorESK_SK_EERKSK_lbbbEUlllE0_EEPmJS9_EEE10hipError_tPvRmT3_T4_T5_T6_T7_T9_mT8_P12ihipStream_tbDpT10_ENKUlT_T0_E_clISt17integral_constantIbLb0EES1A_EEDaS15_S16_EUlS15_E_NS1_11comp_targetILNS1_3genE0ELNS1_11target_archE4294967295ELNS1_3gpuE0ELNS1_3repE0EEENS1_30default_config_static_selectorELNS0_4arch9wavefront6targetE1EEEvT1_
                                        ; -- End function
	.section	.AMDGPU.csdata,"",@progbits
; Kernel info:
; codeLenInByte = 0
; NumSgprs: 6
; NumVgprs: 0
; NumAgprs: 0
; TotalNumVgprs: 0
; ScratchSize: 0
; MemoryBound: 0
; FloatMode: 240
; IeeeMode: 1
; LDSByteSize: 0 bytes/workgroup (compile time only)
; SGPRBlocks: 0
; VGPRBlocks: 0
; NumSGPRsForWavesPerEU: 6
; NumVGPRsForWavesPerEU: 1
; AccumOffset: 4
; Occupancy: 8
; WaveLimiterHint : 0
; COMPUTE_PGM_RSRC2:SCRATCH_EN: 0
; COMPUTE_PGM_RSRC2:USER_SGPR: 2
; COMPUTE_PGM_RSRC2:TRAP_HANDLER: 0
; COMPUTE_PGM_RSRC2:TGID_X_EN: 1
; COMPUTE_PGM_RSRC2:TGID_Y_EN: 0
; COMPUTE_PGM_RSRC2:TGID_Z_EN: 0
; COMPUTE_PGM_RSRC2:TIDIG_COMP_CNT: 0
; COMPUTE_PGM_RSRC3_GFX90A:ACCUM_OFFSET: 0
; COMPUTE_PGM_RSRC3_GFX90A:TG_SPLIT: 0
	.section	.text._ZN7rocprim17ROCPRIM_400000_NS6detail17trampoline_kernelINS0_14default_configENS1_25partition_config_selectorILNS1_17partition_subalgoE9EllbEEZZNS1_14partition_implILS5_9ELb0ES3_jPlS8_PNS0_10empty_typeENS0_5tupleIJS8_S9_EEENSB_IJS8_SA_EEENS0_18inequality_wrapperIZN2at6native12_GLOBAL__N_124unique_dim_cuda_templateIhEESt5tupleIJNSF_6TensorESK_SK_EERKSK_lbbbEUlllE0_EEPmJS9_EEE10hipError_tPvRmT3_T4_T5_T6_T7_T9_mT8_P12ihipStream_tbDpT10_ENKUlT_T0_E_clISt17integral_constantIbLb0EES1A_EEDaS15_S16_EUlS15_E_NS1_11comp_targetILNS1_3genE5ELNS1_11target_archE942ELNS1_3gpuE9ELNS1_3repE0EEENS1_30default_config_static_selectorELNS0_4arch9wavefront6targetE1EEEvT1_,"axG",@progbits,_ZN7rocprim17ROCPRIM_400000_NS6detail17trampoline_kernelINS0_14default_configENS1_25partition_config_selectorILNS1_17partition_subalgoE9EllbEEZZNS1_14partition_implILS5_9ELb0ES3_jPlS8_PNS0_10empty_typeENS0_5tupleIJS8_S9_EEENSB_IJS8_SA_EEENS0_18inequality_wrapperIZN2at6native12_GLOBAL__N_124unique_dim_cuda_templateIhEESt5tupleIJNSF_6TensorESK_SK_EERKSK_lbbbEUlllE0_EEPmJS9_EEE10hipError_tPvRmT3_T4_T5_T6_T7_T9_mT8_P12ihipStream_tbDpT10_ENKUlT_T0_E_clISt17integral_constantIbLb0EES1A_EEDaS15_S16_EUlS15_E_NS1_11comp_targetILNS1_3genE5ELNS1_11target_archE942ELNS1_3gpuE9ELNS1_3repE0EEENS1_30default_config_static_selectorELNS0_4arch9wavefront6targetE1EEEvT1_,comdat
	.globl	_ZN7rocprim17ROCPRIM_400000_NS6detail17trampoline_kernelINS0_14default_configENS1_25partition_config_selectorILNS1_17partition_subalgoE9EllbEEZZNS1_14partition_implILS5_9ELb0ES3_jPlS8_PNS0_10empty_typeENS0_5tupleIJS8_S9_EEENSB_IJS8_SA_EEENS0_18inequality_wrapperIZN2at6native12_GLOBAL__N_124unique_dim_cuda_templateIhEESt5tupleIJNSF_6TensorESK_SK_EERKSK_lbbbEUlllE0_EEPmJS9_EEE10hipError_tPvRmT3_T4_T5_T6_T7_T9_mT8_P12ihipStream_tbDpT10_ENKUlT_T0_E_clISt17integral_constantIbLb0EES1A_EEDaS15_S16_EUlS15_E_NS1_11comp_targetILNS1_3genE5ELNS1_11target_archE942ELNS1_3gpuE9ELNS1_3repE0EEENS1_30default_config_static_selectorELNS0_4arch9wavefront6targetE1EEEvT1_ ; -- Begin function _ZN7rocprim17ROCPRIM_400000_NS6detail17trampoline_kernelINS0_14default_configENS1_25partition_config_selectorILNS1_17partition_subalgoE9EllbEEZZNS1_14partition_implILS5_9ELb0ES3_jPlS8_PNS0_10empty_typeENS0_5tupleIJS8_S9_EEENSB_IJS8_SA_EEENS0_18inequality_wrapperIZN2at6native12_GLOBAL__N_124unique_dim_cuda_templateIhEESt5tupleIJNSF_6TensorESK_SK_EERKSK_lbbbEUlllE0_EEPmJS9_EEE10hipError_tPvRmT3_T4_T5_T6_T7_T9_mT8_P12ihipStream_tbDpT10_ENKUlT_T0_E_clISt17integral_constantIbLb0EES1A_EEDaS15_S16_EUlS15_E_NS1_11comp_targetILNS1_3genE5ELNS1_11target_archE942ELNS1_3gpuE9ELNS1_3repE0EEENS1_30default_config_static_selectorELNS0_4arch9wavefront6targetE1EEEvT1_
	.p2align	8
	.type	_ZN7rocprim17ROCPRIM_400000_NS6detail17trampoline_kernelINS0_14default_configENS1_25partition_config_selectorILNS1_17partition_subalgoE9EllbEEZZNS1_14partition_implILS5_9ELb0ES3_jPlS8_PNS0_10empty_typeENS0_5tupleIJS8_S9_EEENSB_IJS8_SA_EEENS0_18inequality_wrapperIZN2at6native12_GLOBAL__N_124unique_dim_cuda_templateIhEESt5tupleIJNSF_6TensorESK_SK_EERKSK_lbbbEUlllE0_EEPmJS9_EEE10hipError_tPvRmT3_T4_T5_T6_T7_T9_mT8_P12ihipStream_tbDpT10_ENKUlT_T0_E_clISt17integral_constantIbLb0EES1A_EEDaS15_S16_EUlS15_E_NS1_11comp_targetILNS1_3genE5ELNS1_11target_archE942ELNS1_3gpuE9ELNS1_3repE0EEENS1_30default_config_static_selectorELNS0_4arch9wavefront6targetE1EEEvT1_,@function
_ZN7rocprim17ROCPRIM_400000_NS6detail17trampoline_kernelINS0_14default_configENS1_25partition_config_selectorILNS1_17partition_subalgoE9EllbEEZZNS1_14partition_implILS5_9ELb0ES3_jPlS8_PNS0_10empty_typeENS0_5tupleIJS8_S9_EEENSB_IJS8_SA_EEENS0_18inequality_wrapperIZN2at6native12_GLOBAL__N_124unique_dim_cuda_templateIhEESt5tupleIJNSF_6TensorESK_SK_EERKSK_lbbbEUlllE0_EEPmJS9_EEE10hipError_tPvRmT3_T4_T5_T6_T7_T9_mT8_P12ihipStream_tbDpT10_ENKUlT_T0_E_clISt17integral_constantIbLb0EES1A_EEDaS15_S16_EUlS15_E_NS1_11comp_targetILNS1_3genE5ELNS1_11target_archE942ELNS1_3gpuE9ELNS1_3repE0EEENS1_30default_config_static_selectorELNS0_4arch9wavefront6targetE1EEEvT1_: ; @_ZN7rocprim17ROCPRIM_400000_NS6detail17trampoline_kernelINS0_14default_configENS1_25partition_config_selectorILNS1_17partition_subalgoE9EllbEEZZNS1_14partition_implILS5_9ELb0ES3_jPlS8_PNS0_10empty_typeENS0_5tupleIJS8_S9_EEENSB_IJS8_SA_EEENS0_18inequality_wrapperIZN2at6native12_GLOBAL__N_124unique_dim_cuda_templateIhEESt5tupleIJNSF_6TensorESK_SK_EERKSK_lbbbEUlllE0_EEPmJS9_EEE10hipError_tPvRmT3_T4_T5_T6_T7_T9_mT8_P12ihipStream_tbDpT10_ENKUlT_T0_E_clISt17integral_constantIbLb0EES1A_EEDaS15_S16_EUlS15_E_NS1_11comp_targetILNS1_3genE5ELNS1_11target_archE942ELNS1_3gpuE9ELNS1_3repE0EEENS1_30default_config_static_selectorELNS0_4arch9wavefront6targetE1EEEvT1_
; %bb.0:
	s_load_dwordx8 s[20:27], s[0:1], 0x40
	s_load_dwordx4 s[4:7], s[0:1], 0x8
	s_load_dwordx2 s[10:11], s[0:1], 0x18
	s_load_dword s3, s[0:1], 0x70
	s_mul_i32 s12, s2, 0xe00
	s_waitcnt lgkmcnt(0)
	v_mov_b32_e32 v2, s24
	s_lshl_b64 s[14:15], s[6:7], 3
	s_add_u32 s18, s4, s14
	s_mul_i32 s4, s3, 0xe00
	s_addc_u32 s19, s5, s15
	s_add_i32 s8, s3, -1
	s_add_i32 s3, s4, s6
	s_sub_i32 s3, s24, s3
	s_addk_i32 s3, 0xe00
	s_add_u32 s4, s6, s4
	s_addc_u32 s5, s7, 0
	v_mov_b32_e32 v3, s25
	s_cmp_eq_u32 s2, s8
	s_load_dwordx2 s[22:23], s[22:23], 0x0
	v_cmp_ge_u64_e32 vcc, s[4:5], v[2:3]
	s_cselect_b64 s[24:25], -1, 0
	s_mov_b32 s13, 0
	s_and_b64 s[8:9], s[24:25], vcc
	s_xor_b64 s[34:35], s[8:9], -1
	s_lshl_b64 s[16:17], s[12:13], 3
	s_add_u32 s12, s18, s16
	s_mov_b64 s[4:5], -1
	s_addc_u32 s13, s19, s17
	s_and_b64 vcc, exec, s[34:35]
	s_cbranch_vccz .LBB206_2
; %bb.1:
	v_lshlrev_b32_e32 v2, 3, v0
	v_mov_b32_e32 v3, 0
	v_lshl_add_u64 v[4:5], s[12:13], 0, v[2:3]
	v_add_co_u32_e32 v8, vcc, 0x1000, v4
	global_load_dwordx2 v[6:7], v2, s[12:13]
	s_nop 0
	v_addc_co_u32_e32 v9, vcc, 0, v5, vcc
	v_add_co_u32_e32 v10, vcc, 0x2000, v4
	s_mov_b64 s[4:5], 0
	s_nop 0
	v_addc_co_u32_e32 v11, vcc, 0, v5, vcc
	v_add_co_u32_e32 v12, vcc, 0x3000, v4
	s_nop 1
	v_addc_co_u32_e32 v13, vcc, 0, v5, vcc
	v_add_co_u32_e32 v14, vcc, 0x4000, v4
	s_nop 1
	v_addc_co_u32_e32 v15, vcc, 0, v5, vcc
	global_load_dwordx2 v[16:17], v[8:9], off
	global_load_dwordx2 v[18:19], v[10:11], off
	;; [unrolled: 1-line block ×4, first 2 shown]
	v_add_co_u32_e32 v8, vcc, 0x5000, v4
	s_nop 1
	v_addc_co_u32_e32 v9, vcc, 0, v5, vcc
	v_add_co_u32_e32 v4, vcc, 0x6000, v4
	global_load_dwordx2 v[8:9], v[8:9], off
	s_nop 0
	v_addc_co_u32_e32 v5, vcc, 0, v5, vcc
	global_load_dwordx2 v[4:5], v[4:5], off
	s_waitcnt vmcnt(5)
	ds_write2st64_b64 v2, v[6:7], v[16:17] offset1:8
	s_waitcnt vmcnt(3)
	ds_write2st64_b64 v2, v[18:19], v[20:21] offset0:16 offset1:24
	s_waitcnt vmcnt(1)
	ds_write2st64_b64 v2, v[22:23], v[8:9] offset0:32 offset1:40
	s_waitcnt vmcnt(0)
	ds_write_b64 v2, v[4:5] offset:24576
	s_waitcnt lgkmcnt(0)
	s_barrier
.LBB206_2:
	s_load_dwordx4 s[28:31], s[0:1], 0x60
	s_andn2_b64 vcc, exec, s[4:5]
	v_cmp_gt_u32_e64 s[4:5], s3, v0
	s_cbranch_vccnz .LBB206_18
; %bb.3:
                                        ; implicit-def: $vgpr2_vgpr3_vgpr4_vgpr5_vgpr6_vgpr7_vgpr8_vgpr9_vgpr10_vgpr11_vgpr12_vgpr13_vgpr14_vgpr15_vgpr16_vgpr17
	s_and_saveexec_b64 s[18:19], s[4:5]
	s_cbranch_execz .LBB206_5
; %bb.4:
	v_lshlrev_b32_e32 v1, 3, v0
	global_load_dwordx2 v[2:3], v1, s[12:13]
.LBB206_5:
	s_or_b64 exec, exec, s[18:19]
	v_or_b32_e32 v1, 0x200, v0
	v_cmp_gt_u32_e32 vcc, s3, v1
	s_and_saveexec_b64 s[4:5], vcc
	s_cbranch_execz .LBB206_7
; %bb.6:
	v_lshlrev_b32_e32 v1, 3, v1
	global_load_dwordx2 v[4:5], v1, s[12:13]
.LBB206_7:
	s_or_b64 exec, exec, s[4:5]
	v_or_b32_e32 v1, 0x400, v0
	v_cmp_gt_u32_e32 vcc, s3, v1
	s_and_saveexec_b64 s[4:5], vcc
	;; [unrolled: 9-line block ×6, first 2 shown]
	s_cbranch_execz .LBB206_17
; %bb.16:
	v_lshlrev_b32_e32 v1, 3, v1
	global_load_dwordx2 v[14:15], v1, s[12:13]
.LBB206_17:
	s_or_b64 exec, exec, s[4:5]
	v_lshlrev_b32_e32 v1, 3, v0
	s_waitcnt vmcnt(0)
	ds_write2st64_b64 v1, v[2:3], v[4:5] offset1:8
	ds_write2st64_b64 v1, v[6:7], v[8:9] offset0:16 offset1:24
	ds_write2st64_b64 v1, v[10:11], v[12:13] offset0:32 offset1:40
	ds_write_b64 v1, v[14:15] offset:24576
	s_waitcnt lgkmcnt(0)
	s_barrier
.LBB206_18:
	v_mul_u32_u24_e32 v1, 7, v0
	v_lshlrev_b32_e32 v36, 3, v1
	s_waitcnt lgkmcnt(0)
	ds_read2_b64 v[22:25], v36 offset1:1
	ds_read2_b64 v[18:21], v36 offset0:2 offset1:3
	ds_read2_b64 v[14:17], v36 offset0:4 offset1:5
	ds_read_b64 v[28:29], v36 offset:48
	s_add_u32 s4, s10, s14
	s_addc_u32 s5, s11, s15
	s_add_u32 s4, s4, s16
	s_addc_u32 s5, s5, s17
	s_mov_b64 s[10:11], -1
	s_and_b64 vcc, exec, s[34:35]
	s_waitcnt lgkmcnt(0)
	s_barrier
	s_cbranch_vccz .LBB206_20
; %bb.19:
	v_lshlrev_b32_e32 v2, 3, v0
	v_mov_b32_e32 v3, 0
	v_lshl_add_u64 v[4:5], s[4:5], 0, v[2:3]
	v_add_co_u32_e32 v8, vcc, 0x1000, v4
	global_load_dwordx2 v[6:7], v2, s[4:5]
	s_nop 0
	v_addc_co_u32_e32 v9, vcc, 0, v5, vcc
	v_add_co_u32_e32 v10, vcc, 0x2000, v4
	s_mov_b64 s[10:11], 0
	s_nop 0
	v_addc_co_u32_e32 v11, vcc, 0, v5, vcc
	v_add_co_u32_e32 v12, vcc, 0x3000, v4
	s_nop 1
	v_addc_co_u32_e32 v13, vcc, 0, v5, vcc
	v_add_co_u32_e32 v26, vcc, 0x4000, v4
	s_nop 1
	v_addc_co_u32_e32 v27, vcc, 0, v5, vcc
	global_load_dwordx2 v[30:31], v[8:9], off
	global_load_dwordx2 v[32:33], v[10:11], off
	;; [unrolled: 1-line block ×4, first 2 shown]
	v_add_co_u32_e32 v8, vcc, 0x5000, v4
	s_nop 1
	v_addc_co_u32_e32 v9, vcc, 0, v5, vcc
	v_add_co_u32_e32 v4, vcc, 0x6000, v4
	global_load_dwordx2 v[8:9], v[8:9], off
	s_nop 0
	v_addc_co_u32_e32 v5, vcc, 0, v5, vcc
	global_load_dwordx2 v[4:5], v[4:5], off
	s_waitcnt vmcnt(5)
	ds_write2st64_b64 v2, v[6:7], v[30:31] offset1:8
	s_waitcnt vmcnt(3)
	ds_write2st64_b64 v2, v[32:33], v[34:35] offset0:16 offset1:24
	s_waitcnt vmcnt(1)
	ds_write2st64_b64 v2, v[38:39], v[8:9] offset0:32 offset1:40
	s_waitcnt vmcnt(0)
	ds_write_b64 v2, v[4:5] offset:24576
	s_waitcnt lgkmcnt(0)
	s_barrier
.LBB206_20:
	s_andn2_b64 vcc, exec, s[10:11]
	s_cbranch_vccnz .LBB206_36
; %bb.21:
	v_cmp_gt_u32_e32 vcc, s3, v0
                                        ; implicit-def: $vgpr2_vgpr3
	s_and_saveexec_b64 s[10:11], vcc
	s_cbranch_execz .LBB206_23
; %bb.22:
	v_lshlrev_b32_e32 v2, 3, v0
	global_load_dwordx2 v[2:3], v2, s[4:5]
.LBB206_23:
	s_or_b64 exec, exec, s[10:11]
	v_or_b32_e32 v6, 0x200, v0
	v_cmp_gt_u32_e32 vcc, s3, v6
                                        ; implicit-def: $vgpr4_vgpr5
	s_and_saveexec_b64 s[10:11], vcc
	s_cbranch_execz .LBB206_25
; %bb.24:
	v_lshlrev_b32_e32 v4, 3, v6
	global_load_dwordx2 v[4:5], v4, s[4:5]
.LBB206_25:
	s_or_b64 exec, exec, s[10:11]
	v_or_b32_e32 v8, 0x400, v0
	v_cmp_gt_u32_e32 vcc, s3, v8
                                        ; implicit-def: $vgpr6_vgpr7
	s_and_saveexec_b64 s[10:11], vcc
	s_cbranch_execz .LBB206_27
; %bb.26:
	v_lshlrev_b32_e32 v6, 3, v8
	global_load_dwordx2 v[6:7], v6, s[4:5]
.LBB206_27:
	s_or_b64 exec, exec, s[10:11]
	v_or_b32_e32 v10, 0x600, v0
	v_cmp_gt_u32_e32 vcc, s3, v10
                                        ; implicit-def: $vgpr8_vgpr9
	s_and_saveexec_b64 s[10:11], vcc
	s_cbranch_execz .LBB206_29
; %bb.28:
	v_lshlrev_b32_e32 v8, 3, v10
	global_load_dwordx2 v[8:9], v8, s[4:5]
.LBB206_29:
	s_or_b64 exec, exec, s[10:11]
	v_or_b32_e32 v12, 0x800, v0
	v_cmp_gt_u32_e32 vcc, s3, v12
                                        ; implicit-def: $vgpr10_vgpr11
	s_and_saveexec_b64 s[10:11], vcc
	s_cbranch_execz .LBB206_31
; %bb.30:
	v_lshlrev_b32_e32 v10, 3, v12
	global_load_dwordx2 v[10:11], v10, s[4:5]
.LBB206_31:
	s_or_b64 exec, exec, s[10:11]
	v_or_b32_e32 v26, 0xa00, v0
	v_cmp_gt_u32_e32 vcc, s3, v26
                                        ; implicit-def: $vgpr12_vgpr13
	s_and_saveexec_b64 s[10:11], vcc
	s_cbranch_execz .LBB206_33
; %bb.32:
	v_lshlrev_b32_e32 v12, 3, v26
	global_load_dwordx2 v[12:13], v12, s[4:5]
.LBB206_33:
	s_or_b64 exec, exec, s[10:11]
	v_or_b32_e32 v30, 0xc00, v0
	v_cmp_gt_u32_e32 vcc, s3, v30
                                        ; implicit-def: $vgpr26_vgpr27
	s_and_saveexec_b64 s[10:11], vcc
	s_cbranch_execz .LBB206_35
; %bb.34:
	v_lshlrev_b32_e32 v26, 3, v30
	global_load_dwordx2 v[26:27], v26, s[4:5]
.LBB206_35:
	s_or_b64 exec, exec, s[10:11]
	s_movk_i32 s4, 0xffd0
	v_mad_i32_i24 v30, v0, s4, v36
	s_waitcnt vmcnt(0)
	ds_write2st64_b64 v30, v[2:3], v[4:5] offset1:8
	ds_write2st64_b64 v30, v[6:7], v[8:9] offset0:16 offset1:24
	ds_write2st64_b64 v30, v[10:11], v[12:13] offset0:32 offset1:40
	ds_write_b64 v30, v[26:27] offset:24576
	s_waitcnt lgkmcnt(0)
	s_barrier
.LBB206_36:
	ds_read2_b64 v[10:13], v36 offset1:1
	ds_read2_b64 v[6:9], v36 offset0:2 offset1:3
	ds_read2_b64 v[2:5], v36 offset0:4 offset1:5
	ds_read_b64 v[26:27], v36 offset:48
	s_cmp_lg_u32 s2, 0
	s_cselect_b64 s[16:17], -1, 0
	s_cmp_lg_u64 s[6:7], 0
	s_cselect_b64 s[4:5], -1, 0
	s_or_b64 s[4:5], s[16:17], s[4:5]
	v_add_u32_e32 v41, 1, v1
	v_add_u32_e32 v38, 2, v1
	v_add_u32_e32 v42, 3, v1
	v_add_u32_e32 v39, 4, v1
	v_add_u32_e32 v43, 5, v1
	v_add_u32_e32 v40, 6, v1
	s_mov_b64 s[10:11], 0
	s_and_b64 vcc, exec, s[4:5]
	v_cmp_gt_i64_e64 s[4:5], s[26:27], 0
	s_waitcnt lgkmcnt(0)
	s_barrier
	s_cbranch_vccz .LBB206_45
; %bb.37:
	s_add_u32 s6, s12, -8
	s_addc_u32 s7, s13, -1
	s_load_dwordx2 s[6:7], s[6:7], 0x0
	v_cndmask_b32_e64 v30, 0, 1, s[4:5]
	v_lshlrev_b32_e32 v37, 3, v0
	s_and_b64 vcc, exec, s[34:35]
	v_cmp_ne_u32_e64 s[4:5], 1, v30
	ds_write_b64 v37, v[28:29]
	s_cbranch_vccz .LBB206_47
; %bb.38:
	v_mul_lo_u32 v32, v17, s26
	v_mul_lo_u32 v33, v16, s27
	v_mad_u64_u32 v[30:31], s[12:13], v16, s26, 0
	v_add3_u32 v31, v31, v33, v32
	s_and_b64 vcc, exec, s[4:5]
	v_lshl_add_u64 v[30:31], s[28:29], 0, v[30:31]
	s_cbranch_vccnz .LBB206_50
; %bb.39:
	v_mov_b64_e32 v[32:33], s[28:29]
	v_mad_u64_u32 v[32:33], s[10:11], v28, s26, v[32:33]
	v_mul_lo_u32 v34, v28, s27
	v_mul_lo_u32 v35, v29, s26
	v_add3_u32 v33, v35, v33, v34
	global_load_ubyte v34, v[30:31], off
	global_load_ubyte v35, v[32:33], off
	s_mov_b64 s[10:11], -1
	s_waitcnt vmcnt(0)
	v_cmp_eq_u16_e32 vcc, v34, v35
	s_and_saveexec_b64 s[12:13], vcc
	s_cbranch_execz .LBB206_49
; %bb.40:
	s_mov_b64 s[18:19], 1
	s_mov_b64 s[10:11], 0
                                        ; implicit-def: $sgpr14_sgpr15
	s_branch .LBB206_43
.LBB206_41:                             ;   in Loop: Header=BB206_43 Depth=1
	v_lshl_add_u64 v[34:35], v[30:31], 0, s[18:19]
	v_lshl_add_u64 v[44:45], v[32:33], 0, s[18:19]
	global_load_ubyte v46, v[34:35], off
	global_load_ubyte v47, v[44:45], off
	s_add_u32 s36, s18, 1
	s_addc_u32 s37, s19, 0
	s_andn2_b64 s[14:15], s[14:15], exec
	s_waitcnt vmcnt(0)
	v_cmp_ne_u16_e32 vcc, v46, v47
	s_and_b64 s[38:39], vcc, exec
	s_or_b64 s[14:15], s[14:15], s[38:39]
.LBB206_42:                             ;   in Loop: Header=BB206_43 Depth=1
	s_and_b64 s[38:39], exec, s[14:15]
	s_or_b64 s[10:11], s[38:39], s[10:11]
	v_mov_b64_e32 v[34:35], s[18:19]
	s_mov_b64 s[18:19], s[36:37]
	s_andn2_b64 exec, exec, s[10:11]
	s_cbranch_execz .LBB206_48
.LBB206_43:                             ; =>This Inner Loop Header: Depth=1
	s_or_b64 s[14:15], s[14:15], exec
	s_cmp_eq_u64 s[26:27], s[18:19]
	s_cbranch_scc0 .LBB206_41
; %bb.44:                               ;   in Loop: Header=BB206_43 Depth=1
                                        ; implicit-def: $sgpr36_sgpr37
	s_mov_b64 s[18:19], s[26:27]
	s_branch .LBB206_42
.LBB206_45:
                                        ; implicit-def: $sgpr18_sgpr19
                                        ; implicit-def: $vgpr47
                                        ; implicit-def: $vgpr46
                                        ; implicit-def: $vgpr45
                                        ; implicit-def: $vgpr34
	s_branch .LBB206_188
.LBB206_46:
                                        ; implicit-def: $vgpr30_vgpr31
	s_branch .LBB206_336
.LBB206_47:
                                        ; implicit-def: $sgpr18_sgpr19
                                        ; implicit-def: $vgpr47
                                        ; implicit-def: $vgpr46
                                        ; implicit-def: $vgpr45
                                        ; implicit-def: $vgpr34
	s_cbranch_execnz .LBB206_107
	s_branch .LBB206_187
.LBB206_48:
	s_or_b64 exec, exec, s[10:11]
	v_cmp_gt_i64_e32 vcc, s[26:27], v[34:35]
	s_orn2_b64 s[10:11], vcc, exec
.LBB206_49:
	s_or_b64 exec, exec, s[12:13]
.LBB206_50:
	v_mul_lo_u32 v34, v15, s26
	v_mul_lo_u32 v35, v14, s27
	v_mad_u64_u32 v[32:33], s[12:13], v14, s26, 0
	v_add3_u32 v33, v33, v35, v34
	s_mov_b64 s[12:13], 0
	s_and_b64 vcc, exec, s[4:5]
	v_lshl_add_u64 v[32:33], s[28:29], 0, v[32:33]
	s_mov_b64 s[14:15], 0
	s_cbranch_vccnz .LBB206_59
; %bb.51:
	global_load_ubyte v34, v[32:33], off
	global_load_ubyte v35, v[30:31], off
	s_mov_b64 s[14:15], -1
	s_waitcnt vmcnt(0)
	v_cmp_eq_u16_e32 vcc, v34, v35
	s_and_saveexec_b64 s[18:19], vcc
	s_cbranch_execz .LBB206_58
; %bb.52:
	s_mov_b64 s[38:39], 1
	s_mov_b64 s[14:15], 0
                                        ; implicit-def: $sgpr36_sgpr37
	s_branch .LBB206_55
.LBB206_53:                             ;   in Loop: Header=BB206_55 Depth=1
	v_lshl_add_u64 v[34:35], v[32:33], 0, s[38:39]
	v_lshl_add_u64 v[44:45], v[30:31], 0, s[38:39]
	global_load_ubyte v46, v[34:35], off
	global_load_ubyte v47, v[44:45], off
	s_add_u32 s40, s38, 1
	s_addc_u32 s41, s39, 0
	s_andn2_b64 s[36:37], s[36:37], exec
	s_waitcnt vmcnt(0)
	v_cmp_ne_u16_e32 vcc, v46, v47
	s_and_b64 s[42:43], vcc, exec
	s_or_b64 s[36:37], s[36:37], s[42:43]
.LBB206_54:                             ;   in Loop: Header=BB206_55 Depth=1
	s_and_b64 s[42:43], exec, s[36:37]
	s_or_b64 s[14:15], s[42:43], s[14:15]
	v_mov_b64_e32 v[34:35], s[38:39]
	s_mov_b64 s[38:39], s[40:41]
	s_andn2_b64 exec, exec, s[14:15]
	s_cbranch_execz .LBB206_57
.LBB206_55:                             ; =>This Inner Loop Header: Depth=1
	s_or_b64 s[36:37], s[36:37], exec
	s_cmp_eq_u64 s[26:27], s[38:39]
	s_cbranch_scc0 .LBB206_53
; %bb.56:                               ;   in Loop: Header=BB206_55 Depth=1
                                        ; implicit-def: $sgpr40_sgpr41
	s_mov_b64 s[38:39], s[26:27]
	s_branch .LBB206_54
.LBB206_57:
	s_or_b64 exec, exec, s[14:15]
	v_cmp_gt_i64_e32 vcc, s[26:27], v[34:35]
	s_orn2_b64 s[14:15], vcc, exec
.LBB206_58:
	s_or_b64 exec, exec, s[18:19]
.LBB206_59:
	v_mul_lo_u32 v34, v21, s26
	v_mul_lo_u32 v35, v20, s27
	v_mad_u64_u32 v[30:31], s[18:19], v20, s26, 0
	v_add3_u32 v31, v31, v35, v34
	s_and_b64 vcc, exec, s[4:5]
	v_lshl_add_u64 v[30:31], s[28:29], 0, v[30:31]
	s_cbranch_vccnz .LBB206_68
; %bb.60:
	global_load_ubyte v34, v[30:31], off
	global_load_ubyte v35, v[32:33], off
	s_mov_b64 s[12:13], -1
	s_waitcnt vmcnt(0)
	v_cmp_eq_u16_e32 vcc, v34, v35
	s_and_saveexec_b64 s[18:19], vcc
	s_cbranch_execz .LBB206_67
; %bb.61:
	s_mov_b64 s[38:39], 1
	s_mov_b64 s[12:13], 0
                                        ; implicit-def: $sgpr36_sgpr37
	s_branch .LBB206_64
.LBB206_62:                             ;   in Loop: Header=BB206_64 Depth=1
	v_lshl_add_u64 v[34:35], v[30:31], 0, s[38:39]
	v_lshl_add_u64 v[44:45], v[32:33], 0, s[38:39]
	global_load_ubyte v46, v[34:35], off
	global_load_ubyte v47, v[44:45], off
	s_add_u32 s40, s38, 1
	s_addc_u32 s41, s39, 0
	s_andn2_b64 s[36:37], s[36:37], exec
	s_waitcnt vmcnt(0)
	v_cmp_ne_u16_e32 vcc, v46, v47
	s_and_b64 s[42:43], vcc, exec
	s_or_b64 s[36:37], s[36:37], s[42:43]
.LBB206_63:                             ;   in Loop: Header=BB206_64 Depth=1
	s_and_b64 s[42:43], exec, s[36:37]
	s_or_b64 s[12:13], s[42:43], s[12:13]
	v_mov_b64_e32 v[34:35], s[38:39]
	s_mov_b64 s[38:39], s[40:41]
	s_andn2_b64 exec, exec, s[12:13]
	s_cbranch_execz .LBB206_66
.LBB206_64:                             ; =>This Inner Loop Header: Depth=1
	s_or_b64 s[36:37], s[36:37], exec
	s_cmp_eq_u64 s[26:27], s[38:39]
	s_cbranch_scc0 .LBB206_62
; %bb.65:                               ;   in Loop: Header=BB206_64 Depth=1
                                        ; implicit-def: $sgpr40_sgpr41
	s_mov_b64 s[38:39], s[26:27]
	s_branch .LBB206_63
.LBB206_66:
	s_or_b64 exec, exec, s[12:13]
	v_cmp_gt_i64_e32 vcc, s[26:27], v[34:35]
	s_orn2_b64 s[12:13], vcc, exec
.LBB206_67:
	s_or_b64 exec, exec, s[18:19]
.LBB206_68:
	v_mul_lo_u32 v34, v19, s26
	v_mul_lo_u32 v35, v18, s27
	v_mad_u64_u32 v[32:33], s[18:19], v18, s26, 0
	v_add3_u32 v33, v33, v35, v34
	s_mov_b64 s[18:19], 0
	s_and_b64 vcc, exec, s[4:5]
	v_lshl_add_u64 v[34:35], s[28:29], 0, v[32:33]
	s_mov_b64 s[36:37], 0
	s_cbranch_vccnz .LBB206_77
; %bb.69:
	global_load_ubyte v32, v[34:35], off
	global_load_ubyte v33, v[30:31], off
	s_mov_b64 s[36:37], -1
	s_waitcnt vmcnt(0)
	v_cmp_eq_u16_e32 vcc, v32, v33
	s_and_saveexec_b64 s[38:39], vcc
	s_cbranch_execz .LBB206_76
; %bb.70:
	s_mov_b64 s[42:43], 1
	s_mov_b64 s[36:37], 0
                                        ; implicit-def: $sgpr40_sgpr41
	s_branch .LBB206_73
.LBB206_71:                             ;   in Loop: Header=BB206_73 Depth=1
	v_lshl_add_u64 v[32:33], v[34:35], 0, s[42:43]
	v_lshl_add_u64 v[44:45], v[30:31], 0, s[42:43]
	global_load_ubyte v46, v[32:33], off
	global_load_ubyte v47, v[44:45], off
	s_add_u32 s44, s42, 1
	s_addc_u32 s45, s43, 0
	s_andn2_b64 s[40:41], s[40:41], exec
	s_waitcnt vmcnt(0)
	v_cmp_ne_u16_e32 vcc, v46, v47
	s_and_b64 s[46:47], vcc, exec
	s_or_b64 s[40:41], s[40:41], s[46:47]
.LBB206_72:                             ;   in Loop: Header=BB206_73 Depth=1
	s_and_b64 s[46:47], exec, s[40:41]
	s_or_b64 s[36:37], s[46:47], s[36:37]
	v_mov_b64_e32 v[32:33], s[42:43]
	s_mov_b64 s[42:43], s[44:45]
	s_andn2_b64 exec, exec, s[36:37]
	s_cbranch_execz .LBB206_75
.LBB206_73:                             ; =>This Inner Loop Header: Depth=1
	s_or_b64 s[40:41], s[40:41], exec
	s_cmp_eq_u64 s[26:27], s[42:43]
	s_cbranch_scc0 .LBB206_71
; %bb.74:                               ;   in Loop: Header=BB206_73 Depth=1
                                        ; implicit-def: $sgpr44_sgpr45
	s_mov_b64 s[42:43], s[26:27]
	s_branch .LBB206_72
.LBB206_75:
	s_or_b64 exec, exec, s[36:37]
	v_cmp_gt_i64_e32 vcc, s[26:27], v[32:33]
	s_orn2_b64 s[36:37], vcc, exec
.LBB206_76:
	s_or_b64 exec, exec, s[38:39]
.LBB206_77:
	v_mul_lo_u32 v32, v25, s26
	v_mul_lo_u32 v33, v24, s27
	v_mad_u64_u32 v[30:31], s[38:39], v24, s26, 0
	v_add3_u32 v31, v31, v33, v32
	s_and_b64 vcc, exec, s[4:5]
	v_lshl_add_u64 v[32:33], s[28:29], 0, v[30:31]
	s_cbranch_vccnz .LBB206_86
; %bb.78:
	global_load_ubyte v30, v[32:33], off
	global_load_ubyte v31, v[34:35], off
	s_mov_b64 s[18:19], -1
	s_waitcnt vmcnt(0)
	v_cmp_eq_u16_e32 vcc, v30, v31
	s_and_saveexec_b64 s[38:39], vcc
	s_cbranch_execz .LBB206_85
; %bb.79:
	s_mov_b64 s[42:43], 1
	s_mov_b64 s[18:19], 0
                                        ; implicit-def: $sgpr40_sgpr41
	s_branch .LBB206_82
.LBB206_80:                             ;   in Loop: Header=BB206_82 Depth=1
	v_lshl_add_u64 v[30:31], v[32:33], 0, s[42:43]
	v_lshl_add_u64 v[44:45], v[34:35], 0, s[42:43]
	global_load_ubyte v46, v[30:31], off
	global_load_ubyte v47, v[44:45], off
	s_add_u32 s44, s42, 1
	s_addc_u32 s45, s43, 0
	s_andn2_b64 s[40:41], s[40:41], exec
	s_waitcnt vmcnt(0)
	v_cmp_ne_u16_e32 vcc, v46, v47
	s_and_b64 s[46:47], vcc, exec
	s_or_b64 s[40:41], s[40:41], s[46:47]
.LBB206_81:                             ;   in Loop: Header=BB206_82 Depth=1
	s_and_b64 s[46:47], exec, s[40:41]
	s_or_b64 s[18:19], s[46:47], s[18:19]
	v_mov_b64_e32 v[30:31], s[42:43]
	s_mov_b64 s[42:43], s[44:45]
	s_andn2_b64 exec, exec, s[18:19]
	s_cbranch_execz .LBB206_84
.LBB206_82:                             ; =>This Inner Loop Header: Depth=1
	s_or_b64 s[40:41], s[40:41], exec
	s_cmp_eq_u64 s[26:27], s[42:43]
	s_cbranch_scc0 .LBB206_80
; %bb.83:                               ;   in Loop: Header=BB206_82 Depth=1
                                        ; implicit-def: $sgpr44_sgpr45
	s_mov_b64 s[42:43], s[26:27]
	s_branch .LBB206_81
.LBB206_84:
	s_or_b64 exec, exec, s[18:19]
	v_cmp_gt_i64_e32 vcc, s[26:27], v[30:31]
	s_orn2_b64 s[18:19], vcc, exec
.LBB206_85:
	s_or_b64 exec, exec, s[38:39]
.LBB206_86:
	v_mul_lo_u32 v34, v23, s26
	v_mul_lo_u32 v35, v22, s27
	v_mad_u64_u32 v[30:31], s[38:39], v22, s26, 0
	v_add3_u32 v31, v31, v35, v34
	s_mov_b64 s[40:41], 0
	s_and_b64 vcc, exec, s[4:5]
	v_lshl_add_u64 v[30:31], s[28:29], 0, v[30:31]
	s_cbranch_vccnz .LBB206_95
; %bb.87:
	global_load_ubyte v34, v[30:31], off
	global_load_ubyte v35, v[32:33], off
	s_mov_b64 s[40:41], -1
	s_waitcnt vmcnt(0)
	v_cmp_eq_u16_e32 vcc, v34, v35
	s_and_saveexec_b64 s[38:39], vcc
	s_cbranch_execz .LBB206_94
; %bb.88:
	s_mov_b64 s[44:45], 1
	s_mov_b64 s[40:41], 0
                                        ; implicit-def: $sgpr42_sgpr43
	s_branch .LBB206_91
.LBB206_89:                             ;   in Loop: Header=BB206_91 Depth=1
	v_lshl_add_u64 v[34:35], v[30:31], 0, s[44:45]
	v_lshl_add_u64 v[44:45], v[32:33], 0, s[44:45]
	global_load_ubyte v46, v[34:35], off
	global_load_ubyte v47, v[44:45], off
	s_add_u32 s46, s44, 1
	s_addc_u32 s47, s45, 0
	s_andn2_b64 s[42:43], s[42:43], exec
	s_waitcnt vmcnt(0)
	v_cmp_ne_u16_e32 vcc, v46, v47
	s_and_b64 s[48:49], vcc, exec
	s_or_b64 s[42:43], s[42:43], s[48:49]
.LBB206_90:                             ;   in Loop: Header=BB206_91 Depth=1
	s_and_b64 s[48:49], exec, s[42:43]
	s_or_b64 s[40:41], s[48:49], s[40:41]
	v_mov_b64_e32 v[34:35], s[44:45]
	s_mov_b64 s[44:45], s[46:47]
	s_andn2_b64 exec, exec, s[40:41]
	s_cbranch_execz .LBB206_93
.LBB206_91:                             ; =>This Inner Loop Header: Depth=1
	s_or_b64 s[42:43], s[42:43], exec
	s_cmp_eq_u64 s[26:27], s[44:45]
	s_cbranch_scc0 .LBB206_89
; %bb.92:                               ;   in Loop: Header=BB206_91 Depth=1
                                        ; implicit-def: $sgpr46_sgpr47
	s_mov_b64 s[44:45], s[26:27]
	s_branch .LBB206_90
.LBB206_93:
	s_or_b64 exec, exec, s[40:41]
	v_cmp_gt_i64_e32 vcc, s[26:27], v[34:35]
	s_orn2_b64 s[40:41], vcc, exec
.LBB206_94:
	s_or_b64 exec, exec, s[38:39]
.LBB206_95:
	v_cmp_ne_u32_e32 vcc, 0, v0
	s_waitcnt lgkmcnt(0)
	v_mov_b64_e32 v[34:35], s[6:7]
	s_barrier
	s_and_saveexec_b64 s[38:39], vcc
	s_cbranch_execz .LBB206_97
; %bb.96:
	v_add_u32_e32 v32, -8, v37
	ds_read_b64 v[34:35], v32
.LBB206_97:
	s_or_b64 exec, exec, s[38:39]
	v_cndmask_b32_e64 v33, 0, 1, s[36:37]
	v_cndmask_b32_e64 v32, 0, 1, s[18:19]
	v_cndmask_b32_e64 v44, 0, 1, s[40:41]
	v_lshlrev_b16_e32 v33, 8, v33
	v_lshlrev_b16_e32 v44, 8, v44
	v_or_b32_sdwa v48, v32, v33 dst_sel:WORD_1 dst_unused:UNUSED_PAD src0_sel:DWORD src1_sel:DWORD
	s_mov_b64 s[36:37], 0
	s_and_b64 vcc, exec, s[4:5]
	s_mov_b64 s[18:19], 0
	s_cbranch_vccnz .LBB206_106
; %bb.98:
	v_mov_b64_e32 v[32:33], s[28:29]
	s_waitcnt lgkmcnt(0)
	v_mad_u64_u32 v[32:33], s[18:19], v34, s26, v[32:33]
	v_mul_lo_u32 v34, v34, s27
	v_mul_lo_u32 v35, v35, s26
	v_add3_u32 v33, v35, v33, v34
	global_load_ubyte v34, v[32:33], off
	global_load_ubyte v35, v[30:31], off
	s_mov_b64 s[18:19], -1
	s_waitcnt vmcnt(0)
	v_cmp_eq_u16_e32 vcc, v34, v35
	s_and_saveexec_b64 s[38:39], vcc
	s_cbranch_execz .LBB206_105
; %bb.99:
	s_mov_b64 s[42:43], 1
	s_mov_b64 s[18:19], 0
                                        ; implicit-def: $sgpr40_sgpr41
	s_branch .LBB206_102
.LBB206_100:                            ;   in Loop: Header=BB206_102 Depth=1
	v_lshl_add_u64 v[34:35], v[32:33], 0, s[42:43]
	v_lshl_add_u64 v[46:47], v[30:31], 0, s[42:43]
	global_load_ubyte v45, v[34:35], off
	global_load_ubyte v49, v[46:47], off
	s_add_u32 s44, s42, 1
	s_addc_u32 s45, s43, 0
	s_andn2_b64 s[40:41], s[40:41], exec
	s_waitcnt vmcnt(0)
	v_cmp_ne_u16_e32 vcc, v45, v49
	s_and_b64 s[46:47], vcc, exec
	s_or_b64 s[40:41], s[40:41], s[46:47]
.LBB206_101:                            ;   in Loop: Header=BB206_102 Depth=1
	s_and_b64 s[46:47], exec, s[40:41]
	s_or_b64 s[18:19], s[46:47], s[18:19]
	v_mov_b64_e32 v[34:35], s[42:43]
	s_mov_b64 s[42:43], s[44:45]
	s_andn2_b64 exec, exec, s[18:19]
	s_cbranch_execz .LBB206_104
.LBB206_102:                            ; =>This Inner Loop Header: Depth=1
	s_or_b64 s[40:41], s[40:41], exec
	s_cmp_eq_u64 s[26:27], s[42:43]
	s_cbranch_scc0 .LBB206_100
; %bb.103:                              ;   in Loop: Header=BB206_102 Depth=1
                                        ; implicit-def: $sgpr44_sgpr45
	s_mov_b64 s[42:43], s[26:27]
	s_branch .LBB206_101
.LBB206_104:
	s_or_b64 exec, exec, s[18:19]
	v_cmp_gt_i64_e32 vcc, s[26:27], v[34:35]
	s_orn2_b64 s[18:19], vcc, exec
.LBB206_105:
	s_or_b64 exec, exec, s[38:39]
.LBB206_106:
	v_cndmask_b32_e64 v45, 0, 1, s[12:13]
	v_cndmask_b32_e64 v46, 0, 1, s[14:15]
	;; [unrolled: 1-line block ×3, first 2 shown]
	s_waitcnt lgkmcnt(0)
	v_or_b32_e32 v34, v44, v48
	s_and_b64 vcc, exec, s[36:37]
	s_cbranch_vccz .LBB206_187
.LBB206_107:
	v_cmp_gt_u32_e32 vcc, s3, v40
	s_mov_b64 s[12:13], 0
	s_mov_b64 s[10:11], 0
	s_and_saveexec_b64 s[14:15], vcc
	s_cbranch_execz .LBB206_118
; %bb.108:
	s_and_b64 vcc, exec, s[4:5]
	s_mov_b64 s[18:19], 0
	s_cbranch_vccnz .LBB206_117
; %bb.109:
	v_mov_b64_e32 v[32:33], s[28:29]
	v_mad_u64_u32 v[30:31], s[10:11], v16, s26, v[32:33]
	v_mul_lo_u32 v34, v16, s27
	v_mul_lo_u32 v35, v17, s26
	v_add3_u32 v31, v35, v31, v34
	v_mad_u64_u32 v[32:33], s[10:11], v28, s26, v[32:33]
	v_mul_lo_u32 v34, v28, s27
	v_mul_lo_u32 v35, v29, s26
	v_add3_u32 v33, v35, v33, v34
	global_load_ubyte v34, v[30:31], off
	global_load_ubyte v35, v[32:33], off
	s_mov_b64 s[18:19], -1
	s_waitcnt vmcnt(0)
	v_cmp_eq_u16_e32 vcc, v34, v35
	s_and_saveexec_b64 s[10:11], vcc
	s_cbranch_execz .LBB206_116
; %bb.110:
	s_mov_b64 s[38:39], 1
	s_mov_b64 s[18:19], 0
                                        ; implicit-def: $sgpr36_sgpr37
	s_branch .LBB206_113
.LBB206_111:                            ;   in Loop: Header=BB206_113 Depth=1
	v_lshl_add_u64 v[34:35], v[30:31], 0, s[38:39]
	v_lshl_add_u64 v[44:45], v[32:33], 0, s[38:39]
	global_load_ubyte v46, v[34:35], off
	global_load_ubyte v47, v[44:45], off
	s_add_u32 s40, s38, 1
	s_addc_u32 s41, s39, 0
	s_andn2_b64 s[36:37], s[36:37], exec
	s_waitcnt vmcnt(0)
	v_cmp_ne_u16_e32 vcc, v46, v47
	s_and_b64 s[42:43], vcc, exec
	s_or_b64 s[36:37], s[36:37], s[42:43]
.LBB206_112:                            ;   in Loop: Header=BB206_113 Depth=1
	s_and_b64 s[42:43], exec, s[36:37]
	s_or_b64 s[18:19], s[42:43], s[18:19]
	v_mov_b64_e32 v[34:35], s[38:39]
	s_mov_b64 s[38:39], s[40:41]
	s_andn2_b64 exec, exec, s[18:19]
	s_cbranch_execz .LBB206_115
.LBB206_113:                            ; =>This Inner Loop Header: Depth=1
	s_or_b64 s[36:37], s[36:37], exec
	s_cmp_eq_u64 s[26:27], s[38:39]
	s_cbranch_scc0 .LBB206_111
; %bb.114:                              ;   in Loop: Header=BB206_113 Depth=1
                                        ; implicit-def: $sgpr40_sgpr41
	s_mov_b64 s[38:39], s[26:27]
	s_branch .LBB206_112
.LBB206_115:
	s_or_b64 exec, exec, s[18:19]
	v_cmp_gt_i64_e32 vcc, s[26:27], v[34:35]
	s_orn2_b64 s[18:19], vcc, exec
.LBB206_116:
	s_or_b64 exec, exec, s[10:11]
.LBB206_117:
	s_and_b64 s[10:11], s[18:19], exec
.LBB206_118:
	s_or_b64 exec, exec, s[14:15]
	v_cmp_gt_u32_e32 vcc, s3, v43
	s_and_saveexec_b64 s[14:15], vcc
	s_cbranch_execz .LBB206_129
; %bb.119:
	s_and_b64 vcc, exec, s[4:5]
	s_mov_b64 s[18:19], 0
	s_cbranch_vccnz .LBB206_128
; %bb.120:
	v_mov_b64_e32 v[32:33], s[28:29]
	v_mad_u64_u32 v[30:31], s[12:13], v14, s26, v[32:33]
	v_mul_lo_u32 v34, v14, s27
	v_mul_lo_u32 v35, v15, s26
	v_add3_u32 v31, v35, v31, v34
	v_mad_u64_u32 v[32:33], s[12:13], v16, s26, v[32:33]
	v_mul_lo_u32 v34, v16, s27
	v_mul_lo_u32 v35, v17, s26
	v_add3_u32 v33, v35, v33, v34
	global_load_ubyte v34, v[30:31], off
	global_load_ubyte v35, v[32:33], off
	s_mov_b64 s[18:19], -1
	s_waitcnt vmcnt(0)
	v_cmp_eq_u16_e32 vcc, v34, v35
	s_and_saveexec_b64 s[12:13], vcc
	s_cbranch_execz .LBB206_127
; %bb.121:
	s_mov_b64 s[38:39], 1
	s_mov_b64 s[18:19], 0
                                        ; implicit-def: $sgpr36_sgpr37
	s_branch .LBB206_124
.LBB206_122:                            ;   in Loop: Header=BB206_124 Depth=1
	v_lshl_add_u64 v[34:35], v[30:31], 0, s[38:39]
	v_lshl_add_u64 v[44:45], v[32:33], 0, s[38:39]
	global_load_ubyte v46, v[34:35], off
	global_load_ubyte v47, v[44:45], off
	s_add_u32 s40, s38, 1
	s_addc_u32 s41, s39, 0
	s_andn2_b64 s[36:37], s[36:37], exec
	s_waitcnt vmcnt(0)
	v_cmp_ne_u16_e32 vcc, v46, v47
	s_and_b64 s[42:43], vcc, exec
	s_or_b64 s[36:37], s[36:37], s[42:43]
.LBB206_123:                            ;   in Loop: Header=BB206_124 Depth=1
	s_and_b64 s[42:43], exec, s[36:37]
	s_or_b64 s[18:19], s[42:43], s[18:19]
	v_mov_b64_e32 v[34:35], s[38:39]
	s_mov_b64 s[38:39], s[40:41]
	s_andn2_b64 exec, exec, s[18:19]
	s_cbranch_execz .LBB206_126
.LBB206_124:                            ; =>This Inner Loop Header: Depth=1
	s_or_b64 s[36:37], s[36:37], exec
	s_cmp_eq_u64 s[26:27], s[38:39]
	s_cbranch_scc0 .LBB206_122
; %bb.125:                              ;   in Loop: Header=BB206_124 Depth=1
                                        ; implicit-def: $sgpr40_sgpr41
	s_mov_b64 s[38:39], s[26:27]
	s_branch .LBB206_123
.LBB206_126:
	s_or_b64 exec, exec, s[18:19]
	v_cmp_gt_i64_e32 vcc, s[26:27], v[34:35]
	s_orn2_b64 s[18:19], vcc, exec
.LBB206_127:
	s_or_b64 exec, exec, s[12:13]
.LBB206_128:
	s_and_b64 s[12:13], s[18:19], exec
.LBB206_129:
	s_or_b64 exec, exec, s[14:15]
	v_cmp_gt_u32_e32 vcc, s3, v39
	s_mov_b64 s[18:19], 0
	s_mov_b64 s[14:15], 0
	s_and_saveexec_b64 s[36:37], vcc
	s_cbranch_execz .LBB206_140
; %bb.130:
	s_and_b64 vcc, exec, s[4:5]
	s_mov_b64 s[38:39], 0
	s_cbranch_vccnz .LBB206_139
; %bb.131:
	v_mov_b64_e32 v[32:33], s[28:29]
	v_mad_u64_u32 v[30:31], s[14:15], v20, s26, v[32:33]
	v_mul_lo_u32 v34, v20, s27
	v_mul_lo_u32 v35, v21, s26
	v_add3_u32 v31, v35, v31, v34
	v_mad_u64_u32 v[32:33], s[14:15], v14, s26, v[32:33]
	v_mul_lo_u32 v34, v14, s27
	v_mul_lo_u32 v35, v15, s26
	v_add3_u32 v33, v35, v33, v34
	global_load_ubyte v34, v[30:31], off
	global_load_ubyte v35, v[32:33], off
	s_mov_b64 s[38:39], -1
	s_waitcnt vmcnt(0)
	v_cmp_eq_u16_e32 vcc, v34, v35
	s_and_saveexec_b64 s[14:15], vcc
	s_cbranch_execz .LBB206_138
; %bb.132:
	s_mov_b64 s[42:43], 1
	s_mov_b64 s[38:39], 0
                                        ; implicit-def: $sgpr40_sgpr41
	s_branch .LBB206_135
.LBB206_133:                            ;   in Loop: Header=BB206_135 Depth=1
	v_lshl_add_u64 v[34:35], v[30:31], 0, s[42:43]
	v_lshl_add_u64 v[44:45], v[32:33], 0, s[42:43]
	global_load_ubyte v46, v[34:35], off
	global_load_ubyte v47, v[44:45], off
	s_add_u32 s44, s42, 1
	s_addc_u32 s45, s43, 0
	s_andn2_b64 s[40:41], s[40:41], exec
	s_waitcnt vmcnt(0)
	v_cmp_ne_u16_e32 vcc, v46, v47
	s_and_b64 s[46:47], vcc, exec
	s_or_b64 s[40:41], s[40:41], s[46:47]
.LBB206_134:                            ;   in Loop: Header=BB206_135 Depth=1
	s_and_b64 s[46:47], exec, s[40:41]
	s_or_b64 s[38:39], s[46:47], s[38:39]
	v_mov_b64_e32 v[34:35], s[42:43]
	s_mov_b64 s[42:43], s[44:45]
	s_andn2_b64 exec, exec, s[38:39]
	s_cbranch_execz .LBB206_137
.LBB206_135:                            ; =>This Inner Loop Header: Depth=1
	s_or_b64 s[40:41], s[40:41], exec
	s_cmp_eq_u64 s[26:27], s[42:43]
	s_cbranch_scc0 .LBB206_133
; %bb.136:                              ;   in Loop: Header=BB206_135 Depth=1
                                        ; implicit-def: $sgpr44_sgpr45
	s_mov_b64 s[42:43], s[26:27]
	s_branch .LBB206_134
.LBB206_137:
	s_or_b64 exec, exec, s[38:39]
	v_cmp_gt_i64_e32 vcc, s[26:27], v[34:35]
	s_orn2_b64 s[38:39], vcc, exec
.LBB206_138:
	s_or_b64 exec, exec, s[14:15]
.LBB206_139:
	s_and_b64 s[14:15], s[38:39], exec
.LBB206_140:
	s_or_b64 exec, exec, s[36:37]
	v_cmp_gt_u32_e32 vcc, s3, v42
	s_and_saveexec_b64 s[36:37], vcc
	s_cbranch_execz .LBB206_151
; %bb.141:
	s_and_b64 vcc, exec, s[4:5]
	s_mov_b64 s[38:39], 0
	s_cbranch_vccnz .LBB206_150
; %bb.142:
	v_mov_b64_e32 v[32:33], s[28:29]
	v_mad_u64_u32 v[30:31], s[18:19], v18, s26, v[32:33]
	v_mul_lo_u32 v34, v18, s27
	v_mul_lo_u32 v35, v19, s26
	v_add3_u32 v31, v35, v31, v34
	v_mad_u64_u32 v[32:33], s[18:19], v20, s26, v[32:33]
	v_mul_lo_u32 v34, v20, s27
	v_mul_lo_u32 v35, v21, s26
	v_add3_u32 v33, v35, v33, v34
	global_load_ubyte v34, v[30:31], off
	global_load_ubyte v35, v[32:33], off
	s_mov_b64 s[38:39], -1
	s_waitcnt vmcnt(0)
	v_cmp_eq_u16_e32 vcc, v34, v35
	s_and_saveexec_b64 s[18:19], vcc
	s_cbranch_execz .LBB206_149
; %bb.143:
	s_mov_b64 s[42:43], 1
	s_mov_b64 s[38:39], 0
                                        ; implicit-def: $sgpr40_sgpr41
	s_branch .LBB206_146
.LBB206_144:                            ;   in Loop: Header=BB206_146 Depth=1
	v_lshl_add_u64 v[34:35], v[30:31], 0, s[42:43]
	v_lshl_add_u64 v[44:45], v[32:33], 0, s[42:43]
	global_load_ubyte v46, v[34:35], off
	global_load_ubyte v47, v[44:45], off
	s_add_u32 s44, s42, 1
	s_addc_u32 s45, s43, 0
	s_andn2_b64 s[40:41], s[40:41], exec
	s_waitcnt vmcnt(0)
	v_cmp_ne_u16_e32 vcc, v46, v47
	s_and_b64 s[46:47], vcc, exec
	s_or_b64 s[40:41], s[40:41], s[46:47]
.LBB206_145:                            ;   in Loop: Header=BB206_146 Depth=1
	s_and_b64 s[46:47], exec, s[40:41]
	s_or_b64 s[38:39], s[46:47], s[38:39]
	v_mov_b64_e32 v[34:35], s[42:43]
	s_mov_b64 s[42:43], s[44:45]
	s_andn2_b64 exec, exec, s[38:39]
	s_cbranch_execz .LBB206_148
.LBB206_146:                            ; =>This Inner Loop Header: Depth=1
	s_or_b64 s[40:41], s[40:41], exec
	s_cmp_eq_u64 s[26:27], s[42:43]
	s_cbranch_scc0 .LBB206_144
; %bb.147:                              ;   in Loop: Header=BB206_146 Depth=1
                                        ; implicit-def: $sgpr44_sgpr45
	s_mov_b64 s[42:43], s[26:27]
	s_branch .LBB206_145
.LBB206_148:
	s_or_b64 exec, exec, s[38:39]
	v_cmp_gt_i64_e32 vcc, s[26:27], v[34:35]
	s_orn2_b64 s[38:39], vcc, exec
.LBB206_149:
	s_or_b64 exec, exec, s[18:19]
.LBB206_150:
	s_and_b64 s[18:19], s[38:39], exec
.LBB206_151:
	s_or_b64 exec, exec, s[36:37]
	v_cmp_gt_u32_e32 vcc, s3, v38
	s_mov_b64 s[36:37], 0
	s_mov_b64 s[38:39], 0
	s_and_saveexec_b64 s[40:41], vcc
	s_cbranch_execz .LBB206_162
; %bb.152:
	s_and_b64 vcc, exec, s[4:5]
	s_mov_b64 s[42:43], 0
	s_cbranch_vccnz .LBB206_161
; %bb.153:
	v_mov_b64_e32 v[32:33], s[28:29]
	v_mad_u64_u32 v[30:31], s[38:39], v24, s26, v[32:33]
	v_mul_lo_u32 v34, v24, s27
	v_mul_lo_u32 v35, v25, s26
	v_add3_u32 v31, v35, v31, v34
	v_mad_u64_u32 v[32:33], s[38:39], v18, s26, v[32:33]
	v_mul_lo_u32 v34, v18, s27
	v_mul_lo_u32 v35, v19, s26
	v_add3_u32 v33, v35, v33, v34
	global_load_ubyte v34, v[30:31], off
	global_load_ubyte v35, v[32:33], off
	s_mov_b64 s[42:43], -1
	s_waitcnt vmcnt(0)
	v_cmp_eq_u16_e32 vcc, v34, v35
	s_and_saveexec_b64 s[38:39], vcc
	s_cbranch_execz .LBB206_160
; %bb.154:
	s_mov_b64 s[46:47], 1
	s_mov_b64 s[42:43], 0
                                        ; implicit-def: $sgpr44_sgpr45
	s_branch .LBB206_157
.LBB206_155:                            ;   in Loop: Header=BB206_157 Depth=1
	v_lshl_add_u64 v[34:35], v[30:31], 0, s[46:47]
	v_lshl_add_u64 v[44:45], v[32:33], 0, s[46:47]
	global_load_ubyte v46, v[34:35], off
	global_load_ubyte v47, v[44:45], off
	s_add_u32 s48, s46, 1
	s_addc_u32 s49, s47, 0
	s_andn2_b64 s[44:45], s[44:45], exec
	s_waitcnt vmcnt(0)
	v_cmp_ne_u16_e32 vcc, v46, v47
	s_and_b64 s[50:51], vcc, exec
	s_or_b64 s[44:45], s[44:45], s[50:51]
.LBB206_156:                            ;   in Loop: Header=BB206_157 Depth=1
	s_and_b64 s[50:51], exec, s[44:45]
	s_or_b64 s[42:43], s[50:51], s[42:43]
	v_mov_b64_e32 v[34:35], s[46:47]
	s_mov_b64 s[46:47], s[48:49]
	s_andn2_b64 exec, exec, s[42:43]
	s_cbranch_execz .LBB206_159
.LBB206_157:                            ; =>This Inner Loop Header: Depth=1
	s_or_b64 s[44:45], s[44:45], exec
	s_cmp_eq_u64 s[26:27], s[46:47]
	s_cbranch_scc0 .LBB206_155
; %bb.158:                              ;   in Loop: Header=BB206_157 Depth=1
                                        ; implicit-def: $sgpr48_sgpr49
	s_mov_b64 s[46:47], s[26:27]
	s_branch .LBB206_156
.LBB206_159:
	s_or_b64 exec, exec, s[42:43]
	v_cmp_gt_i64_e32 vcc, s[26:27], v[34:35]
	s_orn2_b64 s[42:43], vcc, exec
.LBB206_160:
	s_or_b64 exec, exec, s[38:39]
.LBB206_161:
	s_and_b64 s[38:39], s[42:43], exec
.LBB206_162:
	s_or_b64 exec, exec, s[40:41]
	v_cmp_gt_u32_e32 vcc, s3, v41
	s_and_saveexec_b64 s[40:41], vcc
	s_cbranch_execz .LBB206_173
; %bb.163:
	s_and_b64 vcc, exec, s[4:5]
	s_mov_b64 s[42:43], 0
	s_cbranch_vccnz .LBB206_172
; %bb.164:
	v_mov_b64_e32 v[32:33], s[28:29]
	v_mad_u64_u32 v[30:31], s[36:37], v22, s26, v[32:33]
	v_mul_lo_u32 v34, v22, s27
	v_mul_lo_u32 v35, v23, s26
	v_add3_u32 v31, v35, v31, v34
	v_mad_u64_u32 v[32:33], s[36:37], v24, s26, v[32:33]
	v_mul_lo_u32 v34, v24, s27
	v_mul_lo_u32 v35, v25, s26
	v_add3_u32 v33, v35, v33, v34
	global_load_ubyte v34, v[30:31], off
	global_load_ubyte v35, v[32:33], off
	s_mov_b64 s[42:43], -1
	s_waitcnt vmcnt(0)
	v_cmp_eq_u16_e32 vcc, v34, v35
	s_and_saveexec_b64 s[36:37], vcc
	s_cbranch_execz .LBB206_171
; %bb.165:
	s_mov_b64 s[46:47], 1
	s_mov_b64 s[42:43], 0
                                        ; implicit-def: $sgpr44_sgpr45
	s_branch .LBB206_168
.LBB206_166:                            ;   in Loop: Header=BB206_168 Depth=1
	v_lshl_add_u64 v[34:35], v[30:31], 0, s[46:47]
	v_lshl_add_u64 v[44:45], v[32:33], 0, s[46:47]
	global_load_ubyte v46, v[34:35], off
	global_load_ubyte v47, v[44:45], off
	s_add_u32 s48, s46, 1
	s_addc_u32 s49, s47, 0
	s_andn2_b64 s[44:45], s[44:45], exec
	s_waitcnt vmcnt(0)
	v_cmp_ne_u16_e32 vcc, v46, v47
	s_and_b64 s[50:51], vcc, exec
	s_or_b64 s[44:45], s[44:45], s[50:51]
.LBB206_167:                            ;   in Loop: Header=BB206_168 Depth=1
	s_and_b64 s[50:51], exec, s[44:45]
	s_or_b64 s[42:43], s[50:51], s[42:43]
	v_mov_b64_e32 v[34:35], s[46:47]
	s_mov_b64 s[46:47], s[48:49]
	s_andn2_b64 exec, exec, s[42:43]
	s_cbranch_execz .LBB206_170
.LBB206_168:                            ; =>This Inner Loop Header: Depth=1
	s_or_b64 s[44:45], s[44:45], exec
	s_cmp_eq_u64 s[26:27], s[46:47]
	s_cbranch_scc0 .LBB206_166
; %bb.169:                              ;   in Loop: Header=BB206_168 Depth=1
                                        ; implicit-def: $sgpr48_sgpr49
	s_mov_b64 s[46:47], s[26:27]
	s_branch .LBB206_167
.LBB206_170:
	s_or_b64 exec, exec, s[42:43]
	v_cmp_gt_i64_e32 vcc, s[26:27], v[34:35]
	s_orn2_b64 s[42:43], vcc, exec
.LBB206_171:
	s_or_b64 exec, exec, s[36:37]
.LBB206_172:
	s_and_b64 s[36:37], s[42:43], exec
.LBB206_173:
	s_or_b64 exec, exec, s[40:41]
	v_cmp_ne_u32_e32 vcc, 0, v0
	s_waitcnt lgkmcnt(0)
	v_mov_b64_e32 v[32:33], s[6:7]
	s_barrier
	s_and_saveexec_b64 s[6:7], vcc
	s_cbranch_execz .LBB206_175
; %bb.174:
	v_add_u32_e32 v30, -8, v37
	ds_read_b64 v[32:33], v30
.LBB206_175:
	s_or_b64 exec, exec, s[6:7]
	v_cndmask_b32_e64 v31, 0, 1, s[18:19]
	v_cndmask_b32_e64 v30, 0, 1, s[38:39]
	;; [unrolled: 1-line block ×3, first 2 shown]
	v_lshlrev_b16_e32 v31, 8, v31
	v_cmp_gt_u32_e32 vcc, s3, v1
	v_lshlrev_b16_e32 v37, 8, v34
	v_or_b32_sdwa v44, v30, v31 dst_sel:WORD_1 dst_unused:UNUSED_PAD src0_sel:DWORD src1_sel:DWORD
	s_mov_b64 s[18:19], 0
	s_and_saveexec_b64 s[6:7], vcc
	s_cbranch_execz .LBB206_186
; %bb.176:
	s_and_b64 vcc, exec, s[4:5]
	s_cbranch_vccnz .LBB206_185
; %bb.177:
	v_mov_b64_e32 v[34:35], s[28:29]
	s_waitcnt lgkmcnt(0)
	v_mad_u64_u32 v[30:31], s[4:5], v32, s26, v[34:35]
	v_mul_lo_u32 v32, v32, s27
	v_mul_lo_u32 v33, v33, s26
	v_add3_u32 v31, v33, v31, v32
	v_mad_u64_u32 v[32:33], s[4:5], v22, s26, v[34:35]
	v_mul_lo_u32 v34, v22, s27
	v_mul_lo_u32 v35, v23, s26
	v_add3_u32 v33, v35, v33, v34
	global_load_ubyte v34, v[30:31], off
	global_load_ubyte v35, v[32:33], off
	s_mov_b64 s[18:19], -1
	s_waitcnt vmcnt(0)
	v_cmp_eq_u16_e32 vcc, v34, v35
	s_and_saveexec_b64 s[4:5], vcc
	s_cbranch_execz .LBB206_184
; %bb.178:
	s_mov_b64 s[38:39], 1
	s_mov_b64 s[18:19], 0
                                        ; implicit-def: $sgpr36_sgpr37
	s_branch .LBB206_181
.LBB206_179:                            ;   in Loop: Header=BB206_181 Depth=1
	v_lshl_add_u64 v[34:35], v[30:31], 0, s[38:39]
	v_lshl_add_u64 v[46:47], v[32:33], 0, s[38:39]
	global_load_ubyte v45, v[34:35], off
	global_load_ubyte v48, v[46:47], off
	s_add_u32 s40, s38, 1
	s_addc_u32 s41, s39, 0
	s_andn2_b64 s[36:37], s[36:37], exec
	s_waitcnt vmcnt(0)
	v_cmp_ne_u16_e32 vcc, v45, v48
	s_and_b64 s[42:43], vcc, exec
	s_or_b64 s[36:37], s[36:37], s[42:43]
.LBB206_180:                            ;   in Loop: Header=BB206_181 Depth=1
	s_and_b64 s[42:43], exec, s[36:37]
	s_or_b64 s[18:19], s[42:43], s[18:19]
	v_mov_b64_e32 v[34:35], s[38:39]
	s_mov_b64 s[38:39], s[40:41]
	s_andn2_b64 exec, exec, s[18:19]
	s_cbranch_execz .LBB206_183
.LBB206_181:                            ; =>This Inner Loop Header: Depth=1
	s_or_b64 s[36:37], s[36:37], exec
	s_cmp_eq_u64 s[26:27], s[38:39]
	s_cbranch_scc0 .LBB206_179
; %bb.182:                              ;   in Loop: Header=BB206_181 Depth=1
                                        ; implicit-def: $sgpr40_sgpr41
	s_mov_b64 s[38:39], s[26:27]
	s_branch .LBB206_180
.LBB206_183:
	s_or_b64 exec, exec, s[18:19]
	v_cmp_gt_i64_e32 vcc, s[26:27], v[34:35]
	s_orn2_b64 s[18:19], vcc, exec
.LBB206_184:
	s_or_b64 exec, exec, s[4:5]
.LBB206_185:
	s_and_b64 s[18:19], s[18:19], exec
.LBB206_186:
	s_or_b64 exec, exec, s[6:7]
	v_cndmask_b32_e64 v45, 0, 1, s[14:15]
	v_cndmask_b32_e64 v46, 0, 1, s[12:13]
	;; [unrolled: 1-line block ×3, first 2 shown]
	v_or_b32_e32 v34, v37, v44
.LBB206_187:
	s_mov_b64 s[10:11], -1
	s_cbranch_execnz .LBB206_46
.LBB206_188:
	s_movk_i32 s4, 0xffd0
	v_mad_i32_i24 v44, v0, s4, v36
	s_mov_b64 s[12:13], 0
	s_waitcnt lgkmcnt(0)
	v_cmp_gt_i64_e64 s[6:7], s[26:27], 0
	s_and_b64 vcc, exec, s[34:35]
	ds_write_b64 v44, v[28:29]
	s_cbranch_vccz .LBB206_196
; %bb.189:
	v_mul_lo_u32 v32, v17, s26
	v_mul_lo_u32 v33, v16, s27
	v_mad_u64_u32 v[30:31], s[4:5], v16, s26, 0
	v_add3_u32 v31, v31, v33, v32
	v_cndmask_b32_e64 v32, 0, 1, s[6:7]
	v_cmp_ne_u32_e64 s[4:5], 1, v32
	s_andn2_b64 vcc, exec, s[6:7]
	v_lshl_add_u64 v[30:31], s[28:29], 0, v[30:31]
	s_cbranch_vccnz .LBB206_199
; %bb.190:
	v_mov_b64_e32 v[32:33], s[28:29]
	v_mad_u64_u32 v[32:33], s[12:13], v28, s26, v[32:33]
	v_mul_lo_u32 v34, v28, s27
	v_mul_lo_u32 v35, v29, s26
	v_add3_u32 v33, v35, v33, v34
	global_load_ubyte v34, v[30:31], off
	global_load_ubyte v35, v[32:33], off
	s_mov_b64 s[12:13], -1
	s_waitcnt vmcnt(0)
	v_cmp_eq_u16_e32 vcc, v34, v35
	s_and_saveexec_b64 s[14:15], vcc
	s_cbranch_execz .LBB206_198
; %bb.191:
	s_mov_b64 s[36:37], 1
	s_mov_b64 s[12:13], 0
                                        ; implicit-def: $sgpr18_sgpr19
	s_branch .LBB206_194
.LBB206_192:                            ;   in Loop: Header=BB206_194 Depth=1
	v_lshl_add_u64 v[34:35], v[30:31], 0, s[36:37]
	v_lshl_add_u64 v[36:37], v[32:33], 0, s[36:37]
	global_load_ubyte v45, v[34:35], off
	global_load_ubyte v46, v[36:37], off
	s_add_u32 s38, s36, 1
	s_addc_u32 s39, s37, 0
	s_andn2_b64 s[18:19], s[18:19], exec
	s_waitcnt vmcnt(0)
	v_cmp_ne_u16_e32 vcc, v45, v46
	s_and_b64 s[40:41], vcc, exec
	s_or_b64 s[18:19], s[18:19], s[40:41]
.LBB206_193:                            ;   in Loop: Header=BB206_194 Depth=1
	s_and_b64 s[40:41], exec, s[18:19]
	s_or_b64 s[12:13], s[40:41], s[12:13]
	v_mov_b64_e32 v[34:35], s[36:37]
	s_mov_b64 s[36:37], s[38:39]
	s_andn2_b64 exec, exec, s[12:13]
	s_cbranch_execz .LBB206_197
.LBB206_194:                            ; =>This Inner Loop Header: Depth=1
	s_or_b64 s[18:19], s[18:19], exec
	s_cmp_eq_u64 s[26:27], s[36:37]
	s_cbranch_scc0 .LBB206_192
; %bb.195:                              ;   in Loop: Header=BB206_194 Depth=1
                                        ; implicit-def: $sgpr38_sgpr39
	s_mov_b64 s[36:37], s[26:27]
	s_branch .LBB206_193
.LBB206_196:
                                        ; implicit-def: $sgpr18_sgpr19
                                        ; implicit-def: $vgpr47
                                        ; implicit-def: $vgpr46
                                        ; implicit-def: $vgpr45
                                        ; implicit-def: $vgpr34
                                        ; implicit-def: $vgpr30_vgpr31
	s_cbranch_execnz .LBB206_256
	s_branch .LBB206_336
.LBB206_197:
	s_or_b64 exec, exec, s[12:13]
	v_cmp_gt_i64_e32 vcc, s[26:27], v[34:35]
	s_orn2_b64 s[12:13], vcc, exec
.LBB206_198:
	s_or_b64 exec, exec, s[14:15]
.LBB206_199:
	v_mul_lo_u32 v34, v15, s26
	v_mul_lo_u32 v35, v14, s27
	v_mad_u64_u32 v[32:33], s[14:15], v14, s26, 0
	v_add3_u32 v33, v33, v35, v34
	s_mov_b64 s[14:15], 0
	s_and_b64 vcc, exec, s[4:5]
	v_lshl_add_u64 v[32:33], s[28:29], 0, v[32:33]
	s_mov_b64 s[18:19], 0
	s_cbranch_vccnz .LBB206_208
; %bb.200:
	global_load_ubyte v34, v[32:33], off
	global_load_ubyte v35, v[30:31], off
	s_mov_b64 s[18:19], -1
	s_waitcnt vmcnt(0)
	v_cmp_eq_u16_e32 vcc, v34, v35
	s_and_saveexec_b64 s[36:37], vcc
	s_cbranch_execz .LBB206_207
; %bb.201:
	s_mov_b64 s[40:41], 1
	s_mov_b64 s[18:19], 0
                                        ; implicit-def: $sgpr38_sgpr39
	s_branch .LBB206_204
.LBB206_202:                            ;   in Loop: Header=BB206_204 Depth=1
	v_lshl_add_u64 v[34:35], v[32:33], 0, s[40:41]
	v_lshl_add_u64 v[36:37], v[30:31], 0, s[40:41]
	global_load_ubyte v45, v[34:35], off
	global_load_ubyte v46, v[36:37], off
	s_add_u32 s42, s40, 1
	s_addc_u32 s43, s41, 0
	s_andn2_b64 s[38:39], s[38:39], exec
	s_waitcnt vmcnt(0)
	v_cmp_ne_u16_e32 vcc, v45, v46
	s_and_b64 s[44:45], vcc, exec
	s_or_b64 s[38:39], s[38:39], s[44:45]
.LBB206_203:                            ;   in Loop: Header=BB206_204 Depth=1
	s_and_b64 s[44:45], exec, s[38:39]
	s_or_b64 s[18:19], s[44:45], s[18:19]
	v_mov_b64_e32 v[34:35], s[40:41]
	s_mov_b64 s[40:41], s[42:43]
	s_andn2_b64 exec, exec, s[18:19]
	s_cbranch_execz .LBB206_206
.LBB206_204:                            ; =>This Inner Loop Header: Depth=1
	s_or_b64 s[38:39], s[38:39], exec
	s_cmp_eq_u64 s[26:27], s[40:41]
	s_cbranch_scc0 .LBB206_202
; %bb.205:                              ;   in Loop: Header=BB206_204 Depth=1
                                        ; implicit-def: $sgpr42_sgpr43
	s_mov_b64 s[40:41], s[26:27]
	s_branch .LBB206_203
.LBB206_206:
	s_or_b64 exec, exec, s[18:19]
	v_cmp_gt_i64_e32 vcc, s[26:27], v[34:35]
	s_orn2_b64 s[18:19], vcc, exec
.LBB206_207:
	s_or_b64 exec, exec, s[36:37]
.LBB206_208:
	v_mul_lo_u32 v34, v21, s26
	v_mul_lo_u32 v35, v20, s27
	v_mad_u64_u32 v[30:31], s[36:37], v20, s26, 0
	v_add3_u32 v31, v31, v35, v34
	s_and_b64 vcc, exec, s[4:5]
	v_lshl_add_u64 v[30:31], s[28:29], 0, v[30:31]
	s_cbranch_vccnz .LBB206_217
; %bb.209:
	global_load_ubyte v34, v[30:31], off
	global_load_ubyte v35, v[32:33], off
	s_mov_b64 s[14:15], -1
	s_waitcnt vmcnt(0)
	v_cmp_eq_u16_e32 vcc, v34, v35
	s_and_saveexec_b64 s[36:37], vcc
	s_cbranch_execz .LBB206_216
; %bb.210:
	s_mov_b64 s[40:41], 1
	s_mov_b64 s[14:15], 0
                                        ; implicit-def: $sgpr38_sgpr39
	s_branch .LBB206_213
.LBB206_211:                            ;   in Loop: Header=BB206_213 Depth=1
	v_lshl_add_u64 v[34:35], v[30:31], 0, s[40:41]
	v_lshl_add_u64 v[36:37], v[32:33], 0, s[40:41]
	global_load_ubyte v45, v[34:35], off
	global_load_ubyte v46, v[36:37], off
	s_add_u32 s42, s40, 1
	s_addc_u32 s43, s41, 0
	s_andn2_b64 s[38:39], s[38:39], exec
	s_waitcnt vmcnt(0)
	v_cmp_ne_u16_e32 vcc, v45, v46
	s_and_b64 s[44:45], vcc, exec
	s_or_b64 s[38:39], s[38:39], s[44:45]
.LBB206_212:                            ;   in Loop: Header=BB206_213 Depth=1
	s_and_b64 s[44:45], exec, s[38:39]
	s_or_b64 s[14:15], s[44:45], s[14:15]
	v_mov_b64_e32 v[34:35], s[40:41]
	s_mov_b64 s[40:41], s[42:43]
	s_andn2_b64 exec, exec, s[14:15]
	s_cbranch_execz .LBB206_215
.LBB206_213:                            ; =>This Inner Loop Header: Depth=1
	s_or_b64 s[38:39], s[38:39], exec
	s_cmp_eq_u64 s[26:27], s[40:41]
	s_cbranch_scc0 .LBB206_211
; %bb.214:                              ;   in Loop: Header=BB206_213 Depth=1
                                        ; implicit-def: $sgpr42_sgpr43
	s_mov_b64 s[40:41], s[26:27]
	s_branch .LBB206_212
.LBB206_215:
	s_or_b64 exec, exec, s[14:15]
	v_cmp_gt_i64_e32 vcc, s[26:27], v[34:35]
	s_orn2_b64 s[14:15], vcc, exec
.LBB206_216:
	s_or_b64 exec, exec, s[36:37]
.LBB206_217:
	v_mul_lo_u32 v34, v19, s26
	v_mul_lo_u32 v35, v18, s27
	v_mad_u64_u32 v[32:33], s[36:37], v18, s26, 0
	v_add3_u32 v33, v33, v35, v34
	s_mov_b64 s[36:37], 0
	s_and_b64 vcc, exec, s[4:5]
	v_lshl_add_u64 v[32:33], s[28:29], 0, v[32:33]
	s_mov_b64 s[38:39], 0
	s_cbranch_vccnz .LBB206_226
; %bb.218:
	global_load_ubyte v34, v[32:33], off
	global_load_ubyte v35, v[30:31], off
	s_mov_b64 s[38:39], -1
	s_waitcnt vmcnt(0)
	v_cmp_eq_u16_e32 vcc, v34, v35
	s_and_saveexec_b64 s[40:41], vcc
	s_cbranch_execz .LBB206_225
; %bb.219:
	s_mov_b64 s[44:45], 1
	s_mov_b64 s[38:39], 0
                                        ; implicit-def: $sgpr42_sgpr43
	s_branch .LBB206_222
.LBB206_220:                            ;   in Loop: Header=BB206_222 Depth=1
	v_lshl_add_u64 v[34:35], v[32:33], 0, s[44:45]
	v_lshl_add_u64 v[36:37], v[30:31], 0, s[44:45]
	global_load_ubyte v45, v[34:35], off
	global_load_ubyte v46, v[36:37], off
	s_add_u32 s46, s44, 1
	s_addc_u32 s47, s45, 0
	s_andn2_b64 s[42:43], s[42:43], exec
	s_waitcnt vmcnt(0)
	v_cmp_ne_u16_e32 vcc, v45, v46
	s_and_b64 s[48:49], vcc, exec
	s_or_b64 s[42:43], s[42:43], s[48:49]
.LBB206_221:                            ;   in Loop: Header=BB206_222 Depth=1
	s_and_b64 s[48:49], exec, s[42:43]
	s_or_b64 s[38:39], s[48:49], s[38:39]
	v_mov_b64_e32 v[34:35], s[44:45]
	s_mov_b64 s[44:45], s[46:47]
	s_andn2_b64 exec, exec, s[38:39]
	s_cbranch_execz .LBB206_224
.LBB206_222:                            ; =>This Inner Loop Header: Depth=1
	s_or_b64 s[42:43], s[42:43], exec
	s_cmp_eq_u64 s[26:27], s[44:45]
	s_cbranch_scc0 .LBB206_220
; %bb.223:                              ;   in Loop: Header=BB206_222 Depth=1
                                        ; implicit-def: $sgpr46_sgpr47
	s_mov_b64 s[44:45], s[26:27]
	s_branch .LBB206_221
.LBB206_224:
	s_or_b64 exec, exec, s[38:39]
	v_cmp_gt_i64_e32 vcc, s[26:27], v[34:35]
	s_orn2_b64 s[38:39], vcc, exec
.LBB206_225:
	s_or_b64 exec, exec, s[40:41]
.LBB206_226:
	v_mul_lo_u32 v34, v25, s26
	v_mul_lo_u32 v35, v24, s27
	v_mad_u64_u32 v[30:31], s[40:41], v24, s26, 0
	v_add3_u32 v31, v31, v35, v34
	s_and_b64 vcc, exec, s[4:5]
	v_lshl_add_u64 v[30:31], s[28:29], 0, v[30:31]
	s_cbranch_vccnz .LBB206_235
; %bb.227:
	global_load_ubyte v34, v[30:31], off
	global_load_ubyte v35, v[32:33], off
	s_mov_b64 s[36:37], -1
	s_waitcnt vmcnt(0)
	v_cmp_eq_u16_e32 vcc, v34, v35
	s_and_saveexec_b64 s[40:41], vcc
	s_cbranch_execz .LBB206_234
; %bb.228:
	s_mov_b64 s[44:45], 1
	s_mov_b64 s[36:37], 0
                                        ; implicit-def: $sgpr42_sgpr43
	s_branch .LBB206_231
.LBB206_229:                            ;   in Loop: Header=BB206_231 Depth=1
	v_lshl_add_u64 v[34:35], v[30:31], 0, s[44:45]
	v_lshl_add_u64 v[36:37], v[32:33], 0, s[44:45]
	global_load_ubyte v45, v[34:35], off
	global_load_ubyte v46, v[36:37], off
	s_add_u32 s46, s44, 1
	s_addc_u32 s47, s45, 0
	s_andn2_b64 s[42:43], s[42:43], exec
	s_waitcnt vmcnt(0)
	v_cmp_ne_u16_e32 vcc, v45, v46
	s_and_b64 s[48:49], vcc, exec
	s_or_b64 s[42:43], s[42:43], s[48:49]
.LBB206_230:                            ;   in Loop: Header=BB206_231 Depth=1
	s_and_b64 s[48:49], exec, s[42:43]
	s_or_b64 s[36:37], s[48:49], s[36:37]
	v_mov_b64_e32 v[34:35], s[44:45]
	s_mov_b64 s[44:45], s[46:47]
	s_andn2_b64 exec, exec, s[36:37]
	s_cbranch_execz .LBB206_233
.LBB206_231:                            ; =>This Inner Loop Header: Depth=1
	s_or_b64 s[42:43], s[42:43], exec
	s_cmp_eq_u64 s[26:27], s[44:45]
	s_cbranch_scc0 .LBB206_229
; %bb.232:                              ;   in Loop: Header=BB206_231 Depth=1
                                        ; implicit-def: $sgpr46_sgpr47
	s_mov_b64 s[44:45], s[26:27]
	s_branch .LBB206_230
.LBB206_233:
	s_or_b64 exec, exec, s[36:37]
	v_cmp_gt_i64_e32 vcc, s[26:27], v[34:35]
	s_orn2_b64 s[36:37], vcc, exec
.LBB206_234:
	s_or_b64 exec, exec, s[40:41]
.LBB206_235:
	v_mul_lo_u32 v34, v23, s26
	v_mul_lo_u32 v35, v22, s27
	v_mad_u64_u32 v[32:33], s[40:41], v22, s26, 0
	v_add3_u32 v33, v33, v35, v34
	s_and_b64 vcc, exec, s[4:5]
	s_mov_b64 s[42:43], 0
	s_cbranch_vccnz .LBB206_244
; %bb.236:
	v_lshl_add_u64 v[34:35], s[28:29], 0, v[32:33]
	global_load_ubyte v36, v[34:35], off
	global_load_ubyte v37, v[30:31], off
	s_mov_b64 s[42:43], -1
	s_waitcnt vmcnt(0)
	v_cmp_eq_u16_e32 vcc, v36, v37
	s_and_saveexec_b64 s[40:41], vcc
	s_cbranch_execz .LBB206_243
; %bb.237:
	s_mov_b64 s[46:47], 1
	s_mov_b64 s[42:43], 0
                                        ; implicit-def: $sgpr44_sgpr45
	s_branch .LBB206_240
.LBB206_238:                            ;   in Loop: Header=BB206_240 Depth=1
	v_lshl_add_u64 v[36:37], v[34:35], 0, s[46:47]
	v_lshl_add_u64 v[46:47], v[30:31], 0, s[46:47]
	global_load_ubyte v45, v[36:37], off
	global_load_ubyte v48, v[46:47], off
	s_add_u32 s48, s46, 1
	s_addc_u32 s49, s47, 0
	s_andn2_b64 s[44:45], s[44:45], exec
	s_waitcnt vmcnt(0)
	v_cmp_ne_u16_e32 vcc, v45, v48
	s_and_b64 s[50:51], vcc, exec
	s_or_b64 s[44:45], s[44:45], s[50:51]
.LBB206_239:                            ;   in Loop: Header=BB206_240 Depth=1
	s_and_b64 s[50:51], exec, s[44:45]
	s_or_b64 s[42:43], s[50:51], s[42:43]
	v_mov_b64_e32 v[36:37], s[46:47]
	s_mov_b64 s[46:47], s[48:49]
	s_andn2_b64 exec, exec, s[42:43]
	s_cbranch_execz .LBB206_242
.LBB206_240:                            ; =>This Inner Loop Header: Depth=1
	s_or_b64 s[44:45], s[44:45], exec
	s_cmp_eq_u64 s[26:27], s[46:47]
	s_cbranch_scc0 .LBB206_238
; %bb.241:                              ;   in Loop: Header=BB206_240 Depth=1
                                        ; implicit-def: $sgpr48_sgpr49
	s_mov_b64 s[46:47], s[26:27]
	s_branch .LBB206_239
.LBB206_242:
	s_or_b64 exec, exec, s[42:43]
	v_cmp_gt_i64_e32 vcc, s[26:27], v[36:37]
	s_orn2_b64 s[42:43], vcc, exec
.LBB206_243:
	s_or_b64 exec, exec, s[40:41]
.LBB206_244:
	v_cndmask_b32_e64 v31, 0, 1, s[38:39]
	v_cndmask_b32_e64 v30, 0, 1, s[36:37]
	;; [unrolled: 1-line block ×3, first 2 shown]
	v_lshlrev_b16_e32 v31, 8, v31
	v_cndmask_b32_e64 v45, 0, 1, s[14:15]
	v_cndmask_b32_e64 v34, 0, 1, s[42:43]
	v_or_b32_sdwa v30, v30, v31 dst_sel:WORD_1 dst_unused:UNUSED_PAD src0_sel:DWORD src1_sel:DWORD
	v_lshlrev_b16_e32 v31, 8, v46
	v_lshlrev_b16_e32 v34, 8, v34
	v_or_b32_e32 v31, v45, v31
	v_or_b32_e32 v34, 1, v34
	v_and_b32_e32 v31, 0xffff, v31
	v_cndmask_b32_e64 v47, 0, 1, s[12:13]
	v_or_b32_sdwa v30, v34, v30 dst_sel:DWORD dst_unused:UNUSED_PAD src0_sel:WORD_0 src1_sel:DWORD
	v_lshl_or_b32 v31, v47, 16, v31
	v_cmp_ne_u32_e32 vcc, 0, v0
	s_waitcnt lgkmcnt(0)
	s_barrier
	s_waitcnt lgkmcnt(0)
                                        ; implicit-def: $sgpr18_sgpr19
                                        ; implicit-def: $vgpr34
	s_and_saveexec_b64 s[12:13], vcc
	s_xor_b64 s[12:13], exec, s[12:13]
	s_cbranch_execz .LBB206_255
; %bb.245:
	s_mov_b32 s33, 0x3020104
	s_and_b64 vcc, exec, s[4:5]
	s_mov_b64 s[14:15], 0
	s_cbranch_vccnz .LBB206_254
; %bb.246:
	v_add_u32_e32 v31, -8, v44
	ds_read_b64 v[34:35], v31
	v_mov_b64_e32 v[36:37], s[28:29]
	v_lshl_add_u64 v[32:33], s[28:29], 0, v[32:33]
	s_mov_b64 s[14:15], -1
	s_waitcnt lgkmcnt(0)
	v_mul_lo_u32 v31, v34, s27
	v_mul_lo_u32 v48, v35, s26
	v_mad_u64_u32 v[34:35], s[4:5], v34, s26, v[36:37]
	v_add3_u32 v35, v48, v35, v31
	global_load_ubyte v31, v[32:33], off
	global_load_ubyte v36, v[34:35], off
	s_waitcnt vmcnt(0)
	v_cmp_eq_u16_e32 vcc, v36, v31
	s_and_saveexec_b64 s[4:5], vcc
	s_cbranch_execz .LBB206_253
; %bb.247:
	s_mov_b64 s[36:37], 1
	s_mov_b64 s[14:15], 0
                                        ; implicit-def: $sgpr18_sgpr19
	s_branch .LBB206_250
.LBB206_248:                            ;   in Loop: Header=BB206_250 Depth=1
	v_lshl_add_u64 v[36:37], v[34:35], 0, s[36:37]
	v_lshl_add_u64 v[48:49], v[32:33], 0, s[36:37]
	global_load_ubyte v31, v[36:37], off
	global_load_ubyte v50, v[48:49], off
	s_add_u32 s38, s36, 1
	s_addc_u32 s39, s37, 0
	s_andn2_b64 s[18:19], s[18:19], exec
	s_waitcnt vmcnt(0)
	v_cmp_ne_u16_e32 vcc, v31, v50
	s_and_b64 s[40:41], vcc, exec
	s_or_b64 s[18:19], s[18:19], s[40:41]
.LBB206_249:                            ;   in Loop: Header=BB206_250 Depth=1
	s_and_b64 s[40:41], exec, s[18:19]
	s_or_b64 s[14:15], s[40:41], s[14:15]
	v_mov_b64_e32 v[36:37], s[36:37]
	s_mov_b64 s[36:37], s[38:39]
	s_andn2_b64 exec, exec, s[14:15]
	s_cbranch_execz .LBB206_252
.LBB206_250:                            ; =>This Inner Loop Header: Depth=1
	s_or_b64 s[18:19], s[18:19], exec
	s_cmp_eq_u64 s[26:27], s[36:37]
	s_cbranch_scc0 .LBB206_248
; %bb.251:                              ;   in Loop: Header=BB206_250 Depth=1
                                        ; implicit-def: $sgpr38_sgpr39
	s_mov_b64 s[36:37], s[26:27]
	s_branch .LBB206_249
.LBB206_252:
	s_or_b64 exec, exec, s[14:15]
	v_cmp_gt_i64_e32 vcc, s[26:27], v[36:37]
	s_orn2_b64 s[14:15], vcc, exec
.LBB206_253:
	s_or_b64 exec, exec, s[4:5]
.LBB206_254:
	v_perm_b32 v34, v30, v30, s33
	s_and_b64 s[18:19], s[14:15], exec
	s_or_b64 s[10:11], s[10:11], exec
                                        ; implicit-def: $vgpr30_vgpr31
.LBB206_255:
	s_or_b64 exec, exec, s[12:13]
	s_branch .LBB206_336
.LBB206_256:
	v_cmp_gt_u32_e32 vcc, s3, v40
	s_mov_b64 s[12:13], 0
	s_mov_b64 s[4:5], 0
	s_and_saveexec_b64 s[14:15], vcc
	s_cbranch_execz .LBB206_267
; %bb.257:
	s_andn2_b64 vcc, exec, s[6:7]
	s_mov_b64 s[18:19], 0
	s_cbranch_vccnz .LBB206_266
; %bb.258:
	v_mov_b64_e32 v[32:33], s[28:29]
	v_mad_u64_u32 v[30:31], s[4:5], v16, s26, v[32:33]
	v_mul_lo_u32 v34, v16, s27
	v_mul_lo_u32 v35, v17, s26
	v_add3_u32 v31, v35, v31, v34
	v_mad_u64_u32 v[32:33], s[4:5], v28, s26, v[32:33]
	v_mul_lo_u32 v34, v28, s27
	v_mul_lo_u32 v35, v29, s26
	v_add3_u32 v33, v35, v33, v34
	global_load_ubyte v34, v[30:31], off
	global_load_ubyte v35, v[32:33], off
	s_mov_b64 s[18:19], -1
	s_waitcnt vmcnt(0)
	v_cmp_eq_u16_e32 vcc, v34, v35
	s_and_saveexec_b64 s[4:5], vcc
	s_cbranch_execz .LBB206_265
; %bb.259:
	s_mov_b64 s[38:39], 1
	s_mov_b64 s[18:19], 0
                                        ; implicit-def: $sgpr36_sgpr37
	s_branch .LBB206_262
.LBB206_260:                            ;   in Loop: Header=BB206_262 Depth=1
	v_lshl_add_u64 v[34:35], v[30:31], 0, s[38:39]
	v_lshl_add_u64 v[36:37], v[32:33], 0, s[38:39]
	global_load_ubyte v45, v[34:35], off
	global_load_ubyte v46, v[36:37], off
	s_add_u32 s40, s38, 1
	s_addc_u32 s41, s39, 0
	s_andn2_b64 s[36:37], s[36:37], exec
	s_waitcnt vmcnt(0)
	v_cmp_ne_u16_e32 vcc, v45, v46
	s_and_b64 s[42:43], vcc, exec
	s_or_b64 s[36:37], s[36:37], s[42:43]
.LBB206_261:                            ;   in Loop: Header=BB206_262 Depth=1
	s_and_b64 s[42:43], exec, s[36:37]
	s_or_b64 s[18:19], s[42:43], s[18:19]
	v_mov_b64_e32 v[34:35], s[38:39]
	s_mov_b64 s[38:39], s[40:41]
	s_andn2_b64 exec, exec, s[18:19]
	s_cbranch_execz .LBB206_264
.LBB206_262:                            ; =>This Inner Loop Header: Depth=1
	s_or_b64 s[36:37], s[36:37], exec
	s_cmp_eq_u64 s[26:27], s[38:39]
	s_cbranch_scc0 .LBB206_260
; %bb.263:                              ;   in Loop: Header=BB206_262 Depth=1
                                        ; implicit-def: $sgpr40_sgpr41
	s_mov_b64 s[38:39], s[26:27]
	s_branch .LBB206_261
.LBB206_264:
	s_or_b64 exec, exec, s[18:19]
	v_cmp_gt_i64_e32 vcc, s[26:27], v[34:35]
	s_orn2_b64 s[18:19], vcc, exec
.LBB206_265:
	s_or_b64 exec, exec, s[4:5]
.LBB206_266:
	s_and_b64 s[4:5], s[18:19], exec
.LBB206_267:
	s_or_b64 exec, exec, s[14:15]
	v_cmp_gt_u32_e32 vcc, s3, v43
	s_and_saveexec_b64 s[14:15], vcc
	s_cbranch_execz .LBB206_278
; %bb.268:
	s_andn2_b64 vcc, exec, s[6:7]
	s_mov_b64 s[18:19], 0
	s_cbranch_vccnz .LBB206_277
; %bb.269:
	v_mov_b64_e32 v[32:33], s[28:29]
	v_mad_u64_u32 v[30:31], s[12:13], v14, s26, v[32:33]
	v_mul_lo_u32 v34, v14, s27
	v_mul_lo_u32 v35, v15, s26
	v_add3_u32 v31, v35, v31, v34
	v_mad_u64_u32 v[32:33], s[12:13], v16, s26, v[32:33]
	v_mul_lo_u32 v34, v16, s27
	v_mul_lo_u32 v35, v17, s26
	v_add3_u32 v33, v35, v33, v34
	global_load_ubyte v34, v[30:31], off
	global_load_ubyte v35, v[32:33], off
	s_mov_b64 s[18:19], -1
	s_waitcnt vmcnt(0)
	v_cmp_eq_u16_e32 vcc, v34, v35
	s_and_saveexec_b64 s[12:13], vcc
	s_cbranch_execz .LBB206_276
; %bb.270:
	s_mov_b64 s[38:39], 1
	s_mov_b64 s[18:19], 0
                                        ; implicit-def: $sgpr36_sgpr37
	s_branch .LBB206_273
.LBB206_271:                            ;   in Loop: Header=BB206_273 Depth=1
	v_lshl_add_u64 v[34:35], v[30:31], 0, s[38:39]
	v_lshl_add_u64 v[36:37], v[32:33], 0, s[38:39]
	global_load_ubyte v45, v[34:35], off
	global_load_ubyte v46, v[36:37], off
	s_add_u32 s40, s38, 1
	s_addc_u32 s41, s39, 0
	s_andn2_b64 s[36:37], s[36:37], exec
	s_waitcnt vmcnt(0)
	v_cmp_ne_u16_e32 vcc, v45, v46
	s_and_b64 s[42:43], vcc, exec
	s_or_b64 s[36:37], s[36:37], s[42:43]
.LBB206_272:                            ;   in Loop: Header=BB206_273 Depth=1
	s_and_b64 s[42:43], exec, s[36:37]
	s_or_b64 s[18:19], s[42:43], s[18:19]
	v_mov_b64_e32 v[34:35], s[38:39]
	s_mov_b64 s[38:39], s[40:41]
	s_andn2_b64 exec, exec, s[18:19]
	s_cbranch_execz .LBB206_275
.LBB206_273:                            ; =>This Inner Loop Header: Depth=1
	s_or_b64 s[36:37], s[36:37], exec
	s_cmp_eq_u64 s[26:27], s[38:39]
	s_cbranch_scc0 .LBB206_271
; %bb.274:                              ;   in Loop: Header=BB206_273 Depth=1
                                        ; implicit-def: $sgpr40_sgpr41
	s_mov_b64 s[38:39], s[26:27]
	s_branch .LBB206_272
.LBB206_275:
	s_or_b64 exec, exec, s[18:19]
	v_cmp_gt_i64_e32 vcc, s[26:27], v[34:35]
	s_orn2_b64 s[18:19], vcc, exec
.LBB206_276:
	s_or_b64 exec, exec, s[12:13]
.LBB206_277:
	s_and_b64 s[12:13], s[18:19], exec
.LBB206_278:
	s_or_b64 exec, exec, s[14:15]
	v_cmp_gt_u32_e32 vcc, s3, v39
	s_mov_b64 s[18:19], 0
	s_mov_b64 s[14:15], 0
	s_and_saveexec_b64 s[36:37], vcc
	s_cbranch_execz .LBB206_289
; %bb.279:
	s_andn2_b64 vcc, exec, s[6:7]
	s_mov_b64 s[38:39], 0
	s_cbranch_vccnz .LBB206_288
; %bb.280:
	v_mov_b64_e32 v[32:33], s[28:29]
	v_mad_u64_u32 v[30:31], s[14:15], v20, s26, v[32:33]
	v_mul_lo_u32 v34, v20, s27
	v_mul_lo_u32 v35, v21, s26
	v_add3_u32 v31, v35, v31, v34
	v_mad_u64_u32 v[32:33], s[14:15], v14, s26, v[32:33]
	v_mul_lo_u32 v34, v14, s27
	v_mul_lo_u32 v35, v15, s26
	v_add3_u32 v33, v35, v33, v34
	global_load_ubyte v34, v[30:31], off
	global_load_ubyte v35, v[32:33], off
	s_mov_b64 s[38:39], -1
	s_waitcnt vmcnt(0)
	v_cmp_eq_u16_e32 vcc, v34, v35
	s_and_saveexec_b64 s[14:15], vcc
	s_cbranch_execz .LBB206_287
; %bb.281:
	s_mov_b64 s[42:43], 1
	s_mov_b64 s[38:39], 0
                                        ; implicit-def: $sgpr40_sgpr41
	s_branch .LBB206_284
.LBB206_282:                            ;   in Loop: Header=BB206_284 Depth=1
	v_lshl_add_u64 v[34:35], v[30:31], 0, s[42:43]
	v_lshl_add_u64 v[36:37], v[32:33], 0, s[42:43]
	global_load_ubyte v45, v[34:35], off
	global_load_ubyte v46, v[36:37], off
	s_add_u32 s44, s42, 1
	s_addc_u32 s45, s43, 0
	s_andn2_b64 s[40:41], s[40:41], exec
	s_waitcnt vmcnt(0)
	v_cmp_ne_u16_e32 vcc, v45, v46
	s_and_b64 s[46:47], vcc, exec
	s_or_b64 s[40:41], s[40:41], s[46:47]
.LBB206_283:                            ;   in Loop: Header=BB206_284 Depth=1
	s_and_b64 s[46:47], exec, s[40:41]
	s_or_b64 s[38:39], s[46:47], s[38:39]
	v_mov_b64_e32 v[34:35], s[42:43]
	s_mov_b64 s[42:43], s[44:45]
	s_andn2_b64 exec, exec, s[38:39]
	s_cbranch_execz .LBB206_286
.LBB206_284:                            ; =>This Inner Loop Header: Depth=1
	s_or_b64 s[40:41], s[40:41], exec
	s_cmp_eq_u64 s[26:27], s[42:43]
	s_cbranch_scc0 .LBB206_282
; %bb.285:                              ;   in Loop: Header=BB206_284 Depth=1
                                        ; implicit-def: $sgpr44_sgpr45
	s_mov_b64 s[42:43], s[26:27]
	s_branch .LBB206_283
.LBB206_286:
	s_or_b64 exec, exec, s[38:39]
	v_cmp_gt_i64_e32 vcc, s[26:27], v[34:35]
	s_orn2_b64 s[38:39], vcc, exec
.LBB206_287:
	s_or_b64 exec, exec, s[14:15]
.LBB206_288:
	s_and_b64 s[14:15], s[38:39], exec
.LBB206_289:
	s_or_b64 exec, exec, s[36:37]
	v_cmp_gt_u32_e32 vcc, s3, v42
	s_and_saveexec_b64 s[36:37], vcc
	s_cbranch_execz .LBB206_300
; %bb.290:
	s_andn2_b64 vcc, exec, s[6:7]
	s_mov_b64 s[38:39], 0
	s_cbranch_vccnz .LBB206_299
; %bb.291:
	v_mov_b64_e32 v[32:33], s[28:29]
	v_mad_u64_u32 v[30:31], s[18:19], v18, s26, v[32:33]
	v_mul_lo_u32 v34, v18, s27
	v_mul_lo_u32 v35, v19, s26
	v_add3_u32 v31, v35, v31, v34
	v_mad_u64_u32 v[32:33], s[18:19], v20, s26, v[32:33]
	v_mul_lo_u32 v34, v20, s27
	v_mul_lo_u32 v35, v21, s26
	v_add3_u32 v33, v35, v33, v34
	global_load_ubyte v34, v[30:31], off
	global_load_ubyte v35, v[32:33], off
	s_mov_b64 s[38:39], -1
	s_waitcnt vmcnt(0)
	v_cmp_eq_u16_e32 vcc, v34, v35
	s_and_saveexec_b64 s[18:19], vcc
	s_cbranch_execz .LBB206_298
; %bb.292:
	s_mov_b64 s[42:43], 1
	s_mov_b64 s[38:39], 0
                                        ; implicit-def: $sgpr40_sgpr41
	s_branch .LBB206_295
.LBB206_293:                            ;   in Loop: Header=BB206_295 Depth=1
	v_lshl_add_u64 v[34:35], v[30:31], 0, s[42:43]
	v_lshl_add_u64 v[36:37], v[32:33], 0, s[42:43]
	global_load_ubyte v45, v[34:35], off
	global_load_ubyte v46, v[36:37], off
	s_add_u32 s44, s42, 1
	s_addc_u32 s45, s43, 0
	s_andn2_b64 s[40:41], s[40:41], exec
	s_waitcnt vmcnt(0)
	v_cmp_ne_u16_e32 vcc, v45, v46
	s_and_b64 s[46:47], vcc, exec
	s_or_b64 s[40:41], s[40:41], s[46:47]
.LBB206_294:                            ;   in Loop: Header=BB206_295 Depth=1
	s_and_b64 s[46:47], exec, s[40:41]
	s_or_b64 s[38:39], s[46:47], s[38:39]
	v_mov_b64_e32 v[34:35], s[42:43]
	s_mov_b64 s[42:43], s[44:45]
	s_andn2_b64 exec, exec, s[38:39]
	s_cbranch_execz .LBB206_297
.LBB206_295:                            ; =>This Inner Loop Header: Depth=1
	s_or_b64 s[40:41], s[40:41], exec
	s_cmp_eq_u64 s[26:27], s[42:43]
	s_cbranch_scc0 .LBB206_293
; %bb.296:                              ;   in Loop: Header=BB206_295 Depth=1
                                        ; implicit-def: $sgpr44_sgpr45
	s_mov_b64 s[42:43], s[26:27]
	s_branch .LBB206_294
.LBB206_297:
	s_or_b64 exec, exec, s[38:39]
	v_cmp_gt_i64_e32 vcc, s[26:27], v[34:35]
	s_orn2_b64 s[38:39], vcc, exec
.LBB206_298:
	s_or_b64 exec, exec, s[18:19]
.LBB206_299:
	s_and_b64 s[18:19], s[38:39], exec
.LBB206_300:
	s_or_b64 exec, exec, s[36:37]
	v_cmp_gt_u32_e32 vcc, s3, v38
	s_mov_b64 s[36:37], 0
	s_mov_b64 s[38:39], 0
	s_and_saveexec_b64 s[40:41], vcc
	s_cbranch_execz .LBB206_311
; %bb.301:
	s_andn2_b64 vcc, exec, s[6:7]
	s_mov_b64 s[42:43], 0
	s_cbranch_vccnz .LBB206_310
; %bb.302:
	v_mov_b64_e32 v[32:33], s[28:29]
	v_mad_u64_u32 v[30:31], s[38:39], v24, s26, v[32:33]
	v_mul_lo_u32 v34, v24, s27
	v_mul_lo_u32 v35, v25, s26
	v_add3_u32 v31, v35, v31, v34
	v_mad_u64_u32 v[32:33], s[38:39], v18, s26, v[32:33]
	v_mul_lo_u32 v34, v18, s27
	v_mul_lo_u32 v35, v19, s26
	v_add3_u32 v33, v35, v33, v34
	global_load_ubyte v34, v[30:31], off
	global_load_ubyte v35, v[32:33], off
	s_mov_b64 s[42:43], -1
	s_waitcnt vmcnt(0)
	v_cmp_eq_u16_e32 vcc, v34, v35
	s_and_saveexec_b64 s[38:39], vcc
	s_cbranch_execz .LBB206_309
; %bb.303:
	s_mov_b64 s[46:47], 1
	s_mov_b64 s[42:43], 0
                                        ; implicit-def: $sgpr44_sgpr45
	s_branch .LBB206_306
.LBB206_304:                            ;   in Loop: Header=BB206_306 Depth=1
	v_lshl_add_u64 v[34:35], v[30:31], 0, s[46:47]
	v_lshl_add_u64 v[36:37], v[32:33], 0, s[46:47]
	global_load_ubyte v45, v[34:35], off
	global_load_ubyte v46, v[36:37], off
	s_add_u32 s48, s46, 1
	s_addc_u32 s49, s47, 0
	s_andn2_b64 s[44:45], s[44:45], exec
	s_waitcnt vmcnt(0)
	v_cmp_ne_u16_e32 vcc, v45, v46
	s_and_b64 s[50:51], vcc, exec
	s_or_b64 s[44:45], s[44:45], s[50:51]
.LBB206_305:                            ;   in Loop: Header=BB206_306 Depth=1
	s_and_b64 s[50:51], exec, s[44:45]
	s_or_b64 s[42:43], s[50:51], s[42:43]
	v_mov_b64_e32 v[34:35], s[46:47]
	s_mov_b64 s[46:47], s[48:49]
	s_andn2_b64 exec, exec, s[42:43]
	s_cbranch_execz .LBB206_308
.LBB206_306:                            ; =>This Inner Loop Header: Depth=1
	s_or_b64 s[44:45], s[44:45], exec
	s_cmp_eq_u64 s[26:27], s[46:47]
	s_cbranch_scc0 .LBB206_304
; %bb.307:                              ;   in Loop: Header=BB206_306 Depth=1
                                        ; implicit-def: $sgpr48_sgpr49
	s_mov_b64 s[46:47], s[26:27]
	s_branch .LBB206_305
.LBB206_308:
	s_or_b64 exec, exec, s[42:43]
	v_cmp_gt_i64_e32 vcc, s[26:27], v[34:35]
	s_orn2_b64 s[42:43], vcc, exec
.LBB206_309:
	s_or_b64 exec, exec, s[38:39]
.LBB206_310:
	s_and_b64 s[38:39], s[42:43], exec
.LBB206_311:
	s_or_b64 exec, exec, s[40:41]
	v_cmp_gt_u32_e32 vcc, s3, v41
	s_and_saveexec_b64 s[40:41], vcc
	s_cbranch_execz .LBB206_322
; %bb.312:
	s_andn2_b64 vcc, exec, s[6:7]
	s_mov_b64 s[42:43], 0
	s_cbranch_vccnz .LBB206_321
; %bb.313:
	v_mov_b64_e32 v[32:33], s[28:29]
	v_mad_u64_u32 v[30:31], s[36:37], v22, s26, v[32:33]
	v_mul_lo_u32 v34, v22, s27
	v_mul_lo_u32 v35, v23, s26
	v_add3_u32 v31, v35, v31, v34
	v_mad_u64_u32 v[32:33], s[36:37], v24, s26, v[32:33]
	v_mul_lo_u32 v34, v24, s27
	v_mul_lo_u32 v35, v25, s26
	v_add3_u32 v33, v35, v33, v34
	global_load_ubyte v34, v[30:31], off
	global_load_ubyte v35, v[32:33], off
	s_mov_b64 s[42:43], -1
	s_waitcnt vmcnt(0)
	v_cmp_eq_u16_e32 vcc, v34, v35
	s_and_saveexec_b64 s[36:37], vcc
	s_cbranch_execz .LBB206_320
; %bb.314:
	s_mov_b64 s[46:47], 1
	s_mov_b64 s[42:43], 0
                                        ; implicit-def: $sgpr44_sgpr45
	s_branch .LBB206_317
.LBB206_315:                            ;   in Loop: Header=BB206_317 Depth=1
	v_lshl_add_u64 v[34:35], v[30:31], 0, s[46:47]
	v_lshl_add_u64 v[36:37], v[32:33], 0, s[46:47]
	global_load_ubyte v45, v[34:35], off
	global_load_ubyte v46, v[36:37], off
	s_add_u32 s48, s46, 1
	s_addc_u32 s49, s47, 0
	s_andn2_b64 s[44:45], s[44:45], exec
	s_waitcnt vmcnt(0)
	v_cmp_ne_u16_e32 vcc, v45, v46
	s_and_b64 s[50:51], vcc, exec
	s_or_b64 s[44:45], s[44:45], s[50:51]
.LBB206_316:                            ;   in Loop: Header=BB206_317 Depth=1
	s_and_b64 s[50:51], exec, s[44:45]
	s_or_b64 s[42:43], s[50:51], s[42:43]
	v_mov_b64_e32 v[34:35], s[46:47]
	s_mov_b64 s[46:47], s[48:49]
	s_andn2_b64 exec, exec, s[42:43]
	s_cbranch_execz .LBB206_319
.LBB206_317:                            ; =>This Inner Loop Header: Depth=1
	s_or_b64 s[44:45], s[44:45], exec
	s_cmp_eq_u64 s[26:27], s[46:47]
	s_cbranch_scc0 .LBB206_315
; %bb.318:                              ;   in Loop: Header=BB206_317 Depth=1
                                        ; implicit-def: $sgpr48_sgpr49
	s_mov_b64 s[46:47], s[26:27]
	s_branch .LBB206_316
.LBB206_319:
	s_or_b64 exec, exec, s[42:43]
	v_cmp_gt_i64_e32 vcc, s[26:27], v[34:35]
	s_orn2_b64 s[42:43], vcc, exec
.LBB206_320:
	s_or_b64 exec, exec, s[36:37]
.LBB206_321:
	s_and_b64 s[36:37], s[42:43], exec
.LBB206_322:
	s_or_b64 exec, exec, s[40:41]
	v_cndmask_b32_e64 v31, 0, 1, s[18:19]
	v_cndmask_b32_e64 v30, 0, 1, s[38:39]
	;; [unrolled: 1-line block ×3, first 2 shown]
	v_lshlrev_b16_e32 v31, 8, v31
	v_cndmask_b32_e64 v45, 0, 1, s[14:15]
	v_cndmask_b32_e64 v32, 0, 1, s[36:37]
	v_or_b32_sdwa v30, v30, v31 dst_sel:WORD_1 dst_unused:UNUSED_PAD src0_sel:DWORD src1_sel:DWORD
	v_lshlrev_b16_e32 v31, 8, v46
	v_lshlrev_b16_e32 v32, 8, v32
	v_or_b32_e32 v31, v45, v31
	v_or_b32_e32 v32, 1, v32
	v_and_b32_e32 v31, 0xffff, v31
	v_cndmask_b32_e64 v47, 0, 1, s[4:5]
	v_or_b32_sdwa v30, v32, v30 dst_sel:DWORD dst_unused:UNUSED_PAD src0_sel:WORD_0 src1_sel:DWORD
	v_lshl_or_b32 v31, v47, 16, v31
	v_cmp_ne_u32_e32 vcc, 0, v0
	s_waitcnt lgkmcnt(0)
	s_barrier
	s_waitcnt lgkmcnt(0)
                                        ; implicit-def: $sgpr18_sgpr19
                                        ; implicit-def: $vgpr34
	s_and_saveexec_b64 s[4:5], vcc
	s_cbranch_execz .LBB206_335
; %bb.323:
	v_cmp_gt_u32_e32 vcc, s3, v1
	s_mov_b32 s33, 0x3020104
	s_mov_b64 s[14:15], 0
	s_and_saveexec_b64 s[12:13], vcc
	s_cbranch_execz .LBB206_334
; %bb.324:
	s_andn2_b64 vcc, exec, s[6:7]
	s_cbranch_vccnz .LBB206_333
; %bb.325:
	v_add_u32_e32 v31, -8, v44
	ds_read_b64 v[32:33], v31
	v_mov_b64_e32 v[34:35], s[28:29]
	s_mov_b64 s[14:15], -1
	s_waitcnt lgkmcnt(0)
	v_mul_lo_u32 v31, v32, s27
	v_mul_lo_u32 v36, v33, s26
	v_mad_u64_u32 v[32:33], s[6:7], v32, s26, v[34:35]
	v_add3_u32 v33, v36, v33, v31
	v_mad_u64_u32 v[34:35], s[6:7], v22, s26, v[34:35]
	v_mul_lo_u32 v31, v22, s27
	v_mul_lo_u32 v36, v23, s26
	v_add3_u32 v35, v36, v35, v31
	global_load_ubyte v31, v[32:33], off
	global_load_ubyte v36, v[34:35], off
	s_waitcnt vmcnt(0)
	v_cmp_eq_u16_e32 vcc, v31, v36
	s_and_saveexec_b64 s[6:7], vcc
	s_cbranch_execz .LBB206_332
; %bb.326:
	s_mov_b64 s[28:29], 1
	s_mov_b64 s[14:15], 0
                                        ; implicit-def: $sgpr18_sgpr19
	s_branch .LBB206_329
.LBB206_327:                            ;   in Loop: Header=BB206_329 Depth=1
	v_lshl_add_u64 v[36:37], v[32:33], 0, s[28:29]
	v_lshl_add_u64 v[48:49], v[34:35], 0, s[28:29]
	global_load_ubyte v31, v[36:37], off
	global_load_ubyte v44, v[48:49], off
	s_add_u32 s36, s28, 1
	s_addc_u32 s37, s29, 0
	s_andn2_b64 s[18:19], s[18:19], exec
	s_waitcnt vmcnt(0)
	v_cmp_ne_u16_e32 vcc, v31, v44
	s_and_b64 s[38:39], vcc, exec
	s_or_b64 s[18:19], s[18:19], s[38:39]
.LBB206_328:                            ;   in Loop: Header=BB206_329 Depth=1
	s_and_b64 s[38:39], exec, s[18:19]
	s_or_b64 s[14:15], s[38:39], s[14:15]
	v_mov_b64_e32 v[36:37], s[28:29]
	s_mov_b64 s[28:29], s[36:37]
	s_andn2_b64 exec, exec, s[14:15]
	s_cbranch_execz .LBB206_331
.LBB206_329:                            ; =>This Inner Loop Header: Depth=1
	s_or_b64 s[18:19], s[18:19], exec
	s_cmp_eq_u64 s[26:27], s[28:29]
	s_cbranch_scc0 .LBB206_327
; %bb.330:                              ;   in Loop: Header=BB206_329 Depth=1
                                        ; implicit-def: $sgpr36_sgpr37
	s_mov_b64 s[28:29], s[26:27]
	s_branch .LBB206_328
.LBB206_331:
	s_or_b64 exec, exec, s[14:15]
	v_cmp_gt_i64_e32 vcc, s[26:27], v[36:37]
	s_orn2_b64 s[14:15], vcc, exec
.LBB206_332:
	s_or_b64 exec, exec, s[6:7]
.LBB206_333:
	s_and_b64 s[14:15], s[14:15], exec
.LBB206_334:
	s_or_b64 exec, exec, s[12:13]
	v_perm_b32 v34, v30, v30, s33
	s_and_b64 s[18:19], s[14:15], exec
	s_or_b64 s[10:11], s[10:11], exec
                                        ; implicit-def: $vgpr30_vgpr31
.LBB206_335:
	s_or_b64 exec, exec, s[4:5]
.LBB206_336:
	s_and_saveexec_b64 s[4:5], s[10:11]
	s_cbranch_execz .LBB206_338
; %bb.337:
	v_lshlrev_b16_e32 v31, 8, v46
	s_waitcnt lgkmcnt(0)
	v_and_b32_e32 v32, 0xff, v47
	v_or_b32_sdwa v31, v45, v31 dst_sel:DWORD dst_unused:UNUSED_PAD src0_sel:BYTE_0 src1_sel:DWORD
	v_lshlrev_b32_e32 v32, 16, v32
	s_movk_i32 s6, 0xff
	v_or_b32_sdwa v31, v31, v32 dst_sel:DWORD dst_unused:UNUSED_PAD src0_sel:WORD_0 src1_sel:DWORD
	v_lshrrev_b32_e32 v32, 24, v34
	v_lshlrev_b16_e32 v32, 8, v32
	v_and_b32_sdwa v33, v34, s6 dst_sel:DWORD dst_unused:UNUSED_PAD src0_sel:WORD_1 src1_sel:DWORD
	v_or_b32_sdwa v32, v33, v32 dst_sel:WORD_1 dst_unused:UNUSED_PAD src0_sel:DWORD src1_sel:DWORD
	v_mov_b32_e32 v33, 8
	v_cndmask_b32_e64 v30, 0, 1, s[18:19]
	v_lshrrev_b32_sdwa v33, v33, v34 dst_sel:BYTE_1 dst_unused:UNUSED_PAD src0_sel:DWORD src1_sel:DWORD
	s_nop 0
	v_or_b32_e32 v30, v30, v33
	v_or_b32_sdwa v30, v30, v32 dst_sel:DWORD dst_unused:UNUSED_PAD src0_sel:WORD_0 src1_sel:DWORD
.LBB206_338:
	s_or_b64 exec, exec, s[4:5]
	s_andn2_b64 vcc, exec, s[8:9]
	s_cbranch_vccnz .LBB206_340
; %bb.339:
	s_waitcnt lgkmcnt(0)
	v_and_b32_e32 v32, 0xffff0000, v30
	v_cmp_gt_u32_e32 vcc, s3, v1
	s_mov_b32 s4, 0x40c0100
	s_nop 0
	v_cndmask_b32_e32 v1, v32, v30, vcc
	v_and_b32_e32 v1, 0xffff00ff, v1
	v_cmp_gt_u32_e32 vcc, s3, v41
	s_nop 1
	v_cndmask_b32_e32 v1, v1, v30, vcc
	v_lshrrev_b32_e32 v32, 24, v1
	v_perm_b32 v1, v32, v1, s4
	v_cmp_gt_u32_e32 vcc, s3, v38
	v_and_b32_e32 v32, 0xffffff00, v31
	s_nop 0
	v_cndmask_b32_e32 v1, v1, v30, vcc
	v_and_b32_e32 v1, 0xffffff, v1
	v_cmp_gt_u32_e32 vcc, s3, v42
	s_nop 1
	v_cndmask_b32_e32 v1, v1, v30, vcc
	v_cmp_gt_u32_e32 vcc, s3, v39
	s_nop 1
	v_cndmask_b32_e32 v32, v32, v31, vcc
	v_and_b32_e32 v32, 0xffff00ff, v32
	v_cndmask_b32_e32 v1, v1, v30, vcc
	v_cmp_gt_u32_e32 vcc, s3, v43
	s_nop 1
	v_cndmask_b32_e32 v32, v32, v31, vcc
	v_lshrrev_b32_e32 v33, 24, v32
	v_cndmask_b32_e32 v1, v1, v30, vcc
	v_perm_b32 v32, v33, v32, s4
	v_cmp_gt_u32_e32 vcc, s3, v40
	s_mov_b32 s3, 0x3020104
	s_nop 0
	v_cndmask_b32_e32 v1, v1, v30, vcc
	v_cndmask_b32_e32 v30, v32, v31, vcc
	v_mov_b32_e32 v31, 8
	v_lshrrev_b32_sdwa v31, v31, v30 dst_sel:BYTE_1 dst_unused:UNUSED_PAD src0_sel:DWORD src1_sel:DWORD
	s_nop 0
	v_or_b32_sdwa v31, v30, v31 dst_sel:DWORD dst_unused:UNUSED_PAD src0_sel:BYTE_0 src1_sel:DWORD
	v_and_b32_e32 v31, 0xffff, v31
	v_bfe_u32 v30, v30, 16, 8
	v_lshl_or_b32 v31, v30, 16, v31
	v_perm_b32 v30, v1, v1, s3
.LBB206_340:
	v_and_b32_e32 v1, 0xff, v30
	v_bfe_u32 v43, v30, 8, 8
	v_bfe_u32 v45, v30, 16, 8
	s_waitcnt lgkmcnt(0)
	v_alignbit_b32 v32, v31, v30, 24
	v_and_b32_e32 v47, 0xff, v32
	v_and_b32_e32 v48, 0xff, v31
	v_add3_u32 v33, v43, v1, v45
	v_bfe_u32 v49, v31, 8, 8
	v_bfe_u32 v32, v31, 16, 8
	v_add3_u32 v33, v33, v47, v48
	v_add3_u32 v52, v33, v49, v32
	v_mbcnt_lo_u32_b32 v32, -1, 0
	v_mbcnt_hi_u32_b32 v50, -1, v32
	v_and_b32_e32 v32, 15, v50
	v_cmp_eq_u32_e64 s[14:15], 0, v32
	v_cmp_lt_u32_e64 s[12:13], 1, v32
	v_cmp_lt_u32_e64 s[10:11], 3, v32
	;; [unrolled: 1-line block ×3, first 2 shown]
	v_and_b32_e32 v32, 16, v50
	v_cmp_eq_u32_e64 s[6:7], 0, v32
	v_or_b32_e32 v32, 63, v0
	v_cmp_lt_u32_e64 s[18:19], 31, v50
	v_lshrrev_b32_e32 v51, 6, v0
	v_cmp_eq_u32_e64 s[4:5], v32, v0
	s_and_b64 vcc, exec, s[16:17]
	s_barrier
	s_cbranch_vccz .LBB206_367
; %bb.341:
	v_mov_b32_dpp v32, v52 row_shr:1 row_mask:0xf bank_mask:0xf
	v_cndmask_b32_e64 v32, v32, 0, s[14:15]
	v_add_u32_e32 v32, v32, v52
	s_nop 1
	v_mov_b32_dpp v33, v32 row_shr:2 row_mask:0xf bank_mask:0xf
	v_cndmask_b32_e64 v33, 0, v33, s[12:13]
	v_add_u32_e32 v32, v32, v33
	s_nop 1
	;; [unrolled: 4-line block ×4, first 2 shown]
	v_mov_b32_dpp v33, v32 row_bcast:15 row_mask:0xf bank_mask:0xf
	v_cndmask_b32_e64 v33, v33, 0, s[6:7]
	v_add_u32_e32 v32, v32, v33
	s_nop 1
	v_mov_b32_dpp v33, v32 row_bcast:31 row_mask:0xf bank_mask:0xf
	v_cndmask_b32_e64 v33, 0, v33, s[18:19]
	v_add_u32_e32 v32, v32, v33
	s_and_saveexec_b64 s[16:17], s[4:5]
	s_cbranch_execz .LBB206_343
; %bb.342:
	v_lshlrev_b32_e32 v33, 2, v51
	ds_write_b32 v33, v32
.LBB206_343:
	s_or_b64 exec, exec, s[16:17]
	v_cmp_gt_u32_e32 vcc, 8, v0
	s_waitcnt lgkmcnt(0)
	s_barrier
	s_and_saveexec_b64 s[16:17], vcc
	s_cbranch_execz .LBB206_345
; %bb.344:
	v_lshlrev_b32_e32 v33, 2, v0
	ds_read_b32 v34, v33
	v_and_b32_e32 v35, 7, v50
	v_cmp_ne_u32_e32 vcc, 0, v35
	s_waitcnt lgkmcnt(0)
	v_mov_b32_dpp v36, v34 row_shr:1 row_mask:0xf bank_mask:0xf
	v_cndmask_b32_e32 v36, 0, v36, vcc
	v_add_u32_e32 v34, v36, v34
	v_cmp_lt_u32_e32 vcc, 1, v35
	s_nop 0
	v_mov_b32_dpp v36, v34 row_shr:2 row_mask:0xf bank_mask:0xf
	v_cndmask_b32_e32 v36, 0, v36, vcc
	v_add_u32_e32 v34, v34, v36
	v_cmp_lt_u32_e32 vcc, 3, v35
	s_nop 0
	v_mov_b32_dpp v36, v34 row_shr:4 row_mask:0xf bank_mask:0xf
	v_cndmask_b32_e32 v35, 0, v36, vcc
	v_add_u32_e32 v34, v34, v35
	ds_write_b32 v33, v34
.LBB206_345:
	s_or_b64 exec, exec, s[16:17]
	v_cmp_gt_u32_e32 vcc, 64, v0
	v_cmp_lt_u32_e64 s[16:17], 63, v0
	s_waitcnt lgkmcnt(0)
	s_barrier
	s_waitcnt lgkmcnt(0)
                                        ; implicit-def: $vgpr42
	s_and_saveexec_b64 s[26:27], s[16:17]
	s_cbranch_execz .LBB206_347
; %bb.346:
	v_lshl_add_u32 v33, v51, 2, -4
	ds_read_b32 v42, v33
	s_waitcnt lgkmcnt(0)
	v_add_u32_e32 v32, v42, v32
.LBB206_347:
	s_or_b64 exec, exec, s[26:27]
	v_add_u32_e32 v33, -1, v50
	v_and_b32_e32 v34, 64, v50
	v_cmp_lt_i32_e64 s[16:17], v33, v34
	s_nop 1
	v_cndmask_b32_e64 v33, v33, v50, s[16:17]
	v_lshlrev_b32_e32 v33, 2, v33
	ds_bpermute_b32 v44, v33, v32
	v_cmp_eq_u32_e64 s[16:17], 0, v50
	s_and_saveexec_b64 s[26:27], vcc
	s_cbranch_execz .LBB206_366
; %bb.348:
	v_mov_b32_e32 v39, 0
	ds_read_b32 v32, v39 offset:28
	s_and_saveexec_b64 s[28:29], s[16:17]
	s_cbranch_execz .LBB206_350
; %bb.349:
	s_add_i32 s36, s2, 64
	s_mov_b32 s37, 0
	s_lshl_b64 s[36:37], s[36:37], 3
	s_add_u32 s36, s30, s36
	v_mov_b32_e32 v33, 1
	s_addc_u32 s37, s31, s37
	s_waitcnt lgkmcnt(0)
	global_store_dwordx2 v39, v[32:33], s[36:37] sc1
.LBB206_350:
	s_or_b64 exec, exec, s[28:29]
	v_xad_u32 v34, v50, -1, s2
	v_add_u32_e32 v38, 64, v34
	v_lshl_add_u64 v[40:41], v[38:39], 3, s[30:31]
	global_load_dwordx2 v[36:37], v[40:41], off sc1
	s_waitcnt vmcnt(0)
	v_cmp_eq_u16_sdwa s[36:37], v37, v39 src0_sel:BYTE_0 src1_sel:DWORD
	s_and_saveexec_b64 s[28:29], s[36:37]
	s_cbranch_execz .LBB206_354
; %bb.351:
	s_mov_b64 s[36:37], 0
	v_mov_b32_e32 v33, 0
.LBB206_352:                            ; =>This Inner Loop Header: Depth=1
	global_load_dwordx2 v[36:37], v[40:41], off sc1
	s_waitcnt vmcnt(0)
	v_cmp_ne_u16_sdwa s[38:39], v37, v33 src0_sel:BYTE_0 src1_sel:DWORD
	s_or_b64 s[36:37], s[38:39], s[36:37]
	s_andn2_b64 exec, exec, s[36:37]
	s_cbranch_execnz .LBB206_352
; %bb.353:
	s_or_b64 exec, exec, s[36:37]
.LBB206_354:
	s_or_b64 exec, exec, s[28:29]
	v_and_b32_e32 v46, 63, v50
	v_mov_b32_e32 v33, 2
	v_cmp_ne_u32_e32 vcc, 63, v46
	v_cmp_eq_u16_sdwa s[28:29], v37, v33 src0_sel:BYTE_0 src1_sel:DWORD
	v_lshlrev_b64 v[38:39], v50, -1
	v_addc_co_u32_e32 v41, vcc, 0, v50, vcc
	v_and_b32_e32 v35, s29, v39
	v_lshlrev_b32_e32 v53, 2, v41
	v_or_b32_e32 v35, 0x80000000, v35
	ds_bpermute_b32 v41, v53, v36
	v_and_b32_e32 v40, s28, v38
	v_ffbl_b32_e32 v35, v35
	v_add_u32_e32 v35, 32, v35
	v_ffbl_b32_e32 v40, v40
	v_min_u32_e32 v35, v40, v35
	v_cmp_lt_u32_e32 vcc, v46, v35
	v_add_u32_e32 v55, 2, v46
	v_add_u32_e32 v57, 4, v46
	s_waitcnt lgkmcnt(0)
	v_cndmask_b32_e32 v40, 0, v41, vcc
	v_cmp_gt_u32_e32 vcc, 62, v46
	v_add_u32_e32 v36, v40, v36
	v_add_u32_e32 v59, 8, v46
	v_cndmask_b32_e64 v40, 0, 1, vcc
	v_lshlrev_b32_e32 v40, 1, v40
	v_add_lshl_u32 v54, v40, v50, 2
	ds_bpermute_b32 v40, v54, v36
	v_cmp_le_u32_e32 vcc, v55, v35
	v_add_u32_e32 v62, 16, v46
	v_add_u32_e32 v64, 32, v46
	s_waitcnt lgkmcnt(0)
	v_cndmask_b32_e32 v40, 0, v40, vcc
	v_cmp_gt_u32_e32 vcc, 60, v46
	v_add_u32_e32 v36, v36, v40
	s_nop 0
	v_cndmask_b32_e64 v40, 0, 1, vcc
	v_lshlrev_b32_e32 v40, 2, v40
	v_add_lshl_u32 v56, v40, v50, 2
	ds_bpermute_b32 v40, v56, v36
	v_cmp_le_u32_e32 vcc, v57, v35
	s_waitcnt lgkmcnt(0)
	s_nop 0
	v_cndmask_b32_e32 v40, 0, v40, vcc
	v_cmp_gt_u32_e32 vcc, 56, v46
	v_add_u32_e32 v36, v36, v40
	s_nop 0
	v_cndmask_b32_e64 v40, 0, 1, vcc
	v_lshlrev_b32_e32 v40, 3, v40
	v_add_lshl_u32 v58, v40, v50, 2
	ds_bpermute_b32 v40, v58, v36
	v_cmp_le_u32_e32 vcc, v59, v35
	s_waitcnt lgkmcnt(0)
	s_nop 0
	;; [unrolled: 11-line block ×4, first 2 shown]
	v_cndmask_b32_e32 v35, 0, v40, vcc
	v_add_u32_e32 v36, v36, v35
	v_mov_b32_e32 v35, 0
	s_branch .LBB206_356
.LBB206_355:                            ;   in Loop: Header=BB206_356 Depth=1
	s_or_b64 exec, exec, s[28:29]
	v_cmp_eq_u16_sdwa s[28:29], v37, v33 src0_sel:BYTE_0 src1_sel:DWORD
	ds_bpermute_b32 v65, v53, v36
	v_subrev_u32_e32 v34, 64, v34
	v_and_b32_e32 v40, s29, v39
	v_or_b32_e32 v40, 0x80000000, v40
	v_and_b32_e32 v41, s28, v38
	v_ffbl_b32_e32 v40, v40
	v_add_u32_e32 v40, 32, v40
	v_ffbl_b32_e32 v41, v41
	v_min_u32_e32 v40, v41, v40
	v_cmp_lt_u32_e32 vcc, v46, v40
	s_waitcnt lgkmcnt(0)
	s_nop 0
	v_cndmask_b32_e32 v41, 0, v65, vcc
	v_add_u32_e32 v36, v41, v36
	ds_bpermute_b32 v41, v54, v36
	v_cmp_le_u32_e32 vcc, v55, v40
	s_waitcnt lgkmcnt(0)
	s_nop 0
	v_cndmask_b32_e32 v41, 0, v41, vcc
	v_add_u32_e32 v36, v36, v41
	ds_bpermute_b32 v41, v56, v36
	v_cmp_le_u32_e32 vcc, v57, v40
	;; [unrolled: 6-line block ×5, first 2 shown]
	s_waitcnt lgkmcnt(0)
	s_nop 0
	v_cndmask_b32_e32 v40, 0, v41, vcc
	v_add3_u32 v36, v40, v60, v36
.LBB206_356:                            ; =>This Loop Header: Depth=1
                                        ;     Child Loop BB206_359 Depth 2
	v_cmp_ne_u16_sdwa s[28:29], v37, v33 src0_sel:BYTE_0 src1_sel:DWORD
	v_mov_b32_e32 v60, v36
	s_nop 0
	v_cndmask_b32_e64 v37, 0, 1, s[28:29]
	;;#ASMSTART
	;;#ASMEND
	s_nop 0
	v_cmp_ne_u32_e32 vcc, 0, v37
	s_cmp_lg_u64 vcc, exec
	s_cbranch_scc1 .LBB206_361
; %bb.357:                              ;   in Loop: Header=BB206_356 Depth=1
	v_lshl_add_u64 v[40:41], v[34:35], 3, s[30:31]
	global_load_dwordx2 v[36:37], v[40:41], off sc1
	s_waitcnt vmcnt(0)
	v_cmp_eq_u16_sdwa s[36:37], v37, v35 src0_sel:BYTE_0 src1_sel:DWORD
	s_and_saveexec_b64 s[28:29], s[36:37]
	s_cbranch_execz .LBB206_355
; %bb.358:                              ;   in Loop: Header=BB206_356 Depth=1
	s_mov_b64 s[36:37], 0
.LBB206_359:                            ;   Parent Loop BB206_356 Depth=1
                                        ; =>  This Inner Loop Header: Depth=2
	global_load_dwordx2 v[36:37], v[40:41], off sc1
	s_waitcnt vmcnt(0)
	v_cmp_ne_u16_sdwa s[38:39], v37, v35 src0_sel:BYTE_0 src1_sel:DWORD
	s_or_b64 s[36:37], s[38:39], s[36:37]
	s_andn2_b64 exec, exec, s[36:37]
	s_cbranch_execnz .LBB206_359
; %bb.360:                              ;   in Loop: Header=BB206_356 Depth=1
	s_or_b64 exec, exec, s[36:37]
	s_branch .LBB206_355
.LBB206_361:                            ;   in Loop: Header=BB206_356 Depth=1
                                        ; implicit-def: $vgpr36
                                        ; implicit-def: $vgpr37
	s_cbranch_execz .LBB206_356
; %bb.362:
	s_and_saveexec_b64 s[28:29], s[16:17]
	s_cbranch_execz .LBB206_364
; %bb.363:
	s_add_i32 s2, s2, 64
	s_mov_b32 s3, 0
	s_lshl_b64 s[2:3], s[2:3], 3
	s_add_u32 s2, s30, s2
	v_add_u32_e32 v34, v60, v32
	v_mov_b32_e32 v35, 2
	s_addc_u32 s3, s31, s3
	v_mov_b32_e32 v33, 0
	global_store_dwordx2 v33, v[34:35], s[2:3] sc1
	s_movk_i32 s2, 0x7000
	v_add_u32_e64 v33, s2, 0
	ds_write2_b32 v33, v32, v60 offset1:2
.LBB206_364:
	s_or_b64 exec, exec, s[28:29]
	v_cmp_eq_u32_e32 vcc, 0, v0
	s_and_b64 exec, exec, vcc
	s_cbranch_execz .LBB206_366
; %bb.365:
	v_mov_b32_e32 v32, 0
	ds_write_b32 v32, v60 offset:28
.LBB206_366:
	s_or_b64 exec, exec, s[26:27]
	v_mov_b32_e32 v32, 0
	s_waitcnt lgkmcnt(0)
	s_barrier
	ds_read_b32 v32, v32 offset:28
	v_cndmask_b32_e64 v33, v44, v42, s[16:17]
	v_cmp_ne_u32_e32 vcc, 0, v0
	s_movk_i32 s2, 0x7000
	s_waitcnt lgkmcnt(0)
	v_cndmask_b32_e32 v33, 0, v33, vcc
	v_add_u32_e32 v46, v32, v33
	v_add_u32_e64 v32, s2, 0
	v_add_u32_e32 v44, v46, v1
	s_barrier
	ds_read2_b32 v[32:33], v32 offset1:2
	v_add_u32_e32 v42, v44, v43
	v_add_u32_e32 v40, v42, v45
	;; [unrolled: 1-line block ×5, first 2 shown]
	s_waitcnt lgkmcnt(0)
	v_readfirstlane_b32 s26, v32
	v_readfirstlane_b32 s16, v33
	v_lshrrev_b64 v[32:33], 24, v[30:31]
	s_branch .LBB206_377
.LBB206_367:
                                        ; implicit-def: $vgpr34
                                        ; implicit-def: $vgpr36
                                        ; implicit-def: $vgpr38
                                        ; implicit-def: $vgpr40
                                        ; implicit-def: $vgpr42
                                        ; implicit-def: $vgpr44
                                        ; implicit-def: $vgpr46
                                        ; implicit-def: $sgpr16
                                        ; implicit-def: $sgpr26
	v_lshrrev_b64 v[32:33], 24, v[30:31]
	s_cbranch_execz .LBB206_377
; %bb.368:
	s_nop 0
	v_mov_b32_dpp v33, v52 row_shr:1 row_mask:0xf bank_mask:0xf
	v_cndmask_b32_e64 v33, v33, 0, s[14:15]
	v_add_u32_e32 v33, v33, v52
	s_nop 1
	v_mov_b32_dpp v34, v33 row_shr:2 row_mask:0xf bank_mask:0xf
	v_cndmask_b32_e64 v34, 0, v34, s[12:13]
	v_add_u32_e32 v33, v33, v34
	;; [unrolled: 4-line block ×4, first 2 shown]
	s_nop 1
	v_mov_b32_dpp v34, v33 row_bcast:15 row_mask:0xf bank_mask:0xf
	v_cndmask_b32_e64 v34, v34, 0, s[6:7]
	v_add_u32_e32 v33, v33, v34
	s_nop 1
	v_mov_b32_dpp v34, v33 row_bcast:31 row_mask:0xf bank_mask:0xf
	v_cndmask_b32_e64 v34, 0, v34, s[18:19]
	v_add_u32_e32 v33, v33, v34
	s_and_saveexec_b64 s[2:3], s[4:5]
	s_cbranch_execz .LBB206_370
; %bb.369:
	v_lshlrev_b32_e32 v34, 2, v51
	ds_write_b32 v34, v33
.LBB206_370:
	s_or_b64 exec, exec, s[2:3]
	v_cmp_gt_u32_e32 vcc, 8, v0
	s_waitcnt lgkmcnt(0)
	s_barrier
	s_and_saveexec_b64 s[2:3], vcc
	s_cbranch_execz .LBB206_372
; %bb.371:
	v_lshlrev_b32_e32 v34, 2, v0
	ds_read_b32 v35, v34
	v_and_b32_e32 v36, 7, v50
	v_cmp_ne_u32_e32 vcc, 0, v36
	s_waitcnt lgkmcnt(0)
	v_mov_b32_dpp v37, v35 row_shr:1 row_mask:0xf bank_mask:0xf
	v_cndmask_b32_e32 v37, 0, v37, vcc
	v_add_u32_e32 v35, v37, v35
	v_cmp_lt_u32_e32 vcc, 1, v36
	s_nop 0
	v_mov_b32_dpp v37, v35 row_shr:2 row_mask:0xf bank_mask:0xf
	v_cndmask_b32_e32 v37, 0, v37, vcc
	v_add_u32_e32 v35, v35, v37
	v_cmp_lt_u32_e32 vcc, 3, v36
	s_nop 0
	v_mov_b32_dpp v37, v35 row_shr:4 row_mask:0xf bank_mask:0xf
	v_cndmask_b32_e32 v36, 0, v37, vcc
	v_add_u32_e32 v35, v35, v36
	ds_write_b32 v34, v35
.LBB206_372:
	s_or_b64 exec, exec, s[2:3]
	v_cmp_lt_u32_e32 vcc, 63, v0
	v_mov_b32_e32 v35, 0
	v_mov_b32_e32 v34, 0
	s_waitcnt lgkmcnt(0)
	s_barrier
	s_and_saveexec_b64 s[2:3], vcc
	s_cbranch_execz .LBB206_374
; %bb.373:
	v_lshl_add_u32 v34, v51, 2, -4
	ds_read_b32 v34, v34
.LBB206_374:
	s_or_b64 exec, exec, s[2:3]
	v_add_u32_e32 v36, -1, v50
	v_and_b32_e32 v37, 64, v50
	v_cmp_lt_i32_e32 vcc, v36, v37
	s_waitcnt lgkmcnt(0)
	v_add_u32_e32 v33, v34, v33
	ds_read_b32 v35, v35 offset:28
	v_cndmask_b32_e32 v36, v36, v50, vcc
	v_lshlrev_b32_e32 v36, 2, v36
	ds_bpermute_b32 v33, v36, v33
	s_mov_b32 s16, 0
	v_cmp_eq_u32_e32 vcc, 0, v0
	s_waitcnt lgkmcnt(1)
	v_readfirstlane_b32 s26, v35
	s_and_saveexec_b64 s[2:3], vcc
	s_cbranch_execz .LBB206_376
; %bb.375:
	v_mov_b32_e32 v35, 0
	v_mov_b32_e32 v36, s26
	;; [unrolled: 1-line block ×3, first 2 shown]
	global_store_dwordx2 v35, v[36:37], s[30:31] offset:512 sc1
.LBB206_376:
	s_or_b64 exec, exec, s[2:3]
	v_cmp_eq_u32_e64 s[2:3], 0, v50
	s_waitcnt lgkmcnt(0)
	s_barrier
	v_cndmask_b32_e64 v33, v33, v34, s[2:3]
	v_cndmask_b32_e64 v46, v33, 0, vcc
	v_add_u32_e32 v44, v46, v1
	v_add_u32_e32 v42, v44, v43
	;; [unrolled: 1-line block ×6, first 2 shown]
.LBB206_377:
	s_load_dwordx4 s[4:7], s[0:1], 0x28
	s_cmpk_lt_u32 s26, 0x201
	s_cselect_b64 s[2:3], -1, 0
	v_lshrrev_b32_e32 v33, 8, v30
	v_lshrrev_b32_e32 v1, 8, v31
	s_mov_b64 s[0:1], -1
	s_and_b64 vcc, exec, s[2:3]
	s_cbranch_vccz .LBB206_400
; %bb.378:
	s_add_i32 s8, s16, s26
	v_cmp_gt_u32_e32 vcc, s8, v46
	s_or_b64 s[10:11], s[34:35], vcc
	s_and_saveexec_b64 s[0:1], s[10:11]
	s_cbranch_execz .LBB206_381
; %bb.379:
	v_and_b32_e32 v35, 1, v30
	v_cmp_eq_u32_e32 vcc, 1, v35
	s_and_b64 exec, exec, vcc
	s_cbranch_execz .LBB206_381
; %bb.380:
	s_lshl_b64 s[10:11], s[22:23], 3
	s_waitcnt lgkmcnt(0)
	s_add_u32 s10, s4, s10
	s_addc_u32 s11, s5, s11
	v_mov_b32_e32 v47, 0
	v_lshl_add_u64 v[48:49], v[46:47], 3, s[10:11]
	global_store_dwordx2 v[48:49], v[22:23], off
.LBB206_381:
	s_or_b64 exec, exec, s[0:1]
	v_cmp_gt_u32_e32 vcc, s8, v44
	s_or_b64 s[10:11], s[34:35], vcc
	s_and_saveexec_b64 s[0:1], s[10:11]
	s_cbranch_execz .LBB206_384
; %bb.382:
	v_and_b32_e32 v35, 1, v33
	v_cmp_eq_u32_e32 vcc, 1, v35
	s_and_b64 exec, exec, vcc
	s_cbranch_execz .LBB206_384
; %bb.383:
	s_lshl_b64 s[10:11], s[22:23], 3
	s_waitcnt lgkmcnt(0)
	s_add_u32 s10, s4, s10
	s_addc_u32 s11, s5, s11
	v_mov_b32_e32 v45, 0
	v_lshl_add_u64 v[48:49], v[44:45], 3, s[10:11]
	global_store_dwordx2 v[48:49], v[24:25], off
.LBB206_384:
	s_or_b64 exec, exec, s[0:1]
	v_cmp_gt_u32_e32 vcc, s8, v42
	s_or_b64 s[10:11], s[34:35], vcc
	s_and_saveexec_b64 s[0:1], s[10:11]
	s_cbranch_execz .LBB206_387
; %bb.385:
	v_mov_b32_e32 v35, 1
	v_and_b32_sdwa v35, v35, v30 dst_sel:DWORD dst_unused:UNUSED_PAD src0_sel:DWORD src1_sel:WORD_1
	v_cmp_eq_u32_e32 vcc, 1, v35
	s_and_b64 exec, exec, vcc
	s_cbranch_execz .LBB206_387
; %bb.386:
	s_lshl_b64 s[10:11], s[22:23], 3
	s_waitcnt lgkmcnt(0)
	s_add_u32 s10, s4, s10
	s_addc_u32 s11, s5, s11
	v_mov_b32_e32 v43, 0
	v_lshl_add_u64 v[48:49], v[42:43], 3, s[10:11]
	global_store_dwordx2 v[48:49], v[18:19], off
.LBB206_387:
	s_or_b64 exec, exec, s[0:1]
	v_cmp_gt_u32_e32 vcc, s8, v40
	s_or_b64 s[10:11], s[34:35], vcc
	s_and_saveexec_b64 s[0:1], s[10:11]
	s_cbranch_execz .LBB206_390
; %bb.388:
	v_and_b32_e32 v35, 1, v32
	v_cmp_eq_u32_e32 vcc, 1, v35
	s_and_b64 exec, exec, vcc
	s_cbranch_execz .LBB206_390
; %bb.389:
	s_lshl_b64 s[10:11], s[22:23], 3
	s_waitcnt lgkmcnt(0)
	s_add_u32 s10, s4, s10
	s_addc_u32 s11, s5, s11
	v_mov_b32_e32 v41, 0
	v_lshl_add_u64 v[48:49], v[40:41], 3, s[10:11]
	global_store_dwordx2 v[48:49], v[20:21], off
.LBB206_390:
	s_or_b64 exec, exec, s[0:1]
	v_cmp_gt_u32_e32 vcc, s8, v38
	s_or_b64 s[10:11], s[34:35], vcc
	s_and_saveexec_b64 s[0:1], s[10:11]
	s_cbranch_execz .LBB206_393
; %bb.391:
	v_and_b32_e32 v35, 1, v31
	v_cmp_eq_u32_e32 vcc, 1, v35
	s_and_b64 exec, exec, vcc
	s_cbranch_execz .LBB206_393
; %bb.392:
	s_lshl_b64 s[10:11], s[22:23], 3
	s_waitcnt lgkmcnt(0)
	s_add_u32 s10, s4, s10
	s_addc_u32 s11, s5, s11
	v_mov_b32_e32 v39, 0
	v_lshl_add_u64 v[48:49], v[38:39], 3, s[10:11]
	global_store_dwordx2 v[48:49], v[14:15], off
.LBB206_393:
	;; [unrolled: 19-line block ×3, first 2 shown]
	s_or_b64 exec, exec, s[0:1]
	v_cmp_gt_u32_e32 vcc, s8, v34
	s_or_b64 s[8:9], s[34:35], vcc
	s_and_saveexec_b64 s[0:1], s[8:9]
	s_cbranch_execz .LBB206_399
; %bb.397:
	v_mov_b32_e32 v35, 1
	v_and_b32_sdwa v35, v35, v31 dst_sel:DWORD dst_unused:UNUSED_PAD src0_sel:DWORD src1_sel:WORD_1
	v_cmp_eq_u32_e32 vcc, 1, v35
	s_and_b64 exec, exec, vcc
	s_cbranch_execz .LBB206_399
; %bb.398:
	s_lshl_b64 s[8:9], s[22:23], 3
	s_waitcnt lgkmcnt(0)
	s_add_u32 s8, s4, s8
	s_addc_u32 s9, s5, s9
	v_mov_b32_e32 v35, 0
	v_lshl_add_u64 v[48:49], v[34:35], 3, s[8:9]
	global_store_dwordx2 v[48:49], v[28:29], off
.LBB206_399:
	s_or_b64 exec, exec, s[0:1]
	s_mov_b64 s[0:1], 0
.LBB206_400:
	v_and_b32_e32 v48, 1, v30
	s_and_b64 vcc, exec, s[0:1]
	v_cmp_eq_u32_e64 s[0:1], 1, v48
	s_cbranch_vccz .LBB206_419
; %bb.401:
	s_and_saveexec_b64 s[8:9], s[0:1]
	s_cbranch_execz .LBB206_403
; %bb.402:
	v_subrev_u32_e32 v35, s16, v46
	v_lshlrev_b32_e32 v35, 3, v35
	ds_write_b64 v35, v[22:23]
.LBB206_403:
	s_or_b64 exec, exec, s[8:9]
	v_and_b32_e32 v22, 1, v33
	v_cmp_eq_u32_e32 vcc, 1, v22
	s_and_saveexec_b64 s[0:1], vcc
	s_cbranch_execz .LBB206_405
; %bb.404:
	v_subrev_u32_e32 v22, s16, v44
	v_lshlrev_b32_e32 v22, 3, v22
	ds_write_b64 v22, v[24:25]
.LBB206_405:
	s_or_b64 exec, exec, s[0:1]
	v_mov_b32_e32 v22, 1
	v_and_b32_sdwa v22, v22, v30 dst_sel:DWORD dst_unused:UNUSED_PAD src0_sel:DWORD src1_sel:WORD_1
	v_cmp_eq_u32_e32 vcc, 1, v22
	s_and_saveexec_b64 s[0:1], vcc
	s_cbranch_execz .LBB206_407
; %bb.406:
	v_subrev_u32_e32 v22, s16, v42
	v_lshlrev_b32_e32 v22, 3, v22
	ds_write_b64 v22, v[18:19]
.LBB206_407:
	s_or_b64 exec, exec, s[0:1]
	v_and_b32_e32 v18, 1, v32
	v_cmp_eq_u32_e32 vcc, 1, v18
	s_and_saveexec_b64 s[0:1], vcc
	s_cbranch_execz .LBB206_409
; %bb.408:
	v_subrev_u32_e32 v18, s16, v40
	v_lshlrev_b32_e32 v18, 3, v18
	ds_write_b64 v18, v[20:21]
.LBB206_409:
	s_or_b64 exec, exec, s[0:1]
	v_and_b32_e32 v18, 1, v31
	;; [unrolled: 10-line block ×3, first 2 shown]
	v_cmp_eq_u32_e32 vcc, 1, v14
	s_and_saveexec_b64 s[0:1], vcc
	s_cbranch_execz .LBB206_413
; %bb.412:
	v_subrev_u32_e32 v14, s16, v36
	v_lshlrev_b32_e32 v14, 3, v14
	ds_write_b64 v14, v[16:17]
.LBB206_413:
	s_or_b64 exec, exec, s[0:1]
	v_mov_b32_e32 v14, 1
	v_and_b32_sdwa v14, v14, v31 dst_sel:DWORD dst_unused:UNUSED_PAD src0_sel:DWORD src1_sel:WORD_1
	v_cmp_eq_u32_e32 vcc, 1, v14
	s_and_saveexec_b64 s[0:1], vcc
	s_cbranch_execz .LBB206_415
; %bb.414:
	v_subrev_u32_e32 v14, s16, v34
	v_lshlrev_b32_e32 v14, 3, v14
	ds_write_b64 v14, v[28:29]
.LBB206_415:
	s_or_b64 exec, exec, s[0:1]
	v_cmp_gt_u32_e32 vcc, s26, v0
	s_waitcnt lgkmcnt(0)
	s_barrier
	s_and_saveexec_b64 s[0:1], vcc
	s_cbranch_execz .LBB206_418
; %bb.416:
	s_mov_b32 s17, 0
	s_lshl_b64 s[8:9], s[22:23], 3
	s_lshl_b64 s[10:11], s[16:17], 3
	s_add_u32 s8, s8, s10
	s_addc_u32 s9, s9, s11
	s_add_u32 s4, s4, s8
	v_lshlrev_b32_e32 v14, 3, v0
	v_mov_b32_e32 v15, 0
	s_addc_u32 s5, s5, s9
	v_lshl_add_u64 v[16:17], s[4:5], 0, v[14:15]
	s_mov_b64 s[4:5], 0
	s_mov_b64 s[8:9], 0x1000
	v_mov_b32_e32 v15, v0
.LBB206_417:                            ; =>This Inner Loop Header: Depth=1
	ds_read_b64 v[18:19], v14
	v_add_u32_e32 v15, 0x200, v15
	v_cmp_le_u32_e32 vcc, s26, v15
	v_add_u32_e32 v14, 0x1000, v14
	s_or_b64 s[4:5], vcc, s[4:5]
	s_waitcnt lgkmcnt(0)
	global_store_dwordx2 v[16:17], v[18:19], off
	v_lshl_add_u64 v[16:17], v[16:17], 0, s[8:9]
	s_andn2_b64 exec, exec, s[4:5]
	s_cbranch_execnz .LBB206_417
.LBB206_418:
	s_or_b64 exec, exec, s[0:1]
.LBB206_419:
	s_mov_b64 s[0:1], -1
	s_and_b64 vcc, exec, s[2:3]
	s_waitcnt lgkmcnt(0)
	s_barrier
	s_cbranch_vccnz .LBB206_423
; %bb.420:
	s_and_b64 vcc, exec, s[0:1]
	s_cbranch_vccnz .LBB206_445
.LBB206_421:
	v_cmp_eq_u32_e32 vcc, 0, v0
	s_and_b64 s[0:1], vcc, s[24:25]
	s_and_saveexec_b64 s[2:3], s[0:1]
	s_cbranch_execnz .LBB206_463
.LBB206_422:
	s_endpgm
.LBB206_423:
	s_add_i32 s2, s16, s26
	v_cmp_gt_u32_e32 vcc, s2, v46
	s_or_b64 s[4:5], s[34:35], vcc
	s_and_saveexec_b64 s[0:1], s[4:5]
	s_cbranch_execz .LBB206_426
; %bb.424:
	v_cmp_eq_u32_e32 vcc, 1, v48
	s_and_b64 exec, exec, vcc
	s_cbranch_execz .LBB206_426
; %bb.425:
	s_lshl_b64 s[4:5], s[22:23], 3
	s_add_u32 s4, s6, s4
	s_addc_u32 s5, s7, s5
	v_mov_b32_e32 v47, 0
	v_lshl_add_u64 v[14:15], v[46:47], 3, s[4:5]
	global_store_dwordx2 v[14:15], v[10:11], off
.LBB206_426:
	s_or_b64 exec, exec, s[0:1]
	v_cmp_gt_u32_e32 vcc, s2, v44
	s_or_b64 s[4:5], s[34:35], vcc
	s_and_saveexec_b64 s[0:1], s[4:5]
	s_cbranch_execz .LBB206_429
; %bb.427:
	v_and_b32_e32 v14, 1, v33
	v_cmp_eq_u32_e32 vcc, 1, v14
	s_and_b64 exec, exec, vcc
	s_cbranch_execz .LBB206_429
; %bb.428:
	s_lshl_b64 s[4:5], s[22:23], 3
	s_add_u32 s4, s6, s4
	s_addc_u32 s5, s7, s5
	v_mov_b32_e32 v45, 0
	v_lshl_add_u64 v[14:15], v[44:45], 3, s[4:5]
	global_store_dwordx2 v[14:15], v[12:13], off
.LBB206_429:
	s_or_b64 exec, exec, s[0:1]
	v_cmp_gt_u32_e32 vcc, s2, v42
	s_or_b64 s[4:5], s[34:35], vcc
	s_and_saveexec_b64 s[0:1], s[4:5]
	s_cbranch_execz .LBB206_432
; %bb.430:
	v_mov_b32_e32 v14, 1
	v_and_b32_sdwa v14, v14, v30 dst_sel:DWORD dst_unused:UNUSED_PAD src0_sel:DWORD src1_sel:WORD_1
	v_cmp_eq_u32_e32 vcc, 1, v14
	s_and_b64 exec, exec, vcc
	s_cbranch_execz .LBB206_432
; %bb.431:
	s_lshl_b64 s[4:5], s[22:23], 3
	s_add_u32 s4, s6, s4
	s_addc_u32 s5, s7, s5
	v_mov_b32_e32 v43, 0
	v_lshl_add_u64 v[14:15], v[42:43], 3, s[4:5]
	global_store_dwordx2 v[14:15], v[6:7], off
.LBB206_432:
	s_or_b64 exec, exec, s[0:1]
	v_cmp_gt_u32_e32 vcc, s2, v40
	s_or_b64 s[4:5], s[34:35], vcc
	s_and_saveexec_b64 s[0:1], s[4:5]
	s_cbranch_execz .LBB206_435
; %bb.433:
	v_and_b32_e32 v14, 1, v32
	v_cmp_eq_u32_e32 vcc, 1, v14
	s_and_b64 exec, exec, vcc
	s_cbranch_execz .LBB206_435
; %bb.434:
	s_lshl_b64 s[4:5], s[22:23], 3
	s_add_u32 s4, s6, s4
	s_addc_u32 s5, s7, s5
	v_mov_b32_e32 v41, 0
	v_lshl_add_u64 v[14:15], v[40:41], 3, s[4:5]
	global_store_dwordx2 v[14:15], v[8:9], off
.LBB206_435:
	s_or_b64 exec, exec, s[0:1]
	v_cmp_gt_u32_e32 vcc, s2, v38
	s_or_b64 s[4:5], s[34:35], vcc
	s_and_saveexec_b64 s[0:1], s[4:5]
	s_cbranch_execz .LBB206_438
; %bb.436:
	v_and_b32_e32 v14, 1, v31
	v_cmp_eq_u32_e32 vcc, 1, v14
	s_and_b64 exec, exec, vcc
	s_cbranch_execz .LBB206_438
; %bb.437:
	s_lshl_b64 s[4:5], s[22:23], 3
	s_add_u32 s4, s6, s4
	s_addc_u32 s5, s7, s5
	v_mov_b32_e32 v39, 0
	v_lshl_add_u64 v[14:15], v[38:39], 3, s[4:5]
	global_store_dwordx2 v[14:15], v[2:3], off
.LBB206_438:
	;; [unrolled: 18-line block ×3, first 2 shown]
	s_or_b64 exec, exec, s[0:1]
	v_cmp_gt_u32_e32 vcc, s2, v34
	s_or_b64 s[2:3], s[34:35], vcc
	s_and_saveexec_b64 s[0:1], s[2:3]
	s_cbranch_execz .LBB206_444
; %bb.442:
	v_mov_b32_e32 v14, 1
	v_and_b32_sdwa v14, v14, v31 dst_sel:DWORD dst_unused:UNUSED_PAD src0_sel:DWORD src1_sel:WORD_1
	v_cmp_eq_u32_e32 vcc, 1, v14
	s_and_b64 exec, exec, vcc
	s_cbranch_execz .LBB206_444
; %bb.443:
	s_lshl_b64 s[2:3], s[22:23], 3
	s_add_u32 s2, s6, s2
	s_addc_u32 s3, s7, s3
	v_mov_b32_e32 v35, 0
	v_lshl_add_u64 v[14:15], v[34:35], 3, s[2:3]
	global_store_dwordx2 v[14:15], v[26:27], off
.LBB206_444:
	s_or_b64 exec, exec, s[0:1]
	s_branch .LBB206_421
.LBB206_445:
	v_cmp_eq_u32_e32 vcc, 1, v48
	s_and_saveexec_b64 s[0:1], vcc
	s_cbranch_execz .LBB206_447
; %bb.446:
	v_subrev_u32_e32 v14, s16, v46
	v_lshlrev_b32_e32 v14, 3, v14
	ds_write_b64 v14, v[10:11]
.LBB206_447:
	s_or_b64 exec, exec, s[0:1]
	v_and_b32_e32 v10, 1, v33
	v_cmp_eq_u32_e32 vcc, 1, v10
	s_and_saveexec_b64 s[0:1], vcc
	s_cbranch_execz .LBB206_449
; %bb.448:
	v_subrev_u32_e32 v10, s16, v44
	v_lshlrev_b32_e32 v10, 3, v10
	ds_write_b64 v10, v[12:13]
.LBB206_449:
	s_or_b64 exec, exec, s[0:1]
	v_mov_b32_e32 v10, 1
	v_and_b32_sdwa v10, v10, v30 dst_sel:DWORD dst_unused:UNUSED_PAD src0_sel:DWORD src1_sel:WORD_1
	v_cmp_eq_u32_e32 vcc, 1, v10
	s_and_saveexec_b64 s[0:1], vcc
	s_cbranch_execz .LBB206_451
; %bb.450:
	v_subrev_u32_e32 v10, s16, v42
	v_lshlrev_b32_e32 v10, 3, v10
	ds_write_b64 v10, v[6:7]
.LBB206_451:
	s_or_b64 exec, exec, s[0:1]
	v_and_b32_e32 v6, 1, v32
	v_cmp_eq_u32_e32 vcc, 1, v6
	s_and_saveexec_b64 s[0:1], vcc
	s_cbranch_execz .LBB206_453
; %bb.452:
	v_subrev_u32_e32 v6, s16, v40
	v_lshlrev_b32_e32 v6, 3, v6
	ds_write_b64 v6, v[8:9]
.LBB206_453:
	s_or_b64 exec, exec, s[0:1]
	v_and_b32_e32 v6, 1, v31
	;; [unrolled: 10-line block ×3, first 2 shown]
	v_cmp_eq_u32_e32 vcc, 1, v1
	s_and_saveexec_b64 s[0:1], vcc
	s_cbranch_execz .LBB206_457
; %bb.456:
	v_subrev_u32_e32 v1, s16, v36
	v_lshlrev_b32_e32 v1, 3, v1
	ds_write_b64 v1, v[4:5]
.LBB206_457:
	s_or_b64 exec, exec, s[0:1]
	v_mov_b32_e32 v1, 1
	v_and_b32_sdwa v1, v1, v31 dst_sel:DWORD dst_unused:UNUSED_PAD src0_sel:DWORD src1_sel:WORD_1
	v_cmp_eq_u32_e32 vcc, 1, v1
	s_and_saveexec_b64 s[0:1], vcc
	s_cbranch_execz .LBB206_459
; %bb.458:
	v_subrev_u32_e32 v1, s16, v34
	v_lshlrev_b32_e32 v1, 3, v1
	ds_write_b64 v1, v[26:27]
.LBB206_459:
	s_or_b64 exec, exec, s[0:1]
	v_cmp_gt_u32_e32 vcc, s26, v0
	s_waitcnt lgkmcnt(0)
	s_barrier
	s_and_saveexec_b64 s[0:1], vcc
	s_cbranch_execz .LBB206_462
; %bb.460:
	s_mov_b32 s17, 0
	s_lshl_b64 s[2:3], s[22:23], 3
	s_lshl_b64 s[4:5], s[16:17], 3
	s_add_u32 s2, s2, s4
	s_addc_u32 s3, s3, s5
	s_add_u32 s2, s6, s2
	v_lshlrev_b32_e32 v2, 3, v0
	v_mov_b32_e32 v3, 0
	s_addc_u32 s3, s7, s3
	v_lshl_add_u64 v[4:5], s[2:3], 0, v[2:3]
	s_mov_b64 s[2:3], 0
	s_mov_b64 s[4:5], 0x1000
	v_mov_b32_e32 v1, v0
.LBB206_461:                            ; =>This Inner Loop Header: Depth=1
	ds_read_b64 v[6:7], v2
	v_add_u32_e32 v1, 0x200, v1
	v_cmp_le_u32_e32 vcc, s26, v1
	v_add_u32_e32 v2, 0x1000, v2
	s_or_b64 s[2:3], vcc, s[2:3]
	s_waitcnt lgkmcnt(0)
	global_store_dwordx2 v[4:5], v[6:7], off
	v_lshl_add_u64 v[4:5], v[4:5], 0, s[4:5]
	s_andn2_b64 exec, exec, s[2:3]
	s_cbranch_execnz .LBB206_461
.LBB206_462:
	s_or_b64 exec, exec, s[0:1]
	v_cmp_eq_u32_e32 vcc, 0, v0
	s_and_b64 s[0:1], vcc, s[24:25]
	s_and_saveexec_b64 s[2:3], s[0:1]
	s_cbranch_execz .LBB206_422
.LBB206_463:
	s_add_u32 s0, s22, s26
	s_addc_u32 s1, s23, 0
	s_add_u32 s0, s0, s16
	s_addc_u32 s1, s1, 0
	v_mov_b32_e32 v2, 0
	v_mov_b64_e32 v[0:1], s[0:1]
	global_store_dwordx2 v2, v[0:1], s[20:21]
	s_endpgm
	.section	.rodata,"a",@progbits
	.p2align	6, 0x0
	.amdhsa_kernel _ZN7rocprim17ROCPRIM_400000_NS6detail17trampoline_kernelINS0_14default_configENS1_25partition_config_selectorILNS1_17partition_subalgoE9EllbEEZZNS1_14partition_implILS5_9ELb0ES3_jPlS8_PNS0_10empty_typeENS0_5tupleIJS8_S9_EEENSB_IJS8_SA_EEENS0_18inequality_wrapperIZN2at6native12_GLOBAL__N_124unique_dim_cuda_templateIhEESt5tupleIJNSF_6TensorESK_SK_EERKSK_lbbbEUlllE0_EEPmJS9_EEE10hipError_tPvRmT3_T4_T5_T6_T7_T9_mT8_P12ihipStream_tbDpT10_ENKUlT_T0_E_clISt17integral_constantIbLb0EES1A_EEDaS15_S16_EUlS15_E_NS1_11comp_targetILNS1_3genE5ELNS1_11target_archE942ELNS1_3gpuE9ELNS1_3repE0EEENS1_30default_config_static_selectorELNS0_4arch9wavefront6targetE1EEEvT1_
		.amdhsa_group_segment_fixed_size 28684
		.amdhsa_private_segment_fixed_size 0
		.amdhsa_kernarg_size 120
		.amdhsa_user_sgpr_count 2
		.amdhsa_user_sgpr_dispatch_ptr 0
		.amdhsa_user_sgpr_queue_ptr 0
		.amdhsa_user_sgpr_kernarg_segment_ptr 1
		.amdhsa_user_sgpr_dispatch_id 0
		.amdhsa_user_sgpr_kernarg_preload_length 0
		.amdhsa_user_sgpr_kernarg_preload_offset 0
		.amdhsa_user_sgpr_private_segment_size 0
		.amdhsa_uses_dynamic_stack 0
		.amdhsa_enable_private_segment 0
		.amdhsa_system_sgpr_workgroup_id_x 1
		.amdhsa_system_sgpr_workgroup_id_y 0
		.amdhsa_system_sgpr_workgroup_id_z 0
		.amdhsa_system_sgpr_workgroup_info 0
		.amdhsa_system_vgpr_workitem_id 0
		.amdhsa_next_free_vgpr 66
		.amdhsa_next_free_sgpr 52
		.amdhsa_accum_offset 68
		.amdhsa_reserve_vcc 1
		.amdhsa_float_round_mode_32 0
		.amdhsa_float_round_mode_16_64 0
		.amdhsa_float_denorm_mode_32 3
		.amdhsa_float_denorm_mode_16_64 3
		.amdhsa_dx10_clamp 1
		.amdhsa_ieee_mode 1
		.amdhsa_fp16_overflow 0
		.amdhsa_tg_split 0
		.amdhsa_exception_fp_ieee_invalid_op 0
		.amdhsa_exception_fp_denorm_src 0
		.amdhsa_exception_fp_ieee_div_zero 0
		.amdhsa_exception_fp_ieee_overflow 0
		.amdhsa_exception_fp_ieee_underflow 0
		.amdhsa_exception_fp_ieee_inexact 0
		.amdhsa_exception_int_div_zero 0
	.end_amdhsa_kernel
	.section	.text._ZN7rocprim17ROCPRIM_400000_NS6detail17trampoline_kernelINS0_14default_configENS1_25partition_config_selectorILNS1_17partition_subalgoE9EllbEEZZNS1_14partition_implILS5_9ELb0ES3_jPlS8_PNS0_10empty_typeENS0_5tupleIJS8_S9_EEENSB_IJS8_SA_EEENS0_18inequality_wrapperIZN2at6native12_GLOBAL__N_124unique_dim_cuda_templateIhEESt5tupleIJNSF_6TensorESK_SK_EERKSK_lbbbEUlllE0_EEPmJS9_EEE10hipError_tPvRmT3_T4_T5_T6_T7_T9_mT8_P12ihipStream_tbDpT10_ENKUlT_T0_E_clISt17integral_constantIbLb0EES1A_EEDaS15_S16_EUlS15_E_NS1_11comp_targetILNS1_3genE5ELNS1_11target_archE942ELNS1_3gpuE9ELNS1_3repE0EEENS1_30default_config_static_selectorELNS0_4arch9wavefront6targetE1EEEvT1_,"axG",@progbits,_ZN7rocprim17ROCPRIM_400000_NS6detail17trampoline_kernelINS0_14default_configENS1_25partition_config_selectorILNS1_17partition_subalgoE9EllbEEZZNS1_14partition_implILS5_9ELb0ES3_jPlS8_PNS0_10empty_typeENS0_5tupleIJS8_S9_EEENSB_IJS8_SA_EEENS0_18inequality_wrapperIZN2at6native12_GLOBAL__N_124unique_dim_cuda_templateIhEESt5tupleIJNSF_6TensorESK_SK_EERKSK_lbbbEUlllE0_EEPmJS9_EEE10hipError_tPvRmT3_T4_T5_T6_T7_T9_mT8_P12ihipStream_tbDpT10_ENKUlT_T0_E_clISt17integral_constantIbLb0EES1A_EEDaS15_S16_EUlS15_E_NS1_11comp_targetILNS1_3genE5ELNS1_11target_archE942ELNS1_3gpuE9ELNS1_3repE0EEENS1_30default_config_static_selectorELNS0_4arch9wavefront6targetE1EEEvT1_,comdat
.Lfunc_end206:
	.size	_ZN7rocprim17ROCPRIM_400000_NS6detail17trampoline_kernelINS0_14default_configENS1_25partition_config_selectorILNS1_17partition_subalgoE9EllbEEZZNS1_14partition_implILS5_9ELb0ES3_jPlS8_PNS0_10empty_typeENS0_5tupleIJS8_S9_EEENSB_IJS8_SA_EEENS0_18inequality_wrapperIZN2at6native12_GLOBAL__N_124unique_dim_cuda_templateIhEESt5tupleIJNSF_6TensorESK_SK_EERKSK_lbbbEUlllE0_EEPmJS9_EEE10hipError_tPvRmT3_T4_T5_T6_T7_T9_mT8_P12ihipStream_tbDpT10_ENKUlT_T0_E_clISt17integral_constantIbLb0EES1A_EEDaS15_S16_EUlS15_E_NS1_11comp_targetILNS1_3genE5ELNS1_11target_archE942ELNS1_3gpuE9ELNS1_3repE0EEENS1_30default_config_static_selectorELNS0_4arch9wavefront6targetE1EEEvT1_, .Lfunc_end206-_ZN7rocprim17ROCPRIM_400000_NS6detail17trampoline_kernelINS0_14default_configENS1_25partition_config_selectorILNS1_17partition_subalgoE9EllbEEZZNS1_14partition_implILS5_9ELb0ES3_jPlS8_PNS0_10empty_typeENS0_5tupleIJS8_S9_EEENSB_IJS8_SA_EEENS0_18inequality_wrapperIZN2at6native12_GLOBAL__N_124unique_dim_cuda_templateIhEESt5tupleIJNSF_6TensorESK_SK_EERKSK_lbbbEUlllE0_EEPmJS9_EEE10hipError_tPvRmT3_T4_T5_T6_T7_T9_mT8_P12ihipStream_tbDpT10_ENKUlT_T0_E_clISt17integral_constantIbLb0EES1A_EEDaS15_S16_EUlS15_E_NS1_11comp_targetILNS1_3genE5ELNS1_11target_archE942ELNS1_3gpuE9ELNS1_3repE0EEENS1_30default_config_static_selectorELNS0_4arch9wavefront6targetE1EEEvT1_
                                        ; -- End function
	.section	.AMDGPU.csdata,"",@progbits
; Kernel info:
; codeLenInByte = 13628
; NumSgprs: 58
; NumVgprs: 66
; NumAgprs: 0
; TotalNumVgprs: 66
; ScratchSize: 0
; MemoryBound: 0
; FloatMode: 240
; IeeeMode: 1
; LDSByteSize: 28684 bytes/workgroup (compile time only)
; SGPRBlocks: 7
; VGPRBlocks: 8
; NumSGPRsForWavesPerEU: 58
; NumVGPRsForWavesPerEU: 66
; AccumOffset: 68
; Occupancy: 4
; WaveLimiterHint : 1
; COMPUTE_PGM_RSRC2:SCRATCH_EN: 0
; COMPUTE_PGM_RSRC2:USER_SGPR: 2
; COMPUTE_PGM_RSRC2:TRAP_HANDLER: 0
; COMPUTE_PGM_RSRC2:TGID_X_EN: 1
; COMPUTE_PGM_RSRC2:TGID_Y_EN: 0
; COMPUTE_PGM_RSRC2:TGID_Z_EN: 0
; COMPUTE_PGM_RSRC2:TIDIG_COMP_CNT: 0
; COMPUTE_PGM_RSRC3_GFX90A:ACCUM_OFFSET: 16
; COMPUTE_PGM_RSRC3_GFX90A:TG_SPLIT: 0
	.section	.text._ZN7rocprim17ROCPRIM_400000_NS6detail17trampoline_kernelINS0_14default_configENS1_25partition_config_selectorILNS1_17partition_subalgoE9EllbEEZZNS1_14partition_implILS5_9ELb0ES3_jPlS8_PNS0_10empty_typeENS0_5tupleIJS8_S9_EEENSB_IJS8_SA_EEENS0_18inequality_wrapperIZN2at6native12_GLOBAL__N_124unique_dim_cuda_templateIhEESt5tupleIJNSF_6TensorESK_SK_EERKSK_lbbbEUlllE0_EEPmJS9_EEE10hipError_tPvRmT3_T4_T5_T6_T7_T9_mT8_P12ihipStream_tbDpT10_ENKUlT_T0_E_clISt17integral_constantIbLb0EES1A_EEDaS15_S16_EUlS15_E_NS1_11comp_targetILNS1_3genE4ELNS1_11target_archE910ELNS1_3gpuE8ELNS1_3repE0EEENS1_30default_config_static_selectorELNS0_4arch9wavefront6targetE1EEEvT1_,"axG",@progbits,_ZN7rocprim17ROCPRIM_400000_NS6detail17trampoline_kernelINS0_14default_configENS1_25partition_config_selectorILNS1_17partition_subalgoE9EllbEEZZNS1_14partition_implILS5_9ELb0ES3_jPlS8_PNS0_10empty_typeENS0_5tupleIJS8_S9_EEENSB_IJS8_SA_EEENS0_18inequality_wrapperIZN2at6native12_GLOBAL__N_124unique_dim_cuda_templateIhEESt5tupleIJNSF_6TensorESK_SK_EERKSK_lbbbEUlllE0_EEPmJS9_EEE10hipError_tPvRmT3_T4_T5_T6_T7_T9_mT8_P12ihipStream_tbDpT10_ENKUlT_T0_E_clISt17integral_constantIbLb0EES1A_EEDaS15_S16_EUlS15_E_NS1_11comp_targetILNS1_3genE4ELNS1_11target_archE910ELNS1_3gpuE8ELNS1_3repE0EEENS1_30default_config_static_selectorELNS0_4arch9wavefront6targetE1EEEvT1_,comdat
	.globl	_ZN7rocprim17ROCPRIM_400000_NS6detail17trampoline_kernelINS0_14default_configENS1_25partition_config_selectorILNS1_17partition_subalgoE9EllbEEZZNS1_14partition_implILS5_9ELb0ES3_jPlS8_PNS0_10empty_typeENS0_5tupleIJS8_S9_EEENSB_IJS8_SA_EEENS0_18inequality_wrapperIZN2at6native12_GLOBAL__N_124unique_dim_cuda_templateIhEESt5tupleIJNSF_6TensorESK_SK_EERKSK_lbbbEUlllE0_EEPmJS9_EEE10hipError_tPvRmT3_T4_T5_T6_T7_T9_mT8_P12ihipStream_tbDpT10_ENKUlT_T0_E_clISt17integral_constantIbLb0EES1A_EEDaS15_S16_EUlS15_E_NS1_11comp_targetILNS1_3genE4ELNS1_11target_archE910ELNS1_3gpuE8ELNS1_3repE0EEENS1_30default_config_static_selectorELNS0_4arch9wavefront6targetE1EEEvT1_ ; -- Begin function _ZN7rocprim17ROCPRIM_400000_NS6detail17trampoline_kernelINS0_14default_configENS1_25partition_config_selectorILNS1_17partition_subalgoE9EllbEEZZNS1_14partition_implILS5_9ELb0ES3_jPlS8_PNS0_10empty_typeENS0_5tupleIJS8_S9_EEENSB_IJS8_SA_EEENS0_18inequality_wrapperIZN2at6native12_GLOBAL__N_124unique_dim_cuda_templateIhEESt5tupleIJNSF_6TensorESK_SK_EERKSK_lbbbEUlllE0_EEPmJS9_EEE10hipError_tPvRmT3_T4_T5_T6_T7_T9_mT8_P12ihipStream_tbDpT10_ENKUlT_T0_E_clISt17integral_constantIbLb0EES1A_EEDaS15_S16_EUlS15_E_NS1_11comp_targetILNS1_3genE4ELNS1_11target_archE910ELNS1_3gpuE8ELNS1_3repE0EEENS1_30default_config_static_selectorELNS0_4arch9wavefront6targetE1EEEvT1_
	.p2align	8
	.type	_ZN7rocprim17ROCPRIM_400000_NS6detail17trampoline_kernelINS0_14default_configENS1_25partition_config_selectorILNS1_17partition_subalgoE9EllbEEZZNS1_14partition_implILS5_9ELb0ES3_jPlS8_PNS0_10empty_typeENS0_5tupleIJS8_S9_EEENSB_IJS8_SA_EEENS0_18inequality_wrapperIZN2at6native12_GLOBAL__N_124unique_dim_cuda_templateIhEESt5tupleIJNSF_6TensorESK_SK_EERKSK_lbbbEUlllE0_EEPmJS9_EEE10hipError_tPvRmT3_T4_T5_T6_T7_T9_mT8_P12ihipStream_tbDpT10_ENKUlT_T0_E_clISt17integral_constantIbLb0EES1A_EEDaS15_S16_EUlS15_E_NS1_11comp_targetILNS1_3genE4ELNS1_11target_archE910ELNS1_3gpuE8ELNS1_3repE0EEENS1_30default_config_static_selectorELNS0_4arch9wavefront6targetE1EEEvT1_,@function
_ZN7rocprim17ROCPRIM_400000_NS6detail17trampoline_kernelINS0_14default_configENS1_25partition_config_selectorILNS1_17partition_subalgoE9EllbEEZZNS1_14partition_implILS5_9ELb0ES3_jPlS8_PNS0_10empty_typeENS0_5tupleIJS8_S9_EEENSB_IJS8_SA_EEENS0_18inequality_wrapperIZN2at6native12_GLOBAL__N_124unique_dim_cuda_templateIhEESt5tupleIJNSF_6TensorESK_SK_EERKSK_lbbbEUlllE0_EEPmJS9_EEE10hipError_tPvRmT3_T4_T5_T6_T7_T9_mT8_P12ihipStream_tbDpT10_ENKUlT_T0_E_clISt17integral_constantIbLb0EES1A_EEDaS15_S16_EUlS15_E_NS1_11comp_targetILNS1_3genE4ELNS1_11target_archE910ELNS1_3gpuE8ELNS1_3repE0EEENS1_30default_config_static_selectorELNS0_4arch9wavefront6targetE1EEEvT1_: ; @_ZN7rocprim17ROCPRIM_400000_NS6detail17trampoline_kernelINS0_14default_configENS1_25partition_config_selectorILNS1_17partition_subalgoE9EllbEEZZNS1_14partition_implILS5_9ELb0ES3_jPlS8_PNS0_10empty_typeENS0_5tupleIJS8_S9_EEENSB_IJS8_SA_EEENS0_18inequality_wrapperIZN2at6native12_GLOBAL__N_124unique_dim_cuda_templateIhEESt5tupleIJNSF_6TensorESK_SK_EERKSK_lbbbEUlllE0_EEPmJS9_EEE10hipError_tPvRmT3_T4_T5_T6_T7_T9_mT8_P12ihipStream_tbDpT10_ENKUlT_T0_E_clISt17integral_constantIbLb0EES1A_EEDaS15_S16_EUlS15_E_NS1_11comp_targetILNS1_3genE4ELNS1_11target_archE910ELNS1_3gpuE8ELNS1_3repE0EEENS1_30default_config_static_selectorELNS0_4arch9wavefront6targetE1EEEvT1_
; %bb.0:
	.section	.rodata,"a",@progbits
	.p2align	6, 0x0
	.amdhsa_kernel _ZN7rocprim17ROCPRIM_400000_NS6detail17trampoline_kernelINS0_14default_configENS1_25partition_config_selectorILNS1_17partition_subalgoE9EllbEEZZNS1_14partition_implILS5_9ELb0ES3_jPlS8_PNS0_10empty_typeENS0_5tupleIJS8_S9_EEENSB_IJS8_SA_EEENS0_18inequality_wrapperIZN2at6native12_GLOBAL__N_124unique_dim_cuda_templateIhEESt5tupleIJNSF_6TensorESK_SK_EERKSK_lbbbEUlllE0_EEPmJS9_EEE10hipError_tPvRmT3_T4_T5_T6_T7_T9_mT8_P12ihipStream_tbDpT10_ENKUlT_T0_E_clISt17integral_constantIbLb0EES1A_EEDaS15_S16_EUlS15_E_NS1_11comp_targetILNS1_3genE4ELNS1_11target_archE910ELNS1_3gpuE8ELNS1_3repE0EEENS1_30default_config_static_selectorELNS0_4arch9wavefront6targetE1EEEvT1_
		.amdhsa_group_segment_fixed_size 0
		.amdhsa_private_segment_fixed_size 0
		.amdhsa_kernarg_size 120
		.amdhsa_user_sgpr_count 2
		.amdhsa_user_sgpr_dispatch_ptr 0
		.amdhsa_user_sgpr_queue_ptr 0
		.amdhsa_user_sgpr_kernarg_segment_ptr 1
		.amdhsa_user_sgpr_dispatch_id 0
		.amdhsa_user_sgpr_kernarg_preload_length 0
		.amdhsa_user_sgpr_kernarg_preload_offset 0
		.amdhsa_user_sgpr_private_segment_size 0
		.amdhsa_uses_dynamic_stack 0
		.amdhsa_enable_private_segment 0
		.amdhsa_system_sgpr_workgroup_id_x 1
		.amdhsa_system_sgpr_workgroup_id_y 0
		.amdhsa_system_sgpr_workgroup_id_z 0
		.amdhsa_system_sgpr_workgroup_info 0
		.amdhsa_system_vgpr_workitem_id 0
		.amdhsa_next_free_vgpr 1
		.amdhsa_next_free_sgpr 0
		.amdhsa_accum_offset 4
		.amdhsa_reserve_vcc 0
		.amdhsa_float_round_mode_32 0
		.amdhsa_float_round_mode_16_64 0
		.amdhsa_float_denorm_mode_32 3
		.amdhsa_float_denorm_mode_16_64 3
		.amdhsa_dx10_clamp 1
		.amdhsa_ieee_mode 1
		.amdhsa_fp16_overflow 0
		.amdhsa_tg_split 0
		.amdhsa_exception_fp_ieee_invalid_op 0
		.amdhsa_exception_fp_denorm_src 0
		.amdhsa_exception_fp_ieee_div_zero 0
		.amdhsa_exception_fp_ieee_overflow 0
		.amdhsa_exception_fp_ieee_underflow 0
		.amdhsa_exception_fp_ieee_inexact 0
		.amdhsa_exception_int_div_zero 0
	.end_amdhsa_kernel
	.section	.text._ZN7rocprim17ROCPRIM_400000_NS6detail17trampoline_kernelINS0_14default_configENS1_25partition_config_selectorILNS1_17partition_subalgoE9EllbEEZZNS1_14partition_implILS5_9ELb0ES3_jPlS8_PNS0_10empty_typeENS0_5tupleIJS8_S9_EEENSB_IJS8_SA_EEENS0_18inequality_wrapperIZN2at6native12_GLOBAL__N_124unique_dim_cuda_templateIhEESt5tupleIJNSF_6TensorESK_SK_EERKSK_lbbbEUlllE0_EEPmJS9_EEE10hipError_tPvRmT3_T4_T5_T6_T7_T9_mT8_P12ihipStream_tbDpT10_ENKUlT_T0_E_clISt17integral_constantIbLb0EES1A_EEDaS15_S16_EUlS15_E_NS1_11comp_targetILNS1_3genE4ELNS1_11target_archE910ELNS1_3gpuE8ELNS1_3repE0EEENS1_30default_config_static_selectorELNS0_4arch9wavefront6targetE1EEEvT1_,"axG",@progbits,_ZN7rocprim17ROCPRIM_400000_NS6detail17trampoline_kernelINS0_14default_configENS1_25partition_config_selectorILNS1_17partition_subalgoE9EllbEEZZNS1_14partition_implILS5_9ELb0ES3_jPlS8_PNS0_10empty_typeENS0_5tupleIJS8_S9_EEENSB_IJS8_SA_EEENS0_18inequality_wrapperIZN2at6native12_GLOBAL__N_124unique_dim_cuda_templateIhEESt5tupleIJNSF_6TensorESK_SK_EERKSK_lbbbEUlllE0_EEPmJS9_EEE10hipError_tPvRmT3_T4_T5_T6_T7_T9_mT8_P12ihipStream_tbDpT10_ENKUlT_T0_E_clISt17integral_constantIbLb0EES1A_EEDaS15_S16_EUlS15_E_NS1_11comp_targetILNS1_3genE4ELNS1_11target_archE910ELNS1_3gpuE8ELNS1_3repE0EEENS1_30default_config_static_selectorELNS0_4arch9wavefront6targetE1EEEvT1_,comdat
.Lfunc_end207:
	.size	_ZN7rocprim17ROCPRIM_400000_NS6detail17trampoline_kernelINS0_14default_configENS1_25partition_config_selectorILNS1_17partition_subalgoE9EllbEEZZNS1_14partition_implILS5_9ELb0ES3_jPlS8_PNS0_10empty_typeENS0_5tupleIJS8_S9_EEENSB_IJS8_SA_EEENS0_18inequality_wrapperIZN2at6native12_GLOBAL__N_124unique_dim_cuda_templateIhEESt5tupleIJNSF_6TensorESK_SK_EERKSK_lbbbEUlllE0_EEPmJS9_EEE10hipError_tPvRmT3_T4_T5_T6_T7_T9_mT8_P12ihipStream_tbDpT10_ENKUlT_T0_E_clISt17integral_constantIbLb0EES1A_EEDaS15_S16_EUlS15_E_NS1_11comp_targetILNS1_3genE4ELNS1_11target_archE910ELNS1_3gpuE8ELNS1_3repE0EEENS1_30default_config_static_selectorELNS0_4arch9wavefront6targetE1EEEvT1_, .Lfunc_end207-_ZN7rocprim17ROCPRIM_400000_NS6detail17trampoline_kernelINS0_14default_configENS1_25partition_config_selectorILNS1_17partition_subalgoE9EllbEEZZNS1_14partition_implILS5_9ELb0ES3_jPlS8_PNS0_10empty_typeENS0_5tupleIJS8_S9_EEENSB_IJS8_SA_EEENS0_18inequality_wrapperIZN2at6native12_GLOBAL__N_124unique_dim_cuda_templateIhEESt5tupleIJNSF_6TensorESK_SK_EERKSK_lbbbEUlllE0_EEPmJS9_EEE10hipError_tPvRmT3_T4_T5_T6_T7_T9_mT8_P12ihipStream_tbDpT10_ENKUlT_T0_E_clISt17integral_constantIbLb0EES1A_EEDaS15_S16_EUlS15_E_NS1_11comp_targetILNS1_3genE4ELNS1_11target_archE910ELNS1_3gpuE8ELNS1_3repE0EEENS1_30default_config_static_selectorELNS0_4arch9wavefront6targetE1EEEvT1_
                                        ; -- End function
	.section	.AMDGPU.csdata,"",@progbits
; Kernel info:
; codeLenInByte = 0
; NumSgprs: 6
; NumVgprs: 0
; NumAgprs: 0
; TotalNumVgprs: 0
; ScratchSize: 0
; MemoryBound: 0
; FloatMode: 240
; IeeeMode: 1
; LDSByteSize: 0 bytes/workgroup (compile time only)
; SGPRBlocks: 0
; VGPRBlocks: 0
; NumSGPRsForWavesPerEU: 6
; NumVGPRsForWavesPerEU: 1
; AccumOffset: 4
; Occupancy: 8
; WaveLimiterHint : 0
; COMPUTE_PGM_RSRC2:SCRATCH_EN: 0
; COMPUTE_PGM_RSRC2:USER_SGPR: 2
; COMPUTE_PGM_RSRC2:TRAP_HANDLER: 0
; COMPUTE_PGM_RSRC2:TGID_X_EN: 1
; COMPUTE_PGM_RSRC2:TGID_Y_EN: 0
; COMPUTE_PGM_RSRC2:TGID_Z_EN: 0
; COMPUTE_PGM_RSRC2:TIDIG_COMP_CNT: 0
; COMPUTE_PGM_RSRC3_GFX90A:ACCUM_OFFSET: 0
; COMPUTE_PGM_RSRC3_GFX90A:TG_SPLIT: 0
	.section	.text._ZN7rocprim17ROCPRIM_400000_NS6detail17trampoline_kernelINS0_14default_configENS1_25partition_config_selectorILNS1_17partition_subalgoE9EllbEEZZNS1_14partition_implILS5_9ELb0ES3_jPlS8_PNS0_10empty_typeENS0_5tupleIJS8_S9_EEENSB_IJS8_SA_EEENS0_18inequality_wrapperIZN2at6native12_GLOBAL__N_124unique_dim_cuda_templateIhEESt5tupleIJNSF_6TensorESK_SK_EERKSK_lbbbEUlllE0_EEPmJS9_EEE10hipError_tPvRmT3_T4_T5_T6_T7_T9_mT8_P12ihipStream_tbDpT10_ENKUlT_T0_E_clISt17integral_constantIbLb0EES1A_EEDaS15_S16_EUlS15_E_NS1_11comp_targetILNS1_3genE3ELNS1_11target_archE908ELNS1_3gpuE7ELNS1_3repE0EEENS1_30default_config_static_selectorELNS0_4arch9wavefront6targetE1EEEvT1_,"axG",@progbits,_ZN7rocprim17ROCPRIM_400000_NS6detail17trampoline_kernelINS0_14default_configENS1_25partition_config_selectorILNS1_17partition_subalgoE9EllbEEZZNS1_14partition_implILS5_9ELb0ES3_jPlS8_PNS0_10empty_typeENS0_5tupleIJS8_S9_EEENSB_IJS8_SA_EEENS0_18inequality_wrapperIZN2at6native12_GLOBAL__N_124unique_dim_cuda_templateIhEESt5tupleIJNSF_6TensorESK_SK_EERKSK_lbbbEUlllE0_EEPmJS9_EEE10hipError_tPvRmT3_T4_T5_T6_T7_T9_mT8_P12ihipStream_tbDpT10_ENKUlT_T0_E_clISt17integral_constantIbLb0EES1A_EEDaS15_S16_EUlS15_E_NS1_11comp_targetILNS1_3genE3ELNS1_11target_archE908ELNS1_3gpuE7ELNS1_3repE0EEENS1_30default_config_static_selectorELNS0_4arch9wavefront6targetE1EEEvT1_,comdat
	.globl	_ZN7rocprim17ROCPRIM_400000_NS6detail17trampoline_kernelINS0_14default_configENS1_25partition_config_selectorILNS1_17partition_subalgoE9EllbEEZZNS1_14partition_implILS5_9ELb0ES3_jPlS8_PNS0_10empty_typeENS0_5tupleIJS8_S9_EEENSB_IJS8_SA_EEENS0_18inequality_wrapperIZN2at6native12_GLOBAL__N_124unique_dim_cuda_templateIhEESt5tupleIJNSF_6TensorESK_SK_EERKSK_lbbbEUlllE0_EEPmJS9_EEE10hipError_tPvRmT3_T4_T5_T6_T7_T9_mT8_P12ihipStream_tbDpT10_ENKUlT_T0_E_clISt17integral_constantIbLb0EES1A_EEDaS15_S16_EUlS15_E_NS1_11comp_targetILNS1_3genE3ELNS1_11target_archE908ELNS1_3gpuE7ELNS1_3repE0EEENS1_30default_config_static_selectorELNS0_4arch9wavefront6targetE1EEEvT1_ ; -- Begin function _ZN7rocprim17ROCPRIM_400000_NS6detail17trampoline_kernelINS0_14default_configENS1_25partition_config_selectorILNS1_17partition_subalgoE9EllbEEZZNS1_14partition_implILS5_9ELb0ES3_jPlS8_PNS0_10empty_typeENS0_5tupleIJS8_S9_EEENSB_IJS8_SA_EEENS0_18inequality_wrapperIZN2at6native12_GLOBAL__N_124unique_dim_cuda_templateIhEESt5tupleIJNSF_6TensorESK_SK_EERKSK_lbbbEUlllE0_EEPmJS9_EEE10hipError_tPvRmT3_T4_T5_T6_T7_T9_mT8_P12ihipStream_tbDpT10_ENKUlT_T0_E_clISt17integral_constantIbLb0EES1A_EEDaS15_S16_EUlS15_E_NS1_11comp_targetILNS1_3genE3ELNS1_11target_archE908ELNS1_3gpuE7ELNS1_3repE0EEENS1_30default_config_static_selectorELNS0_4arch9wavefront6targetE1EEEvT1_
	.p2align	8
	.type	_ZN7rocprim17ROCPRIM_400000_NS6detail17trampoline_kernelINS0_14default_configENS1_25partition_config_selectorILNS1_17partition_subalgoE9EllbEEZZNS1_14partition_implILS5_9ELb0ES3_jPlS8_PNS0_10empty_typeENS0_5tupleIJS8_S9_EEENSB_IJS8_SA_EEENS0_18inequality_wrapperIZN2at6native12_GLOBAL__N_124unique_dim_cuda_templateIhEESt5tupleIJNSF_6TensorESK_SK_EERKSK_lbbbEUlllE0_EEPmJS9_EEE10hipError_tPvRmT3_T4_T5_T6_T7_T9_mT8_P12ihipStream_tbDpT10_ENKUlT_T0_E_clISt17integral_constantIbLb0EES1A_EEDaS15_S16_EUlS15_E_NS1_11comp_targetILNS1_3genE3ELNS1_11target_archE908ELNS1_3gpuE7ELNS1_3repE0EEENS1_30default_config_static_selectorELNS0_4arch9wavefront6targetE1EEEvT1_,@function
_ZN7rocprim17ROCPRIM_400000_NS6detail17trampoline_kernelINS0_14default_configENS1_25partition_config_selectorILNS1_17partition_subalgoE9EllbEEZZNS1_14partition_implILS5_9ELb0ES3_jPlS8_PNS0_10empty_typeENS0_5tupleIJS8_S9_EEENSB_IJS8_SA_EEENS0_18inequality_wrapperIZN2at6native12_GLOBAL__N_124unique_dim_cuda_templateIhEESt5tupleIJNSF_6TensorESK_SK_EERKSK_lbbbEUlllE0_EEPmJS9_EEE10hipError_tPvRmT3_T4_T5_T6_T7_T9_mT8_P12ihipStream_tbDpT10_ENKUlT_T0_E_clISt17integral_constantIbLb0EES1A_EEDaS15_S16_EUlS15_E_NS1_11comp_targetILNS1_3genE3ELNS1_11target_archE908ELNS1_3gpuE7ELNS1_3repE0EEENS1_30default_config_static_selectorELNS0_4arch9wavefront6targetE1EEEvT1_: ; @_ZN7rocprim17ROCPRIM_400000_NS6detail17trampoline_kernelINS0_14default_configENS1_25partition_config_selectorILNS1_17partition_subalgoE9EllbEEZZNS1_14partition_implILS5_9ELb0ES3_jPlS8_PNS0_10empty_typeENS0_5tupleIJS8_S9_EEENSB_IJS8_SA_EEENS0_18inequality_wrapperIZN2at6native12_GLOBAL__N_124unique_dim_cuda_templateIhEESt5tupleIJNSF_6TensorESK_SK_EERKSK_lbbbEUlllE0_EEPmJS9_EEE10hipError_tPvRmT3_T4_T5_T6_T7_T9_mT8_P12ihipStream_tbDpT10_ENKUlT_T0_E_clISt17integral_constantIbLb0EES1A_EEDaS15_S16_EUlS15_E_NS1_11comp_targetILNS1_3genE3ELNS1_11target_archE908ELNS1_3gpuE7ELNS1_3repE0EEENS1_30default_config_static_selectorELNS0_4arch9wavefront6targetE1EEEvT1_
; %bb.0:
	.section	.rodata,"a",@progbits
	.p2align	6, 0x0
	.amdhsa_kernel _ZN7rocprim17ROCPRIM_400000_NS6detail17trampoline_kernelINS0_14default_configENS1_25partition_config_selectorILNS1_17partition_subalgoE9EllbEEZZNS1_14partition_implILS5_9ELb0ES3_jPlS8_PNS0_10empty_typeENS0_5tupleIJS8_S9_EEENSB_IJS8_SA_EEENS0_18inequality_wrapperIZN2at6native12_GLOBAL__N_124unique_dim_cuda_templateIhEESt5tupleIJNSF_6TensorESK_SK_EERKSK_lbbbEUlllE0_EEPmJS9_EEE10hipError_tPvRmT3_T4_T5_T6_T7_T9_mT8_P12ihipStream_tbDpT10_ENKUlT_T0_E_clISt17integral_constantIbLb0EES1A_EEDaS15_S16_EUlS15_E_NS1_11comp_targetILNS1_3genE3ELNS1_11target_archE908ELNS1_3gpuE7ELNS1_3repE0EEENS1_30default_config_static_selectorELNS0_4arch9wavefront6targetE1EEEvT1_
		.amdhsa_group_segment_fixed_size 0
		.amdhsa_private_segment_fixed_size 0
		.amdhsa_kernarg_size 120
		.amdhsa_user_sgpr_count 2
		.amdhsa_user_sgpr_dispatch_ptr 0
		.amdhsa_user_sgpr_queue_ptr 0
		.amdhsa_user_sgpr_kernarg_segment_ptr 1
		.amdhsa_user_sgpr_dispatch_id 0
		.amdhsa_user_sgpr_kernarg_preload_length 0
		.amdhsa_user_sgpr_kernarg_preload_offset 0
		.amdhsa_user_sgpr_private_segment_size 0
		.amdhsa_uses_dynamic_stack 0
		.amdhsa_enable_private_segment 0
		.amdhsa_system_sgpr_workgroup_id_x 1
		.amdhsa_system_sgpr_workgroup_id_y 0
		.amdhsa_system_sgpr_workgroup_id_z 0
		.amdhsa_system_sgpr_workgroup_info 0
		.amdhsa_system_vgpr_workitem_id 0
		.amdhsa_next_free_vgpr 1
		.amdhsa_next_free_sgpr 0
		.amdhsa_accum_offset 4
		.amdhsa_reserve_vcc 0
		.amdhsa_float_round_mode_32 0
		.amdhsa_float_round_mode_16_64 0
		.amdhsa_float_denorm_mode_32 3
		.amdhsa_float_denorm_mode_16_64 3
		.amdhsa_dx10_clamp 1
		.amdhsa_ieee_mode 1
		.amdhsa_fp16_overflow 0
		.amdhsa_tg_split 0
		.amdhsa_exception_fp_ieee_invalid_op 0
		.amdhsa_exception_fp_denorm_src 0
		.amdhsa_exception_fp_ieee_div_zero 0
		.amdhsa_exception_fp_ieee_overflow 0
		.amdhsa_exception_fp_ieee_underflow 0
		.amdhsa_exception_fp_ieee_inexact 0
		.amdhsa_exception_int_div_zero 0
	.end_amdhsa_kernel
	.section	.text._ZN7rocprim17ROCPRIM_400000_NS6detail17trampoline_kernelINS0_14default_configENS1_25partition_config_selectorILNS1_17partition_subalgoE9EllbEEZZNS1_14partition_implILS5_9ELb0ES3_jPlS8_PNS0_10empty_typeENS0_5tupleIJS8_S9_EEENSB_IJS8_SA_EEENS0_18inequality_wrapperIZN2at6native12_GLOBAL__N_124unique_dim_cuda_templateIhEESt5tupleIJNSF_6TensorESK_SK_EERKSK_lbbbEUlllE0_EEPmJS9_EEE10hipError_tPvRmT3_T4_T5_T6_T7_T9_mT8_P12ihipStream_tbDpT10_ENKUlT_T0_E_clISt17integral_constantIbLb0EES1A_EEDaS15_S16_EUlS15_E_NS1_11comp_targetILNS1_3genE3ELNS1_11target_archE908ELNS1_3gpuE7ELNS1_3repE0EEENS1_30default_config_static_selectorELNS0_4arch9wavefront6targetE1EEEvT1_,"axG",@progbits,_ZN7rocprim17ROCPRIM_400000_NS6detail17trampoline_kernelINS0_14default_configENS1_25partition_config_selectorILNS1_17partition_subalgoE9EllbEEZZNS1_14partition_implILS5_9ELb0ES3_jPlS8_PNS0_10empty_typeENS0_5tupleIJS8_S9_EEENSB_IJS8_SA_EEENS0_18inequality_wrapperIZN2at6native12_GLOBAL__N_124unique_dim_cuda_templateIhEESt5tupleIJNSF_6TensorESK_SK_EERKSK_lbbbEUlllE0_EEPmJS9_EEE10hipError_tPvRmT3_T4_T5_T6_T7_T9_mT8_P12ihipStream_tbDpT10_ENKUlT_T0_E_clISt17integral_constantIbLb0EES1A_EEDaS15_S16_EUlS15_E_NS1_11comp_targetILNS1_3genE3ELNS1_11target_archE908ELNS1_3gpuE7ELNS1_3repE0EEENS1_30default_config_static_selectorELNS0_4arch9wavefront6targetE1EEEvT1_,comdat
.Lfunc_end208:
	.size	_ZN7rocprim17ROCPRIM_400000_NS6detail17trampoline_kernelINS0_14default_configENS1_25partition_config_selectorILNS1_17partition_subalgoE9EllbEEZZNS1_14partition_implILS5_9ELb0ES3_jPlS8_PNS0_10empty_typeENS0_5tupleIJS8_S9_EEENSB_IJS8_SA_EEENS0_18inequality_wrapperIZN2at6native12_GLOBAL__N_124unique_dim_cuda_templateIhEESt5tupleIJNSF_6TensorESK_SK_EERKSK_lbbbEUlllE0_EEPmJS9_EEE10hipError_tPvRmT3_T4_T5_T6_T7_T9_mT8_P12ihipStream_tbDpT10_ENKUlT_T0_E_clISt17integral_constantIbLb0EES1A_EEDaS15_S16_EUlS15_E_NS1_11comp_targetILNS1_3genE3ELNS1_11target_archE908ELNS1_3gpuE7ELNS1_3repE0EEENS1_30default_config_static_selectorELNS0_4arch9wavefront6targetE1EEEvT1_, .Lfunc_end208-_ZN7rocprim17ROCPRIM_400000_NS6detail17trampoline_kernelINS0_14default_configENS1_25partition_config_selectorILNS1_17partition_subalgoE9EllbEEZZNS1_14partition_implILS5_9ELb0ES3_jPlS8_PNS0_10empty_typeENS0_5tupleIJS8_S9_EEENSB_IJS8_SA_EEENS0_18inequality_wrapperIZN2at6native12_GLOBAL__N_124unique_dim_cuda_templateIhEESt5tupleIJNSF_6TensorESK_SK_EERKSK_lbbbEUlllE0_EEPmJS9_EEE10hipError_tPvRmT3_T4_T5_T6_T7_T9_mT8_P12ihipStream_tbDpT10_ENKUlT_T0_E_clISt17integral_constantIbLb0EES1A_EEDaS15_S16_EUlS15_E_NS1_11comp_targetILNS1_3genE3ELNS1_11target_archE908ELNS1_3gpuE7ELNS1_3repE0EEENS1_30default_config_static_selectorELNS0_4arch9wavefront6targetE1EEEvT1_
                                        ; -- End function
	.section	.AMDGPU.csdata,"",@progbits
; Kernel info:
; codeLenInByte = 0
; NumSgprs: 6
; NumVgprs: 0
; NumAgprs: 0
; TotalNumVgprs: 0
; ScratchSize: 0
; MemoryBound: 0
; FloatMode: 240
; IeeeMode: 1
; LDSByteSize: 0 bytes/workgroup (compile time only)
; SGPRBlocks: 0
; VGPRBlocks: 0
; NumSGPRsForWavesPerEU: 6
; NumVGPRsForWavesPerEU: 1
; AccumOffset: 4
; Occupancy: 8
; WaveLimiterHint : 0
; COMPUTE_PGM_RSRC2:SCRATCH_EN: 0
; COMPUTE_PGM_RSRC2:USER_SGPR: 2
; COMPUTE_PGM_RSRC2:TRAP_HANDLER: 0
; COMPUTE_PGM_RSRC2:TGID_X_EN: 1
; COMPUTE_PGM_RSRC2:TGID_Y_EN: 0
; COMPUTE_PGM_RSRC2:TGID_Z_EN: 0
; COMPUTE_PGM_RSRC2:TIDIG_COMP_CNT: 0
; COMPUTE_PGM_RSRC3_GFX90A:ACCUM_OFFSET: 0
; COMPUTE_PGM_RSRC3_GFX90A:TG_SPLIT: 0
	.section	.text._ZN7rocprim17ROCPRIM_400000_NS6detail17trampoline_kernelINS0_14default_configENS1_25partition_config_selectorILNS1_17partition_subalgoE9EllbEEZZNS1_14partition_implILS5_9ELb0ES3_jPlS8_PNS0_10empty_typeENS0_5tupleIJS8_S9_EEENSB_IJS8_SA_EEENS0_18inequality_wrapperIZN2at6native12_GLOBAL__N_124unique_dim_cuda_templateIhEESt5tupleIJNSF_6TensorESK_SK_EERKSK_lbbbEUlllE0_EEPmJS9_EEE10hipError_tPvRmT3_T4_T5_T6_T7_T9_mT8_P12ihipStream_tbDpT10_ENKUlT_T0_E_clISt17integral_constantIbLb0EES1A_EEDaS15_S16_EUlS15_E_NS1_11comp_targetILNS1_3genE2ELNS1_11target_archE906ELNS1_3gpuE6ELNS1_3repE0EEENS1_30default_config_static_selectorELNS0_4arch9wavefront6targetE1EEEvT1_,"axG",@progbits,_ZN7rocprim17ROCPRIM_400000_NS6detail17trampoline_kernelINS0_14default_configENS1_25partition_config_selectorILNS1_17partition_subalgoE9EllbEEZZNS1_14partition_implILS5_9ELb0ES3_jPlS8_PNS0_10empty_typeENS0_5tupleIJS8_S9_EEENSB_IJS8_SA_EEENS0_18inequality_wrapperIZN2at6native12_GLOBAL__N_124unique_dim_cuda_templateIhEESt5tupleIJNSF_6TensorESK_SK_EERKSK_lbbbEUlllE0_EEPmJS9_EEE10hipError_tPvRmT3_T4_T5_T6_T7_T9_mT8_P12ihipStream_tbDpT10_ENKUlT_T0_E_clISt17integral_constantIbLb0EES1A_EEDaS15_S16_EUlS15_E_NS1_11comp_targetILNS1_3genE2ELNS1_11target_archE906ELNS1_3gpuE6ELNS1_3repE0EEENS1_30default_config_static_selectorELNS0_4arch9wavefront6targetE1EEEvT1_,comdat
	.globl	_ZN7rocprim17ROCPRIM_400000_NS6detail17trampoline_kernelINS0_14default_configENS1_25partition_config_selectorILNS1_17partition_subalgoE9EllbEEZZNS1_14partition_implILS5_9ELb0ES3_jPlS8_PNS0_10empty_typeENS0_5tupleIJS8_S9_EEENSB_IJS8_SA_EEENS0_18inequality_wrapperIZN2at6native12_GLOBAL__N_124unique_dim_cuda_templateIhEESt5tupleIJNSF_6TensorESK_SK_EERKSK_lbbbEUlllE0_EEPmJS9_EEE10hipError_tPvRmT3_T4_T5_T6_T7_T9_mT8_P12ihipStream_tbDpT10_ENKUlT_T0_E_clISt17integral_constantIbLb0EES1A_EEDaS15_S16_EUlS15_E_NS1_11comp_targetILNS1_3genE2ELNS1_11target_archE906ELNS1_3gpuE6ELNS1_3repE0EEENS1_30default_config_static_selectorELNS0_4arch9wavefront6targetE1EEEvT1_ ; -- Begin function _ZN7rocprim17ROCPRIM_400000_NS6detail17trampoline_kernelINS0_14default_configENS1_25partition_config_selectorILNS1_17partition_subalgoE9EllbEEZZNS1_14partition_implILS5_9ELb0ES3_jPlS8_PNS0_10empty_typeENS0_5tupleIJS8_S9_EEENSB_IJS8_SA_EEENS0_18inequality_wrapperIZN2at6native12_GLOBAL__N_124unique_dim_cuda_templateIhEESt5tupleIJNSF_6TensorESK_SK_EERKSK_lbbbEUlllE0_EEPmJS9_EEE10hipError_tPvRmT3_T4_T5_T6_T7_T9_mT8_P12ihipStream_tbDpT10_ENKUlT_T0_E_clISt17integral_constantIbLb0EES1A_EEDaS15_S16_EUlS15_E_NS1_11comp_targetILNS1_3genE2ELNS1_11target_archE906ELNS1_3gpuE6ELNS1_3repE0EEENS1_30default_config_static_selectorELNS0_4arch9wavefront6targetE1EEEvT1_
	.p2align	8
	.type	_ZN7rocprim17ROCPRIM_400000_NS6detail17trampoline_kernelINS0_14default_configENS1_25partition_config_selectorILNS1_17partition_subalgoE9EllbEEZZNS1_14partition_implILS5_9ELb0ES3_jPlS8_PNS0_10empty_typeENS0_5tupleIJS8_S9_EEENSB_IJS8_SA_EEENS0_18inequality_wrapperIZN2at6native12_GLOBAL__N_124unique_dim_cuda_templateIhEESt5tupleIJNSF_6TensorESK_SK_EERKSK_lbbbEUlllE0_EEPmJS9_EEE10hipError_tPvRmT3_T4_T5_T6_T7_T9_mT8_P12ihipStream_tbDpT10_ENKUlT_T0_E_clISt17integral_constantIbLb0EES1A_EEDaS15_S16_EUlS15_E_NS1_11comp_targetILNS1_3genE2ELNS1_11target_archE906ELNS1_3gpuE6ELNS1_3repE0EEENS1_30default_config_static_selectorELNS0_4arch9wavefront6targetE1EEEvT1_,@function
_ZN7rocprim17ROCPRIM_400000_NS6detail17trampoline_kernelINS0_14default_configENS1_25partition_config_selectorILNS1_17partition_subalgoE9EllbEEZZNS1_14partition_implILS5_9ELb0ES3_jPlS8_PNS0_10empty_typeENS0_5tupleIJS8_S9_EEENSB_IJS8_SA_EEENS0_18inequality_wrapperIZN2at6native12_GLOBAL__N_124unique_dim_cuda_templateIhEESt5tupleIJNSF_6TensorESK_SK_EERKSK_lbbbEUlllE0_EEPmJS9_EEE10hipError_tPvRmT3_T4_T5_T6_T7_T9_mT8_P12ihipStream_tbDpT10_ENKUlT_T0_E_clISt17integral_constantIbLb0EES1A_EEDaS15_S16_EUlS15_E_NS1_11comp_targetILNS1_3genE2ELNS1_11target_archE906ELNS1_3gpuE6ELNS1_3repE0EEENS1_30default_config_static_selectorELNS0_4arch9wavefront6targetE1EEEvT1_: ; @_ZN7rocprim17ROCPRIM_400000_NS6detail17trampoline_kernelINS0_14default_configENS1_25partition_config_selectorILNS1_17partition_subalgoE9EllbEEZZNS1_14partition_implILS5_9ELb0ES3_jPlS8_PNS0_10empty_typeENS0_5tupleIJS8_S9_EEENSB_IJS8_SA_EEENS0_18inequality_wrapperIZN2at6native12_GLOBAL__N_124unique_dim_cuda_templateIhEESt5tupleIJNSF_6TensorESK_SK_EERKSK_lbbbEUlllE0_EEPmJS9_EEE10hipError_tPvRmT3_T4_T5_T6_T7_T9_mT8_P12ihipStream_tbDpT10_ENKUlT_T0_E_clISt17integral_constantIbLb0EES1A_EEDaS15_S16_EUlS15_E_NS1_11comp_targetILNS1_3genE2ELNS1_11target_archE906ELNS1_3gpuE6ELNS1_3repE0EEENS1_30default_config_static_selectorELNS0_4arch9wavefront6targetE1EEEvT1_
; %bb.0:
	.section	.rodata,"a",@progbits
	.p2align	6, 0x0
	.amdhsa_kernel _ZN7rocprim17ROCPRIM_400000_NS6detail17trampoline_kernelINS0_14default_configENS1_25partition_config_selectorILNS1_17partition_subalgoE9EllbEEZZNS1_14partition_implILS5_9ELb0ES3_jPlS8_PNS0_10empty_typeENS0_5tupleIJS8_S9_EEENSB_IJS8_SA_EEENS0_18inequality_wrapperIZN2at6native12_GLOBAL__N_124unique_dim_cuda_templateIhEESt5tupleIJNSF_6TensorESK_SK_EERKSK_lbbbEUlllE0_EEPmJS9_EEE10hipError_tPvRmT3_T4_T5_T6_T7_T9_mT8_P12ihipStream_tbDpT10_ENKUlT_T0_E_clISt17integral_constantIbLb0EES1A_EEDaS15_S16_EUlS15_E_NS1_11comp_targetILNS1_3genE2ELNS1_11target_archE906ELNS1_3gpuE6ELNS1_3repE0EEENS1_30default_config_static_selectorELNS0_4arch9wavefront6targetE1EEEvT1_
		.amdhsa_group_segment_fixed_size 0
		.amdhsa_private_segment_fixed_size 0
		.amdhsa_kernarg_size 120
		.amdhsa_user_sgpr_count 2
		.amdhsa_user_sgpr_dispatch_ptr 0
		.amdhsa_user_sgpr_queue_ptr 0
		.amdhsa_user_sgpr_kernarg_segment_ptr 1
		.amdhsa_user_sgpr_dispatch_id 0
		.amdhsa_user_sgpr_kernarg_preload_length 0
		.amdhsa_user_sgpr_kernarg_preload_offset 0
		.amdhsa_user_sgpr_private_segment_size 0
		.amdhsa_uses_dynamic_stack 0
		.amdhsa_enable_private_segment 0
		.amdhsa_system_sgpr_workgroup_id_x 1
		.amdhsa_system_sgpr_workgroup_id_y 0
		.amdhsa_system_sgpr_workgroup_id_z 0
		.amdhsa_system_sgpr_workgroup_info 0
		.amdhsa_system_vgpr_workitem_id 0
		.amdhsa_next_free_vgpr 1
		.amdhsa_next_free_sgpr 0
		.amdhsa_accum_offset 4
		.amdhsa_reserve_vcc 0
		.amdhsa_float_round_mode_32 0
		.amdhsa_float_round_mode_16_64 0
		.amdhsa_float_denorm_mode_32 3
		.amdhsa_float_denorm_mode_16_64 3
		.amdhsa_dx10_clamp 1
		.amdhsa_ieee_mode 1
		.amdhsa_fp16_overflow 0
		.amdhsa_tg_split 0
		.amdhsa_exception_fp_ieee_invalid_op 0
		.amdhsa_exception_fp_denorm_src 0
		.amdhsa_exception_fp_ieee_div_zero 0
		.amdhsa_exception_fp_ieee_overflow 0
		.amdhsa_exception_fp_ieee_underflow 0
		.amdhsa_exception_fp_ieee_inexact 0
		.amdhsa_exception_int_div_zero 0
	.end_amdhsa_kernel
	.section	.text._ZN7rocprim17ROCPRIM_400000_NS6detail17trampoline_kernelINS0_14default_configENS1_25partition_config_selectorILNS1_17partition_subalgoE9EllbEEZZNS1_14partition_implILS5_9ELb0ES3_jPlS8_PNS0_10empty_typeENS0_5tupleIJS8_S9_EEENSB_IJS8_SA_EEENS0_18inequality_wrapperIZN2at6native12_GLOBAL__N_124unique_dim_cuda_templateIhEESt5tupleIJNSF_6TensorESK_SK_EERKSK_lbbbEUlllE0_EEPmJS9_EEE10hipError_tPvRmT3_T4_T5_T6_T7_T9_mT8_P12ihipStream_tbDpT10_ENKUlT_T0_E_clISt17integral_constantIbLb0EES1A_EEDaS15_S16_EUlS15_E_NS1_11comp_targetILNS1_3genE2ELNS1_11target_archE906ELNS1_3gpuE6ELNS1_3repE0EEENS1_30default_config_static_selectorELNS0_4arch9wavefront6targetE1EEEvT1_,"axG",@progbits,_ZN7rocprim17ROCPRIM_400000_NS6detail17trampoline_kernelINS0_14default_configENS1_25partition_config_selectorILNS1_17partition_subalgoE9EllbEEZZNS1_14partition_implILS5_9ELb0ES3_jPlS8_PNS0_10empty_typeENS0_5tupleIJS8_S9_EEENSB_IJS8_SA_EEENS0_18inequality_wrapperIZN2at6native12_GLOBAL__N_124unique_dim_cuda_templateIhEESt5tupleIJNSF_6TensorESK_SK_EERKSK_lbbbEUlllE0_EEPmJS9_EEE10hipError_tPvRmT3_T4_T5_T6_T7_T9_mT8_P12ihipStream_tbDpT10_ENKUlT_T0_E_clISt17integral_constantIbLb0EES1A_EEDaS15_S16_EUlS15_E_NS1_11comp_targetILNS1_3genE2ELNS1_11target_archE906ELNS1_3gpuE6ELNS1_3repE0EEENS1_30default_config_static_selectorELNS0_4arch9wavefront6targetE1EEEvT1_,comdat
.Lfunc_end209:
	.size	_ZN7rocprim17ROCPRIM_400000_NS6detail17trampoline_kernelINS0_14default_configENS1_25partition_config_selectorILNS1_17partition_subalgoE9EllbEEZZNS1_14partition_implILS5_9ELb0ES3_jPlS8_PNS0_10empty_typeENS0_5tupleIJS8_S9_EEENSB_IJS8_SA_EEENS0_18inequality_wrapperIZN2at6native12_GLOBAL__N_124unique_dim_cuda_templateIhEESt5tupleIJNSF_6TensorESK_SK_EERKSK_lbbbEUlllE0_EEPmJS9_EEE10hipError_tPvRmT3_T4_T5_T6_T7_T9_mT8_P12ihipStream_tbDpT10_ENKUlT_T0_E_clISt17integral_constantIbLb0EES1A_EEDaS15_S16_EUlS15_E_NS1_11comp_targetILNS1_3genE2ELNS1_11target_archE906ELNS1_3gpuE6ELNS1_3repE0EEENS1_30default_config_static_selectorELNS0_4arch9wavefront6targetE1EEEvT1_, .Lfunc_end209-_ZN7rocprim17ROCPRIM_400000_NS6detail17trampoline_kernelINS0_14default_configENS1_25partition_config_selectorILNS1_17partition_subalgoE9EllbEEZZNS1_14partition_implILS5_9ELb0ES3_jPlS8_PNS0_10empty_typeENS0_5tupleIJS8_S9_EEENSB_IJS8_SA_EEENS0_18inequality_wrapperIZN2at6native12_GLOBAL__N_124unique_dim_cuda_templateIhEESt5tupleIJNSF_6TensorESK_SK_EERKSK_lbbbEUlllE0_EEPmJS9_EEE10hipError_tPvRmT3_T4_T5_T6_T7_T9_mT8_P12ihipStream_tbDpT10_ENKUlT_T0_E_clISt17integral_constantIbLb0EES1A_EEDaS15_S16_EUlS15_E_NS1_11comp_targetILNS1_3genE2ELNS1_11target_archE906ELNS1_3gpuE6ELNS1_3repE0EEENS1_30default_config_static_selectorELNS0_4arch9wavefront6targetE1EEEvT1_
                                        ; -- End function
	.section	.AMDGPU.csdata,"",@progbits
; Kernel info:
; codeLenInByte = 0
; NumSgprs: 6
; NumVgprs: 0
; NumAgprs: 0
; TotalNumVgprs: 0
; ScratchSize: 0
; MemoryBound: 0
; FloatMode: 240
; IeeeMode: 1
; LDSByteSize: 0 bytes/workgroup (compile time only)
; SGPRBlocks: 0
; VGPRBlocks: 0
; NumSGPRsForWavesPerEU: 6
; NumVGPRsForWavesPerEU: 1
; AccumOffset: 4
; Occupancy: 8
; WaveLimiterHint : 0
; COMPUTE_PGM_RSRC2:SCRATCH_EN: 0
; COMPUTE_PGM_RSRC2:USER_SGPR: 2
; COMPUTE_PGM_RSRC2:TRAP_HANDLER: 0
; COMPUTE_PGM_RSRC2:TGID_X_EN: 1
; COMPUTE_PGM_RSRC2:TGID_Y_EN: 0
; COMPUTE_PGM_RSRC2:TGID_Z_EN: 0
; COMPUTE_PGM_RSRC2:TIDIG_COMP_CNT: 0
; COMPUTE_PGM_RSRC3_GFX90A:ACCUM_OFFSET: 0
; COMPUTE_PGM_RSRC3_GFX90A:TG_SPLIT: 0
	.section	.text._ZN7rocprim17ROCPRIM_400000_NS6detail17trampoline_kernelINS0_14default_configENS1_25partition_config_selectorILNS1_17partition_subalgoE9EllbEEZZNS1_14partition_implILS5_9ELb0ES3_jPlS8_PNS0_10empty_typeENS0_5tupleIJS8_S9_EEENSB_IJS8_SA_EEENS0_18inequality_wrapperIZN2at6native12_GLOBAL__N_124unique_dim_cuda_templateIhEESt5tupleIJNSF_6TensorESK_SK_EERKSK_lbbbEUlllE0_EEPmJS9_EEE10hipError_tPvRmT3_T4_T5_T6_T7_T9_mT8_P12ihipStream_tbDpT10_ENKUlT_T0_E_clISt17integral_constantIbLb0EES1A_EEDaS15_S16_EUlS15_E_NS1_11comp_targetILNS1_3genE10ELNS1_11target_archE1200ELNS1_3gpuE4ELNS1_3repE0EEENS1_30default_config_static_selectorELNS0_4arch9wavefront6targetE1EEEvT1_,"axG",@progbits,_ZN7rocprim17ROCPRIM_400000_NS6detail17trampoline_kernelINS0_14default_configENS1_25partition_config_selectorILNS1_17partition_subalgoE9EllbEEZZNS1_14partition_implILS5_9ELb0ES3_jPlS8_PNS0_10empty_typeENS0_5tupleIJS8_S9_EEENSB_IJS8_SA_EEENS0_18inequality_wrapperIZN2at6native12_GLOBAL__N_124unique_dim_cuda_templateIhEESt5tupleIJNSF_6TensorESK_SK_EERKSK_lbbbEUlllE0_EEPmJS9_EEE10hipError_tPvRmT3_T4_T5_T6_T7_T9_mT8_P12ihipStream_tbDpT10_ENKUlT_T0_E_clISt17integral_constantIbLb0EES1A_EEDaS15_S16_EUlS15_E_NS1_11comp_targetILNS1_3genE10ELNS1_11target_archE1200ELNS1_3gpuE4ELNS1_3repE0EEENS1_30default_config_static_selectorELNS0_4arch9wavefront6targetE1EEEvT1_,comdat
	.globl	_ZN7rocprim17ROCPRIM_400000_NS6detail17trampoline_kernelINS0_14default_configENS1_25partition_config_selectorILNS1_17partition_subalgoE9EllbEEZZNS1_14partition_implILS5_9ELb0ES3_jPlS8_PNS0_10empty_typeENS0_5tupleIJS8_S9_EEENSB_IJS8_SA_EEENS0_18inequality_wrapperIZN2at6native12_GLOBAL__N_124unique_dim_cuda_templateIhEESt5tupleIJNSF_6TensorESK_SK_EERKSK_lbbbEUlllE0_EEPmJS9_EEE10hipError_tPvRmT3_T4_T5_T6_T7_T9_mT8_P12ihipStream_tbDpT10_ENKUlT_T0_E_clISt17integral_constantIbLb0EES1A_EEDaS15_S16_EUlS15_E_NS1_11comp_targetILNS1_3genE10ELNS1_11target_archE1200ELNS1_3gpuE4ELNS1_3repE0EEENS1_30default_config_static_selectorELNS0_4arch9wavefront6targetE1EEEvT1_ ; -- Begin function _ZN7rocprim17ROCPRIM_400000_NS6detail17trampoline_kernelINS0_14default_configENS1_25partition_config_selectorILNS1_17partition_subalgoE9EllbEEZZNS1_14partition_implILS5_9ELb0ES3_jPlS8_PNS0_10empty_typeENS0_5tupleIJS8_S9_EEENSB_IJS8_SA_EEENS0_18inequality_wrapperIZN2at6native12_GLOBAL__N_124unique_dim_cuda_templateIhEESt5tupleIJNSF_6TensorESK_SK_EERKSK_lbbbEUlllE0_EEPmJS9_EEE10hipError_tPvRmT3_T4_T5_T6_T7_T9_mT8_P12ihipStream_tbDpT10_ENKUlT_T0_E_clISt17integral_constantIbLb0EES1A_EEDaS15_S16_EUlS15_E_NS1_11comp_targetILNS1_3genE10ELNS1_11target_archE1200ELNS1_3gpuE4ELNS1_3repE0EEENS1_30default_config_static_selectorELNS0_4arch9wavefront6targetE1EEEvT1_
	.p2align	8
	.type	_ZN7rocprim17ROCPRIM_400000_NS6detail17trampoline_kernelINS0_14default_configENS1_25partition_config_selectorILNS1_17partition_subalgoE9EllbEEZZNS1_14partition_implILS5_9ELb0ES3_jPlS8_PNS0_10empty_typeENS0_5tupleIJS8_S9_EEENSB_IJS8_SA_EEENS0_18inequality_wrapperIZN2at6native12_GLOBAL__N_124unique_dim_cuda_templateIhEESt5tupleIJNSF_6TensorESK_SK_EERKSK_lbbbEUlllE0_EEPmJS9_EEE10hipError_tPvRmT3_T4_T5_T6_T7_T9_mT8_P12ihipStream_tbDpT10_ENKUlT_T0_E_clISt17integral_constantIbLb0EES1A_EEDaS15_S16_EUlS15_E_NS1_11comp_targetILNS1_3genE10ELNS1_11target_archE1200ELNS1_3gpuE4ELNS1_3repE0EEENS1_30default_config_static_selectorELNS0_4arch9wavefront6targetE1EEEvT1_,@function
_ZN7rocprim17ROCPRIM_400000_NS6detail17trampoline_kernelINS0_14default_configENS1_25partition_config_selectorILNS1_17partition_subalgoE9EllbEEZZNS1_14partition_implILS5_9ELb0ES3_jPlS8_PNS0_10empty_typeENS0_5tupleIJS8_S9_EEENSB_IJS8_SA_EEENS0_18inequality_wrapperIZN2at6native12_GLOBAL__N_124unique_dim_cuda_templateIhEESt5tupleIJNSF_6TensorESK_SK_EERKSK_lbbbEUlllE0_EEPmJS9_EEE10hipError_tPvRmT3_T4_T5_T6_T7_T9_mT8_P12ihipStream_tbDpT10_ENKUlT_T0_E_clISt17integral_constantIbLb0EES1A_EEDaS15_S16_EUlS15_E_NS1_11comp_targetILNS1_3genE10ELNS1_11target_archE1200ELNS1_3gpuE4ELNS1_3repE0EEENS1_30default_config_static_selectorELNS0_4arch9wavefront6targetE1EEEvT1_: ; @_ZN7rocprim17ROCPRIM_400000_NS6detail17trampoline_kernelINS0_14default_configENS1_25partition_config_selectorILNS1_17partition_subalgoE9EllbEEZZNS1_14partition_implILS5_9ELb0ES3_jPlS8_PNS0_10empty_typeENS0_5tupleIJS8_S9_EEENSB_IJS8_SA_EEENS0_18inequality_wrapperIZN2at6native12_GLOBAL__N_124unique_dim_cuda_templateIhEESt5tupleIJNSF_6TensorESK_SK_EERKSK_lbbbEUlllE0_EEPmJS9_EEE10hipError_tPvRmT3_T4_T5_T6_T7_T9_mT8_P12ihipStream_tbDpT10_ENKUlT_T0_E_clISt17integral_constantIbLb0EES1A_EEDaS15_S16_EUlS15_E_NS1_11comp_targetILNS1_3genE10ELNS1_11target_archE1200ELNS1_3gpuE4ELNS1_3repE0EEENS1_30default_config_static_selectorELNS0_4arch9wavefront6targetE1EEEvT1_
; %bb.0:
	.section	.rodata,"a",@progbits
	.p2align	6, 0x0
	.amdhsa_kernel _ZN7rocprim17ROCPRIM_400000_NS6detail17trampoline_kernelINS0_14default_configENS1_25partition_config_selectorILNS1_17partition_subalgoE9EllbEEZZNS1_14partition_implILS5_9ELb0ES3_jPlS8_PNS0_10empty_typeENS0_5tupleIJS8_S9_EEENSB_IJS8_SA_EEENS0_18inequality_wrapperIZN2at6native12_GLOBAL__N_124unique_dim_cuda_templateIhEESt5tupleIJNSF_6TensorESK_SK_EERKSK_lbbbEUlllE0_EEPmJS9_EEE10hipError_tPvRmT3_T4_T5_T6_T7_T9_mT8_P12ihipStream_tbDpT10_ENKUlT_T0_E_clISt17integral_constantIbLb0EES1A_EEDaS15_S16_EUlS15_E_NS1_11comp_targetILNS1_3genE10ELNS1_11target_archE1200ELNS1_3gpuE4ELNS1_3repE0EEENS1_30default_config_static_selectorELNS0_4arch9wavefront6targetE1EEEvT1_
		.amdhsa_group_segment_fixed_size 0
		.amdhsa_private_segment_fixed_size 0
		.amdhsa_kernarg_size 120
		.amdhsa_user_sgpr_count 2
		.amdhsa_user_sgpr_dispatch_ptr 0
		.amdhsa_user_sgpr_queue_ptr 0
		.amdhsa_user_sgpr_kernarg_segment_ptr 1
		.amdhsa_user_sgpr_dispatch_id 0
		.amdhsa_user_sgpr_kernarg_preload_length 0
		.amdhsa_user_sgpr_kernarg_preload_offset 0
		.amdhsa_user_sgpr_private_segment_size 0
		.amdhsa_uses_dynamic_stack 0
		.amdhsa_enable_private_segment 0
		.amdhsa_system_sgpr_workgroup_id_x 1
		.amdhsa_system_sgpr_workgroup_id_y 0
		.amdhsa_system_sgpr_workgroup_id_z 0
		.amdhsa_system_sgpr_workgroup_info 0
		.amdhsa_system_vgpr_workitem_id 0
		.amdhsa_next_free_vgpr 1
		.amdhsa_next_free_sgpr 0
		.amdhsa_accum_offset 4
		.amdhsa_reserve_vcc 0
		.amdhsa_float_round_mode_32 0
		.amdhsa_float_round_mode_16_64 0
		.amdhsa_float_denorm_mode_32 3
		.amdhsa_float_denorm_mode_16_64 3
		.amdhsa_dx10_clamp 1
		.amdhsa_ieee_mode 1
		.amdhsa_fp16_overflow 0
		.amdhsa_tg_split 0
		.amdhsa_exception_fp_ieee_invalid_op 0
		.amdhsa_exception_fp_denorm_src 0
		.amdhsa_exception_fp_ieee_div_zero 0
		.amdhsa_exception_fp_ieee_overflow 0
		.amdhsa_exception_fp_ieee_underflow 0
		.amdhsa_exception_fp_ieee_inexact 0
		.amdhsa_exception_int_div_zero 0
	.end_amdhsa_kernel
	.section	.text._ZN7rocprim17ROCPRIM_400000_NS6detail17trampoline_kernelINS0_14default_configENS1_25partition_config_selectorILNS1_17partition_subalgoE9EllbEEZZNS1_14partition_implILS5_9ELb0ES3_jPlS8_PNS0_10empty_typeENS0_5tupleIJS8_S9_EEENSB_IJS8_SA_EEENS0_18inequality_wrapperIZN2at6native12_GLOBAL__N_124unique_dim_cuda_templateIhEESt5tupleIJNSF_6TensorESK_SK_EERKSK_lbbbEUlllE0_EEPmJS9_EEE10hipError_tPvRmT3_T4_T5_T6_T7_T9_mT8_P12ihipStream_tbDpT10_ENKUlT_T0_E_clISt17integral_constantIbLb0EES1A_EEDaS15_S16_EUlS15_E_NS1_11comp_targetILNS1_3genE10ELNS1_11target_archE1200ELNS1_3gpuE4ELNS1_3repE0EEENS1_30default_config_static_selectorELNS0_4arch9wavefront6targetE1EEEvT1_,"axG",@progbits,_ZN7rocprim17ROCPRIM_400000_NS6detail17trampoline_kernelINS0_14default_configENS1_25partition_config_selectorILNS1_17partition_subalgoE9EllbEEZZNS1_14partition_implILS5_9ELb0ES3_jPlS8_PNS0_10empty_typeENS0_5tupleIJS8_S9_EEENSB_IJS8_SA_EEENS0_18inequality_wrapperIZN2at6native12_GLOBAL__N_124unique_dim_cuda_templateIhEESt5tupleIJNSF_6TensorESK_SK_EERKSK_lbbbEUlllE0_EEPmJS9_EEE10hipError_tPvRmT3_T4_T5_T6_T7_T9_mT8_P12ihipStream_tbDpT10_ENKUlT_T0_E_clISt17integral_constantIbLb0EES1A_EEDaS15_S16_EUlS15_E_NS1_11comp_targetILNS1_3genE10ELNS1_11target_archE1200ELNS1_3gpuE4ELNS1_3repE0EEENS1_30default_config_static_selectorELNS0_4arch9wavefront6targetE1EEEvT1_,comdat
.Lfunc_end210:
	.size	_ZN7rocprim17ROCPRIM_400000_NS6detail17trampoline_kernelINS0_14default_configENS1_25partition_config_selectorILNS1_17partition_subalgoE9EllbEEZZNS1_14partition_implILS5_9ELb0ES3_jPlS8_PNS0_10empty_typeENS0_5tupleIJS8_S9_EEENSB_IJS8_SA_EEENS0_18inequality_wrapperIZN2at6native12_GLOBAL__N_124unique_dim_cuda_templateIhEESt5tupleIJNSF_6TensorESK_SK_EERKSK_lbbbEUlllE0_EEPmJS9_EEE10hipError_tPvRmT3_T4_T5_T6_T7_T9_mT8_P12ihipStream_tbDpT10_ENKUlT_T0_E_clISt17integral_constantIbLb0EES1A_EEDaS15_S16_EUlS15_E_NS1_11comp_targetILNS1_3genE10ELNS1_11target_archE1200ELNS1_3gpuE4ELNS1_3repE0EEENS1_30default_config_static_selectorELNS0_4arch9wavefront6targetE1EEEvT1_, .Lfunc_end210-_ZN7rocprim17ROCPRIM_400000_NS6detail17trampoline_kernelINS0_14default_configENS1_25partition_config_selectorILNS1_17partition_subalgoE9EllbEEZZNS1_14partition_implILS5_9ELb0ES3_jPlS8_PNS0_10empty_typeENS0_5tupleIJS8_S9_EEENSB_IJS8_SA_EEENS0_18inequality_wrapperIZN2at6native12_GLOBAL__N_124unique_dim_cuda_templateIhEESt5tupleIJNSF_6TensorESK_SK_EERKSK_lbbbEUlllE0_EEPmJS9_EEE10hipError_tPvRmT3_T4_T5_T6_T7_T9_mT8_P12ihipStream_tbDpT10_ENKUlT_T0_E_clISt17integral_constantIbLb0EES1A_EEDaS15_S16_EUlS15_E_NS1_11comp_targetILNS1_3genE10ELNS1_11target_archE1200ELNS1_3gpuE4ELNS1_3repE0EEENS1_30default_config_static_selectorELNS0_4arch9wavefront6targetE1EEEvT1_
                                        ; -- End function
	.section	.AMDGPU.csdata,"",@progbits
; Kernel info:
; codeLenInByte = 0
; NumSgprs: 6
; NumVgprs: 0
; NumAgprs: 0
; TotalNumVgprs: 0
; ScratchSize: 0
; MemoryBound: 0
; FloatMode: 240
; IeeeMode: 1
; LDSByteSize: 0 bytes/workgroup (compile time only)
; SGPRBlocks: 0
; VGPRBlocks: 0
; NumSGPRsForWavesPerEU: 6
; NumVGPRsForWavesPerEU: 1
; AccumOffset: 4
; Occupancy: 8
; WaveLimiterHint : 0
; COMPUTE_PGM_RSRC2:SCRATCH_EN: 0
; COMPUTE_PGM_RSRC2:USER_SGPR: 2
; COMPUTE_PGM_RSRC2:TRAP_HANDLER: 0
; COMPUTE_PGM_RSRC2:TGID_X_EN: 1
; COMPUTE_PGM_RSRC2:TGID_Y_EN: 0
; COMPUTE_PGM_RSRC2:TGID_Z_EN: 0
; COMPUTE_PGM_RSRC2:TIDIG_COMP_CNT: 0
; COMPUTE_PGM_RSRC3_GFX90A:ACCUM_OFFSET: 0
; COMPUTE_PGM_RSRC3_GFX90A:TG_SPLIT: 0
	.section	.text._ZN7rocprim17ROCPRIM_400000_NS6detail17trampoline_kernelINS0_14default_configENS1_25partition_config_selectorILNS1_17partition_subalgoE9EllbEEZZNS1_14partition_implILS5_9ELb0ES3_jPlS8_PNS0_10empty_typeENS0_5tupleIJS8_S9_EEENSB_IJS8_SA_EEENS0_18inequality_wrapperIZN2at6native12_GLOBAL__N_124unique_dim_cuda_templateIhEESt5tupleIJNSF_6TensorESK_SK_EERKSK_lbbbEUlllE0_EEPmJS9_EEE10hipError_tPvRmT3_T4_T5_T6_T7_T9_mT8_P12ihipStream_tbDpT10_ENKUlT_T0_E_clISt17integral_constantIbLb0EES1A_EEDaS15_S16_EUlS15_E_NS1_11comp_targetILNS1_3genE9ELNS1_11target_archE1100ELNS1_3gpuE3ELNS1_3repE0EEENS1_30default_config_static_selectorELNS0_4arch9wavefront6targetE1EEEvT1_,"axG",@progbits,_ZN7rocprim17ROCPRIM_400000_NS6detail17trampoline_kernelINS0_14default_configENS1_25partition_config_selectorILNS1_17partition_subalgoE9EllbEEZZNS1_14partition_implILS5_9ELb0ES3_jPlS8_PNS0_10empty_typeENS0_5tupleIJS8_S9_EEENSB_IJS8_SA_EEENS0_18inequality_wrapperIZN2at6native12_GLOBAL__N_124unique_dim_cuda_templateIhEESt5tupleIJNSF_6TensorESK_SK_EERKSK_lbbbEUlllE0_EEPmJS9_EEE10hipError_tPvRmT3_T4_T5_T6_T7_T9_mT8_P12ihipStream_tbDpT10_ENKUlT_T0_E_clISt17integral_constantIbLb0EES1A_EEDaS15_S16_EUlS15_E_NS1_11comp_targetILNS1_3genE9ELNS1_11target_archE1100ELNS1_3gpuE3ELNS1_3repE0EEENS1_30default_config_static_selectorELNS0_4arch9wavefront6targetE1EEEvT1_,comdat
	.globl	_ZN7rocprim17ROCPRIM_400000_NS6detail17trampoline_kernelINS0_14default_configENS1_25partition_config_selectorILNS1_17partition_subalgoE9EllbEEZZNS1_14partition_implILS5_9ELb0ES3_jPlS8_PNS0_10empty_typeENS0_5tupleIJS8_S9_EEENSB_IJS8_SA_EEENS0_18inequality_wrapperIZN2at6native12_GLOBAL__N_124unique_dim_cuda_templateIhEESt5tupleIJNSF_6TensorESK_SK_EERKSK_lbbbEUlllE0_EEPmJS9_EEE10hipError_tPvRmT3_T4_T5_T6_T7_T9_mT8_P12ihipStream_tbDpT10_ENKUlT_T0_E_clISt17integral_constantIbLb0EES1A_EEDaS15_S16_EUlS15_E_NS1_11comp_targetILNS1_3genE9ELNS1_11target_archE1100ELNS1_3gpuE3ELNS1_3repE0EEENS1_30default_config_static_selectorELNS0_4arch9wavefront6targetE1EEEvT1_ ; -- Begin function _ZN7rocprim17ROCPRIM_400000_NS6detail17trampoline_kernelINS0_14default_configENS1_25partition_config_selectorILNS1_17partition_subalgoE9EllbEEZZNS1_14partition_implILS5_9ELb0ES3_jPlS8_PNS0_10empty_typeENS0_5tupleIJS8_S9_EEENSB_IJS8_SA_EEENS0_18inequality_wrapperIZN2at6native12_GLOBAL__N_124unique_dim_cuda_templateIhEESt5tupleIJNSF_6TensorESK_SK_EERKSK_lbbbEUlllE0_EEPmJS9_EEE10hipError_tPvRmT3_T4_T5_T6_T7_T9_mT8_P12ihipStream_tbDpT10_ENKUlT_T0_E_clISt17integral_constantIbLb0EES1A_EEDaS15_S16_EUlS15_E_NS1_11comp_targetILNS1_3genE9ELNS1_11target_archE1100ELNS1_3gpuE3ELNS1_3repE0EEENS1_30default_config_static_selectorELNS0_4arch9wavefront6targetE1EEEvT1_
	.p2align	8
	.type	_ZN7rocprim17ROCPRIM_400000_NS6detail17trampoline_kernelINS0_14default_configENS1_25partition_config_selectorILNS1_17partition_subalgoE9EllbEEZZNS1_14partition_implILS5_9ELb0ES3_jPlS8_PNS0_10empty_typeENS0_5tupleIJS8_S9_EEENSB_IJS8_SA_EEENS0_18inequality_wrapperIZN2at6native12_GLOBAL__N_124unique_dim_cuda_templateIhEESt5tupleIJNSF_6TensorESK_SK_EERKSK_lbbbEUlllE0_EEPmJS9_EEE10hipError_tPvRmT3_T4_T5_T6_T7_T9_mT8_P12ihipStream_tbDpT10_ENKUlT_T0_E_clISt17integral_constantIbLb0EES1A_EEDaS15_S16_EUlS15_E_NS1_11comp_targetILNS1_3genE9ELNS1_11target_archE1100ELNS1_3gpuE3ELNS1_3repE0EEENS1_30default_config_static_selectorELNS0_4arch9wavefront6targetE1EEEvT1_,@function
_ZN7rocprim17ROCPRIM_400000_NS6detail17trampoline_kernelINS0_14default_configENS1_25partition_config_selectorILNS1_17partition_subalgoE9EllbEEZZNS1_14partition_implILS5_9ELb0ES3_jPlS8_PNS0_10empty_typeENS0_5tupleIJS8_S9_EEENSB_IJS8_SA_EEENS0_18inequality_wrapperIZN2at6native12_GLOBAL__N_124unique_dim_cuda_templateIhEESt5tupleIJNSF_6TensorESK_SK_EERKSK_lbbbEUlllE0_EEPmJS9_EEE10hipError_tPvRmT3_T4_T5_T6_T7_T9_mT8_P12ihipStream_tbDpT10_ENKUlT_T0_E_clISt17integral_constantIbLb0EES1A_EEDaS15_S16_EUlS15_E_NS1_11comp_targetILNS1_3genE9ELNS1_11target_archE1100ELNS1_3gpuE3ELNS1_3repE0EEENS1_30default_config_static_selectorELNS0_4arch9wavefront6targetE1EEEvT1_: ; @_ZN7rocprim17ROCPRIM_400000_NS6detail17trampoline_kernelINS0_14default_configENS1_25partition_config_selectorILNS1_17partition_subalgoE9EllbEEZZNS1_14partition_implILS5_9ELb0ES3_jPlS8_PNS0_10empty_typeENS0_5tupleIJS8_S9_EEENSB_IJS8_SA_EEENS0_18inequality_wrapperIZN2at6native12_GLOBAL__N_124unique_dim_cuda_templateIhEESt5tupleIJNSF_6TensorESK_SK_EERKSK_lbbbEUlllE0_EEPmJS9_EEE10hipError_tPvRmT3_T4_T5_T6_T7_T9_mT8_P12ihipStream_tbDpT10_ENKUlT_T0_E_clISt17integral_constantIbLb0EES1A_EEDaS15_S16_EUlS15_E_NS1_11comp_targetILNS1_3genE9ELNS1_11target_archE1100ELNS1_3gpuE3ELNS1_3repE0EEENS1_30default_config_static_selectorELNS0_4arch9wavefront6targetE1EEEvT1_
; %bb.0:
	.section	.rodata,"a",@progbits
	.p2align	6, 0x0
	.amdhsa_kernel _ZN7rocprim17ROCPRIM_400000_NS6detail17trampoline_kernelINS0_14default_configENS1_25partition_config_selectorILNS1_17partition_subalgoE9EllbEEZZNS1_14partition_implILS5_9ELb0ES3_jPlS8_PNS0_10empty_typeENS0_5tupleIJS8_S9_EEENSB_IJS8_SA_EEENS0_18inequality_wrapperIZN2at6native12_GLOBAL__N_124unique_dim_cuda_templateIhEESt5tupleIJNSF_6TensorESK_SK_EERKSK_lbbbEUlllE0_EEPmJS9_EEE10hipError_tPvRmT3_T4_T5_T6_T7_T9_mT8_P12ihipStream_tbDpT10_ENKUlT_T0_E_clISt17integral_constantIbLb0EES1A_EEDaS15_S16_EUlS15_E_NS1_11comp_targetILNS1_3genE9ELNS1_11target_archE1100ELNS1_3gpuE3ELNS1_3repE0EEENS1_30default_config_static_selectorELNS0_4arch9wavefront6targetE1EEEvT1_
		.amdhsa_group_segment_fixed_size 0
		.amdhsa_private_segment_fixed_size 0
		.amdhsa_kernarg_size 120
		.amdhsa_user_sgpr_count 2
		.amdhsa_user_sgpr_dispatch_ptr 0
		.amdhsa_user_sgpr_queue_ptr 0
		.amdhsa_user_sgpr_kernarg_segment_ptr 1
		.amdhsa_user_sgpr_dispatch_id 0
		.amdhsa_user_sgpr_kernarg_preload_length 0
		.amdhsa_user_sgpr_kernarg_preload_offset 0
		.amdhsa_user_sgpr_private_segment_size 0
		.amdhsa_uses_dynamic_stack 0
		.amdhsa_enable_private_segment 0
		.amdhsa_system_sgpr_workgroup_id_x 1
		.amdhsa_system_sgpr_workgroup_id_y 0
		.amdhsa_system_sgpr_workgroup_id_z 0
		.amdhsa_system_sgpr_workgroup_info 0
		.amdhsa_system_vgpr_workitem_id 0
		.amdhsa_next_free_vgpr 1
		.amdhsa_next_free_sgpr 0
		.amdhsa_accum_offset 4
		.amdhsa_reserve_vcc 0
		.amdhsa_float_round_mode_32 0
		.amdhsa_float_round_mode_16_64 0
		.amdhsa_float_denorm_mode_32 3
		.amdhsa_float_denorm_mode_16_64 3
		.amdhsa_dx10_clamp 1
		.amdhsa_ieee_mode 1
		.amdhsa_fp16_overflow 0
		.amdhsa_tg_split 0
		.amdhsa_exception_fp_ieee_invalid_op 0
		.amdhsa_exception_fp_denorm_src 0
		.amdhsa_exception_fp_ieee_div_zero 0
		.amdhsa_exception_fp_ieee_overflow 0
		.amdhsa_exception_fp_ieee_underflow 0
		.amdhsa_exception_fp_ieee_inexact 0
		.amdhsa_exception_int_div_zero 0
	.end_amdhsa_kernel
	.section	.text._ZN7rocprim17ROCPRIM_400000_NS6detail17trampoline_kernelINS0_14default_configENS1_25partition_config_selectorILNS1_17partition_subalgoE9EllbEEZZNS1_14partition_implILS5_9ELb0ES3_jPlS8_PNS0_10empty_typeENS0_5tupleIJS8_S9_EEENSB_IJS8_SA_EEENS0_18inequality_wrapperIZN2at6native12_GLOBAL__N_124unique_dim_cuda_templateIhEESt5tupleIJNSF_6TensorESK_SK_EERKSK_lbbbEUlllE0_EEPmJS9_EEE10hipError_tPvRmT3_T4_T5_T6_T7_T9_mT8_P12ihipStream_tbDpT10_ENKUlT_T0_E_clISt17integral_constantIbLb0EES1A_EEDaS15_S16_EUlS15_E_NS1_11comp_targetILNS1_3genE9ELNS1_11target_archE1100ELNS1_3gpuE3ELNS1_3repE0EEENS1_30default_config_static_selectorELNS0_4arch9wavefront6targetE1EEEvT1_,"axG",@progbits,_ZN7rocprim17ROCPRIM_400000_NS6detail17trampoline_kernelINS0_14default_configENS1_25partition_config_selectorILNS1_17partition_subalgoE9EllbEEZZNS1_14partition_implILS5_9ELb0ES3_jPlS8_PNS0_10empty_typeENS0_5tupleIJS8_S9_EEENSB_IJS8_SA_EEENS0_18inequality_wrapperIZN2at6native12_GLOBAL__N_124unique_dim_cuda_templateIhEESt5tupleIJNSF_6TensorESK_SK_EERKSK_lbbbEUlllE0_EEPmJS9_EEE10hipError_tPvRmT3_T4_T5_T6_T7_T9_mT8_P12ihipStream_tbDpT10_ENKUlT_T0_E_clISt17integral_constantIbLb0EES1A_EEDaS15_S16_EUlS15_E_NS1_11comp_targetILNS1_3genE9ELNS1_11target_archE1100ELNS1_3gpuE3ELNS1_3repE0EEENS1_30default_config_static_selectorELNS0_4arch9wavefront6targetE1EEEvT1_,comdat
.Lfunc_end211:
	.size	_ZN7rocprim17ROCPRIM_400000_NS6detail17trampoline_kernelINS0_14default_configENS1_25partition_config_selectorILNS1_17partition_subalgoE9EllbEEZZNS1_14partition_implILS5_9ELb0ES3_jPlS8_PNS0_10empty_typeENS0_5tupleIJS8_S9_EEENSB_IJS8_SA_EEENS0_18inequality_wrapperIZN2at6native12_GLOBAL__N_124unique_dim_cuda_templateIhEESt5tupleIJNSF_6TensorESK_SK_EERKSK_lbbbEUlllE0_EEPmJS9_EEE10hipError_tPvRmT3_T4_T5_T6_T7_T9_mT8_P12ihipStream_tbDpT10_ENKUlT_T0_E_clISt17integral_constantIbLb0EES1A_EEDaS15_S16_EUlS15_E_NS1_11comp_targetILNS1_3genE9ELNS1_11target_archE1100ELNS1_3gpuE3ELNS1_3repE0EEENS1_30default_config_static_selectorELNS0_4arch9wavefront6targetE1EEEvT1_, .Lfunc_end211-_ZN7rocprim17ROCPRIM_400000_NS6detail17trampoline_kernelINS0_14default_configENS1_25partition_config_selectorILNS1_17partition_subalgoE9EllbEEZZNS1_14partition_implILS5_9ELb0ES3_jPlS8_PNS0_10empty_typeENS0_5tupleIJS8_S9_EEENSB_IJS8_SA_EEENS0_18inequality_wrapperIZN2at6native12_GLOBAL__N_124unique_dim_cuda_templateIhEESt5tupleIJNSF_6TensorESK_SK_EERKSK_lbbbEUlllE0_EEPmJS9_EEE10hipError_tPvRmT3_T4_T5_T6_T7_T9_mT8_P12ihipStream_tbDpT10_ENKUlT_T0_E_clISt17integral_constantIbLb0EES1A_EEDaS15_S16_EUlS15_E_NS1_11comp_targetILNS1_3genE9ELNS1_11target_archE1100ELNS1_3gpuE3ELNS1_3repE0EEENS1_30default_config_static_selectorELNS0_4arch9wavefront6targetE1EEEvT1_
                                        ; -- End function
	.section	.AMDGPU.csdata,"",@progbits
; Kernel info:
; codeLenInByte = 0
; NumSgprs: 6
; NumVgprs: 0
; NumAgprs: 0
; TotalNumVgprs: 0
; ScratchSize: 0
; MemoryBound: 0
; FloatMode: 240
; IeeeMode: 1
; LDSByteSize: 0 bytes/workgroup (compile time only)
; SGPRBlocks: 0
; VGPRBlocks: 0
; NumSGPRsForWavesPerEU: 6
; NumVGPRsForWavesPerEU: 1
; AccumOffset: 4
; Occupancy: 8
; WaveLimiterHint : 0
; COMPUTE_PGM_RSRC2:SCRATCH_EN: 0
; COMPUTE_PGM_RSRC2:USER_SGPR: 2
; COMPUTE_PGM_RSRC2:TRAP_HANDLER: 0
; COMPUTE_PGM_RSRC2:TGID_X_EN: 1
; COMPUTE_PGM_RSRC2:TGID_Y_EN: 0
; COMPUTE_PGM_RSRC2:TGID_Z_EN: 0
; COMPUTE_PGM_RSRC2:TIDIG_COMP_CNT: 0
; COMPUTE_PGM_RSRC3_GFX90A:ACCUM_OFFSET: 0
; COMPUTE_PGM_RSRC3_GFX90A:TG_SPLIT: 0
	.section	.text._ZN7rocprim17ROCPRIM_400000_NS6detail17trampoline_kernelINS0_14default_configENS1_25partition_config_selectorILNS1_17partition_subalgoE9EllbEEZZNS1_14partition_implILS5_9ELb0ES3_jPlS8_PNS0_10empty_typeENS0_5tupleIJS8_S9_EEENSB_IJS8_SA_EEENS0_18inequality_wrapperIZN2at6native12_GLOBAL__N_124unique_dim_cuda_templateIhEESt5tupleIJNSF_6TensorESK_SK_EERKSK_lbbbEUlllE0_EEPmJS9_EEE10hipError_tPvRmT3_T4_T5_T6_T7_T9_mT8_P12ihipStream_tbDpT10_ENKUlT_T0_E_clISt17integral_constantIbLb0EES1A_EEDaS15_S16_EUlS15_E_NS1_11comp_targetILNS1_3genE8ELNS1_11target_archE1030ELNS1_3gpuE2ELNS1_3repE0EEENS1_30default_config_static_selectorELNS0_4arch9wavefront6targetE1EEEvT1_,"axG",@progbits,_ZN7rocprim17ROCPRIM_400000_NS6detail17trampoline_kernelINS0_14default_configENS1_25partition_config_selectorILNS1_17partition_subalgoE9EllbEEZZNS1_14partition_implILS5_9ELb0ES3_jPlS8_PNS0_10empty_typeENS0_5tupleIJS8_S9_EEENSB_IJS8_SA_EEENS0_18inequality_wrapperIZN2at6native12_GLOBAL__N_124unique_dim_cuda_templateIhEESt5tupleIJNSF_6TensorESK_SK_EERKSK_lbbbEUlllE0_EEPmJS9_EEE10hipError_tPvRmT3_T4_T5_T6_T7_T9_mT8_P12ihipStream_tbDpT10_ENKUlT_T0_E_clISt17integral_constantIbLb0EES1A_EEDaS15_S16_EUlS15_E_NS1_11comp_targetILNS1_3genE8ELNS1_11target_archE1030ELNS1_3gpuE2ELNS1_3repE0EEENS1_30default_config_static_selectorELNS0_4arch9wavefront6targetE1EEEvT1_,comdat
	.globl	_ZN7rocprim17ROCPRIM_400000_NS6detail17trampoline_kernelINS0_14default_configENS1_25partition_config_selectorILNS1_17partition_subalgoE9EllbEEZZNS1_14partition_implILS5_9ELb0ES3_jPlS8_PNS0_10empty_typeENS0_5tupleIJS8_S9_EEENSB_IJS8_SA_EEENS0_18inequality_wrapperIZN2at6native12_GLOBAL__N_124unique_dim_cuda_templateIhEESt5tupleIJNSF_6TensorESK_SK_EERKSK_lbbbEUlllE0_EEPmJS9_EEE10hipError_tPvRmT3_T4_T5_T6_T7_T9_mT8_P12ihipStream_tbDpT10_ENKUlT_T0_E_clISt17integral_constantIbLb0EES1A_EEDaS15_S16_EUlS15_E_NS1_11comp_targetILNS1_3genE8ELNS1_11target_archE1030ELNS1_3gpuE2ELNS1_3repE0EEENS1_30default_config_static_selectorELNS0_4arch9wavefront6targetE1EEEvT1_ ; -- Begin function _ZN7rocprim17ROCPRIM_400000_NS6detail17trampoline_kernelINS0_14default_configENS1_25partition_config_selectorILNS1_17partition_subalgoE9EllbEEZZNS1_14partition_implILS5_9ELb0ES3_jPlS8_PNS0_10empty_typeENS0_5tupleIJS8_S9_EEENSB_IJS8_SA_EEENS0_18inequality_wrapperIZN2at6native12_GLOBAL__N_124unique_dim_cuda_templateIhEESt5tupleIJNSF_6TensorESK_SK_EERKSK_lbbbEUlllE0_EEPmJS9_EEE10hipError_tPvRmT3_T4_T5_T6_T7_T9_mT8_P12ihipStream_tbDpT10_ENKUlT_T0_E_clISt17integral_constantIbLb0EES1A_EEDaS15_S16_EUlS15_E_NS1_11comp_targetILNS1_3genE8ELNS1_11target_archE1030ELNS1_3gpuE2ELNS1_3repE0EEENS1_30default_config_static_selectorELNS0_4arch9wavefront6targetE1EEEvT1_
	.p2align	8
	.type	_ZN7rocprim17ROCPRIM_400000_NS6detail17trampoline_kernelINS0_14default_configENS1_25partition_config_selectorILNS1_17partition_subalgoE9EllbEEZZNS1_14partition_implILS5_9ELb0ES3_jPlS8_PNS0_10empty_typeENS0_5tupleIJS8_S9_EEENSB_IJS8_SA_EEENS0_18inequality_wrapperIZN2at6native12_GLOBAL__N_124unique_dim_cuda_templateIhEESt5tupleIJNSF_6TensorESK_SK_EERKSK_lbbbEUlllE0_EEPmJS9_EEE10hipError_tPvRmT3_T4_T5_T6_T7_T9_mT8_P12ihipStream_tbDpT10_ENKUlT_T0_E_clISt17integral_constantIbLb0EES1A_EEDaS15_S16_EUlS15_E_NS1_11comp_targetILNS1_3genE8ELNS1_11target_archE1030ELNS1_3gpuE2ELNS1_3repE0EEENS1_30default_config_static_selectorELNS0_4arch9wavefront6targetE1EEEvT1_,@function
_ZN7rocprim17ROCPRIM_400000_NS6detail17trampoline_kernelINS0_14default_configENS1_25partition_config_selectorILNS1_17partition_subalgoE9EllbEEZZNS1_14partition_implILS5_9ELb0ES3_jPlS8_PNS0_10empty_typeENS0_5tupleIJS8_S9_EEENSB_IJS8_SA_EEENS0_18inequality_wrapperIZN2at6native12_GLOBAL__N_124unique_dim_cuda_templateIhEESt5tupleIJNSF_6TensorESK_SK_EERKSK_lbbbEUlllE0_EEPmJS9_EEE10hipError_tPvRmT3_T4_T5_T6_T7_T9_mT8_P12ihipStream_tbDpT10_ENKUlT_T0_E_clISt17integral_constantIbLb0EES1A_EEDaS15_S16_EUlS15_E_NS1_11comp_targetILNS1_3genE8ELNS1_11target_archE1030ELNS1_3gpuE2ELNS1_3repE0EEENS1_30default_config_static_selectorELNS0_4arch9wavefront6targetE1EEEvT1_: ; @_ZN7rocprim17ROCPRIM_400000_NS6detail17trampoline_kernelINS0_14default_configENS1_25partition_config_selectorILNS1_17partition_subalgoE9EllbEEZZNS1_14partition_implILS5_9ELb0ES3_jPlS8_PNS0_10empty_typeENS0_5tupleIJS8_S9_EEENSB_IJS8_SA_EEENS0_18inequality_wrapperIZN2at6native12_GLOBAL__N_124unique_dim_cuda_templateIhEESt5tupleIJNSF_6TensorESK_SK_EERKSK_lbbbEUlllE0_EEPmJS9_EEE10hipError_tPvRmT3_T4_T5_T6_T7_T9_mT8_P12ihipStream_tbDpT10_ENKUlT_T0_E_clISt17integral_constantIbLb0EES1A_EEDaS15_S16_EUlS15_E_NS1_11comp_targetILNS1_3genE8ELNS1_11target_archE1030ELNS1_3gpuE2ELNS1_3repE0EEENS1_30default_config_static_selectorELNS0_4arch9wavefront6targetE1EEEvT1_
; %bb.0:
	.section	.rodata,"a",@progbits
	.p2align	6, 0x0
	.amdhsa_kernel _ZN7rocprim17ROCPRIM_400000_NS6detail17trampoline_kernelINS0_14default_configENS1_25partition_config_selectorILNS1_17partition_subalgoE9EllbEEZZNS1_14partition_implILS5_9ELb0ES3_jPlS8_PNS0_10empty_typeENS0_5tupleIJS8_S9_EEENSB_IJS8_SA_EEENS0_18inequality_wrapperIZN2at6native12_GLOBAL__N_124unique_dim_cuda_templateIhEESt5tupleIJNSF_6TensorESK_SK_EERKSK_lbbbEUlllE0_EEPmJS9_EEE10hipError_tPvRmT3_T4_T5_T6_T7_T9_mT8_P12ihipStream_tbDpT10_ENKUlT_T0_E_clISt17integral_constantIbLb0EES1A_EEDaS15_S16_EUlS15_E_NS1_11comp_targetILNS1_3genE8ELNS1_11target_archE1030ELNS1_3gpuE2ELNS1_3repE0EEENS1_30default_config_static_selectorELNS0_4arch9wavefront6targetE1EEEvT1_
		.amdhsa_group_segment_fixed_size 0
		.amdhsa_private_segment_fixed_size 0
		.amdhsa_kernarg_size 120
		.amdhsa_user_sgpr_count 2
		.amdhsa_user_sgpr_dispatch_ptr 0
		.amdhsa_user_sgpr_queue_ptr 0
		.amdhsa_user_sgpr_kernarg_segment_ptr 1
		.amdhsa_user_sgpr_dispatch_id 0
		.amdhsa_user_sgpr_kernarg_preload_length 0
		.amdhsa_user_sgpr_kernarg_preload_offset 0
		.amdhsa_user_sgpr_private_segment_size 0
		.amdhsa_uses_dynamic_stack 0
		.amdhsa_enable_private_segment 0
		.amdhsa_system_sgpr_workgroup_id_x 1
		.amdhsa_system_sgpr_workgroup_id_y 0
		.amdhsa_system_sgpr_workgroup_id_z 0
		.amdhsa_system_sgpr_workgroup_info 0
		.amdhsa_system_vgpr_workitem_id 0
		.amdhsa_next_free_vgpr 1
		.amdhsa_next_free_sgpr 0
		.amdhsa_accum_offset 4
		.amdhsa_reserve_vcc 0
		.amdhsa_float_round_mode_32 0
		.amdhsa_float_round_mode_16_64 0
		.amdhsa_float_denorm_mode_32 3
		.amdhsa_float_denorm_mode_16_64 3
		.amdhsa_dx10_clamp 1
		.amdhsa_ieee_mode 1
		.amdhsa_fp16_overflow 0
		.amdhsa_tg_split 0
		.amdhsa_exception_fp_ieee_invalid_op 0
		.amdhsa_exception_fp_denorm_src 0
		.amdhsa_exception_fp_ieee_div_zero 0
		.amdhsa_exception_fp_ieee_overflow 0
		.amdhsa_exception_fp_ieee_underflow 0
		.amdhsa_exception_fp_ieee_inexact 0
		.amdhsa_exception_int_div_zero 0
	.end_amdhsa_kernel
	.section	.text._ZN7rocprim17ROCPRIM_400000_NS6detail17trampoline_kernelINS0_14default_configENS1_25partition_config_selectorILNS1_17partition_subalgoE9EllbEEZZNS1_14partition_implILS5_9ELb0ES3_jPlS8_PNS0_10empty_typeENS0_5tupleIJS8_S9_EEENSB_IJS8_SA_EEENS0_18inequality_wrapperIZN2at6native12_GLOBAL__N_124unique_dim_cuda_templateIhEESt5tupleIJNSF_6TensorESK_SK_EERKSK_lbbbEUlllE0_EEPmJS9_EEE10hipError_tPvRmT3_T4_T5_T6_T7_T9_mT8_P12ihipStream_tbDpT10_ENKUlT_T0_E_clISt17integral_constantIbLb0EES1A_EEDaS15_S16_EUlS15_E_NS1_11comp_targetILNS1_3genE8ELNS1_11target_archE1030ELNS1_3gpuE2ELNS1_3repE0EEENS1_30default_config_static_selectorELNS0_4arch9wavefront6targetE1EEEvT1_,"axG",@progbits,_ZN7rocprim17ROCPRIM_400000_NS6detail17trampoline_kernelINS0_14default_configENS1_25partition_config_selectorILNS1_17partition_subalgoE9EllbEEZZNS1_14partition_implILS5_9ELb0ES3_jPlS8_PNS0_10empty_typeENS0_5tupleIJS8_S9_EEENSB_IJS8_SA_EEENS0_18inequality_wrapperIZN2at6native12_GLOBAL__N_124unique_dim_cuda_templateIhEESt5tupleIJNSF_6TensorESK_SK_EERKSK_lbbbEUlllE0_EEPmJS9_EEE10hipError_tPvRmT3_T4_T5_T6_T7_T9_mT8_P12ihipStream_tbDpT10_ENKUlT_T0_E_clISt17integral_constantIbLb0EES1A_EEDaS15_S16_EUlS15_E_NS1_11comp_targetILNS1_3genE8ELNS1_11target_archE1030ELNS1_3gpuE2ELNS1_3repE0EEENS1_30default_config_static_selectorELNS0_4arch9wavefront6targetE1EEEvT1_,comdat
.Lfunc_end212:
	.size	_ZN7rocprim17ROCPRIM_400000_NS6detail17trampoline_kernelINS0_14default_configENS1_25partition_config_selectorILNS1_17partition_subalgoE9EllbEEZZNS1_14partition_implILS5_9ELb0ES3_jPlS8_PNS0_10empty_typeENS0_5tupleIJS8_S9_EEENSB_IJS8_SA_EEENS0_18inequality_wrapperIZN2at6native12_GLOBAL__N_124unique_dim_cuda_templateIhEESt5tupleIJNSF_6TensorESK_SK_EERKSK_lbbbEUlllE0_EEPmJS9_EEE10hipError_tPvRmT3_T4_T5_T6_T7_T9_mT8_P12ihipStream_tbDpT10_ENKUlT_T0_E_clISt17integral_constantIbLb0EES1A_EEDaS15_S16_EUlS15_E_NS1_11comp_targetILNS1_3genE8ELNS1_11target_archE1030ELNS1_3gpuE2ELNS1_3repE0EEENS1_30default_config_static_selectorELNS0_4arch9wavefront6targetE1EEEvT1_, .Lfunc_end212-_ZN7rocprim17ROCPRIM_400000_NS6detail17trampoline_kernelINS0_14default_configENS1_25partition_config_selectorILNS1_17partition_subalgoE9EllbEEZZNS1_14partition_implILS5_9ELb0ES3_jPlS8_PNS0_10empty_typeENS0_5tupleIJS8_S9_EEENSB_IJS8_SA_EEENS0_18inequality_wrapperIZN2at6native12_GLOBAL__N_124unique_dim_cuda_templateIhEESt5tupleIJNSF_6TensorESK_SK_EERKSK_lbbbEUlllE0_EEPmJS9_EEE10hipError_tPvRmT3_T4_T5_T6_T7_T9_mT8_P12ihipStream_tbDpT10_ENKUlT_T0_E_clISt17integral_constantIbLb0EES1A_EEDaS15_S16_EUlS15_E_NS1_11comp_targetILNS1_3genE8ELNS1_11target_archE1030ELNS1_3gpuE2ELNS1_3repE0EEENS1_30default_config_static_selectorELNS0_4arch9wavefront6targetE1EEEvT1_
                                        ; -- End function
	.section	.AMDGPU.csdata,"",@progbits
; Kernel info:
; codeLenInByte = 0
; NumSgprs: 6
; NumVgprs: 0
; NumAgprs: 0
; TotalNumVgprs: 0
; ScratchSize: 0
; MemoryBound: 0
; FloatMode: 240
; IeeeMode: 1
; LDSByteSize: 0 bytes/workgroup (compile time only)
; SGPRBlocks: 0
; VGPRBlocks: 0
; NumSGPRsForWavesPerEU: 6
; NumVGPRsForWavesPerEU: 1
; AccumOffset: 4
; Occupancy: 8
; WaveLimiterHint : 0
; COMPUTE_PGM_RSRC2:SCRATCH_EN: 0
; COMPUTE_PGM_RSRC2:USER_SGPR: 2
; COMPUTE_PGM_RSRC2:TRAP_HANDLER: 0
; COMPUTE_PGM_RSRC2:TGID_X_EN: 1
; COMPUTE_PGM_RSRC2:TGID_Y_EN: 0
; COMPUTE_PGM_RSRC2:TGID_Z_EN: 0
; COMPUTE_PGM_RSRC2:TIDIG_COMP_CNT: 0
; COMPUTE_PGM_RSRC3_GFX90A:ACCUM_OFFSET: 0
; COMPUTE_PGM_RSRC3_GFX90A:TG_SPLIT: 0
	.section	.text._ZN7rocprim17ROCPRIM_400000_NS6detail17trampoline_kernelINS0_14default_configENS1_25partition_config_selectorILNS1_17partition_subalgoE9EllbEEZZNS1_14partition_implILS5_9ELb0ES3_jPlS8_PNS0_10empty_typeENS0_5tupleIJS8_S9_EEENSB_IJS8_SA_EEENS0_18inequality_wrapperIZN2at6native12_GLOBAL__N_124unique_dim_cuda_templateIhEESt5tupleIJNSF_6TensorESK_SK_EERKSK_lbbbEUlllE0_EEPmJS9_EEE10hipError_tPvRmT3_T4_T5_T6_T7_T9_mT8_P12ihipStream_tbDpT10_ENKUlT_T0_E_clISt17integral_constantIbLb1EES1A_EEDaS15_S16_EUlS15_E_NS1_11comp_targetILNS1_3genE0ELNS1_11target_archE4294967295ELNS1_3gpuE0ELNS1_3repE0EEENS1_30default_config_static_selectorELNS0_4arch9wavefront6targetE1EEEvT1_,"axG",@progbits,_ZN7rocprim17ROCPRIM_400000_NS6detail17trampoline_kernelINS0_14default_configENS1_25partition_config_selectorILNS1_17partition_subalgoE9EllbEEZZNS1_14partition_implILS5_9ELb0ES3_jPlS8_PNS0_10empty_typeENS0_5tupleIJS8_S9_EEENSB_IJS8_SA_EEENS0_18inequality_wrapperIZN2at6native12_GLOBAL__N_124unique_dim_cuda_templateIhEESt5tupleIJNSF_6TensorESK_SK_EERKSK_lbbbEUlllE0_EEPmJS9_EEE10hipError_tPvRmT3_T4_T5_T6_T7_T9_mT8_P12ihipStream_tbDpT10_ENKUlT_T0_E_clISt17integral_constantIbLb1EES1A_EEDaS15_S16_EUlS15_E_NS1_11comp_targetILNS1_3genE0ELNS1_11target_archE4294967295ELNS1_3gpuE0ELNS1_3repE0EEENS1_30default_config_static_selectorELNS0_4arch9wavefront6targetE1EEEvT1_,comdat
	.globl	_ZN7rocprim17ROCPRIM_400000_NS6detail17trampoline_kernelINS0_14default_configENS1_25partition_config_selectorILNS1_17partition_subalgoE9EllbEEZZNS1_14partition_implILS5_9ELb0ES3_jPlS8_PNS0_10empty_typeENS0_5tupleIJS8_S9_EEENSB_IJS8_SA_EEENS0_18inequality_wrapperIZN2at6native12_GLOBAL__N_124unique_dim_cuda_templateIhEESt5tupleIJNSF_6TensorESK_SK_EERKSK_lbbbEUlllE0_EEPmJS9_EEE10hipError_tPvRmT3_T4_T5_T6_T7_T9_mT8_P12ihipStream_tbDpT10_ENKUlT_T0_E_clISt17integral_constantIbLb1EES1A_EEDaS15_S16_EUlS15_E_NS1_11comp_targetILNS1_3genE0ELNS1_11target_archE4294967295ELNS1_3gpuE0ELNS1_3repE0EEENS1_30default_config_static_selectorELNS0_4arch9wavefront6targetE1EEEvT1_ ; -- Begin function _ZN7rocprim17ROCPRIM_400000_NS6detail17trampoline_kernelINS0_14default_configENS1_25partition_config_selectorILNS1_17partition_subalgoE9EllbEEZZNS1_14partition_implILS5_9ELb0ES3_jPlS8_PNS0_10empty_typeENS0_5tupleIJS8_S9_EEENSB_IJS8_SA_EEENS0_18inequality_wrapperIZN2at6native12_GLOBAL__N_124unique_dim_cuda_templateIhEESt5tupleIJNSF_6TensorESK_SK_EERKSK_lbbbEUlllE0_EEPmJS9_EEE10hipError_tPvRmT3_T4_T5_T6_T7_T9_mT8_P12ihipStream_tbDpT10_ENKUlT_T0_E_clISt17integral_constantIbLb1EES1A_EEDaS15_S16_EUlS15_E_NS1_11comp_targetILNS1_3genE0ELNS1_11target_archE4294967295ELNS1_3gpuE0ELNS1_3repE0EEENS1_30default_config_static_selectorELNS0_4arch9wavefront6targetE1EEEvT1_
	.p2align	8
	.type	_ZN7rocprim17ROCPRIM_400000_NS6detail17trampoline_kernelINS0_14default_configENS1_25partition_config_selectorILNS1_17partition_subalgoE9EllbEEZZNS1_14partition_implILS5_9ELb0ES3_jPlS8_PNS0_10empty_typeENS0_5tupleIJS8_S9_EEENSB_IJS8_SA_EEENS0_18inequality_wrapperIZN2at6native12_GLOBAL__N_124unique_dim_cuda_templateIhEESt5tupleIJNSF_6TensorESK_SK_EERKSK_lbbbEUlllE0_EEPmJS9_EEE10hipError_tPvRmT3_T4_T5_T6_T7_T9_mT8_P12ihipStream_tbDpT10_ENKUlT_T0_E_clISt17integral_constantIbLb1EES1A_EEDaS15_S16_EUlS15_E_NS1_11comp_targetILNS1_3genE0ELNS1_11target_archE4294967295ELNS1_3gpuE0ELNS1_3repE0EEENS1_30default_config_static_selectorELNS0_4arch9wavefront6targetE1EEEvT1_,@function
_ZN7rocprim17ROCPRIM_400000_NS6detail17trampoline_kernelINS0_14default_configENS1_25partition_config_selectorILNS1_17partition_subalgoE9EllbEEZZNS1_14partition_implILS5_9ELb0ES3_jPlS8_PNS0_10empty_typeENS0_5tupleIJS8_S9_EEENSB_IJS8_SA_EEENS0_18inequality_wrapperIZN2at6native12_GLOBAL__N_124unique_dim_cuda_templateIhEESt5tupleIJNSF_6TensorESK_SK_EERKSK_lbbbEUlllE0_EEPmJS9_EEE10hipError_tPvRmT3_T4_T5_T6_T7_T9_mT8_P12ihipStream_tbDpT10_ENKUlT_T0_E_clISt17integral_constantIbLb1EES1A_EEDaS15_S16_EUlS15_E_NS1_11comp_targetILNS1_3genE0ELNS1_11target_archE4294967295ELNS1_3gpuE0ELNS1_3repE0EEENS1_30default_config_static_selectorELNS0_4arch9wavefront6targetE1EEEvT1_: ; @_ZN7rocprim17ROCPRIM_400000_NS6detail17trampoline_kernelINS0_14default_configENS1_25partition_config_selectorILNS1_17partition_subalgoE9EllbEEZZNS1_14partition_implILS5_9ELb0ES3_jPlS8_PNS0_10empty_typeENS0_5tupleIJS8_S9_EEENSB_IJS8_SA_EEENS0_18inequality_wrapperIZN2at6native12_GLOBAL__N_124unique_dim_cuda_templateIhEESt5tupleIJNSF_6TensorESK_SK_EERKSK_lbbbEUlllE0_EEPmJS9_EEE10hipError_tPvRmT3_T4_T5_T6_T7_T9_mT8_P12ihipStream_tbDpT10_ENKUlT_T0_E_clISt17integral_constantIbLb1EES1A_EEDaS15_S16_EUlS15_E_NS1_11comp_targetILNS1_3genE0ELNS1_11target_archE4294967295ELNS1_3gpuE0ELNS1_3repE0EEENS1_30default_config_static_selectorELNS0_4arch9wavefront6targetE1EEEvT1_
; %bb.0:
	.section	.rodata,"a",@progbits
	.p2align	6, 0x0
	.amdhsa_kernel _ZN7rocprim17ROCPRIM_400000_NS6detail17trampoline_kernelINS0_14default_configENS1_25partition_config_selectorILNS1_17partition_subalgoE9EllbEEZZNS1_14partition_implILS5_9ELb0ES3_jPlS8_PNS0_10empty_typeENS0_5tupleIJS8_S9_EEENSB_IJS8_SA_EEENS0_18inequality_wrapperIZN2at6native12_GLOBAL__N_124unique_dim_cuda_templateIhEESt5tupleIJNSF_6TensorESK_SK_EERKSK_lbbbEUlllE0_EEPmJS9_EEE10hipError_tPvRmT3_T4_T5_T6_T7_T9_mT8_P12ihipStream_tbDpT10_ENKUlT_T0_E_clISt17integral_constantIbLb1EES1A_EEDaS15_S16_EUlS15_E_NS1_11comp_targetILNS1_3genE0ELNS1_11target_archE4294967295ELNS1_3gpuE0ELNS1_3repE0EEENS1_30default_config_static_selectorELNS0_4arch9wavefront6targetE1EEEvT1_
		.amdhsa_group_segment_fixed_size 0
		.amdhsa_private_segment_fixed_size 0
		.amdhsa_kernarg_size 136
		.amdhsa_user_sgpr_count 2
		.amdhsa_user_sgpr_dispatch_ptr 0
		.amdhsa_user_sgpr_queue_ptr 0
		.amdhsa_user_sgpr_kernarg_segment_ptr 1
		.amdhsa_user_sgpr_dispatch_id 0
		.amdhsa_user_sgpr_kernarg_preload_length 0
		.amdhsa_user_sgpr_kernarg_preload_offset 0
		.amdhsa_user_sgpr_private_segment_size 0
		.amdhsa_uses_dynamic_stack 0
		.amdhsa_enable_private_segment 0
		.amdhsa_system_sgpr_workgroup_id_x 1
		.amdhsa_system_sgpr_workgroup_id_y 0
		.amdhsa_system_sgpr_workgroup_id_z 0
		.amdhsa_system_sgpr_workgroup_info 0
		.amdhsa_system_vgpr_workitem_id 0
		.amdhsa_next_free_vgpr 1
		.amdhsa_next_free_sgpr 0
		.amdhsa_accum_offset 4
		.amdhsa_reserve_vcc 0
		.amdhsa_float_round_mode_32 0
		.amdhsa_float_round_mode_16_64 0
		.amdhsa_float_denorm_mode_32 3
		.amdhsa_float_denorm_mode_16_64 3
		.amdhsa_dx10_clamp 1
		.amdhsa_ieee_mode 1
		.amdhsa_fp16_overflow 0
		.amdhsa_tg_split 0
		.amdhsa_exception_fp_ieee_invalid_op 0
		.amdhsa_exception_fp_denorm_src 0
		.amdhsa_exception_fp_ieee_div_zero 0
		.amdhsa_exception_fp_ieee_overflow 0
		.amdhsa_exception_fp_ieee_underflow 0
		.amdhsa_exception_fp_ieee_inexact 0
		.amdhsa_exception_int_div_zero 0
	.end_amdhsa_kernel
	.section	.text._ZN7rocprim17ROCPRIM_400000_NS6detail17trampoline_kernelINS0_14default_configENS1_25partition_config_selectorILNS1_17partition_subalgoE9EllbEEZZNS1_14partition_implILS5_9ELb0ES3_jPlS8_PNS0_10empty_typeENS0_5tupleIJS8_S9_EEENSB_IJS8_SA_EEENS0_18inequality_wrapperIZN2at6native12_GLOBAL__N_124unique_dim_cuda_templateIhEESt5tupleIJNSF_6TensorESK_SK_EERKSK_lbbbEUlllE0_EEPmJS9_EEE10hipError_tPvRmT3_T4_T5_T6_T7_T9_mT8_P12ihipStream_tbDpT10_ENKUlT_T0_E_clISt17integral_constantIbLb1EES1A_EEDaS15_S16_EUlS15_E_NS1_11comp_targetILNS1_3genE0ELNS1_11target_archE4294967295ELNS1_3gpuE0ELNS1_3repE0EEENS1_30default_config_static_selectorELNS0_4arch9wavefront6targetE1EEEvT1_,"axG",@progbits,_ZN7rocprim17ROCPRIM_400000_NS6detail17trampoline_kernelINS0_14default_configENS1_25partition_config_selectorILNS1_17partition_subalgoE9EllbEEZZNS1_14partition_implILS5_9ELb0ES3_jPlS8_PNS0_10empty_typeENS0_5tupleIJS8_S9_EEENSB_IJS8_SA_EEENS0_18inequality_wrapperIZN2at6native12_GLOBAL__N_124unique_dim_cuda_templateIhEESt5tupleIJNSF_6TensorESK_SK_EERKSK_lbbbEUlllE0_EEPmJS9_EEE10hipError_tPvRmT3_T4_T5_T6_T7_T9_mT8_P12ihipStream_tbDpT10_ENKUlT_T0_E_clISt17integral_constantIbLb1EES1A_EEDaS15_S16_EUlS15_E_NS1_11comp_targetILNS1_3genE0ELNS1_11target_archE4294967295ELNS1_3gpuE0ELNS1_3repE0EEENS1_30default_config_static_selectorELNS0_4arch9wavefront6targetE1EEEvT1_,comdat
.Lfunc_end213:
	.size	_ZN7rocprim17ROCPRIM_400000_NS6detail17trampoline_kernelINS0_14default_configENS1_25partition_config_selectorILNS1_17partition_subalgoE9EllbEEZZNS1_14partition_implILS5_9ELb0ES3_jPlS8_PNS0_10empty_typeENS0_5tupleIJS8_S9_EEENSB_IJS8_SA_EEENS0_18inequality_wrapperIZN2at6native12_GLOBAL__N_124unique_dim_cuda_templateIhEESt5tupleIJNSF_6TensorESK_SK_EERKSK_lbbbEUlllE0_EEPmJS9_EEE10hipError_tPvRmT3_T4_T5_T6_T7_T9_mT8_P12ihipStream_tbDpT10_ENKUlT_T0_E_clISt17integral_constantIbLb1EES1A_EEDaS15_S16_EUlS15_E_NS1_11comp_targetILNS1_3genE0ELNS1_11target_archE4294967295ELNS1_3gpuE0ELNS1_3repE0EEENS1_30default_config_static_selectorELNS0_4arch9wavefront6targetE1EEEvT1_, .Lfunc_end213-_ZN7rocprim17ROCPRIM_400000_NS6detail17trampoline_kernelINS0_14default_configENS1_25partition_config_selectorILNS1_17partition_subalgoE9EllbEEZZNS1_14partition_implILS5_9ELb0ES3_jPlS8_PNS0_10empty_typeENS0_5tupleIJS8_S9_EEENSB_IJS8_SA_EEENS0_18inequality_wrapperIZN2at6native12_GLOBAL__N_124unique_dim_cuda_templateIhEESt5tupleIJNSF_6TensorESK_SK_EERKSK_lbbbEUlllE0_EEPmJS9_EEE10hipError_tPvRmT3_T4_T5_T6_T7_T9_mT8_P12ihipStream_tbDpT10_ENKUlT_T0_E_clISt17integral_constantIbLb1EES1A_EEDaS15_S16_EUlS15_E_NS1_11comp_targetILNS1_3genE0ELNS1_11target_archE4294967295ELNS1_3gpuE0ELNS1_3repE0EEENS1_30default_config_static_selectorELNS0_4arch9wavefront6targetE1EEEvT1_
                                        ; -- End function
	.section	.AMDGPU.csdata,"",@progbits
; Kernel info:
; codeLenInByte = 0
; NumSgprs: 6
; NumVgprs: 0
; NumAgprs: 0
; TotalNumVgprs: 0
; ScratchSize: 0
; MemoryBound: 0
; FloatMode: 240
; IeeeMode: 1
; LDSByteSize: 0 bytes/workgroup (compile time only)
; SGPRBlocks: 0
; VGPRBlocks: 0
; NumSGPRsForWavesPerEU: 6
; NumVGPRsForWavesPerEU: 1
; AccumOffset: 4
; Occupancy: 8
; WaveLimiterHint : 0
; COMPUTE_PGM_RSRC2:SCRATCH_EN: 0
; COMPUTE_PGM_RSRC2:USER_SGPR: 2
; COMPUTE_PGM_RSRC2:TRAP_HANDLER: 0
; COMPUTE_PGM_RSRC2:TGID_X_EN: 1
; COMPUTE_PGM_RSRC2:TGID_Y_EN: 0
; COMPUTE_PGM_RSRC2:TGID_Z_EN: 0
; COMPUTE_PGM_RSRC2:TIDIG_COMP_CNT: 0
; COMPUTE_PGM_RSRC3_GFX90A:ACCUM_OFFSET: 0
; COMPUTE_PGM_RSRC3_GFX90A:TG_SPLIT: 0
	.section	.text._ZN7rocprim17ROCPRIM_400000_NS6detail17trampoline_kernelINS0_14default_configENS1_25partition_config_selectorILNS1_17partition_subalgoE9EllbEEZZNS1_14partition_implILS5_9ELb0ES3_jPlS8_PNS0_10empty_typeENS0_5tupleIJS8_S9_EEENSB_IJS8_SA_EEENS0_18inequality_wrapperIZN2at6native12_GLOBAL__N_124unique_dim_cuda_templateIhEESt5tupleIJNSF_6TensorESK_SK_EERKSK_lbbbEUlllE0_EEPmJS9_EEE10hipError_tPvRmT3_T4_T5_T6_T7_T9_mT8_P12ihipStream_tbDpT10_ENKUlT_T0_E_clISt17integral_constantIbLb1EES1A_EEDaS15_S16_EUlS15_E_NS1_11comp_targetILNS1_3genE5ELNS1_11target_archE942ELNS1_3gpuE9ELNS1_3repE0EEENS1_30default_config_static_selectorELNS0_4arch9wavefront6targetE1EEEvT1_,"axG",@progbits,_ZN7rocprim17ROCPRIM_400000_NS6detail17trampoline_kernelINS0_14default_configENS1_25partition_config_selectorILNS1_17partition_subalgoE9EllbEEZZNS1_14partition_implILS5_9ELb0ES3_jPlS8_PNS0_10empty_typeENS0_5tupleIJS8_S9_EEENSB_IJS8_SA_EEENS0_18inequality_wrapperIZN2at6native12_GLOBAL__N_124unique_dim_cuda_templateIhEESt5tupleIJNSF_6TensorESK_SK_EERKSK_lbbbEUlllE0_EEPmJS9_EEE10hipError_tPvRmT3_T4_T5_T6_T7_T9_mT8_P12ihipStream_tbDpT10_ENKUlT_T0_E_clISt17integral_constantIbLb1EES1A_EEDaS15_S16_EUlS15_E_NS1_11comp_targetILNS1_3genE5ELNS1_11target_archE942ELNS1_3gpuE9ELNS1_3repE0EEENS1_30default_config_static_selectorELNS0_4arch9wavefront6targetE1EEEvT1_,comdat
	.globl	_ZN7rocprim17ROCPRIM_400000_NS6detail17trampoline_kernelINS0_14default_configENS1_25partition_config_selectorILNS1_17partition_subalgoE9EllbEEZZNS1_14partition_implILS5_9ELb0ES3_jPlS8_PNS0_10empty_typeENS0_5tupleIJS8_S9_EEENSB_IJS8_SA_EEENS0_18inequality_wrapperIZN2at6native12_GLOBAL__N_124unique_dim_cuda_templateIhEESt5tupleIJNSF_6TensorESK_SK_EERKSK_lbbbEUlllE0_EEPmJS9_EEE10hipError_tPvRmT3_T4_T5_T6_T7_T9_mT8_P12ihipStream_tbDpT10_ENKUlT_T0_E_clISt17integral_constantIbLb1EES1A_EEDaS15_S16_EUlS15_E_NS1_11comp_targetILNS1_3genE5ELNS1_11target_archE942ELNS1_3gpuE9ELNS1_3repE0EEENS1_30default_config_static_selectorELNS0_4arch9wavefront6targetE1EEEvT1_ ; -- Begin function _ZN7rocprim17ROCPRIM_400000_NS6detail17trampoline_kernelINS0_14default_configENS1_25partition_config_selectorILNS1_17partition_subalgoE9EllbEEZZNS1_14partition_implILS5_9ELb0ES3_jPlS8_PNS0_10empty_typeENS0_5tupleIJS8_S9_EEENSB_IJS8_SA_EEENS0_18inequality_wrapperIZN2at6native12_GLOBAL__N_124unique_dim_cuda_templateIhEESt5tupleIJNSF_6TensorESK_SK_EERKSK_lbbbEUlllE0_EEPmJS9_EEE10hipError_tPvRmT3_T4_T5_T6_T7_T9_mT8_P12ihipStream_tbDpT10_ENKUlT_T0_E_clISt17integral_constantIbLb1EES1A_EEDaS15_S16_EUlS15_E_NS1_11comp_targetILNS1_3genE5ELNS1_11target_archE942ELNS1_3gpuE9ELNS1_3repE0EEENS1_30default_config_static_selectorELNS0_4arch9wavefront6targetE1EEEvT1_
	.p2align	8
	.type	_ZN7rocprim17ROCPRIM_400000_NS6detail17trampoline_kernelINS0_14default_configENS1_25partition_config_selectorILNS1_17partition_subalgoE9EllbEEZZNS1_14partition_implILS5_9ELb0ES3_jPlS8_PNS0_10empty_typeENS0_5tupleIJS8_S9_EEENSB_IJS8_SA_EEENS0_18inequality_wrapperIZN2at6native12_GLOBAL__N_124unique_dim_cuda_templateIhEESt5tupleIJNSF_6TensorESK_SK_EERKSK_lbbbEUlllE0_EEPmJS9_EEE10hipError_tPvRmT3_T4_T5_T6_T7_T9_mT8_P12ihipStream_tbDpT10_ENKUlT_T0_E_clISt17integral_constantIbLb1EES1A_EEDaS15_S16_EUlS15_E_NS1_11comp_targetILNS1_3genE5ELNS1_11target_archE942ELNS1_3gpuE9ELNS1_3repE0EEENS1_30default_config_static_selectorELNS0_4arch9wavefront6targetE1EEEvT1_,@function
_ZN7rocprim17ROCPRIM_400000_NS6detail17trampoline_kernelINS0_14default_configENS1_25partition_config_selectorILNS1_17partition_subalgoE9EllbEEZZNS1_14partition_implILS5_9ELb0ES3_jPlS8_PNS0_10empty_typeENS0_5tupleIJS8_S9_EEENSB_IJS8_SA_EEENS0_18inequality_wrapperIZN2at6native12_GLOBAL__N_124unique_dim_cuda_templateIhEESt5tupleIJNSF_6TensorESK_SK_EERKSK_lbbbEUlllE0_EEPmJS9_EEE10hipError_tPvRmT3_T4_T5_T6_T7_T9_mT8_P12ihipStream_tbDpT10_ENKUlT_T0_E_clISt17integral_constantIbLb1EES1A_EEDaS15_S16_EUlS15_E_NS1_11comp_targetILNS1_3genE5ELNS1_11target_archE942ELNS1_3gpuE9ELNS1_3repE0EEENS1_30default_config_static_selectorELNS0_4arch9wavefront6targetE1EEEvT1_: ; @_ZN7rocprim17ROCPRIM_400000_NS6detail17trampoline_kernelINS0_14default_configENS1_25partition_config_selectorILNS1_17partition_subalgoE9EllbEEZZNS1_14partition_implILS5_9ELb0ES3_jPlS8_PNS0_10empty_typeENS0_5tupleIJS8_S9_EEENSB_IJS8_SA_EEENS0_18inequality_wrapperIZN2at6native12_GLOBAL__N_124unique_dim_cuda_templateIhEESt5tupleIJNSF_6TensorESK_SK_EERKSK_lbbbEUlllE0_EEPmJS9_EEE10hipError_tPvRmT3_T4_T5_T6_T7_T9_mT8_P12ihipStream_tbDpT10_ENKUlT_T0_E_clISt17integral_constantIbLb1EES1A_EEDaS15_S16_EUlS15_E_NS1_11comp_targetILNS1_3genE5ELNS1_11target_archE942ELNS1_3gpuE9ELNS1_3repE0EEENS1_30default_config_static_selectorELNS0_4arch9wavefront6targetE1EEEvT1_
; %bb.0:
	s_load_dwordx4 s[4:7], s[0:1], 0x8
	s_load_dwordx2 s[10:11], s[0:1], 0x18
	s_load_dwordx8 s[20:27], s[0:1], 0x40
	s_load_dwordx4 s[36:39], s[0:1], 0x60
	v_cmp_ne_u32_e64 s[2:3], 0, v0
	v_cmp_eq_u32_e64 s[18:19], 0, v0
	s_and_saveexec_b64 s[8:9], s[18:19]
	s_cbranch_execz .LBB214_4
; %bb.1:
	s_mov_b64 s[14:15], exec
	v_mbcnt_lo_u32_b32 v1, s14, 0
	v_mbcnt_hi_u32_b32 v1, s15, v1
	v_cmp_eq_u32_e32 vcc, 0, v1
                                        ; implicit-def: $vgpr2
	s_and_saveexec_b64 s[12:13], vcc
	s_cbranch_execz .LBB214_3
; %bb.2:
	s_load_dwordx2 s[16:17], s[0:1], 0x78
	s_bcnt1_i32_b64 s14, s[14:15]
	v_mov_b32_e32 v2, 0
	v_mov_b32_e32 v3, s14
	s_waitcnt lgkmcnt(0)
	global_atomic_add v2, v2, v3, s[16:17] sc0
.LBB214_3:
	s_or_b64 exec, exec, s[12:13]
	s_waitcnt vmcnt(0)
	v_readfirstlane_b32 s12, v2
	v_mov_b32_e32 v2, 0
	s_nop 0
	v_add_u32_e32 v1, s12, v1
	ds_write_b32 v2, v1
.LBB214_4:
	s_or_b64 exec, exec, s[8:9]
	v_mov_b32_e32 v3, 0
	s_load_dwordx4 s[28:31], s[0:1], 0x28
	s_load_dword s8, s[0:1], 0x70
	s_waitcnt lgkmcnt(0)
	s_barrier
	ds_read_b32 v1, v3
	s_waitcnt lgkmcnt(0)
	s_barrier
	global_load_dwordx2 v[4:5], v3, s[22:23]
	s_lshl_b64 s[12:13], s[6:7], 3
	s_mul_i32 s14, s8, 0xe00
	s_add_u32 s16, s4, s12
	s_addc_u32 s17, s5, s13
	s_add_i32 s4, s14, s6
	s_sub_i32 s54, s24, s4
	s_add_i32 s15, s8, -1
	s_addk_i32 s54, 0xe00
	s_add_u32 s4, s6, s14
	v_readfirstlane_b32 s33, v1
	s_addc_u32 s5, s7, 0
	v_mov_b32_e32 v6, s24
	v_mov_b32_e32 v7, s25
	s_cmp_eq_u32 s33, s15
	s_mov_b32 s9, 0
	s_mul_i32 s8, s33, 0xe00
	v_cmp_ge_u64_e32 vcc, s[4:5], v[6:7]
	s_cselect_b64 s[24:25], -1, 0
	s_lshl_b64 s[14:15], s[8:9], 3
	s_and_b64 s[8:9], vcc, s[24:25]
	s_xor_b64 s[34:35], s[8:9], -1
	s_add_u32 s4, s16, s14
	s_mov_b64 s[0:1], -1
	s_addc_u32 s5, s17, s15
	s_and_b64 vcc, exec, s[34:35]
	s_waitcnt vmcnt(0)
	v_readfirstlane_b32 s22, v4
	v_readfirstlane_b32 s23, v5
	s_cbranch_vccz .LBB214_6
; %bb.5:
	v_lshlrev_b32_e32 v2, 3, v0
	v_lshl_add_u64 v[4:5], s[4:5], 0, v[2:3]
	v_add_co_u32_e32 v8, vcc, 0x1000, v4
	global_load_dwordx2 v[6:7], v2, s[4:5]
	s_nop 0
	v_addc_co_u32_e32 v9, vcc, 0, v5, vcc
	v_add_co_u32_e32 v10, vcc, 0x2000, v4
	s_mov_b64 s[0:1], 0
	s_nop 0
	v_addc_co_u32_e32 v11, vcc, 0, v5, vcc
	v_add_co_u32_e32 v12, vcc, 0x3000, v4
	s_nop 1
	v_addc_co_u32_e32 v13, vcc, 0, v5, vcc
	v_add_co_u32_e32 v14, vcc, 0x4000, v4
	s_nop 1
	v_addc_co_u32_e32 v15, vcc, 0, v5, vcc
	global_load_dwordx2 v[16:17], v[8:9], off
	global_load_dwordx2 v[18:19], v[10:11], off
	;; [unrolled: 1-line block ×4, first 2 shown]
	v_add_co_u32_e32 v8, vcc, 0x5000, v4
	s_nop 1
	v_addc_co_u32_e32 v9, vcc, 0, v5, vcc
	v_add_co_u32_e32 v4, vcc, 0x6000, v4
	global_load_dwordx2 v[8:9], v[8:9], off
	s_nop 0
	v_addc_co_u32_e32 v5, vcc, 0, v5, vcc
	global_load_dwordx2 v[4:5], v[4:5], off
	s_waitcnt vmcnt(5)
	ds_write2st64_b64 v2, v[6:7], v[16:17] offset1:8
	s_waitcnt vmcnt(3)
	ds_write2st64_b64 v2, v[18:19], v[20:21] offset0:16 offset1:24
	s_waitcnt vmcnt(1)
	ds_write2st64_b64 v2, v[22:23], v[8:9] offset0:32 offset1:40
	s_waitcnt vmcnt(0)
	ds_write_b64 v2, v[4:5] offset:24576
	s_waitcnt lgkmcnt(0)
	s_barrier
.LBB214_6:
	s_andn2_b64 vcc, exec, s[0:1]
	v_cmp_gt_u32_e64 s[0:1], s54, v0
	s_cbranch_vccnz .LBB214_22
; %bb.7:
                                        ; implicit-def: $vgpr2_vgpr3_vgpr4_vgpr5_vgpr6_vgpr7_vgpr8_vgpr9_vgpr10_vgpr11_vgpr12_vgpr13_vgpr14_vgpr15_vgpr16_vgpr17
	s_and_saveexec_b64 s[16:17], s[0:1]
	s_cbranch_execz .LBB214_9
; %bb.8:
	v_lshlrev_b32_e32 v1, 3, v0
	global_load_dwordx2 v[2:3], v1, s[4:5]
.LBB214_9:
	s_or_b64 exec, exec, s[16:17]
	v_or_b32_e32 v1, 0x200, v0
	v_cmp_gt_u32_e32 vcc, s54, v1
	s_and_saveexec_b64 s[0:1], vcc
	s_cbranch_execz .LBB214_11
; %bb.10:
	v_lshlrev_b32_e32 v1, 3, v1
	global_load_dwordx2 v[4:5], v1, s[4:5]
.LBB214_11:
	s_or_b64 exec, exec, s[0:1]
	v_or_b32_e32 v1, 0x400, v0
	v_cmp_gt_u32_e32 vcc, s54, v1
	s_and_saveexec_b64 s[0:1], vcc
	;; [unrolled: 9-line block ×6, first 2 shown]
	s_cbranch_execz .LBB214_21
; %bb.20:
	v_lshlrev_b32_e32 v1, 3, v1
	global_load_dwordx2 v[14:15], v1, s[4:5]
.LBB214_21:
	s_or_b64 exec, exec, s[0:1]
	v_lshlrev_b32_e32 v1, 3, v0
	s_waitcnt vmcnt(0)
	ds_write2st64_b64 v1, v[2:3], v[4:5] offset1:8
	ds_write2st64_b64 v1, v[6:7], v[8:9] offset0:16 offset1:24
	ds_write2st64_b64 v1, v[10:11], v[12:13] offset0:32 offset1:40
	ds_write_b64 v1, v[14:15] offset:24576
	s_waitcnt lgkmcnt(0)
	s_barrier
.LBB214_22:
	v_mul_u32_u24_e32 v1, 7, v0
	v_lshlrev_b32_e32 v44, 3, v1
	ds_read2_b64 v[22:25], v44 offset1:1
	ds_read2_b64 v[18:21], v44 offset0:2 offset1:3
	ds_read2_b64 v[14:17], v44 offset0:4 offset1:5
	ds_read_b64 v[28:29], v44 offset:48
	s_add_u32 s0, s10, s12
	s_addc_u32 s1, s11, s13
	s_add_u32 s0, s0, s14
	s_addc_u32 s1, s1, s15
	s_mov_b64 s[10:11], -1
	s_and_b64 vcc, exec, s[34:35]
	s_waitcnt lgkmcnt(0)
	s_barrier
	s_cbranch_vccz .LBB214_24
; %bb.23:
	v_lshlrev_b32_e32 v2, 3, v0
	v_mov_b32_e32 v3, 0
	v_lshl_add_u64 v[4:5], s[0:1], 0, v[2:3]
	v_add_co_u32_e32 v8, vcc, 0x1000, v4
	global_load_dwordx2 v[6:7], v2, s[0:1]
	s_nop 0
	v_addc_co_u32_e32 v9, vcc, 0, v5, vcc
	v_add_co_u32_e32 v10, vcc, 0x2000, v4
	s_mov_b64 s[10:11], 0
	s_nop 0
	v_addc_co_u32_e32 v11, vcc, 0, v5, vcc
	v_add_co_u32_e32 v12, vcc, 0x3000, v4
	s_nop 1
	v_addc_co_u32_e32 v13, vcc, 0, v5, vcc
	v_add_co_u32_e32 v26, vcc, 0x4000, v4
	s_nop 1
	v_addc_co_u32_e32 v27, vcc, 0, v5, vcc
	global_load_dwordx2 v[30:31], v[8:9], off
	global_load_dwordx2 v[32:33], v[10:11], off
	;; [unrolled: 1-line block ×4, first 2 shown]
	v_add_co_u32_e32 v8, vcc, 0x5000, v4
	s_nop 1
	v_addc_co_u32_e32 v9, vcc, 0, v5, vcc
	v_add_co_u32_e32 v4, vcc, 0x6000, v4
	global_load_dwordx2 v[8:9], v[8:9], off
	s_nop 0
	v_addc_co_u32_e32 v5, vcc, 0, v5, vcc
	global_load_dwordx2 v[4:5], v[4:5], off
	s_waitcnt vmcnt(5)
	ds_write2st64_b64 v2, v[6:7], v[30:31] offset1:8
	s_waitcnt vmcnt(3)
	ds_write2st64_b64 v2, v[32:33], v[34:35] offset0:16 offset1:24
	s_waitcnt vmcnt(1)
	ds_write2st64_b64 v2, v[36:37], v[8:9] offset0:32 offset1:40
	s_waitcnt vmcnt(0)
	ds_write_b64 v2, v[4:5] offset:24576
	s_waitcnt lgkmcnt(0)
	s_barrier
.LBB214_24:
	s_andn2_b64 vcc, exec, s[10:11]
	s_cbranch_vccnz .LBB214_40
; %bb.25:
	v_cmp_gt_u32_e32 vcc, s54, v0
                                        ; implicit-def: $vgpr2_vgpr3
	s_and_saveexec_b64 s[10:11], vcc
	s_cbranch_execz .LBB214_27
; %bb.26:
	v_lshlrev_b32_e32 v2, 3, v0
	global_load_dwordx2 v[2:3], v2, s[0:1]
.LBB214_27:
	s_or_b64 exec, exec, s[10:11]
	v_or_b32_e32 v6, 0x200, v0
	v_cmp_gt_u32_e32 vcc, s54, v6
                                        ; implicit-def: $vgpr4_vgpr5
	s_and_saveexec_b64 s[10:11], vcc
	s_cbranch_execz .LBB214_29
; %bb.28:
	v_lshlrev_b32_e32 v4, 3, v6
	global_load_dwordx2 v[4:5], v4, s[0:1]
.LBB214_29:
	s_or_b64 exec, exec, s[10:11]
	v_or_b32_e32 v8, 0x400, v0
	v_cmp_gt_u32_e32 vcc, s54, v8
                                        ; implicit-def: $vgpr6_vgpr7
	s_and_saveexec_b64 s[10:11], vcc
	s_cbranch_execz .LBB214_31
; %bb.30:
	v_lshlrev_b32_e32 v6, 3, v8
	global_load_dwordx2 v[6:7], v6, s[0:1]
.LBB214_31:
	s_or_b64 exec, exec, s[10:11]
	v_or_b32_e32 v10, 0x600, v0
	v_cmp_gt_u32_e32 vcc, s54, v10
                                        ; implicit-def: $vgpr8_vgpr9
	s_and_saveexec_b64 s[10:11], vcc
	s_cbranch_execz .LBB214_33
; %bb.32:
	v_lshlrev_b32_e32 v8, 3, v10
	global_load_dwordx2 v[8:9], v8, s[0:1]
.LBB214_33:
	s_or_b64 exec, exec, s[10:11]
	v_or_b32_e32 v12, 0x800, v0
	v_cmp_gt_u32_e32 vcc, s54, v12
                                        ; implicit-def: $vgpr10_vgpr11
	s_and_saveexec_b64 s[10:11], vcc
	s_cbranch_execz .LBB214_35
; %bb.34:
	v_lshlrev_b32_e32 v10, 3, v12
	global_load_dwordx2 v[10:11], v10, s[0:1]
.LBB214_35:
	s_or_b64 exec, exec, s[10:11]
	v_or_b32_e32 v26, 0xa00, v0
	v_cmp_gt_u32_e32 vcc, s54, v26
                                        ; implicit-def: $vgpr12_vgpr13
	s_and_saveexec_b64 s[10:11], vcc
	s_cbranch_execz .LBB214_37
; %bb.36:
	v_lshlrev_b32_e32 v12, 3, v26
	global_load_dwordx2 v[12:13], v12, s[0:1]
.LBB214_37:
	s_or_b64 exec, exec, s[10:11]
	v_or_b32_e32 v30, 0xc00, v0
	v_cmp_gt_u32_e32 vcc, s54, v30
                                        ; implicit-def: $vgpr26_vgpr27
	s_and_saveexec_b64 s[10:11], vcc
	s_cbranch_execz .LBB214_39
; %bb.38:
	v_lshlrev_b32_e32 v26, 3, v30
	global_load_dwordx2 v[26:27], v26, s[0:1]
.LBB214_39:
	s_or_b64 exec, exec, s[10:11]
	s_movk_i32 s0, 0xffd0
	v_mad_i32_i24 v30, v0, s0, v44
	s_waitcnt vmcnt(0)
	ds_write2st64_b64 v30, v[2:3], v[4:5] offset1:8
	ds_write2st64_b64 v30, v[6:7], v[8:9] offset0:16 offset1:24
	ds_write2st64_b64 v30, v[10:11], v[12:13] offset0:32 offset1:40
	ds_write_b64 v30, v[26:27] offset:24576
	s_waitcnt lgkmcnt(0)
	s_barrier
.LBB214_40:
	ds_read2_b64 v[10:13], v44 offset1:1
	ds_read2_b64 v[6:9], v44 offset0:2 offset1:3
	ds_read2_b64 v[2:5], v44 offset0:4 offset1:5
	ds_read_b64 v[26:27], v44 offset:48
	s_cmp_lg_u32 s33, 0
	s_cselect_b64 s[0:1], -1, 0
	s_cmp_lg_u64 s[6:7], 0
	s_cselect_b64 s[6:7], -1, 0
	s_or_b64 s[6:7], s[6:7], s[0:1]
	v_add_u32_e32 v41, 1, v1
	v_add_u32_e32 v38, 2, v1
	;; [unrolled: 1-line block ×6, first 2 shown]
	s_mov_b64 s[10:11], 0
	s_and_b64 vcc, exec, s[6:7]
	v_cmp_gt_i64_e64 s[12:13], s[26:27], 0
	s_waitcnt lgkmcnt(0)
	s_barrier
	s_cbranch_vccz .LBB214_49
; %bb.41:
	v_mov_b32_e32 v30, 0
	global_load_dwordx2 v[30:31], v30, s[4:5] offset:-8
	v_cndmask_b32_e64 v32, 0, 1, s[12:13]
	v_lshlrev_b32_e32 v45, 3, v0
	s_mov_b64 s[6:7], 0
	s_and_b64 vcc, exec, s[34:35]
	v_cmp_ne_u32_e64 s[4:5], 1, v32
	ds_write_b64 v45, v[28:29]
	s_cbranch_vccz .LBB214_51
; %bb.42:
	v_mul_lo_u32 v34, v17, s26
	v_mul_lo_u32 v35, v16, s27
	v_mad_u64_u32 v[32:33], s[10:11], v16, s26, 0
	v_add3_u32 v33, v33, v35, v34
	s_and_b64 vcc, exec, s[4:5]
	v_lshl_add_u64 v[32:33], s[36:37], 0, v[32:33]
	s_cbranch_vccnz .LBB214_54
; %bb.43:
	v_mov_b64_e32 v[34:35], s[36:37]
	v_mad_u64_u32 v[34:35], s[6:7], v28, s26, v[34:35]
	v_mul_lo_u32 v36, v28, s27
	v_mul_lo_u32 v37, v29, s26
	v_add3_u32 v35, v37, v35, v36
	global_load_ubyte v36, v[32:33], off
	global_load_ubyte v37, v[34:35], off
	s_mov_b64 s[6:7], -1
	s_waitcnt vmcnt(0)
	v_cmp_eq_u16_e32 vcc, v36, v37
	s_and_saveexec_b64 s[10:11], vcc
	s_cbranch_execz .LBB214_53
; %bb.44:
	s_mov_b64 s[14:15], 1
	s_mov_b64 s[6:7], 0
                                        ; implicit-def: $sgpr12_sgpr13
	s_branch .LBB214_47
.LBB214_45:                             ;   in Loop: Header=BB214_47 Depth=1
	v_lshl_add_u64 v[36:37], v[32:33], 0, s[14:15]
	v_lshl_add_u64 v[46:47], v[34:35], 0, s[14:15]
	global_load_ubyte v48, v[36:37], off
	global_load_ubyte v49, v[46:47], off
	s_add_u32 s16, s14, 1
	s_addc_u32 s17, s15, 0
	s_andn2_b64 s[12:13], s[12:13], exec
	s_waitcnt vmcnt(0)
	v_cmp_ne_u16_e32 vcc, v48, v49
	s_and_b64 s[40:41], vcc, exec
	s_or_b64 s[12:13], s[12:13], s[40:41]
.LBB214_46:                             ;   in Loop: Header=BB214_47 Depth=1
	s_and_b64 s[40:41], exec, s[12:13]
	s_or_b64 s[6:7], s[40:41], s[6:7]
	v_mov_b64_e32 v[36:37], s[14:15]
	s_mov_b64 s[14:15], s[16:17]
	s_andn2_b64 exec, exec, s[6:7]
	s_cbranch_execz .LBB214_52
.LBB214_47:                             ; =>This Inner Loop Header: Depth=1
	s_or_b64 s[12:13], s[12:13], exec
	s_cmp_eq_u64 s[26:27], s[14:15]
	s_cbranch_scc0 .LBB214_45
; %bb.48:                               ;   in Loop: Header=BB214_47 Depth=1
                                        ; implicit-def: $sgpr16_sgpr17
	s_mov_b64 s[14:15], s[26:27]
	s_branch .LBB214_46
.LBB214_49:
                                        ; implicit-def: $sgpr14_sgpr15
                                        ; implicit-def: $vgpr48
                                        ; implicit-def: $vgpr47
                                        ; implicit-def: $vgpr46
                                        ; implicit-def: $vgpr34
	s_branch .LBB214_192
.LBB214_50:
                                        ; implicit-def: $vgpr30_vgpr31
	s_branch .LBB214_340
.LBB214_51:
                                        ; implicit-def: $sgpr14_sgpr15
                                        ; implicit-def: $vgpr48
                                        ; implicit-def: $vgpr47
                                        ; implicit-def: $vgpr46
                                        ; implicit-def: $vgpr34
	s_cbranch_execnz .LBB214_111
	s_branch .LBB214_191
.LBB214_52:
	s_or_b64 exec, exec, s[6:7]
	v_cmp_gt_i64_e32 vcc, s[26:27], v[36:37]
	s_orn2_b64 s[6:7], vcc, exec
.LBB214_53:
	s_or_b64 exec, exec, s[10:11]
.LBB214_54:
	v_mul_lo_u32 v36, v15, s26
	v_mul_lo_u32 v37, v14, s27
	v_mad_u64_u32 v[34:35], s[10:11], v14, s26, 0
	v_add3_u32 v35, v35, v37, v36
	s_mov_b64 s[10:11], 0
	s_and_b64 vcc, exec, s[4:5]
	v_lshl_add_u64 v[34:35], s[36:37], 0, v[34:35]
	s_mov_b64 s[12:13], 0
	s_cbranch_vccnz .LBB214_63
; %bb.55:
	global_load_ubyte v36, v[34:35], off
	global_load_ubyte v37, v[32:33], off
	s_mov_b64 s[12:13], -1
	s_waitcnt vmcnt(0)
	v_cmp_eq_u16_e32 vcc, v36, v37
	s_and_saveexec_b64 s[14:15], vcc
	s_cbranch_execz .LBB214_62
; %bb.56:
	s_mov_b64 s[40:41], 1
	s_mov_b64 s[12:13], 0
                                        ; implicit-def: $sgpr16_sgpr17
	s_branch .LBB214_59
.LBB214_57:                             ;   in Loop: Header=BB214_59 Depth=1
	v_lshl_add_u64 v[36:37], v[34:35], 0, s[40:41]
	v_lshl_add_u64 v[46:47], v[32:33], 0, s[40:41]
	global_load_ubyte v48, v[36:37], off
	global_load_ubyte v49, v[46:47], off
	s_add_u32 s42, s40, 1
	s_addc_u32 s43, s41, 0
	s_andn2_b64 s[16:17], s[16:17], exec
	s_waitcnt vmcnt(0)
	v_cmp_ne_u16_e32 vcc, v48, v49
	s_and_b64 s[44:45], vcc, exec
	s_or_b64 s[16:17], s[16:17], s[44:45]
.LBB214_58:                             ;   in Loop: Header=BB214_59 Depth=1
	s_and_b64 s[44:45], exec, s[16:17]
	s_or_b64 s[12:13], s[44:45], s[12:13]
	v_mov_b64_e32 v[36:37], s[40:41]
	s_mov_b64 s[40:41], s[42:43]
	s_andn2_b64 exec, exec, s[12:13]
	s_cbranch_execz .LBB214_61
.LBB214_59:                             ; =>This Inner Loop Header: Depth=1
	s_or_b64 s[16:17], s[16:17], exec
	s_cmp_eq_u64 s[26:27], s[40:41]
	s_cbranch_scc0 .LBB214_57
; %bb.60:                               ;   in Loop: Header=BB214_59 Depth=1
                                        ; implicit-def: $sgpr42_sgpr43
	s_mov_b64 s[40:41], s[26:27]
	s_branch .LBB214_58
.LBB214_61:
	s_or_b64 exec, exec, s[12:13]
	v_cmp_gt_i64_e32 vcc, s[26:27], v[36:37]
	s_orn2_b64 s[12:13], vcc, exec
.LBB214_62:
	s_or_b64 exec, exec, s[14:15]
.LBB214_63:
	v_mul_lo_u32 v36, v21, s26
	v_mul_lo_u32 v37, v20, s27
	v_mad_u64_u32 v[32:33], s[14:15], v20, s26, 0
	v_add3_u32 v33, v33, v37, v36
	s_and_b64 vcc, exec, s[4:5]
	v_lshl_add_u64 v[32:33], s[36:37], 0, v[32:33]
	s_cbranch_vccnz .LBB214_72
; %bb.64:
	global_load_ubyte v36, v[32:33], off
	global_load_ubyte v37, v[34:35], off
	s_mov_b64 s[10:11], -1
	s_waitcnt vmcnt(0)
	v_cmp_eq_u16_e32 vcc, v36, v37
	s_and_saveexec_b64 s[14:15], vcc
	s_cbranch_execz .LBB214_71
; %bb.65:
	s_mov_b64 s[40:41], 1
	s_mov_b64 s[10:11], 0
                                        ; implicit-def: $sgpr16_sgpr17
	s_branch .LBB214_68
.LBB214_66:                             ;   in Loop: Header=BB214_68 Depth=1
	v_lshl_add_u64 v[36:37], v[32:33], 0, s[40:41]
	v_lshl_add_u64 v[46:47], v[34:35], 0, s[40:41]
	global_load_ubyte v48, v[36:37], off
	global_load_ubyte v49, v[46:47], off
	s_add_u32 s42, s40, 1
	s_addc_u32 s43, s41, 0
	s_andn2_b64 s[16:17], s[16:17], exec
	s_waitcnt vmcnt(0)
	v_cmp_ne_u16_e32 vcc, v48, v49
	s_and_b64 s[44:45], vcc, exec
	s_or_b64 s[16:17], s[16:17], s[44:45]
.LBB214_67:                             ;   in Loop: Header=BB214_68 Depth=1
	s_and_b64 s[44:45], exec, s[16:17]
	s_or_b64 s[10:11], s[44:45], s[10:11]
	v_mov_b64_e32 v[36:37], s[40:41]
	s_mov_b64 s[40:41], s[42:43]
	s_andn2_b64 exec, exec, s[10:11]
	s_cbranch_execz .LBB214_70
.LBB214_68:                             ; =>This Inner Loop Header: Depth=1
	s_or_b64 s[16:17], s[16:17], exec
	s_cmp_eq_u64 s[26:27], s[40:41]
	s_cbranch_scc0 .LBB214_66
; %bb.69:                               ;   in Loop: Header=BB214_68 Depth=1
                                        ; implicit-def: $sgpr42_sgpr43
	s_mov_b64 s[40:41], s[26:27]
	s_branch .LBB214_67
.LBB214_70:
	s_or_b64 exec, exec, s[10:11]
	v_cmp_gt_i64_e32 vcc, s[26:27], v[36:37]
	s_orn2_b64 s[10:11], vcc, exec
.LBB214_71:
	s_or_b64 exec, exec, s[14:15]
.LBB214_72:
	v_mul_lo_u32 v36, v19, s26
	v_mul_lo_u32 v37, v18, s27
	v_mad_u64_u32 v[34:35], s[14:15], v18, s26, 0
	v_add3_u32 v35, v35, v37, v36
	s_mov_b64 s[14:15], 0
	s_and_b64 vcc, exec, s[4:5]
	v_lshl_add_u64 v[36:37], s[36:37], 0, v[34:35]
	s_mov_b64 s[16:17], 0
	s_cbranch_vccnz .LBB214_81
; %bb.73:
	global_load_ubyte v34, v[36:37], off
	global_load_ubyte v35, v[32:33], off
	s_mov_b64 s[16:17], -1
	s_waitcnt vmcnt(0)
	v_cmp_eq_u16_e32 vcc, v34, v35
	s_and_saveexec_b64 s[40:41], vcc
	s_cbranch_execz .LBB214_80
; %bb.74:
	s_mov_b64 s[44:45], 1
	s_mov_b64 s[16:17], 0
                                        ; implicit-def: $sgpr42_sgpr43
	s_branch .LBB214_77
.LBB214_75:                             ;   in Loop: Header=BB214_77 Depth=1
	v_lshl_add_u64 v[34:35], v[36:37], 0, s[44:45]
	v_lshl_add_u64 v[46:47], v[32:33], 0, s[44:45]
	global_load_ubyte v48, v[34:35], off
	global_load_ubyte v49, v[46:47], off
	s_add_u32 s46, s44, 1
	s_addc_u32 s47, s45, 0
	s_andn2_b64 s[42:43], s[42:43], exec
	s_waitcnt vmcnt(0)
	v_cmp_ne_u16_e32 vcc, v48, v49
	s_and_b64 s[48:49], vcc, exec
	s_or_b64 s[42:43], s[42:43], s[48:49]
.LBB214_76:                             ;   in Loop: Header=BB214_77 Depth=1
	s_and_b64 s[48:49], exec, s[42:43]
	s_or_b64 s[16:17], s[48:49], s[16:17]
	v_mov_b64_e32 v[34:35], s[44:45]
	s_mov_b64 s[44:45], s[46:47]
	s_andn2_b64 exec, exec, s[16:17]
	s_cbranch_execz .LBB214_79
.LBB214_77:                             ; =>This Inner Loop Header: Depth=1
	s_or_b64 s[42:43], s[42:43], exec
	s_cmp_eq_u64 s[26:27], s[44:45]
	s_cbranch_scc0 .LBB214_75
; %bb.78:                               ;   in Loop: Header=BB214_77 Depth=1
                                        ; implicit-def: $sgpr46_sgpr47
	s_mov_b64 s[44:45], s[26:27]
	s_branch .LBB214_76
.LBB214_79:
	s_or_b64 exec, exec, s[16:17]
	v_cmp_gt_i64_e32 vcc, s[26:27], v[34:35]
	s_orn2_b64 s[16:17], vcc, exec
.LBB214_80:
	s_or_b64 exec, exec, s[40:41]
.LBB214_81:
	v_mul_lo_u32 v34, v25, s26
	v_mul_lo_u32 v35, v24, s27
	v_mad_u64_u32 v[32:33], s[40:41], v24, s26, 0
	v_add3_u32 v33, v33, v35, v34
	s_and_b64 vcc, exec, s[4:5]
	v_lshl_add_u64 v[34:35], s[36:37], 0, v[32:33]
	s_cbranch_vccnz .LBB214_90
; %bb.82:
	global_load_ubyte v32, v[34:35], off
	global_load_ubyte v33, v[36:37], off
	s_mov_b64 s[14:15], -1
	s_waitcnt vmcnt(0)
	v_cmp_eq_u16_e32 vcc, v32, v33
	s_and_saveexec_b64 s[40:41], vcc
	s_cbranch_execz .LBB214_89
; %bb.83:
	s_mov_b64 s[44:45], 1
	s_mov_b64 s[14:15], 0
                                        ; implicit-def: $sgpr42_sgpr43
	s_branch .LBB214_86
.LBB214_84:                             ;   in Loop: Header=BB214_86 Depth=1
	v_lshl_add_u64 v[32:33], v[34:35], 0, s[44:45]
	v_lshl_add_u64 v[46:47], v[36:37], 0, s[44:45]
	global_load_ubyte v48, v[32:33], off
	global_load_ubyte v49, v[46:47], off
	s_add_u32 s46, s44, 1
	s_addc_u32 s47, s45, 0
	s_andn2_b64 s[42:43], s[42:43], exec
	s_waitcnt vmcnt(0)
	v_cmp_ne_u16_e32 vcc, v48, v49
	s_and_b64 s[48:49], vcc, exec
	s_or_b64 s[42:43], s[42:43], s[48:49]
.LBB214_85:                             ;   in Loop: Header=BB214_86 Depth=1
	s_and_b64 s[48:49], exec, s[42:43]
	s_or_b64 s[14:15], s[48:49], s[14:15]
	v_mov_b64_e32 v[32:33], s[44:45]
	s_mov_b64 s[44:45], s[46:47]
	s_andn2_b64 exec, exec, s[14:15]
	s_cbranch_execz .LBB214_88
.LBB214_86:                             ; =>This Inner Loop Header: Depth=1
	s_or_b64 s[42:43], s[42:43], exec
	s_cmp_eq_u64 s[26:27], s[44:45]
	s_cbranch_scc0 .LBB214_84
; %bb.87:                               ;   in Loop: Header=BB214_86 Depth=1
                                        ; implicit-def: $sgpr46_sgpr47
	s_mov_b64 s[44:45], s[26:27]
	s_branch .LBB214_85
.LBB214_88:
	s_or_b64 exec, exec, s[14:15]
	v_cmp_gt_i64_e32 vcc, s[26:27], v[32:33]
	s_orn2_b64 s[14:15], vcc, exec
.LBB214_89:
	s_or_b64 exec, exec, s[40:41]
.LBB214_90:
	v_mul_lo_u32 v36, v23, s26
	v_mul_lo_u32 v37, v22, s27
	v_mad_u64_u32 v[32:33], s[40:41], v22, s26, 0
	v_add3_u32 v33, v33, v37, v36
	s_mov_b64 s[42:43], 0
	s_and_b64 vcc, exec, s[4:5]
	v_lshl_add_u64 v[32:33], s[36:37], 0, v[32:33]
	s_cbranch_vccnz .LBB214_99
; %bb.91:
	global_load_ubyte v36, v[32:33], off
	global_load_ubyte v37, v[34:35], off
	s_mov_b64 s[42:43], -1
	s_waitcnt vmcnt(0)
	v_cmp_eq_u16_e32 vcc, v36, v37
	s_and_saveexec_b64 s[40:41], vcc
	s_cbranch_execz .LBB214_98
; %bb.92:
	s_mov_b64 s[46:47], 1
	s_mov_b64 s[42:43], 0
                                        ; implicit-def: $sgpr44_sgpr45
	s_branch .LBB214_95
.LBB214_93:                             ;   in Loop: Header=BB214_95 Depth=1
	v_lshl_add_u64 v[36:37], v[32:33], 0, s[46:47]
	v_lshl_add_u64 v[46:47], v[34:35], 0, s[46:47]
	global_load_ubyte v48, v[36:37], off
	global_load_ubyte v49, v[46:47], off
	s_add_u32 s48, s46, 1
	s_addc_u32 s49, s47, 0
	s_andn2_b64 s[44:45], s[44:45], exec
	s_waitcnt vmcnt(0)
	v_cmp_ne_u16_e32 vcc, v48, v49
	s_and_b64 s[50:51], vcc, exec
	s_or_b64 s[44:45], s[44:45], s[50:51]
.LBB214_94:                             ;   in Loop: Header=BB214_95 Depth=1
	s_and_b64 s[50:51], exec, s[44:45]
	s_or_b64 s[42:43], s[50:51], s[42:43]
	v_mov_b64_e32 v[36:37], s[46:47]
	s_mov_b64 s[46:47], s[48:49]
	s_andn2_b64 exec, exec, s[42:43]
	s_cbranch_execz .LBB214_97
.LBB214_95:                             ; =>This Inner Loop Header: Depth=1
	s_or_b64 s[44:45], s[44:45], exec
	s_cmp_eq_u64 s[26:27], s[46:47]
	s_cbranch_scc0 .LBB214_93
; %bb.96:                               ;   in Loop: Header=BB214_95 Depth=1
                                        ; implicit-def: $sgpr48_sgpr49
	s_mov_b64 s[46:47], s[26:27]
	s_branch .LBB214_94
.LBB214_97:
	s_or_b64 exec, exec, s[42:43]
	v_cmp_gt_i64_e32 vcc, s[26:27], v[36:37]
	s_orn2_b64 s[42:43], vcc, exec
.LBB214_98:
	s_or_b64 exec, exec, s[40:41]
.LBB214_99:
	s_waitcnt vmcnt(0)
	v_mov_b64_e32 v[36:37], v[30:31]
	s_waitcnt lgkmcnt(0)
	s_barrier
	s_and_saveexec_b64 s[40:41], s[2:3]
	s_cbranch_execz .LBB214_101
; %bb.100:
	v_add_u32_e32 v34, -8, v45
	ds_read_b64 v[36:37], v34
.LBB214_101:
	s_or_b64 exec, exec, s[40:41]
	v_cndmask_b32_e64 v35, 0, 1, s[16:17]
	v_cndmask_b32_e64 v34, 0, 1, s[14:15]
	v_cndmask_b32_e64 v46, 0, 1, s[42:43]
	v_lshlrev_b16_e32 v35, 8, v35
	v_lshlrev_b16_e32 v49, 8, v46
	v_or_b32_sdwa v50, v34, v35 dst_sel:WORD_1 dst_unused:UNUSED_PAD src0_sel:DWORD src1_sel:DWORD
	s_mov_b64 s[16:17], 0
	s_and_b64 vcc, exec, s[4:5]
	s_mov_b64 s[14:15], 0
	s_cbranch_vccnz .LBB214_110
; %bb.102:
	v_mov_b64_e32 v[34:35], s[36:37]
	s_waitcnt lgkmcnt(0)
	v_mad_u64_u32 v[34:35], s[14:15], v36, s26, v[34:35]
	v_mul_lo_u32 v36, v36, s27
	v_mul_lo_u32 v37, v37, s26
	v_add3_u32 v35, v37, v35, v36
	global_load_ubyte v36, v[34:35], off
	global_load_ubyte v37, v[32:33], off
	s_mov_b64 s[14:15], -1
	s_waitcnt vmcnt(0)
	v_cmp_eq_u16_e32 vcc, v36, v37
	s_and_saveexec_b64 s[40:41], vcc
	s_cbranch_execz .LBB214_109
; %bb.103:
	s_mov_b64 s[44:45], 1
	s_mov_b64 s[14:15], 0
                                        ; implicit-def: $sgpr42_sgpr43
	s_branch .LBB214_106
.LBB214_104:                            ;   in Loop: Header=BB214_106 Depth=1
	v_lshl_add_u64 v[36:37], v[34:35], 0, s[44:45]
	v_lshl_add_u64 v[46:47], v[32:33], 0, s[44:45]
	global_load_ubyte v48, v[36:37], off
	global_load_ubyte v51, v[46:47], off
	s_add_u32 s46, s44, 1
	s_addc_u32 s47, s45, 0
	s_andn2_b64 s[42:43], s[42:43], exec
	s_waitcnt vmcnt(0)
	v_cmp_ne_u16_e32 vcc, v48, v51
	s_and_b64 s[48:49], vcc, exec
	s_or_b64 s[42:43], s[42:43], s[48:49]
.LBB214_105:                            ;   in Loop: Header=BB214_106 Depth=1
	s_and_b64 s[48:49], exec, s[42:43]
	s_or_b64 s[14:15], s[48:49], s[14:15]
	v_mov_b64_e32 v[36:37], s[44:45]
	s_mov_b64 s[44:45], s[46:47]
	s_andn2_b64 exec, exec, s[14:15]
	s_cbranch_execz .LBB214_108
.LBB214_106:                            ; =>This Inner Loop Header: Depth=1
	s_or_b64 s[42:43], s[42:43], exec
	s_cmp_eq_u64 s[26:27], s[44:45]
	s_cbranch_scc0 .LBB214_104
; %bb.107:                              ;   in Loop: Header=BB214_106 Depth=1
                                        ; implicit-def: $sgpr46_sgpr47
	s_mov_b64 s[44:45], s[26:27]
	s_branch .LBB214_105
.LBB214_108:
	s_or_b64 exec, exec, s[14:15]
	v_cmp_gt_i64_e32 vcc, s[26:27], v[36:37]
	s_orn2_b64 s[14:15], vcc, exec
.LBB214_109:
	s_or_b64 exec, exec, s[40:41]
.LBB214_110:
	v_cndmask_b32_e64 v46, 0, 1, s[10:11]
	v_cndmask_b32_e64 v47, 0, 1, s[12:13]
	v_cndmask_b32_e64 v48, 0, 1, s[6:7]
	v_or_b32_e32 v34, v49, v50
	s_and_b64 vcc, exec, s[16:17]
	s_cbranch_vccz .LBB214_191
.LBB214_111:
	v_cmp_gt_u32_e32 vcc, s54, v40
	s_mov_b64 s[10:11], 0
	s_mov_b64 s[6:7], 0
	s_and_saveexec_b64 s[12:13], vcc
	s_cbranch_execz .LBB214_122
; %bb.112:
	s_and_b64 vcc, exec, s[4:5]
	s_mov_b64 s[14:15], 0
	s_cbranch_vccnz .LBB214_121
; %bb.113:
	v_mov_b64_e32 v[34:35], s[36:37]
	v_mad_u64_u32 v[32:33], s[6:7], v16, s26, v[34:35]
	s_waitcnt lgkmcnt(0)
	v_mul_lo_u32 v36, v16, s27
	v_mul_lo_u32 v37, v17, s26
	v_add3_u32 v33, v37, v33, v36
	v_mad_u64_u32 v[34:35], s[6:7], v28, s26, v[34:35]
	v_mul_lo_u32 v36, v28, s27
	v_mul_lo_u32 v37, v29, s26
	v_add3_u32 v35, v37, v35, v36
	global_load_ubyte v36, v[32:33], off
	global_load_ubyte v37, v[34:35], off
	s_mov_b64 s[14:15], -1
	s_waitcnt vmcnt(0)
	v_cmp_eq_u16_e32 vcc, v36, v37
	s_and_saveexec_b64 s[6:7], vcc
	s_cbranch_execz .LBB214_120
; %bb.114:
	s_mov_b64 s[40:41], 1
	s_mov_b64 s[14:15], 0
                                        ; implicit-def: $sgpr16_sgpr17
	s_branch .LBB214_117
.LBB214_115:                            ;   in Loop: Header=BB214_117 Depth=1
	v_lshl_add_u64 v[36:37], v[32:33], 0, s[40:41]
	v_lshl_add_u64 v[46:47], v[34:35], 0, s[40:41]
	global_load_ubyte v48, v[36:37], off
	global_load_ubyte v49, v[46:47], off
	s_add_u32 s42, s40, 1
	s_addc_u32 s43, s41, 0
	s_andn2_b64 s[16:17], s[16:17], exec
	s_waitcnt vmcnt(0)
	v_cmp_ne_u16_e32 vcc, v48, v49
	s_and_b64 s[44:45], vcc, exec
	s_or_b64 s[16:17], s[16:17], s[44:45]
.LBB214_116:                            ;   in Loop: Header=BB214_117 Depth=1
	s_and_b64 s[44:45], exec, s[16:17]
	s_or_b64 s[14:15], s[44:45], s[14:15]
	v_mov_b64_e32 v[36:37], s[40:41]
	s_mov_b64 s[40:41], s[42:43]
	s_andn2_b64 exec, exec, s[14:15]
	s_cbranch_execz .LBB214_119
.LBB214_117:                            ; =>This Inner Loop Header: Depth=1
	s_or_b64 s[16:17], s[16:17], exec
	s_cmp_eq_u64 s[26:27], s[40:41]
	s_cbranch_scc0 .LBB214_115
; %bb.118:                              ;   in Loop: Header=BB214_117 Depth=1
                                        ; implicit-def: $sgpr42_sgpr43
	s_mov_b64 s[40:41], s[26:27]
	s_branch .LBB214_116
.LBB214_119:
	s_or_b64 exec, exec, s[14:15]
	v_cmp_gt_i64_e32 vcc, s[26:27], v[36:37]
	s_orn2_b64 s[14:15], vcc, exec
.LBB214_120:
	s_or_b64 exec, exec, s[6:7]
.LBB214_121:
	s_and_b64 s[6:7], s[14:15], exec
.LBB214_122:
	s_or_b64 exec, exec, s[12:13]
	v_cmp_gt_u32_e32 vcc, s54, v43
	s_and_saveexec_b64 s[12:13], vcc
	s_cbranch_execz .LBB214_133
; %bb.123:
	s_and_b64 vcc, exec, s[4:5]
	s_mov_b64 s[14:15], 0
	s_cbranch_vccnz .LBB214_132
; %bb.124:
	v_mov_b64_e32 v[34:35], s[36:37]
	v_mad_u64_u32 v[32:33], s[10:11], v14, s26, v[34:35]
	s_waitcnt lgkmcnt(0)
	v_mul_lo_u32 v36, v14, s27
	v_mul_lo_u32 v37, v15, s26
	v_add3_u32 v33, v37, v33, v36
	v_mad_u64_u32 v[34:35], s[10:11], v16, s26, v[34:35]
	v_mul_lo_u32 v36, v16, s27
	v_mul_lo_u32 v37, v17, s26
	v_add3_u32 v35, v37, v35, v36
	global_load_ubyte v36, v[32:33], off
	global_load_ubyte v37, v[34:35], off
	s_mov_b64 s[14:15], -1
	s_waitcnt vmcnt(0)
	v_cmp_eq_u16_e32 vcc, v36, v37
	s_and_saveexec_b64 s[10:11], vcc
	s_cbranch_execz .LBB214_131
; %bb.125:
	s_mov_b64 s[40:41], 1
	s_mov_b64 s[14:15], 0
                                        ; implicit-def: $sgpr16_sgpr17
	s_branch .LBB214_128
.LBB214_126:                            ;   in Loop: Header=BB214_128 Depth=1
	v_lshl_add_u64 v[36:37], v[32:33], 0, s[40:41]
	v_lshl_add_u64 v[46:47], v[34:35], 0, s[40:41]
	global_load_ubyte v48, v[36:37], off
	global_load_ubyte v49, v[46:47], off
	s_add_u32 s42, s40, 1
	s_addc_u32 s43, s41, 0
	s_andn2_b64 s[16:17], s[16:17], exec
	s_waitcnt vmcnt(0)
	v_cmp_ne_u16_e32 vcc, v48, v49
	s_and_b64 s[44:45], vcc, exec
	s_or_b64 s[16:17], s[16:17], s[44:45]
.LBB214_127:                            ;   in Loop: Header=BB214_128 Depth=1
	s_and_b64 s[44:45], exec, s[16:17]
	s_or_b64 s[14:15], s[44:45], s[14:15]
	v_mov_b64_e32 v[36:37], s[40:41]
	s_mov_b64 s[40:41], s[42:43]
	s_andn2_b64 exec, exec, s[14:15]
	s_cbranch_execz .LBB214_130
.LBB214_128:                            ; =>This Inner Loop Header: Depth=1
	s_or_b64 s[16:17], s[16:17], exec
	s_cmp_eq_u64 s[26:27], s[40:41]
	s_cbranch_scc0 .LBB214_126
; %bb.129:                              ;   in Loop: Header=BB214_128 Depth=1
                                        ; implicit-def: $sgpr42_sgpr43
	s_mov_b64 s[40:41], s[26:27]
	s_branch .LBB214_127
.LBB214_130:
	s_or_b64 exec, exec, s[14:15]
	v_cmp_gt_i64_e32 vcc, s[26:27], v[36:37]
	s_orn2_b64 s[14:15], vcc, exec
.LBB214_131:
	s_or_b64 exec, exec, s[10:11]
.LBB214_132:
	s_and_b64 s[10:11], s[14:15], exec
.LBB214_133:
	s_or_b64 exec, exec, s[12:13]
	v_cmp_gt_u32_e32 vcc, s54, v39
	s_mov_b64 s[14:15], 0
	s_mov_b64 s[12:13], 0
	s_and_saveexec_b64 s[16:17], vcc
	s_cbranch_execz .LBB214_144
; %bb.134:
	s_and_b64 vcc, exec, s[4:5]
	s_mov_b64 s[40:41], 0
	s_cbranch_vccnz .LBB214_143
; %bb.135:
	v_mov_b64_e32 v[34:35], s[36:37]
	v_mad_u64_u32 v[32:33], s[12:13], v20, s26, v[34:35]
	s_waitcnt lgkmcnt(0)
	v_mul_lo_u32 v36, v20, s27
	v_mul_lo_u32 v37, v21, s26
	v_add3_u32 v33, v37, v33, v36
	v_mad_u64_u32 v[34:35], s[12:13], v14, s26, v[34:35]
	v_mul_lo_u32 v36, v14, s27
	v_mul_lo_u32 v37, v15, s26
	v_add3_u32 v35, v37, v35, v36
	global_load_ubyte v36, v[32:33], off
	global_load_ubyte v37, v[34:35], off
	s_mov_b64 s[40:41], -1
	s_waitcnt vmcnt(0)
	v_cmp_eq_u16_e32 vcc, v36, v37
	s_and_saveexec_b64 s[12:13], vcc
	s_cbranch_execz .LBB214_142
; %bb.136:
	s_mov_b64 s[44:45], 1
	s_mov_b64 s[40:41], 0
                                        ; implicit-def: $sgpr42_sgpr43
	s_branch .LBB214_139
.LBB214_137:                            ;   in Loop: Header=BB214_139 Depth=1
	v_lshl_add_u64 v[36:37], v[32:33], 0, s[44:45]
	v_lshl_add_u64 v[46:47], v[34:35], 0, s[44:45]
	global_load_ubyte v48, v[36:37], off
	global_load_ubyte v49, v[46:47], off
	s_add_u32 s46, s44, 1
	s_addc_u32 s47, s45, 0
	s_andn2_b64 s[42:43], s[42:43], exec
	s_waitcnt vmcnt(0)
	v_cmp_ne_u16_e32 vcc, v48, v49
	s_and_b64 s[48:49], vcc, exec
	s_or_b64 s[42:43], s[42:43], s[48:49]
.LBB214_138:                            ;   in Loop: Header=BB214_139 Depth=1
	s_and_b64 s[48:49], exec, s[42:43]
	s_or_b64 s[40:41], s[48:49], s[40:41]
	v_mov_b64_e32 v[36:37], s[44:45]
	s_mov_b64 s[44:45], s[46:47]
	s_andn2_b64 exec, exec, s[40:41]
	s_cbranch_execz .LBB214_141
.LBB214_139:                            ; =>This Inner Loop Header: Depth=1
	s_or_b64 s[42:43], s[42:43], exec
	s_cmp_eq_u64 s[26:27], s[44:45]
	s_cbranch_scc0 .LBB214_137
; %bb.140:                              ;   in Loop: Header=BB214_139 Depth=1
                                        ; implicit-def: $sgpr46_sgpr47
	s_mov_b64 s[44:45], s[26:27]
	s_branch .LBB214_138
.LBB214_141:
	s_or_b64 exec, exec, s[40:41]
	v_cmp_gt_i64_e32 vcc, s[26:27], v[36:37]
	s_orn2_b64 s[40:41], vcc, exec
.LBB214_142:
	s_or_b64 exec, exec, s[12:13]
.LBB214_143:
	s_and_b64 s[12:13], s[40:41], exec
.LBB214_144:
	s_or_b64 exec, exec, s[16:17]
	v_cmp_gt_u32_e32 vcc, s54, v42
	s_and_saveexec_b64 s[16:17], vcc
	s_cbranch_execz .LBB214_155
; %bb.145:
	s_and_b64 vcc, exec, s[4:5]
	s_mov_b64 s[40:41], 0
	s_cbranch_vccnz .LBB214_154
; %bb.146:
	v_mov_b64_e32 v[34:35], s[36:37]
	v_mad_u64_u32 v[32:33], s[14:15], v18, s26, v[34:35]
	s_waitcnt lgkmcnt(0)
	v_mul_lo_u32 v36, v18, s27
	v_mul_lo_u32 v37, v19, s26
	v_add3_u32 v33, v37, v33, v36
	v_mad_u64_u32 v[34:35], s[14:15], v20, s26, v[34:35]
	v_mul_lo_u32 v36, v20, s27
	v_mul_lo_u32 v37, v21, s26
	v_add3_u32 v35, v37, v35, v36
	global_load_ubyte v36, v[32:33], off
	global_load_ubyte v37, v[34:35], off
	s_mov_b64 s[40:41], -1
	s_waitcnt vmcnt(0)
	v_cmp_eq_u16_e32 vcc, v36, v37
	s_and_saveexec_b64 s[14:15], vcc
	s_cbranch_execz .LBB214_153
; %bb.147:
	s_mov_b64 s[44:45], 1
	s_mov_b64 s[40:41], 0
                                        ; implicit-def: $sgpr42_sgpr43
	s_branch .LBB214_150
.LBB214_148:                            ;   in Loop: Header=BB214_150 Depth=1
	v_lshl_add_u64 v[36:37], v[32:33], 0, s[44:45]
	v_lshl_add_u64 v[46:47], v[34:35], 0, s[44:45]
	global_load_ubyte v48, v[36:37], off
	global_load_ubyte v49, v[46:47], off
	s_add_u32 s46, s44, 1
	s_addc_u32 s47, s45, 0
	s_andn2_b64 s[42:43], s[42:43], exec
	s_waitcnt vmcnt(0)
	v_cmp_ne_u16_e32 vcc, v48, v49
	s_and_b64 s[48:49], vcc, exec
	s_or_b64 s[42:43], s[42:43], s[48:49]
.LBB214_149:                            ;   in Loop: Header=BB214_150 Depth=1
	s_and_b64 s[48:49], exec, s[42:43]
	s_or_b64 s[40:41], s[48:49], s[40:41]
	v_mov_b64_e32 v[36:37], s[44:45]
	s_mov_b64 s[44:45], s[46:47]
	s_andn2_b64 exec, exec, s[40:41]
	s_cbranch_execz .LBB214_152
.LBB214_150:                            ; =>This Inner Loop Header: Depth=1
	s_or_b64 s[42:43], s[42:43], exec
	s_cmp_eq_u64 s[26:27], s[44:45]
	s_cbranch_scc0 .LBB214_148
; %bb.151:                              ;   in Loop: Header=BB214_150 Depth=1
                                        ; implicit-def: $sgpr46_sgpr47
	s_mov_b64 s[44:45], s[26:27]
	s_branch .LBB214_149
.LBB214_152:
	s_or_b64 exec, exec, s[40:41]
	v_cmp_gt_i64_e32 vcc, s[26:27], v[36:37]
	s_orn2_b64 s[40:41], vcc, exec
.LBB214_153:
	s_or_b64 exec, exec, s[14:15]
.LBB214_154:
	s_and_b64 s[14:15], s[40:41], exec
.LBB214_155:
	s_or_b64 exec, exec, s[16:17]
	v_cmp_gt_u32_e32 vcc, s54, v38
	s_mov_b64 s[16:17], 0
	s_mov_b64 s[40:41], 0
	s_and_saveexec_b64 s[42:43], vcc
	s_cbranch_execz .LBB214_166
; %bb.156:
	s_and_b64 vcc, exec, s[4:5]
	s_mov_b64 s[44:45], 0
	s_cbranch_vccnz .LBB214_165
; %bb.157:
	v_mov_b64_e32 v[34:35], s[36:37]
	v_mad_u64_u32 v[32:33], s[40:41], v24, s26, v[34:35]
	s_waitcnt lgkmcnt(0)
	v_mul_lo_u32 v36, v24, s27
	v_mul_lo_u32 v37, v25, s26
	v_add3_u32 v33, v37, v33, v36
	v_mad_u64_u32 v[34:35], s[40:41], v18, s26, v[34:35]
	v_mul_lo_u32 v36, v18, s27
	v_mul_lo_u32 v37, v19, s26
	v_add3_u32 v35, v37, v35, v36
	global_load_ubyte v36, v[32:33], off
	global_load_ubyte v37, v[34:35], off
	s_mov_b64 s[44:45], -1
	s_waitcnt vmcnt(0)
	v_cmp_eq_u16_e32 vcc, v36, v37
	s_and_saveexec_b64 s[40:41], vcc
	s_cbranch_execz .LBB214_164
; %bb.158:
	s_mov_b64 s[48:49], 1
	s_mov_b64 s[44:45], 0
                                        ; implicit-def: $sgpr46_sgpr47
	s_branch .LBB214_161
.LBB214_159:                            ;   in Loop: Header=BB214_161 Depth=1
	v_lshl_add_u64 v[36:37], v[32:33], 0, s[48:49]
	v_lshl_add_u64 v[46:47], v[34:35], 0, s[48:49]
	global_load_ubyte v36, v[36:37], off
	s_nop 0
	global_load_ubyte v37, v[46:47], off
	s_add_u32 s50, s48, 1
	s_addc_u32 s51, s49, 0
	s_andn2_b64 s[46:47], s[46:47], exec
	s_waitcnt vmcnt(0)
	v_cmp_ne_u16_e32 vcc, v36, v37
	s_and_b64 s[52:53], vcc, exec
	s_or_b64 s[46:47], s[46:47], s[52:53]
.LBB214_160:                            ;   in Loop: Header=BB214_161 Depth=1
	s_and_b64 s[52:53], exec, s[46:47]
	s_or_b64 s[44:45], s[52:53], s[44:45]
	v_mov_b64_e32 v[36:37], s[48:49]
	s_mov_b64 s[48:49], s[50:51]
	s_andn2_b64 exec, exec, s[44:45]
	s_cbranch_execz .LBB214_163
.LBB214_161:                            ; =>This Inner Loop Header: Depth=1
	s_or_b64 s[46:47], s[46:47], exec
	s_cmp_eq_u64 s[26:27], s[48:49]
	s_cbranch_scc0 .LBB214_159
; %bb.162:                              ;   in Loop: Header=BB214_161 Depth=1
                                        ; implicit-def: $sgpr50_sgpr51
	s_mov_b64 s[48:49], s[26:27]
	s_branch .LBB214_160
.LBB214_163:
	s_or_b64 exec, exec, s[44:45]
	v_cmp_gt_i64_e32 vcc, s[26:27], v[36:37]
	s_orn2_b64 s[44:45], vcc, exec
.LBB214_164:
	s_or_b64 exec, exec, s[40:41]
.LBB214_165:
	s_and_b64 s[40:41], s[44:45], exec
.LBB214_166:
	s_or_b64 exec, exec, s[42:43]
	v_cmp_gt_u32_e32 vcc, s54, v41
	s_and_saveexec_b64 s[42:43], vcc
	s_cbranch_execz .LBB214_177
; %bb.167:
	s_and_b64 vcc, exec, s[4:5]
	s_mov_b64 s[44:45], 0
	s_cbranch_vccnz .LBB214_176
; %bb.168:
	v_mov_b64_e32 v[34:35], s[36:37]
	v_mad_u64_u32 v[32:33], s[16:17], v22, s26, v[34:35]
	s_waitcnt lgkmcnt(0)
	v_mul_lo_u32 v36, v22, s27
	v_mul_lo_u32 v37, v23, s26
	v_add3_u32 v33, v37, v33, v36
	v_mad_u64_u32 v[34:35], s[16:17], v24, s26, v[34:35]
	v_mul_lo_u32 v36, v24, s27
	v_mul_lo_u32 v37, v25, s26
	v_add3_u32 v35, v37, v35, v36
	global_load_ubyte v36, v[32:33], off
	global_load_ubyte v37, v[34:35], off
	s_mov_b64 s[44:45], -1
	s_waitcnt vmcnt(0)
	v_cmp_eq_u16_e32 vcc, v36, v37
	s_and_saveexec_b64 s[16:17], vcc
	s_cbranch_execz .LBB214_175
; %bb.169:
	s_mov_b64 s[48:49], 1
	s_mov_b64 s[44:45], 0
                                        ; implicit-def: $sgpr46_sgpr47
	s_branch .LBB214_172
.LBB214_170:                            ;   in Loop: Header=BB214_172 Depth=1
	v_lshl_add_u64 v[36:37], v[32:33], 0, s[48:49]
	v_lshl_add_u64 v[46:47], v[34:35], 0, s[48:49]
	global_load_ubyte v36, v[36:37], off
	s_nop 0
	global_load_ubyte v37, v[46:47], off
	s_add_u32 s50, s48, 1
	s_addc_u32 s51, s49, 0
	s_andn2_b64 s[46:47], s[46:47], exec
	s_waitcnt vmcnt(0)
	v_cmp_ne_u16_e32 vcc, v36, v37
	s_and_b64 s[52:53], vcc, exec
	s_or_b64 s[46:47], s[46:47], s[52:53]
.LBB214_171:                            ;   in Loop: Header=BB214_172 Depth=1
	s_and_b64 s[52:53], exec, s[46:47]
	s_or_b64 s[44:45], s[52:53], s[44:45]
	v_mov_b64_e32 v[36:37], s[48:49]
	s_mov_b64 s[48:49], s[50:51]
	s_andn2_b64 exec, exec, s[44:45]
	s_cbranch_execz .LBB214_174
.LBB214_172:                            ; =>This Inner Loop Header: Depth=1
	s_or_b64 s[46:47], s[46:47], exec
	s_cmp_eq_u64 s[26:27], s[48:49]
	s_cbranch_scc0 .LBB214_170
; %bb.173:                              ;   in Loop: Header=BB214_172 Depth=1
                                        ; implicit-def: $sgpr50_sgpr51
	s_mov_b64 s[48:49], s[26:27]
	s_branch .LBB214_171
.LBB214_174:
	s_or_b64 exec, exec, s[44:45]
	v_cmp_gt_i64_e32 vcc, s[26:27], v[36:37]
	s_orn2_b64 s[44:45], vcc, exec
.LBB214_175:
	s_or_b64 exec, exec, s[16:17]
.LBB214_176:
	s_and_b64 s[16:17], s[44:45], exec
.LBB214_177:
	s_or_b64 exec, exec, s[42:43]
	s_waitcnt lgkmcnt(0)
	s_barrier
	s_and_saveexec_b64 s[42:43], s[2:3]
	s_cbranch_execz .LBB214_179
; %bb.178:
	s_waitcnt vmcnt(0)
	v_add_u32_e32 v30, -8, v45
	ds_read_b64 v[30:31], v30
.LBB214_179:
	s_or_b64 exec, exec, s[42:43]
	v_cndmask_b32_e64 v33, 0, 1, s[14:15]
	v_cndmask_b32_e64 v32, 0, 1, s[40:41]
	;; [unrolled: 1-line block ×3, first 2 shown]
	v_lshlrev_b16_e32 v33, 8, v33
	v_cmp_gt_u32_e32 vcc, s54, v1
	v_lshlrev_b16_e32 v36, 8, v34
	v_or_b32_sdwa v37, v32, v33 dst_sel:WORD_1 dst_unused:UNUSED_PAD src0_sel:DWORD src1_sel:DWORD
	s_mov_b64 s[14:15], 0
	s_and_saveexec_b64 s[16:17], vcc
	s_cbranch_execz .LBB214_190
; %bb.180:
	s_and_b64 vcc, exec, s[4:5]
	s_cbranch_vccnz .LBB214_189
; %bb.181:
	v_mov_b64_e32 v[34:35], s[36:37]
	s_waitcnt vmcnt(0) lgkmcnt(0)
	v_mad_u64_u32 v[32:33], s[4:5], v30, s26, v[34:35]
	v_mul_lo_u32 v30, v30, s27
	v_mul_lo_u32 v31, v31, s26
	v_add3_u32 v33, v31, v33, v30
	v_mad_u64_u32 v[30:31], s[4:5], v22, s26, v[34:35]
	v_mul_lo_u32 v34, v22, s27
	v_mul_lo_u32 v35, v23, s26
	v_add3_u32 v31, v35, v31, v34
	global_load_ubyte v34, v[32:33], off
	global_load_ubyte v35, v[30:31], off
	s_mov_b64 s[14:15], -1
	s_waitcnt vmcnt(0)
	v_cmp_eq_u16_e32 vcc, v34, v35
	s_and_saveexec_b64 s[4:5], vcc
	s_cbranch_execz .LBB214_188
; %bb.182:
	s_mov_b64 s[42:43], 1
	s_mov_b64 s[14:15], 0
                                        ; implicit-def: $sgpr40_sgpr41
	s_branch .LBB214_185
.LBB214_183:                            ;   in Loop: Header=BB214_185 Depth=1
	v_lshl_add_u64 v[34:35], v[32:33], 0, s[42:43]
	v_lshl_add_u64 v[46:47], v[30:31], 0, s[42:43]
	global_load_ubyte v45, v[34:35], off
	global_load_ubyte v48, v[46:47], off
	s_add_u32 s44, s42, 1
	s_addc_u32 s45, s43, 0
	s_andn2_b64 s[40:41], s[40:41], exec
	s_waitcnt vmcnt(0)
	v_cmp_ne_u16_e32 vcc, v45, v48
	s_and_b64 s[46:47], vcc, exec
	s_or_b64 s[40:41], s[40:41], s[46:47]
.LBB214_184:                            ;   in Loop: Header=BB214_185 Depth=1
	s_and_b64 s[46:47], exec, s[40:41]
	s_or_b64 s[14:15], s[46:47], s[14:15]
	v_mov_b64_e32 v[34:35], s[42:43]
	s_mov_b64 s[42:43], s[44:45]
	s_andn2_b64 exec, exec, s[14:15]
	s_cbranch_execz .LBB214_187
.LBB214_185:                            ; =>This Inner Loop Header: Depth=1
	s_or_b64 s[40:41], s[40:41], exec
	s_cmp_eq_u64 s[26:27], s[42:43]
	s_cbranch_scc0 .LBB214_183
; %bb.186:                              ;   in Loop: Header=BB214_185 Depth=1
                                        ; implicit-def: $sgpr44_sgpr45
	s_mov_b64 s[42:43], s[26:27]
	s_branch .LBB214_184
.LBB214_187:
	s_or_b64 exec, exec, s[14:15]
	v_cmp_gt_i64_e32 vcc, s[26:27], v[34:35]
	s_orn2_b64 s[14:15], vcc, exec
.LBB214_188:
	s_or_b64 exec, exec, s[4:5]
.LBB214_189:
	s_and_b64 s[14:15], s[14:15], exec
.LBB214_190:
	s_or_b64 exec, exec, s[16:17]
	v_cndmask_b32_e64 v46, 0, 1, s[12:13]
	v_cndmask_b32_e64 v47, 0, 1, s[10:11]
	;; [unrolled: 1-line block ×3, first 2 shown]
	v_or_b32_e32 v34, v36, v37
.LBB214_191:
	s_mov_b64 s[10:11], -1
	s_cbranch_execnz .LBB214_50
.LBB214_192:
	s_movk_i32 s4, 0xffd0
	v_mad_i32_i24 v44, v0, s4, v44
	s_mov_b64 s[12:13], 0
	v_cmp_gt_i64_e64 s[6:7], s[26:27], 0
	s_and_b64 vcc, exec, s[34:35]
	ds_write_b64 v44, v[28:29]
	s_cbranch_vccz .LBB214_200
; %bb.193:
	v_mul_lo_u32 v32, v17, s26
	v_mul_lo_u32 v33, v16, s27
	s_waitcnt vmcnt(0) lgkmcnt(1)
	v_mad_u64_u32 v[30:31], s[4:5], v16, s26, 0
	v_add3_u32 v31, v31, v33, v32
	v_cndmask_b32_e64 v32, 0, 1, s[6:7]
	v_cmp_ne_u32_e64 s[4:5], 1, v32
	s_andn2_b64 vcc, exec, s[6:7]
	v_lshl_add_u64 v[30:31], s[36:37], 0, v[30:31]
	s_cbranch_vccnz .LBB214_203
; %bb.194:
	v_mov_b64_e32 v[32:33], s[36:37]
	v_mad_u64_u32 v[32:33], s[12:13], v28, s26, v[32:33]
	v_mul_lo_u32 v34, v28, s27
	v_mul_lo_u32 v35, v29, s26
	v_add3_u32 v33, v35, v33, v34
	global_load_ubyte v34, v[30:31], off
	global_load_ubyte v35, v[32:33], off
	s_mov_b64 s[12:13], -1
	s_waitcnt vmcnt(0)
	v_cmp_eq_u16_e32 vcc, v34, v35
	s_and_saveexec_b64 s[14:15], vcc
	s_cbranch_execz .LBB214_202
; %bb.195:
	s_mov_b64 s[40:41], 1
	s_mov_b64 s[12:13], 0
                                        ; implicit-def: $sgpr16_sgpr17
	s_branch .LBB214_198
.LBB214_196:                            ;   in Loop: Header=BB214_198 Depth=1
	v_lshl_add_u64 v[34:35], v[30:31], 0, s[40:41]
	v_lshl_add_u64 v[36:37], v[32:33], 0, s[40:41]
	global_load_ubyte v45, v[34:35], off
	global_load_ubyte v46, v[36:37], off
	s_add_u32 s42, s40, 1
	s_addc_u32 s43, s41, 0
	s_andn2_b64 s[16:17], s[16:17], exec
	s_waitcnt vmcnt(0)
	v_cmp_ne_u16_e32 vcc, v45, v46
	s_and_b64 s[44:45], vcc, exec
	s_or_b64 s[16:17], s[16:17], s[44:45]
.LBB214_197:                            ;   in Loop: Header=BB214_198 Depth=1
	s_and_b64 s[44:45], exec, s[16:17]
	s_or_b64 s[12:13], s[44:45], s[12:13]
	v_mov_b64_e32 v[34:35], s[40:41]
	s_mov_b64 s[40:41], s[42:43]
	s_andn2_b64 exec, exec, s[12:13]
	s_cbranch_execz .LBB214_201
.LBB214_198:                            ; =>This Inner Loop Header: Depth=1
	s_or_b64 s[16:17], s[16:17], exec
	s_cmp_eq_u64 s[26:27], s[40:41]
	s_cbranch_scc0 .LBB214_196
; %bb.199:                              ;   in Loop: Header=BB214_198 Depth=1
                                        ; implicit-def: $sgpr42_sgpr43
	s_mov_b64 s[40:41], s[26:27]
	s_branch .LBB214_197
.LBB214_200:
                                        ; implicit-def: $sgpr14_sgpr15
                                        ; implicit-def: $vgpr48
                                        ; implicit-def: $vgpr47
                                        ; implicit-def: $vgpr46
                                        ; implicit-def: $vgpr34
                                        ; implicit-def: $vgpr30_vgpr31
	s_cbranch_execnz .LBB214_260
	s_branch .LBB214_340
.LBB214_201:
	s_or_b64 exec, exec, s[12:13]
	v_cmp_gt_i64_e32 vcc, s[26:27], v[34:35]
	s_orn2_b64 s[12:13], vcc, exec
.LBB214_202:
	s_or_b64 exec, exec, s[14:15]
.LBB214_203:
	v_mul_lo_u32 v34, v15, s26
	v_mul_lo_u32 v35, v14, s27
	v_mad_u64_u32 v[32:33], s[14:15], v14, s26, 0
	v_add3_u32 v33, v33, v35, v34
	s_mov_b64 s[14:15], 0
	s_and_b64 vcc, exec, s[4:5]
	v_lshl_add_u64 v[32:33], s[36:37], 0, v[32:33]
	s_mov_b64 s[16:17], 0
	s_cbranch_vccnz .LBB214_212
; %bb.204:
	global_load_ubyte v34, v[32:33], off
	global_load_ubyte v35, v[30:31], off
	s_mov_b64 s[16:17], -1
	s_waitcnt vmcnt(0)
	v_cmp_eq_u16_e32 vcc, v34, v35
	s_and_saveexec_b64 s[40:41], vcc
	s_cbranch_execz .LBB214_211
; %bb.205:
	s_mov_b64 s[44:45], 1
	s_mov_b64 s[16:17], 0
                                        ; implicit-def: $sgpr42_sgpr43
	s_branch .LBB214_208
.LBB214_206:                            ;   in Loop: Header=BB214_208 Depth=1
	v_lshl_add_u64 v[34:35], v[32:33], 0, s[44:45]
	v_lshl_add_u64 v[36:37], v[30:31], 0, s[44:45]
	global_load_ubyte v45, v[34:35], off
	global_load_ubyte v46, v[36:37], off
	s_add_u32 s46, s44, 1
	s_addc_u32 s47, s45, 0
	s_andn2_b64 s[42:43], s[42:43], exec
	s_waitcnt vmcnt(0)
	v_cmp_ne_u16_e32 vcc, v45, v46
	s_and_b64 s[48:49], vcc, exec
	s_or_b64 s[42:43], s[42:43], s[48:49]
.LBB214_207:                            ;   in Loop: Header=BB214_208 Depth=1
	s_and_b64 s[48:49], exec, s[42:43]
	s_or_b64 s[16:17], s[48:49], s[16:17]
	v_mov_b64_e32 v[34:35], s[44:45]
	s_mov_b64 s[44:45], s[46:47]
	s_andn2_b64 exec, exec, s[16:17]
	s_cbranch_execz .LBB214_210
.LBB214_208:                            ; =>This Inner Loop Header: Depth=1
	s_or_b64 s[42:43], s[42:43], exec
	s_cmp_eq_u64 s[26:27], s[44:45]
	s_cbranch_scc0 .LBB214_206
; %bb.209:                              ;   in Loop: Header=BB214_208 Depth=1
                                        ; implicit-def: $sgpr46_sgpr47
	s_mov_b64 s[44:45], s[26:27]
	s_branch .LBB214_207
.LBB214_210:
	s_or_b64 exec, exec, s[16:17]
	v_cmp_gt_i64_e32 vcc, s[26:27], v[34:35]
	s_orn2_b64 s[16:17], vcc, exec
.LBB214_211:
	s_or_b64 exec, exec, s[40:41]
.LBB214_212:
	v_mul_lo_u32 v34, v21, s26
	v_mul_lo_u32 v35, v20, s27
	v_mad_u64_u32 v[30:31], s[40:41], v20, s26, 0
	v_add3_u32 v31, v31, v35, v34
	s_and_b64 vcc, exec, s[4:5]
	v_lshl_add_u64 v[30:31], s[36:37], 0, v[30:31]
	s_cbranch_vccnz .LBB214_221
; %bb.213:
	global_load_ubyte v34, v[30:31], off
	global_load_ubyte v35, v[32:33], off
	s_mov_b64 s[14:15], -1
	s_waitcnt vmcnt(0)
	v_cmp_eq_u16_e32 vcc, v34, v35
	s_and_saveexec_b64 s[40:41], vcc
	s_cbranch_execz .LBB214_220
; %bb.214:
	s_mov_b64 s[44:45], 1
	s_mov_b64 s[14:15], 0
                                        ; implicit-def: $sgpr42_sgpr43
	s_branch .LBB214_217
.LBB214_215:                            ;   in Loop: Header=BB214_217 Depth=1
	v_lshl_add_u64 v[34:35], v[30:31], 0, s[44:45]
	v_lshl_add_u64 v[36:37], v[32:33], 0, s[44:45]
	global_load_ubyte v45, v[34:35], off
	global_load_ubyte v46, v[36:37], off
	s_add_u32 s46, s44, 1
	s_addc_u32 s47, s45, 0
	s_andn2_b64 s[42:43], s[42:43], exec
	s_waitcnt vmcnt(0)
	v_cmp_ne_u16_e32 vcc, v45, v46
	s_and_b64 s[48:49], vcc, exec
	s_or_b64 s[42:43], s[42:43], s[48:49]
.LBB214_216:                            ;   in Loop: Header=BB214_217 Depth=1
	s_and_b64 s[48:49], exec, s[42:43]
	s_or_b64 s[14:15], s[48:49], s[14:15]
	v_mov_b64_e32 v[34:35], s[44:45]
	s_mov_b64 s[44:45], s[46:47]
	s_andn2_b64 exec, exec, s[14:15]
	s_cbranch_execz .LBB214_219
.LBB214_217:                            ; =>This Inner Loop Header: Depth=1
	s_or_b64 s[42:43], s[42:43], exec
	s_cmp_eq_u64 s[26:27], s[44:45]
	s_cbranch_scc0 .LBB214_215
; %bb.218:                              ;   in Loop: Header=BB214_217 Depth=1
                                        ; implicit-def: $sgpr46_sgpr47
	s_mov_b64 s[44:45], s[26:27]
	s_branch .LBB214_216
.LBB214_219:
	s_or_b64 exec, exec, s[14:15]
	v_cmp_gt_i64_e32 vcc, s[26:27], v[34:35]
	s_orn2_b64 s[14:15], vcc, exec
.LBB214_220:
	s_or_b64 exec, exec, s[40:41]
.LBB214_221:
	v_mul_lo_u32 v34, v19, s26
	v_mul_lo_u32 v35, v18, s27
	v_mad_u64_u32 v[32:33], s[40:41], v18, s26, 0
	v_add3_u32 v33, v33, v35, v34
	s_mov_b64 s[40:41], 0
	s_and_b64 vcc, exec, s[4:5]
	v_lshl_add_u64 v[32:33], s[36:37], 0, v[32:33]
	s_mov_b64 s[42:43], 0
	s_cbranch_vccnz .LBB214_230
; %bb.222:
	global_load_ubyte v34, v[32:33], off
	global_load_ubyte v35, v[30:31], off
	s_mov_b64 s[42:43], -1
	s_waitcnt vmcnt(0)
	v_cmp_eq_u16_e32 vcc, v34, v35
	s_and_saveexec_b64 s[44:45], vcc
	s_cbranch_execz .LBB214_229
; %bb.223:
	s_mov_b64 s[48:49], 1
	s_mov_b64 s[42:43], 0
                                        ; implicit-def: $sgpr46_sgpr47
	s_branch .LBB214_226
.LBB214_224:                            ;   in Loop: Header=BB214_226 Depth=1
	v_lshl_add_u64 v[34:35], v[32:33], 0, s[48:49]
	v_lshl_add_u64 v[36:37], v[30:31], 0, s[48:49]
	global_load_ubyte v34, v[34:35], off
	s_nop 0
	global_load_ubyte v35, v[36:37], off
	s_add_u32 s50, s48, 1
	s_addc_u32 s51, s49, 0
	s_andn2_b64 s[46:47], s[46:47], exec
	s_waitcnt vmcnt(0)
	v_cmp_ne_u16_e32 vcc, v34, v35
	s_and_b64 s[52:53], vcc, exec
	s_or_b64 s[46:47], s[46:47], s[52:53]
.LBB214_225:                            ;   in Loop: Header=BB214_226 Depth=1
	s_and_b64 s[52:53], exec, s[46:47]
	s_or_b64 s[42:43], s[52:53], s[42:43]
	v_mov_b64_e32 v[34:35], s[48:49]
	s_mov_b64 s[48:49], s[50:51]
	s_andn2_b64 exec, exec, s[42:43]
	s_cbranch_execz .LBB214_228
.LBB214_226:                            ; =>This Inner Loop Header: Depth=1
	s_or_b64 s[46:47], s[46:47], exec
	s_cmp_eq_u64 s[26:27], s[48:49]
	s_cbranch_scc0 .LBB214_224
; %bb.227:                              ;   in Loop: Header=BB214_226 Depth=1
                                        ; implicit-def: $sgpr50_sgpr51
	s_mov_b64 s[48:49], s[26:27]
	s_branch .LBB214_225
.LBB214_228:
	s_or_b64 exec, exec, s[42:43]
	v_cmp_gt_i64_e32 vcc, s[26:27], v[34:35]
	s_orn2_b64 s[42:43], vcc, exec
.LBB214_229:
	s_or_b64 exec, exec, s[44:45]
.LBB214_230:
	v_mul_lo_u32 v34, v25, s26
	v_mul_lo_u32 v35, v24, s27
	v_mad_u64_u32 v[30:31], s[44:45], v24, s26, 0
	v_add3_u32 v31, v31, v35, v34
	s_and_b64 vcc, exec, s[4:5]
	v_lshl_add_u64 v[30:31], s[36:37], 0, v[30:31]
	s_cbranch_vccnz .LBB214_239
; %bb.231:
	global_load_ubyte v34, v[30:31], off
	global_load_ubyte v35, v[32:33], off
	s_mov_b64 s[40:41], -1
	s_waitcnt vmcnt(0)
	v_cmp_eq_u16_e32 vcc, v34, v35
	s_and_saveexec_b64 s[44:45], vcc
	s_cbranch_execz .LBB214_238
; %bb.232:
	s_mov_b64 s[48:49], 1
	s_mov_b64 s[40:41], 0
                                        ; implicit-def: $sgpr46_sgpr47
	s_branch .LBB214_235
.LBB214_233:                            ;   in Loop: Header=BB214_235 Depth=1
	v_lshl_add_u64 v[34:35], v[30:31], 0, s[48:49]
	v_lshl_add_u64 v[36:37], v[32:33], 0, s[48:49]
	global_load_ubyte v34, v[34:35], off
	s_nop 0
	global_load_ubyte v35, v[36:37], off
	s_add_u32 s50, s48, 1
	s_addc_u32 s51, s49, 0
	s_andn2_b64 s[46:47], s[46:47], exec
	s_waitcnt vmcnt(0)
	v_cmp_ne_u16_e32 vcc, v34, v35
	s_and_b64 s[52:53], vcc, exec
	s_or_b64 s[46:47], s[46:47], s[52:53]
.LBB214_234:                            ;   in Loop: Header=BB214_235 Depth=1
	s_and_b64 s[52:53], exec, s[46:47]
	s_or_b64 s[40:41], s[52:53], s[40:41]
	v_mov_b64_e32 v[34:35], s[48:49]
	s_mov_b64 s[48:49], s[50:51]
	s_andn2_b64 exec, exec, s[40:41]
	s_cbranch_execz .LBB214_237
.LBB214_235:                            ; =>This Inner Loop Header: Depth=1
	s_or_b64 s[46:47], s[46:47], exec
	s_cmp_eq_u64 s[26:27], s[48:49]
	s_cbranch_scc0 .LBB214_233
; %bb.236:                              ;   in Loop: Header=BB214_235 Depth=1
                                        ; implicit-def: $sgpr50_sgpr51
	s_mov_b64 s[48:49], s[26:27]
	s_branch .LBB214_234
.LBB214_237:
	s_or_b64 exec, exec, s[40:41]
	v_cmp_gt_i64_e32 vcc, s[26:27], v[34:35]
	s_orn2_b64 s[40:41], vcc, exec
.LBB214_238:
	s_or_b64 exec, exec, s[44:45]
.LBB214_239:
	v_mul_lo_u32 v34, v23, s26
	v_mul_lo_u32 v35, v22, s27
	v_mad_u64_u32 v[32:33], s[44:45], v22, s26, 0
	v_add3_u32 v33, v33, v35, v34
	s_and_b64 vcc, exec, s[4:5]
	s_mov_b64 s[46:47], 0
	s_cbranch_vccnz .LBB214_248
; %bb.240:
	v_lshl_add_u64 v[34:35], s[36:37], 0, v[32:33]
	global_load_ubyte v36, v[34:35], off
	global_load_ubyte v37, v[30:31], off
	s_mov_b64 s[46:47], -1
	s_waitcnt vmcnt(0)
	v_cmp_eq_u16_e32 vcc, v36, v37
	s_and_saveexec_b64 s[44:45], vcc
	s_cbranch_execz .LBB214_247
; %bb.241:
	s_mov_b64 s[50:51], 1
	s_mov_b64 s[46:47], 0
                                        ; implicit-def: $sgpr48_sgpr49
	s_branch .LBB214_244
.LBB214_242:                            ;   in Loop: Header=BB214_244 Depth=1
	v_lshl_add_u64 v[36:37], v[34:35], 0, s[50:51]
	v_lshl_add_u64 v[46:47], v[30:31], 0, s[50:51]
	global_load_ubyte v36, v[36:37], off
	s_nop 0
	global_load_ubyte v37, v[46:47], off
	s_add_u32 s52, s50, 1
	s_addc_u32 s53, s51, 0
	s_andn2_b64 s[48:49], s[48:49], exec
	s_waitcnt vmcnt(0)
	v_cmp_ne_u16_e32 vcc, v36, v37
	s_and_b64 s[56:57], vcc, exec
	s_or_b64 s[48:49], s[48:49], s[56:57]
.LBB214_243:                            ;   in Loop: Header=BB214_244 Depth=1
	s_and_b64 s[56:57], exec, s[48:49]
	s_or_b64 s[46:47], s[56:57], s[46:47]
	v_mov_b64_e32 v[36:37], s[50:51]
	s_mov_b64 s[50:51], s[52:53]
	s_andn2_b64 exec, exec, s[46:47]
	s_cbranch_execz .LBB214_246
.LBB214_244:                            ; =>This Inner Loop Header: Depth=1
	s_or_b64 s[48:49], s[48:49], exec
	s_cmp_eq_u64 s[26:27], s[50:51]
	s_cbranch_scc0 .LBB214_242
; %bb.245:                              ;   in Loop: Header=BB214_244 Depth=1
                                        ; implicit-def: $sgpr52_sgpr53
	s_mov_b64 s[50:51], s[26:27]
	s_branch .LBB214_243
.LBB214_246:
	s_or_b64 exec, exec, s[46:47]
	v_cmp_gt_i64_e32 vcc, s[26:27], v[36:37]
	s_orn2_b64 s[46:47], vcc, exec
.LBB214_247:
	s_or_b64 exec, exec, s[44:45]
.LBB214_248:
	v_cndmask_b32_e64 v31, 0, 1, s[42:43]
	v_cndmask_b32_e64 v30, 0, 1, s[40:41]
	;; [unrolled: 1-line block ×3, first 2 shown]
	v_lshlrev_b16_e32 v31, 8, v31
	v_cndmask_b32_e64 v46, 0, 1, s[14:15]
	v_cndmask_b32_e64 v34, 0, 1, s[46:47]
	v_or_b32_sdwa v30, v30, v31 dst_sel:WORD_1 dst_unused:UNUSED_PAD src0_sel:DWORD src1_sel:DWORD
	v_lshlrev_b16_e32 v31, 8, v47
	v_lshlrev_b16_e32 v34, 8, v34
	v_or_b32_e32 v31, v46, v31
	v_or_b32_e32 v34, 1, v34
	v_and_b32_e32 v31, 0xffff, v31
	v_cndmask_b32_e64 v48, 0, 1, s[12:13]
	v_or_b32_sdwa v30, v34, v30 dst_sel:DWORD dst_unused:UNUSED_PAD src0_sel:WORD_0 src1_sel:DWORD
	v_lshl_or_b32 v31, v48, 16, v31
	s_waitcnt lgkmcnt(0)
	s_barrier
	s_waitcnt lgkmcnt(0)
                                        ; implicit-def: $sgpr14_sgpr15
                                        ; implicit-def: $vgpr34
	s_and_saveexec_b64 s[12:13], s[2:3]
	s_xor_b64 s[12:13], exec, s[12:13]
	s_cbranch_execz .LBB214_259
; %bb.249:
	s_mov_b32 s44, 0x3020104
	s_and_b64 vcc, exec, s[4:5]
	s_mov_b64 s[14:15], 0
	s_cbranch_vccnz .LBB214_258
; %bb.250:
	v_add_u32_e32 v31, -8, v44
	ds_read_b64 v[34:35], v31
	v_mov_b64_e32 v[36:37], s[36:37]
	v_lshl_add_u64 v[32:33], s[36:37], 0, v[32:33]
	s_mov_b64 s[14:15], -1
	s_waitcnt lgkmcnt(0)
	v_mul_lo_u32 v31, v34, s27
	v_mul_lo_u32 v45, v35, s26
	v_mad_u64_u32 v[34:35], s[4:5], v34, s26, v[36:37]
	v_add3_u32 v35, v45, v35, v31
	global_load_ubyte v31, v[32:33], off
	global_load_ubyte v36, v[34:35], off
	s_waitcnt vmcnt(0)
	v_cmp_eq_u16_e32 vcc, v36, v31
	s_and_saveexec_b64 s[4:5], vcc
	s_cbranch_execz .LBB214_257
; %bb.251:
	s_mov_b64 s[40:41], 1
	s_mov_b64 s[14:15], 0
                                        ; implicit-def: $sgpr16_sgpr17
	s_branch .LBB214_254
.LBB214_252:                            ;   in Loop: Header=BB214_254 Depth=1
	v_lshl_add_u64 v[36:37], v[34:35], 0, s[40:41]
	v_lshl_add_u64 v[50:51], v[32:33], 0, s[40:41]
	global_load_ubyte v31, v[36:37], off
	global_load_ubyte v45, v[50:51], off
	s_add_u32 s42, s40, 1
	s_addc_u32 s43, s41, 0
	s_andn2_b64 s[16:17], s[16:17], exec
	s_waitcnt vmcnt(0)
	v_cmp_ne_u16_e32 vcc, v31, v45
	s_and_b64 s[46:47], vcc, exec
	s_or_b64 s[16:17], s[16:17], s[46:47]
.LBB214_253:                            ;   in Loop: Header=BB214_254 Depth=1
	s_and_b64 s[46:47], exec, s[16:17]
	s_or_b64 s[14:15], s[46:47], s[14:15]
	v_mov_b64_e32 v[36:37], s[40:41]
	s_mov_b64 s[40:41], s[42:43]
	s_andn2_b64 exec, exec, s[14:15]
	s_cbranch_execz .LBB214_256
.LBB214_254:                            ; =>This Inner Loop Header: Depth=1
	s_or_b64 s[16:17], s[16:17], exec
	s_cmp_eq_u64 s[26:27], s[40:41]
	s_cbranch_scc0 .LBB214_252
; %bb.255:                              ;   in Loop: Header=BB214_254 Depth=1
                                        ; implicit-def: $sgpr42_sgpr43
	s_mov_b64 s[40:41], s[26:27]
	s_branch .LBB214_253
.LBB214_256:
	s_or_b64 exec, exec, s[14:15]
	v_cmp_gt_i64_e32 vcc, s[26:27], v[36:37]
	s_orn2_b64 s[14:15], vcc, exec
.LBB214_257:
	s_or_b64 exec, exec, s[4:5]
.LBB214_258:
	v_perm_b32 v34, v30, v30, s44
	s_and_b64 s[14:15], s[14:15], exec
	s_or_b64 s[10:11], s[10:11], exec
                                        ; implicit-def: $vgpr30_vgpr31
.LBB214_259:
	s_or_b64 exec, exec, s[12:13]
	s_branch .LBB214_340
.LBB214_260:
	v_cmp_gt_u32_e32 vcc, s54, v40
	s_mov_b64 s[12:13], 0
	s_mov_b64 s[4:5], 0
	s_and_saveexec_b64 s[14:15], vcc
	s_cbranch_execz .LBB214_271
; %bb.261:
	s_andn2_b64 vcc, exec, s[6:7]
	s_mov_b64 s[16:17], 0
	s_cbranch_vccnz .LBB214_270
; %bb.262:
	v_mov_b64_e32 v[32:33], s[36:37]
	s_waitcnt vmcnt(0) lgkmcnt(1)
	v_mad_u64_u32 v[30:31], s[4:5], v16, s26, v[32:33]
	v_mul_lo_u32 v34, v16, s27
	v_mul_lo_u32 v35, v17, s26
	v_add3_u32 v31, v35, v31, v34
	v_mad_u64_u32 v[32:33], s[4:5], v28, s26, v[32:33]
	v_mul_lo_u32 v34, v28, s27
	v_mul_lo_u32 v35, v29, s26
	v_add3_u32 v33, v35, v33, v34
	global_load_ubyte v34, v[30:31], off
	global_load_ubyte v35, v[32:33], off
	s_mov_b64 s[16:17], -1
	s_waitcnt vmcnt(0)
	v_cmp_eq_u16_e32 vcc, v34, v35
	s_and_saveexec_b64 s[4:5], vcc
	s_cbranch_execz .LBB214_269
; %bb.263:
	s_mov_b64 s[42:43], 1
	s_mov_b64 s[16:17], 0
                                        ; implicit-def: $sgpr40_sgpr41
	s_branch .LBB214_266
.LBB214_264:                            ;   in Loop: Header=BB214_266 Depth=1
	v_lshl_add_u64 v[34:35], v[30:31], 0, s[42:43]
	v_lshl_add_u64 v[36:37], v[32:33], 0, s[42:43]
	global_load_ubyte v45, v[34:35], off
	global_load_ubyte v46, v[36:37], off
	s_add_u32 s44, s42, 1
	s_addc_u32 s45, s43, 0
	s_andn2_b64 s[40:41], s[40:41], exec
	s_waitcnt vmcnt(0)
	v_cmp_ne_u16_e32 vcc, v45, v46
	s_and_b64 s[46:47], vcc, exec
	s_or_b64 s[40:41], s[40:41], s[46:47]
.LBB214_265:                            ;   in Loop: Header=BB214_266 Depth=1
	s_and_b64 s[46:47], exec, s[40:41]
	s_or_b64 s[16:17], s[46:47], s[16:17]
	v_mov_b64_e32 v[34:35], s[42:43]
	s_mov_b64 s[42:43], s[44:45]
	s_andn2_b64 exec, exec, s[16:17]
	s_cbranch_execz .LBB214_268
.LBB214_266:                            ; =>This Inner Loop Header: Depth=1
	s_or_b64 s[40:41], s[40:41], exec
	s_cmp_eq_u64 s[26:27], s[42:43]
	s_cbranch_scc0 .LBB214_264
; %bb.267:                              ;   in Loop: Header=BB214_266 Depth=1
                                        ; implicit-def: $sgpr44_sgpr45
	s_mov_b64 s[42:43], s[26:27]
	s_branch .LBB214_265
.LBB214_268:
	s_or_b64 exec, exec, s[16:17]
	v_cmp_gt_i64_e32 vcc, s[26:27], v[34:35]
	s_orn2_b64 s[16:17], vcc, exec
.LBB214_269:
	s_or_b64 exec, exec, s[4:5]
.LBB214_270:
	s_and_b64 s[4:5], s[16:17], exec
.LBB214_271:
	s_or_b64 exec, exec, s[14:15]
	v_cmp_gt_u32_e32 vcc, s54, v43
	s_and_saveexec_b64 s[14:15], vcc
	s_cbranch_execz .LBB214_282
; %bb.272:
	s_andn2_b64 vcc, exec, s[6:7]
	s_mov_b64 s[16:17], 0
	s_cbranch_vccnz .LBB214_281
; %bb.273:
	v_mov_b64_e32 v[32:33], s[36:37]
	s_waitcnt vmcnt(0) lgkmcnt(1)
	v_mad_u64_u32 v[30:31], s[12:13], v14, s26, v[32:33]
	v_mul_lo_u32 v34, v14, s27
	v_mul_lo_u32 v35, v15, s26
	v_add3_u32 v31, v35, v31, v34
	v_mad_u64_u32 v[32:33], s[12:13], v16, s26, v[32:33]
	v_mul_lo_u32 v34, v16, s27
	v_mul_lo_u32 v35, v17, s26
	v_add3_u32 v33, v35, v33, v34
	global_load_ubyte v34, v[30:31], off
	global_load_ubyte v35, v[32:33], off
	s_mov_b64 s[16:17], -1
	s_waitcnt vmcnt(0)
	v_cmp_eq_u16_e32 vcc, v34, v35
	s_and_saveexec_b64 s[12:13], vcc
	s_cbranch_execz .LBB214_280
; %bb.274:
	s_mov_b64 s[42:43], 1
	s_mov_b64 s[16:17], 0
                                        ; implicit-def: $sgpr40_sgpr41
	s_branch .LBB214_277
.LBB214_275:                            ;   in Loop: Header=BB214_277 Depth=1
	v_lshl_add_u64 v[34:35], v[30:31], 0, s[42:43]
	v_lshl_add_u64 v[36:37], v[32:33], 0, s[42:43]
	global_load_ubyte v45, v[34:35], off
	global_load_ubyte v46, v[36:37], off
	s_add_u32 s44, s42, 1
	s_addc_u32 s45, s43, 0
	s_andn2_b64 s[40:41], s[40:41], exec
	s_waitcnt vmcnt(0)
	v_cmp_ne_u16_e32 vcc, v45, v46
	s_and_b64 s[46:47], vcc, exec
	s_or_b64 s[40:41], s[40:41], s[46:47]
.LBB214_276:                            ;   in Loop: Header=BB214_277 Depth=1
	s_and_b64 s[46:47], exec, s[40:41]
	s_or_b64 s[16:17], s[46:47], s[16:17]
	v_mov_b64_e32 v[34:35], s[42:43]
	s_mov_b64 s[42:43], s[44:45]
	s_andn2_b64 exec, exec, s[16:17]
	s_cbranch_execz .LBB214_279
.LBB214_277:                            ; =>This Inner Loop Header: Depth=1
	s_or_b64 s[40:41], s[40:41], exec
	s_cmp_eq_u64 s[26:27], s[42:43]
	s_cbranch_scc0 .LBB214_275
; %bb.278:                              ;   in Loop: Header=BB214_277 Depth=1
                                        ; implicit-def: $sgpr44_sgpr45
	s_mov_b64 s[42:43], s[26:27]
	s_branch .LBB214_276
.LBB214_279:
	s_or_b64 exec, exec, s[16:17]
	v_cmp_gt_i64_e32 vcc, s[26:27], v[34:35]
	s_orn2_b64 s[16:17], vcc, exec
.LBB214_280:
	s_or_b64 exec, exec, s[12:13]
.LBB214_281:
	s_and_b64 s[12:13], s[16:17], exec
.LBB214_282:
	s_or_b64 exec, exec, s[14:15]
	v_cmp_gt_u32_e32 vcc, s54, v39
	s_mov_b64 s[16:17], 0
	s_mov_b64 s[14:15], 0
	s_and_saveexec_b64 s[40:41], vcc
	s_cbranch_execz .LBB214_293
; %bb.283:
	s_andn2_b64 vcc, exec, s[6:7]
	s_mov_b64 s[42:43], 0
	s_cbranch_vccnz .LBB214_292
; %bb.284:
	v_mov_b64_e32 v[32:33], s[36:37]
	s_waitcnt vmcnt(0) lgkmcnt(1)
	v_mad_u64_u32 v[30:31], s[14:15], v20, s26, v[32:33]
	v_mul_lo_u32 v34, v20, s27
	v_mul_lo_u32 v35, v21, s26
	v_add3_u32 v31, v35, v31, v34
	v_mad_u64_u32 v[32:33], s[14:15], v14, s26, v[32:33]
	v_mul_lo_u32 v34, v14, s27
	v_mul_lo_u32 v35, v15, s26
	v_add3_u32 v33, v35, v33, v34
	global_load_ubyte v34, v[30:31], off
	global_load_ubyte v35, v[32:33], off
	s_mov_b64 s[42:43], -1
	s_waitcnt vmcnt(0)
	v_cmp_eq_u16_e32 vcc, v34, v35
	s_and_saveexec_b64 s[14:15], vcc
	s_cbranch_execz .LBB214_291
; %bb.285:
	s_mov_b64 s[46:47], 1
	s_mov_b64 s[42:43], 0
                                        ; implicit-def: $sgpr44_sgpr45
	s_branch .LBB214_288
.LBB214_286:                            ;   in Loop: Header=BB214_288 Depth=1
	v_lshl_add_u64 v[34:35], v[30:31], 0, s[46:47]
	v_lshl_add_u64 v[36:37], v[32:33], 0, s[46:47]
	global_load_ubyte v45, v[34:35], off
	global_load_ubyte v46, v[36:37], off
	s_add_u32 s48, s46, 1
	s_addc_u32 s49, s47, 0
	s_andn2_b64 s[44:45], s[44:45], exec
	s_waitcnt vmcnt(0)
	v_cmp_ne_u16_e32 vcc, v45, v46
	s_and_b64 s[50:51], vcc, exec
	s_or_b64 s[44:45], s[44:45], s[50:51]
.LBB214_287:                            ;   in Loop: Header=BB214_288 Depth=1
	s_and_b64 s[50:51], exec, s[44:45]
	s_or_b64 s[42:43], s[50:51], s[42:43]
	v_mov_b64_e32 v[34:35], s[46:47]
	s_mov_b64 s[46:47], s[48:49]
	s_andn2_b64 exec, exec, s[42:43]
	s_cbranch_execz .LBB214_290
.LBB214_288:                            ; =>This Inner Loop Header: Depth=1
	s_or_b64 s[44:45], s[44:45], exec
	s_cmp_eq_u64 s[26:27], s[46:47]
	s_cbranch_scc0 .LBB214_286
; %bb.289:                              ;   in Loop: Header=BB214_288 Depth=1
                                        ; implicit-def: $sgpr48_sgpr49
	s_mov_b64 s[46:47], s[26:27]
	s_branch .LBB214_287
.LBB214_290:
	s_or_b64 exec, exec, s[42:43]
	v_cmp_gt_i64_e32 vcc, s[26:27], v[34:35]
	s_orn2_b64 s[42:43], vcc, exec
.LBB214_291:
	s_or_b64 exec, exec, s[14:15]
.LBB214_292:
	s_and_b64 s[14:15], s[42:43], exec
.LBB214_293:
	s_or_b64 exec, exec, s[40:41]
	v_cmp_gt_u32_e32 vcc, s54, v42
	s_and_saveexec_b64 s[40:41], vcc
	s_cbranch_execz .LBB214_304
; %bb.294:
	s_andn2_b64 vcc, exec, s[6:7]
	s_mov_b64 s[42:43], 0
	s_cbranch_vccnz .LBB214_303
; %bb.295:
	v_mov_b64_e32 v[32:33], s[36:37]
	s_waitcnt vmcnt(0) lgkmcnt(1)
	v_mad_u64_u32 v[30:31], s[16:17], v18, s26, v[32:33]
	v_mul_lo_u32 v34, v18, s27
	v_mul_lo_u32 v35, v19, s26
	v_add3_u32 v31, v35, v31, v34
	v_mad_u64_u32 v[32:33], s[16:17], v20, s26, v[32:33]
	v_mul_lo_u32 v34, v20, s27
	v_mul_lo_u32 v35, v21, s26
	v_add3_u32 v33, v35, v33, v34
	global_load_ubyte v34, v[30:31], off
	global_load_ubyte v35, v[32:33], off
	s_mov_b64 s[42:43], -1
	s_waitcnt vmcnt(0)
	v_cmp_eq_u16_e32 vcc, v34, v35
	s_and_saveexec_b64 s[16:17], vcc
	s_cbranch_execz .LBB214_302
; %bb.296:
	s_mov_b64 s[46:47], 1
	s_mov_b64 s[42:43], 0
                                        ; implicit-def: $sgpr44_sgpr45
	s_branch .LBB214_299
.LBB214_297:                            ;   in Loop: Header=BB214_299 Depth=1
	v_lshl_add_u64 v[34:35], v[30:31], 0, s[46:47]
	v_lshl_add_u64 v[36:37], v[32:33], 0, s[46:47]
	global_load_ubyte v45, v[34:35], off
	global_load_ubyte v46, v[36:37], off
	s_add_u32 s48, s46, 1
	s_addc_u32 s49, s47, 0
	s_andn2_b64 s[44:45], s[44:45], exec
	s_waitcnt vmcnt(0)
	v_cmp_ne_u16_e32 vcc, v45, v46
	s_and_b64 s[50:51], vcc, exec
	s_or_b64 s[44:45], s[44:45], s[50:51]
.LBB214_298:                            ;   in Loop: Header=BB214_299 Depth=1
	s_and_b64 s[50:51], exec, s[44:45]
	s_or_b64 s[42:43], s[50:51], s[42:43]
	v_mov_b64_e32 v[34:35], s[46:47]
	s_mov_b64 s[46:47], s[48:49]
	s_andn2_b64 exec, exec, s[42:43]
	s_cbranch_execz .LBB214_301
.LBB214_299:                            ; =>This Inner Loop Header: Depth=1
	s_or_b64 s[44:45], s[44:45], exec
	s_cmp_eq_u64 s[26:27], s[46:47]
	s_cbranch_scc0 .LBB214_297
; %bb.300:                              ;   in Loop: Header=BB214_299 Depth=1
                                        ; implicit-def: $sgpr48_sgpr49
	s_mov_b64 s[46:47], s[26:27]
	s_branch .LBB214_298
.LBB214_301:
	s_or_b64 exec, exec, s[42:43]
	v_cmp_gt_i64_e32 vcc, s[26:27], v[34:35]
	s_orn2_b64 s[42:43], vcc, exec
.LBB214_302:
	s_or_b64 exec, exec, s[16:17]
.LBB214_303:
	s_and_b64 s[16:17], s[42:43], exec
.LBB214_304:
	s_or_b64 exec, exec, s[40:41]
	v_cmp_gt_u32_e32 vcc, s54, v38
	s_mov_b64 s[40:41], 0
	s_mov_b64 s[42:43], 0
	s_and_saveexec_b64 s[44:45], vcc
	s_cbranch_execz .LBB214_315
; %bb.305:
	s_andn2_b64 vcc, exec, s[6:7]
	s_mov_b64 s[46:47], 0
	s_cbranch_vccnz .LBB214_314
; %bb.306:
	v_mov_b64_e32 v[32:33], s[36:37]
	s_waitcnt vmcnt(0) lgkmcnt(1)
	v_mad_u64_u32 v[30:31], s[42:43], v24, s26, v[32:33]
	v_mul_lo_u32 v34, v24, s27
	v_mul_lo_u32 v35, v25, s26
	v_add3_u32 v31, v35, v31, v34
	v_mad_u64_u32 v[32:33], s[42:43], v18, s26, v[32:33]
	v_mul_lo_u32 v34, v18, s27
	v_mul_lo_u32 v35, v19, s26
	v_add3_u32 v33, v35, v33, v34
	global_load_ubyte v34, v[30:31], off
	global_load_ubyte v35, v[32:33], off
	s_mov_b64 s[46:47], -1
	s_waitcnt vmcnt(0)
	v_cmp_eq_u16_e32 vcc, v34, v35
	s_and_saveexec_b64 s[42:43], vcc
	s_cbranch_execz .LBB214_313
; %bb.307:
	s_mov_b64 s[50:51], 1
	s_mov_b64 s[46:47], 0
                                        ; implicit-def: $sgpr48_sgpr49
	s_branch .LBB214_310
.LBB214_308:                            ;   in Loop: Header=BB214_310 Depth=1
	v_lshl_add_u64 v[34:35], v[30:31], 0, s[50:51]
	v_lshl_add_u64 v[36:37], v[32:33], 0, s[50:51]
	global_load_ubyte v34, v[34:35], off
	s_nop 0
	global_load_ubyte v35, v[36:37], off
	s_add_u32 s52, s50, 1
	s_addc_u32 s53, s51, 0
	s_andn2_b64 s[48:49], s[48:49], exec
	s_waitcnt vmcnt(0)
	v_cmp_ne_u16_e32 vcc, v34, v35
	s_and_b64 s[56:57], vcc, exec
	s_or_b64 s[48:49], s[48:49], s[56:57]
.LBB214_309:                            ;   in Loop: Header=BB214_310 Depth=1
	s_and_b64 s[56:57], exec, s[48:49]
	s_or_b64 s[46:47], s[56:57], s[46:47]
	v_mov_b64_e32 v[34:35], s[50:51]
	s_mov_b64 s[50:51], s[52:53]
	s_andn2_b64 exec, exec, s[46:47]
	s_cbranch_execz .LBB214_312
.LBB214_310:                            ; =>This Inner Loop Header: Depth=1
	s_or_b64 s[48:49], s[48:49], exec
	s_cmp_eq_u64 s[26:27], s[50:51]
	s_cbranch_scc0 .LBB214_308
; %bb.311:                              ;   in Loop: Header=BB214_310 Depth=1
                                        ; implicit-def: $sgpr52_sgpr53
	s_mov_b64 s[50:51], s[26:27]
	s_branch .LBB214_309
.LBB214_312:
	s_or_b64 exec, exec, s[46:47]
	v_cmp_gt_i64_e32 vcc, s[26:27], v[34:35]
	s_orn2_b64 s[46:47], vcc, exec
.LBB214_313:
	s_or_b64 exec, exec, s[42:43]
.LBB214_314:
	s_and_b64 s[42:43], s[46:47], exec
.LBB214_315:
	s_or_b64 exec, exec, s[44:45]
	v_cmp_gt_u32_e32 vcc, s54, v41
	s_and_saveexec_b64 s[44:45], vcc
	s_cbranch_execz .LBB214_326
; %bb.316:
	s_andn2_b64 vcc, exec, s[6:7]
	s_mov_b64 s[46:47], 0
	s_cbranch_vccnz .LBB214_325
; %bb.317:
	v_mov_b64_e32 v[32:33], s[36:37]
	s_waitcnt vmcnt(0) lgkmcnt(1)
	v_mad_u64_u32 v[30:31], s[40:41], v22, s26, v[32:33]
	v_mul_lo_u32 v34, v22, s27
	v_mul_lo_u32 v35, v23, s26
	v_add3_u32 v31, v35, v31, v34
	v_mad_u64_u32 v[32:33], s[40:41], v24, s26, v[32:33]
	v_mul_lo_u32 v34, v24, s27
	v_mul_lo_u32 v35, v25, s26
	v_add3_u32 v33, v35, v33, v34
	global_load_ubyte v34, v[30:31], off
	global_load_ubyte v35, v[32:33], off
	s_mov_b64 s[46:47], -1
	s_waitcnt vmcnt(0)
	v_cmp_eq_u16_e32 vcc, v34, v35
	s_and_saveexec_b64 s[40:41], vcc
	s_cbranch_execz .LBB214_324
; %bb.318:
	s_mov_b64 s[50:51], 1
	s_mov_b64 s[46:47], 0
                                        ; implicit-def: $sgpr48_sgpr49
	s_branch .LBB214_321
.LBB214_319:                            ;   in Loop: Header=BB214_321 Depth=1
	v_lshl_add_u64 v[34:35], v[30:31], 0, s[50:51]
	v_lshl_add_u64 v[36:37], v[32:33], 0, s[50:51]
	global_load_ubyte v34, v[34:35], off
	s_nop 0
	global_load_ubyte v35, v[36:37], off
	s_add_u32 s52, s50, 1
	s_addc_u32 s53, s51, 0
	s_andn2_b64 s[48:49], s[48:49], exec
	s_waitcnt vmcnt(0)
	v_cmp_ne_u16_e32 vcc, v34, v35
	s_and_b64 s[56:57], vcc, exec
	s_or_b64 s[48:49], s[48:49], s[56:57]
.LBB214_320:                            ;   in Loop: Header=BB214_321 Depth=1
	s_and_b64 s[56:57], exec, s[48:49]
	s_or_b64 s[46:47], s[56:57], s[46:47]
	v_mov_b64_e32 v[34:35], s[50:51]
	s_mov_b64 s[50:51], s[52:53]
	s_andn2_b64 exec, exec, s[46:47]
	s_cbranch_execz .LBB214_323
.LBB214_321:                            ; =>This Inner Loop Header: Depth=1
	s_or_b64 s[48:49], s[48:49], exec
	s_cmp_eq_u64 s[26:27], s[50:51]
	s_cbranch_scc0 .LBB214_319
; %bb.322:                              ;   in Loop: Header=BB214_321 Depth=1
                                        ; implicit-def: $sgpr52_sgpr53
	s_mov_b64 s[50:51], s[26:27]
	s_branch .LBB214_320
.LBB214_323:
	s_or_b64 exec, exec, s[46:47]
	v_cmp_gt_i64_e32 vcc, s[26:27], v[34:35]
	s_orn2_b64 s[46:47], vcc, exec
.LBB214_324:
	s_or_b64 exec, exec, s[40:41]
.LBB214_325:
	s_and_b64 s[40:41], s[46:47], exec
.LBB214_326:
	s_or_b64 exec, exec, s[44:45]
	s_waitcnt vmcnt(0) lgkmcnt(1)
	v_cndmask_b32_e64 v31, 0, 1, s[16:17]
	v_cndmask_b32_e64 v30, 0, 1, s[42:43]
	;; [unrolled: 1-line block ×3, first 2 shown]
	v_lshlrev_b16_e32 v31, 8, v31
	v_cndmask_b32_e64 v46, 0, 1, s[14:15]
	v_cndmask_b32_e64 v32, 0, 1, s[40:41]
	v_or_b32_sdwa v30, v30, v31 dst_sel:WORD_1 dst_unused:UNUSED_PAD src0_sel:DWORD src1_sel:DWORD
	v_lshlrev_b16_e32 v31, 8, v47
	v_lshlrev_b16_e32 v32, 8, v32
	v_or_b32_e32 v31, v46, v31
	v_or_b32_e32 v32, 1, v32
	v_and_b32_e32 v31, 0xffff, v31
	v_cndmask_b32_e64 v48, 0, 1, s[4:5]
	v_or_b32_sdwa v30, v32, v30 dst_sel:DWORD dst_unused:UNUSED_PAD src0_sel:WORD_0 src1_sel:DWORD
	v_lshl_or_b32 v31, v48, 16, v31
	s_waitcnt lgkmcnt(0)
	s_barrier
	s_waitcnt lgkmcnt(0)
                                        ; implicit-def: $sgpr14_sgpr15
                                        ; implicit-def: $vgpr34
	s_and_saveexec_b64 s[4:5], s[2:3]
	s_cbranch_execz .LBB214_339
; %bb.327:
	v_cmp_gt_u32_e32 vcc, s54, v1
	s_mov_b32 s40, 0x3020104
	s_mov_b64 s[12:13], 0
	s_and_saveexec_b64 s[2:3], vcc
	s_cbranch_execz .LBB214_338
; %bb.328:
	s_andn2_b64 vcc, exec, s[6:7]
	s_cbranch_vccnz .LBB214_337
; %bb.329:
	v_add_u32_e32 v31, -8, v44
	ds_read_b64 v[32:33], v31
	v_mov_b64_e32 v[34:35], s[36:37]
	s_mov_b64 s[12:13], -1
	s_waitcnt lgkmcnt(0)
	v_mul_lo_u32 v31, v32, s27
	v_mul_lo_u32 v36, v33, s26
	v_mad_u64_u32 v[32:33], s[6:7], v32, s26, v[34:35]
	v_add3_u32 v33, v36, v33, v31
	v_mad_u64_u32 v[34:35], s[6:7], v22, s26, v[34:35]
	v_mul_lo_u32 v31, v22, s27
	v_mul_lo_u32 v36, v23, s26
	v_add3_u32 v35, v36, v35, v31
	global_load_ubyte v31, v[32:33], off
	global_load_ubyte v36, v[34:35], off
	s_waitcnt vmcnt(0)
	v_cmp_eq_u16_e32 vcc, v31, v36
	s_and_saveexec_b64 s[6:7], vcc
	s_cbranch_execz .LBB214_336
; %bb.330:
	s_mov_b64 s[16:17], 1
	s_mov_b64 s[12:13], 0
                                        ; implicit-def: $sgpr14_sgpr15
	s_branch .LBB214_333
.LBB214_331:                            ;   in Loop: Header=BB214_333 Depth=1
	v_lshl_add_u64 v[36:37], v[32:33], 0, s[16:17]
	v_lshl_add_u64 v[44:45], v[34:35], 0, s[16:17]
	global_load_ubyte v31, v[36:37], off
	global_load_ubyte v49, v[44:45], off
	s_add_u32 s36, s16, 1
	s_addc_u32 s37, s17, 0
	s_andn2_b64 s[14:15], s[14:15], exec
	s_waitcnt vmcnt(0)
	v_cmp_ne_u16_e32 vcc, v31, v49
	s_and_b64 s[42:43], vcc, exec
	s_or_b64 s[14:15], s[14:15], s[42:43]
.LBB214_332:                            ;   in Loop: Header=BB214_333 Depth=1
	s_and_b64 s[42:43], exec, s[14:15]
	s_or_b64 s[12:13], s[42:43], s[12:13]
	v_mov_b64_e32 v[36:37], s[16:17]
	s_mov_b64 s[16:17], s[36:37]
	s_andn2_b64 exec, exec, s[12:13]
	s_cbranch_execz .LBB214_335
.LBB214_333:                            ; =>This Inner Loop Header: Depth=1
	s_or_b64 s[14:15], s[14:15], exec
	s_cmp_eq_u64 s[26:27], s[16:17]
	s_cbranch_scc0 .LBB214_331
; %bb.334:                              ;   in Loop: Header=BB214_333 Depth=1
                                        ; implicit-def: $sgpr36_sgpr37
	s_mov_b64 s[16:17], s[26:27]
	s_branch .LBB214_332
.LBB214_335:
	s_or_b64 exec, exec, s[12:13]
	v_cmp_gt_i64_e32 vcc, s[26:27], v[36:37]
	s_orn2_b64 s[12:13], vcc, exec
.LBB214_336:
	s_or_b64 exec, exec, s[6:7]
.LBB214_337:
	s_and_b64 s[12:13], s[12:13], exec
.LBB214_338:
	s_or_b64 exec, exec, s[2:3]
	v_perm_b32 v34, v30, v30, s40
	s_and_b64 s[14:15], s[12:13], exec
	s_or_b64 s[10:11], s[10:11], exec
                                        ; implicit-def: $vgpr30_vgpr31
.LBB214_339:
	s_or_b64 exec, exec, s[4:5]
.LBB214_340:
	s_and_saveexec_b64 s[2:3], s[10:11]
	s_cbranch_execz .LBB214_342
; %bb.341:
	s_waitcnt vmcnt(0) lgkmcnt(0)
	v_lshlrev_b16_e32 v31, 8, v47
	v_and_b32_e32 v32, 0xff, v48
	v_or_b32_sdwa v31, v46, v31 dst_sel:DWORD dst_unused:UNUSED_PAD src0_sel:BYTE_0 src1_sel:DWORD
	v_lshlrev_b32_e32 v32, 16, v32
	s_movk_i32 s4, 0xff
	v_or_b32_sdwa v31, v31, v32 dst_sel:DWORD dst_unused:UNUSED_PAD src0_sel:WORD_0 src1_sel:DWORD
	v_lshrrev_b32_e32 v32, 24, v34
	v_lshlrev_b16_e32 v32, 8, v32
	v_and_b32_sdwa v33, v34, s4 dst_sel:DWORD dst_unused:UNUSED_PAD src0_sel:WORD_1 src1_sel:DWORD
	v_or_b32_sdwa v32, v33, v32 dst_sel:WORD_1 dst_unused:UNUSED_PAD src0_sel:DWORD src1_sel:DWORD
	v_mov_b32_e32 v33, 8
	v_cndmask_b32_e64 v30, 0, 1, s[14:15]
	v_lshrrev_b32_sdwa v33, v33, v34 dst_sel:BYTE_1 dst_unused:UNUSED_PAD src0_sel:DWORD src1_sel:DWORD
	s_nop 0
	v_or_b32_e32 v30, v30, v33
	v_or_b32_sdwa v30, v30, v32 dst_sel:DWORD dst_unused:UNUSED_PAD src0_sel:WORD_0 src1_sel:DWORD
.LBB214_342:
	s_or_b64 exec, exec, s[2:3]
	s_andn2_b64 vcc, exec, s[8:9]
	s_cbranch_vccnz .LBB214_344
; %bb.343:
	s_waitcnt vmcnt(0) lgkmcnt(0)
	v_and_b32_e32 v32, 0xffff0000, v30
	v_cmp_gt_u32_e32 vcc, s54, v1
	s_mov_b32 s2, 0x40c0100
	s_nop 0
	v_cndmask_b32_e32 v1, v32, v30, vcc
	v_and_b32_e32 v1, 0xffff00ff, v1
	v_cmp_gt_u32_e32 vcc, s54, v41
	s_nop 1
	v_cndmask_b32_e32 v1, v1, v30, vcc
	v_lshrrev_b32_e32 v32, 24, v1
	v_perm_b32 v1, v32, v1, s2
	v_cmp_gt_u32_e32 vcc, s54, v38
	v_and_b32_e32 v32, 0xffffff00, v31
	s_nop 0
	v_cndmask_b32_e32 v1, v1, v30, vcc
	v_and_b32_e32 v1, 0xffffff, v1
	v_cmp_gt_u32_e32 vcc, s54, v42
	s_nop 1
	v_cndmask_b32_e32 v1, v1, v30, vcc
	v_cmp_gt_u32_e32 vcc, s54, v39
	s_nop 1
	v_cndmask_b32_e32 v32, v32, v31, vcc
	v_and_b32_e32 v32, 0xffff00ff, v32
	v_cndmask_b32_e32 v1, v1, v30, vcc
	v_cmp_gt_u32_e32 vcc, s54, v43
	s_nop 1
	v_cndmask_b32_e32 v32, v32, v31, vcc
	v_lshrrev_b32_e32 v33, 24, v32
	v_cndmask_b32_e32 v1, v1, v30, vcc
	v_perm_b32 v32, v33, v32, s2
	v_cmp_gt_u32_e32 vcc, s54, v40
	s_mov_b32 s2, 0x3020104
	s_nop 0
	v_cndmask_b32_e32 v1, v1, v30, vcc
	v_cndmask_b32_e32 v30, v32, v31, vcc
	v_mov_b32_e32 v31, 8
	v_lshrrev_b32_sdwa v31, v31, v30 dst_sel:BYTE_1 dst_unused:UNUSED_PAD src0_sel:DWORD src1_sel:DWORD
	s_nop 0
	v_or_b32_sdwa v31, v30, v31 dst_sel:DWORD dst_unused:UNUSED_PAD src0_sel:BYTE_0 src1_sel:DWORD
	v_and_b32_e32 v31, 0xffff, v31
	v_bfe_u32 v30, v30, 16, 8
	v_lshl_or_b32 v31, v30, 16, v31
	v_perm_b32 v30, v1, v1, s2
.LBB214_344:
	s_waitcnt vmcnt(0) lgkmcnt(0)
	v_and_b32_e32 v1, 0xff, v30
	v_bfe_u32 v43, v30, 8, 8
	v_bfe_u32 v45, v30, 16, 8
	v_alignbit_b32 v32, v31, v30, 24
	v_and_b32_e32 v47, 0xff, v32
	v_and_b32_e32 v48, 0xff, v31
	v_add3_u32 v33, v43, v1, v45
	v_bfe_u32 v49, v31, 8, 8
	v_bfe_u32 v32, v31, 16, 8
	v_add3_u32 v33, v33, v47, v48
	v_add3_u32 v52, v33, v49, v32
	v_mbcnt_lo_u32_b32 v32, -1, 0
	v_mbcnt_hi_u32_b32 v50, -1, v32
	v_and_b32_e32 v32, 15, v50
	v_cmp_eq_u32_e64 s[14:15], 0, v32
	v_cmp_lt_u32_e64 s[12:13], 1, v32
	v_cmp_lt_u32_e64 s[10:11], 3, v32
	;; [unrolled: 1-line block ×3, first 2 shown]
	v_and_b32_e32 v32, 16, v50
	v_cmp_eq_u32_e64 s[6:7], 0, v32
	v_or_b32_e32 v32, 63, v0
	v_cmp_lt_u32_e64 s[2:3], 31, v50
	v_lshrrev_b32_e32 v51, 6, v0
	v_cmp_eq_u32_e64 s[4:5], v32, v0
	s_and_b64 vcc, exec, s[0:1]
	s_barrier
	s_cbranch_vccz .LBB214_375
; %bb.345:
	v_mov_b32_dpp v32, v52 row_shr:1 row_mask:0xf bank_mask:0xf
	v_cndmask_b32_e64 v32, v32, 0, s[14:15]
	v_add_u32_e32 v32, v32, v52
	s_nop 1
	v_mov_b32_dpp v33, v32 row_shr:2 row_mask:0xf bank_mask:0xf
	v_cndmask_b32_e64 v33, 0, v33, s[12:13]
	v_add_u32_e32 v32, v32, v33
	s_nop 1
	;; [unrolled: 4-line block ×4, first 2 shown]
	v_mov_b32_dpp v33, v32 row_bcast:15 row_mask:0xf bank_mask:0xf
	v_cndmask_b32_e64 v33, v33, 0, s[6:7]
	v_add_u32_e32 v32, v32, v33
	s_nop 1
	v_mov_b32_dpp v33, v32 row_bcast:31 row_mask:0xf bank_mask:0xf
	v_cndmask_b32_e64 v33, 0, v33, s[2:3]
	v_add_u32_e32 v32, v32, v33
	s_and_saveexec_b64 s[0:1], s[4:5]
	s_cbranch_execz .LBB214_347
; %bb.346:
	v_lshlrev_b32_e32 v33, 2, v51
	ds_write_b32 v33, v32
.LBB214_347:
	s_or_b64 exec, exec, s[0:1]
	v_cmp_gt_u32_e32 vcc, 8, v0
	s_waitcnt lgkmcnt(0)
	s_barrier
	s_and_saveexec_b64 s[0:1], vcc
	s_cbranch_execz .LBB214_349
; %bb.348:
	v_lshlrev_b32_e32 v33, 2, v0
	ds_read_b32 v34, v33
	v_and_b32_e32 v35, 7, v50
	v_cmp_ne_u32_e32 vcc, 0, v35
	s_waitcnt lgkmcnt(0)
	v_mov_b32_dpp v36, v34 row_shr:1 row_mask:0xf bank_mask:0xf
	v_cndmask_b32_e32 v36, 0, v36, vcc
	v_add_u32_e32 v34, v36, v34
	v_cmp_lt_u32_e32 vcc, 1, v35
	s_nop 0
	v_mov_b32_dpp v36, v34 row_shr:2 row_mask:0xf bank_mask:0xf
	v_cndmask_b32_e32 v36, 0, v36, vcc
	v_add_u32_e32 v34, v34, v36
	v_cmp_lt_u32_e32 vcc, 3, v35
	s_nop 0
	v_mov_b32_dpp v36, v34 row_shr:4 row_mask:0xf bank_mask:0xf
	v_cndmask_b32_e32 v35, 0, v36, vcc
	v_add_u32_e32 v34, v34, v35
	ds_write_b32 v33, v34
.LBB214_349:
	s_or_b64 exec, exec, s[0:1]
	v_cmp_gt_u32_e32 vcc, 64, v0
	v_cmp_lt_u32_e64 s[0:1], 63, v0
	s_waitcnt lgkmcnt(0)
	s_barrier
	s_waitcnt lgkmcnt(0)
                                        ; implicit-def: $vgpr42
	s_and_saveexec_b64 s[16:17], s[0:1]
	s_cbranch_execz .LBB214_351
; %bb.350:
	v_lshl_add_u32 v33, v51, 2, -4
	ds_read_b32 v42, v33
	s_waitcnt lgkmcnt(0)
	v_add_u32_e32 v32, v42, v32
.LBB214_351:
	s_or_b64 exec, exec, s[16:17]
	v_add_u32_e32 v33, -1, v50
	v_and_b32_e32 v34, 64, v50
	v_cmp_lt_i32_e64 s[0:1], v33, v34
	v_cmp_eq_u32_e64 s[16:17], 0, v50
	s_nop 0
	v_cndmask_b32_e64 v33, v33, v50, s[0:1]
	v_lshlrev_b32_e32 v33, 2, v33
	ds_bpermute_b32 v44, v33, v32
	s_and_saveexec_b64 s[0:1], vcc
	s_cbranch_execz .LBB214_374
; %bb.352:
	v_mov_b32_e32 v41, 0
	ds_read_b32 v32, v41 offset:28
	s_and_saveexec_b64 s[26:27], s[16:17]
	s_cbranch_execz .LBB214_354
; %bb.353:
	s_add_i32 s36, s33, 64
	s_mov_b32 s37, 0
	s_lshl_b64 s[36:37], s[36:37], 3
	s_add_u32 s36, s38, s36
	v_mov_b32_e32 v33, 1
	s_addc_u32 s37, s39, s37
	s_waitcnt lgkmcnt(0)
	global_store_dwordx2 v41, v[32:33], s[36:37] sc1
.LBB214_354:
	s_or_b64 exec, exec, s[26:27]
	v_xad_u32 v34, v50, -1, s33
	v_add_u32_e32 v40, 64, v34
	v_lshl_add_u64 v[36:37], v[40:41], 3, s[38:39]
	global_load_dwordx2 v[38:39], v[36:37], off sc1
	s_waitcnt vmcnt(0)
	v_cmp_eq_u16_sdwa s[36:37], v39, v41 src0_sel:BYTE_0 src1_sel:DWORD
	s_and_saveexec_b64 s[26:27], s[36:37]
	s_cbranch_execz .LBB214_360
; %bb.355:
	s_mov_b32 s40, 1
	s_mov_b64 s[36:37], 0
	v_mov_b32_e32 v33, 0
.LBB214_356:                            ; =>This Loop Header: Depth=1
                                        ;     Child Loop BB214_357 Depth 2
	s_max_u32 s41, s40, 1
.LBB214_357:                            ;   Parent Loop BB214_356 Depth=1
                                        ; =>  This Inner Loop Header: Depth=2
	s_add_i32 s41, s41, -1
	s_cmp_eq_u32 s41, 0
	s_sleep 1
	s_cbranch_scc0 .LBB214_357
; %bb.358:                              ;   in Loop: Header=BB214_356 Depth=1
	global_load_dwordx2 v[38:39], v[36:37], off sc1
	s_cmp_lt_u32 s40, 32
	s_cselect_b64 s[42:43], -1, 0
	s_cmp_lg_u64 s[42:43], 0
	s_addc_u32 s40, s40, 0
	s_waitcnt vmcnt(0)
	v_cmp_ne_u16_sdwa s[42:43], v39, v33 src0_sel:BYTE_0 src1_sel:DWORD
	s_or_b64 s[36:37], s[42:43], s[36:37]
	s_andn2_b64 exec, exec, s[36:37]
	s_cbranch_execnz .LBB214_356
; %bb.359:
	s_or_b64 exec, exec, s[36:37]
.LBB214_360:
	s_or_b64 exec, exec, s[26:27]
	v_and_b32_e32 v46, 63, v50
	v_mov_b32_e32 v33, 2
	v_cmp_ne_u32_e32 vcc, 63, v46
	v_cmp_eq_u16_sdwa s[26:27], v39, v33 src0_sel:BYTE_0 src1_sel:DWORD
	v_lshlrev_b64 v[36:37], v50, -1
	v_addc_co_u32_e32 v41, vcc, 0, v50, vcc
	v_and_b32_e32 v35, s27, v37
	v_lshlrev_b32_e32 v53, 2, v41
	v_or_b32_e32 v35, 0x80000000, v35
	ds_bpermute_b32 v41, v53, v38
	v_and_b32_e32 v40, s26, v36
	v_ffbl_b32_e32 v35, v35
	v_add_u32_e32 v35, 32, v35
	v_ffbl_b32_e32 v40, v40
	v_min_u32_e32 v35, v40, v35
	v_cmp_lt_u32_e32 vcc, v46, v35
	v_add_u32_e32 v55, 2, v46
	v_add_u32_e32 v57, 4, v46
	s_waitcnt lgkmcnt(0)
	v_cndmask_b32_e32 v40, 0, v41, vcc
	v_cmp_gt_u32_e32 vcc, 62, v46
	v_add_u32_e32 v38, v40, v38
	v_add_u32_e32 v59, 8, v46
	v_cndmask_b32_e64 v40, 0, 1, vcc
	v_lshlrev_b32_e32 v40, 1, v40
	v_add_lshl_u32 v54, v40, v50, 2
	ds_bpermute_b32 v40, v54, v38
	v_cmp_le_u32_e32 vcc, v55, v35
	v_add_u32_e32 v62, 16, v46
	v_add_u32_e32 v64, 32, v46
	s_waitcnt lgkmcnt(0)
	v_cndmask_b32_e32 v40, 0, v40, vcc
	v_cmp_gt_u32_e32 vcc, 60, v46
	v_add_u32_e32 v38, v38, v40
	s_nop 0
	v_cndmask_b32_e64 v40, 0, 1, vcc
	v_lshlrev_b32_e32 v40, 2, v40
	v_add_lshl_u32 v56, v40, v50, 2
	ds_bpermute_b32 v40, v56, v38
	v_cmp_le_u32_e32 vcc, v57, v35
	s_waitcnt lgkmcnt(0)
	s_nop 0
	v_cndmask_b32_e32 v40, 0, v40, vcc
	v_cmp_gt_u32_e32 vcc, 56, v46
	v_add_u32_e32 v38, v38, v40
	s_nop 0
	v_cndmask_b32_e64 v40, 0, 1, vcc
	v_lshlrev_b32_e32 v40, 3, v40
	v_add_lshl_u32 v58, v40, v50, 2
	ds_bpermute_b32 v40, v58, v38
	v_cmp_le_u32_e32 vcc, v59, v35
	s_waitcnt lgkmcnt(0)
	s_nop 0
	;; [unrolled: 11-line block ×4, first 2 shown]
	v_cndmask_b32_e32 v35, 0, v40, vcc
	v_add_u32_e32 v38, v38, v35
	v_mov_b32_e32 v35, 0
	s_branch .LBB214_362
.LBB214_361:                            ;   in Loop: Header=BB214_362 Depth=1
	s_or_b64 exec, exec, s[26:27]
	v_cmp_eq_u16_sdwa s[26:27], v39, v33 src0_sel:BYTE_0 src1_sel:DWORD
	ds_bpermute_b32 v65, v53, v38
	v_subrev_u32_e32 v34, 64, v34
	v_and_b32_e32 v40, s27, v37
	v_or_b32_e32 v40, 0x80000000, v40
	v_and_b32_e32 v41, s26, v36
	v_ffbl_b32_e32 v40, v40
	v_add_u32_e32 v40, 32, v40
	v_ffbl_b32_e32 v41, v41
	v_min_u32_e32 v40, v41, v40
	v_cmp_lt_u32_e32 vcc, v46, v40
	s_waitcnt lgkmcnt(0)
	s_nop 0
	v_cndmask_b32_e32 v41, 0, v65, vcc
	v_add_u32_e32 v38, v41, v38
	ds_bpermute_b32 v41, v54, v38
	v_cmp_le_u32_e32 vcc, v55, v40
	s_waitcnt lgkmcnt(0)
	s_nop 0
	v_cndmask_b32_e32 v41, 0, v41, vcc
	v_add_u32_e32 v38, v38, v41
	ds_bpermute_b32 v41, v56, v38
	v_cmp_le_u32_e32 vcc, v57, v40
	;; [unrolled: 6-line block ×5, first 2 shown]
	s_waitcnt lgkmcnt(0)
	s_nop 0
	v_cndmask_b32_e32 v40, 0, v41, vcc
	v_add3_u32 v38, v40, v60, v38
.LBB214_362:                            ; =>This Loop Header: Depth=1
                                        ;     Child Loop BB214_365 Depth 2
                                        ;       Child Loop BB214_366 Depth 3
	v_cmp_ne_u16_sdwa s[26:27], v39, v33 src0_sel:BYTE_0 src1_sel:DWORD
	v_mov_b32_e32 v60, v38
	s_nop 0
	v_cndmask_b32_e64 v39, 0, 1, s[26:27]
	;;#ASMSTART
	;;#ASMEND
	s_nop 0
	v_cmp_ne_u32_e32 vcc, 0, v39
	s_cmp_lg_u64 vcc, exec
	s_cbranch_scc1 .LBB214_369
; %bb.363:                              ;   in Loop: Header=BB214_362 Depth=1
	v_lshl_add_u64 v[40:41], v[34:35], 3, s[38:39]
	global_load_dwordx2 v[38:39], v[40:41], off sc1
	s_waitcnt vmcnt(0)
	v_cmp_eq_u16_sdwa s[36:37], v39, v35 src0_sel:BYTE_0 src1_sel:DWORD
	s_and_saveexec_b64 s[26:27], s[36:37]
	s_cbranch_execz .LBB214_361
; %bb.364:                              ;   in Loop: Header=BB214_362 Depth=1
	s_mov_b32 s40, 1
	s_mov_b64 s[36:37], 0
.LBB214_365:                            ;   Parent Loop BB214_362 Depth=1
                                        ; =>  This Loop Header: Depth=2
                                        ;       Child Loop BB214_366 Depth 3
	s_max_u32 s41, s40, 1
.LBB214_366:                            ;   Parent Loop BB214_362 Depth=1
                                        ;     Parent Loop BB214_365 Depth=2
                                        ; =>    This Inner Loop Header: Depth=3
	s_add_i32 s41, s41, -1
	s_cmp_eq_u32 s41, 0
	s_sleep 1
	s_cbranch_scc0 .LBB214_366
; %bb.367:                              ;   in Loop: Header=BB214_365 Depth=2
	global_load_dwordx2 v[38:39], v[40:41], off sc1
	s_cmp_lt_u32 s40, 32
	s_cselect_b64 s[42:43], -1, 0
	s_cmp_lg_u64 s[42:43], 0
	s_addc_u32 s40, s40, 0
	s_waitcnt vmcnt(0)
	v_cmp_ne_u16_sdwa s[42:43], v39, v35 src0_sel:BYTE_0 src1_sel:DWORD
	s_or_b64 s[36:37], s[42:43], s[36:37]
	s_andn2_b64 exec, exec, s[36:37]
	s_cbranch_execnz .LBB214_365
; %bb.368:                              ;   in Loop: Header=BB214_362 Depth=1
	s_or_b64 exec, exec, s[36:37]
	s_branch .LBB214_361
.LBB214_369:                            ;   in Loop: Header=BB214_362 Depth=1
                                        ; implicit-def: $vgpr38
                                        ; implicit-def: $vgpr39
	s_cbranch_execz .LBB214_362
; %bb.370:
	s_and_saveexec_b64 s[26:27], s[16:17]
	s_cbranch_execz .LBB214_372
; %bb.371:
	s_add_i32 s36, s33, 64
	s_mov_b32 s37, 0
	s_lshl_b64 s[36:37], s[36:37], 3
	s_add_u32 s36, s38, s36
	v_add_u32_e32 v34, v60, v32
	v_mov_b32_e32 v35, 2
	s_addc_u32 s37, s39, s37
	v_mov_b32_e32 v33, 0
	s_movk_i32 s33, 0x7000
	global_store_dwordx2 v33, v[34:35], s[36:37] sc1
	v_add_u32_e64 v33, s33, 0
	ds_write2_b32 v33, v32, v60 offset1:2
.LBB214_372:
	s_or_b64 exec, exec, s[26:27]
	s_and_b64 exec, exec, s[18:19]
	s_cbranch_execz .LBB214_374
; %bb.373:
	v_mov_b32_e32 v32, 0
	ds_write_b32 v32, v60 offset:28
.LBB214_374:
	s_or_b64 exec, exec, s[0:1]
	v_mov_b32_e32 v32, 0
	s_waitcnt lgkmcnt(0)
	s_barrier
	ds_read_b32 v32, v32 offset:28
	v_cndmask_b32_e64 v33, v44, v42, s[16:17]
	v_cndmask_b32_e64 v33, v33, 0, s[18:19]
	s_movk_i32 s0, 0x7000
	s_waitcnt lgkmcnt(0)
	v_add_u32_e32 v46, v32, v33
	v_add_u32_e64 v32, s0, 0
	v_add_u32_e32 v44, v46, v1
	s_barrier
	ds_read2_b32 v[32:33], v32 offset1:2
	v_add_u32_e32 v42, v44, v43
	v_add_u32_e32 v40, v42, v45
	v_add_u32_e32 v38, v40, v47
	v_add_u32_e32 v36, v38, v48
	v_add_u32_e32 v34, v36, v49
	s_waitcnt lgkmcnt(0)
	v_readfirstlane_b32 s26, v32
	v_readfirstlane_b32 s16, v33
	v_lshrrev_b64 v[32:33], 24, v[30:31]
	s_branch .LBB214_385
.LBB214_375:
                                        ; implicit-def: $vgpr34
                                        ; implicit-def: $vgpr36
                                        ; implicit-def: $vgpr38
                                        ; implicit-def: $vgpr40
                                        ; implicit-def: $vgpr42
                                        ; implicit-def: $vgpr44
                                        ; implicit-def: $vgpr46
                                        ; implicit-def: $sgpr16
                                        ; implicit-def: $sgpr26
	v_lshrrev_b64 v[32:33], 24, v[30:31]
	s_cbranch_execz .LBB214_385
; %bb.376:
	s_nop 0
	v_mov_b32_dpp v33, v52 row_shr:1 row_mask:0xf bank_mask:0xf
	v_cndmask_b32_e64 v33, v33, 0, s[14:15]
	v_add_u32_e32 v33, v33, v52
	s_nop 1
	v_mov_b32_dpp v34, v33 row_shr:2 row_mask:0xf bank_mask:0xf
	v_cndmask_b32_e64 v34, 0, v34, s[12:13]
	v_add_u32_e32 v33, v33, v34
	;; [unrolled: 4-line block ×4, first 2 shown]
	s_nop 1
	v_mov_b32_dpp v34, v33 row_bcast:15 row_mask:0xf bank_mask:0xf
	v_cndmask_b32_e64 v34, v34, 0, s[6:7]
	v_add_u32_e32 v33, v33, v34
	s_nop 1
	v_mov_b32_dpp v34, v33 row_bcast:31 row_mask:0xf bank_mask:0xf
	v_cndmask_b32_e64 v34, 0, v34, s[2:3]
	v_add_u32_e32 v33, v33, v34
	s_and_saveexec_b64 s[0:1], s[4:5]
	s_cbranch_execz .LBB214_378
; %bb.377:
	v_lshlrev_b32_e32 v34, 2, v51
	ds_write_b32 v34, v33
.LBB214_378:
	s_or_b64 exec, exec, s[0:1]
	v_cmp_gt_u32_e32 vcc, 8, v0
	s_waitcnt lgkmcnt(0)
	s_barrier
	s_and_saveexec_b64 s[0:1], vcc
	s_cbranch_execz .LBB214_380
; %bb.379:
	v_lshlrev_b32_e32 v34, 2, v0
	ds_read_b32 v35, v34
	v_and_b32_e32 v36, 7, v50
	v_cmp_ne_u32_e32 vcc, 0, v36
	s_waitcnt lgkmcnt(0)
	v_mov_b32_dpp v37, v35 row_shr:1 row_mask:0xf bank_mask:0xf
	v_cndmask_b32_e32 v37, 0, v37, vcc
	v_add_u32_e32 v35, v37, v35
	v_cmp_lt_u32_e32 vcc, 1, v36
	s_nop 0
	v_mov_b32_dpp v37, v35 row_shr:2 row_mask:0xf bank_mask:0xf
	v_cndmask_b32_e32 v37, 0, v37, vcc
	v_add_u32_e32 v35, v35, v37
	v_cmp_lt_u32_e32 vcc, 3, v36
	s_nop 0
	v_mov_b32_dpp v37, v35 row_shr:4 row_mask:0xf bank_mask:0xf
	v_cndmask_b32_e32 v36, 0, v37, vcc
	v_add_u32_e32 v35, v35, v36
	ds_write_b32 v34, v35
.LBB214_380:
	s_or_b64 exec, exec, s[0:1]
	v_cmp_lt_u32_e32 vcc, 63, v0
	v_mov_b32_e32 v35, 0
	v_mov_b32_e32 v34, 0
	s_waitcnt lgkmcnt(0)
	s_barrier
	s_and_saveexec_b64 s[0:1], vcc
	s_cbranch_execz .LBB214_382
; %bb.381:
	v_lshl_add_u32 v34, v51, 2, -4
	ds_read_b32 v34, v34
.LBB214_382:
	s_or_b64 exec, exec, s[0:1]
	v_add_u32_e32 v36, -1, v50
	v_and_b32_e32 v37, 64, v50
	v_cmp_lt_i32_e32 vcc, v36, v37
	s_waitcnt lgkmcnt(0)
	v_add_u32_e32 v33, v34, v33
	ds_read_b32 v35, v35 offset:28
	v_cndmask_b32_e32 v36, v36, v50, vcc
	v_lshlrev_b32_e32 v36, 2, v36
	ds_bpermute_b32 v33, v36, v33
	s_waitcnt lgkmcnt(1)
	v_readfirstlane_b32 s26, v35
	s_and_saveexec_b64 s[0:1], s[18:19]
	s_cbranch_execz .LBB214_384
; %bb.383:
	v_mov_b32_e32 v35, 0
	v_mov_b32_e32 v36, s26
	;; [unrolled: 1-line block ×3, first 2 shown]
	global_store_dwordx2 v35, v[36:37], s[38:39] offset:512 sc1
.LBB214_384:
	s_or_b64 exec, exec, s[0:1]
	v_cmp_eq_u32_e32 vcc, 0, v50
	s_mov_b32 s16, 0
	s_waitcnt lgkmcnt(0)
	v_cndmask_b32_e32 v33, v33, v34, vcc
	v_cndmask_b32_e64 v46, v33, 0, s[18:19]
	v_add_u32_e32 v44, v46, v1
	v_add_u32_e32 v42, v44, v43
	;; [unrolled: 1-line block ×6, first 2 shown]
	s_barrier
.LBB214_385:
	s_cmpk_lt_u32 s26, 0x201
	s_cselect_b64 s[2:3], -1, 0
	v_lshrrev_b32_e32 v33, 8, v30
	v_lshrrev_b32_e32 v1, 8, v31
	s_mov_b64 s[0:1], -1
	s_and_b64 vcc, exec, s[2:3]
	s_cbranch_vccz .LBB214_408
; %bb.386:
	s_add_i32 s4, s16, s26
	v_cmp_gt_u32_e32 vcc, s4, v46
	s_or_b64 s[6:7], s[34:35], vcc
	s_and_saveexec_b64 s[0:1], s[6:7]
	s_cbranch_execz .LBB214_389
; %bb.387:
	v_and_b32_e32 v35, 1, v30
	v_cmp_eq_u32_e32 vcc, 1, v35
	s_and_b64 exec, exec, vcc
	s_cbranch_execz .LBB214_389
; %bb.388:
	s_lshl_b64 s[6:7], s[22:23], 3
	s_add_u32 s6, s28, s6
	s_addc_u32 s7, s29, s7
	v_mov_b32_e32 v47, 0
	v_lshl_add_u64 v[48:49], v[46:47], 3, s[6:7]
	global_store_dwordx2 v[48:49], v[22:23], off
.LBB214_389:
	s_or_b64 exec, exec, s[0:1]
	v_cmp_gt_u32_e32 vcc, s4, v44
	s_or_b64 s[6:7], s[34:35], vcc
	s_and_saveexec_b64 s[0:1], s[6:7]
	s_cbranch_execz .LBB214_392
; %bb.390:
	v_and_b32_e32 v35, 1, v33
	v_cmp_eq_u32_e32 vcc, 1, v35
	s_and_b64 exec, exec, vcc
	s_cbranch_execz .LBB214_392
; %bb.391:
	s_lshl_b64 s[6:7], s[22:23], 3
	s_add_u32 s6, s28, s6
	s_addc_u32 s7, s29, s7
	v_mov_b32_e32 v45, 0
	v_lshl_add_u64 v[48:49], v[44:45], 3, s[6:7]
	global_store_dwordx2 v[48:49], v[24:25], off
.LBB214_392:
	s_or_b64 exec, exec, s[0:1]
	v_cmp_gt_u32_e32 vcc, s4, v42
	s_or_b64 s[6:7], s[34:35], vcc
	s_and_saveexec_b64 s[0:1], s[6:7]
	s_cbranch_execz .LBB214_395
; %bb.393:
	v_mov_b32_e32 v35, 1
	v_and_b32_sdwa v35, v35, v30 dst_sel:DWORD dst_unused:UNUSED_PAD src0_sel:DWORD src1_sel:WORD_1
	v_cmp_eq_u32_e32 vcc, 1, v35
	s_and_b64 exec, exec, vcc
	s_cbranch_execz .LBB214_395
; %bb.394:
	s_lshl_b64 s[6:7], s[22:23], 3
	s_add_u32 s6, s28, s6
	s_addc_u32 s7, s29, s7
	v_mov_b32_e32 v43, 0
	v_lshl_add_u64 v[48:49], v[42:43], 3, s[6:7]
	global_store_dwordx2 v[48:49], v[18:19], off
.LBB214_395:
	s_or_b64 exec, exec, s[0:1]
	v_cmp_gt_u32_e32 vcc, s4, v40
	s_or_b64 s[6:7], s[34:35], vcc
	s_and_saveexec_b64 s[0:1], s[6:7]
	s_cbranch_execz .LBB214_398
; %bb.396:
	v_and_b32_e32 v35, 1, v32
	v_cmp_eq_u32_e32 vcc, 1, v35
	s_and_b64 exec, exec, vcc
	s_cbranch_execz .LBB214_398
; %bb.397:
	s_lshl_b64 s[6:7], s[22:23], 3
	s_add_u32 s6, s28, s6
	s_addc_u32 s7, s29, s7
	v_mov_b32_e32 v41, 0
	v_lshl_add_u64 v[48:49], v[40:41], 3, s[6:7]
	global_store_dwordx2 v[48:49], v[20:21], off
.LBB214_398:
	s_or_b64 exec, exec, s[0:1]
	v_cmp_gt_u32_e32 vcc, s4, v38
	s_or_b64 s[6:7], s[34:35], vcc
	s_and_saveexec_b64 s[0:1], s[6:7]
	s_cbranch_execz .LBB214_401
; %bb.399:
	v_and_b32_e32 v35, 1, v31
	v_cmp_eq_u32_e32 vcc, 1, v35
	s_and_b64 exec, exec, vcc
	s_cbranch_execz .LBB214_401
; %bb.400:
	s_lshl_b64 s[6:7], s[22:23], 3
	s_add_u32 s6, s28, s6
	s_addc_u32 s7, s29, s7
	v_mov_b32_e32 v39, 0
	v_lshl_add_u64 v[48:49], v[38:39], 3, s[6:7]
	global_store_dwordx2 v[48:49], v[14:15], off
.LBB214_401:
	;; [unrolled: 18-line block ×3, first 2 shown]
	s_or_b64 exec, exec, s[0:1]
	v_cmp_gt_u32_e32 vcc, s4, v34
	s_or_b64 s[4:5], s[34:35], vcc
	s_and_saveexec_b64 s[0:1], s[4:5]
	s_cbranch_execz .LBB214_407
; %bb.405:
	v_mov_b32_e32 v35, 1
	v_and_b32_sdwa v35, v35, v31 dst_sel:DWORD dst_unused:UNUSED_PAD src0_sel:DWORD src1_sel:WORD_1
	v_cmp_eq_u32_e32 vcc, 1, v35
	s_and_b64 exec, exec, vcc
	s_cbranch_execz .LBB214_407
; %bb.406:
	s_lshl_b64 s[4:5], s[22:23], 3
	s_add_u32 s4, s28, s4
	s_addc_u32 s5, s29, s5
	v_mov_b32_e32 v35, 0
	v_lshl_add_u64 v[48:49], v[34:35], 3, s[4:5]
	global_store_dwordx2 v[48:49], v[28:29], off
.LBB214_407:
	s_or_b64 exec, exec, s[0:1]
	s_mov_b64 s[0:1], 0
.LBB214_408:
	v_and_b32_e32 v48, 1, v30
	s_and_b64 vcc, exec, s[0:1]
	v_cmp_eq_u32_e64 s[0:1], 1, v48
	s_cbranch_vccz .LBB214_427
; %bb.409:
	s_and_saveexec_b64 s[4:5], s[0:1]
	s_cbranch_execz .LBB214_411
; %bb.410:
	v_subrev_u32_e32 v35, s16, v46
	v_lshlrev_b32_e32 v35, 3, v35
	ds_write_b64 v35, v[22:23]
.LBB214_411:
	s_or_b64 exec, exec, s[4:5]
	v_and_b32_e32 v22, 1, v33
	v_cmp_eq_u32_e32 vcc, 1, v22
	s_and_saveexec_b64 s[0:1], vcc
	s_cbranch_execz .LBB214_413
; %bb.412:
	v_subrev_u32_e32 v22, s16, v44
	v_lshlrev_b32_e32 v22, 3, v22
	ds_write_b64 v22, v[24:25]
.LBB214_413:
	s_or_b64 exec, exec, s[0:1]
	v_mov_b32_e32 v22, 1
	v_and_b32_sdwa v22, v22, v30 dst_sel:DWORD dst_unused:UNUSED_PAD src0_sel:DWORD src1_sel:WORD_1
	v_cmp_eq_u32_e32 vcc, 1, v22
	s_and_saveexec_b64 s[0:1], vcc
	s_cbranch_execz .LBB214_415
; %bb.414:
	v_subrev_u32_e32 v22, s16, v42
	v_lshlrev_b32_e32 v22, 3, v22
	ds_write_b64 v22, v[18:19]
.LBB214_415:
	s_or_b64 exec, exec, s[0:1]
	v_and_b32_e32 v18, 1, v32
	v_cmp_eq_u32_e32 vcc, 1, v18
	s_and_saveexec_b64 s[0:1], vcc
	s_cbranch_execz .LBB214_417
; %bb.416:
	v_subrev_u32_e32 v18, s16, v40
	v_lshlrev_b32_e32 v18, 3, v18
	ds_write_b64 v18, v[20:21]
.LBB214_417:
	s_or_b64 exec, exec, s[0:1]
	v_and_b32_e32 v18, 1, v31
	;; [unrolled: 10-line block ×3, first 2 shown]
	v_cmp_eq_u32_e32 vcc, 1, v14
	s_and_saveexec_b64 s[0:1], vcc
	s_cbranch_execz .LBB214_421
; %bb.420:
	v_subrev_u32_e32 v14, s16, v36
	v_lshlrev_b32_e32 v14, 3, v14
	ds_write_b64 v14, v[16:17]
.LBB214_421:
	s_or_b64 exec, exec, s[0:1]
	v_mov_b32_e32 v14, 1
	v_and_b32_sdwa v14, v14, v31 dst_sel:DWORD dst_unused:UNUSED_PAD src0_sel:DWORD src1_sel:WORD_1
	v_cmp_eq_u32_e32 vcc, 1, v14
	s_and_saveexec_b64 s[0:1], vcc
	s_cbranch_execz .LBB214_423
; %bb.422:
	v_subrev_u32_e32 v14, s16, v34
	v_lshlrev_b32_e32 v14, 3, v14
	ds_write_b64 v14, v[28:29]
.LBB214_423:
	s_or_b64 exec, exec, s[0:1]
	v_cmp_gt_u32_e32 vcc, s26, v0
	s_waitcnt lgkmcnt(0)
	s_barrier
	s_and_saveexec_b64 s[0:1], vcc
	s_cbranch_execz .LBB214_426
; %bb.424:
	s_mov_b32 s17, 0
	s_lshl_b64 s[4:5], s[22:23], 3
	s_lshl_b64 s[6:7], s[16:17], 3
	s_add_u32 s4, s4, s6
	s_addc_u32 s5, s5, s7
	s_add_u32 s4, s28, s4
	v_lshlrev_b32_e32 v14, 3, v0
	v_mov_b32_e32 v15, 0
	s_addc_u32 s5, s29, s5
	v_lshl_add_u64 v[16:17], s[4:5], 0, v[14:15]
	s_mov_b64 s[4:5], 0
	s_mov_b64 s[6:7], 0x1000
	v_mov_b32_e32 v15, v0
.LBB214_425:                            ; =>This Inner Loop Header: Depth=1
	ds_read_b64 v[18:19], v14
	v_add_u32_e32 v15, 0x200, v15
	v_cmp_le_u32_e32 vcc, s26, v15
	v_add_u32_e32 v14, 0x1000, v14
	s_or_b64 s[4:5], vcc, s[4:5]
	s_waitcnt lgkmcnt(0)
	global_store_dwordx2 v[16:17], v[18:19], off
	v_lshl_add_u64 v[16:17], v[16:17], 0, s[6:7]
	s_andn2_b64 exec, exec, s[4:5]
	s_cbranch_execnz .LBB214_425
.LBB214_426:
	s_or_b64 exec, exec, s[0:1]
.LBB214_427:
	s_mov_b64 s[0:1], -1
	s_and_b64 vcc, exec, s[2:3]
	s_barrier
	s_cbranch_vccnz .LBB214_431
; %bb.428:
	s_and_b64 vcc, exec, s[0:1]
	s_cbranch_vccnz .LBB214_453
.LBB214_429:
	s_and_b64 s[0:1], s[18:19], s[24:25]
	s_and_saveexec_b64 s[2:3], s[0:1]
	s_cbranch_execnz .LBB214_471
.LBB214_430:
	s_endpgm
.LBB214_431:
	s_add_i32 s2, s16, s26
	v_cmp_gt_u32_e32 vcc, s2, v46
	s_or_b64 s[4:5], s[34:35], vcc
	s_and_saveexec_b64 s[0:1], s[4:5]
	s_cbranch_execz .LBB214_434
; %bb.432:
	v_cmp_eq_u32_e32 vcc, 1, v48
	s_and_b64 exec, exec, vcc
	s_cbranch_execz .LBB214_434
; %bb.433:
	s_lshl_b64 s[4:5], s[22:23], 3
	s_add_u32 s4, s30, s4
	s_addc_u32 s5, s31, s5
	v_mov_b32_e32 v47, 0
	v_lshl_add_u64 v[14:15], v[46:47], 3, s[4:5]
	global_store_dwordx2 v[14:15], v[10:11], off
.LBB214_434:
	s_or_b64 exec, exec, s[0:1]
	v_cmp_gt_u32_e32 vcc, s2, v44
	s_or_b64 s[4:5], s[34:35], vcc
	s_and_saveexec_b64 s[0:1], s[4:5]
	s_cbranch_execz .LBB214_437
; %bb.435:
	v_and_b32_e32 v14, 1, v33
	v_cmp_eq_u32_e32 vcc, 1, v14
	s_and_b64 exec, exec, vcc
	s_cbranch_execz .LBB214_437
; %bb.436:
	s_lshl_b64 s[4:5], s[22:23], 3
	s_add_u32 s4, s30, s4
	s_addc_u32 s5, s31, s5
	v_mov_b32_e32 v45, 0
	v_lshl_add_u64 v[14:15], v[44:45], 3, s[4:5]
	global_store_dwordx2 v[14:15], v[12:13], off
.LBB214_437:
	s_or_b64 exec, exec, s[0:1]
	v_cmp_gt_u32_e32 vcc, s2, v42
	s_or_b64 s[4:5], s[34:35], vcc
	s_and_saveexec_b64 s[0:1], s[4:5]
	s_cbranch_execz .LBB214_440
; %bb.438:
	v_mov_b32_e32 v14, 1
	v_and_b32_sdwa v14, v14, v30 dst_sel:DWORD dst_unused:UNUSED_PAD src0_sel:DWORD src1_sel:WORD_1
	v_cmp_eq_u32_e32 vcc, 1, v14
	s_and_b64 exec, exec, vcc
	s_cbranch_execz .LBB214_440
; %bb.439:
	s_lshl_b64 s[4:5], s[22:23], 3
	s_add_u32 s4, s30, s4
	s_addc_u32 s5, s31, s5
	v_mov_b32_e32 v43, 0
	v_lshl_add_u64 v[14:15], v[42:43], 3, s[4:5]
	global_store_dwordx2 v[14:15], v[6:7], off
.LBB214_440:
	s_or_b64 exec, exec, s[0:1]
	v_cmp_gt_u32_e32 vcc, s2, v40
	s_or_b64 s[4:5], s[34:35], vcc
	s_and_saveexec_b64 s[0:1], s[4:5]
	s_cbranch_execz .LBB214_443
; %bb.441:
	v_and_b32_e32 v14, 1, v32
	v_cmp_eq_u32_e32 vcc, 1, v14
	s_and_b64 exec, exec, vcc
	s_cbranch_execz .LBB214_443
; %bb.442:
	s_lshl_b64 s[4:5], s[22:23], 3
	s_add_u32 s4, s30, s4
	s_addc_u32 s5, s31, s5
	v_mov_b32_e32 v41, 0
	v_lshl_add_u64 v[14:15], v[40:41], 3, s[4:5]
	global_store_dwordx2 v[14:15], v[8:9], off
.LBB214_443:
	s_or_b64 exec, exec, s[0:1]
	v_cmp_gt_u32_e32 vcc, s2, v38
	s_or_b64 s[4:5], s[34:35], vcc
	s_and_saveexec_b64 s[0:1], s[4:5]
	s_cbranch_execz .LBB214_446
; %bb.444:
	v_and_b32_e32 v14, 1, v31
	v_cmp_eq_u32_e32 vcc, 1, v14
	s_and_b64 exec, exec, vcc
	s_cbranch_execz .LBB214_446
; %bb.445:
	s_lshl_b64 s[4:5], s[22:23], 3
	s_add_u32 s4, s30, s4
	s_addc_u32 s5, s31, s5
	v_mov_b32_e32 v39, 0
	v_lshl_add_u64 v[14:15], v[38:39], 3, s[4:5]
	global_store_dwordx2 v[14:15], v[2:3], off
.LBB214_446:
	;; [unrolled: 18-line block ×3, first 2 shown]
	s_or_b64 exec, exec, s[0:1]
	v_cmp_gt_u32_e32 vcc, s2, v34
	s_or_b64 s[2:3], s[34:35], vcc
	s_and_saveexec_b64 s[0:1], s[2:3]
	s_cbranch_execz .LBB214_452
; %bb.450:
	v_mov_b32_e32 v14, 1
	v_and_b32_sdwa v14, v14, v31 dst_sel:DWORD dst_unused:UNUSED_PAD src0_sel:DWORD src1_sel:WORD_1
	v_cmp_eq_u32_e32 vcc, 1, v14
	s_and_b64 exec, exec, vcc
	s_cbranch_execz .LBB214_452
; %bb.451:
	s_lshl_b64 s[2:3], s[22:23], 3
	s_add_u32 s2, s30, s2
	s_addc_u32 s3, s31, s3
	v_mov_b32_e32 v35, 0
	v_lshl_add_u64 v[14:15], v[34:35], 3, s[2:3]
	global_store_dwordx2 v[14:15], v[26:27], off
.LBB214_452:
	s_or_b64 exec, exec, s[0:1]
	s_branch .LBB214_429
.LBB214_453:
	v_cmp_eq_u32_e32 vcc, 1, v48
	s_and_saveexec_b64 s[0:1], vcc
	s_cbranch_execz .LBB214_455
; %bb.454:
	v_subrev_u32_e32 v14, s16, v46
	v_lshlrev_b32_e32 v14, 3, v14
	ds_write_b64 v14, v[10:11]
.LBB214_455:
	s_or_b64 exec, exec, s[0:1]
	v_and_b32_e32 v10, 1, v33
	v_cmp_eq_u32_e32 vcc, 1, v10
	s_and_saveexec_b64 s[0:1], vcc
	s_cbranch_execz .LBB214_457
; %bb.456:
	v_subrev_u32_e32 v10, s16, v44
	v_lshlrev_b32_e32 v10, 3, v10
	ds_write_b64 v10, v[12:13]
.LBB214_457:
	s_or_b64 exec, exec, s[0:1]
	v_mov_b32_e32 v10, 1
	v_and_b32_sdwa v10, v10, v30 dst_sel:DWORD dst_unused:UNUSED_PAD src0_sel:DWORD src1_sel:WORD_1
	v_cmp_eq_u32_e32 vcc, 1, v10
	s_and_saveexec_b64 s[0:1], vcc
	s_cbranch_execz .LBB214_459
; %bb.458:
	v_subrev_u32_e32 v10, s16, v42
	v_lshlrev_b32_e32 v10, 3, v10
	ds_write_b64 v10, v[6:7]
.LBB214_459:
	s_or_b64 exec, exec, s[0:1]
	v_and_b32_e32 v6, 1, v32
	v_cmp_eq_u32_e32 vcc, 1, v6
	s_and_saveexec_b64 s[0:1], vcc
	s_cbranch_execz .LBB214_461
; %bb.460:
	v_subrev_u32_e32 v6, s16, v40
	v_lshlrev_b32_e32 v6, 3, v6
	ds_write_b64 v6, v[8:9]
.LBB214_461:
	s_or_b64 exec, exec, s[0:1]
	v_and_b32_e32 v6, 1, v31
	;; [unrolled: 10-line block ×3, first 2 shown]
	v_cmp_eq_u32_e32 vcc, 1, v1
	s_and_saveexec_b64 s[0:1], vcc
	s_cbranch_execz .LBB214_465
; %bb.464:
	v_subrev_u32_e32 v1, s16, v36
	v_lshlrev_b32_e32 v1, 3, v1
	ds_write_b64 v1, v[4:5]
.LBB214_465:
	s_or_b64 exec, exec, s[0:1]
	v_mov_b32_e32 v1, 1
	v_and_b32_sdwa v1, v1, v31 dst_sel:DWORD dst_unused:UNUSED_PAD src0_sel:DWORD src1_sel:WORD_1
	v_cmp_eq_u32_e32 vcc, 1, v1
	s_and_saveexec_b64 s[0:1], vcc
	s_cbranch_execz .LBB214_467
; %bb.466:
	v_subrev_u32_e32 v1, s16, v34
	v_lshlrev_b32_e32 v1, 3, v1
	ds_write_b64 v1, v[26:27]
.LBB214_467:
	s_or_b64 exec, exec, s[0:1]
	v_cmp_gt_u32_e32 vcc, s26, v0
	s_waitcnt lgkmcnt(0)
	s_barrier
	s_and_saveexec_b64 s[0:1], vcc
	s_cbranch_execz .LBB214_470
; %bb.468:
	s_mov_b32 s17, 0
	s_lshl_b64 s[2:3], s[22:23], 3
	s_lshl_b64 s[4:5], s[16:17], 3
	s_add_u32 s2, s2, s4
	s_addc_u32 s3, s3, s5
	s_add_u32 s2, s30, s2
	v_lshlrev_b32_e32 v2, 3, v0
	v_mov_b32_e32 v3, 0
	s_addc_u32 s3, s31, s3
	v_lshl_add_u64 v[4:5], s[2:3], 0, v[2:3]
	s_mov_b64 s[2:3], 0
	s_mov_b64 s[4:5], 0x1000
.LBB214_469:                            ; =>This Inner Loop Header: Depth=1
	ds_read_b64 v[6:7], v2
	v_add_u32_e32 v0, 0x200, v0
	v_cmp_le_u32_e32 vcc, s26, v0
	v_add_u32_e32 v2, 0x1000, v2
	s_or_b64 s[2:3], vcc, s[2:3]
	s_waitcnt lgkmcnt(0)
	global_store_dwordx2 v[4:5], v[6:7], off
	v_lshl_add_u64 v[4:5], v[4:5], 0, s[4:5]
	s_andn2_b64 exec, exec, s[2:3]
	s_cbranch_execnz .LBB214_469
.LBB214_470:
	s_or_b64 exec, exec, s[0:1]
	s_and_b64 s[0:1], s[18:19], s[24:25]
	s_and_saveexec_b64 s[2:3], s[0:1]
	s_cbranch_execz .LBB214_430
.LBB214_471:
	s_add_u32 s0, s22, s26
	s_addc_u32 s1, s23, 0
	s_add_u32 s0, s0, s16
	s_addc_u32 s1, s1, 0
	v_mov_b32_e32 v2, 0
	v_mov_b64_e32 v[0:1], s[0:1]
	global_store_dwordx2 v2, v[0:1], s[20:21]
	s_endpgm
	.section	.rodata,"a",@progbits
	.p2align	6, 0x0
	.amdhsa_kernel _ZN7rocprim17ROCPRIM_400000_NS6detail17trampoline_kernelINS0_14default_configENS1_25partition_config_selectorILNS1_17partition_subalgoE9EllbEEZZNS1_14partition_implILS5_9ELb0ES3_jPlS8_PNS0_10empty_typeENS0_5tupleIJS8_S9_EEENSB_IJS8_SA_EEENS0_18inequality_wrapperIZN2at6native12_GLOBAL__N_124unique_dim_cuda_templateIhEESt5tupleIJNSF_6TensorESK_SK_EERKSK_lbbbEUlllE0_EEPmJS9_EEE10hipError_tPvRmT3_T4_T5_T6_T7_T9_mT8_P12ihipStream_tbDpT10_ENKUlT_T0_E_clISt17integral_constantIbLb1EES1A_EEDaS15_S16_EUlS15_E_NS1_11comp_targetILNS1_3genE5ELNS1_11target_archE942ELNS1_3gpuE9ELNS1_3repE0EEENS1_30default_config_static_selectorELNS0_4arch9wavefront6targetE1EEEvT1_
		.amdhsa_group_segment_fixed_size 28684
		.amdhsa_private_segment_fixed_size 0
		.amdhsa_kernarg_size 136
		.amdhsa_user_sgpr_count 2
		.amdhsa_user_sgpr_dispatch_ptr 0
		.amdhsa_user_sgpr_queue_ptr 0
		.amdhsa_user_sgpr_kernarg_segment_ptr 1
		.amdhsa_user_sgpr_dispatch_id 0
		.amdhsa_user_sgpr_kernarg_preload_length 0
		.amdhsa_user_sgpr_kernarg_preload_offset 0
		.amdhsa_user_sgpr_private_segment_size 0
		.amdhsa_uses_dynamic_stack 0
		.amdhsa_enable_private_segment 0
		.amdhsa_system_sgpr_workgroup_id_x 1
		.amdhsa_system_sgpr_workgroup_id_y 0
		.amdhsa_system_sgpr_workgroup_id_z 0
		.amdhsa_system_sgpr_workgroup_info 0
		.amdhsa_system_vgpr_workitem_id 0
		.amdhsa_next_free_vgpr 66
		.amdhsa_next_free_sgpr 58
		.amdhsa_accum_offset 68
		.amdhsa_reserve_vcc 1
		.amdhsa_float_round_mode_32 0
		.amdhsa_float_round_mode_16_64 0
		.amdhsa_float_denorm_mode_32 3
		.amdhsa_float_denorm_mode_16_64 3
		.amdhsa_dx10_clamp 1
		.amdhsa_ieee_mode 1
		.amdhsa_fp16_overflow 0
		.amdhsa_tg_split 0
		.amdhsa_exception_fp_ieee_invalid_op 0
		.amdhsa_exception_fp_denorm_src 0
		.amdhsa_exception_fp_ieee_div_zero 0
		.amdhsa_exception_fp_ieee_overflow 0
		.amdhsa_exception_fp_ieee_underflow 0
		.amdhsa_exception_fp_ieee_inexact 0
		.amdhsa_exception_int_div_zero 0
	.end_amdhsa_kernel
	.section	.text._ZN7rocprim17ROCPRIM_400000_NS6detail17trampoline_kernelINS0_14default_configENS1_25partition_config_selectorILNS1_17partition_subalgoE9EllbEEZZNS1_14partition_implILS5_9ELb0ES3_jPlS8_PNS0_10empty_typeENS0_5tupleIJS8_S9_EEENSB_IJS8_SA_EEENS0_18inequality_wrapperIZN2at6native12_GLOBAL__N_124unique_dim_cuda_templateIhEESt5tupleIJNSF_6TensorESK_SK_EERKSK_lbbbEUlllE0_EEPmJS9_EEE10hipError_tPvRmT3_T4_T5_T6_T7_T9_mT8_P12ihipStream_tbDpT10_ENKUlT_T0_E_clISt17integral_constantIbLb1EES1A_EEDaS15_S16_EUlS15_E_NS1_11comp_targetILNS1_3genE5ELNS1_11target_archE942ELNS1_3gpuE9ELNS1_3repE0EEENS1_30default_config_static_selectorELNS0_4arch9wavefront6targetE1EEEvT1_,"axG",@progbits,_ZN7rocprim17ROCPRIM_400000_NS6detail17trampoline_kernelINS0_14default_configENS1_25partition_config_selectorILNS1_17partition_subalgoE9EllbEEZZNS1_14partition_implILS5_9ELb0ES3_jPlS8_PNS0_10empty_typeENS0_5tupleIJS8_S9_EEENSB_IJS8_SA_EEENS0_18inequality_wrapperIZN2at6native12_GLOBAL__N_124unique_dim_cuda_templateIhEESt5tupleIJNSF_6TensorESK_SK_EERKSK_lbbbEUlllE0_EEPmJS9_EEE10hipError_tPvRmT3_T4_T5_T6_T7_T9_mT8_P12ihipStream_tbDpT10_ENKUlT_T0_E_clISt17integral_constantIbLb1EES1A_EEDaS15_S16_EUlS15_E_NS1_11comp_targetILNS1_3genE5ELNS1_11target_archE942ELNS1_3gpuE9ELNS1_3repE0EEENS1_30default_config_static_selectorELNS0_4arch9wavefront6targetE1EEEvT1_,comdat
.Lfunc_end214:
	.size	_ZN7rocprim17ROCPRIM_400000_NS6detail17trampoline_kernelINS0_14default_configENS1_25partition_config_selectorILNS1_17partition_subalgoE9EllbEEZZNS1_14partition_implILS5_9ELb0ES3_jPlS8_PNS0_10empty_typeENS0_5tupleIJS8_S9_EEENSB_IJS8_SA_EEENS0_18inequality_wrapperIZN2at6native12_GLOBAL__N_124unique_dim_cuda_templateIhEESt5tupleIJNSF_6TensorESK_SK_EERKSK_lbbbEUlllE0_EEPmJS9_EEE10hipError_tPvRmT3_T4_T5_T6_T7_T9_mT8_P12ihipStream_tbDpT10_ENKUlT_T0_E_clISt17integral_constantIbLb1EES1A_EEDaS15_S16_EUlS15_E_NS1_11comp_targetILNS1_3genE5ELNS1_11target_archE942ELNS1_3gpuE9ELNS1_3repE0EEENS1_30default_config_static_selectorELNS0_4arch9wavefront6targetE1EEEvT1_, .Lfunc_end214-_ZN7rocprim17ROCPRIM_400000_NS6detail17trampoline_kernelINS0_14default_configENS1_25partition_config_selectorILNS1_17partition_subalgoE9EllbEEZZNS1_14partition_implILS5_9ELb0ES3_jPlS8_PNS0_10empty_typeENS0_5tupleIJS8_S9_EEENSB_IJS8_SA_EEENS0_18inequality_wrapperIZN2at6native12_GLOBAL__N_124unique_dim_cuda_templateIhEESt5tupleIJNSF_6TensorESK_SK_EERKSK_lbbbEUlllE0_EEPmJS9_EEE10hipError_tPvRmT3_T4_T5_T6_T7_T9_mT8_P12ihipStream_tbDpT10_ENKUlT_T0_E_clISt17integral_constantIbLb1EES1A_EEDaS15_S16_EUlS15_E_NS1_11comp_targetILNS1_3genE5ELNS1_11target_archE942ELNS1_3gpuE9ELNS1_3repE0EEENS1_30default_config_static_selectorELNS0_4arch9wavefront6targetE1EEEvT1_
                                        ; -- End function
	.section	.AMDGPU.csdata,"",@progbits
; Kernel info:
; codeLenInByte = 13868
; NumSgprs: 64
; NumVgprs: 66
; NumAgprs: 0
; TotalNumVgprs: 66
; ScratchSize: 0
; MemoryBound: 0
; FloatMode: 240
; IeeeMode: 1
; LDSByteSize: 28684 bytes/workgroup (compile time only)
; SGPRBlocks: 7
; VGPRBlocks: 8
; NumSGPRsForWavesPerEU: 64
; NumVGPRsForWavesPerEU: 66
; AccumOffset: 68
; Occupancy: 4
; WaveLimiterHint : 1
; COMPUTE_PGM_RSRC2:SCRATCH_EN: 0
; COMPUTE_PGM_RSRC2:USER_SGPR: 2
; COMPUTE_PGM_RSRC2:TRAP_HANDLER: 0
; COMPUTE_PGM_RSRC2:TGID_X_EN: 1
; COMPUTE_PGM_RSRC2:TGID_Y_EN: 0
; COMPUTE_PGM_RSRC2:TGID_Z_EN: 0
; COMPUTE_PGM_RSRC2:TIDIG_COMP_CNT: 0
; COMPUTE_PGM_RSRC3_GFX90A:ACCUM_OFFSET: 16
; COMPUTE_PGM_RSRC3_GFX90A:TG_SPLIT: 0
	.section	.text._ZN7rocprim17ROCPRIM_400000_NS6detail17trampoline_kernelINS0_14default_configENS1_25partition_config_selectorILNS1_17partition_subalgoE9EllbEEZZNS1_14partition_implILS5_9ELb0ES3_jPlS8_PNS0_10empty_typeENS0_5tupleIJS8_S9_EEENSB_IJS8_SA_EEENS0_18inequality_wrapperIZN2at6native12_GLOBAL__N_124unique_dim_cuda_templateIhEESt5tupleIJNSF_6TensorESK_SK_EERKSK_lbbbEUlllE0_EEPmJS9_EEE10hipError_tPvRmT3_T4_T5_T6_T7_T9_mT8_P12ihipStream_tbDpT10_ENKUlT_T0_E_clISt17integral_constantIbLb1EES1A_EEDaS15_S16_EUlS15_E_NS1_11comp_targetILNS1_3genE4ELNS1_11target_archE910ELNS1_3gpuE8ELNS1_3repE0EEENS1_30default_config_static_selectorELNS0_4arch9wavefront6targetE1EEEvT1_,"axG",@progbits,_ZN7rocprim17ROCPRIM_400000_NS6detail17trampoline_kernelINS0_14default_configENS1_25partition_config_selectorILNS1_17partition_subalgoE9EllbEEZZNS1_14partition_implILS5_9ELb0ES3_jPlS8_PNS0_10empty_typeENS0_5tupleIJS8_S9_EEENSB_IJS8_SA_EEENS0_18inequality_wrapperIZN2at6native12_GLOBAL__N_124unique_dim_cuda_templateIhEESt5tupleIJNSF_6TensorESK_SK_EERKSK_lbbbEUlllE0_EEPmJS9_EEE10hipError_tPvRmT3_T4_T5_T6_T7_T9_mT8_P12ihipStream_tbDpT10_ENKUlT_T0_E_clISt17integral_constantIbLb1EES1A_EEDaS15_S16_EUlS15_E_NS1_11comp_targetILNS1_3genE4ELNS1_11target_archE910ELNS1_3gpuE8ELNS1_3repE0EEENS1_30default_config_static_selectorELNS0_4arch9wavefront6targetE1EEEvT1_,comdat
	.globl	_ZN7rocprim17ROCPRIM_400000_NS6detail17trampoline_kernelINS0_14default_configENS1_25partition_config_selectorILNS1_17partition_subalgoE9EllbEEZZNS1_14partition_implILS5_9ELb0ES3_jPlS8_PNS0_10empty_typeENS0_5tupleIJS8_S9_EEENSB_IJS8_SA_EEENS0_18inequality_wrapperIZN2at6native12_GLOBAL__N_124unique_dim_cuda_templateIhEESt5tupleIJNSF_6TensorESK_SK_EERKSK_lbbbEUlllE0_EEPmJS9_EEE10hipError_tPvRmT3_T4_T5_T6_T7_T9_mT8_P12ihipStream_tbDpT10_ENKUlT_T0_E_clISt17integral_constantIbLb1EES1A_EEDaS15_S16_EUlS15_E_NS1_11comp_targetILNS1_3genE4ELNS1_11target_archE910ELNS1_3gpuE8ELNS1_3repE0EEENS1_30default_config_static_selectorELNS0_4arch9wavefront6targetE1EEEvT1_ ; -- Begin function _ZN7rocprim17ROCPRIM_400000_NS6detail17trampoline_kernelINS0_14default_configENS1_25partition_config_selectorILNS1_17partition_subalgoE9EllbEEZZNS1_14partition_implILS5_9ELb0ES3_jPlS8_PNS0_10empty_typeENS0_5tupleIJS8_S9_EEENSB_IJS8_SA_EEENS0_18inequality_wrapperIZN2at6native12_GLOBAL__N_124unique_dim_cuda_templateIhEESt5tupleIJNSF_6TensorESK_SK_EERKSK_lbbbEUlllE0_EEPmJS9_EEE10hipError_tPvRmT3_T4_T5_T6_T7_T9_mT8_P12ihipStream_tbDpT10_ENKUlT_T0_E_clISt17integral_constantIbLb1EES1A_EEDaS15_S16_EUlS15_E_NS1_11comp_targetILNS1_3genE4ELNS1_11target_archE910ELNS1_3gpuE8ELNS1_3repE0EEENS1_30default_config_static_selectorELNS0_4arch9wavefront6targetE1EEEvT1_
	.p2align	8
	.type	_ZN7rocprim17ROCPRIM_400000_NS6detail17trampoline_kernelINS0_14default_configENS1_25partition_config_selectorILNS1_17partition_subalgoE9EllbEEZZNS1_14partition_implILS5_9ELb0ES3_jPlS8_PNS0_10empty_typeENS0_5tupleIJS8_S9_EEENSB_IJS8_SA_EEENS0_18inequality_wrapperIZN2at6native12_GLOBAL__N_124unique_dim_cuda_templateIhEESt5tupleIJNSF_6TensorESK_SK_EERKSK_lbbbEUlllE0_EEPmJS9_EEE10hipError_tPvRmT3_T4_T5_T6_T7_T9_mT8_P12ihipStream_tbDpT10_ENKUlT_T0_E_clISt17integral_constantIbLb1EES1A_EEDaS15_S16_EUlS15_E_NS1_11comp_targetILNS1_3genE4ELNS1_11target_archE910ELNS1_3gpuE8ELNS1_3repE0EEENS1_30default_config_static_selectorELNS0_4arch9wavefront6targetE1EEEvT1_,@function
_ZN7rocprim17ROCPRIM_400000_NS6detail17trampoline_kernelINS0_14default_configENS1_25partition_config_selectorILNS1_17partition_subalgoE9EllbEEZZNS1_14partition_implILS5_9ELb0ES3_jPlS8_PNS0_10empty_typeENS0_5tupleIJS8_S9_EEENSB_IJS8_SA_EEENS0_18inequality_wrapperIZN2at6native12_GLOBAL__N_124unique_dim_cuda_templateIhEESt5tupleIJNSF_6TensorESK_SK_EERKSK_lbbbEUlllE0_EEPmJS9_EEE10hipError_tPvRmT3_T4_T5_T6_T7_T9_mT8_P12ihipStream_tbDpT10_ENKUlT_T0_E_clISt17integral_constantIbLb1EES1A_EEDaS15_S16_EUlS15_E_NS1_11comp_targetILNS1_3genE4ELNS1_11target_archE910ELNS1_3gpuE8ELNS1_3repE0EEENS1_30default_config_static_selectorELNS0_4arch9wavefront6targetE1EEEvT1_: ; @_ZN7rocprim17ROCPRIM_400000_NS6detail17trampoline_kernelINS0_14default_configENS1_25partition_config_selectorILNS1_17partition_subalgoE9EllbEEZZNS1_14partition_implILS5_9ELb0ES3_jPlS8_PNS0_10empty_typeENS0_5tupleIJS8_S9_EEENSB_IJS8_SA_EEENS0_18inequality_wrapperIZN2at6native12_GLOBAL__N_124unique_dim_cuda_templateIhEESt5tupleIJNSF_6TensorESK_SK_EERKSK_lbbbEUlllE0_EEPmJS9_EEE10hipError_tPvRmT3_T4_T5_T6_T7_T9_mT8_P12ihipStream_tbDpT10_ENKUlT_T0_E_clISt17integral_constantIbLb1EES1A_EEDaS15_S16_EUlS15_E_NS1_11comp_targetILNS1_3genE4ELNS1_11target_archE910ELNS1_3gpuE8ELNS1_3repE0EEENS1_30default_config_static_selectorELNS0_4arch9wavefront6targetE1EEEvT1_
; %bb.0:
	.section	.rodata,"a",@progbits
	.p2align	6, 0x0
	.amdhsa_kernel _ZN7rocprim17ROCPRIM_400000_NS6detail17trampoline_kernelINS0_14default_configENS1_25partition_config_selectorILNS1_17partition_subalgoE9EllbEEZZNS1_14partition_implILS5_9ELb0ES3_jPlS8_PNS0_10empty_typeENS0_5tupleIJS8_S9_EEENSB_IJS8_SA_EEENS0_18inequality_wrapperIZN2at6native12_GLOBAL__N_124unique_dim_cuda_templateIhEESt5tupleIJNSF_6TensorESK_SK_EERKSK_lbbbEUlllE0_EEPmJS9_EEE10hipError_tPvRmT3_T4_T5_T6_T7_T9_mT8_P12ihipStream_tbDpT10_ENKUlT_T0_E_clISt17integral_constantIbLb1EES1A_EEDaS15_S16_EUlS15_E_NS1_11comp_targetILNS1_3genE4ELNS1_11target_archE910ELNS1_3gpuE8ELNS1_3repE0EEENS1_30default_config_static_selectorELNS0_4arch9wavefront6targetE1EEEvT1_
		.amdhsa_group_segment_fixed_size 0
		.amdhsa_private_segment_fixed_size 0
		.amdhsa_kernarg_size 136
		.amdhsa_user_sgpr_count 2
		.amdhsa_user_sgpr_dispatch_ptr 0
		.amdhsa_user_sgpr_queue_ptr 0
		.amdhsa_user_sgpr_kernarg_segment_ptr 1
		.amdhsa_user_sgpr_dispatch_id 0
		.amdhsa_user_sgpr_kernarg_preload_length 0
		.amdhsa_user_sgpr_kernarg_preload_offset 0
		.amdhsa_user_sgpr_private_segment_size 0
		.amdhsa_uses_dynamic_stack 0
		.amdhsa_enable_private_segment 0
		.amdhsa_system_sgpr_workgroup_id_x 1
		.amdhsa_system_sgpr_workgroup_id_y 0
		.amdhsa_system_sgpr_workgroup_id_z 0
		.amdhsa_system_sgpr_workgroup_info 0
		.amdhsa_system_vgpr_workitem_id 0
		.amdhsa_next_free_vgpr 1
		.amdhsa_next_free_sgpr 0
		.amdhsa_accum_offset 4
		.amdhsa_reserve_vcc 0
		.amdhsa_float_round_mode_32 0
		.amdhsa_float_round_mode_16_64 0
		.amdhsa_float_denorm_mode_32 3
		.amdhsa_float_denorm_mode_16_64 3
		.amdhsa_dx10_clamp 1
		.amdhsa_ieee_mode 1
		.amdhsa_fp16_overflow 0
		.amdhsa_tg_split 0
		.amdhsa_exception_fp_ieee_invalid_op 0
		.amdhsa_exception_fp_denorm_src 0
		.amdhsa_exception_fp_ieee_div_zero 0
		.amdhsa_exception_fp_ieee_overflow 0
		.amdhsa_exception_fp_ieee_underflow 0
		.amdhsa_exception_fp_ieee_inexact 0
		.amdhsa_exception_int_div_zero 0
	.end_amdhsa_kernel
	.section	.text._ZN7rocprim17ROCPRIM_400000_NS6detail17trampoline_kernelINS0_14default_configENS1_25partition_config_selectorILNS1_17partition_subalgoE9EllbEEZZNS1_14partition_implILS5_9ELb0ES3_jPlS8_PNS0_10empty_typeENS0_5tupleIJS8_S9_EEENSB_IJS8_SA_EEENS0_18inequality_wrapperIZN2at6native12_GLOBAL__N_124unique_dim_cuda_templateIhEESt5tupleIJNSF_6TensorESK_SK_EERKSK_lbbbEUlllE0_EEPmJS9_EEE10hipError_tPvRmT3_T4_T5_T6_T7_T9_mT8_P12ihipStream_tbDpT10_ENKUlT_T0_E_clISt17integral_constantIbLb1EES1A_EEDaS15_S16_EUlS15_E_NS1_11comp_targetILNS1_3genE4ELNS1_11target_archE910ELNS1_3gpuE8ELNS1_3repE0EEENS1_30default_config_static_selectorELNS0_4arch9wavefront6targetE1EEEvT1_,"axG",@progbits,_ZN7rocprim17ROCPRIM_400000_NS6detail17trampoline_kernelINS0_14default_configENS1_25partition_config_selectorILNS1_17partition_subalgoE9EllbEEZZNS1_14partition_implILS5_9ELb0ES3_jPlS8_PNS0_10empty_typeENS0_5tupleIJS8_S9_EEENSB_IJS8_SA_EEENS0_18inequality_wrapperIZN2at6native12_GLOBAL__N_124unique_dim_cuda_templateIhEESt5tupleIJNSF_6TensorESK_SK_EERKSK_lbbbEUlllE0_EEPmJS9_EEE10hipError_tPvRmT3_T4_T5_T6_T7_T9_mT8_P12ihipStream_tbDpT10_ENKUlT_T0_E_clISt17integral_constantIbLb1EES1A_EEDaS15_S16_EUlS15_E_NS1_11comp_targetILNS1_3genE4ELNS1_11target_archE910ELNS1_3gpuE8ELNS1_3repE0EEENS1_30default_config_static_selectorELNS0_4arch9wavefront6targetE1EEEvT1_,comdat
.Lfunc_end215:
	.size	_ZN7rocprim17ROCPRIM_400000_NS6detail17trampoline_kernelINS0_14default_configENS1_25partition_config_selectorILNS1_17partition_subalgoE9EllbEEZZNS1_14partition_implILS5_9ELb0ES3_jPlS8_PNS0_10empty_typeENS0_5tupleIJS8_S9_EEENSB_IJS8_SA_EEENS0_18inequality_wrapperIZN2at6native12_GLOBAL__N_124unique_dim_cuda_templateIhEESt5tupleIJNSF_6TensorESK_SK_EERKSK_lbbbEUlllE0_EEPmJS9_EEE10hipError_tPvRmT3_T4_T5_T6_T7_T9_mT8_P12ihipStream_tbDpT10_ENKUlT_T0_E_clISt17integral_constantIbLb1EES1A_EEDaS15_S16_EUlS15_E_NS1_11comp_targetILNS1_3genE4ELNS1_11target_archE910ELNS1_3gpuE8ELNS1_3repE0EEENS1_30default_config_static_selectorELNS0_4arch9wavefront6targetE1EEEvT1_, .Lfunc_end215-_ZN7rocprim17ROCPRIM_400000_NS6detail17trampoline_kernelINS0_14default_configENS1_25partition_config_selectorILNS1_17partition_subalgoE9EllbEEZZNS1_14partition_implILS5_9ELb0ES3_jPlS8_PNS0_10empty_typeENS0_5tupleIJS8_S9_EEENSB_IJS8_SA_EEENS0_18inequality_wrapperIZN2at6native12_GLOBAL__N_124unique_dim_cuda_templateIhEESt5tupleIJNSF_6TensorESK_SK_EERKSK_lbbbEUlllE0_EEPmJS9_EEE10hipError_tPvRmT3_T4_T5_T6_T7_T9_mT8_P12ihipStream_tbDpT10_ENKUlT_T0_E_clISt17integral_constantIbLb1EES1A_EEDaS15_S16_EUlS15_E_NS1_11comp_targetILNS1_3genE4ELNS1_11target_archE910ELNS1_3gpuE8ELNS1_3repE0EEENS1_30default_config_static_selectorELNS0_4arch9wavefront6targetE1EEEvT1_
                                        ; -- End function
	.section	.AMDGPU.csdata,"",@progbits
; Kernel info:
; codeLenInByte = 0
; NumSgprs: 6
; NumVgprs: 0
; NumAgprs: 0
; TotalNumVgprs: 0
; ScratchSize: 0
; MemoryBound: 0
; FloatMode: 240
; IeeeMode: 1
; LDSByteSize: 0 bytes/workgroup (compile time only)
; SGPRBlocks: 0
; VGPRBlocks: 0
; NumSGPRsForWavesPerEU: 6
; NumVGPRsForWavesPerEU: 1
; AccumOffset: 4
; Occupancy: 8
; WaveLimiterHint : 0
; COMPUTE_PGM_RSRC2:SCRATCH_EN: 0
; COMPUTE_PGM_RSRC2:USER_SGPR: 2
; COMPUTE_PGM_RSRC2:TRAP_HANDLER: 0
; COMPUTE_PGM_RSRC2:TGID_X_EN: 1
; COMPUTE_PGM_RSRC2:TGID_Y_EN: 0
; COMPUTE_PGM_RSRC2:TGID_Z_EN: 0
; COMPUTE_PGM_RSRC2:TIDIG_COMP_CNT: 0
; COMPUTE_PGM_RSRC3_GFX90A:ACCUM_OFFSET: 0
; COMPUTE_PGM_RSRC3_GFX90A:TG_SPLIT: 0
	.section	.text._ZN7rocprim17ROCPRIM_400000_NS6detail17trampoline_kernelINS0_14default_configENS1_25partition_config_selectorILNS1_17partition_subalgoE9EllbEEZZNS1_14partition_implILS5_9ELb0ES3_jPlS8_PNS0_10empty_typeENS0_5tupleIJS8_S9_EEENSB_IJS8_SA_EEENS0_18inequality_wrapperIZN2at6native12_GLOBAL__N_124unique_dim_cuda_templateIhEESt5tupleIJNSF_6TensorESK_SK_EERKSK_lbbbEUlllE0_EEPmJS9_EEE10hipError_tPvRmT3_T4_T5_T6_T7_T9_mT8_P12ihipStream_tbDpT10_ENKUlT_T0_E_clISt17integral_constantIbLb1EES1A_EEDaS15_S16_EUlS15_E_NS1_11comp_targetILNS1_3genE3ELNS1_11target_archE908ELNS1_3gpuE7ELNS1_3repE0EEENS1_30default_config_static_selectorELNS0_4arch9wavefront6targetE1EEEvT1_,"axG",@progbits,_ZN7rocprim17ROCPRIM_400000_NS6detail17trampoline_kernelINS0_14default_configENS1_25partition_config_selectorILNS1_17partition_subalgoE9EllbEEZZNS1_14partition_implILS5_9ELb0ES3_jPlS8_PNS0_10empty_typeENS0_5tupleIJS8_S9_EEENSB_IJS8_SA_EEENS0_18inequality_wrapperIZN2at6native12_GLOBAL__N_124unique_dim_cuda_templateIhEESt5tupleIJNSF_6TensorESK_SK_EERKSK_lbbbEUlllE0_EEPmJS9_EEE10hipError_tPvRmT3_T4_T5_T6_T7_T9_mT8_P12ihipStream_tbDpT10_ENKUlT_T0_E_clISt17integral_constantIbLb1EES1A_EEDaS15_S16_EUlS15_E_NS1_11comp_targetILNS1_3genE3ELNS1_11target_archE908ELNS1_3gpuE7ELNS1_3repE0EEENS1_30default_config_static_selectorELNS0_4arch9wavefront6targetE1EEEvT1_,comdat
	.globl	_ZN7rocprim17ROCPRIM_400000_NS6detail17trampoline_kernelINS0_14default_configENS1_25partition_config_selectorILNS1_17partition_subalgoE9EllbEEZZNS1_14partition_implILS5_9ELb0ES3_jPlS8_PNS0_10empty_typeENS0_5tupleIJS8_S9_EEENSB_IJS8_SA_EEENS0_18inequality_wrapperIZN2at6native12_GLOBAL__N_124unique_dim_cuda_templateIhEESt5tupleIJNSF_6TensorESK_SK_EERKSK_lbbbEUlllE0_EEPmJS9_EEE10hipError_tPvRmT3_T4_T5_T6_T7_T9_mT8_P12ihipStream_tbDpT10_ENKUlT_T0_E_clISt17integral_constantIbLb1EES1A_EEDaS15_S16_EUlS15_E_NS1_11comp_targetILNS1_3genE3ELNS1_11target_archE908ELNS1_3gpuE7ELNS1_3repE0EEENS1_30default_config_static_selectorELNS0_4arch9wavefront6targetE1EEEvT1_ ; -- Begin function _ZN7rocprim17ROCPRIM_400000_NS6detail17trampoline_kernelINS0_14default_configENS1_25partition_config_selectorILNS1_17partition_subalgoE9EllbEEZZNS1_14partition_implILS5_9ELb0ES3_jPlS8_PNS0_10empty_typeENS0_5tupleIJS8_S9_EEENSB_IJS8_SA_EEENS0_18inequality_wrapperIZN2at6native12_GLOBAL__N_124unique_dim_cuda_templateIhEESt5tupleIJNSF_6TensorESK_SK_EERKSK_lbbbEUlllE0_EEPmJS9_EEE10hipError_tPvRmT3_T4_T5_T6_T7_T9_mT8_P12ihipStream_tbDpT10_ENKUlT_T0_E_clISt17integral_constantIbLb1EES1A_EEDaS15_S16_EUlS15_E_NS1_11comp_targetILNS1_3genE3ELNS1_11target_archE908ELNS1_3gpuE7ELNS1_3repE0EEENS1_30default_config_static_selectorELNS0_4arch9wavefront6targetE1EEEvT1_
	.p2align	8
	.type	_ZN7rocprim17ROCPRIM_400000_NS6detail17trampoline_kernelINS0_14default_configENS1_25partition_config_selectorILNS1_17partition_subalgoE9EllbEEZZNS1_14partition_implILS5_9ELb0ES3_jPlS8_PNS0_10empty_typeENS0_5tupleIJS8_S9_EEENSB_IJS8_SA_EEENS0_18inequality_wrapperIZN2at6native12_GLOBAL__N_124unique_dim_cuda_templateIhEESt5tupleIJNSF_6TensorESK_SK_EERKSK_lbbbEUlllE0_EEPmJS9_EEE10hipError_tPvRmT3_T4_T5_T6_T7_T9_mT8_P12ihipStream_tbDpT10_ENKUlT_T0_E_clISt17integral_constantIbLb1EES1A_EEDaS15_S16_EUlS15_E_NS1_11comp_targetILNS1_3genE3ELNS1_11target_archE908ELNS1_3gpuE7ELNS1_3repE0EEENS1_30default_config_static_selectorELNS0_4arch9wavefront6targetE1EEEvT1_,@function
_ZN7rocprim17ROCPRIM_400000_NS6detail17trampoline_kernelINS0_14default_configENS1_25partition_config_selectorILNS1_17partition_subalgoE9EllbEEZZNS1_14partition_implILS5_9ELb0ES3_jPlS8_PNS0_10empty_typeENS0_5tupleIJS8_S9_EEENSB_IJS8_SA_EEENS0_18inequality_wrapperIZN2at6native12_GLOBAL__N_124unique_dim_cuda_templateIhEESt5tupleIJNSF_6TensorESK_SK_EERKSK_lbbbEUlllE0_EEPmJS9_EEE10hipError_tPvRmT3_T4_T5_T6_T7_T9_mT8_P12ihipStream_tbDpT10_ENKUlT_T0_E_clISt17integral_constantIbLb1EES1A_EEDaS15_S16_EUlS15_E_NS1_11comp_targetILNS1_3genE3ELNS1_11target_archE908ELNS1_3gpuE7ELNS1_3repE0EEENS1_30default_config_static_selectorELNS0_4arch9wavefront6targetE1EEEvT1_: ; @_ZN7rocprim17ROCPRIM_400000_NS6detail17trampoline_kernelINS0_14default_configENS1_25partition_config_selectorILNS1_17partition_subalgoE9EllbEEZZNS1_14partition_implILS5_9ELb0ES3_jPlS8_PNS0_10empty_typeENS0_5tupleIJS8_S9_EEENSB_IJS8_SA_EEENS0_18inequality_wrapperIZN2at6native12_GLOBAL__N_124unique_dim_cuda_templateIhEESt5tupleIJNSF_6TensorESK_SK_EERKSK_lbbbEUlllE0_EEPmJS9_EEE10hipError_tPvRmT3_T4_T5_T6_T7_T9_mT8_P12ihipStream_tbDpT10_ENKUlT_T0_E_clISt17integral_constantIbLb1EES1A_EEDaS15_S16_EUlS15_E_NS1_11comp_targetILNS1_3genE3ELNS1_11target_archE908ELNS1_3gpuE7ELNS1_3repE0EEENS1_30default_config_static_selectorELNS0_4arch9wavefront6targetE1EEEvT1_
; %bb.0:
	.section	.rodata,"a",@progbits
	.p2align	6, 0x0
	.amdhsa_kernel _ZN7rocprim17ROCPRIM_400000_NS6detail17trampoline_kernelINS0_14default_configENS1_25partition_config_selectorILNS1_17partition_subalgoE9EllbEEZZNS1_14partition_implILS5_9ELb0ES3_jPlS8_PNS0_10empty_typeENS0_5tupleIJS8_S9_EEENSB_IJS8_SA_EEENS0_18inequality_wrapperIZN2at6native12_GLOBAL__N_124unique_dim_cuda_templateIhEESt5tupleIJNSF_6TensorESK_SK_EERKSK_lbbbEUlllE0_EEPmJS9_EEE10hipError_tPvRmT3_T4_T5_T6_T7_T9_mT8_P12ihipStream_tbDpT10_ENKUlT_T0_E_clISt17integral_constantIbLb1EES1A_EEDaS15_S16_EUlS15_E_NS1_11comp_targetILNS1_3genE3ELNS1_11target_archE908ELNS1_3gpuE7ELNS1_3repE0EEENS1_30default_config_static_selectorELNS0_4arch9wavefront6targetE1EEEvT1_
		.amdhsa_group_segment_fixed_size 0
		.amdhsa_private_segment_fixed_size 0
		.amdhsa_kernarg_size 136
		.amdhsa_user_sgpr_count 2
		.amdhsa_user_sgpr_dispatch_ptr 0
		.amdhsa_user_sgpr_queue_ptr 0
		.amdhsa_user_sgpr_kernarg_segment_ptr 1
		.amdhsa_user_sgpr_dispatch_id 0
		.amdhsa_user_sgpr_kernarg_preload_length 0
		.amdhsa_user_sgpr_kernarg_preload_offset 0
		.amdhsa_user_sgpr_private_segment_size 0
		.amdhsa_uses_dynamic_stack 0
		.amdhsa_enable_private_segment 0
		.amdhsa_system_sgpr_workgroup_id_x 1
		.amdhsa_system_sgpr_workgroup_id_y 0
		.amdhsa_system_sgpr_workgroup_id_z 0
		.amdhsa_system_sgpr_workgroup_info 0
		.amdhsa_system_vgpr_workitem_id 0
		.amdhsa_next_free_vgpr 1
		.amdhsa_next_free_sgpr 0
		.amdhsa_accum_offset 4
		.amdhsa_reserve_vcc 0
		.amdhsa_float_round_mode_32 0
		.amdhsa_float_round_mode_16_64 0
		.amdhsa_float_denorm_mode_32 3
		.amdhsa_float_denorm_mode_16_64 3
		.amdhsa_dx10_clamp 1
		.amdhsa_ieee_mode 1
		.amdhsa_fp16_overflow 0
		.amdhsa_tg_split 0
		.amdhsa_exception_fp_ieee_invalid_op 0
		.amdhsa_exception_fp_denorm_src 0
		.amdhsa_exception_fp_ieee_div_zero 0
		.amdhsa_exception_fp_ieee_overflow 0
		.amdhsa_exception_fp_ieee_underflow 0
		.amdhsa_exception_fp_ieee_inexact 0
		.amdhsa_exception_int_div_zero 0
	.end_amdhsa_kernel
	.section	.text._ZN7rocprim17ROCPRIM_400000_NS6detail17trampoline_kernelINS0_14default_configENS1_25partition_config_selectorILNS1_17partition_subalgoE9EllbEEZZNS1_14partition_implILS5_9ELb0ES3_jPlS8_PNS0_10empty_typeENS0_5tupleIJS8_S9_EEENSB_IJS8_SA_EEENS0_18inequality_wrapperIZN2at6native12_GLOBAL__N_124unique_dim_cuda_templateIhEESt5tupleIJNSF_6TensorESK_SK_EERKSK_lbbbEUlllE0_EEPmJS9_EEE10hipError_tPvRmT3_T4_T5_T6_T7_T9_mT8_P12ihipStream_tbDpT10_ENKUlT_T0_E_clISt17integral_constantIbLb1EES1A_EEDaS15_S16_EUlS15_E_NS1_11comp_targetILNS1_3genE3ELNS1_11target_archE908ELNS1_3gpuE7ELNS1_3repE0EEENS1_30default_config_static_selectorELNS0_4arch9wavefront6targetE1EEEvT1_,"axG",@progbits,_ZN7rocprim17ROCPRIM_400000_NS6detail17trampoline_kernelINS0_14default_configENS1_25partition_config_selectorILNS1_17partition_subalgoE9EllbEEZZNS1_14partition_implILS5_9ELb0ES3_jPlS8_PNS0_10empty_typeENS0_5tupleIJS8_S9_EEENSB_IJS8_SA_EEENS0_18inequality_wrapperIZN2at6native12_GLOBAL__N_124unique_dim_cuda_templateIhEESt5tupleIJNSF_6TensorESK_SK_EERKSK_lbbbEUlllE0_EEPmJS9_EEE10hipError_tPvRmT3_T4_T5_T6_T7_T9_mT8_P12ihipStream_tbDpT10_ENKUlT_T0_E_clISt17integral_constantIbLb1EES1A_EEDaS15_S16_EUlS15_E_NS1_11comp_targetILNS1_3genE3ELNS1_11target_archE908ELNS1_3gpuE7ELNS1_3repE0EEENS1_30default_config_static_selectorELNS0_4arch9wavefront6targetE1EEEvT1_,comdat
.Lfunc_end216:
	.size	_ZN7rocprim17ROCPRIM_400000_NS6detail17trampoline_kernelINS0_14default_configENS1_25partition_config_selectorILNS1_17partition_subalgoE9EllbEEZZNS1_14partition_implILS5_9ELb0ES3_jPlS8_PNS0_10empty_typeENS0_5tupleIJS8_S9_EEENSB_IJS8_SA_EEENS0_18inequality_wrapperIZN2at6native12_GLOBAL__N_124unique_dim_cuda_templateIhEESt5tupleIJNSF_6TensorESK_SK_EERKSK_lbbbEUlllE0_EEPmJS9_EEE10hipError_tPvRmT3_T4_T5_T6_T7_T9_mT8_P12ihipStream_tbDpT10_ENKUlT_T0_E_clISt17integral_constantIbLb1EES1A_EEDaS15_S16_EUlS15_E_NS1_11comp_targetILNS1_3genE3ELNS1_11target_archE908ELNS1_3gpuE7ELNS1_3repE0EEENS1_30default_config_static_selectorELNS0_4arch9wavefront6targetE1EEEvT1_, .Lfunc_end216-_ZN7rocprim17ROCPRIM_400000_NS6detail17trampoline_kernelINS0_14default_configENS1_25partition_config_selectorILNS1_17partition_subalgoE9EllbEEZZNS1_14partition_implILS5_9ELb0ES3_jPlS8_PNS0_10empty_typeENS0_5tupleIJS8_S9_EEENSB_IJS8_SA_EEENS0_18inequality_wrapperIZN2at6native12_GLOBAL__N_124unique_dim_cuda_templateIhEESt5tupleIJNSF_6TensorESK_SK_EERKSK_lbbbEUlllE0_EEPmJS9_EEE10hipError_tPvRmT3_T4_T5_T6_T7_T9_mT8_P12ihipStream_tbDpT10_ENKUlT_T0_E_clISt17integral_constantIbLb1EES1A_EEDaS15_S16_EUlS15_E_NS1_11comp_targetILNS1_3genE3ELNS1_11target_archE908ELNS1_3gpuE7ELNS1_3repE0EEENS1_30default_config_static_selectorELNS0_4arch9wavefront6targetE1EEEvT1_
                                        ; -- End function
	.section	.AMDGPU.csdata,"",@progbits
; Kernel info:
; codeLenInByte = 0
; NumSgprs: 6
; NumVgprs: 0
; NumAgprs: 0
; TotalNumVgprs: 0
; ScratchSize: 0
; MemoryBound: 0
; FloatMode: 240
; IeeeMode: 1
; LDSByteSize: 0 bytes/workgroup (compile time only)
; SGPRBlocks: 0
; VGPRBlocks: 0
; NumSGPRsForWavesPerEU: 6
; NumVGPRsForWavesPerEU: 1
; AccumOffset: 4
; Occupancy: 8
; WaveLimiterHint : 0
; COMPUTE_PGM_RSRC2:SCRATCH_EN: 0
; COMPUTE_PGM_RSRC2:USER_SGPR: 2
; COMPUTE_PGM_RSRC2:TRAP_HANDLER: 0
; COMPUTE_PGM_RSRC2:TGID_X_EN: 1
; COMPUTE_PGM_RSRC2:TGID_Y_EN: 0
; COMPUTE_PGM_RSRC2:TGID_Z_EN: 0
; COMPUTE_PGM_RSRC2:TIDIG_COMP_CNT: 0
; COMPUTE_PGM_RSRC3_GFX90A:ACCUM_OFFSET: 0
; COMPUTE_PGM_RSRC3_GFX90A:TG_SPLIT: 0
	.section	.text._ZN7rocprim17ROCPRIM_400000_NS6detail17trampoline_kernelINS0_14default_configENS1_25partition_config_selectorILNS1_17partition_subalgoE9EllbEEZZNS1_14partition_implILS5_9ELb0ES3_jPlS8_PNS0_10empty_typeENS0_5tupleIJS8_S9_EEENSB_IJS8_SA_EEENS0_18inequality_wrapperIZN2at6native12_GLOBAL__N_124unique_dim_cuda_templateIhEESt5tupleIJNSF_6TensorESK_SK_EERKSK_lbbbEUlllE0_EEPmJS9_EEE10hipError_tPvRmT3_T4_T5_T6_T7_T9_mT8_P12ihipStream_tbDpT10_ENKUlT_T0_E_clISt17integral_constantIbLb1EES1A_EEDaS15_S16_EUlS15_E_NS1_11comp_targetILNS1_3genE2ELNS1_11target_archE906ELNS1_3gpuE6ELNS1_3repE0EEENS1_30default_config_static_selectorELNS0_4arch9wavefront6targetE1EEEvT1_,"axG",@progbits,_ZN7rocprim17ROCPRIM_400000_NS6detail17trampoline_kernelINS0_14default_configENS1_25partition_config_selectorILNS1_17partition_subalgoE9EllbEEZZNS1_14partition_implILS5_9ELb0ES3_jPlS8_PNS0_10empty_typeENS0_5tupleIJS8_S9_EEENSB_IJS8_SA_EEENS0_18inequality_wrapperIZN2at6native12_GLOBAL__N_124unique_dim_cuda_templateIhEESt5tupleIJNSF_6TensorESK_SK_EERKSK_lbbbEUlllE0_EEPmJS9_EEE10hipError_tPvRmT3_T4_T5_T6_T7_T9_mT8_P12ihipStream_tbDpT10_ENKUlT_T0_E_clISt17integral_constantIbLb1EES1A_EEDaS15_S16_EUlS15_E_NS1_11comp_targetILNS1_3genE2ELNS1_11target_archE906ELNS1_3gpuE6ELNS1_3repE0EEENS1_30default_config_static_selectorELNS0_4arch9wavefront6targetE1EEEvT1_,comdat
	.globl	_ZN7rocprim17ROCPRIM_400000_NS6detail17trampoline_kernelINS0_14default_configENS1_25partition_config_selectorILNS1_17partition_subalgoE9EllbEEZZNS1_14partition_implILS5_9ELb0ES3_jPlS8_PNS0_10empty_typeENS0_5tupleIJS8_S9_EEENSB_IJS8_SA_EEENS0_18inequality_wrapperIZN2at6native12_GLOBAL__N_124unique_dim_cuda_templateIhEESt5tupleIJNSF_6TensorESK_SK_EERKSK_lbbbEUlllE0_EEPmJS9_EEE10hipError_tPvRmT3_T4_T5_T6_T7_T9_mT8_P12ihipStream_tbDpT10_ENKUlT_T0_E_clISt17integral_constantIbLb1EES1A_EEDaS15_S16_EUlS15_E_NS1_11comp_targetILNS1_3genE2ELNS1_11target_archE906ELNS1_3gpuE6ELNS1_3repE0EEENS1_30default_config_static_selectorELNS0_4arch9wavefront6targetE1EEEvT1_ ; -- Begin function _ZN7rocprim17ROCPRIM_400000_NS6detail17trampoline_kernelINS0_14default_configENS1_25partition_config_selectorILNS1_17partition_subalgoE9EllbEEZZNS1_14partition_implILS5_9ELb0ES3_jPlS8_PNS0_10empty_typeENS0_5tupleIJS8_S9_EEENSB_IJS8_SA_EEENS0_18inequality_wrapperIZN2at6native12_GLOBAL__N_124unique_dim_cuda_templateIhEESt5tupleIJNSF_6TensorESK_SK_EERKSK_lbbbEUlllE0_EEPmJS9_EEE10hipError_tPvRmT3_T4_T5_T6_T7_T9_mT8_P12ihipStream_tbDpT10_ENKUlT_T0_E_clISt17integral_constantIbLb1EES1A_EEDaS15_S16_EUlS15_E_NS1_11comp_targetILNS1_3genE2ELNS1_11target_archE906ELNS1_3gpuE6ELNS1_3repE0EEENS1_30default_config_static_selectorELNS0_4arch9wavefront6targetE1EEEvT1_
	.p2align	8
	.type	_ZN7rocprim17ROCPRIM_400000_NS6detail17trampoline_kernelINS0_14default_configENS1_25partition_config_selectorILNS1_17partition_subalgoE9EllbEEZZNS1_14partition_implILS5_9ELb0ES3_jPlS8_PNS0_10empty_typeENS0_5tupleIJS8_S9_EEENSB_IJS8_SA_EEENS0_18inequality_wrapperIZN2at6native12_GLOBAL__N_124unique_dim_cuda_templateIhEESt5tupleIJNSF_6TensorESK_SK_EERKSK_lbbbEUlllE0_EEPmJS9_EEE10hipError_tPvRmT3_T4_T5_T6_T7_T9_mT8_P12ihipStream_tbDpT10_ENKUlT_T0_E_clISt17integral_constantIbLb1EES1A_EEDaS15_S16_EUlS15_E_NS1_11comp_targetILNS1_3genE2ELNS1_11target_archE906ELNS1_3gpuE6ELNS1_3repE0EEENS1_30default_config_static_selectorELNS0_4arch9wavefront6targetE1EEEvT1_,@function
_ZN7rocprim17ROCPRIM_400000_NS6detail17trampoline_kernelINS0_14default_configENS1_25partition_config_selectorILNS1_17partition_subalgoE9EllbEEZZNS1_14partition_implILS5_9ELb0ES3_jPlS8_PNS0_10empty_typeENS0_5tupleIJS8_S9_EEENSB_IJS8_SA_EEENS0_18inequality_wrapperIZN2at6native12_GLOBAL__N_124unique_dim_cuda_templateIhEESt5tupleIJNSF_6TensorESK_SK_EERKSK_lbbbEUlllE0_EEPmJS9_EEE10hipError_tPvRmT3_T4_T5_T6_T7_T9_mT8_P12ihipStream_tbDpT10_ENKUlT_T0_E_clISt17integral_constantIbLb1EES1A_EEDaS15_S16_EUlS15_E_NS1_11comp_targetILNS1_3genE2ELNS1_11target_archE906ELNS1_3gpuE6ELNS1_3repE0EEENS1_30default_config_static_selectorELNS0_4arch9wavefront6targetE1EEEvT1_: ; @_ZN7rocprim17ROCPRIM_400000_NS6detail17trampoline_kernelINS0_14default_configENS1_25partition_config_selectorILNS1_17partition_subalgoE9EllbEEZZNS1_14partition_implILS5_9ELb0ES3_jPlS8_PNS0_10empty_typeENS0_5tupleIJS8_S9_EEENSB_IJS8_SA_EEENS0_18inequality_wrapperIZN2at6native12_GLOBAL__N_124unique_dim_cuda_templateIhEESt5tupleIJNSF_6TensorESK_SK_EERKSK_lbbbEUlllE0_EEPmJS9_EEE10hipError_tPvRmT3_T4_T5_T6_T7_T9_mT8_P12ihipStream_tbDpT10_ENKUlT_T0_E_clISt17integral_constantIbLb1EES1A_EEDaS15_S16_EUlS15_E_NS1_11comp_targetILNS1_3genE2ELNS1_11target_archE906ELNS1_3gpuE6ELNS1_3repE0EEENS1_30default_config_static_selectorELNS0_4arch9wavefront6targetE1EEEvT1_
; %bb.0:
	.section	.rodata,"a",@progbits
	.p2align	6, 0x0
	.amdhsa_kernel _ZN7rocprim17ROCPRIM_400000_NS6detail17trampoline_kernelINS0_14default_configENS1_25partition_config_selectorILNS1_17partition_subalgoE9EllbEEZZNS1_14partition_implILS5_9ELb0ES3_jPlS8_PNS0_10empty_typeENS0_5tupleIJS8_S9_EEENSB_IJS8_SA_EEENS0_18inequality_wrapperIZN2at6native12_GLOBAL__N_124unique_dim_cuda_templateIhEESt5tupleIJNSF_6TensorESK_SK_EERKSK_lbbbEUlllE0_EEPmJS9_EEE10hipError_tPvRmT3_T4_T5_T6_T7_T9_mT8_P12ihipStream_tbDpT10_ENKUlT_T0_E_clISt17integral_constantIbLb1EES1A_EEDaS15_S16_EUlS15_E_NS1_11comp_targetILNS1_3genE2ELNS1_11target_archE906ELNS1_3gpuE6ELNS1_3repE0EEENS1_30default_config_static_selectorELNS0_4arch9wavefront6targetE1EEEvT1_
		.amdhsa_group_segment_fixed_size 0
		.amdhsa_private_segment_fixed_size 0
		.amdhsa_kernarg_size 136
		.amdhsa_user_sgpr_count 2
		.amdhsa_user_sgpr_dispatch_ptr 0
		.amdhsa_user_sgpr_queue_ptr 0
		.amdhsa_user_sgpr_kernarg_segment_ptr 1
		.amdhsa_user_sgpr_dispatch_id 0
		.amdhsa_user_sgpr_kernarg_preload_length 0
		.amdhsa_user_sgpr_kernarg_preload_offset 0
		.amdhsa_user_sgpr_private_segment_size 0
		.amdhsa_uses_dynamic_stack 0
		.amdhsa_enable_private_segment 0
		.amdhsa_system_sgpr_workgroup_id_x 1
		.amdhsa_system_sgpr_workgroup_id_y 0
		.amdhsa_system_sgpr_workgroup_id_z 0
		.amdhsa_system_sgpr_workgroup_info 0
		.amdhsa_system_vgpr_workitem_id 0
		.amdhsa_next_free_vgpr 1
		.amdhsa_next_free_sgpr 0
		.amdhsa_accum_offset 4
		.amdhsa_reserve_vcc 0
		.amdhsa_float_round_mode_32 0
		.amdhsa_float_round_mode_16_64 0
		.amdhsa_float_denorm_mode_32 3
		.amdhsa_float_denorm_mode_16_64 3
		.amdhsa_dx10_clamp 1
		.amdhsa_ieee_mode 1
		.amdhsa_fp16_overflow 0
		.amdhsa_tg_split 0
		.amdhsa_exception_fp_ieee_invalid_op 0
		.amdhsa_exception_fp_denorm_src 0
		.amdhsa_exception_fp_ieee_div_zero 0
		.amdhsa_exception_fp_ieee_overflow 0
		.amdhsa_exception_fp_ieee_underflow 0
		.amdhsa_exception_fp_ieee_inexact 0
		.amdhsa_exception_int_div_zero 0
	.end_amdhsa_kernel
	.section	.text._ZN7rocprim17ROCPRIM_400000_NS6detail17trampoline_kernelINS0_14default_configENS1_25partition_config_selectorILNS1_17partition_subalgoE9EllbEEZZNS1_14partition_implILS5_9ELb0ES3_jPlS8_PNS0_10empty_typeENS0_5tupleIJS8_S9_EEENSB_IJS8_SA_EEENS0_18inequality_wrapperIZN2at6native12_GLOBAL__N_124unique_dim_cuda_templateIhEESt5tupleIJNSF_6TensorESK_SK_EERKSK_lbbbEUlllE0_EEPmJS9_EEE10hipError_tPvRmT3_T4_T5_T6_T7_T9_mT8_P12ihipStream_tbDpT10_ENKUlT_T0_E_clISt17integral_constantIbLb1EES1A_EEDaS15_S16_EUlS15_E_NS1_11comp_targetILNS1_3genE2ELNS1_11target_archE906ELNS1_3gpuE6ELNS1_3repE0EEENS1_30default_config_static_selectorELNS0_4arch9wavefront6targetE1EEEvT1_,"axG",@progbits,_ZN7rocprim17ROCPRIM_400000_NS6detail17trampoline_kernelINS0_14default_configENS1_25partition_config_selectorILNS1_17partition_subalgoE9EllbEEZZNS1_14partition_implILS5_9ELb0ES3_jPlS8_PNS0_10empty_typeENS0_5tupleIJS8_S9_EEENSB_IJS8_SA_EEENS0_18inequality_wrapperIZN2at6native12_GLOBAL__N_124unique_dim_cuda_templateIhEESt5tupleIJNSF_6TensorESK_SK_EERKSK_lbbbEUlllE0_EEPmJS9_EEE10hipError_tPvRmT3_T4_T5_T6_T7_T9_mT8_P12ihipStream_tbDpT10_ENKUlT_T0_E_clISt17integral_constantIbLb1EES1A_EEDaS15_S16_EUlS15_E_NS1_11comp_targetILNS1_3genE2ELNS1_11target_archE906ELNS1_3gpuE6ELNS1_3repE0EEENS1_30default_config_static_selectorELNS0_4arch9wavefront6targetE1EEEvT1_,comdat
.Lfunc_end217:
	.size	_ZN7rocprim17ROCPRIM_400000_NS6detail17trampoline_kernelINS0_14default_configENS1_25partition_config_selectorILNS1_17partition_subalgoE9EllbEEZZNS1_14partition_implILS5_9ELb0ES3_jPlS8_PNS0_10empty_typeENS0_5tupleIJS8_S9_EEENSB_IJS8_SA_EEENS0_18inequality_wrapperIZN2at6native12_GLOBAL__N_124unique_dim_cuda_templateIhEESt5tupleIJNSF_6TensorESK_SK_EERKSK_lbbbEUlllE0_EEPmJS9_EEE10hipError_tPvRmT3_T4_T5_T6_T7_T9_mT8_P12ihipStream_tbDpT10_ENKUlT_T0_E_clISt17integral_constantIbLb1EES1A_EEDaS15_S16_EUlS15_E_NS1_11comp_targetILNS1_3genE2ELNS1_11target_archE906ELNS1_3gpuE6ELNS1_3repE0EEENS1_30default_config_static_selectorELNS0_4arch9wavefront6targetE1EEEvT1_, .Lfunc_end217-_ZN7rocprim17ROCPRIM_400000_NS6detail17trampoline_kernelINS0_14default_configENS1_25partition_config_selectorILNS1_17partition_subalgoE9EllbEEZZNS1_14partition_implILS5_9ELb0ES3_jPlS8_PNS0_10empty_typeENS0_5tupleIJS8_S9_EEENSB_IJS8_SA_EEENS0_18inequality_wrapperIZN2at6native12_GLOBAL__N_124unique_dim_cuda_templateIhEESt5tupleIJNSF_6TensorESK_SK_EERKSK_lbbbEUlllE0_EEPmJS9_EEE10hipError_tPvRmT3_T4_T5_T6_T7_T9_mT8_P12ihipStream_tbDpT10_ENKUlT_T0_E_clISt17integral_constantIbLb1EES1A_EEDaS15_S16_EUlS15_E_NS1_11comp_targetILNS1_3genE2ELNS1_11target_archE906ELNS1_3gpuE6ELNS1_3repE0EEENS1_30default_config_static_selectorELNS0_4arch9wavefront6targetE1EEEvT1_
                                        ; -- End function
	.section	.AMDGPU.csdata,"",@progbits
; Kernel info:
; codeLenInByte = 0
; NumSgprs: 6
; NumVgprs: 0
; NumAgprs: 0
; TotalNumVgprs: 0
; ScratchSize: 0
; MemoryBound: 0
; FloatMode: 240
; IeeeMode: 1
; LDSByteSize: 0 bytes/workgroup (compile time only)
; SGPRBlocks: 0
; VGPRBlocks: 0
; NumSGPRsForWavesPerEU: 6
; NumVGPRsForWavesPerEU: 1
; AccumOffset: 4
; Occupancy: 8
; WaveLimiterHint : 0
; COMPUTE_PGM_RSRC2:SCRATCH_EN: 0
; COMPUTE_PGM_RSRC2:USER_SGPR: 2
; COMPUTE_PGM_RSRC2:TRAP_HANDLER: 0
; COMPUTE_PGM_RSRC2:TGID_X_EN: 1
; COMPUTE_PGM_RSRC2:TGID_Y_EN: 0
; COMPUTE_PGM_RSRC2:TGID_Z_EN: 0
; COMPUTE_PGM_RSRC2:TIDIG_COMP_CNT: 0
; COMPUTE_PGM_RSRC3_GFX90A:ACCUM_OFFSET: 0
; COMPUTE_PGM_RSRC3_GFX90A:TG_SPLIT: 0
	.section	.text._ZN7rocprim17ROCPRIM_400000_NS6detail17trampoline_kernelINS0_14default_configENS1_25partition_config_selectorILNS1_17partition_subalgoE9EllbEEZZNS1_14partition_implILS5_9ELb0ES3_jPlS8_PNS0_10empty_typeENS0_5tupleIJS8_S9_EEENSB_IJS8_SA_EEENS0_18inequality_wrapperIZN2at6native12_GLOBAL__N_124unique_dim_cuda_templateIhEESt5tupleIJNSF_6TensorESK_SK_EERKSK_lbbbEUlllE0_EEPmJS9_EEE10hipError_tPvRmT3_T4_T5_T6_T7_T9_mT8_P12ihipStream_tbDpT10_ENKUlT_T0_E_clISt17integral_constantIbLb1EES1A_EEDaS15_S16_EUlS15_E_NS1_11comp_targetILNS1_3genE10ELNS1_11target_archE1200ELNS1_3gpuE4ELNS1_3repE0EEENS1_30default_config_static_selectorELNS0_4arch9wavefront6targetE1EEEvT1_,"axG",@progbits,_ZN7rocprim17ROCPRIM_400000_NS6detail17trampoline_kernelINS0_14default_configENS1_25partition_config_selectorILNS1_17partition_subalgoE9EllbEEZZNS1_14partition_implILS5_9ELb0ES3_jPlS8_PNS0_10empty_typeENS0_5tupleIJS8_S9_EEENSB_IJS8_SA_EEENS0_18inequality_wrapperIZN2at6native12_GLOBAL__N_124unique_dim_cuda_templateIhEESt5tupleIJNSF_6TensorESK_SK_EERKSK_lbbbEUlllE0_EEPmJS9_EEE10hipError_tPvRmT3_T4_T5_T6_T7_T9_mT8_P12ihipStream_tbDpT10_ENKUlT_T0_E_clISt17integral_constantIbLb1EES1A_EEDaS15_S16_EUlS15_E_NS1_11comp_targetILNS1_3genE10ELNS1_11target_archE1200ELNS1_3gpuE4ELNS1_3repE0EEENS1_30default_config_static_selectorELNS0_4arch9wavefront6targetE1EEEvT1_,comdat
	.globl	_ZN7rocprim17ROCPRIM_400000_NS6detail17trampoline_kernelINS0_14default_configENS1_25partition_config_selectorILNS1_17partition_subalgoE9EllbEEZZNS1_14partition_implILS5_9ELb0ES3_jPlS8_PNS0_10empty_typeENS0_5tupleIJS8_S9_EEENSB_IJS8_SA_EEENS0_18inequality_wrapperIZN2at6native12_GLOBAL__N_124unique_dim_cuda_templateIhEESt5tupleIJNSF_6TensorESK_SK_EERKSK_lbbbEUlllE0_EEPmJS9_EEE10hipError_tPvRmT3_T4_T5_T6_T7_T9_mT8_P12ihipStream_tbDpT10_ENKUlT_T0_E_clISt17integral_constantIbLb1EES1A_EEDaS15_S16_EUlS15_E_NS1_11comp_targetILNS1_3genE10ELNS1_11target_archE1200ELNS1_3gpuE4ELNS1_3repE0EEENS1_30default_config_static_selectorELNS0_4arch9wavefront6targetE1EEEvT1_ ; -- Begin function _ZN7rocprim17ROCPRIM_400000_NS6detail17trampoline_kernelINS0_14default_configENS1_25partition_config_selectorILNS1_17partition_subalgoE9EllbEEZZNS1_14partition_implILS5_9ELb0ES3_jPlS8_PNS0_10empty_typeENS0_5tupleIJS8_S9_EEENSB_IJS8_SA_EEENS0_18inequality_wrapperIZN2at6native12_GLOBAL__N_124unique_dim_cuda_templateIhEESt5tupleIJNSF_6TensorESK_SK_EERKSK_lbbbEUlllE0_EEPmJS9_EEE10hipError_tPvRmT3_T4_T5_T6_T7_T9_mT8_P12ihipStream_tbDpT10_ENKUlT_T0_E_clISt17integral_constantIbLb1EES1A_EEDaS15_S16_EUlS15_E_NS1_11comp_targetILNS1_3genE10ELNS1_11target_archE1200ELNS1_3gpuE4ELNS1_3repE0EEENS1_30default_config_static_selectorELNS0_4arch9wavefront6targetE1EEEvT1_
	.p2align	8
	.type	_ZN7rocprim17ROCPRIM_400000_NS6detail17trampoline_kernelINS0_14default_configENS1_25partition_config_selectorILNS1_17partition_subalgoE9EllbEEZZNS1_14partition_implILS5_9ELb0ES3_jPlS8_PNS0_10empty_typeENS0_5tupleIJS8_S9_EEENSB_IJS8_SA_EEENS0_18inequality_wrapperIZN2at6native12_GLOBAL__N_124unique_dim_cuda_templateIhEESt5tupleIJNSF_6TensorESK_SK_EERKSK_lbbbEUlllE0_EEPmJS9_EEE10hipError_tPvRmT3_T4_T5_T6_T7_T9_mT8_P12ihipStream_tbDpT10_ENKUlT_T0_E_clISt17integral_constantIbLb1EES1A_EEDaS15_S16_EUlS15_E_NS1_11comp_targetILNS1_3genE10ELNS1_11target_archE1200ELNS1_3gpuE4ELNS1_3repE0EEENS1_30default_config_static_selectorELNS0_4arch9wavefront6targetE1EEEvT1_,@function
_ZN7rocprim17ROCPRIM_400000_NS6detail17trampoline_kernelINS0_14default_configENS1_25partition_config_selectorILNS1_17partition_subalgoE9EllbEEZZNS1_14partition_implILS5_9ELb0ES3_jPlS8_PNS0_10empty_typeENS0_5tupleIJS8_S9_EEENSB_IJS8_SA_EEENS0_18inequality_wrapperIZN2at6native12_GLOBAL__N_124unique_dim_cuda_templateIhEESt5tupleIJNSF_6TensorESK_SK_EERKSK_lbbbEUlllE0_EEPmJS9_EEE10hipError_tPvRmT3_T4_T5_T6_T7_T9_mT8_P12ihipStream_tbDpT10_ENKUlT_T0_E_clISt17integral_constantIbLb1EES1A_EEDaS15_S16_EUlS15_E_NS1_11comp_targetILNS1_3genE10ELNS1_11target_archE1200ELNS1_3gpuE4ELNS1_3repE0EEENS1_30default_config_static_selectorELNS0_4arch9wavefront6targetE1EEEvT1_: ; @_ZN7rocprim17ROCPRIM_400000_NS6detail17trampoline_kernelINS0_14default_configENS1_25partition_config_selectorILNS1_17partition_subalgoE9EllbEEZZNS1_14partition_implILS5_9ELb0ES3_jPlS8_PNS0_10empty_typeENS0_5tupleIJS8_S9_EEENSB_IJS8_SA_EEENS0_18inequality_wrapperIZN2at6native12_GLOBAL__N_124unique_dim_cuda_templateIhEESt5tupleIJNSF_6TensorESK_SK_EERKSK_lbbbEUlllE0_EEPmJS9_EEE10hipError_tPvRmT3_T4_T5_T6_T7_T9_mT8_P12ihipStream_tbDpT10_ENKUlT_T0_E_clISt17integral_constantIbLb1EES1A_EEDaS15_S16_EUlS15_E_NS1_11comp_targetILNS1_3genE10ELNS1_11target_archE1200ELNS1_3gpuE4ELNS1_3repE0EEENS1_30default_config_static_selectorELNS0_4arch9wavefront6targetE1EEEvT1_
; %bb.0:
	.section	.rodata,"a",@progbits
	.p2align	6, 0x0
	.amdhsa_kernel _ZN7rocprim17ROCPRIM_400000_NS6detail17trampoline_kernelINS0_14default_configENS1_25partition_config_selectorILNS1_17partition_subalgoE9EllbEEZZNS1_14partition_implILS5_9ELb0ES3_jPlS8_PNS0_10empty_typeENS0_5tupleIJS8_S9_EEENSB_IJS8_SA_EEENS0_18inequality_wrapperIZN2at6native12_GLOBAL__N_124unique_dim_cuda_templateIhEESt5tupleIJNSF_6TensorESK_SK_EERKSK_lbbbEUlllE0_EEPmJS9_EEE10hipError_tPvRmT3_T4_T5_T6_T7_T9_mT8_P12ihipStream_tbDpT10_ENKUlT_T0_E_clISt17integral_constantIbLb1EES1A_EEDaS15_S16_EUlS15_E_NS1_11comp_targetILNS1_3genE10ELNS1_11target_archE1200ELNS1_3gpuE4ELNS1_3repE0EEENS1_30default_config_static_selectorELNS0_4arch9wavefront6targetE1EEEvT1_
		.amdhsa_group_segment_fixed_size 0
		.amdhsa_private_segment_fixed_size 0
		.amdhsa_kernarg_size 136
		.amdhsa_user_sgpr_count 2
		.amdhsa_user_sgpr_dispatch_ptr 0
		.amdhsa_user_sgpr_queue_ptr 0
		.amdhsa_user_sgpr_kernarg_segment_ptr 1
		.amdhsa_user_sgpr_dispatch_id 0
		.amdhsa_user_sgpr_kernarg_preload_length 0
		.amdhsa_user_sgpr_kernarg_preload_offset 0
		.amdhsa_user_sgpr_private_segment_size 0
		.amdhsa_uses_dynamic_stack 0
		.amdhsa_enable_private_segment 0
		.amdhsa_system_sgpr_workgroup_id_x 1
		.amdhsa_system_sgpr_workgroup_id_y 0
		.amdhsa_system_sgpr_workgroup_id_z 0
		.amdhsa_system_sgpr_workgroup_info 0
		.amdhsa_system_vgpr_workitem_id 0
		.amdhsa_next_free_vgpr 1
		.amdhsa_next_free_sgpr 0
		.amdhsa_accum_offset 4
		.amdhsa_reserve_vcc 0
		.amdhsa_float_round_mode_32 0
		.amdhsa_float_round_mode_16_64 0
		.amdhsa_float_denorm_mode_32 3
		.amdhsa_float_denorm_mode_16_64 3
		.amdhsa_dx10_clamp 1
		.amdhsa_ieee_mode 1
		.amdhsa_fp16_overflow 0
		.amdhsa_tg_split 0
		.amdhsa_exception_fp_ieee_invalid_op 0
		.amdhsa_exception_fp_denorm_src 0
		.amdhsa_exception_fp_ieee_div_zero 0
		.amdhsa_exception_fp_ieee_overflow 0
		.amdhsa_exception_fp_ieee_underflow 0
		.amdhsa_exception_fp_ieee_inexact 0
		.amdhsa_exception_int_div_zero 0
	.end_amdhsa_kernel
	.section	.text._ZN7rocprim17ROCPRIM_400000_NS6detail17trampoline_kernelINS0_14default_configENS1_25partition_config_selectorILNS1_17partition_subalgoE9EllbEEZZNS1_14partition_implILS5_9ELb0ES3_jPlS8_PNS0_10empty_typeENS0_5tupleIJS8_S9_EEENSB_IJS8_SA_EEENS0_18inequality_wrapperIZN2at6native12_GLOBAL__N_124unique_dim_cuda_templateIhEESt5tupleIJNSF_6TensorESK_SK_EERKSK_lbbbEUlllE0_EEPmJS9_EEE10hipError_tPvRmT3_T4_T5_T6_T7_T9_mT8_P12ihipStream_tbDpT10_ENKUlT_T0_E_clISt17integral_constantIbLb1EES1A_EEDaS15_S16_EUlS15_E_NS1_11comp_targetILNS1_3genE10ELNS1_11target_archE1200ELNS1_3gpuE4ELNS1_3repE0EEENS1_30default_config_static_selectorELNS0_4arch9wavefront6targetE1EEEvT1_,"axG",@progbits,_ZN7rocprim17ROCPRIM_400000_NS6detail17trampoline_kernelINS0_14default_configENS1_25partition_config_selectorILNS1_17partition_subalgoE9EllbEEZZNS1_14partition_implILS5_9ELb0ES3_jPlS8_PNS0_10empty_typeENS0_5tupleIJS8_S9_EEENSB_IJS8_SA_EEENS0_18inequality_wrapperIZN2at6native12_GLOBAL__N_124unique_dim_cuda_templateIhEESt5tupleIJNSF_6TensorESK_SK_EERKSK_lbbbEUlllE0_EEPmJS9_EEE10hipError_tPvRmT3_T4_T5_T6_T7_T9_mT8_P12ihipStream_tbDpT10_ENKUlT_T0_E_clISt17integral_constantIbLb1EES1A_EEDaS15_S16_EUlS15_E_NS1_11comp_targetILNS1_3genE10ELNS1_11target_archE1200ELNS1_3gpuE4ELNS1_3repE0EEENS1_30default_config_static_selectorELNS0_4arch9wavefront6targetE1EEEvT1_,comdat
.Lfunc_end218:
	.size	_ZN7rocprim17ROCPRIM_400000_NS6detail17trampoline_kernelINS0_14default_configENS1_25partition_config_selectorILNS1_17partition_subalgoE9EllbEEZZNS1_14partition_implILS5_9ELb0ES3_jPlS8_PNS0_10empty_typeENS0_5tupleIJS8_S9_EEENSB_IJS8_SA_EEENS0_18inequality_wrapperIZN2at6native12_GLOBAL__N_124unique_dim_cuda_templateIhEESt5tupleIJNSF_6TensorESK_SK_EERKSK_lbbbEUlllE0_EEPmJS9_EEE10hipError_tPvRmT3_T4_T5_T6_T7_T9_mT8_P12ihipStream_tbDpT10_ENKUlT_T0_E_clISt17integral_constantIbLb1EES1A_EEDaS15_S16_EUlS15_E_NS1_11comp_targetILNS1_3genE10ELNS1_11target_archE1200ELNS1_3gpuE4ELNS1_3repE0EEENS1_30default_config_static_selectorELNS0_4arch9wavefront6targetE1EEEvT1_, .Lfunc_end218-_ZN7rocprim17ROCPRIM_400000_NS6detail17trampoline_kernelINS0_14default_configENS1_25partition_config_selectorILNS1_17partition_subalgoE9EllbEEZZNS1_14partition_implILS5_9ELb0ES3_jPlS8_PNS0_10empty_typeENS0_5tupleIJS8_S9_EEENSB_IJS8_SA_EEENS0_18inequality_wrapperIZN2at6native12_GLOBAL__N_124unique_dim_cuda_templateIhEESt5tupleIJNSF_6TensorESK_SK_EERKSK_lbbbEUlllE0_EEPmJS9_EEE10hipError_tPvRmT3_T4_T5_T6_T7_T9_mT8_P12ihipStream_tbDpT10_ENKUlT_T0_E_clISt17integral_constantIbLb1EES1A_EEDaS15_S16_EUlS15_E_NS1_11comp_targetILNS1_3genE10ELNS1_11target_archE1200ELNS1_3gpuE4ELNS1_3repE0EEENS1_30default_config_static_selectorELNS0_4arch9wavefront6targetE1EEEvT1_
                                        ; -- End function
	.section	.AMDGPU.csdata,"",@progbits
; Kernel info:
; codeLenInByte = 0
; NumSgprs: 6
; NumVgprs: 0
; NumAgprs: 0
; TotalNumVgprs: 0
; ScratchSize: 0
; MemoryBound: 0
; FloatMode: 240
; IeeeMode: 1
; LDSByteSize: 0 bytes/workgroup (compile time only)
; SGPRBlocks: 0
; VGPRBlocks: 0
; NumSGPRsForWavesPerEU: 6
; NumVGPRsForWavesPerEU: 1
; AccumOffset: 4
; Occupancy: 8
; WaveLimiterHint : 0
; COMPUTE_PGM_RSRC2:SCRATCH_EN: 0
; COMPUTE_PGM_RSRC2:USER_SGPR: 2
; COMPUTE_PGM_RSRC2:TRAP_HANDLER: 0
; COMPUTE_PGM_RSRC2:TGID_X_EN: 1
; COMPUTE_PGM_RSRC2:TGID_Y_EN: 0
; COMPUTE_PGM_RSRC2:TGID_Z_EN: 0
; COMPUTE_PGM_RSRC2:TIDIG_COMP_CNT: 0
; COMPUTE_PGM_RSRC3_GFX90A:ACCUM_OFFSET: 0
; COMPUTE_PGM_RSRC3_GFX90A:TG_SPLIT: 0
	.section	.text._ZN7rocprim17ROCPRIM_400000_NS6detail17trampoline_kernelINS0_14default_configENS1_25partition_config_selectorILNS1_17partition_subalgoE9EllbEEZZNS1_14partition_implILS5_9ELb0ES3_jPlS8_PNS0_10empty_typeENS0_5tupleIJS8_S9_EEENSB_IJS8_SA_EEENS0_18inequality_wrapperIZN2at6native12_GLOBAL__N_124unique_dim_cuda_templateIhEESt5tupleIJNSF_6TensorESK_SK_EERKSK_lbbbEUlllE0_EEPmJS9_EEE10hipError_tPvRmT3_T4_T5_T6_T7_T9_mT8_P12ihipStream_tbDpT10_ENKUlT_T0_E_clISt17integral_constantIbLb1EES1A_EEDaS15_S16_EUlS15_E_NS1_11comp_targetILNS1_3genE9ELNS1_11target_archE1100ELNS1_3gpuE3ELNS1_3repE0EEENS1_30default_config_static_selectorELNS0_4arch9wavefront6targetE1EEEvT1_,"axG",@progbits,_ZN7rocprim17ROCPRIM_400000_NS6detail17trampoline_kernelINS0_14default_configENS1_25partition_config_selectorILNS1_17partition_subalgoE9EllbEEZZNS1_14partition_implILS5_9ELb0ES3_jPlS8_PNS0_10empty_typeENS0_5tupleIJS8_S9_EEENSB_IJS8_SA_EEENS0_18inequality_wrapperIZN2at6native12_GLOBAL__N_124unique_dim_cuda_templateIhEESt5tupleIJNSF_6TensorESK_SK_EERKSK_lbbbEUlllE0_EEPmJS9_EEE10hipError_tPvRmT3_T4_T5_T6_T7_T9_mT8_P12ihipStream_tbDpT10_ENKUlT_T0_E_clISt17integral_constantIbLb1EES1A_EEDaS15_S16_EUlS15_E_NS1_11comp_targetILNS1_3genE9ELNS1_11target_archE1100ELNS1_3gpuE3ELNS1_3repE0EEENS1_30default_config_static_selectorELNS0_4arch9wavefront6targetE1EEEvT1_,comdat
	.globl	_ZN7rocprim17ROCPRIM_400000_NS6detail17trampoline_kernelINS0_14default_configENS1_25partition_config_selectorILNS1_17partition_subalgoE9EllbEEZZNS1_14partition_implILS5_9ELb0ES3_jPlS8_PNS0_10empty_typeENS0_5tupleIJS8_S9_EEENSB_IJS8_SA_EEENS0_18inequality_wrapperIZN2at6native12_GLOBAL__N_124unique_dim_cuda_templateIhEESt5tupleIJNSF_6TensorESK_SK_EERKSK_lbbbEUlllE0_EEPmJS9_EEE10hipError_tPvRmT3_T4_T5_T6_T7_T9_mT8_P12ihipStream_tbDpT10_ENKUlT_T0_E_clISt17integral_constantIbLb1EES1A_EEDaS15_S16_EUlS15_E_NS1_11comp_targetILNS1_3genE9ELNS1_11target_archE1100ELNS1_3gpuE3ELNS1_3repE0EEENS1_30default_config_static_selectorELNS0_4arch9wavefront6targetE1EEEvT1_ ; -- Begin function _ZN7rocprim17ROCPRIM_400000_NS6detail17trampoline_kernelINS0_14default_configENS1_25partition_config_selectorILNS1_17partition_subalgoE9EllbEEZZNS1_14partition_implILS5_9ELb0ES3_jPlS8_PNS0_10empty_typeENS0_5tupleIJS8_S9_EEENSB_IJS8_SA_EEENS0_18inequality_wrapperIZN2at6native12_GLOBAL__N_124unique_dim_cuda_templateIhEESt5tupleIJNSF_6TensorESK_SK_EERKSK_lbbbEUlllE0_EEPmJS9_EEE10hipError_tPvRmT3_T4_T5_T6_T7_T9_mT8_P12ihipStream_tbDpT10_ENKUlT_T0_E_clISt17integral_constantIbLb1EES1A_EEDaS15_S16_EUlS15_E_NS1_11comp_targetILNS1_3genE9ELNS1_11target_archE1100ELNS1_3gpuE3ELNS1_3repE0EEENS1_30default_config_static_selectorELNS0_4arch9wavefront6targetE1EEEvT1_
	.p2align	8
	.type	_ZN7rocprim17ROCPRIM_400000_NS6detail17trampoline_kernelINS0_14default_configENS1_25partition_config_selectorILNS1_17partition_subalgoE9EllbEEZZNS1_14partition_implILS5_9ELb0ES3_jPlS8_PNS0_10empty_typeENS0_5tupleIJS8_S9_EEENSB_IJS8_SA_EEENS0_18inequality_wrapperIZN2at6native12_GLOBAL__N_124unique_dim_cuda_templateIhEESt5tupleIJNSF_6TensorESK_SK_EERKSK_lbbbEUlllE0_EEPmJS9_EEE10hipError_tPvRmT3_T4_T5_T6_T7_T9_mT8_P12ihipStream_tbDpT10_ENKUlT_T0_E_clISt17integral_constantIbLb1EES1A_EEDaS15_S16_EUlS15_E_NS1_11comp_targetILNS1_3genE9ELNS1_11target_archE1100ELNS1_3gpuE3ELNS1_3repE0EEENS1_30default_config_static_selectorELNS0_4arch9wavefront6targetE1EEEvT1_,@function
_ZN7rocprim17ROCPRIM_400000_NS6detail17trampoline_kernelINS0_14default_configENS1_25partition_config_selectorILNS1_17partition_subalgoE9EllbEEZZNS1_14partition_implILS5_9ELb0ES3_jPlS8_PNS0_10empty_typeENS0_5tupleIJS8_S9_EEENSB_IJS8_SA_EEENS0_18inequality_wrapperIZN2at6native12_GLOBAL__N_124unique_dim_cuda_templateIhEESt5tupleIJNSF_6TensorESK_SK_EERKSK_lbbbEUlllE0_EEPmJS9_EEE10hipError_tPvRmT3_T4_T5_T6_T7_T9_mT8_P12ihipStream_tbDpT10_ENKUlT_T0_E_clISt17integral_constantIbLb1EES1A_EEDaS15_S16_EUlS15_E_NS1_11comp_targetILNS1_3genE9ELNS1_11target_archE1100ELNS1_3gpuE3ELNS1_3repE0EEENS1_30default_config_static_selectorELNS0_4arch9wavefront6targetE1EEEvT1_: ; @_ZN7rocprim17ROCPRIM_400000_NS6detail17trampoline_kernelINS0_14default_configENS1_25partition_config_selectorILNS1_17partition_subalgoE9EllbEEZZNS1_14partition_implILS5_9ELb0ES3_jPlS8_PNS0_10empty_typeENS0_5tupleIJS8_S9_EEENSB_IJS8_SA_EEENS0_18inequality_wrapperIZN2at6native12_GLOBAL__N_124unique_dim_cuda_templateIhEESt5tupleIJNSF_6TensorESK_SK_EERKSK_lbbbEUlllE0_EEPmJS9_EEE10hipError_tPvRmT3_T4_T5_T6_T7_T9_mT8_P12ihipStream_tbDpT10_ENKUlT_T0_E_clISt17integral_constantIbLb1EES1A_EEDaS15_S16_EUlS15_E_NS1_11comp_targetILNS1_3genE9ELNS1_11target_archE1100ELNS1_3gpuE3ELNS1_3repE0EEENS1_30default_config_static_selectorELNS0_4arch9wavefront6targetE1EEEvT1_
; %bb.0:
	.section	.rodata,"a",@progbits
	.p2align	6, 0x0
	.amdhsa_kernel _ZN7rocprim17ROCPRIM_400000_NS6detail17trampoline_kernelINS0_14default_configENS1_25partition_config_selectorILNS1_17partition_subalgoE9EllbEEZZNS1_14partition_implILS5_9ELb0ES3_jPlS8_PNS0_10empty_typeENS0_5tupleIJS8_S9_EEENSB_IJS8_SA_EEENS0_18inequality_wrapperIZN2at6native12_GLOBAL__N_124unique_dim_cuda_templateIhEESt5tupleIJNSF_6TensorESK_SK_EERKSK_lbbbEUlllE0_EEPmJS9_EEE10hipError_tPvRmT3_T4_T5_T6_T7_T9_mT8_P12ihipStream_tbDpT10_ENKUlT_T0_E_clISt17integral_constantIbLb1EES1A_EEDaS15_S16_EUlS15_E_NS1_11comp_targetILNS1_3genE9ELNS1_11target_archE1100ELNS1_3gpuE3ELNS1_3repE0EEENS1_30default_config_static_selectorELNS0_4arch9wavefront6targetE1EEEvT1_
		.amdhsa_group_segment_fixed_size 0
		.amdhsa_private_segment_fixed_size 0
		.amdhsa_kernarg_size 136
		.amdhsa_user_sgpr_count 2
		.amdhsa_user_sgpr_dispatch_ptr 0
		.amdhsa_user_sgpr_queue_ptr 0
		.amdhsa_user_sgpr_kernarg_segment_ptr 1
		.amdhsa_user_sgpr_dispatch_id 0
		.amdhsa_user_sgpr_kernarg_preload_length 0
		.amdhsa_user_sgpr_kernarg_preload_offset 0
		.amdhsa_user_sgpr_private_segment_size 0
		.amdhsa_uses_dynamic_stack 0
		.amdhsa_enable_private_segment 0
		.amdhsa_system_sgpr_workgroup_id_x 1
		.amdhsa_system_sgpr_workgroup_id_y 0
		.amdhsa_system_sgpr_workgroup_id_z 0
		.amdhsa_system_sgpr_workgroup_info 0
		.amdhsa_system_vgpr_workitem_id 0
		.amdhsa_next_free_vgpr 1
		.amdhsa_next_free_sgpr 0
		.amdhsa_accum_offset 4
		.amdhsa_reserve_vcc 0
		.amdhsa_float_round_mode_32 0
		.amdhsa_float_round_mode_16_64 0
		.amdhsa_float_denorm_mode_32 3
		.amdhsa_float_denorm_mode_16_64 3
		.amdhsa_dx10_clamp 1
		.amdhsa_ieee_mode 1
		.amdhsa_fp16_overflow 0
		.amdhsa_tg_split 0
		.amdhsa_exception_fp_ieee_invalid_op 0
		.amdhsa_exception_fp_denorm_src 0
		.amdhsa_exception_fp_ieee_div_zero 0
		.amdhsa_exception_fp_ieee_overflow 0
		.amdhsa_exception_fp_ieee_underflow 0
		.amdhsa_exception_fp_ieee_inexact 0
		.amdhsa_exception_int_div_zero 0
	.end_amdhsa_kernel
	.section	.text._ZN7rocprim17ROCPRIM_400000_NS6detail17trampoline_kernelINS0_14default_configENS1_25partition_config_selectorILNS1_17partition_subalgoE9EllbEEZZNS1_14partition_implILS5_9ELb0ES3_jPlS8_PNS0_10empty_typeENS0_5tupleIJS8_S9_EEENSB_IJS8_SA_EEENS0_18inequality_wrapperIZN2at6native12_GLOBAL__N_124unique_dim_cuda_templateIhEESt5tupleIJNSF_6TensorESK_SK_EERKSK_lbbbEUlllE0_EEPmJS9_EEE10hipError_tPvRmT3_T4_T5_T6_T7_T9_mT8_P12ihipStream_tbDpT10_ENKUlT_T0_E_clISt17integral_constantIbLb1EES1A_EEDaS15_S16_EUlS15_E_NS1_11comp_targetILNS1_3genE9ELNS1_11target_archE1100ELNS1_3gpuE3ELNS1_3repE0EEENS1_30default_config_static_selectorELNS0_4arch9wavefront6targetE1EEEvT1_,"axG",@progbits,_ZN7rocprim17ROCPRIM_400000_NS6detail17trampoline_kernelINS0_14default_configENS1_25partition_config_selectorILNS1_17partition_subalgoE9EllbEEZZNS1_14partition_implILS5_9ELb0ES3_jPlS8_PNS0_10empty_typeENS0_5tupleIJS8_S9_EEENSB_IJS8_SA_EEENS0_18inequality_wrapperIZN2at6native12_GLOBAL__N_124unique_dim_cuda_templateIhEESt5tupleIJNSF_6TensorESK_SK_EERKSK_lbbbEUlllE0_EEPmJS9_EEE10hipError_tPvRmT3_T4_T5_T6_T7_T9_mT8_P12ihipStream_tbDpT10_ENKUlT_T0_E_clISt17integral_constantIbLb1EES1A_EEDaS15_S16_EUlS15_E_NS1_11comp_targetILNS1_3genE9ELNS1_11target_archE1100ELNS1_3gpuE3ELNS1_3repE0EEENS1_30default_config_static_selectorELNS0_4arch9wavefront6targetE1EEEvT1_,comdat
.Lfunc_end219:
	.size	_ZN7rocprim17ROCPRIM_400000_NS6detail17trampoline_kernelINS0_14default_configENS1_25partition_config_selectorILNS1_17partition_subalgoE9EllbEEZZNS1_14partition_implILS5_9ELb0ES3_jPlS8_PNS0_10empty_typeENS0_5tupleIJS8_S9_EEENSB_IJS8_SA_EEENS0_18inequality_wrapperIZN2at6native12_GLOBAL__N_124unique_dim_cuda_templateIhEESt5tupleIJNSF_6TensorESK_SK_EERKSK_lbbbEUlllE0_EEPmJS9_EEE10hipError_tPvRmT3_T4_T5_T6_T7_T9_mT8_P12ihipStream_tbDpT10_ENKUlT_T0_E_clISt17integral_constantIbLb1EES1A_EEDaS15_S16_EUlS15_E_NS1_11comp_targetILNS1_3genE9ELNS1_11target_archE1100ELNS1_3gpuE3ELNS1_3repE0EEENS1_30default_config_static_selectorELNS0_4arch9wavefront6targetE1EEEvT1_, .Lfunc_end219-_ZN7rocprim17ROCPRIM_400000_NS6detail17trampoline_kernelINS0_14default_configENS1_25partition_config_selectorILNS1_17partition_subalgoE9EllbEEZZNS1_14partition_implILS5_9ELb0ES3_jPlS8_PNS0_10empty_typeENS0_5tupleIJS8_S9_EEENSB_IJS8_SA_EEENS0_18inequality_wrapperIZN2at6native12_GLOBAL__N_124unique_dim_cuda_templateIhEESt5tupleIJNSF_6TensorESK_SK_EERKSK_lbbbEUlllE0_EEPmJS9_EEE10hipError_tPvRmT3_T4_T5_T6_T7_T9_mT8_P12ihipStream_tbDpT10_ENKUlT_T0_E_clISt17integral_constantIbLb1EES1A_EEDaS15_S16_EUlS15_E_NS1_11comp_targetILNS1_3genE9ELNS1_11target_archE1100ELNS1_3gpuE3ELNS1_3repE0EEENS1_30default_config_static_selectorELNS0_4arch9wavefront6targetE1EEEvT1_
                                        ; -- End function
	.section	.AMDGPU.csdata,"",@progbits
; Kernel info:
; codeLenInByte = 0
; NumSgprs: 6
; NumVgprs: 0
; NumAgprs: 0
; TotalNumVgprs: 0
; ScratchSize: 0
; MemoryBound: 0
; FloatMode: 240
; IeeeMode: 1
; LDSByteSize: 0 bytes/workgroup (compile time only)
; SGPRBlocks: 0
; VGPRBlocks: 0
; NumSGPRsForWavesPerEU: 6
; NumVGPRsForWavesPerEU: 1
; AccumOffset: 4
; Occupancy: 8
; WaveLimiterHint : 0
; COMPUTE_PGM_RSRC2:SCRATCH_EN: 0
; COMPUTE_PGM_RSRC2:USER_SGPR: 2
; COMPUTE_PGM_RSRC2:TRAP_HANDLER: 0
; COMPUTE_PGM_RSRC2:TGID_X_EN: 1
; COMPUTE_PGM_RSRC2:TGID_Y_EN: 0
; COMPUTE_PGM_RSRC2:TGID_Z_EN: 0
; COMPUTE_PGM_RSRC2:TIDIG_COMP_CNT: 0
; COMPUTE_PGM_RSRC3_GFX90A:ACCUM_OFFSET: 0
; COMPUTE_PGM_RSRC3_GFX90A:TG_SPLIT: 0
	.section	.text._ZN7rocprim17ROCPRIM_400000_NS6detail17trampoline_kernelINS0_14default_configENS1_25partition_config_selectorILNS1_17partition_subalgoE9EllbEEZZNS1_14partition_implILS5_9ELb0ES3_jPlS8_PNS0_10empty_typeENS0_5tupleIJS8_S9_EEENSB_IJS8_SA_EEENS0_18inequality_wrapperIZN2at6native12_GLOBAL__N_124unique_dim_cuda_templateIhEESt5tupleIJNSF_6TensorESK_SK_EERKSK_lbbbEUlllE0_EEPmJS9_EEE10hipError_tPvRmT3_T4_T5_T6_T7_T9_mT8_P12ihipStream_tbDpT10_ENKUlT_T0_E_clISt17integral_constantIbLb1EES1A_EEDaS15_S16_EUlS15_E_NS1_11comp_targetILNS1_3genE8ELNS1_11target_archE1030ELNS1_3gpuE2ELNS1_3repE0EEENS1_30default_config_static_selectorELNS0_4arch9wavefront6targetE1EEEvT1_,"axG",@progbits,_ZN7rocprim17ROCPRIM_400000_NS6detail17trampoline_kernelINS0_14default_configENS1_25partition_config_selectorILNS1_17partition_subalgoE9EllbEEZZNS1_14partition_implILS5_9ELb0ES3_jPlS8_PNS0_10empty_typeENS0_5tupleIJS8_S9_EEENSB_IJS8_SA_EEENS0_18inequality_wrapperIZN2at6native12_GLOBAL__N_124unique_dim_cuda_templateIhEESt5tupleIJNSF_6TensorESK_SK_EERKSK_lbbbEUlllE0_EEPmJS9_EEE10hipError_tPvRmT3_T4_T5_T6_T7_T9_mT8_P12ihipStream_tbDpT10_ENKUlT_T0_E_clISt17integral_constantIbLb1EES1A_EEDaS15_S16_EUlS15_E_NS1_11comp_targetILNS1_3genE8ELNS1_11target_archE1030ELNS1_3gpuE2ELNS1_3repE0EEENS1_30default_config_static_selectorELNS0_4arch9wavefront6targetE1EEEvT1_,comdat
	.globl	_ZN7rocprim17ROCPRIM_400000_NS6detail17trampoline_kernelINS0_14default_configENS1_25partition_config_selectorILNS1_17partition_subalgoE9EllbEEZZNS1_14partition_implILS5_9ELb0ES3_jPlS8_PNS0_10empty_typeENS0_5tupleIJS8_S9_EEENSB_IJS8_SA_EEENS0_18inequality_wrapperIZN2at6native12_GLOBAL__N_124unique_dim_cuda_templateIhEESt5tupleIJNSF_6TensorESK_SK_EERKSK_lbbbEUlllE0_EEPmJS9_EEE10hipError_tPvRmT3_T4_T5_T6_T7_T9_mT8_P12ihipStream_tbDpT10_ENKUlT_T0_E_clISt17integral_constantIbLb1EES1A_EEDaS15_S16_EUlS15_E_NS1_11comp_targetILNS1_3genE8ELNS1_11target_archE1030ELNS1_3gpuE2ELNS1_3repE0EEENS1_30default_config_static_selectorELNS0_4arch9wavefront6targetE1EEEvT1_ ; -- Begin function _ZN7rocprim17ROCPRIM_400000_NS6detail17trampoline_kernelINS0_14default_configENS1_25partition_config_selectorILNS1_17partition_subalgoE9EllbEEZZNS1_14partition_implILS5_9ELb0ES3_jPlS8_PNS0_10empty_typeENS0_5tupleIJS8_S9_EEENSB_IJS8_SA_EEENS0_18inequality_wrapperIZN2at6native12_GLOBAL__N_124unique_dim_cuda_templateIhEESt5tupleIJNSF_6TensorESK_SK_EERKSK_lbbbEUlllE0_EEPmJS9_EEE10hipError_tPvRmT3_T4_T5_T6_T7_T9_mT8_P12ihipStream_tbDpT10_ENKUlT_T0_E_clISt17integral_constantIbLb1EES1A_EEDaS15_S16_EUlS15_E_NS1_11comp_targetILNS1_3genE8ELNS1_11target_archE1030ELNS1_3gpuE2ELNS1_3repE0EEENS1_30default_config_static_selectorELNS0_4arch9wavefront6targetE1EEEvT1_
	.p2align	8
	.type	_ZN7rocprim17ROCPRIM_400000_NS6detail17trampoline_kernelINS0_14default_configENS1_25partition_config_selectorILNS1_17partition_subalgoE9EllbEEZZNS1_14partition_implILS5_9ELb0ES3_jPlS8_PNS0_10empty_typeENS0_5tupleIJS8_S9_EEENSB_IJS8_SA_EEENS0_18inequality_wrapperIZN2at6native12_GLOBAL__N_124unique_dim_cuda_templateIhEESt5tupleIJNSF_6TensorESK_SK_EERKSK_lbbbEUlllE0_EEPmJS9_EEE10hipError_tPvRmT3_T4_T5_T6_T7_T9_mT8_P12ihipStream_tbDpT10_ENKUlT_T0_E_clISt17integral_constantIbLb1EES1A_EEDaS15_S16_EUlS15_E_NS1_11comp_targetILNS1_3genE8ELNS1_11target_archE1030ELNS1_3gpuE2ELNS1_3repE0EEENS1_30default_config_static_selectorELNS0_4arch9wavefront6targetE1EEEvT1_,@function
_ZN7rocprim17ROCPRIM_400000_NS6detail17trampoline_kernelINS0_14default_configENS1_25partition_config_selectorILNS1_17partition_subalgoE9EllbEEZZNS1_14partition_implILS5_9ELb0ES3_jPlS8_PNS0_10empty_typeENS0_5tupleIJS8_S9_EEENSB_IJS8_SA_EEENS0_18inequality_wrapperIZN2at6native12_GLOBAL__N_124unique_dim_cuda_templateIhEESt5tupleIJNSF_6TensorESK_SK_EERKSK_lbbbEUlllE0_EEPmJS9_EEE10hipError_tPvRmT3_T4_T5_T6_T7_T9_mT8_P12ihipStream_tbDpT10_ENKUlT_T0_E_clISt17integral_constantIbLb1EES1A_EEDaS15_S16_EUlS15_E_NS1_11comp_targetILNS1_3genE8ELNS1_11target_archE1030ELNS1_3gpuE2ELNS1_3repE0EEENS1_30default_config_static_selectorELNS0_4arch9wavefront6targetE1EEEvT1_: ; @_ZN7rocprim17ROCPRIM_400000_NS6detail17trampoline_kernelINS0_14default_configENS1_25partition_config_selectorILNS1_17partition_subalgoE9EllbEEZZNS1_14partition_implILS5_9ELb0ES3_jPlS8_PNS0_10empty_typeENS0_5tupleIJS8_S9_EEENSB_IJS8_SA_EEENS0_18inequality_wrapperIZN2at6native12_GLOBAL__N_124unique_dim_cuda_templateIhEESt5tupleIJNSF_6TensorESK_SK_EERKSK_lbbbEUlllE0_EEPmJS9_EEE10hipError_tPvRmT3_T4_T5_T6_T7_T9_mT8_P12ihipStream_tbDpT10_ENKUlT_T0_E_clISt17integral_constantIbLb1EES1A_EEDaS15_S16_EUlS15_E_NS1_11comp_targetILNS1_3genE8ELNS1_11target_archE1030ELNS1_3gpuE2ELNS1_3repE0EEENS1_30default_config_static_selectorELNS0_4arch9wavefront6targetE1EEEvT1_
; %bb.0:
	.section	.rodata,"a",@progbits
	.p2align	6, 0x0
	.amdhsa_kernel _ZN7rocprim17ROCPRIM_400000_NS6detail17trampoline_kernelINS0_14default_configENS1_25partition_config_selectorILNS1_17partition_subalgoE9EllbEEZZNS1_14partition_implILS5_9ELb0ES3_jPlS8_PNS0_10empty_typeENS0_5tupleIJS8_S9_EEENSB_IJS8_SA_EEENS0_18inequality_wrapperIZN2at6native12_GLOBAL__N_124unique_dim_cuda_templateIhEESt5tupleIJNSF_6TensorESK_SK_EERKSK_lbbbEUlllE0_EEPmJS9_EEE10hipError_tPvRmT3_T4_T5_T6_T7_T9_mT8_P12ihipStream_tbDpT10_ENKUlT_T0_E_clISt17integral_constantIbLb1EES1A_EEDaS15_S16_EUlS15_E_NS1_11comp_targetILNS1_3genE8ELNS1_11target_archE1030ELNS1_3gpuE2ELNS1_3repE0EEENS1_30default_config_static_selectorELNS0_4arch9wavefront6targetE1EEEvT1_
		.amdhsa_group_segment_fixed_size 0
		.amdhsa_private_segment_fixed_size 0
		.amdhsa_kernarg_size 136
		.amdhsa_user_sgpr_count 2
		.amdhsa_user_sgpr_dispatch_ptr 0
		.amdhsa_user_sgpr_queue_ptr 0
		.amdhsa_user_sgpr_kernarg_segment_ptr 1
		.amdhsa_user_sgpr_dispatch_id 0
		.amdhsa_user_sgpr_kernarg_preload_length 0
		.amdhsa_user_sgpr_kernarg_preload_offset 0
		.amdhsa_user_sgpr_private_segment_size 0
		.amdhsa_uses_dynamic_stack 0
		.amdhsa_enable_private_segment 0
		.amdhsa_system_sgpr_workgroup_id_x 1
		.amdhsa_system_sgpr_workgroup_id_y 0
		.amdhsa_system_sgpr_workgroup_id_z 0
		.amdhsa_system_sgpr_workgroup_info 0
		.amdhsa_system_vgpr_workitem_id 0
		.amdhsa_next_free_vgpr 1
		.amdhsa_next_free_sgpr 0
		.amdhsa_accum_offset 4
		.amdhsa_reserve_vcc 0
		.amdhsa_float_round_mode_32 0
		.amdhsa_float_round_mode_16_64 0
		.amdhsa_float_denorm_mode_32 3
		.amdhsa_float_denorm_mode_16_64 3
		.amdhsa_dx10_clamp 1
		.amdhsa_ieee_mode 1
		.amdhsa_fp16_overflow 0
		.amdhsa_tg_split 0
		.amdhsa_exception_fp_ieee_invalid_op 0
		.amdhsa_exception_fp_denorm_src 0
		.amdhsa_exception_fp_ieee_div_zero 0
		.amdhsa_exception_fp_ieee_overflow 0
		.amdhsa_exception_fp_ieee_underflow 0
		.amdhsa_exception_fp_ieee_inexact 0
		.amdhsa_exception_int_div_zero 0
	.end_amdhsa_kernel
	.section	.text._ZN7rocprim17ROCPRIM_400000_NS6detail17trampoline_kernelINS0_14default_configENS1_25partition_config_selectorILNS1_17partition_subalgoE9EllbEEZZNS1_14partition_implILS5_9ELb0ES3_jPlS8_PNS0_10empty_typeENS0_5tupleIJS8_S9_EEENSB_IJS8_SA_EEENS0_18inequality_wrapperIZN2at6native12_GLOBAL__N_124unique_dim_cuda_templateIhEESt5tupleIJNSF_6TensorESK_SK_EERKSK_lbbbEUlllE0_EEPmJS9_EEE10hipError_tPvRmT3_T4_T5_T6_T7_T9_mT8_P12ihipStream_tbDpT10_ENKUlT_T0_E_clISt17integral_constantIbLb1EES1A_EEDaS15_S16_EUlS15_E_NS1_11comp_targetILNS1_3genE8ELNS1_11target_archE1030ELNS1_3gpuE2ELNS1_3repE0EEENS1_30default_config_static_selectorELNS0_4arch9wavefront6targetE1EEEvT1_,"axG",@progbits,_ZN7rocprim17ROCPRIM_400000_NS6detail17trampoline_kernelINS0_14default_configENS1_25partition_config_selectorILNS1_17partition_subalgoE9EllbEEZZNS1_14partition_implILS5_9ELb0ES3_jPlS8_PNS0_10empty_typeENS0_5tupleIJS8_S9_EEENSB_IJS8_SA_EEENS0_18inequality_wrapperIZN2at6native12_GLOBAL__N_124unique_dim_cuda_templateIhEESt5tupleIJNSF_6TensorESK_SK_EERKSK_lbbbEUlllE0_EEPmJS9_EEE10hipError_tPvRmT3_T4_T5_T6_T7_T9_mT8_P12ihipStream_tbDpT10_ENKUlT_T0_E_clISt17integral_constantIbLb1EES1A_EEDaS15_S16_EUlS15_E_NS1_11comp_targetILNS1_3genE8ELNS1_11target_archE1030ELNS1_3gpuE2ELNS1_3repE0EEENS1_30default_config_static_selectorELNS0_4arch9wavefront6targetE1EEEvT1_,comdat
.Lfunc_end220:
	.size	_ZN7rocprim17ROCPRIM_400000_NS6detail17trampoline_kernelINS0_14default_configENS1_25partition_config_selectorILNS1_17partition_subalgoE9EllbEEZZNS1_14partition_implILS5_9ELb0ES3_jPlS8_PNS0_10empty_typeENS0_5tupleIJS8_S9_EEENSB_IJS8_SA_EEENS0_18inequality_wrapperIZN2at6native12_GLOBAL__N_124unique_dim_cuda_templateIhEESt5tupleIJNSF_6TensorESK_SK_EERKSK_lbbbEUlllE0_EEPmJS9_EEE10hipError_tPvRmT3_T4_T5_T6_T7_T9_mT8_P12ihipStream_tbDpT10_ENKUlT_T0_E_clISt17integral_constantIbLb1EES1A_EEDaS15_S16_EUlS15_E_NS1_11comp_targetILNS1_3genE8ELNS1_11target_archE1030ELNS1_3gpuE2ELNS1_3repE0EEENS1_30default_config_static_selectorELNS0_4arch9wavefront6targetE1EEEvT1_, .Lfunc_end220-_ZN7rocprim17ROCPRIM_400000_NS6detail17trampoline_kernelINS0_14default_configENS1_25partition_config_selectorILNS1_17partition_subalgoE9EllbEEZZNS1_14partition_implILS5_9ELb0ES3_jPlS8_PNS0_10empty_typeENS0_5tupleIJS8_S9_EEENSB_IJS8_SA_EEENS0_18inequality_wrapperIZN2at6native12_GLOBAL__N_124unique_dim_cuda_templateIhEESt5tupleIJNSF_6TensorESK_SK_EERKSK_lbbbEUlllE0_EEPmJS9_EEE10hipError_tPvRmT3_T4_T5_T6_T7_T9_mT8_P12ihipStream_tbDpT10_ENKUlT_T0_E_clISt17integral_constantIbLb1EES1A_EEDaS15_S16_EUlS15_E_NS1_11comp_targetILNS1_3genE8ELNS1_11target_archE1030ELNS1_3gpuE2ELNS1_3repE0EEENS1_30default_config_static_selectorELNS0_4arch9wavefront6targetE1EEEvT1_
                                        ; -- End function
	.section	.AMDGPU.csdata,"",@progbits
; Kernel info:
; codeLenInByte = 0
; NumSgprs: 6
; NumVgprs: 0
; NumAgprs: 0
; TotalNumVgprs: 0
; ScratchSize: 0
; MemoryBound: 0
; FloatMode: 240
; IeeeMode: 1
; LDSByteSize: 0 bytes/workgroup (compile time only)
; SGPRBlocks: 0
; VGPRBlocks: 0
; NumSGPRsForWavesPerEU: 6
; NumVGPRsForWavesPerEU: 1
; AccumOffset: 4
; Occupancy: 8
; WaveLimiterHint : 0
; COMPUTE_PGM_RSRC2:SCRATCH_EN: 0
; COMPUTE_PGM_RSRC2:USER_SGPR: 2
; COMPUTE_PGM_RSRC2:TRAP_HANDLER: 0
; COMPUTE_PGM_RSRC2:TGID_X_EN: 1
; COMPUTE_PGM_RSRC2:TGID_Y_EN: 0
; COMPUTE_PGM_RSRC2:TGID_Z_EN: 0
; COMPUTE_PGM_RSRC2:TIDIG_COMP_CNT: 0
; COMPUTE_PGM_RSRC3_GFX90A:ACCUM_OFFSET: 0
; COMPUTE_PGM_RSRC3_GFX90A:TG_SPLIT: 0
	.section	.text._ZN7rocprim17ROCPRIM_400000_NS6detail17trampoline_kernelINS0_14default_configENS1_25partition_config_selectorILNS1_17partition_subalgoE9EllbEEZZNS1_14partition_implILS5_9ELb0ES3_jPlS8_PNS0_10empty_typeENS0_5tupleIJS8_S9_EEENSB_IJS8_SA_EEENS0_18inequality_wrapperIZN2at6native12_GLOBAL__N_124unique_dim_cuda_templateIhEESt5tupleIJNSF_6TensorESK_SK_EERKSK_lbbbEUlllE0_EEPmJS9_EEE10hipError_tPvRmT3_T4_T5_T6_T7_T9_mT8_P12ihipStream_tbDpT10_ENKUlT_T0_E_clISt17integral_constantIbLb1EES19_IbLb0EEEEDaS15_S16_EUlS15_E_NS1_11comp_targetILNS1_3genE0ELNS1_11target_archE4294967295ELNS1_3gpuE0ELNS1_3repE0EEENS1_30default_config_static_selectorELNS0_4arch9wavefront6targetE1EEEvT1_,"axG",@progbits,_ZN7rocprim17ROCPRIM_400000_NS6detail17trampoline_kernelINS0_14default_configENS1_25partition_config_selectorILNS1_17partition_subalgoE9EllbEEZZNS1_14partition_implILS5_9ELb0ES3_jPlS8_PNS0_10empty_typeENS0_5tupleIJS8_S9_EEENSB_IJS8_SA_EEENS0_18inequality_wrapperIZN2at6native12_GLOBAL__N_124unique_dim_cuda_templateIhEESt5tupleIJNSF_6TensorESK_SK_EERKSK_lbbbEUlllE0_EEPmJS9_EEE10hipError_tPvRmT3_T4_T5_T6_T7_T9_mT8_P12ihipStream_tbDpT10_ENKUlT_T0_E_clISt17integral_constantIbLb1EES19_IbLb0EEEEDaS15_S16_EUlS15_E_NS1_11comp_targetILNS1_3genE0ELNS1_11target_archE4294967295ELNS1_3gpuE0ELNS1_3repE0EEENS1_30default_config_static_selectorELNS0_4arch9wavefront6targetE1EEEvT1_,comdat
	.globl	_ZN7rocprim17ROCPRIM_400000_NS6detail17trampoline_kernelINS0_14default_configENS1_25partition_config_selectorILNS1_17partition_subalgoE9EllbEEZZNS1_14partition_implILS5_9ELb0ES3_jPlS8_PNS0_10empty_typeENS0_5tupleIJS8_S9_EEENSB_IJS8_SA_EEENS0_18inequality_wrapperIZN2at6native12_GLOBAL__N_124unique_dim_cuda_templateIhEESt5tupleIJNSF_6TensorESK_SK_EERKSK_lbbbEUlllE0_EEPmJS9_EEE10hipError_tPvRmT3_T4_T5_T6_T7_T9_mT8_P12ihipStream_tbDpT10_ENKUlT_T0_E_clISt17integral_constantIbLb1EES19_IbLb0EEEEDaS15_S16_EUlS15_E_NS1_11comp_targetILNS1_3genE0ELNS1_11target_archE4294967295ELNS1_3gpuE0ELNS1_3repE0EEENS1_30default_config_static_selectorELNS0_4arch9wavefront6targetE1EEEvT1_ ; -- Begin function _ZN7rocprim17ROCPRIM_400000_NS6detail17trampoline_kernelINS0_14default_configENS1_25partition_config_selectorILNS1_17partition_subalgoE9EllbEEZZNS1_14partition_implILS5_9ELb0ES3_jPlS8_PNS0_10empty_typeENS0_5tupleIJS8_S9_EEENSB_IJS8_SA_EEENS0_18inequality_wrapperIZN2at6native12_GLOBAL__N_124unique_dim_cuda_templateIhEESt5tupleIJNSF_6TensorESK_SK_EERKSK_lbbbEUlllE0_EEPmJS9_EEE10hipError_tPvRmT3_T4_T5_T6_T7_T9_mT8_P12ihipStream_tbDpT10_ENKUlT_T0_E_clISt17integral_constantIbLb1EES19_IbLb0EEEEDaS15_S16_EUlS15_E_NS1_11comp_targetILNS1_3genE0ELNS1_11target_archE4294967295ELNS1_3gpuE0ELNS1_3repE0EEENS1_30default_config_static_selectorELNS0_4arch9wavefront6targetE1EEEvT1_
	.p2align	8
	.type	_ZN7rocprim17ROCPRIM_400000_NS6detail17trampoline_kernelINS0_14default_configENS1_25partition_config_selectorILNS1_17partition_subalgoE9EllbEEZZNS1_14partition_implILS5_9ELb0ES3_jPlS8_PNS0_10empty_typeENS0_5tupleIJS8_S9_EEENSB_IJS8_SA_EEENS0_18inequality_wrapperIZN2at6native12_GLOBAL__N_124unique_dim_cuda_templateIhEESt5tupleIJNSF_6TensorESK_SK_EERKSK_lbbbEUlllE0_EEPmJS9_EEE10hipError_tPvRmT3_T4_T5_T6_T7_T9_mT8_P12ihipStream_tbDpT10_ENKUlT_T0_E_clISt17integral_constantIbLb1EES19_IbLb0EEEEDaS15_S16_EUlS15_E_NS1_11comp_targetILNS1_3genE0ELNS1_11target_archE4294967295ELNS1_3gpuE0ELNS1_3repE0EEENS1_30default_config_static_selectorELNS0_4arch9wavefront6targetE1EEEvT1_,@function
_ZN7rocprim17ROCPRIM_400000_NS6detail17trampoline_kernelINS0_14default_configENS1_25partition_config_selectorILNS1_17partition_subalgoE9EllbEEZZNS1_14partition_implILS5_9ELb0ES3_jPlS8_PNS0_10empty_typeENS0_5tupleIJS8_S9_EEENSB_IJS8_SA_EEENS0_18inequality_wrapperIZN2at6native12_GLOBAL__N_124unique_dim_cuda_templateIhEESt5tupleIJNSF_6TensorESK_SK_EERKSK_lbbbEUlllE0_EEPmJS9_EEE10hipError_tPvRmT3_T4_T5_T6_T7_T9_mT8_P12ihipStream_tbDpT10_ENKUlT_T0_E_clISt17integral_constantIbLb1EES19_IbLb0EEEEDaS15_S16_EUlS15_E_NS1_11comp_targetILNS1_3genE0ELNS1_11target_archE4294967295ELNS1_3gpuE0ELNS1_3repE0EEENS1_30default_config_static_selectorELNS0_4arch9wavefront6targetE1EEEvT1_: ; @_ZN7rocprim17ROCPRIM_400000_NS6detail17trampoline_kernelINS0_14default_configENS1_25partition_config_selectorILNS1_17partition_subalgoE9EllbEEZZNS1_14partition_implILS5_9ELb0ES3_jPlS8_PNS0_10empty_typeENS0_5tupleIJS8_S9_EEENSB_IJS8_SA_EEENS0_18inequality_wrapperIZN2at6native12_GLOBAL__N_124unique_dim_cuda_templateIhEESt5tupleIJNSF_6TensorESK_SK_EERKSK_lbbbEUlllE0_EEPmJS9_EEE10hipError_tPvRmT3_T4_T5_T6_T7_T9_mT8_P12ihipStream_tbDpT10_ENKUlT_T0_E_clISt17integral_constantIbLb1EES19_IbLb0EEEEDaS15_S16_EUlS15_E_NS1_11comp_targetILNS1_3genE0ELNS1_11target_archE4294967295ELNS1_3gpuE0ELNS1_3repE0EEENS1_30default_config_static_selectorELNS0_4arch9wavefront6targetE1EEEvT1_
; %bb.0:
	.section	.rodata,"a",@progbits
	.p2align	6, 0x0
	.amdhsa_kernel _ZN7rocprim17ROCPRIM_400000_NS6detail17trampoline_kernelINS0_14default_configENS1_25partition_config_selectorILNS1_17partition_subalgoE9EllbEEZZNS1_14partition_implILS5_9ELb0ES3_jPlS8_PNS0_10empty_typeENS0_5tupleIJS8_S9_EEENSB_IJS8_SA_EEENS0_18inequality_wrapperIZN2at6native12_GLOBAL__N_124unique_dim_cuda_templateIhEESt5tupleIJNSF_6TensorESK_SK_EERKSK_lbbbEUlllE0_EEPmJS9_EEE10hipError_tPvRmT3_T4_T5_T6_T7_T9_mT8_P12ihipStream_tbDpT10_ENKUlT_T0_E_clISt17integral_constantIbLb1EES19_IbLb0EEEEDaS15_S16_EUlS15_E_NS1_11comp_targetILNS1_3genE0ELNS1_11target_archE4294967295ELNS1_3gpuE0ELNS1_3repE0EEENS1_30default_config_static_selectorELNS0_4arch9wavefront6targetE1EEEvT1_
		.amdhsa_group_segment_fixed_size 0
		.amdhsa_private_segment_fixed_size 0
		.amdhsa_kernarg_size 120
		.amdhsa_user_sgpr_count 2
		.amdhsa_user_sgpr_dispatch_ptr 0
		.amdhsa_user_sgpr_queue_ptr 0
		.amdhsa_user_sgpr_kernarg_segment_ptr 1
		.amdhsa_user_sgpr_dispatch_id 0
		.amdhsa_user_sgpr_kernarg_preload_length 0
		.amdhsa_user_sgpr_kernarg_preload_offset 0
		.amdhsa_user_sgpr_private_segment_size 0
		.amdhsa_uses_dynamic_stack 0
		.amdhsa_enable_private_segment 0
		.amdhsa_system_sgpr_workgroup_id_x 1
		.amdhsa_system_sgpr_workgroup_id_y 0
		.amdhsa_system_sgpr_workgroup_id_z 0
		.amdhsa_system_sgpr_workgroup_info 0
		.amdhsa_system_vgpr_workitem_id 0
		.amdhsa_next_free_vgpr 1
		.amdhsa_next_free_sgpr 0
		.amdhsa_accum_offset 4
		.amdhsa_reserve_vcc 0
		.amdhsa_float_round_mode_32 0
		.amdhsa_float_round_mode_16_64 0
		.amdhsa_float_denorm_mode_32 3
		.amdhsa_float_denorm_mode_16_64 3
		.amdhsa_dx10_clamp 1
		.amdhsa_ieee_mode 1
		.amdhsa_fp16_overflow 0
		.amdhsa_tg_split 0
		.amdhsa_exception_fp_ieee_invalid_op 0
		.amdhsa_exception_fp_denorm_src 0
		.amdhsa_exception_fp_ieee_div_zero 0
		.amdhsa_exception_fp_ieee_overflow 0
		.amdhsa_exception_fp_ieee_underflow 0
		.amdhsa_exception_fp_ieee_inexact 0
		.amdhsa_exception_int_div_zero 0
	.end_amdhsa_kernel
	.section	.text._ZN7rocprim17ROCPRIM_400000_NS6detail17trampoline_kernelINS0_14default_configENS1_25partition_config_selectorILNS1_17partition_subalgoE9EllbEEZZNS1_14partition_implILS5_9ELb0ES3_jPlS8_PNS0_10empty_typeENS0_5tupleIJS8_S9_EEENSB_IJS8_SA_EEENS0_18inequality_wrapperIZN2at6native12_GLOBAL__N_124unique_dim_cuda_templateIhEESt5tupleIJNSF_6TensorESK_SK_EERKSK_lbbbEUlllE0_EEPmJS9_EEE10hipError_tPvRmT3_T4_T5_T6_T7_T9_mT8_P12ihipStream_tbDpT10_ENKUlT_T0_E_clISt17integral_constantIbLb1EES19_IbLb0EEEEDaS15_S16_EUlS15_E_NS1_11comp_targetILNS1_3genE0ELNS1_11target_archE4294967295ELNS1_3gpuE0ELNS1_3repE0EEENS1_30default_config_static_selectorELNS0_4arch9wavefront6targetE1EEEvT1_,"axG",@progbits,_ZN7rocprim17ROCPRIM_400000_NS6detail17trampoline_kernelINS0_14default_configENS1_25partition_config_selectorILNS1_17partition_subalgoE9EllbEEZZNS1_14partition_implILS5_9ELb0ES3_jPlS8_PNS0_10empty_typeENS0_5tupleIJS8_S9_EEENSB_IJS8_SA_EEENS0_18inequality_wrapperIZN2at6native12_GLOBAL__N_124unique_dim_cuda_templateIhEESt5tupleIJNSF_6TensorESK_SK_EERKSK_lbbbEUlllE0_EEPmJS9_EEE10hipError_tPvRmT3_T4_T5_T6_T7_T9_mT8_P12ihipStream_tbDpT10_ENKUlT_T0_E_clISt17integral_constantIbLb1EES19_IbLb0EEEEDaS15_S16_EUlS15_E_NS1_11comp_targetILNS1_3genE0ELNS1_11target_archE4294967295ELNS1_3gpuE0ELNS1_3repE0EEENS1_30default_config_static_selectorELNS0_4arch9wavefront6targetE1EEEvT1_,comdat
.Lfunc_end221:
	.size	_ZN7rocprim17ROCPRIM_400000_NS6detail17trampoline_kernelINS0_14default_configENS1_25partition_config_selectorILNS1_17partition_subalgoE9EllbEEZZNS1_14partition_implILS5_9ELb0ES3_jPlS8_PNS0_10empty_typeENS0_5tupleIJS8_S9_EEENSB_IJS8_SA_EEENS0_18inequality_wrapperIZN2at6native12_GLOBAL__N_124unique_dim_cuda_templateIhEESt5tupleIJNSF_6TensorESK_SK_EERKSK_lbbbEUlllE0_EEPmJS9_EEE10hipError_tPvRmT3_T4_T5_T6_T7_T9_mT8_P12ihipStream_tbDpT10_ENKUlT_T0_E_clISt17integral_constantIbLb1EES19_IbLb0EEEEDaS15_S16_EUlS15_E_NS1_11comp_targetILNS1_3genE0ELNS1_11target_archE4294967295ELNS1_3gpuE0ELNS1_3repE0EEENS1_30default_config_static_selectorELNS0_4arch9wavefront6targetE1EEEvT1_, .Lfunc_end221-_ZN7rocprim17ROCPRIM_400000_NS6detail17trampoline_kernelINS0_14default_configENS1_25partition_config_selectorILNS1_17partition_subalgoE9EllbEEZZNS1_14partition_implILS5_9ELb0ES3_jPlS8_PNS0_10empty_typeENS0_5tupleIJS8_S9_EEENSB_IJS8_SA_EEENS0_18inequality_wrapperIZN2at6native12_GLOBAL__N_124unique_dim_cuda_templateIhEESt5tupleIJNSF_6TensorESK_SK_EERKSK_lbbbEUlllE0_EEPmJS9_EEE10hipError_tPvRmT3_T4_T5_T6_T7_T9_mT8_P12ihipStream_tbDpT10_ENKUlT_T0_E_clISt17integral_constantIbLb1EES19_IbLb0EEEEDaS15_S16_EUlS15_E_NS1_11comp_targetILNS1_3genE0ELNS1_11target_archE4294967295ELNS1_3gpuE0ELNS1_3repE0EEENS1_30default_config_static_selectorELNS0_4arch9wavefront6targetE1EEEvT1_
                                        ; -- End function
	.section	.AMDGPU.csdata,"",@progbits
; Kernel info:
; codeLenInByte = 0
; NumSgprs: 6
; NumVgprs: 0
; NumAgprs: 0
; TotalNumVgprs: 0
; ScratchSize: 0
; MemoryBound: 0
; FloatMode: 240
; IeeeMode: 1
; LDSByteSize: 0 bytes/workgroup (compile time only)
; SGPRBlocks: 0
; VGPRBlocks: 0
; NumSGPRsForWavesPerEU: 6
; NumVGPRsForWavesPerEU: 1
; AccumOffset: 4
; Occupancy: 8
; WaveLimiterHint : 0
; COMPUTE_PGM_RSRC2:SCRATCH_EN: 0
; COMPUTE_PGM_RSRC2:USER_SGPR: 2
; COMPUTE_PGM_RSRC2:TRAP_HANDLER: 0
; COMPUTE_PGM_RSRC2:TGID_X_EN: 1
; COMPUTE_PGM_RSRC2:TGID_Y_EN: 0
; COMPUTE_PGM_RSRC2:TGID_Z_EN: 0
; COMPUTE_PGM_RSRC2:TIDIG_COMP_CNT: 0
; COMPUTE_PGM_RSRC3_GFX90A:ACCUM_OFFSET: 0
; COMPUTE_PGM_RSRC3_GFX90A:TG_SPLIT: 0
	.section	.text._ZN7rocprim17ROCPRIM_400000_NS6detail17trampoline_kernelINS0_14default_configENS1_25partition_config_selectorILNS1_17partition_subalgoE9EllbEEZZNS1_14partition_implILS5_9ELb0ES3_jPlS8_PNS0_10empty_typeENS0_5tupleIJS8_S9_EEENSB_IJS8_SA_EEENS0_18inequality_wrapperIZN2at6native12_GLOBAL__N_124unique_dim_cuda_templateIhEESt5tupleIJNSF_6TensorESK_SK_EERKSK_lbbbEUlllE0_EEPmJS9_EEE10hipError_tPvRmT3_T4_T5_T6_T7_T9_mT8_P12ihipStream_tbDpT10_ENKUlT_T0_E_clISt17integral_constantIbLb1EES19_IbLb0EEEEDaS15_S16_EUlS15_E_NS1_11comp_targetILNS1_3genE5ELNS1_11target_archE942ELNS1_3gpuE9ELNS1_3repE0EEENS1_30default_config_static_selectorELNS0_4arch9wavefront6targetE1EEEvT1_,"axG",@progbits,_ZN7rocprim17ROCPRIM_400000_NS6detail17trampoline_kernelINS0_14default_configENS1_25partition_config_selectorILNS1_17partition_subalgoE9EllbEEZZNS1_14partition_implILS5_9ELb0ES3_jPlS8_PNS0_10empty_typeENS0_5tupleIJS8_S9_EEENSB_IJS8_SA_EEENS0_18inequality_wrapperIZN2at6native12_GLOBAL__N_124unique_dim_cuda_templateIhEESt5tupleIJNSF_6TensorESK_SK_EERKSK_lbbbEUlllE0_EEPmJS9_EEE10hipError_tPvRmT3_T4_T5_T6_T7_T9_mT8_P12ihipStream_tbDpT10_ENKUlT_T0_E_clISt17integral_constantIbLb1EES19_IbLb0EEEEDaS15_S16_EUlS15_E_NS1_11comp_targetILNS1_3genE5ELNS1_11target_archE942ELNS1_3gpuE9ELNS1_3repE0EEENS1_30default_config_static_selectorELNS0_4arch9wavefront6targetE1EEEvT1_,comdat
	.globl	_ZN7rocprim17ROCPRIM_400000_NS6detail17trampoline_kernelINS0_14default_configENS1_25partition_config_selectorILNS1_17partition_subalgoE9EllbEEZZNS1_14partition_implILS5_9ELb0ES3_jPlS8_PNS0_10empty_typeENS0_5tupleIJS8_S9_EEENSB_IJS8_SA_EEENS0_18inequality_wrapperIZN2at6native12_GLOBAL__N_124unique_dim_cuda_templateIhEESt5tupleIJNSF_6TensorESK_SK_EERKSK_lbbbEUlllE0_EEPmJS9_EEE10hipError_tPvRmT3_T4_T5_T6_T7_T9_mT8_P12ihipStream_tbDpT10_ENKUlT_T0_E_clISt17integral_constantIbLb1EES19_IbLb0EEEEDaS15_S16_EUlS15_E_NS1_11comp_targetILNS1_3genE5ELNS1_11target_archE942ELNS1_3gpuE9ELNS1_3repE0EEENS1_30default_config_static_selectorELNS0_4arch9wavefront6targetE1EEEvT1_ ; -- Begin function _ZN7rocprim17ROCPRIM_400000_NS6detail17trampoline_kernelINS0_14default_configENS1_25partition_config_selectorILNS1_17partition_subalgoE9EllbEEZZNS1_14partition_implILS5_9ELb0ES3_jPlS8_PNS0_10empty_typeENS0_5tupleIJS8_S9_EEENSB_IJS8_SA_EEENS0_18inequality_wrapperIZN2at6native12_GLOBAL__N_124unique_dim_cuda_templateIhEESt5tupleIJNSF_6TensorESK_SK_EERKSK_lbbbEUlllE0_EEPmJS9_EEE10hipError_tPvRmT3_T4_T5_T6_T7_T9_mT8_P12ihipStream_tbDpT10_ENKUlT_T0_E_clISt17integral_constantIbLb1EES19_IbLb0EEEEDaS15_S16_EUlS15_E_NS1_11comp_targetILNS1_3genE5ELNS1_11target_archE942ELNS1_3gpuE9ELNS1_3repE0EEENS1_30default_config_static_selectorELNS0_4arch9wavefront6targetE1EEEvT1_
	.p2align	8
	.type	_ZN7rocprim17ROCPRIM_400000_NS6detail17trampoline_kernelINS0_14default_configENS1_25partition_config_selectorILNS1_17partition_subalgoE9EllbEEZZNS1_14partition_implILS5_9ELb0ES3_jPlS8_PNS0_10empty_typeENS0_5tupleIJS8_S9_EEENSB_IJS8_SA_EEENS0_18inequality_wrapperIZN2at6native12_GLOBAL__N_124unique_dim_cuda_templateIhEESt5tupleIJNSF_6TensorESK_SK_EERKSK_lbbbEUlllE0_EEPmJS9_EEE10hipError_tPvRmT3_T4_T5_T6_T7_T9_mT8_P12ihipStream_tbDpT10_ENKUlT_T0_E_clISt17integral_constantIbLb1EES19_IbLb0EEEEDaS15_S16_EUlS15_E_NS1_11comp_targetILNS1_3genE5ELNS1_11target_archE942ELNS1_3gpuE9ELNS1_3repE0EEENS1_30default_config_static_selectorELNS0_4arch9wavefront6targetE1EEEvT1_,@function
_ZN7rocprim17ROCPRIM_400000_NS6detail17trampoline_kernelINS0_14default_configENS1_25partition_config_selectorILNS1_17partition_subalgoE9EllbEEZZNS1_14partition_implILS5_9ELb0ES3_jPlS8_PNS0_10empty_typeENS0_5tupleIJS8_S9_EEENSB_IJS8_SA_EEENS0_18inequality_wrapperIZN2at6native12_GLOBAL__N_124unique_dim_cuda_templateIhEESt5tupleIJNSF_6TensorESK_SK_EERKSK_lbbbEUlllE0_EEPmJS9_EEE10hipError_tPvRmT3_T4_T5_T6_T7_T9_mT8_P12ihipStream_tbDpT10_ENKUlT_T0_E_clISt17integral_constantIbLb1EES19_IbLb0EEEEDaS15_S16_EUlS15_E_NS1_11comp_targetILNS1_3genE5ELNS1_11target_archE942ELNS1_3gpuE9ELNS1_3repE0EEENS1_30default_config_static_selectorELNS0_4arch9wavefront6targetE1EEEvT1_: ; @_ZN7rocprim17ROCPRIM_400000_NS6detail17trampoline_kernelINS0_14default_configENS1_25partition_config_selectorILNS1_17partition_subalgoE9EllbEEZZNS1_14partition_implILS5_9ELb0ES3_jPlS8_PNS0_10empty_typeENS0_5tupleIJS8_S9_EEENSB_IJS8_SA_EEENS0_18inequality_wrapperIZN2at6native12_GLOBAL__N_124unique_dim_cuda_templateIhEESt5tupleIJNSF_6TensorESK_SK_EERKSK_lbbbEUlllE0_EEPmJS9_EEE10hipError_tPvRmT3_T4_T5_T6_T7_T9_mT8_P12ihipStream_tbDpT10_ENKUlT_T0_E_clISt17integral_constantIbLb1EES19_IbLb0EEEEDaS15_S16_EUlS15_E_NS1_11comp_targetILNS1_3genE5ELNS1_11target_archE942ELNS1_3gpuE9ELNS1_3repE0EEENS1_30default_config_static_selectorELNS0_4arch9wavefront6targetE1EEEvT1_
; %bb.0:
	s_load_dwordx8 s[20:27], s[0:1], 0x40
	s_load_dwordx4 s[4:7], s[0:1], 0x8
	s_load_dwordx2 s[10:11], s[0:1], 0x18
	s_load_dword s3, s[0:1], 0x70
	s_mul_i32 s12, s2, 0xe00
	s_waitcnt lgkmcnt(0)
	v_mov_b32_e32 v2, s24
	s_lshl_b64 s[14:15], s[6:7], 3
	s_add_u32 s18, s4, s14
	s_mul_i32 s4, s3, 0xe00
	s_addc_u32 s19, s5, s15
	s_add_i32 s8, s3, -1
	s_add_i32 s3, s4, s6
	s_sub_i32 s3, s24, s3
	s_addk_i32 s3, 0xe00
	s_add_u32 s4, s6, s4
	s_addc_u32 s5, s7, 0
	v_mov_b32_e32 v3, s25
	s_cmp_eq_u32 s2, s8
	s_load_dwordx2 s[22:23], s[22:23], 0x0
	v_cmp_ge_u64_e32 vcc, s[4:5], v[2:3]
	s_cselect_b64 s[24:25], -1, 0
	s_mov_b32 s13, 0
	s_and_b64 s[8:9], s[24:25], vcc
	s_xor_b64 s[34:35], s[8:9], -1
	s_lshl_b64 s[16:17], s[12:13], 3
	s_add_u32 s12, s18, s16
	s_mov_b64 s[4:5], -1
	s_addc_u32 s13, s19, s17
	s_and_b64 vcc, exec, s[34:35]
	s_cbranch_vccz .LBB222_2
; %bb.1:
	v_lshlrev_b32_e32 v2, 3, v0
	v_mov_b32_e32 v3, 0
	v_lshl_add_u64 v[4:5], s[12:13], 0, v[2:3]
	v_add_co_u32_e32 v8, vcc, 0x1000, v4
	global_load_dwordx2 v[6:7], v2, s[12:13]
	s_nop 0
	v_addc_co_u32_e32 v9, vcc, 0, v5, vcc
	v_add_co_u32_e32 v10, vcc, 0x2000, v4
	s_mov_b64 s[4:5], 0
	s_nop 0
	v_addc_co_u32_e32 v11, vcc, 0, v5, vcc
	v_add_co_u32_e32 v12, vcc, 0x3000, v4
	s_nop 1
	v_addc_co_u32_e32 v13, vcc, 0, v5, vcc
	v_add_co_u32_e32 v14, vcc, 0x4000, v4
	s_nop 1
	v_addc_co_u32_e32 v15, vcc, 0, v5, vcc
	global_load_dwordx2 v[16:17], v[8:9], off
	global_load_dwordx2 v[18:19], v[10:11], off
	global_load_dwordx2 v[20:21], v[12:13], off
	global_load_dwordx2 v[22:23], v[14:15], off
	v_add_co_u32_e32 v8, vcc, 0x5000, v4
	s_nop 1
	v_addc_co_u32_e32 v9, vcc, 0, v5, vcc
	v_add_co_u32_e32 v4, vcc, 0x6000, v4
	global_load_dwordx2 v[8:9], v[8:9], off
	s_nop 0
	v_addc_co_u32_e32 v5, vcc, 0, v5, vcc
	global_load_dwordx2 v[4:5], v[4:5], off
	s_waitcnt vmcnt(5)
	ds_write2st64_b64 v2, v[6:7], v[16:17] offset1:8
	s_waitcnt vmcnt(3)
	ds_write2st64_b64 v2, v[18:19], v[20:21] offset0:16 offset1:24
	s_waitcnt vmcnt(1)
	ds_write2st64_b64 v2, v[22:23], v[8:9] offset0:32 offset1:40
	s_waitcnt vmcnt(0)
	ds_write_b64 v2, v[4:5] offset:24576
	s_waitcnt lgkmcnt(0)
	s_barrier
.LBB222_2:
	s_load_dwordx4 s[28:31], s[0:1], 0x60
	s_andn2_b64 vcc, exec, s[4:5]
	v_cmp_gt_u32_e64 s[4:5], s3, v0
	s_cbranch_vccnz .LBB222_18
; %bb.3:
                                        ; implicit-def: $vgpr2_vgpr3_vgpr4_vgpr5_vgpr6_vgpr7_vgpr8_vgpr9_vgpr10_vgpr11_vgpr12_vgpr13_vgpr14_vgpr15_vgpr16_vgpr17
	s_and_saveexec_b64 s[18:19], s[4:5]
	s_cbranch_execz .LBB222_5
; %bb.4:
	v_lshlrev_b32_e32 v1, 3, v0
	global_load_dwordx2 v[2:3], v1, s[12:13]
.LBB222_5:
	s_or_b64 exec, exec, s[18:19]
	v_or_b32_e32 v1, 0x200, v0
	v_cmp_gt_u32_e32 vcc, s3, v1
	s_and_saveexec_b64 s[4:5], vcc
	s_cbranch_execz .LBB222_7
; %bb.6:
	v_lshlrev_b32_e32 v1, 3, v1
	global_load_dwordx2 v[4:5], v1, s[12:13]
.LBB222_7:
	s_or_b64 exec, exec, s[4:5]
	v_or_b32_e32 v1, 0x400, v0
	v_cmp_gt_u32_e32 vcc, s3, v1
	s_and_saveexec_b64 s[4:5], vcc
	;; [unrolled: 9-line block ×6, first 2 shown]
	s_cbranch_execz .LBB222_17
; %bb.16:
	v_lshlrev_b32_e32 v1, 3, v1
	global_load_dwordx2 v[14:15], v1, s[12:13]
.LBB222_17:
	s_or_b64 exec, exec, s[4:5]
	v_lshlrev_b32_e32 v1, 3, v0
	s_waitcnt vmcnt(0)
	ds_write2st64_b64 v1, v[2:3], v[4:5] offset1:8
	ds_write2st64_b64 v1, v[6:7], v[8:9] offset0:16 offset1:24
	ds_write2st64_b64 v1, v[10:11], v[12:13] offset0:32 offset1:40
	ds_write_b64 v1, v[14:15] offset:24576
	s_waitcnt lgkmcnt(0)
	s_barrier
.LBB222_18:
	v_mul_u32_u24_e32 v1, 7, v0
	v_lshlrev_b32_e32 v36, 3, v1
	s_waitcnt lgkmcnt(0)
	ds_read2_b64 v[22:25], v36 offset1:1
	ds_read2_b64 v[18:21], v36 offset0:2 offset1:3
	ds_read2_b64 v[14:17], v36 offset0:4 offset1:5
	ds_read_b64 v[28:29], v36 offset:48
	s_add_u32 s4, s10, s14
	s_addc_u32 s5, s11, s15
	s_add_u32 s4, s4, s16
	s_addc_u32 s5, s5, s17
	s_mov_b64 s[10:11], -1
	s_and_b64 vcc, exec, s[34:35]
	s_waitcnt lgkmcnt(0)
	s_barrier
	s_cbranch_vccz .LBB222_20
; %bb.19:
	v_lshlrev_b32_e32 v2, 3, v0
	v_mov_b32_e32 v3, 0
	v_lshl_add_u64 v[4:5], s[4:5], 0, v[2:3]
	v_add_co_u32_e32 v8, vcc, 0x1000, v4
	global_load_dwordx2 v[6:7], v2, s[4:5]
	s_nop 0
	v_addc_co_u32_e32 v9, vcc, 0, v5, vcc
	v_add_co_u32_e32 v10, vcc, 0x2000, v4
	s_mov_b64 s[10:11], 0
	s_nop 0
	v_addc_co_u32_e32 v11, vcc, 0, v5, vcc
	v_add_co_u32_e32 v12, vcc, 0x3000, v4
	s_nop 1
	v_addc_co_u32_e32 v13, vcc, 0, v5, vcc
	v_add_co_u32_e32 v26, vcc, 0x4000, v4
	s_nop 1
	v_addc_co_u32_e32 v27, vcc, 0, v5, vcc
	global_load_dwordx2 v[30:31], v[8:9], off
	global_load_dwordx2 v[32:33], v[10:11], off
	;; [unrolled: 1-line block ×4, first 2 shown]
	v_add_co_u32_e32 v8, vcc, 0x5000, v4
	s_nop 1
	v_addc_co_u32_e32 v9, vcc, 0, v5, vcc
	v_add_co_u32_e32 v4, vcc, 0x6000, v4
	global_load_dwordx2 v[8:9], v[8:9], off
	s_nop 0
	v_addc_co_u32_e32 v5, vcc, 0, v5, vcc
	global_load_dwordx2 v[4:5], v[4:5], off
	s_waitcnt vmcnt(5)
	ds_write2st64_b64 v2, v[6:7], v[30:31] offset1:8
	s_waitcnt vmcnt(3)
	ds_write2st64_b64 v2, v[32:33], v[34:35] offset0:16 offset1:24
	s_waitcnt vmcnt(1)
	ds_write2st64_b64 v2, v[38:39], v[8:9] offset0:32 offset1:40
	s_waitcnt vmcnt(0)
	ds_write_b64 v2, v[4:5] offset:24576
	s_waitcnt lgkmcnt(0)
	s_barrier
.LBB222_20:
	s_andn2_b64 vcc, exec, s[10:11]
	s_cbranch_vccnz .LBB222_36
; %bb.21:
	v_cmp_gt_u32_e32 vcc, s3, v0
                                        ; implicit-def: $vgpr2_vgpr3
	s_and_saveexec_b64 s[10:11], vcc
	s_cbranch_execz .LBB222_23
; %bb.22:
	v_lshlrev_b32_e32 v2, 3, v0
	global_load_dwordx2 v[2:3], v2, s[4:5]
.LBB222_23:
	s_or_b64 exec, exec, s[10:11]
	v_or_b32_e32 v6, 0x200, v0
	v_cmp_gt_u32_e32 vcc, s3, v6
                                        ; implicit-def: $vgpr4_vgpr5
	s_and_saveexec_b64 s[10:11], vcc
	s_cbranch_execz .LBB222_25
; %bb.24:
	v_lshlrev_b32_e32 v4, 3, v6
	global_load_dwordx2 v[4:5], v4, s[4:5]
.LBB222_25:
	s_or_b64 exec, exec, s[10:11]
	v_or_b32_e32 v8, 0x400, v0
	v_cmp_gt_u32_e32 vcc, s3, v8
                                        ; implicit-def: $vgpr6_vgpr7
	s_and_saveexec_b64 s[10:11], vcc
	s_cbranch_execz .LBB222_27
; %bb.26:
	v_lshlrev_b32_e32 v6, 3, v8
	global_load_dwordx2 v[6:7], v6, s[4:5]
.LBB222_27:
	s_or_b64 exec, exec, s[10:11]
	v_or_b32_e32 v10, 0x600, v0
	v_cmp_gt_u32_e32 vcc, s3, v10
                                        ; implicit-def: $vgpr8_vgpr9
	s_and_saveexec_b64 s[10:11], vcc
	s_cbranch_execz .LBB222_29
; %bb.28:
	v_lshlrev_b32_e32 v8, 3, v10
	global_load_dwordx2 v[8:9], v8, s[4:5]
.LBB222_29:
	s_or_b64 exec, exec, s[10:11]
	v_or_b32_e32 v12, 0x800, v0
	v_cmp_gt_u32_e32 vcc, s3, v12
                                        ; implicit-def: $vgpr10_vgpr11
	s_and_saveexec_b64 s[10:11], vcc
	s_cbranch_execz .LBB222_31
; %bb.30:
	v_lshlrev_b32_e32 v10, 3, v12
	global_load_dwordx2 v[10:11], v10, s[4:5]
.LBB222_31:
	s_or_b64 exec, exec, s[10:11]
	v_or_b32_e32 v26, 0xa00, v0
	v_cmp_gt_u32_e32 vcc, s3, v26
                                        ; implicit-def: $vgpr12_vgpr13
	s_and_saveexec_b64 s[10:11], vcc
	s_cbranch_execz .LBB222_33
; %bb.32:
	v_lshlrev_b32_e32 v12, 3, v26
	global_load_dwordx2 v[12:13], v12, s[4:5]
.LBB222_33:
	s_or_b64 exec, exec, s[10:11]
	v_or_b32_e32 v30, 0xc00, v0
	v_cmp_gt_u32_e32 vcc, s3, v30
                                        ; implicit-def: $vgpr26_vgpr27
	s_and_saveexec_b64 s[10:11], vcc
	s_cbranch_execz .LBB222_35
; %bb.34:
	v_lshlrev_b32_e32 v26, 3, v30
	global_load_dwordx2 v[26:27], v26, s[4:5]
.LBB222_35:
	s_or_b64 exec, exec, s[10:11]
	s_movk_i32 s4, 0xffd0
	v_mad_i32_i24 v30, v0, s4, v36
	s_waitcnt vmcnt(0)
	ds_write2st64_b64 v30, v[2:3], v[4:5] offset1:8
	ds_write2st64_b64 v30, v[6:7], v[8:9] offset0:16 offset1:24
	ds_write2st64_b64 v30, v[10:11], v[12:13] offset0:32 offset1:40
	ds_write_b64 v30, v[26:27] offset:24576
	s_waitcnt lgkmcnt(0)
	s_barrier
.LBB222_36:
	ds_read2_b64 v[10:13], v36 offset1:1
	ds_read2_b64 v[6:9], v36 offset0:2 offset1:3
	ds_read2_b64 v[2:5], v36 offset0:4 offset1:5
	ds_read_b64 v[26:27], v36 offset:48
	s_cmp_lg_u32 s2, 0
	s_cselect_b64 s[16:17], -1, 0
	s_cmp_lg_u64 s[6:7], 0
	s_cselect_b64 s[4:5], -1, 0
	s_or_b64 s[4:5], s[16:17], s[4:5]
	v_add_u32_e32 v41, 1, v1
	v_add_u32_e32 v38, 2, v1
	;; [unrolled: 1-line block ×6, first 2 shown]
	s_mov_b64 s[10:11], 0
	s_and_b64 vcc, exec, s[4:5]
	v_cmp_gt_i64_e64 s[4:5], s[26:27], 0
	s_waitcnt lgkmcnt(0)
	s_barrier
	s_cbranch_vccz .LBB222_45
; %bb.37:
	s_add_u32 s6, s12, -8
	s_addc_u32 s7, s13, -1
	s_load_dwordx2 s[6:7], s[6:7], 0x0
	v_cndmask_b32_e64 v30, 0, 1, s[4:5]
	v_lshlrev_b32_e32 v37, 3, v0
	s_and_b64 vcc, exec, s[34:35]
	v_cmp_ne_u32_e64 s[4:5], 1, v30
	ds_write_b64 v37, v[28:29]
	s_cbranch_vccz .LBB222_47
; %bb.38:
	v_mul_lo_u32 v32, v17, s26
	v_mul_lo_u32 v33, v16, s27
	v_mad_u64_u32 v[30:31], s[12:13], v16, s26, 0
	v_add3_u32 v31, v31, v33, v32
	s_and_b64 vcc, exec, s[4:5]
	v_lshl_add_u64 v[30:31], s[28:29], 0, v[30:31]
	s_cbranch_vccnz .LBB222_50
; %bb.39:
	v_mov_b64_e32 v[32:33], s[28:29]
	v_mad_u64_u32 v[32:33], s[10:11], v28, s26, v[32:33]
	v_mul_lo_u32 v34, v28, s27
	v_mul_lo_u32 v35, v29, s26
	v_add3_u32 v33, v35, v33, v34
	global_load_ubyte v34, v[30:31], off
	global_load_ubyte v35, v[32:33], off
	s_mov_b64 s[10:11], -1
	s_waitcnt vmcnt(0)
	v_cmp_eq_u16_e32 vcc, v34, v35
	s_and_saveexec_b64 s[12:13], vcc
	s_cbranch_execz .LBB222_49
; %bb.40:
	s_mov_b64 s[18:19], 1
	s_mov_b64 s[10:11], 0
                                        ; implicit-def: $sgpr14_sgpr15
	s_branch .LBB222_43
.LBB222_41:                             ;   in Loop: Header=BB222_43 Depth=1
	v_lshl_add_u64 v[34:35], v[30:31], 0, s[18:19]
	v_lshl_add_u64 v[44:45], v[32:33], 0, s[18:19]
	global_load_ubyte v46, v[34:35], off
	global_load_ubyte v47, v[44:45], off
	s_add_u32 s36, s18, 1
	s_addc_u32 s37, s19, 0
	s_andn2_b64 s[14:15], s[14:15], exec
	s_waitcnt vmcnt(0)
	v_cmp_ne_u16_e32 vcc, v46, v47
	s_and_b64 s[38:39], vcc, exec
	s_or_b64 s[14:15], s[14:15], s[38:39]
.LBB222_42:                             ;   in Loop: Header=BB222_43 Depth=1
	s_and_b64 s[38:39], exec, s[14:15]
	s_or_b64 s[10:11], s[38:39], s[10:11]
	v_mov_b64_e32 v[34:35], s[18:19]
	s_mov_b64 s[18:19], s[36:37]
	s_andn2_b64 exec, exec, s[10:11]
	s_cbranch_execz .LBB222_48
.LBB222_43:                             ; =>This Inner Loop Header: Depth=1
	s_or_b64 s[14:15], s[14:15], exec
	s_cmp_eq_u64 s[26:27], s[18:19]
	s_cbranch_scc0 .LBB222_41
; %bb.44:                               ;   in Loop: Header=BB222_43 Depth=1
                                        ; implicit-def: $sgpr36_sgpr37
	s_mov_b64 s[18:19], s[26:27]
	s_branch .LBB222_42
.LBB222_45:
                                        ; implicit-def: $sgpr18_sgpr19
                                        ; implicit-def: $vgpr47
                                        ; implicit-def: $vgpr46
                                        ; implicit-def: $vgpr45
                                        ; implicit-def: $vgpr34
	s_branch .LBB222_188
.LBB222_46:
                                        ; implicit-def: $vgpr30_vgpr31
	s_branch .LBB222_336
.LBB222_47:
                                        ; implicit-def: $sgpr18_sgpr19
                                        ; implicit-def: $vgpr47
                                        ; implicit-def: $vgpr46
                                        ; implicit-def: $vgpr45
                                        ; implicit-def: $vgpr34
	s_cbranch_execnz .LBB222_107
	s_branch .LBB222_187
.LBB222_48:
	s_or_b64 exec, exec, s[10:11]
	v_cmp_gt_i64_e32 vcc, s[26:27], v[34:35]
	s_orn2_b64 s[10:11], vcc, exec
.LBB222_49:
	s_or_b64 exec, exec, s[12:13]
.LBB222_50:
	v_mul_lo_u32 v34, v15, s26
	v_mul_lo_u32 v35, v14, s27
	v_mad_u64_u32 v[32:33], s[12:13], v14, s26, 0
	v_add3_u32 v33, v33, v35, v34
	s_mov_b64 s[12:13], 0
	s_and_b64 vcc, exec, s[4:5]
	v_lshl_add_u64 v[32:33], s[28:29], 0, v[32:33]
	s_mov_b64 s[14:15], 0
	s_cbranch_vccnz .LBB222_59
; %bb.51:
	global_load_ubyte v34, v[32:33], off
	global_load_ubyte v35, v[30:31], off
	s_mov_b64 s[14:15], -1
	s_waitcnt vmcnt(0)
	v_cmp_eq_u16_e32 vcc, v34, v35
	s_and_saveexec_b64 s[18:19], vcc
	s_cbranch_execz .LBB222_58
; %bb.52:
	s_mov_b64 s[38:39], 1
	s_mov_b64 s[14:15], 0
                                        ; implicit-def: $sgpr36_sgpr37
	s_branch .LBB222_55
.LBB222_53:                             ;   in Loop: Header=BB222_55 Depth=1
	v_lshl_add_u64 v[34:35], v[32:33], 0, s[38:39]
	v_lshl_add_u64 v[44:45], v[30:31], 0, s[38:39]
	global_load_ubyte v46, v[34:35], off
	global_load_ubyte v47, v[44:45], off
	s_add_u32 s40, s38, 1
	s_addc_u32 s41, s39, 0
	s_andn2_b64 s[36:37], s[36:37], exec
	s_waitcnt vmcnt(0)
	v_cmp_ne_u16_e32 vcc, v46, v47
	s_and_b64 s[42:43], vcc, exec
	s_or_b64 s[36:37], s[36:37], s[42:43]
.LBB222_54:                             ;   in Loop: Header=BB222_55 Depth=1
	s_and_b64 s[42:43], exec, s[36:37]
	s_or_b64 s[14:15], s[42:43], s[14:15]
	v_mov_b64_e32 v[34:35], s[38:39]
	s_mov_b64 s[38:39], s[40:41]
	s_andn2_b64 exec, exec, s[14:15]
	s_cbranch_execz .LBB222_57
.LBB222_55:                             ; =>This Inner Loop Header: Depth=1
	s_or_b64 s[36:37], s[36:37], exec
	s_cmp_eq_u64 s[26:27], s[38:39]
	s_cbranch_scc0 .LBB222_53
; %bb.56:                               ;   in Loop: Header=BB222_55 Depth=1
                                        ; implicit-def: $sgpr40_sgpr41
	s_mov_b64 s[38:39], s[26:27]
	s_branch .LBB222_54
.LBB222_57:
	s_or_b64 exec, exec, s[14:15]
	v_cmp_gt_i64_e32 vcc, s[26:27], v[34:35]
	s_orn2_b64 s[14:15], vcc, exec
.LBB222_58:
	s_or_b64 exec, exec, s[18:19]
.LBB222_59:
	v_mul_lo_u32 v34, v21, s26
	v_mul_lo_u32 v35, v20, s27
	v_mad_u64_u32 v[30:31], s[18:19], v20, s26, 0
	v_add3_u32 v31, v31, v35, v34
	s_and_b64 vcc, exec, s[4:5]
	v_lshl_add_u64 v[30:31], s[28:29], 0, v[30:31]
	s_cbranch_vccnz .LBB222_68
; %bb.60:
	global_load_ubyte v34, v[30:31], off
	global_load_ubyte v35, v[32:33], off
	s_mov_b64 s[12:13], -1
	s_waitcnt vmcnt(0)
	v_cmp_eq_u16_e32 vcc, v34, v35
	s_and_saveexec_b64 s[18:19], vcc
	s_cbranch_execz .LBB222_67
; %bb.61:
	s_mov_b64 s[38:39], 1
	s_mov_b64 s[12:13], 0
                                        ; implicit-def: $sgpr36_sgpr37
	s_branch .LBB222_64
.LBB222_62:                             ;   in Loop: Header=BB222_64 Depth=1
	v_lshl_add_u64 v[34:35], v[30:31], 0, s[38:39]
	v_lshl_add_u64 v[44:45], v[32:33], 0, s[38:39]
	global_load_ubyte v46, v[34:35], off
	global_load_ubyte v47, v[44:45], off
	s_add_u32 s40, s38, 1
	s_addc_u32 s41, s39, 0
	s_andn2_b64 s[36:37], s[36:37], exec
	s_waitcnt vmcnt(0)
	v_cmp_ne_u16_e32 vcc, v46, v47
	s_and_b64 s[42:43], vcc, exec
	s_or_b64 s[36:37], s[36:37], s[42:43]
.LBB222_63:                             ;   in Loop: Header=BB222_64 Depth=1
	s_and_b64 s[42:43], exec, s[36:37]
	s_or_b64 s[12:13], s[42:43], s[12:13]
	v_mov_b64_e32 v[34:35], s[38:39]
	s_mov_b64 s[38:39], s[40:41]
	s_andn2_b64 exec, exec, s[12:13]
	s_cbranch_execz .LBB222_66
.LBB222_64:                             ; =>This Inner Loop Header: Depth=1
	s_or_b64 s[36:37], s[36:37], exec
	s_cmp_eq_u64 s[26:27], s[38:39]
	s_cbranch_scc0 .LBB222_62
; %bb.65:                               ;   in Loop: Header=BB222_64 Depth=1
                                        ; implicit-def: $sgpr40_sgpr41
	s_mov_b64 s[38:39], s[26:27]
	s_branch .LBB222_63
.LBB222_66:
	s_or_b64 exec, exec, s[12:13]
	v_cmp_gt_i64_e32 vcc, s[26:27], v[34:35]
	s_orn2_b64 s[12:13], vcc, exec
.LBB222_67:
	s_or_b64 exec, exec, s[18:19]
.LBB222_68:
	v_mul_lo_u32 v34, v19, s26
	v_mul_lo_u32 v35, v18, s27
	v_mad_u64_u32 v[32:33], s[18:19], v18, s26, 0
	v_add3_u32 v33, v33, v35, v34
	s_mov_b64 s[18:19], 0
	s_and_b64 vcc, exec, s[4:5]
	v_lshl_add_u64 v[34:35], s[28:29], 0, v[32:33]
	s_mov_b64 s[36:37], 0
	s_cbranch_vccnz .LBB222_77
; %bb.69:
	global_load_ubyte v32, v[34:35], off
	global_load_ubyte v33, v[30:31], off
	s_mov_b64 s[36:37], -1
	s_waitcnt vmcnt(0)
	v_cmp_eq_u16_e32 vcc, v32, v33
	s_and_saveexec_b64 s[38:39], vcc
	s_cbranch_execz .LBB222_76
; %bb.70:
	s_mov_b64 s[42:43], 1
	s_mov_b64 s[36:37], 0
                                        ; implicit-def: $sgpr40_sgpr41
	s_branch .LBB222_73
.LBB222_71:                             ;   in Loop: Header=BB222_73 Depth=1
	v_lshl_add_u64 v[32:33], v[34:35], 0, s[42:43]
	v_lshl_add_u64 v[44:45], v[30:31], 0, s[42:43]
	global_load_ubyte v46, v[32:33], off
	global_load_ubyte v47, v[44:45], off
	s_add_u32 s44, s42, 1
	s_addc_u32 s45, s43, 0
	s_andn2_b64 s[40:41], s[40:41], exec
	s_waitcnt vmcnt(0)
	v_cmp_ne_u16_e32 vcc, v46, v47
	s_and_b64 s[46:47], vcc, exec
	s_or_b64 s[40:41], s[40:41], s[46:47]
.LBB222_72:                             ;   in Loop: Header=BB222_73 Depth=1
	s_and_b64 s[46:47], exec, s[40:41]
	s_or_b64 s[36:37], s[46:47], s[36:37]
	v_mov_b64_e32 v[32:33], s[42:43]
	s_mov_b64 s[42:43], s[44:45]
	s_andn2_b64 exec, exec, s[36:37]
	s_cbranch_execz .LBB222_75
.LBB222_73:                             ; =>This Inner Loop Header: Depth=1
	s_or_b64 s[40:41], s[40:41], exec
	s_cmp_eq_u64 s[26:27], s[42:43]
	s_cbranch_scc0 .LBB222_71
; %bb.74:                               ;   in Loop: Header=BB222_73 Depth=1
                                        ; implicit-def: $sgpr44_sgpr45
	s_mov_b64 s[42:43], s[26:27]
	s_branch .LBB222_72
.LBB222_75:
	s_or_b64 exec, exec, s[36:37]
	v_cmp_gt_i64_e32 vcc, s[26:27], v[32:33]
	s_orn2_b64 s[36:37], vcc, exec
.LBB222_76:
	s_or_b64 exec, exec, s[38:39]
.LBB222_77:
	v_mul_lo_u32 v32, v25, s26
	v_mul_lo_u32 v33, v24, s27
	v_mad_u64_u32 v[30:31], s[38:39], v24, s26, 0
	v_add3_u32 v31, v31, v33, v32
	s_and_b64 vcc, exec, s[4:5]
	v_lshl_add_u64 v[32:33], s[28:29], 0, v[30:31]
	s_cbranch_vccnz .LBB222_86
; %bb.78:
	global_load_ubyte v30, v[32:33], off
	global_load_ubyte v31, v[34:35], off
	s_mov_b64 s[18:19], -1
	s_waitcnt vmcnt(0)
	v_cmp_eq_u16_e32 vcc, v30, v31
	s_and_saveexec_b64 s[38:39], vcc
	s_cbranch_execz .LBB222_85
; %bb.79:
	s_mov_b64 s[42:43], 1
	s_mov_b64 s[18:19], 0
                                        ; implicit-def: $sgpr40_sgpr41
	s_branch .LBB222_82
.LBB222_80:                             ;   in Loop: Header=BB222_82 Depth=1
	v_lshl_add_u64 v[30:31], v[32:33], 0, s[42:43]
	v_lshl_add_u64 v[44:45], v[34:35], 0, s[42:43]
	global_load_ubyte v46, v[30:31], off
	global_load_ubyte v47, v[44:45], off
	s_add_u32 s44, s42, 1
	s_addc_u32 s45, s43, 0
	s_andn2_b64 s[40:41], s[40:41], exec
	s_waitcnt vmcnt(0)
	v_cmp_ne_u16_e32 vcc, v46, v47
	s_and_b64 s[46:47], vcc, exec
	s_or_b64 s[40:41], s[40:41], s[46:47]
.LBB222_81:                             ;   in Loop: Header=BB222_82 Depth=1
	s_and_b64 s[46:47], exec, s[40:41]
	s_or_b64 s[18:19], s[46:47], s[18:19]
	v_mov_b64_e32 v[30:31], s[42:43]
	s_mov_b64 s[42:43], s[44:45]
	s_andn2_b64 exec, exec, s[18:19]
	s_cbranch_execz .LBB222_84
.LBB222_82:                             ; =>This Inner Loop Header: Depth=1
	s_or_b64 s[40:41], s[40:41], exec
	s_cmp_eq_u64 s[26:27], s[42:43]
	s_cbranch_scc0 .LBB222_80
; %bb.83:                               ;   in Loop: Header=BB222_82 Depth=1
                                        ; implicit-def: $sgpr44_sgpr45
	s_mov_b64 s[42:43], s[26:27]
	s_branch .LBB222_81
.LBB222_84:
	s_or_b64 exec, exec, s[18:19]
	v_cmp_gt_i64_e32 vcc, s[26:27], v[30:31]
	s_orn2_b64 s[18:19], vcc, exec
.LBB222_85:
	s_or_b64 exec, exec, s[38:39]
.LBB222_86:
	v_mul_lo_u32 v34, v23, s26
	v_mul_lo_u32 v35, v22, s27
	v_mad_u64_u32 v[30:31], s[38:39], v22, s26, 0
	v_add3_u32 v31, v31, v35, v34
	s_mov_b64 s[40:41], 0
	s_and_b64 vcc, exec, s[4:5]
	v_lshl_add_u64 v[30:31], s[28:29], 0, v[30:31]
	s_cbranch_vccnz .LBB222_95
; %bb.87:
	global_load_ubyte v34, v[30:31], off
	global_load_ubyte v35, v[32:33], off
	s_mov_b64 s[40:41], -1
	s_waitcnt vmcnt(0)
	v_cmp_eq_u16_e32 vcc, v34, v35
	s_and_saveexec_b64 s[38:39], vcc
	s_cbranch_execz .LBB222_94
; %bb.88:
	s_mov_b64 s[44:45], 1
	s_mov_b64 s[40:41], 0
                                        ; implicit-def: $sgpr42_sgpr43
	s_branch .LBB222_91
.LBB222_89:                             ;   in Loop: Header=BB222_91 Depth=1
	v_lshl_add_u64 v[34:35], v[30:31], 0, s[44:45]
	v_lshl_add_u64 v[44:45], v[32:33], 0, s[44:45]
	global_load_ubyte v46, v[34:35], off
	global_load_ubyte v47, v[44:45], off
	s_add_u32 s46, s44, 1
	s_addc_u32 s47, s45, 0
	s_andn2_b64 s[42:43], s[42:43], exec
	s_waitcnt vmcnt(0)
	v_cmp_ne_u16_e32 vcc, v46, v47
	s_and_b64 s[48:49], vcc, exec
	s_or_b64 s[42:43], s[42:43], s[48:49]
.LBB222_90:                             ;   in Loop: Header=BB222_91 Depth=1
	s_and_b64 s[48:49], exec, s[42:43]
	s_or_b64 s[40:41], s[48:49], s[40:41]
	v_mov_b64_e32 v[34:35], s[44:45]
	s_mov_b64 s[44:45], s[46:47]
	s_andn2_b64 exec, exec, s[40:41]
	s_cbranch_execz .LBB222_93
.LBB222_91:                             ; =>This Inner Loop Header: Depth=1
	s_or_b64 s[42:43], s[42:43], exec
	s_cmp_eq_u64 s[26:27], s[44:45]
	s_cbranch_scc0 .LBB222_89
; %bb.92:                               ;   in Loop: Header=BB222_91 Depth=1
                                        ; implicit-def: $sgpr46_sgpr47
	s_mov_b64 s[44:45], s[26:27]
	s_branch .LBB222_90
.LBB222_93:
	s_or_b64 exec, exec, s[40:41]
	v_cmp_gt_i64_e32 vcc, s[26:27], v[34:35]
	s_orn2_b64 s[40:41], vcc, exec
.LBB222_94:
	s_or_b64 exec, exec, s[38:39]
.LBB222_95:
	v_cmp_ne_u32_e32 vcc, 0, v0
	s_waitcnt lgkmcnt(0)
	v_mov_b64_e32 v[34:35], s[6:7]
	s_barrier
	s_and_saveexec_b64 s[38:39], vcc
	s_cbranch_execz .LBB222_97
; %bb.96:
	v_add_u32_e32 v32, -8, v37
	ds_read_b64 v[34:35], v32
.LBB222_97:
	s_or_b64 exec, exec, s[38:39]
	v_cndmask_b32_e64 v33, 0, 1, s[36:37]
	v_cndmask_b32_e64 v32, 0, 1, s[18:19]
	;; [unrolled: 1-line block ×3, first 2 shown]
	v_lshlrev_b16_e32 v33, 8, v33
	v_lshlrev_b16_e32 v44, 8, v44
	v_or_b32_sdwa v48, v32, v33 dst_sel:WORD_1 dst_unused:UNUSED_PAD src0_sel:DWORD src1_sel:DWORD
	s_mov_b64 s[36:37], 0
	s_and_b64 vcc, exec, s[4:5]
	s_mov_b64 s[18:19], 0
	s_cbranch_vccnz .LBB222_106
; %bb.98:
	v_mov_b64_e32 v[32:33], s[28:29]
	s_waitcnt lgkmcnt(0)
	v_mad_u64_u32 v[32:33], s[18:19], v34, s26, v[32:33]
	v_mul_lo_u32 v34, v34, s27
	v_mul_lo_u32 v35, v35, s26
	v_add3_u32 v33, v35, v33, v34
	global_load_ubyte v34, v[32:33], off
	global_load_ubyte v35, v[30:31], off
	s_mov_b64 s[18:19], -1
	s_waitcnt vmcnt(0)
	v_cmp_eq_u16_e32 vcc, v34, v35
	s_and_saveexec_b64 s[38:39], vcc
	s_cbranch_execz .LBB222_105
; %bb.99:
	s_mov_b64 s[42:43], 1
	s_mov_b64 s[18:19], 0
                                        ; implicit-def: $sgpr40_sgpr41
	s_branch .LBB222_102
.LBB222_100:                            ;   in Loop: Header=BB222_102 Depth=1
	v_lshl_add_u64 v[34:35], v[32:33], 0, s[42:43]
	v_lshl_add_u64 v[46:47], v[30:31], 0, s[42:43]
	global_load_ubyte v45, v[34:35], off
	global_load_ubyte v49, v[46:47], off
	s_add_u32 s44, s42, 1
	s_addc_u32 s45, s43, 0
	s_andn2_b64 s[40:41], s[40:41], exec
	s_waitcnt vmcnt(0)
	v_cmp_ne_u16_e32 vcc, v45, v49
	s_and_b64 s[46:47], vcc, exec
	s_or_b64 s[40:41], s[40:41], s[46:47]
.LBB222_101:                            ;   in Loop: Header=BB222_102 Depth=1
	s_and_b64 s[46:47], exec, s[40:41]
	s_or_b64 s[18:19], s[46:47], s[18:19]
	v_mov_b64_e32 v[34:35], s[42:43]
	s_mov_b64 s[42:43], s[44:45]
	s_andn2_b64 exec, exec, s[18:19]
	s_cbranch_execz .LBB222_104
.LBB222_102:                            ; =>This Inner Loop Header: Depth=1
	s_or_b64 s[40:41], s[40:41], exec
	s_cmp_eq_u64 s[26:27], s[42:43]
	s_cbranch_scc0 .LBB222_100
; %bb.103:                              ;   in Loop: Header=BB222_102 Depth=1
                                        ; implicit-def: $sgpr44_sgpr45
	s_mov_b64 s[42:43], s[26:27]
	s_branch .LBB222_101
.LBB222_104:
	s_or_b64 exec, exec, s[18:19]
	v_cmp_gt_i64_e32 vcc, s[26:27], v[34:35]
	s_orn2_b64 s[18:19], vcc, exec
.LBB222_105:
	s_or_b64 exec, exec, s[38:39]
.LBB222_106:
	v_cndmask_b32_e64 v45, 0, 1, s[12:13]
	v_cndmask_b32_e64 v46, 0, 1, s[14:15]
	;; [unrolled: 1-line block ×3, first 2 shown]
	s_waitcnt lgkmcnt(0)
	v_or_b32_e32 v34, v44, v48
	s_and_b64 vcc, exec, s[36:37]
	s_cbranch_vccz .LBB222_187
.LBB222_107:
	v_cmp_gt_u32_e32 vcc, s3, v40
	s_mov_b64 s[12:13], 0
	s_mov_b64 s[10:11], 0
	s_and_saveexec_b64 s[14:15], vcc
	s_cbranch_execz .LBB222_118
; %bb.108:
	s_and_b64 vcc, exec, s[4:5]
	s_mov_b64 s[18:19], 0
	s_cbranch_vccnz .LBB222_117
; %bb.109:
	v_mov_b64_e32 v[32:33], s[28:29]
	v_mad_u64_u32 v[30:31], s[10:11], v16, s26, v[32:33]
	v_mul_lo_u32 v34, v16, s27
	v_mul_lo_u32 v35, v17, s26
	v_add3_u32 v31, v35, v31, v34
	v_mad_u64_u32 v[32:33], s[10:11], v28, s26, v[32:33]
	v_mul_lo_u32 v34, v28, s27
	v_mul_lo_u32 v35, v29, s26
	v_add3_u32 v33, v35, v33, v34
	global_load_ubyte v34, v[30:31], off
	global_load_ubyte v35, v[32:33], off
	s_mov_b64 s[18:19], -1
	s_waitcnt vmcnt(0)
	v_cmp_eq_u16_e32 vcc, v34, v35
	s_and_saveexec_b64 s[10:11], vcc
	s_cbranch_execz .LBB222_116
; %bb.110:
	s_mov_b64 s[38:39], 1
	s_mov_b64 s[18:19], 0
                                        ; implicit-def: $sgpr36_sgpr37
	s_branch .LBB222_113
.LBB222_111:                            ;   in Loop: Header=BB222_113 Depth=1
	v_lshl_add_u64 v[34:35], v[30:31], 0, s[38:39]
	v_lshl_add_u64 v[44:45], v[32:33], 0, s[38:39]
	global_load_ubyte v46, v[34:35], off
	global_load_ubyte v47, v[44:45], off
	s_add_u32 s40, s38, 1
	s_addc_u32 s41, s39, 0
	s_andn2_b64 s[36:37], s[36:37], exec
	s_waitcnt vmcnt(0)
	v_cmp_ne_u16_e32 vcc, v46, v47
	s_and_b64 s[42:43], vcc, exec
	s_or_b64 s[36:37], s[36:37], s[42:43]
.LBB222_112:                            ;   in Loop: Header=BB222_113 Depth=1
	s_and_b64 s[42:43], exec, s[36:37]
	s_or_b64 s[18:19], s[42:43], s[18:19]
	v_mov_b64_e32 v[34:35], s[38:39]
	s_mov_b64 s[38:39], s[40:41]
	s_andn2_b64 exec, exec, s[18:19]
	s_cbranch_execz .LBB222_115
.LBB222_113:                            ; =>This Inner Loop Header: Depth=1
	s_or_b64 s[36:37], s[36:37], exec
	s_cmp_eq_u64 s[26:27], s[38:39]
	s_cbranch_scc0 .LBB222_111
; %bb.114:                              ;   in Loop: Header=BB222_113 Depth=1
                                        ; implicit-def: $sgpr40_sgpr41
	s_mov_b64 s[38:39], s[26:27]
	s_branch .LBB222_112
.LBB222_115:
	s_or_b64 exec, exec, s[18:19]
	v_cmp_gt_i64_e32 vcc, s[26:27], v[34:35]
	s_orn2_b64 s[18:19], vcc, exec
.LBB222_116:
	s_or_b64 exec, exec, s[10:11]
.LBB222_117:
	s_and_b64 s[10:11], s[18:19], exec
.LBB222_118:
	s_or_b64 exec, exec, s[14:15]
	v_cmp_gt_u32_e32 vcc, s3, v43
	s_and_saveexec_b64 s[14:15], vcc
	s_cbranch_execz .LBB222_129
; %bb.119:
	s_and_b64 vcc, exec, s[4:5]
	s_mov_b64 s[18:19], 0
	s_cbranch_vccnz .LBB222_128
; %bb.120:
	v_mov_b64_e32 v[32:33], s[28:29]
	v_mad_u64_u32 v[30:31], s[12:13], v14, s26, v[32:33]
	v_mul_lo_u32 v34, v14, s27
	v_mul_lo_u32 v35, v15, s26
	v_add3_u32 v31, v35, v31, v34
	v_mad_u64_u32 v[32:33], s[12:13], v16, s26, v[32:33]
	v_mul_lo_u32 v34, v16, s27
	v_mul_lo_u32 v35, v17, s26
	v_add3_u32 v33, v35, v33, v34
	global_load_ubyte v34, v[30:31], off
	global_load_ubyte v35, v[32:33], off
	s_mov_b64 s[18:19], -1
	s_waitcnt vmcnt(0)
	v_cmp_eq_u16_e32 vcc, v34, v35
	s_and_saveexec_b64 s[12:13], vcc
	s_cbranch_execz .LBB222_127
; %bb.121:
	s_mov_b64 s[38:39], 1
	s_mov_b64 s[18:19], 0
                                        ; implicit-def: $sgpr36_sgpr37
	s_branch .LBB222_124
.LBB222_122:                            ;   in Loop: Header=BB222_124 Depth=1
	v_lshl_add_u64 v[34:35], v[30:31], 0, s[38:39]
	v_lshl_add_u64 v[44:45], v[32:33], 0, s[38:39]
	global_load_ubyte v46, v[34:35], off
	global_load_ubyte v47, v[44:45], off
	s_add_u32 s40, s38, 1
	s_addc_u32 s41, s39, 0
	s_andn2_b64 s[36:37], s[36:37], exec
	s_waitcnt vmcnt(0)
	v_cmp_ne_u16_e32 vcc, v46, v47
	s_and_b64 s[42:43], vcc, exec
	s_or_b64 s[36:37], s[36:37], s[42:43]
.LBB222_123:                            ;   in Loop: Header=BB222_124 Depth=1
	s_and_b64 s[42:43], exec, s[36:37]
	s_or_b64 s[18:19], s[42:43], s[18:19]
	v_mov_b64_e32 v[34:35], s[38:39]
	s_mov_b64 s[38:39], s[40:41]
	s_andn2_b64 exec, exec, s[18:19]
	s_cbranch_execz .LBB222_126
.LBB222_124:                            ; =>This Inner Loop Header: Depth=1
	s_or_b64 s[36:37], s[36:37], exec
	s_cmp_eq_u64 s[26:27], s[38:39]
	s_cbranch_scc0 .LBB222_122
; %bb.125:                              ;   in Loop: Header=BB222_124 Depth=1
                                        ; implicit-def: $sgpr40_sgpr41
	s_mov_b64 s[38:39], s[26:27]
	s_branch .LBB222_123
.LBB222_126:
	s_or_b64 exec, exec, s[18:19]
	v_cmp_gt_i64_e32 vcc, s[26:27], v[34:35]
	s_orn2_b64 s[18:19], vcc, exec
.LBB222_127:
	s_or_b64 exec, exec, s[12:13]
.LBB222_128:
	s_and_b64 s[12:13], s[18:19], exec
.LBB222_129:
	s_or_b64 exec, exec, s[14:15]
	v_cmp_gt_u32_e32 vcc, s3, v39
	s_mov_b64 s[18:19], 0
	s_mov_b64 s[14:15], 0
	s_and_saveexec_b64 s[36:37], vcc
	s_cbranch_execz .LBB222_140
; %bb.130:
	s_and_b64 vcc, exec, s[4:5]
	s_mov_b64 s[38:39], 0
	s_cbranch_vccnz .LBB222_139
; %bb.131:
	v_mov_b64_e32 v[32:33], s[28:29]
	v_mad_u64_u32 v[30:31], s[14:15], v20, s26, v[32:33]
	v_mul_lo_u32 v34, v20, s27
	v_mul_lo_u32 v35, v21, s26
	v_add3_u32 v31, v35, v31, v34
	v_mad_u64_u32 v[32:33], s[14:15], v14, s26, v[32:33]
	v_mul_lo_u32 v34, v14, s27
	v_mul_lo_u32 v35, v15, s26
	v_add3_u32 v33, v35, v33, v34
	global_load_ubyte v34, v[30:31], off
	global_load_ubyte v35, v[32:33], off
	s_mov_b64 s[38:39], -1
	s_waitcnt vmcnt(0)
	v_cmp_eq_u16_e32 vcc, v34, v35
	s_and_saveexec_b64 s[14:15], vcc
	s_cbranch_execz .LBB222_138
; %bb.132:
	s_mov_b64 s[42:43], 1
	s_mov_b64 s[38:39], 0
                                        ; implicit-def: $sgpr40_sgpr41
	s_branch .LBB222_135
.LBB222_133:                            ;   in Loop: Header=BB222_135 Depth=1
	v_lshl_add_u64 v[34:35], v[30:31], 0, s[42:43]
	v_lshl_add_u64 v[44:45], v[32:33], 0, s[42:43]
	global_load_ubyte v46, v[34:35], off
	global_load_ubyte v47, v[44:45], off
	s_add_u32 s44, s42, 1
	s_addc_u32 s45, s43, 0
	s_andn2_b64 s[40:41], s[40:41], exec
	s_waitcnt vmcnt(0)
	v_cmp_ne_u16_e32 vcc, v46, v47
	s_and_b64 s[46:47], vcc, exec
	s_or_b64 s[40:41], s[40:41], s[46:47]
.LBB222_134:                            ;   in Loop: Header=BB222_135 Depth=1
	s_and_b64 s[46:47], exec, s[40:41]
	s_or_b64 s[38:39], s[46:47], s[38:39]
	v_mov_b64_e32 v[34:35], s[42:43]
	s_mov_b64 s[42:43], s[44:45]
	s_andn2_b64 exec, exec, s[38:39]
	s_cbranch_execz .LBB222_137
.LBB222_135:                            ; =>This Inner Loop Header: Depth=1
	s_or_b64 s[40:41], s[40:41], exec
	s_cmp_eq_u64 s[26:27], s[42:43]
	s_cbranch_scc0 .LBB222_133
; %bb.136:                              ;   in Loop: Header=BB222_135 Depth=1
                                        ; implicit-def: $sgpr44_sgpr45
	s_mov_b64 s[42:43], s[26:27]
	s_branch .LBB222_134
.LBB222_137:
	s_or_b64 exec, exec, s[38:39]
	v_cmp_gt_i64_e32 vcc, s[26:27], v[34:35]
	s_orn2_b64 s[38:39], vcc, exec
.LBB222_138:
	s_or_b64 exec, exec, s[14:15]
.LBB222_139:
	s_and_b64 s[14:15], s[38:39], exec
.LBB222_140:
	s_or_b64 exec, exec, s[36:37]
	v_cmp_gt_u32_e32 vcc, s3, v42
	s_and_saveexec_b64 s[36:37], vcc
	s_cbranch_execz .LBB222_151
; %bb.141:
	s_and_b64 vcc, exec, s[4:5]
	s_mov_b64 s[38:39], 0
	s_cbranch_vccnz .LBB222_150
; %bb.142:
	v_mov_b64_e32 v[32:33], s[28:29]
	v_mad_u64_u32 v[30:31], s[18:19], v18, s26, v[32:33]
	v_mul_lo_u32 v34, v18, s27
	v_mul_lo_u32 v35, v19, s26
	v_add3_u32 v31, v35, v31, v34
	v_mad_u64_u32 v[32:33], s[18:19], v20, s26, v[32:33]
	v_mul_lo_u32 v34, v20, s27
	v_mul_lo_u32 v35, v21, s26
	v_add3_u32 v33, v35, v33, v34
	global_load_ubyte v34, v[30:31], off
	global_load_ubyte v35, v[32:33], off
	s_mov_b64 s[38:39], -1
	s_waitcnt vmcnt(0)
	v_cmp_eq_u16_e32 vcc, v34, v35
	s_and_saveexec_b64 s[18:19], vcc
	s_cbranch_execz .LBB222_149
; %bb.143:
	s_mov_b64 s[42:43], 1
	s_mov_b64 s[38:39], 0
                                        ; implicit-def: $sgpr40_sgpr41
	s_branch .LBB222_146
.LBB222_144:                            ;   in Loop: Header=BB222_146 Depth=1
	v_lshl_add_u64 v[34:35], v[30:31], 0, s[42:43]
	v_lshl_add_u64 v[44:45], v[32:33], 0, s[42:43]
	global_load_ubyte v46, v[34:35], off
	global_load_ubyte v47, v[44:45], off
	s_add_u32 s44, s42, 1
	s_addc_u32 s45, s43, 0
	s_andn2_b64 s[40:41], s[40:41], exec
	s_waitcnt vmcnt(0)
	v_cmp_ne_u16_e32 vcc, v46, v47
	s_and_b64 s[46:47], vcc, exec
	s_or_b64 s[40:41], s[40:41], s[46:47]
.LBB222_145:                            ;   in Loop: Header=BB222_146 Depth=1
	s_and_b64 s[46:47], exec, s[40:41]
	s_or_b64 s[38:39], s[46:47], s[38:39]
	v_mov_b64_e32 v[34:35], s[42:43]
	s_mov_b64 s[42:43], s[44:45]
	s_andn2_b64 exec, exec, s[38:39]
	s_cbranch_execz .LBB222_148
.LBB222_146:                            ; =>This Inner Loop Header: Depth=1
	s_or_b64 s[40:41], s[40:41], exec
	s_cmp_eq_u64 s[26:27], s[42:43]
	s_cbranch_scc0 .LBB222_144
; %bb.147:                              ;   in Loop: Header=BB222_146 Depth=1
                                        ; implicit-def: $sgpr44_sgpr45
	s_mov_b64 s[42:43], s[26:27]
	s_branch .LBB222_145
.LBB222_148:
	s_or_b64 exec, exec, s[38:39]
	v_cmp_gt_i64_e32 vcc, s[26:27], v[34:35]
	s_orn2_b64 s[38:39], vcc, exec
.LBB222_149:
	s_or_b64 exec, exec, s[18:19]
.LBB222_150:
	s_and_b64 s[18:19], s[38:39], exec
.LBB222_151:
	s_or_b64 exec, exec, s[36:37]
	v_cmp_gt_u32_e32 vcc, s3, v38
	s_mov_b64 s[36:37], 0
	s_mov_b64 s[38:39], 0
	s_and_saveexec_b64 s[40:41], vcc
	s_cbranch_execz .LBB222_162
; %bb.152:
	s_and_b64 vcc, exec, s[4:5]
	s_mov_b64 s[42:43], 0
	s_cbranch_vccnz .LBB222_161
; %bb.153:
	v_mov_b64_e32 v[32:33], s[28:29]
	v_mad_u64_u32 v[30:31], s[38:39], v24, s26, v[32:33]
	v_mul_lo_u32 v34, v24, s27
	v_mul_lo_u32 v35, v25, s26
	v_add3_u32 v31, v35, v31, v34
	v_mad_u64_u32 v[32:33], s[38:39], v18, s26, v[32:33]
	v_mul_lo_u32 v34, v18, s27
	v_mul_lo_u32 v35, v19, s26
	v_add3_u32 v33, v35, v33, v34
	global_load_ubyte v34, v[30:31], off
	global_load_ubyte v35, v[32:33], off
	s_mov_b64 s[42:43], -1
	s_waitcnt vmcnt(0)
	v_cmp_eq_u16_e32 vcc, v34, v35
	s_and_saveexec_b64 s[38:39], vcc
	s_cbranch_execz .LBB222_160
; %bb.154:
	s_mov_b64 s[46:47], 1
	s_mov_b64 s[42:43], 0
                                        ; implicit-def: $sgpr44_sgpr45
	s_branch .LBB222_157
.LBB222_155:                            ;   in Loop: Header=BB222_157 Depth=1
	v_lshl_add_u64 v[34:35], v[30:31], 0, s[46:47]
	v_lshl_add_u64 v[44:45], v[32:33], 0, s[46:47]
	global_load_ubyte v46, v[34:35], off
	global_load_ubyte v47, v[44:45], off
	s_add_u32 s48, s46, 1
	s_addc_u32 s49, s47, 0
	s_andn2_b64 s[44:45], s[44:45], exec
	s_waitcnt vmcnt(0)
	v_cmp_ne_u16_e32 vcc, v46, v47
	s_and_b64 s[50:51], vcc, exec
	s_or_b64 s[44:45], s[44:45], s[50:51]
.LBB222_156:                            ;   in Loop: Header=BB222_157 Depth=1
	s_and_b64 s[50:51], exec, s[44:45]
	s_or_b64 s[42:43], s[50:51], s[42:43]
	v_mov_b64_e32 v[34:35], s[46:47]
	s_mov_b64 s[46:47], s[48:49]
	s_andn2_b64 exec, exec, s[42:43]
	s_cbranch_execz .LBB222_159
.LBB222_157:                            ; =>This Inner Loop Header: Depth=1
	s_or_b64 s[44:45], s[44:45], exec
	s_cmp_eq_u64 s[26:27], s[46:47]
	s_cbranch_scc0 .LBB222_155
; %bb.158:                              ;   in Loop: Header=BB222_157 Depth=1
                                        ; implicit-def: $sgpr48_sgpr49
	s_mov_b64 s[46:47], s[26:27]
	s_branch .LBB222_156
.LBB222_159:
	s_or_b64 exec, exec, s[42:43]
	v_cmp_gt_i64_e32 vcc, s[26:27], v[34:35]
	s_orn2_b64 s[42:43], vcc, exec
.LBB222_160:
	s_or_b64 exec, exec, s[38:39]
.LBB222_161:
	s_and_b64 s[38:39], s[42:43], exec
.LBB222_162:
	s_or_b64 exec, exec, s[40:41]
	v_cmp_gt_u32_e32 vcc, s3, v41
	s_and_saveexec_b64 s[40:41], vcc
	s_cbranch_execz .LBB222_173
; %bb.163:
	s_and_b64 vcc, exec, s[4:5]
	s_mov_b64 s[42:43], 0
	s_cbranch_vccnz .LBB222_172
; %bb.164:
	v_mov_b64_e32 v[32:33], s[28:29]
	v_mad_u64_u32 v[30:31], s[36:37], v22, s26, v[32:33]
	v_mul_lo_u32 v34, v22, s27
	v_mul_lo_u32 v35, v23, s26
	v_add3_u32 v31, v35, v31, v34
	v_mad_u64_u32 v[32:33], s[36:37], v24, s26, v[32:33]
	v_mul_lo_u32 v34, v24, s27
	v_mul_lo_u32 v35, v25, s26
	v_add3_u32 v33, v35, v33, v34
	global_load_ubyte v34, v[30:31], off
	global_load_ubyte v35, v[32:33], off
	s_mov_b64 s[42:43], -1
	s_waitcnt vmcnt(0)
	v_cmp_eq_u16_e32 vcc, v34, v35
	s_and_saveexec_b64 s[36:37], vcc
	s_cbranch_execz .LBB222_171
; %bb.165:
	s_mov_b64 s[46:47], 1
	s_mov_b64 s[42:43], 0
                                        ; implicit-def: $sgpr44_sgpr45
	s_branch .LBB222_168
.LBB222_166:                            ;   in Loop: Header=BB222_168 Depth=1
	v_lshl_add_u64 v[34:35], v[30:31], 0, s[46:47]
	v_lshl_add_u64 v[44:45], v[32:33], 0, s[46:47]
	global_load_ubyte v46, v[34:35], off
	global_load_ubyte v47, v[44:45], off
	s_add_u32 s48, s46, 1
	s_addc_u32 s49, s47, 0
	s_andn2_b64 s[44:45], s[44:45], exec
	s_waitcnt vmcnt(0)
	v_cmp_ne_u16_e32 vcc, v46, v47
	s_and_b64 s[50:51], vcc, exec
	s_or_b64 s[44:45], s[44:45], s[50:51]
.LBB222_167:                            ;   in Loop: Header=BB222_168 Depth=1
	s_and_b64 s[50:51], exec, s[44:45]
	s_or_b64 s[42:43], s[50:51], s[42:43]
	v_mov_b64_e32 v[34:35], s[46:47]
	s_mov_b64 s[46:47], s[48:49]
	s_andn2_b64 exec, exec, s[42:43]
	s_cbranch_execz .LBB222_170
.LBB222_168:                            ; =>This Inner Loop Header: Depth=1
	s_or_b64 s[44:45], s[44:45], exec
	s_cmp_eq_u64 s[26:27], s[46:47]
	s_cbranch_scc0 .LBB222_166
; %bb.169:                              ;   in Loop: Header=BB222_168 Depth=1
                                        ; implicit-def: $sgpr48_sgpr49
	s_mov_b64 s[46:47], s[26:27]
	s_branch .LBB222_167
.LBB222_170:
	s_or_b64 exec, exec, s[42:43]
	v_cmp_gt_i64_e32 vcc, s[26:27], v[34:35]
	s_orn2_b64 s[42:43], vcc, exec
.LBB222_171:
	s_or_b64 exec, exec, s[36:37]
.LBB222_172:
	s_and_b64 s[36:37], s[42:43], exec
.LBB222_173:
	s_or_b64 exec, exec, s[40:41]
	v_cmp_ne_u32_e32 vcc, 0, v0
	s_waitcnt lgkmcnt(0)
	v_mov_b64_e32 v[32:33], s[6:7]
	s_barrier
	s_and_saveexec_b64 s[6:7], vcc
	s_cbranch_execz .LBB222_175
; %bb.174:
	v_add_u32_e32 v30, -8, v37
	ds_read_b64 v[32:33], v30
.LBB222_175:
	s_or_b64 exec, exec, s[6:7]
	v_cndmask_b32_e64 v31, 0, 1, s[18:19]
	v_cndmask_b32_e64 v30, 0, 1, s[38:39]
	;; [unrolled: 1-line block ×3, first 2 shown]
	v_lshlrev_b16_e32 v31, 8, v31
	v_cmp_gt_u32_e32 vcc, s3, v1
	v_lshlrev_b16_e32 v37, 8, v34
	v_or_b32_sdwa v44, v30, v31 dst_sel:WORD_1 dst_unused:UNUSED_PAD src0_sel:DWORD src1_sel:DWORD
	s_mov_b64 s[18:19], 0
	s_and_saveexec_b64 s[6:7], vcc
	s_cbranch_execz .LBB222_186
; %bb.176:
	s_and_b64 vcc, exec, s[4:5]
	s_cbranch_vccnz .LBB222_185
; %bb.177:
	v_mov_b64_e32 v[34:35], s[28:29]
	s_waitcnt lgkmcnt(0)
	v_mad_u64_u32 v[30:31], s[4:5], v32, s26, v[34:35]
	v_mul_lo_u32 v32, v32, s27
	v_mul_lo_u32 v33, v33, s26
	v_add3_u32 v31, v33, v31, v32
	v_mad_u64_u32 v[32:33], s[4:5], v22, s26, v[34:35]
	v_mul_lo_u32 v34, v22, s27
	v_mul_lo_u32 v35, v23, s26
	v_add3_u32 v33, v35, v33, v34
	global_load_ubyte v34, v[30:31], off
	global_load_ubyte v35, v[32:33], off
	s_mov_b64 s[18:19], -1
	s_waitcnt vmcnt(0)
	v_cmp_eq_u16_e32 vcc, v34, v35
	s_and_saveexec_b64 s[4:5], vcc
	s_cbranch_execz .LBB222_184
; %bb.178:
	s_mov_b64 s[38:39], 1
	s_mov_b64 s[18:19], 0
                                        ; implicit-def: $sgpr36_sgpr37
	s_branch .LBB222_181
.LBB222_179:                            ;   in Loop: Header=BB222_181 Depth=1
	v_lshl_add_u64 v[34:35], v[30:31], 0, s[38:39]
	v_lshl_add_u64 v[46:47], v[32:33], 0, s[38:39]
	global_load_ubyte v45, v[34:35], off
	global_load_ubyte v48, v[46:47], off
	s_add_u32 s40, s38, 1
	s_addc_u32 s41, s39, 0
	s_andn2_b64 s[36:37], s[36:37], exec
	s_waitcnt vmcnt(0)
	v_cmp_ne_u16_e32 vcc, v45, v48
	s_and_b64 s[42:43], vcc, exec
	s_or_b64 s[36:37], s[36:37], s[42:43]
.LBB222_180:                            ;   in Loop: Header=BB222_181 Depth=1
	s_and_b64 s[42:43], exec, s[36:37]
	s_or_b64 s[18:19], s[42:43], s[18:19]
	v_mov_b64_e32 v[34:35], s[38:39]
	s_mov_b64 s[38:39], s[40:41]
	s_andn2_b64 exec, exec, s[18:19]
	s_cbranch_execz .LBB222_183
.LBB222_181:                            ; =>This Inner Loop Header: Depth=1
	s_or_b64 s[36:37], s[36:37], exec
	s_cmp_eq_u64 s[26:27], s[38:39]
	s_cbranch_scc0 .LBB222_179
; %bb.182:                              ;   in Loop: Header=BB222_181 Depth=1
                                        ; implicit-def: $sgpr40_sgpr41
	s_mov_b64 s[38:39], s[26:27]
	s_branch .LBB222_180
.LBB222_183:
	s_or_b64 exec, exec, s[18:19]
	v_cmp_gt_i64_e32 vcc, s[26:27], v[34:35]
	s_orn2_b64 s[18:19], vcc, exec
.LBB222_184:
	s_or_b64 exec, exec, s[4:5]
.LBB222_185:
	s_and_b64 s[18:19], s[18:19], exec
.LBB222_186:
	s_or_b64 exec, exec, s[6:7]
	v_cndmask_b32_e64 v45, 0, 1, s[14:15]
	v_cndmask_b32_e64 v46, 0, 1, s[12:13]
	;; [unrolled: 1-line block ×3, first 2 shown]
	v_or_b32_e32 v34, v37, v44
.LBB222_187:
	s_mov_b64 s[10:11], -1
	s_cbranch_execnz .LBB222_46
.LBB222_188:
	s_movk_i32 s4, 0xffd0
	v_mad_i32_i24 v44, v0, s4, v36
	s_mov_b64 s[12:13], 0
	s_waitcnt lgkmcnt(0)
	v_cmp_gt_i64_e64 s[6:7], s[26:27], 0
	s_and_b64 vcc, exec, s[34:35]
	ds_write_b64 v44, v[28:29]
	s_cbranch_vccz .LBB222_196
; %bb.189:
	v_mul_lo_u32 v32, v17, s26
	v_mul_lo_u32 v33, v16, s27
	v_mad_u64_u32 v[30:31], s[4:5], v16, s26, 0
	v_add3_u32 v31, v31, v33, v32
	v_cndmask_b32_e64 v32, 0, 1, s[6:7]
	v_cmp_ne_u32_e64 s[4:5], 1, v32
	s_andn2_b64 vcc, exec, s[6:7]
	v_lshl_add_u64 v[30:31], s[28:29], 0, v[30:31]
	s_cbranch_vccnz .LBB222_199
; %bb.190:
	v_mov_b64_e32 v[32:33], s[28:29]
	v_mad_u64_u32 v[32:33], s[12:13], v28, s26, v[32:33]
	v_mul_lo_u32 v34, v28, s27
	v_mul_lo_u32 v35, v29, s26
	v_add3_u32 v33, v35, v33, v34
	global_load_ubyte v34, v[30:31], off
	global_load_ubyte v35, v[32:33], off
	s_mov_b64 s[12:13], -1
	s_waitcnt vmcnt(0)
	v_cmp_eq_u16_e32 vcc, v34, v35
	s_and_saveexec_b64 s[14:15], vcc
	s_cbranch_execz .LBB222_198
; %bb.191:
	s_mov_b64 s[36:37], 1
	s_mov_b64 s[12:13], 0
                                        ; implicit-def: $sgpr18_sgpr19
	s_branch .LBB222_194
.LBB222_192:                            ;   in Loop: Header=BB222_194 Depth=1
	v_lshl_add_u64 v[34:35], v[30:31], 0, s[36:37]
	v_lshl_add_u64 v[36:37], v[32:33], 0, s[36:37]
	global_load_ubyte v45, v[34:35], off
	global_load_ubyte v46, v[36:37], off
	s_add_u32 s38, s36, 1
	s_addc_u32 s39, s37, 0
	s_andn2_b64 s[18:19], s[18:19], exec
	s_waitcnt vmcnt(0)
	v_cmp_ne_u16_e32 vcc, v45, v46
	s_and_b64 s[40:41], vcc, exec
	s_or_b64 s[18:19], s[18:19], s[40:41]
.LBB222_193:                            ;   in Loop: Header=BB222_194 Depth=1
	s_and_b64 s[40:41], exec, s[18:19]
	s_or_b64 s[12:13], s[40:41], s[12:13]
	v_mov_b64_e32 v[34:35], s[36:37]
	s_mov_b64 s[36:37], s[38:39]
	s_andn2_b64 exec, exec, s[12:13]
	s_cbranch_execz .LBB222_197
.LBB222_194:                            ; =>This Inner Loop Header: Depth=1
	s_or_b64 s[18:19], s[18:19], exec
	s_cmp_eq_u64 s[26:27], s[36:37]
	s_cbranch_scc0 .LBB222_192
; %bb.195:                              ;   in Loop: Header=BB222_194 Depth=1
                                        ; implicit-def: $sgpr38_sgpr39
	s_mov_b64 s[36:37], s[26:27]
	s_branch .LBB222_193
.LBB222_196:
                                        ; implicit-def: $sgpr18_sgpr19
                                        ; implicit-def: $vgpr47
                                        ; implicit-def: $vgpr46
                                        ; implicit-def: $vgpr45
                                        ; implicit-def: $vgpr34
                                        ; implicit-def: $vgpr30_vgpr31
	s_cbranch_execnz .LBB222_256
	s_branch .LBB222_336
.LBB222_197:
	s_or_b64 exec, exec, s[12:13]
	v_cmp_gt_i64_e32 vcc, s[26:27], v[34:35]
	s_orn2_b64 s[12:13], vcc, exec
.LBB222_198:
	s_or_b64 exec, exec, s[14:15]
.LBB222_199:
	v_mul_lo_u32 v34, v15, s26
	v_mul_lo_u32 v35, v14, s27
	v_mad_u64_u32 v[32:33], s[14:15], v14, s26, 0
	v_add3_u32 v33, v33, v35, v34
	s_mov_b64 s[14:15], 0
	s_and_b64 vcc, exec, s[4:5]
	v_lshl_add_u64 v[32:33], s[28:29], 0, v[32:33]
	s_mov_b64 s[18:19], 0
	s_cbranch_vccnz .LBB222_208
; %bb.200:
	global_load_ubyte v34, v[32:33], off
	global_load_ubyte v35, v[30:31], off
	s_mov_b64 s[18:19], -1
	s_waitcnt vmcnt(0)
	v_cmp_eq_u16_e32 vcc, v34, v35
	s_and_saveexec_b64 s[36:37], vcc
	s_cbranch_execz .LBB222_207
; %bb.201:
	s_mov_b64 s[40:41], 1
	s_mov_b64 s[18:19], 0
                                        ; implicit-def: $sgpr38_sgpr39
	s_branch .LBB222_204
.LBB222_202:                            ;   in Loop: Header=BB222_204 Depth=1
	v_lshl_add_u64 v[34:35], v[32:33], 0, s[40:41]
	v_lshl_add_u64 v[36:37], v[30:31], 0, s[40:41]
	global_load_ubyte v45, v[34:35], off
	global_load_ubyte v46, v[36:37], off
	s_add_u32 s42, s40, 1
	s_addc_u32 s43, s41, 0
	s_andn2_b64 s[38:39], s[38:39], exec
	s_waitcnt vmcnt(0)
	v_cmp_ne_u16_e32 vcc, v45, v46
	s_and_b64 s[44:45], vcc, exec
	s_or_b64 s[38:39], s[38:39], s[44:45]
.LBB222_203:                            ;   in Loop: Header=BB222_204 Depth=1
	s_and_b64 s[44:45], exec, s[38:39]
	s_or_b64 s[18:19], s[44:45], s[18:19]
	v_mov_b64_e32 v[34:35], s[40:41]
	s_mov_b64 s[40:41], s[42:43]
	s_andn2_b64 exec, exec, s[18:19]
	s_cbranch_execz .LBB222_206
.LBB222_204:                            ; =>This Inner Loop Header: Depth=1
	s_or_b64 s[38:39], s[38:39], exec
	s_cmp_eq_u64 s[26:27], s[40:41]
	s_cbranch_scc0 .LBB222_202
; %bb.205:                              ;   in Loop: Header=BB222_204 Depth=1
                                        ; implicit-def: $sgpr42_sgpr43
	s_mov_b64 s[40:41], s[26:27]
	s_branch .LBB222_203
.LBB222_206:
	s_or_b64 exec, exec, s[18:19]
	v_cmp_gt_i64_e32 vcc, s[26:27], v[34:35]
	s_orn2_b64 s[18:19], vcc, exec
.LBB222_207:
	s_or_b64 exec, exec, s[36:37]
.LBB222_208:
	v_mul_lo_u32 v34, v21, s26
	v_mul_lo_u32 v35, v20, s27
	v_mad_u64_u32 v[30:31], s[36:37], v20, s26, 0
	v_add3_u32 v31, v31, v35, v34
	s_and_b64 vcc, exec, s[4:5]
	v_lshl_add_u64 v[30:31], s[28:29], 0, v[30:31]
	s_cbranch_vccnz .LBB222_217
; %bb.209:
	global_load_ubyte v34, v[30:31], off
	global_load_ubyte v35, v[32:33], off
	s_mov_b64 s[14:15], -1
	s_waitcnt vmcnt(0)
	v_cmp_eq_u16_e32 vcc, v34, v35
	s_and_saveexec_b64 s[36:37], vcc
	s_cbranch_execz .LBB222_216
; %bb.210:
	s_mov_b64 s[40:41], 1
	s_mov_b64 s[14:15], 0
                                        ; implicit-def: $sgpr38_sgpr39
	s_branch .LBB222_213
.LBB222_211:                            ;   in Loop: Header=BB222_213 Depth=1
	v_lshl_add_u64 v[34:35], v[30:31], 0, s[40:41]
	v_lshl_add_u64 v[36:37], v[32:33], 0, s[40:41]
	global_load_ubyte v45, v[34:35], off
	global_load_ubyte v46, v[36:37], off
	s_add_u32 s42, s40, 1
	s_addc_u32 s43, s41, 0
	s_andn2_b64 s[38:39], s[38:39], exec
	s_waitcnt vmcnt(0)
	v_cmp_ne_u16_e32 vcc, v45, v46
	s_and_b64 s[44:45], vcc, exec
	s_or_b64 s[38:39], s[38:39], s[44:45]
.LBB222_212:                            ;   in Loop: Header=BB222_213 Depth=1
	s_and_b64 s[44:45], exec, s[38:39]
	s_or_b64 s[14:15], s[44:45], s[14:15]
	v_mov_b64_e32 v[34:35], s[40:41]
	s_mov_b64 s[40:41], s[42:43]
	s_andn2_b64 exec, exec, s[14:15]
	s_cbranch_execz .LBB222_215
.LBB222_213:                            ; =>This Inner Loop Header: Depth=1
	s_or_b64 s[38:39], s[38:39], exec
	s_cmp_eq_u64 s[26:27], s[40:41]
	s_cbranch_scc0 .LBB222_211
; %bb.214:                              ;   in Loop: Header=BB222_213 Depth=1
                                        ; implicit-def: $sgpr42_sgpr43
	s_mov_b64 s[40:41], s[26:27]
	s_branch .LBB222_212
.LBB222_215:
	s_or_b64 exec, exec, s[14:15]
	v_cmp_gt_i64_e32 vcc, s[26:27], v[34:35]
	s_orn2_b64 s[14:15], vcc, exec
.LBB222_216:
	s_or_b64 exec, exec, s[36:37]
.LBB222_217:
	v_mul_lo_u32 v34, v19, s26
	v_mul_lo_u32 v35, v18, s27
	v_mad_u64_u32 v[32:33], s[36:37], v18, s26, 0
	v_add3_u32 v33, v33, v35, v34
	s_mov_b64 s[36:37], 0
	s_and_b64 vcc, exec, s[4:5]
	v_lshl_add_u64 v[32:33], s[28:29], 0, v[32:33]
	s_mov_b64 s[38:39], 0
	s_cbranch_vccnz .LBB222_226
; %bb.218:
	global_load_ubyte v34, v[32:33], off
	global_load_ubyte v35, v[30:31], off
	s_mov_b64 s[38:39], -1
	s_waitcnt vmcnt(0)
	v_cmp_eq_u16_e32 vcc, v34, v35
	s_and_saveexec_b64 s[40:41], vcc
	s_cbranch_execz .LBB222_225
; %bb.219:
	s_mov_b64 s[44:45], 1
	s_mov_b64 s[38:39], 0
                                        ; implicit-def: $sgpr42_sgpr43
	s_branch .LBB222_222
.LBB222_220:                            ;   in Loop: Header=BB222_222 Depth=1
	v_lshl_add_u64 v[34:35], v[32:33], 0, s[44:45]
	v_lshl_add_u64 v[36:37], v[30:31], 0, s[44:45]
	global_load_ubyte v45, v[34:35], off
	global_load_ubyte v46, v[36:37], off
	s_add_u32 s46, s44, 1
	s_addc_u32 s47, s45, 0
	s_andn2_b64 s[42:43], s[42:43], exec
	s_waitcnt vmcnt(0)
	v_cmp_ne_u16_e32 vcc, v45, v46
	s_and_b64 s[48:49], vcc, exec
	s_or_b64 s[42:43], s[42:43], s[48:49]
.LBB222_221:                            ;   in Loop: Header=BB222_222 Depth=1
	s_and_b64 s[48:49], exec, s[42:43]
	s_or_b64 s[38:39], s[48:49], s[38:39]
	v_mov_b64_e32 v[34:35], s[44:45]
	s_mov_b64 s[44:45], s[46:47]
	s_andn2_b64 exec, exec, s[38:39]
	s_cbranch_execz .LBB222_224
.LBB222_222:                            ; =>This Inner Loop Header: Depth=1
	s_or_b64 s[42:43], s[42:43], exec
	s_cmp_eq_u64 s[26:27], s[44:45]
	s_cbranch_scc0 .LBB222_220
; %bb.223:                              ;   in Loop: Header=BB222_222 Depth=1
                                        ; implicit-def: $sgpr46_sgpr47
	s_mov_b64 s[44:45], s[26:27]
	s_branch .LBB222_221
.LBB222_224:
	s_or_b64 exec, exec, s[38:39]
	v_cmp_gt_i64_e32 vcc, s[26:27], v[34:35]
	s_orn2_b64 s[38:39], vcc, exec
.LBB222_225:
	s_or_b64 exec, exec, s[40:41]
.LBB222_226:
	v_mul_lo_u32 v34, v25, s26
	v_mul_lo_u32 v35, v24, s27
	v_mad_u64_u32 v[30:31], s[40:41], v24, s26, 0
	v_add3_u32 v31, v31, v35, v34
	s_and_b64 vcc, exec, s[4:5]
	v_lshl_add_u64 v[30:31], s[28:29], 0, v[30:31]
	s_cbranch_vccnz .LBB222_235
; %bb.227:
	global_load_ubyte v34, v[30:31], off
	global_load_ubyte v35, v[32:33], off
	s_mov_b64 s[36:37], -1
	s_waitcnt vmcnt(0)
	v_cmp_eq_u16_e32 vcc, v34, v35
	s_and_saveexec_b64 s[40:41], vcc
	s_cbranch_execz .LBB222_234
; %bb.228:
	s_mov_b64 s[44:45], 1
	s_mov_b64 s[36:37], 0
                                        ; implicit-def: $sgpr42_sgpr43
	s_branch .LBB222_231
.LBB222_229:                            ;   in Loop: Header=BB222_231 Depth=1
	v_lshl_add_u64 v[34:35], v[30:31], 0, s[44:45]
	v_lshl_add_u64 v[36:37], v[32:33], 0, s[44:45]
	global_load_ubyte v45, v[34:35], off
	global_load_ubyte v46, v[36:37], off
	s_add_u32 s46, s44, 1
	s_addc_u32 s47, s45, 0
	s_andn2_b64 s[42:43], s[42:43], exec
	s_waitcnt vmcnt(0)
	v_cmp_ne_u16_e32 vcc, v45, v46
	s_and_b64 s[48:49], vcc, exec
	s_or_b64 s[42:43], s[42:43], s[48:49]
.LBB222_230:                            ;   in Loop: Header=BB222_231 Depth=1
	s_and_b64 s[48:49], exec, s[42:43]
	s_or_b64 s[36:37], s[48:49], s[36:37]
	v_mov_b64_e32 v[34:35], s[44:45]
	s_mov_b64 s[44:45], s[46:47]
	s_andn2_b64 exec, exec, s[36:37]
	s_cbranch_execz .LBB222_233
.LBB222_231:                            ; =>This Inner Loop Header: Depth=1
	s_or_b64 s[42:43], s[42:43], exec
	s_cmp_eq_u64 s[26:27], s[44:45]
	s_cbranch_scc0 .LBB222_229
; %bb.232:                              ;   in Loop: Header=BB222_231 Depth=1
                                        ; implicit-def: $sgpr46_sgpr47
	s_mov_b64 s[44:45], s[26:27]
	s_branch .LBB222_230
.LBB222_233:
	s_or_b64 exec, exec, s[36:37]
	v_cmp_gt_i64_e32 vcc, s[26:27], v[34:35]
	s_orn2_b64 s[36:37], vcc, exec
.LBB222_234:
	s_or_b64 exec, exec, s[40:41]
.LBB222_235:
	v_mul_lo_u32 v34, v23, s26
	v_mul_lo_u32 v35, v22, s27
	v_mad_u64_u32 v[32:33], s[40:41], v22, s26, 0
	v_add3_u32 v33, v33, v35, v34
	s_and_b64 vcc, exec, s[4:5]
	s_mov_b64 s[42:43], 0
	s_cbranch_vccnz .LBB222_244
; %bb.236:
	v_lshl_add_u64 v[34:35], s[28:29], 0, v[32:33]
	global_load_ubyte v36, v[34:35], off
	global_load_ubyte v37, v[30:31], off
	s_mov_b64 s[42:43], -1
	s_waitcnt vmcnt(0)
	v_cmp_eq_u16_e32 vcc, v36, v37
	s_and_saveexec_b64 s[40:41], vcc
	s_cbranch_execz .LBB222_243
; %bb.237:
	s_mov_b64 s[46:47], 1
	s_mov_b64 s[42:43], 0
                                        ; implicit-def: $sgpr44_sgpr45
	s_branch .LBB222_240
.LBB222_238:                            ;   in Loop: Header=BB222_240 Depth=1
	v_lshl_add_u64 v[36:37], v[34:35], 0, s[46:47]
	v_lshl_add_u64 v[46:47], v[30:31], 0, s[46:47]
	global_load_ubyte v45, v[36:37], off
	global_load_ubyte v48, v[46:47], off
	s_add_u32 s48, s46, 1
	s_addc_u32 s49, s47, 0
	s_andn2_b64 s[44:45], s[44:45], exec
	s_waitcnt vmcnt(0)
	v_cmp_ne_u16_e32 vcc, v45, v48
	s_and_b64 s[50:51], vcc, exec
	s_or_b64 s[44:45], s[44:45], s[50:51]
.LBB222_239:                            ;   in Loop: Header=BB222_240 Depth=1
	s_and_b64 s[50:51], exec, s[44:45]
	s_or_b64 s[42:43], s[50:51], s[42:43]
	v_mov_b64_e32 v[36:37], s[46:47]
	s_mov_b64 s[46:47], s[48:49]
	s_andn2_b64 exec, exec, s[42:43]
	s_cbranch_execz .LBB222_242
.LBB222_240:                            ; =>This Inner Loop Header: Depth=1
	s_or_b64 s[44:45], s[44:45], exec
	s_cmp_eq_u64 s[26:27], s[46:47]
	s_cbranch_scc0 .LBB222_238
; %bb.241:                              ;   in Loop: Header=BB222_240 Depth=1
                                        ; implicit-def: $sgpr48_sgpr49
	s_mov_b64 s[46:47], s[26:27]
	s_branch .LBB222_239
.LBB222_242:
	s_or_b64 exec, exec, s[42:43]
	v_cmp_gt_i64_e32 vcc, s[26:27], v[36:37]
	s_orn2_b64 s[42:43], vcc, exec
.LBB222_243:
	s_or_b64 exec, exec, s[40:41]
.LBB222_244:
	v_cndmask_b32_e64 v31, 0, 1, s[38:39]
	v_cndmask_b32_e64 v30, 0, 1, s[36:37]
	;; [unrolled: 1-line block ×3, first 2 shown]
	v_lshlrev_b16_e32 v31, 8, v31
	v_cndmask_b32_e64 v45, 0, 1, s[14:15]
	v_cndmask_b32_e64 v34, 0, 1, s[42:43]
	v_or_b32_sdwa v30, v30, v31 dst_sel:WORD_1 dst_unused:UNUSED_PAD src0_sel:DWORD src1_sel:DWORD
	v_lshlrev_b16_e32 v31, 8, v46
	v_lshlrev_b16_e32 v34, 8, v34
	v_or_b32_e32 v31, v45, v31
	v_or_b32_e32 v34, 1, v34
	v_and_b32_e32 v31, 0xffff, v31
	v_cndmask_b32_e64 v47, 0, 1, s[12:13]
	v_or_b32_sdwa v30, v34, v30 dst_sel:DWORD dst_unused:UNUSED_PAD src0_sel:WORD_0 src1_sel:DWORD
	v_lshl_or_b32 v31, v47, 16, v31
	v_cmp_ne_u32_e32 vcc, 0, v0
	s_waitcnt lgkmcnt(0)
	s_barrier
	s_waitcnt lgkmcnt(0)
                                        ; implicit-def: $sgpr18_sgpr19
                                        ; implicit-def: $vgpr34
	s_and_saveexec_b64 s[12:13], vcc
	s_xor_b64 s[12:13], exec, s[12:13]
	s_cbranch_execz .LBB222_255
; %bb.245:
	s_mov_b32 s33, 0x3020104
	s_and_b64 vcc, exec, s[4:5]
	s_mov_b64 s[14:15], 0
	s_cbranch_vccnz .LBB222_254
; %bb.246:
	v_add_u32_e32 v31, -8, v44
	ds_read_b64 v[34:35], v31
	v_mov_b64_e32 v[36:37], s[28:29]
	v_lshl_add_u64 v[32:33], s[28:29], 0, v[32:33]
	s_mov_b64 s[14:15], -1
	s_waitcnt lgkmcnt(0)
	v_mul_lo_u32 v31, v34, s27
	v_mul_lo_u32 v48, v35, s26
	v_mad_u64_u32 v[34:35], s[4:5], v34, s26, v[36:37]
	v_add3_u32 v35, v48, v35, v31
	global_load_ubyte v31, v[32:33], off
	global_load_ubyte v36, v[34:35], off
	s_waitcnt vmcnt(0)
	v_cmp_eq_u16_e32 vcc, v36, v31
	s_and_saveexec_b64 s[4:5], vcc
	s_cbranch_execz .LBB222_253
; %bb.247:
	s_mov_b64 s[36:37], 1
	s_mov_b64 s[14:15], 0
                                        ; implicit-def: $sgpr18_sgpr19
	s_branch .LBB222_250
.LBB222_248:                            ;   in Loop: Header=BB222_250 Depth=1
	v_lshl_add_u64 v[36:37], v[34:35], 0, s[36:37]
	v_lshl_add_u64 v[48:49], v[32:33], 0, s[36:37]
	global_load_ubyte v31, v[36:37], off
	global_load_ubyte v50, v[48:49], off
	s_add_u32 s38, s36, 1
	s_addc_u32 s39, s37, 0
	s_andn2_b64 s[18:19], s[18:19], exec
	s_waitcnt vmcnt(0)
	v_cmp_ne_u16_e32 vcc, v31, v50
	s_and_b64 s[40:41], vcc, exec
	s_or_b64 s[18:19], s[18:19], s[40:41]
.LBB222_249:                            ;   in Loop: Header=BB222_250 Depth=1
	s_and_b64 s[40:41], exec, s[18:19]
	s_or_b64 s[14:15], s[40:41], s[14:15]
	v_mov_b64_e32 v[36:37], s[36:37]
	s_mov_b64 s[36:37], s[38:39]
	s_andn2_b64 exec, exec, s[14:15]
	s_cbranch_execz .LBB222_252
.LBB222_250:                            ; =>This Inner Loop Header: Depth=1
	s_or_b64 s[18:19], s[18:19], exec
	s_cmp_eq_u64 s[26:27], s[36:37]
	s_cbranch_scc0 .LBB222_248
; %bb.251:                              ;   in Loop: Header=BB222_250 Depth=1
                                        ; implicit-def: $sgpr38_sgpr39
	s_mov_b64 s[36:37], s[26:27]
	s_branch .LBB222_249
.LBB222_252:
	s_or_b64 exec, exec, s[14:15]
	v_cmp_gt_i64_e32 vcc, s[26:27], v[36:37]
	s_orn2_b64 s[14:15], vcc, exec
.LBB222_253:
	s_or_b64 exec, exec, s[4:5]
.LBB222_254:
	v_perm_b32 v34, v30, v30, s33
	s_and_b64 s[18:19], s[14:15], exec
	s_or_b64 s[10:11], s[10:11], exec
                                        ; implicit-def: $vgpr30_vgpr31
.LBB222_255:
	s_or_b64 exec, exec, s[12:13]
	s_branch .LBB222_336
.LBB222_256:
	v_cmp_gt_u32_e32 vcc, s3, v40
	s_mov_b64 s[12:13], 0
	s_mov_b64 s[4:5], 0
	s_and_saveexec_b64 s[14:15], vcc
	s_cbranch_execz .LBB222_267
; %bb.257:
	s_andn2_b64 vcc, exec, s[6:7]
	s_mov_b64 s[18:19], 0
	s_cbranch_vccnz .LBB222_266
; %bb.258:
	v_mov_b64_e32 v[32:33], s[28:29]
	v_mad_u64_u32 v[30:31], s[4:5], v16, s26, v[32:33]
	v_mul_lo_u32 v34, v16, s27
	v_mul_lo_u32 v35, v17, s26
	v_add3_u32 v31, v35, v31, v34
	v_mad_u64_u32 v[32:33], s[4:5], v28, s26, v[32:33]
	v_mul_lo_u32 v34, v28, s27
	v_mul_lo_u32 v35, v29, s26
	v_add3_u32 v33, v35, v33, v34
	global_load_ubyte v34, v[30:31], off
	global_load_ubyte v35, v[32:33], off
	s_mov_b64 s[18:19], -1
	s_waitcnt vmcnt(0)
	v_cmp_eq_u16_e32 vcc, v34, v35
	s_and_saveexec_b64 s[4:5], vcc
	s_cbranch_execz .LBB222_265
; %bb.259:
	s_mov_b64 s[38:39], 1
	s_mov_b64 s[18:19], 0
                                        ; implicit-def: $sgpr36_sgpr37
	s_branch .LBB222_262
.LBB222_260:                            ;   in Loop: Header=BB222_262 Depth=1
	v_lshl_add_u64 v[34:35], v[30:31], 0, s[38:39]
	v_lshl_add_u64 v[36:37], v[32:33], 0, s[38:39]
	global_load_ubyte v45, v[34:35], off
	global_load_ubyte v46, v[36:37], off
	s_add_u32 s40, s38, 1
	s_addc_u32 s41, s39, 0
	s_andn2_b64 s[36:37], s[36:37], exec
	s_waitcnt vmcnt(0)
	v_cmp_ne_u16_e32 vcc, v45, v46
	s_and_b64 s[42:43], vcc, exec
	s_or_b64 s[36:37], s[36:37], s[42:43]
.LBB222_261:                            ;   in Loop: Header=BB222_262 Depth=1
	s_and_b64 s[42:43], exec, s[36:37]
	s_or_b64 s[18:19], s[42:43], s[18:19]
	v_mov_b64_e32 v[34:35], s[38:39]
	s_mov_b64 s[38:39], s[40:41]
	s_andn2_b64 exec, exec, s[18:19]
	s_cbranch_execz .LBB222_264
.LBB222_262:                            ; =>This Inner Loop Header: Depth=1
	s_or_b64 s[36:37], s[36:37], exec
	s_cmp_eq_u64 s[26:27], s[38:39]
	s_cbranch_scc0 .LBB222_260
; %bb.263:                              ;   in Loop: Header=BB222_262 Depth=1
                                        ; implicit-def: $sgpr40_sgpr41
	s_mov_b64 s[38:39], s[26:27]
	s_branch .LBB222_261
.LBB222_264:
	s_or_b64 exec, exec, s[18:19]
	v_cmp_gt_i64_e32 vcc, s[26:27], v[34:35]
	s_orn2_b64 s[18:19], vcc, exec
.LBB222_265:
	s_or_b64 exec, exec, s[4:5]
.LBB222_266:
	s_and_b64 s[4:5], s[18:19], exec
.LBB222_267:
	s_or_b64 exec, exec, s[14:15]
	v_cmp_gt_u32_e32 vcc, s3, v43
	s_and_saveexec_b64 s[14:15], vcc
	s_cbranch_execz .LBB222_278
; %bb.268:
	s_andn2_b64 vcc, exec, s[6:7]
	s_mov_b64 s[18:19], 0
	s_cbranch_vccnz .LBB222_277
; %bb.269:
	v_mov_b64_e32 v[32:33], s[28:29]
	v_mad_u64_u32 v[30:31], s[12:13], v14, s26, v[32:33]
	v_mul_lo_u32 v34, v14, s27
	v_mul_lo_u32 v35, v15, s26
	v_add3_u32 v31, v35, v31, v34
	v_mad_u64_u32 v[32:33], s[12:13], v16, s26, v[32:33]
	v_mul_lo_u32 v34, v16, s27
	v_mul_lo_u32 v35, v17, s26
	v_add3_u32 v33, v35, v33, v34
	global_load_ubyte v34, v[30:31], off
	global_load_ubyte v35, v[32:33], off
	s_mov_b64 s[18:19], -1
	s_waitcnt vmcnt(0)
	v_cmp_eq_u16_e32 vcc, v34, v35
	s_and_saveexec_b64 s[12:13], vcc
	s_cbranch_execz .LBB222_276
; %bb.270:
	s_mov_b64 s[38:39], 1
	s_mov_b64 s[18:19], 0
                                        ; implicit-def: $sgpr36_sgpr37
	s_branch .LBB222_273
.LBB222_271:                            ;   in Loop: Header=BB222_273 Depth=1
	v_lshl_add_u64 v[34:35], v[30:31], 0, s[38:39]
	v_lshl_add_u64 v[36:37], v[32:33], 0, s[38:39]
	global_load_ubyte v45, v[34:35], off
	global_load_ubyte v46, v[36:37], off
	s_add_u32 s40, s38, 1
	s_addc_u32 s41, s39, 0
	s_andn2_b64 s[36:37], s[36:37], exec
	s_waitcnt vmcnt(0)
	v_cmp_ne_u16_e32 vcc, v45, v46
	s_and_b64 s[42:43], vcc, exec
	s_or_b64 s[36:37], s[36:37], s[42:43]
.LBB222_272:                            ;   in Loop: Header=BB222_273 Depth=1
	s_and_b64 s[42:43], exec, s[36:37]
	s_or_b64 s[18:19], s[42:43], s[18:19]
	v_mov_b64_e32 v[34:35], s[38:39]
	s_mov_b64 s[38:39], s[40:41]
	s_andn2_b64 exec, exec, s[18:19]
	s_cbranch_execz .LBB222_275
.LBB222_273:                            ; =>This Inner Loop Header: Depth=1
	s_or_b64 s[36:37], s[36:37], exec
	s_cmp_eq_u64 s[26:27], s[38:39]
	s_cbranch_scc0 .LBB222_271
; %bb.274:                              ;   in Loop: Header=BB222_273 Depth=1
                                        ; implicit-def: $sgpr40_sgpr41
	s_mov_b64 s[38:39], s[26:27]
	s_branch .LBB222_272
.LBB222_275:
	s_or_b64 exec, exec, s[18:19]
	v_cmp_gt_i64_e32 vcc, s[26:27], v[34:35]
	s_orn2_b64 s[18:19], vcc, exec
.LBB222_276:
	s_or_b64 exec, exec, s[12:13]
.LBB222_277:
	s_and_b64 s[12:13], s[18:19], exec
.LBB222_278:
	s_or_b64 exec, exec, s[14:15]
	v_cmp_gt_u32_e32 vcc, s3, v39
	s_mov_b64 s[18:19], 0
	s_mov_b64 s[14:15], 0
	s_and_saveexec_b64 s[36:37], vcc
	s_cbranch_execz .LBB222_289
; %bb.279:
	s_andn2_b64 vcc, exec, s[6:7]
	s_mov_b64 s[38:39], 0
	s_cbranch_vccnz .LBB222_288
; %bb.280:
	v_mov_b64_e32 v[32:33], s[28:29]
	v_mad_u64_u32 v[30:31], s[14:15], v20, s26, v[32:33]
	v_mul_lo_u32 v34, v20, s27
	v_mul_lo_u32 v35, v21, s26
	v_add3_u32 v31, v35, v31, v34
	v_mad_u64_u32 v[32:33], s[14:15], v14, s26, v[32:33]
	v_mul_lo_u32 v34, v14, s27
	v_mul_lo_u32 v35, v15, s26
	v_add3_u32 v33, v35, v33, v34
	global_load_ubyte v34, v[30:31], off
	global_load_ubyte v35, v[32:33], off
	s_mov_b64 s[38:39], -1
	s_waitcnt vmcnt(0)
	v_cmp_eq_u16_e32 vcc, v34, v35
	s_and_saveexec_b64 s[14:15], vcc
	s_cbranch_execz .LBB222_287
; %bb.281:
	s_mov_b64 s[42:43], 1
	s_mov_b64 s[38:39], 0
                                        ; implicit-def: $sgpr40_sgpr41
	s_branch .LBB222_284
.LBB222_282:                            ;   in Loop: Header=BB222_284 Depth=1
	v_lshl_add_u64 v[34:35], v[30:31], 0, s[42:43]
	v_lshl_add_u64 v[36:37], v[32:33], 0, s[42:43]
	global_load_ubyte v45, v[34:35], off
	global_load_ubyte v46, v[36:37], off
	s_add_u32 s44, s42, 1
	s_addc_u32 s45, s43, 0
	s_andn2_b64 s[40:41], s[40:41], exec
	s_waitcnt vmcnt(0)
	v_cmp_ne_u16_e32 vcc, v45, v46
	s_and_b64 s[46:47], vcc, exec
	s_or_b64 s[40:41], s[40:41], s[46:47]
.LBB222_283:                            ;   in Loop: Header=BB222_284 Depth=1
	s_and_b64 s[46:47], exec, s[40:41]
	s_or_b64 s[38:39], s[46:47], s[38:39]
	v_mov_b64_e32 v[34:35], s[42:43]
	s_mov_b64 s[42:43], s[44:45]
	s_andn2_b64 exec, exec, s[38:39]
	s_cbranch_execz .LBB222_286
.LBB222_284:                            ; =>This Inner Loop Header: Depth=1
	s_or_b64 s[40:41], s[40:41], exec
	s_cmp_eq_u64 s[26:27], s[42:43]
	s_cbranch_scc0 .LBB222_282
; %bb.285:                              ;   in Loop: Header=BB222_284 Depth=1
                                        ; implicit-def: $sgpr44_sgpr45
	s_mov_b64 s[42:43], s[26:27]
	s_branch .LBB222_283
.LBB222_286:
	s_or_b64 exec, exec, s[38:39]
	v_cmp_gt_i64_e32 vcc, s[26:27], v[34:35]
	s_orn2_b64 s[38:39], vcc, exec
.LBB222_287:
	s_or_b64 exec, exec, s[14:15]
.LBB222_288:
	s_and_b64 s[14:15], s[38:39], exec
.LBB222_289:
	s_or_b64 exec, exec, s[36:37]
	v_cmp_gt_u32_e32 vcc, s3, v42
	s_and_saveexec_b64 s[36:37], vcc
	s_cbranch_execz .LBB222_300
; %bb.290:
	s_andn2_b64 vcc, exec, s[6:7]
	s_mov_b64 s[38:39], 0
	s_cbranch_vccnz .LBB222_299
; %bb.291:
	v_mov_b64_e32 v[32:33], s[28:29]
	v_mad_u64_u32 v[30:31], s[18:19], v18, s26, v[32:33]
	v_mul_lo_u32 v34, v18, s27
	v_mul_lo_u32 v35, v19, s26
	v_add3_u32 v31, v35, v31, v34
	v_mad_u64_u32 v[32:33], s[18:19], v20, s26, v[32:33]
	v_mul_lo_u32 v34, v20, s27
	v_mul_lo_u32 v35, v21, s26
	v_add3_u32 v33, v35, v33, v34
	global_load_ubyte v34, v[30:31], off
	global_load_ubyte v35, v[32:33], off
	s_mov_b64 s[38:39], -1
	s_waitcnt vmcnt(0)
	v_cmp_eq_u16_e32 vcc, v34, v35
	s_and_saveexec_b64 s[18:19], vcc
	s_cbranch_execz .LBB222_298
; %bb.292:
	s_mov_b64 s[42:43], 1
	s_mov_b64 s[38:39], 0
                                        ; implicit-def: $sgpr40_sgpr41
	s_branch .LBB222_295
.LBB222_293:                            ;   in Loop: Header=BB222_295 Depth=1
	v_lshl_add_u64 v[34:35], v[30:31], 0, s[42:43]
	v_lshl_add_u64 v[36:37], v[32:33], 0, s[42:43]
	global_load_ubyte v45, v[34:35], off
	global_load_ubyte v46, v[36:37], off
	s_add_u32 s44, s42, 1
	s_addc_u32 s45, s43, 0
	s_andn2_b64 s[40:41], s[40:41], exec
	s_waitcnt vmcnt(0)
	v_cmp_ne_u16_e32 vcc, v45, v46
	s_and_b64 s[46:47], vcc, exec
	s_or_b64 s[40:41], s[40:41], s[46:47]
.LBB222_294:                            ;   in Loop: Header=BB222_295 Depth=1
	s_and_b64 s[46:47], exec, s[40:41]
	s_or_b64 s[38:39], s[46:47], s[38:39]
	v_mov_b64_e32 v[34:35], s[42:43]
	s_mov_b64 s[42:43], s[44:45]
	s_andn2_b64 exec, exec, s[38:39]
	s_cbranch_execz .LBB222_297
.LBB222_295:                            ; =>This Inner Loop Header: Depth=1
	s_or_b64 s[40:41], s[40:41], exec
	s_cmp_eq_u64 s[26:27], s[42:43]
	s_cbranch_scc0 .LBB222_293
; %bb.296:                              ;   in Loop: Header=BB222_295 Depth=1
                                        ; implicit-def: $sgpr44_sgpr45
	s_mov_b64 s[42:43], s[26:27]
	s_branch .LBB222_294
.LBB222_297:
	s_or_b64 exec, exec, s[38:39]
	v_cmp_gt_i64_e32 vcc, s[26:27], v[34:35]
	s_orn2_b64 s[38:39], vcc, exec
.LBB222_298:
	s_or_b64 exec, exec, s[18:19]
.LBB222_299:
	s_and_b64 s[18:19], s[38:39], exec
.LBB222_300:
	s_or_b64 exec, exec, s[36:37]
	v_cmp_gt_u32_e32 vcc, s3, v38
	s_mov_b64 s[36:37], 0
	s_mov_b64 s[38:39], 0
	s_and_saveexec_b64 s[40:41], vcc
	s_cbranch_execz .LBB222_311
; %bb.301:
	s_andn2_b64 vcc, exec, s[6:7]
	s_mov_b64 s[42:43], 0
	s_cbranch_vccnz .LBB222_310
; %bb.302:
	v_mov_b64_e32 v[32:33], s[28:29]
	v_mad_u64_u32 v[30:31], s[38:39], v24, s26, v[32:33]
	v_mul_lo_u32 v34, v24, s27
	v_mul_lo_u32 v35, v25, s26
	v_add3_u32 v31, v35, v31, v34
	v_mad_u64_u32 v[32:33], s[38:39], v18, s26, v[32:33]
	v_mul_lo_u32 v34, v18, s27
	v_mul_lo_u32 v35, v19, s26
	v_add3_u32 v33, v35, v33, v34
	global_load_ubyte v34, v[30:31], off
	global_load_ubyte v35, v[32:33], off
	s_mov_b64 s[42:43], -1
	s_waitcnt vmcnt(0)
	v_cmp_eq_u16_e32 vcc, v34, v35
	s_and_saveexec_b64 s[38:39], vcc
	s_cbranch_execz .LBB222_309
; %bb.303:
	s_mov_b64 s[46:47], 1
	s_mov_b64 s[42:43], 0
                                        ; implicit-def: $sgpr44_sgpr45
	s_branch .LBB222_306
.LBB222_304:                            ;   in Loop: Header=BB222_306 Depth=1
	v_lshl_add_u64 v[34:35], v[30:31], 0, s[46:47]
	v_lshl_add_u64 v[36:37], v[32:33], 0, s[46:47]
	global_load_ubyte v45, v[34:35], off
	global_load_ubyte v46, v[36:37], off
	s_add_u32 s48, s46, 1
	s_addc_u32 s49, s47, 0
	s_andn2_b64 s[44:45], s[44:45], exec
	s_waitcnt vmcnt(0)
	v_cmp_ne_u16_e32 vcc, v45, v46
	s_and_b64 s[50:51], vcc, exec
	s_or_b64 s[44:45], s[44:45], s[50:51]
.LBB222_305:                            ;   in Loop: Header=BB222_306 Depth=1
	s_and_b64 s[50:51], exec, s[44:45]
	s_or_b64 s[42:43], s[50:51], s[42:43]
	v_mov_b64_e32 v[34:35], s[46:47]
	s_mov_b64 s[46:47], s[48:49]
	s_andn2_b64 exec, exec, s[42:43]
	s_cbranch_execz .LBB222_308
.LBB222_306:                            ; =>This Inner Loop Header: Depth=1
	s_or_b64 s[44:45], s[44:45], exec
	s_cmp_eq_u64 s[26:27], s[46:47]
	s_cbranch_scc0 .LBB222_304
; %bb.307:                              ;   in Loop: Header=BB222_306 Depth=1
                                        ; implicit-def: $sgpr48_sgpr49
	s_mov_b64 s[46:47], s[26:27]
	s_branch .LBB222_305
.LBB222_308:
	s_or_b64 exec, exec, s[42:43]
	v_cmp_gt_i64_e32 vcc, s[26:27], v[34:35]
	s_orn2_b64 s[42:43], vcc, exec
.LBB222_309:
	s_or_b64 exec, exec, s[38:39]
.LBB222_310:
	s_and_b64 s[38:39], s[42:43], exec
.LBB222_311:
	s_or_b64 exec, exec, s[40:41]
	v_cmp_gt_u32_e32 vcc, s3, v41
	s_and_saveexec_b64 s[40:41], vcc
	s_cbranch_execz .LBB222_322
; %bb.312:
	s_andn2_b64 vcc, exec, s[6:7]
	s_mov_b64 s[42:43], 0
	s_cbranch_vccnz .LBB222_321
; %bb.313:
	v_mov_b64_e32 v[32:33], s[28:29]
	v_mad_u64_u32 v[30:31], s[36:37], v22, s26, v[32:33]
	v_mul_lo_u32 v34, v22, s27
	v_mul_lo_u32 v35, v23, s26
	v_add3_u32 v31, v35, v31, v34
	v_mad_u64_u32 v[32:33], s[36:37], v24, s26, v[32:33]
	v_mul_lo_u32 v34, v24, s27
	v_mul_lo_u32 v35, v25, s26
	v_add3_u32 v33, v35, v33, v34
	global_load_ubyte v34, v[30:31], off
	global_load_ubyte v35, v[32:33], off
	s_mov_b64 s[42:43], -1
	s_waitcnt vmcnt(0)
	v_cmp_eq_u16_e32 vcc, v34, v35
	s_and_saveexec_b64 s[36:37], vcc
	s_cbranch_execz .LBB222_320
; %bb.314:
	s_mov_b64 s[46:47], 1
	s_mov_b64 s[42:43], 0
                                        ; implicit-def: $sgpr44_sgpr45
	s_branch .LBB222_317
.LBB222_315:                            ;   in Loop: Header=BB222_317 Depth=1
	v_lshl_add_u64 v[34:35], v[30:31], 0, s[46:47]
	v_lshl_add_u64 v[36:37], v[32:33], 0, s[46:47]
	global_load_ubyte v45, v[34:35], off
	global_load_ubyte v46, v[36:37], off
	s_add_u32 s48, s46, 1
	s_addc_u32 s49, s47, 0
	s_andn2_b64 s[44:45], s[44:45], exec
	s_waitcnt vmcnt(0)
	v_cmp_ne_u16_e32 vcc, v45, v46
	s_and_b64 s[50:51], vcc, exec
	s_or_b64 s[44:45], s[44:45], s[50:51]
.LBB222_316:                            ;   in Loop: Header=BB222_317 Depth=1
	s_and_b64 s[50:51], exec, s[44:45]
	s_or_b64 s[42:43], s[50:51], s[42:43]
	v_mov_b64_e32 v[34:35], s[46:47]
	s_mov_b64 s[46:47], s[48:49]
	s_andn2_b64 exec, exec, s[42:43]
	s_cbranch_execz .LBB222_319
.LBB222_317:                            ; =>This Inner Loop Header: Depth=1
	s_or_b64 s[44:45], s[44:45], exec
	s_cmp_eq_u64 s[26:27], s[46:47]
	s_cbranch_scc0 .LBB222_315
; %bb.318:                              ;   in Loop: Header=BB222_317 Depth=1
                                        ; implicit-def: $sgpr48_sgpr49
	s_mov_b64 s[46:47], s[26:27]
	s_branch .LBB222_316
.LBB222_319:
	s_or_b64 exec, exec, s[42:43]
	v_cmp_gt_i64_e32 vcc, s[26:27], v[34:35]
	s_orn2_b64 s[42:43], vcc, exec
.LBB222_320:
	s_or_b64 exec, exec, s[36:37]
.LBB222_321:
	s_and_b64 s[36:37], s[42:43], exec
.LBB222_322:
	s_or_b64 exec, exec, s[40:41]
	v_cndmask_b32_e64 v31, 0, 1, s[18:19]
	v_cndmask_b32_e64 v30, 0, 1, s[38:39]
	;; [unrolled: 1-line block ×3, first 2 shown]
	v_lshlrev_b16_e32 v31, 8, v31
	v_cndmask_b32_e64 v45, 0, 1, s[14:15]
	v_cndmask_b32_e64 v32, 0, 1, s[36:37]
	v_or_b32_sdwa v30, v30, v31 dst_sel:WORD_1 dst_unused:UNUSED_PAD src0_sel:DWORD src1_sel:DWORD
	v_lshlrev_b16_e32 v31, 8, v46
	v_lshlrev_b16_e32 v32, 8, v32
	v_or_b32_e32 v31, v45, v31
	v_or_b32_e32 v32, 1, v32
	v_and_b32_e32 v31, 0xffff, v31
	v_cndmask_b32_e64 v47, 0, 1, s[4:5]
	v_or_b32_sdwa v30, v32, v30 dst_sel:DWORD dst_unused:UNUSED_PAD src0_sel:WORD_0 src1_sel:DWORD
	v_lshl_or_b32 v31, v47, 16, v31
	v_cmp_ne_u32_e32 vcc, 0, v0
	s_waitcnt lgkmcnt(0)
	s_barrier
	s_waitcnt lgkmcnt(0)
                                        ; implicit-def: $sgpr18_sgpr19
                                        ; implicit-def: $vgpr34
	s_and_saveexec_b64 s[4:5], vcc
	s_cbranch_execz .LBB222_335
; %bb.323:
	v_cmp_gt_u32_e32 vcc, s3, v1
	s_mov_b32 s33, 0x3020104
	s_mov_b64 s[14:15], 0
	s_and_saveexec_b64 s[12:13], vcc
	s_cbranch_execz .LBB222_334
; %bb.324:
	s_andn2_b64 vcc, exec, s[6:7]
	s_cbranch_vccnz .LBB222_333
; %bb.325:
	v_add_u32_e32 v31, -8, v44
	ds_read_b64 v[32:33], v31
	v_mov_b64_e32 v[34:35], s[28:29]
	s_mov_b64 s[14:15], -1
	s_waitcnt lgkmcnt(0)
	v_mul_lo_u32 v31, v32, s27
	v_mul_lo_u32 v36, v33, s26
	v_mad_u64_u32 v[32:33], s[6:7], v32, s26, v[34:35]
	v_add3_u32 v33, v36, v33, v31
	v_mad_u64_u32 v[34:35], s[6:7], v22, s26, v[34:35]
	v_mul_lo_u32 v31, v22, s27
	v_mul_lo_u32 v36, v23, s26
	v_add3_u32 v35, v36, v35, v31
	global_load_ubyte v31, v[32:33], off
	global_load_ubyte v36, v[34:35], off
	s_waitcnt vmcnt(0)
	v_cmp_eq_u16_e32 vcc, v31, v36
	s_and_saveexec_b64 s[6:7], vcc
	s_cbranch_execz .LBB222_332
; %bb.326:
	s_mov_b64 s[28:29], 1
	s_mov_b64 s[14:15], 0
                                        ; implicit-def: $sgpr18_sgpr19
	s_branch .LBB222_329
.LBB222_327:                            ;   in Loop: Header=BB222_329 Depth=1
	v_lshl_add_u64 v[36:37], v[32:33], 0, s[28:29]
	v_lshl_add_u64 v[48:49], v[34:35], 0, s[28:29]
	global_load_ubyte v31, v[36:37], off
	global_load_ubyte v44, v[48:49], off
	s_add_u32 s36, s28, 1
	s_addc_u32 s37, s29, 0
	s_andn2_b64 s[18:19], s[18:19], exec
	s_waitcnt vmcnt(0)
	v_cmp_ne_u16_e32 vcc, v31, v44
	s_and_b64 s[38:39], vcc, exec
	s_or_b64 s[18:19], s[18:19], s[38:39]
.LBB222_328:                            ;   in Loop: Header=BB222_329 Depth=1
	s_and_b64 s[38:39], exec, s[18:19]
	s_or_b64 s[14:15], s[38:39], s[14:15]
	v_mov_b64_e32 v[36:37], s[28:29]
	s_mov_b64 s[28:29], s[36:37]
	s_andn2_b64 exec, exec, s[14:15]
	s_cbranch_execz .LBB222_331
.LBB222_329:                            ; =>This Inner Loop Header: Depth=1
	s_or_b64 s[18:19], s[18:19], exec
	s_cmp_eq_u64 s[26:27], s[28:29]
	s_cbranch_scc0 .LBB222_327
; %bb.330:                              ;   in Loop: Header=BB222_329 Depth=1
                                        ; implicit-def: $sgpr36_sgpr37
	s_mov_b64 s[28:29], s[26:27]
	s_branch .LBB222_328
.LBB222_331:
	s_or_b64 exec, exec, s[14:15]
	v_cmp_gt_i64_e32 vcc, s[26:27], v[36:37]
	s_orn2_b64 s[14:15], vcc, exec
.LBB222_332:
	s_or_b64 exec, exec, s[6:7]
.LBB222_333:
	s_and_b64 s[14:15], s[14:15], exec
.LBB222_334:
	s_or_b64 exec, exec, s[12:13]
	v_perm_b32 v34, v30, v30, s33
	s_and_b64 s[18:19], s[14:15], exec
	s_or_b64 s[10:11], s[10:11], exec
                                        ; implicit-def: $vgpr30_vgpr31
.LBB222_335:
	s_or_b64 exec, exec, s[4:5]
.LBB222_336:
	s_and_saveexec_b64 s[4:5], s[10:11]
	s_cbranch_execz .LBB222_338
; %bb.337:
	v_lshlrev_b16_e32 v31, 8, v46
	s_waitcnt lgkmcnt(0)
	v_and_b32_e32 v32, 0xff, v47
	v_or_b32_sdwa v31, v45, v31 dst_sel:DWORD dst_unused:UNUSED_PAD src0_sel:BYTE_0 src1_sel:DWORD
	v_lshlrev_b32_e32 v32, 16, v32
	s_movk_i32 s6, 0xff
	v_or_b32_sdwa v31, v31, v32 dst_sel:DWORD dst_unused:UNUSED_PAD src0_sel:WORD_0 src1_sel:DWORD
	v_lshrrev_b32_e32 v32, 24, v34
	v_lshlrev_b16_e32 v32, 8, v32
	v_and_b32_sdwa v33, v34, s6 dst_sel:DWORD dst_unused:UNUSED_PAD src0_sel:WORD_1 src1_sel:DWORD
	v_or_b32_sdwa v32, v33, v32 dst_sel:WORD_1 dst_unused:UNUSED_PAD src0_sel:DWORD src1_sel:DWORD
	v_mov_b32_e32 v33, 8
	v_cndmask_b32_e64 v30, 0, 1, s[18:19]
	v_lshrrev_b32_sdwa v33, v33, v34 dst_sel:BYTE_1 dst_unused:UNUSED_PAD src0_sel:DWORD src1_sel:DWORD
	s_nop 0
	v_or_b32_e32 v30, v30, v33
	v_or_b32_sdwa v30, v30, v32 dst_sel:DWORD dst_unused:UNUSED_PAD src0_sel:WORD_0 src1_sel:DWORD
.LBB222_338:
	s_or_b64 exec, exec, s[4:5]
	s_andn2_b64 vcc, exec, s[8:9]
	s_cbranch_vccnz .LBB222_340
; %bb.339:
	s_waitcnt lgkmcnt(0)
	v_and_b32_e32 v32, 0xffff0000, v30
	v_cmp_gt_u32_e32 vcc, s3, v1
	s_mov_b32 s4, 0x40c0100
	s_nop 0
	v_cndmask_b32_e32 v1, v32, v30, vcc
	v_and_b32_e32 v1, 0xffff00ff, v1
	v_cmp_gt_u32_e32 vcc, s3, v41
	s_nop 1
	v_cndmask_b32_e32 v1, v1, v30, vcc
	v_lshrrev_b32_e32 v32, 24, v1
	v_perm_b32 v1, v32, v1, s4
	v_cmp_gt_u32_e32 vcc, s3, v38
	v_and_b32_e32 v32, 0xffffff00, v31
	s_nop 0
	v_cndmask_b32_e32 v1, v1, v30, vcc
	v_and_b32_e32 v1, 0xffffff, v1
	v_cmp_gt_u32_e32 vcc, s3, v42
	s_nop 1
	v_cndmask_b32_e32 v1, v1, v30, vcc
	v_cmp_gt_u32_e32 vcc, s3, v39
	s_nop 1
	v_cndmask_b32_e32 v32, v32, v31, vcc
	v_and_b32_e32 v32, 0xffff00ff, v32
	v_cndmask_b32_e32 v1, v1, v30, vcc
	v_cmp_gt_u32_e32 vcc, s3, v43
	s_nop 1
	v_cndmask_b32_e32 v32, v32, v31, vcc
	v_lshrrev_b32_e32 v33, 24, v32
	v_cndmask_b32_e32 v1, v1, v30, vcc
	v_perm_b32 v32, v33, v32, s4
	v_cmp_gt_u32_e32 vcc, s3, v40
	s_mov_b32 s3, 0x3020104
	s_nop 0
	v_cndmask_b32_e32 v1, v1, v30, vcc
	v_cndmask_b32_e32 v30, v32, v31, vcc
	v_mov_b32_e32 v31, 8
	v_lshrrev_b32_sdwa v31, v31, v30 dst_sel:BYTE_1 dst_unused:UNUSED_PAD src0_sel:DWORD src1_sel:DWORD
	s_nop 0
	v_or_b32_sdwa v31, v30, v31 dst_sel:DWORD dst_unused:UNUSED_PAD src0_sel:BYTE_0 src1_sel:DWORD
	v_and_b32_e32 v31, 0xffff, v31
	v_bfe_u32 v30, v30, 16, 8
	v_lshl_or_b32 v31, v30, 16, v31
	v_perm_b32 v30, v1, v1, s3
.LBB222_340:
	v_and_b32_e32 v1, 0xff, v30
	v_bfe_u32 v43, v30, 8, 8
	v_bfe_u32 v45, v30, 16, 8
	s_waitcnt lgkmcnt(0)
	v_alignbit_b32 v32, v31, v30, 24
	v_and_b32_e32 v47, 0xff, v32
	v_and_b32_e32 v48, 0xff, v31
	v_add3_u32 v33, v43, v1, v45
	v_bfe_u32 v49, v31, 8, 8
	v_bfe_u32 v32, v31, 16, 8
	v_add3_u32 v33, v33, v47, v48
	v_add3_u32 v52, v33, v49, v32
	v_mbcnt_lo_u32_b32 v32, -1, 0
	v_mbcnt_hi_u32_b32 v50, -1, v32
	v_and_b32_e32 v32, 15, v50
	v_cmp_eq_u32_e64 s[14:15], 0, v32
	v_cmp_lt_u32_e64 s[12:13], 1, v32
	v_cmp_lt_u32_e64 s[10:11], 3, v32
	;; [unrolled: 1-line block ×3, first 2 shown]
	v_and_b32_e32 v32, 16, v50
	v_cmp_eq_u32_e64 s[6:7], 0, v32
	v_or_b32_e32 v32, 63, v0
	v_cmp_lt_u32_e64 s[18:19], 31, v50
	v_lshrrev_b32_e32 v51, 6, v0
	v_cmp_eq_u32_e64 s[4:5], v32, v0
	s_and_b64 vcc, exec, s[16:17]
	s_barrier
	s_cbranch_vccz .LBB222_371
; %bb.341:
	v_mov_b32_dpp v32, v52 row_shr:1 row_mask:0xf bank_mask:0xf
	v_cndmask_b32_e64 v32, v32, 0, s[14:15]
	v_add_u32_e32 v32, v32, v52
	s_nop 1
	v_mov_b32_dpp v33, v32 row_shr:2 row_mask:0xf bank_mask:0xf
	v_cndmask_b32_e64 v33, 0, v33, s[12:13]
	v_add_u32_e32 v32, v32, v33
	s_nop 1
	;; [unrolled: 4-line block ×4, first 2 shown]
	v_mov_b32_dpp v33, v32 row_bcast:15 row_mask:0xf bank_mask:0xf
	v_cndmask_b32_e64 v33, v33, 0, s[6:7]
	v_add_u32_e32 v32, v32, v33
	s_nop 1
	v_mov_b32_dpp v33, v32 row_bcast:31 row_mask:0xf bank_mask:0xf
	v_cndmask_b32_e64 v33, 0, v33, s[18:19]
	v_add_u32_e32 v32, v32, v33
	s_and_saveexec_b64 s[16:17], s[4:5]
	s_cbranch_execz .LBB222_343
; %bb.342:
	v_lshlrev_b32_e32 v33, 2, v51
	ds_write_b32 v33, v32
.LBB222_343:
	s_or_b64 exec, exec, s[16:17]
	v_cmp_gt_u32_e32 vcc, 8, v0
	s_waitcnt lgkmcnt(0)
	s_barrier
	s_and_saveexec_b64 s[16:17], vcc
	s_cbranch_execz .LBB222_345
; %bb.344:
	v_lshlrev_b32_e32 v33, 2, v0
	ds_read_b32 v34, v33
	v_and_b32_e32 v35, 7, v50
	v_cmp_ne_u32_e32 vcc, 0, v35
	s_waitcnt lgkmcnt(0)
	v_mov_b32_dpp v36, v34 row_shr:1 row_mask:0xf bank_mask:0xf
	v_cndmask_b32_e32 v36, 0, v36, vcc
	v_add_u32_e32 v34, v36, v34
	v_cmp_lt_u32_e32 vcc, 1, v35
	s_nop 0
	v_mov_b32_dpp v36, v34 row_shr:2 row_mask:0xf bank_mask:0xf
	v_cndmask_b32_e32 v36, 0, v36, vcc
	v_add_u32_e32 v34, v34, v36
	v_cmp_lt_u32_e32 vcc, 3, v35
	s_nop 0
	v_mov_b32_dpp v36, v34 row_shr:4 row_mask:0xf bank_mask:0xf
	v_cndmask_b32_e32 v35, 0, v36, vcc
	v_add_u32_e32 v34, v34, v35
	ds_write_b32 v33, v34
.LBB222_345:
	s_or_b64 exec, exec, s[16:17]
	v_cmp_gt_u32_e32 vcc, 64, v0
	v_cmp_lt_u32_e64 s[16:17], 63, v0
	s_waitcnt lgkmcnt(0)
	s_barrier
	s_waitcnt lgkmcnt(0)
                                        ; implicit-def: $vgpr42
	s_and_saveexec_b64 s[26:27], s[16:17]
	s_cbranch_execz .LBB222_347
; %bb.346:
	v_lshl_add_u32 v33, v51, 2, -4
	ds_read_b32 v42, v33
	s_waitcnt lgkmcnt(0)
	v_add_u32_e32 v32, v42, v32
.LBB222_347:
	s_or_b64 exec, exec, s[26:27]
	v_add_u32_e32 v33, -1, v50
	v_and_b32_e32 v34, 64, v50
	v_cmp_lt_i32_e64 s[16:17], v33, v34
	s_nop 1
	v_cndmask_b32_e64 v33, v33, v50, s[16:17]
	v_lshlrev_b32_e32 v33, 2, v33
	ds_bpermute_b32 v44, v33, v32
	v_cmp_eq_u32_e64 s[16:17], 0, v50
	s_and_saveexec_b64 s[26:27], vcc
	s_cbranch_execz .LBB222_370
; %bb.348:
	v_mov_b32_e32 v41, 0
	ds_read_b32 v32, v41 offset:28
	s_and_saveexec_b64 s[28:29], s[16:17]
	s_cbranch_execz .LBB222_350
; %bb.349:
	s_add_i32 s36, s2, 64
	s_mov_b32 s37, 0
	s_lshl_b64 s[36:37], s[36:37], 3
	s_add_u32 s36, s30, s36
	v_mov_b32_e32 v33, 1
	s_addc_u32 s37, s31, s37
	s_waitcnt lgkmcnt(0)
	global_store_dwordx2 v41, v[32:33], s[36:37] sc1
.LBB222_350:
	s_or_b64 exec, exec, s[28:29]
	v_xad_u32 v34, v50, -1, s2
	v_add_u32_e32 v40, 64, v34
	v_lshl_add_u64 v[36:37], v[40:41], 3, s[30:31]
	global_load_dwordx2 v[38:39], v[36:37], off sc1
	s_waitcnt vmcnt(0)
	v_cmp_eq_u16_sdwa s[36:37], v39, v41 src0_sel:BYTE_0 src1_sel:DWORD
	s_and_saveexec_b64 s[28:29], s[36:37]
	s_cbranch_execz .LBB222_356
; %bb.351:
	s_mov_b32 s3, 1
	s_mov_b64 s[36:37], 0
	v_mov_b32_e32 v33, 0
.LBB222_352:                            ; =>This Loop Header: Depth=1
                                        ;     Child Loop BB222_353 Depth 2
	s_max_u32 s33, s3, 1
.LBB222_353:                            ;   Parent Loop BB222_352 Depth=1
                                        ; =>  This Inner Loop Header: Depth=2
	s_add_i32 s33, s33, -1
	s_cmp_eq_u32 s33, 0
	s_sleep 1
	s_cbranch_scc0 .LBB222_353
; %bb.354:                              ;   in Loop: Header=BB222_352 Depth=1
	global_load_dwordx2 v[38:39], v[36:37], off sc1
	s_cmp_lt_u32 s3, 32
	s_cselect_b64 s[38:39], -1, 0
	s_cmp_lg_u64 s[38:39], 0
	s_addc_u32 s3, s3, 0
	s_waitcnt vmcnt(0)
	v_cmp_ne_u16_sdwa s[38:39], v39, v33 src0_sel:BYTE_0 src1_sel:DWORD
	s_or_b64 s[36:37], s[38:39], s[36:37]
	s_andn2_b64 exec, exec, s[36:37]
	s_cbranch_execnz .LBB222_352
; %bb.355:
	s_or_b64 exec, exec, s[36:37]
.LBB222_356:
	s_or_b64 exec, exec, s[28:29]
	v_and_b32_e32 v46, 63, v50
	v_mov_b32_e32 v33, 2
	v_cmp_ne_u32_e32 vcc, 63, v46
	v_cmp_eq_u16_sdwa s[28:29], v39, v33 src0_sel:BYTE_0 src1_sel:DWORD
	v_lshlrev_b64 v[36:37], v50, -1
	v_addc_co_u32_e32 v41, vcc, 0, v50, vcc
	v_and_b32_e32 v35, s29, v37
	v_lshlrev_b32_e32 v53, 2, v41
	v_or_b32_e32 v35, 0x80000000, v35
	ds_bpermute_b32 v41, v53, v38
	v_and_b32_e32 v40, s28, v36
	v_ffbl_b32_e32 v35, v35
	v_add_u32_e32 v35, 32, v35
	v_ffbl_b32_e32 v40, v40
	v_min_u32_e32 v35, v40, v35
	v_cmp_lt_u32_e32 vcc, v46, v35
	v_add_u32_e32 v55, 2, v46
	v_add_u32_e32 v57, 4, v46
	s_waitcnt lgkmcnt(0)
	v_cndmask_b32_e32 v40, 0, v41, vcc
	v_cmp_gt_u32_e32 vcc, 62, v46
	v_add_u32_e32 v38, v40, v38
	v_add_u32_e32 v59, 8, v46
	v_cndmask_b32_e64 v40, 0, 1, vcc
	v_lshlrev_b32_e32 v40, 1, v40
	v_add_lshl_u32 v54, v40, v50, 2
	ds_bpermute_b32 v40, v54, v38
	v_cmp_le_u32_e32 vcc, v55, v35
	v_add_u32_e32 v62, 16, v46
	v_add_u32_e32 v64, 32, v46
	s_waitcnt lgkmcnt(0)
	v_cndmask_b32_e32 v40, 0, v40, vcc
	v_cmp_gt_u32_e32 vcc, 60, v46
	v_add_u32_e32 v38, v38, v40
	s_nop 0
	v_cndmask_b32_e64 v40, 0, 1, vcc
	v_lshlrev_b32_e32 v40, 2, v40
	v_add_lshl_u32 v56, v40, v50, 2
	ds_bpermute_b32 v40, v56, v38
	v_cmp_le_u32_e32 vcc, v57, v35
	s_waitcnt lgkmcnt(0)
	s_nop 0
	v_cndmask_b32_e32 v40, 0, v40, vcc
	v_cmp_gt_u32_e32 vcc, 56, v46
	v_add_u32_e32 v38, v38, v40
	s_nop 0
	v_cndmask_b32_e64 v40, 0, 1, vcc
	v_lshlrev_b32_e32 v40, 3, v40
	v_add_lshl_u32 v58, v40, v50, 2
	ds_bpermute_b32 v40, v58, v38
	v_cmp_le_u32_e32 vcc, v59, v35
	s_waitcnt lgkmcnt(0)
	s_nop 0
	;; [unrolled: 11-line block ×4, first 2 shown]
	v_cndmask_b32_e32 v35, 0, v40, vcc
	v_add_u32_e32 v38, v38, v35
	v_mov_b32_e32 v35, 0
	s_branch .LBB222_358
.LBB222_357:                            ;   in Loop: Header=BB222_358 Depth=1
	s_or_b64 exec, exec, s[28:29]
	v_cmp_eq_u16_sdwa s[28:29], v39, v33 src0_sel:BYTE_0 src1_sel:DWORD
	ds_bpermute_b32 v65, v53, v38
	v_subrev_u32_e32 v34, 64, v34
	v_and_b32_e32 v40, s29, v37
	v_or_b32_e32 v40, 0x80000000, v40
	v_and_b32_e32 v41, s28, v36
	v_ffbl_b32_e32 v40, v40
	v_add_u32_e32 v40, 32, v40
	v_ffbl_b32_e32 v41, v41
	v_min_u32_e32 v40, v41, v40
	v_cmp_lt_u32_e32 vcc, v46, v40
	s_waitcnt lgkmcnt(0)
	s_nop 0
	v_cndmask_b32_e32 v41, 0, v65, vcc
	v_add_u32_e32 v38, v41, v38
	ds_bpermute_b32 v41, v54, v38
	v_cmp_le_u32_e32 vcc, v55, v40
	s_waitcnt lgkmcnt(0)
	s_nop 0
	v_cndmask_b32_e32 v41, 0, v41, vcc
	v_add_u32_e32 v38, v38, v41
	ds_bpermute_b32 v41, v56, v38
	v_cmp_le_u32_e32 vcc, v57, v40
	s_waitcnt lgkmcnt(0)
	s_nop 0
	v_cndmask_b32_e32 v41, 0, v41, vcc
	v_add_u32_e32 v38, v38, v41
	ds_bpermute_b32 v41, v58, v38
	v_cmp_le_u32_e32 vcc, v59, v40
	s_waitcnt lgkmcnt(0)
	s_nop 0
	v_cndmask_b32_e32 v41, 0, v41, vcc
	v_add_u32_e32 v38, v38, v41
	ds_bpermute_b32 v41, v61, v38
	v_cmp_le_u32_e32 vcc, v62, v40
	s_waitcnt lgkmcnt(0)
	s_nop 0
	v_cndmask_b32_e32 v41, 0, v41, vcc
	v_add_u32_e32 v38, v38, v41
	ds_bpermute_b32 v41, v63, v38
	v_cmp_le_u32_e32 vcc, v64, v40
	s_waitcnt lgkmcnt(0)
	s_nop 0
	v_cndmask_b32_e32 v40, 0, v41, vcc
	v_add3_u32 v38, v40, v60, v38
.LBB222_358:                            ; =>This Loop Header: Depth=1
                                        ;     Child Loop BB222_361 Depth 2
                                        ;       Child Loop BB222_362 Depth 3
	v_cmp_ne_u16_sdwa s[28:29], v39, v33 src0_sel:BYTE_0 src1_sel:DWORD
	v_mov_b32_e32 v60, v38
	s_nop 0
	v_cndmask_b32_e64 v39, 0, 1, s[28:29]
	;;#ASMSTART
	;;#ASMEND
	s_nop 0
	v_cmp_ne_u32_e32 vcc, 0, v39
	s_cmp_lg_u64 vcc, exec
	s_cbranch_scc1 .LBB222_365
; %bb.359:                              ;   in Loop: Header=BB222_358 Depth=1
	v_lshl_add_u64 v[40:41], v[34:35], 3, s[30:31]
	global_load_dwordx2 v[38:39], v[40:41], off sc1
	s_waitcnt vmcnt(0)
	v_cmp_eq_u16_sdwa s[36:37], v39, v35 src0_sel:BYTE_0 src1_sel:DWORD
	s_and_saveexec_b64 s[28:29], s[36:37]
	s_cbranch_execz .LBB222_357
; %bb.360:                              ;   in Loop: Header=BB222_358 Depth=1
	s_mov_b32 s3, 1
	s_mov_b64 s[36:37], 0
.LBB222_361:                            ;   Parent Loop BB222_358 Depth=1
                                        ; =>  This Loop Header: Depth=2
                                        ;       Child Loop BB222_362 Depth 3
	s_max_u32 s33, s3, 1
.LBB222_362:                            ;   Parent Loop BB222_358 Depth=1
                                        ;     Parent Loop BB222_361 Depth=2
                                        ; =>    This Inner Loop Header: Depth=3
	s_add_i32 s33, s33, -1
	s_cmp_eq_u32 s33, 0
	s_sleep 1
	s_cbranch_scc0 .LBB222_362
; %bb.363:                              ;   in Loop: Header=BB222_361 Depth=2
	global_load_dwordx2 v[38:39], v[40:41], off sc1
	s_cmp_lt_u32 s3, 32
	s_cselect_b64 s[38:39], -1, 0
	s_cmp_lg_u64 s[38:39], 0
	s_addc_u32 s3, s3, 0
	s_waitcnt vmcnt(0)
	v_cmp_ne_u16_sdwa s[38:39], v39, v35 src0_sel:BYTE_0 src1_sel:DWORD
	s_or_b64 s[36:37], s[38:39], s[36:37]
	s_andn2_b64 exec, exec, s[36:37]
	s_cbranch_execnz .LBB222_361
; %bb.364:                              ;   in Loop: Header=BB222_358 Depth=1
	s_or_b64 exec, exec, s[36:37]
	s_branch .LBB222_357
.LBB222_365:                            ;   in Loop: Header=BB222_358 Depth=1
                                        ; implicit-def: $vgpr38
                                        ; implicit-def: $vgpr39
	s_cbranch_execz .LBB222_358
; %bb.366:
	s_and_saveexec_b64 s[28:29], s[16:17]
	s_cbranch_execz .LBB222_368
; %bb.367:
	s_add_i32 s2, s2, 64
	s_mov_b32 s3, 0
	s_lshl_b64 s[2:3], s[2:3], 3
	s_add_u32 s2, s30, s2
	v_add_u32_e32 v34, v60, v32
	v_mov_b32_e32 v35, 2
	s_addc_u32 s3, s31, s3
	v_mov_b32_e32 v33, 0
	global_store_dwordx2 v33, v[34:35], s[2:3] sc1
	s_movk_i32 s2, 0x7000
	v_add_u32_e64 v33, s2, 0
	ds_write2_b32 v33, v32, v60 offset1:2
.LBB222_368:
	s_or_b64 exec, exec, s[28:29]
	v_cmp_eq_u32_e32 vcc, 0, v0
	s_and_b64 exec, exec, vcc
	s_cbranch_execz .LBB222_370
; %bb.369:
	v_mov_b32_e32 v32, 0
	ds_write_b32 v32, v60 offset:28
.LBB222_370:
	s_or_b64 exec, exec, s[26:27]
	v_mov_b32_e32 v32, 0
	s_waitcnt lgkmcnt(0)
	s_barrier
	ds_read_b32 v32, v32 offset:28
	v_cndmask_b32_e64 v33, v44, v42, s[16:17]
	v_cmp_ne_u32_e32 vcc, 0, v0
	s_movk_i32 s2, 0x7000
	s_waitcnt lgkmcnt(0)
	v_cndmask_b32_e32 v33, 0, v33, vcc
	v_add_u32_e32 v46, v32, v33
	v_add_u32_e64 v32, s2, 0
	v_add_u32_e32 v44, v46, v1
	s_barrier
	ds_read2_b32 v[32:33], v32 offset1:2
	v_add_u32_e32 v42, v44, v43
	v_add_u32_e32 v40, v42, v45
	;; [unrolled: 1-line block ×5, first 2 shown]
	s_waitcnt lgkmcnt(0)
	v_readfirstlane_b32 s26, v32
	v_readfirstlane_b32 s16, v33
	v_lshrrev_b64 v[32:33], 24, v[30:31]
	s_branch .LBB222_381
.LBB222_371:
                                        ; implicit-def: $vgpr34
                                        ; implicit-def: $vgpr36
                                        ; implicit-def: $vgpr38
                                        ; implicit-def: $vgpr40
                                        ; implicit-def: $vgpr42
                                        ; implicit-def: $vgpr44
                                        ; implicit-def: $vgpr46
                                        ; implicit-def: $sgpr16
                                        ; implicit-def: $sgpr26
	v_lshrrev_b64 v[32:33], 24, v[30:31]
	s_cbranch_execz .LBB222_381
; %bb.372:
	s_nop 0
	v_mov_b32_dpp v33, v52 row_shr:1 row_mask:0xf bank_mask:0xf
	v_cndmask_b32_e64 v33, v33, 0, s[14:15]
	v_add_u32_e32 v33, v33, v52
	s_nop 1
	v_mov_b32_dpp v34, v33 row_shr:2 row_mask:0xf bank_mask:0xf
	v_cndmask_b32_e64 v34, 0, v34, s[12:13]
	v_add_u32_e32 v33, v33, v34
	;; [unrolled: 4-line block ×4, first 2 shown]
	s_nop 1
	v_mov_b32_dpp v34, v33 row_bcast:15 row_mask:0xf bank_mask:0xf
	v_cndmask_b32_e64 v34, v34, 0, s[6:7]
	v_add_u32_e32 v33, v33, v34
	s_nop 1
	v_mov_b32_dpp v34, v33 row_bcast:31 row_mask:0xf bank_mask:0xf
	v_cndmask_b32_e64 v34, 0, v34, s[18:19]
	v_add_u32_e32 v33, v33, v34
	s_and_saveexec_b64 s[2:3], s[4:5]
	s_cbranch_execz .LBB222_374
; %bb.373:
	v_lshlrev_b32_e32 v34, 2, v51
	ds_write_b32 v34, v33
.LBB222_374:
	s_or_b64 exec, exec, s[2:3]
	v_cmp_gt_u32_e32 vcc, 8, v0
	s_waitcnt lgkmcnt(0)
	s_barrier
	s_and_saveexec_b64 s[2:3], vcc
	s_cbranch_execz .LBB222_376
; %bb.375:
	v_lshlrev_b32_e32 v34, 2, v0
	ds_read_b32 v35, v34
	v_and_b32_e32 v36, 7, v50
	v_cmp_ne_u32_e32 vcc, 0, v36
	s_waitcnt lgkmcnt(0)
	v_mov_b32_dpp v37, v35 row_shr:1 row_mask:0xf bank_mask:0xf
	v_cndmask_b32_e32 v37, 0, v37, vcc
	v_add_u32_e32 v35, v37, v35
	v_cmp_lt_u32_e32 vcc, 1, v36
	s_nop 0
	v_mov_b32_dpp v37, v35 row_shr:2 row_mask:0xf bank_mask:0xf
	v_cndmask_b32_e32 v37, 0, v37, vcc
	v_add_u32_e32 v35, v35, v37
	v_cmp_lt_u32_e32 vcc, 3, v36
	s_nop 0
	v_mov_b32_dpp v37, v35 row_shr:4 row_mask:0xf bank_mask:0xf
	v_cndmask_b32_e32 v36, 0, v37, vcc
	v_add_u32_e32 v35, v35, v36
	ds_write_b32 v34, v35
.LBB222_376:
	s_or_b64 exec, exec, s[2:3]
	v_cmp_lt_u32_e32 vcc, 63, v0
	v_mov_b32_e32 v35, 0
	v_mov_b32_e32 v34, 0
	s_waitcnt lgkmcnt(0)
	s_barrier
	s_and_saveexec_b64 s[2:3], vcc
	s_cbranch_execz .LBB222_378
; %bb.377:
	v_lshl_add_u32 v34, v51, 2, -4
	ds_read_b32 v34, v34
.LBB222_378:
	s_or_b64 exec, exec, s[2:3]
	v_add_u32_e32 v36, -1, v50
	v_and_b32_e32 v37, 64, v50
	v_cmp_lt_i32_e32 vcc, v36, v37
	s_waitcnt lgkmcnt(0)
	v_add_u32_e32 v33, v34, v33
	ds_read_b32 v35, v35 offset:28
	v_cndmask_b32_e32 v36, v36, v50, vcc
	v_lshlrev_b32_e32 v36, 2, v36
	ds_bpermute_b32 v33, v36, v33
	s_mov_b32 s16, 0
	v_cmp_eq_u32_e32 vcc, 0, v0
	s_waitcnt lgkmcnt(1)
	v_readfirstlane_b32 s26, v35
	s_and_saveexec_b64 s[2:3], vcc
	s_cbranch_execz .LBB222_380
; %bb.379:
	v_mov_b32_e32 v35, 0
	v_mov_b32_e32 v36, s26
	;; [unrolled: 1-line block ×3, first 2 shown]
	global_store_dwordx2 v35, v[36:37], s[30:31] offset:512 sc1
.LBB222_380:
	s_or_b64 exec, exec, s[2:3]
	v_cmp_eq_u32_e64 s[2:3], 0, v50
	s_waitcnt lgkmcnt(0)
	s_barrier
	v_cndmask_b32_e64 v33, v33, v34, s[2:3]
	v_cndmask_b32_e64 v46, v33, 0, vcc
	v_add_u32_e32 v44, v46, v1
	v_add_u32_e32 v42, v44, v43
	;; [unrolled: 1-line block ×6, first 2 shown]
.LBB222_381:
	s_load_dwordx4 s[4:7], s[0:1], 0x28
	s_cmpk_lt_u32 s26, 0x201
	s_cselect_b64 s[2:3], -1, 0
	v_lshrrev_b32_e32 v33, 8, v30
	v_lshrrev_b32_e32 v1, 8, v31
	s_mov_b64 s[0:1], -1
	s_and_b64 vcc, exec, s[2:3]
	s_cbranch_vccz .LBB222_404
; %bb.382:
	s_add_i32 s8, s16, s26
	v_cmp_gt_u32_e32 vcc, s8, v46
	s_or_b64 s[10:11], s[34:35], vcc
	s_and_saveexec_b64 s[0:1], s[10:11]
	s_cbranch_execz .LBB222_385
; %bb.383:
	v_and_b32_e32 v35, 1, v30
	v_cmp_eq_u32_e32 vcc, 1, v35
	s_and_b64 exec, exec, vcc
	s_cbranch_execz .LBB222_385
; %bb.384:
	s_lshl_b64 s[10:11], s[22:23], 3
	s_waitcnt lgkmcnt(0)
	s_add_u32 s10, s4, s10
	s_addc_u32 s11, s5, s11
	v_mov_b32_e32 v47, 0
	v_lshl_add_u64 v[48:49], v[46:47], 3, s[10:11]
	global_store_dwordx2 v[48:49], v[22:23], off
.LBB222_385:
	s_or_b64 exec, exec, s[0:1]
	v_cmp_gt_u32_e32 vcc, s8, v44
	s_or_b64 s[10:11], s[34:35], vcc
	s_and_saveexec_b64 s[0:1], s[10:11]
	s_cbranch_execz .LBB222_388
; %bb.386:
	v_and_b32_e32 v35, 1, v33
	v_cmp_eq_u32_e32 vcc, 1, v35
	s_and_b64 exec, exec, vcc
	s_cbranch_execz .LBB222_388
; %bb.387:
	s_lshl_b64 s[10:11], s[22:23], 3
	s_waitcnt lgkmcnt(0)
	s_add_u32 s10, s4, s10
	s_addc_u32 s11, s5, s11
	v_mov_b32_e32 v45, 0
	v_lshl_add_u64 v[48:49], v[44:45], 3, s[10:11]
	global_store_dwordx2 v[48:49], v[24:25], off
.LBB222_388:
	s_or_b64 exec, exec, s[0:1]
	v_cmp_gt_u32_e32 vcc, s8, v42
	s_or_b64 s[10:11], s[34:35], vcc
	s_and_saveexec_b64 s[0:1], s[10:11]
	s_cbranch_execz .LBB222_391
; %bb.389:
	v_mov_b32_e32 v35, 1
	v_and_b32_sdwa v35, v35, v30 dst_sel:DWORD dst_unused:UNUSED_PAD src0_sel:DWORD src1_sel:WORD_1
	v_cmp_eq_u32_e32 vcc, 1, v35
	s_and_b64 exec, exec, vcc
	s_cbranch_execz .LBB222_391
; %bb.390:
	s_lshl_b64 s[10:11], s[22:23], 3
	s_waitcnt lgkmcnt(0)
	s_add_u32 s10, s4, s10
	s_addc_u32 s11, s5, s11
	v_mov_b32_e32 v43, 0
	v_lshl_add_u64 v[48:49], v[42:43], 3, s[10:11]
	global_store_dwordx2 v[48:49], v[18:19], off
.LBB222_391:
	s_or_b64 exec, exec, s[0:1]
	v_cmp_gt_u32_e32 vcc, s8, v40
	s_or_b64 s[10:11], s[34:35], vcc
	s_and_saveexec_b64 s[0:1], s[10:11]
	s_cbranch_execz .LBB222_394
; %bb.392:
	v_and_b32_e32 v35, 1, v32
	v_cmp_eq_u32_e32 vcc, 1, v35
	s_and_b64 exec, exec, vcc
	s_cbranch_execz .LBB222_394
; %bb.393:
	s_lshl_b64 s[10:11], s[22:23], 3
	s_waitcnt lgkmcnt(0)
	s_add_u32 s10, s4, s10
	s_addc_u32 s11, s5, s11
	v_mov_b32_e32 v41, 0
	v_lshl_add_u64 v[48:49], v[40:41], 3, s[10:11]
	global_store_dwordx2 v[48:49], v[20:21], off
.LBB222_394:
	s_or_b64 exec, exec, s[0:1]
	v_cmp_gt_u32_e32 vcc, s8, v38
	s_or_b64 s[10:11], s[34:35], vcc
	s_and_saveexec_b64 s[0:1], s[10:11]
	s_cbranch_execz .LBB222_397
; %bb.395:
	v_and_b32_e32 v35, 1, v31
	v_cmp_eq_u32_e32 vcc, 1, v35
	s_and_b64 exec, exec, vcc
	s_cbranch_execz .LBB222_397
; %bb.396:
	s_lshl_b64 s[10:11], s[22:23], 3
	s_waitcnt lgkmcnt(0)
	s_add_u32 s10, s4, s10
	s_addc_u32 s11, s5, s11
	v_mov_b32_e32 v39, 0
	v_lshl_add_u64 v[48:49], v[38:39], 3, s[10:11]
	global_store_dwordx2 v[48:49], v[14:15], off
.LBB222_397:
	;; [unrolled: 19-line block ×3, first 2 shown]
	s_or_b64 exec, exec, s[0:1]
	v_cmp_gt_u32_e32 vcc, s8, v34
	s_or_b64 s[8:9], s[34:35], vcc
	s_and_saveexec_b64 s[0:1], s[8:9]
	s_cbranch_execz .LBB222_403
; %bb.401:
	v_mov_b32_e32 v35, 1
	v_and_b32_sdwa v35, v35, v31 dst_sel:DWORD dst_unused:UNUSED_PAD src0_sel:DWORD src1_sel:WORD_1
	v_cmp_eq_u32_e32 vcc, 1, v35
	s_and_b64 exec, exec, vcc
	s_cbranch_execz .LBB222_403
; %bb.402:
	s_lshl_b64 s[8:9], s[22:23], 3
	s_waitcnt lgkmcnt(0)
	s_add_u32 s8, s4, s8
	s_addc_u32 s9, s5, s9
	v_mov_b32_e32 v35, 0
	v_lshl_add_u64 v[48:49], v[34:35], 3, s[8:9]
	global_store_dwordx2 v[48:49], v[28:29], off
.LBB222_403:
	s_or_b64 exec, exec, s[0:1]
	s_mov_b64 s[0:1], 0
.LBB222_404:
	v_and_b32_e32 v48, 1, v30
	s_and_b64 vcc, exec, s[0:1]
	v_cmp_eq_u32_e64 s[0:1], 1, v48
	s_cbranch_vccz .LBB222_423
; %bb.405:
	s_and_saveexec_b64 s[8:9], s[0:1]
	s_cbranch_execz .LBB222_407
; %bb.406:
	v_subrev_u32_e32 v35, s16, v46
	v_lshlrev_b32_e32 v35, 3, v35
	ds_write_b64 v35, v[22:23]
.LBB222_407:
	s_or_b64 exec, exec, s[8:9]
	v_and_b32_e32 v22, 1, v33
	v_cmp_eq_u32_e32 vcc, 1, v22
	s_and_saveexec_b64 s[0:1], vcc
	s_cbranch_execz .LBB222_409
; %bb.408:
	v_subrev_u32_e32 v22, s16, v44
	v_lshlrev_b32_e32 v22, 3, v22
	ds_write_b64 v22, v[24:25]
.LBB222_409:
	s_or_b64 exec, exec, s[0:1]
	v_mov_b32_e32 v22, 1
	v_and_b32_sdwa v22, v22, v30 dst_sel:DWORD dst_unused:UNUSED_PAD src0_sel:DWORD src1_sel:WORD_1
	v_cmp_eq_u32_e32 vcc, 1, v22
	s_and_saveexec_b64 s[0:1], vcc
	s_cbranch_execz .LBB222_411
; %bb.410:
	v_subrev_u32_e32 v22, s16, v42
	v_lshlrev_b32_e32 v22, 3, v22
	ds_write_b64 v22, v[18:19]
.LBB222_411:
	s_or_b64 exec, exec, s[0:1]
	v_and_b32_e32 v18, 1, v32
	v_cmp_eq_u32_e32 vcc, 1, v18
	s_and_saveexec_b64 s[0:1], vcc
	s_cbranch_execz .LBB222_413
; %bb.412:
	v_subrev_u32_e32 v18, s16, v40
	v_lshlrev_b32_e32 v18, 3, v18
	ds_write_b64 v18, v[20:21]
.LBB222_413:
	s_or_b64 exec, exec, s[0:1]
	v_and_b32_e32 v18, 1, v31
	v_cmp_eq_u32_e32 vcc, 1, v18
	s_and_saveexec_b64 s[0:1], vcc
	s_cbranch_execz .LBB222_415
; %bb.414:
	v_subrev_u32_e32 v18, s16, v38
	v_lshlrev_b32_e32 v18, 3, v18
	ds_write_b64 v18, v[14:15]
.LBB222_415:
	s_or_b64 exec, exec, s[0:1]
	v_and_b32_e32 v14, 1, v1
	v_cmp_eq_u32_e32 vcc, 1, v14
	s_and_saveexec_b64 s[0:1], vcc
	s_cbranch_execz .LBB222_417
; %bb.416:
	v_subrev_u32_e32 v14, s16, v36
	v_lshlrev_b32_e32 v14, 3, v14
	ds_write_b64 v14, v[16:17]
.LBB222_417:
	s_or_b64 exec, exec, s[0:1]
	v_mov_b32_e32 v14, 1
	v_and_b32_sdwa v14, v14, v31 dst_sel:DWORD dst_unused:UNUSED_PAD src0_sel:DWORD src1_sel:WORD_1
	v_cmp_eq_u32_e32 vcc, 1, v14
	s_and_saveexec_b64 s[0:1], vcc
	s_cbranch_execz .LBB222_419
; %bb.418:
	v_subrev_u32_e32 v14, s16, v34
	v_lshlrev_b32_e32 v14, 3, v14
	ds_write_b64 v14, v[28:29]
.LBB222_419:
	s_or_b64 exec, exec, s[0:1]
	v_cmp_gt_u32_e32 vcc, s26, v0
	s_waitcnt lgkmcnt(0)
	s_barrier
	s_and_saveexec_b64 s[0:1], vcc
	s_cbranch_execz .LBB222_422
; %bb.420:
	s_mov_b32 s17, 0
	s_lshl_b64 s[8:9], s[22:23], 3
	s_lshl_b64 s[10:11], s[16:17], 3
	s_add_u32 s8, s8, s10
	s_addc_u32 s9, s9, s11
	s_add_u32 s4, s4, s8
	v_lshlrev_b32_e32 v14, 3, v0
	v_mov_b32_e32 v15, 0
	s_addc_u32 s5, s5, s9
	v_lshl_add_u64 v[16:17], s[4:5], 0, v[14:15]
	s_mov_b64 s[4:5], 0
	s_mov_b64 s[8:9], 0x1000
	v_mov_b32_e32 v15, v0
.LBB222_421:                            ; =>This Inner Loop Header: Depth=1
	ds_read_b64 v[18:19], v14
	v_add_u32_e32 v15, 0x200, v15
	v_cmp_le_u32_e32 vcc, s26, v15
	v_add_u32_e32 v14, 0x1000, v14
	s_or_b64 s[4:5], vcc, s[4:5]
	s_waitcnt lgkmcnt(0)
	global_store_dwordx2 v[16:17], v[18:19], off
	v_lshl_add_u64 v[16:17], v[16:17], 0, s[8:9]
	s_andn2_b64 exec, exec, s[4:5]
	s_cbranch_execnz .LBB222_421
.LBB222_422:
	s_or_b64 exec, exec, s[0:1]
.LBB222_423:
	s_mov_b64 s[0:1], -1
	s_and_b64 vcc, exec, s[2:3]
	s_waitcnt lgkmcnt(0)
	s_barrier
	s_cbranch_vccnz .LBB222_427
; %bb.424:
	s_and_b64 vcc, exec, s[0:1]
	s_cbranch_vccnz .LBB222_449
.LBB222_425:
	v_cmp_eq_u32_e32 vcc, 0, v0
	s_and_b64 s[0:1], vcc, s[24:25]
	s_and_saveexec_b64 s[2:3], s[0:1]
	s_cbranch_execnz .LBB222_467
.LBB222_426:
	s_endpgm
.LBB222_427:
	s_add_i32 s2, s16, s26
	v_cmp_gt_u32_e32 vcc, s2, v46
	s_or_b64 s[4:5], s[34:35], vcc
	s_and_saveexec_b64 s[0:1], s[4:5]
	s_cbranch_execz .LBB222_430
; %bb.428:
	v_cmp_eq_u32_e32 vcc, 1, v48
	s_and_b64 exec, exec, vcc
	s_cbranch_execz .LBB222_430
; %bb.429:
	s_lshl_b64 s[4:5], s[22:23], 3
	s_add_u32 s4, s6, s4
	s_addc_u32 s5, s7, s5
	v_mov_b32_e32 v47, 0
	v_lshl_add_u64 v[14:15], v[46:47], 3, s[4:5]
	global_store_dwordx2 v[14:15], v[10:11], off
.LBB222_430:
	s_or_b64 exec, exec, s[0:1]
	v_cmp_gt_u32_e32 vcc, s2, v44
	s_or_b64 s[4:5], s[34:35], vcc
	s_and_saveexec_b64 s[0:1], s[4:5]
	s_cbranch_execz .LBB222_433
; %bb.431:
	v_and_b32_e32 v14, 1, v33
	v_cmp_eq_u32_e32 vcc, 1, v14
	s_and_b64 exec, exec, vcc
	s_cbranch_execz .LBB222_433
; %bb.432:
	s_lshl_b64 s[4:5], s[22:23], 3
	s_add_u32 s4, s6, s4
	s_addc_u32 s5, s7, s5
	v_mov_b32_e32 v45, 0
	v_lshl_add_u64 v[14:15], v[44:45], 3, s[4:5]
	global_store_dwordx2 v[14:15], v[12:13], off
.LBB222_433:
	s_or_b64 exec, exec, s[0:1]
	v_cmp_gt_u32_e32 vcc, s2, v42
	s_or_b64 s[4:5], s[34:35], vcc
	s_and_saveexec_b64 s[0:1], s[4:5]
	s_cbranch_execz .LBB222_436
; %bb.434:
	v_mov_b32_e32 v14, 1
	v_and_b32_sdwa v14, v14, v30 dst_sel:DWORD dst_unused:UNUSED_PAD src0_sel:DWORD src1_sel:WORD_1
	v_cmp_eq_u32_e32 vcc, 1, v14
	s_and_b64 exec, exec, vcc
	s_cbranch_execz .LBB222_436
; %bb.435:
	s_lshl_b64 s[4:5], s[22:23], 3
	s_add_u32 s4, s6, s4
	s_addc_u32 s5, s7, s5
	v_mov_b32_e32 v43, 0
	v_lshl_add_u64 v[14:15], v[42:43], 3, s[4:5]
	global_store_dwordx2 v[14:15], v[6:7], off
.LBB222_436:
	s_or_b64 exec, exec, s[0:1]
	v_cmp_gt_u32_e32 vcc, s2, v40
	s_or_b64 s[4:5], s[34:35], vcc
	s_and_saveexec_b64 s[0:1], s[4:5]
	s_cbranch_execz .LBB222_439
; %bb.437:
	v_and_b32_e32 v14, 1, v32
	v_cmp_eq_u32_e32 vcc, 1, v14
	s_and_b64 exec, exec, vcc
	s_cbranch_execz .LBB222_439
; %bb.438:
	s_lshl_b64 s[4:5], s[22:23], 3
	s_add_u32 s4, s6, s4
	s_addc_u32 s5, s7, s5
	v_mov_b32_e32 v41, 0
	v_lshl_add_u64 v[14:15], v[40:41], 3, s[4:5]
	global_store_dwordx2 v[14:15], v[8:9], off
.LBB222_439:
	s_or_b64 exec, exec, s[0:1]
	v_cmp_gt_u32_e32 vcc, s2, v38
	s_or_b64 s[4:5], s[34:35], vcc
	s_and_saveexec_b64 s[0:1], s[4:5]
	s_cbranch_execz .LBB222_442
; %bb.440:
	v_and_b32_e32 v14, 1, v31
	v_cmp_eq_u32_e32 vcc, 1, v14
	s_and_b64 exec, exec, vcc
	s_cbranch_execz .LBB222_442
; %bb.441:
	s_lshl_b64 s[4:5], s[22:23], 3
	s_add_u32 s4, s6, s4
	s_addc_u32 s5, s7, s5
	v_mov_b32_e32 v39, 0
	v_lshl_add_u64 v[14:15], v[38:39], 3, s[4:5]
	global_store_dwordx2 v[14:15], v[2:3], off
.LBB222_442:
	;; [unrolled: 18-line block ×3, first 2 shown]
	s_or_b64 exec, exec, s[0:1]
	v_cmp_gt_u32_e32 vcc, s2, v34
	s_or_b64 s[2:3], s[34:35], vcc
	s_and_saveexec_b64 s[0:1], s[2:3]
	s_cbranch_execz .LBB222_448
; %bb.446:
	v_mov_b32_e32 v14, 1
	v_and_b32_sdwa v14, v14, v31 dst_sel:DWORD dst_unused:UNUSED_PAD src0_sel:DWORD src1_sel:WORD_1
	v_cmp_eq_u32_e32 vcc, 1, v14
	s_and_b64 exec, exec, vcc
	s_cbranch_execz .LBB222_448
; %bb.447:
	s_lshl_b64 s[2:3], s[22:23], 3
	s_add_u32 s2, s6, s2
	s_addc_u32 s3, s7, s3
	v_mov_b32_e32 v35, 0
	v_lshl_add_u64 v[14:15], v[34:35], 3, s[2:3]
	global_store_dwordx2 v[14:15], v[26:27], off
.LBB222_448:
	s_or_b64 exec, exec, s[0:1]
	s_branch .LBB222_425
.LBB222_449:
	v_cmp_eq_u32_e32 vcc, 1, v48
	s_and_saveexec_b64 s[0:1], vcc
	s_cbranch_execz .LBB222_451
; %bb.450:
	v_subrev_u32_e32 v14, s16, v46
	v_lshlrev_b32_e32 v14, 3, v14
	ds_write_b64 v14, v[10:11]
.LBB222_451:
	s_or_b64 exec, exec, s[0:1]
	v_and_b32_e32 v10, 1, v33
	v_cmp_eq_u32_e32 vcc, 1, v10
	s_and_saveexec_b64 s[0:1], vcc
	s_cbranch_execz .LBB222_453
; %bb.452:
	v_subrev_u32_e32 v10, s16, v44
	v_lshlrev_b32_e32 v10, 3, v10
	ds_write_b64 v10, v[12:13]
.LBB222_453:
	s_or_b64 exec, exec, s[0:1]
	v_mov_b32_e32 v10, 1
	v_and_b32_sdwa v10, v10, v30 dst_sel:DWORD dst_unused:UNUSED_PAD src0_sel:DWORD src1_sel:WORD_1
	v_cmp_eq_u32_e32 vcc, 1, v10
	s_and_saveexec_b64 s[0:1], vcc
	s_cbranch_execz .LBB222_455
; %bb.454:
	v_subrev_u32_e32 v10, s16, v42
	v_lshlrev_b32_e32 v10, 3, v10
	ds_write_b64 v10, v[6:7]
.LBB222_455:
	s_or_b64 exec, exec, s[0:1]
	v_and_b32_e32 v6, 1, v32
	v_cmp_eq_u32_e32 vcc, 1, v6
	s_and_saveexec_b64 s[0:1], vcc
	s_cbranch_execz .LBB222_457
; %bb.456:
	v_subrev_u32_e32 v6, s16, v40
	v_lshlrev_b32_e32 v6, 3, v6
	ds_write_b64 v6, v[8:9]
.LBB222_457:
	s_or_b64 exec, exec, s[0:1]
	v_and_b32_e32 v6, 1, v31
	;; [unrolled: 10-line block ×3, first 2 shown]
	v_cmp_eq_u32_e32 vcc, 1, v1
	s_and_saveexec_b64 s[0:1], vcc
	s_cbranch_execz .LBB222_461
; %bb.460:
	v_subrev_u32_e32 v1, s16, v36
	v_lshlrev_b32_e32 v1, 3, v1
	ds_write_b64 v1, v[4:5]
.LBB222_461:
	s_or_b64 exec, exec, s[0:1]
	v_mov_b32_e32 v1, 1
	v_and_b32_sdwa v1, v1, v31 dst_sel:DWORD dst_unused:UNUSED_PAD src0_sel:DWORD src1_sel:WORD_1
	v_cmp_eq_u32_e32 vcc, 1, v1
	s_and_saveexec_b64 s[0:1], vcc
	s_cbranch_execz .LBB222_463
; %bb.462:
	v_subrev_u32_e32 v1, s16, v34
	v_lshlrev_b32_e32 v1, 3, v1
	ds_write_b64 v1, v[26:27]
.LBB222_463:
	s_or_b64 exec, exec, s[0:1]
	v_cmp_gt_u32_e32 vcc, s26, v0
	s_waitcnt lgkmcnt(0)
	s_barrier
	s_and_saveexec_b64 s[0:1], vcc
	s_cbranch_execz .LBB222_466
; %bb.464:
	s_mov_b32 s17, 0
	s_lshl_b64 s[2:3], s[22:23], 3
	s_lshl_b64 s[4:5], s[16:17], 3
	s_add_u32 s2, s2, s4
	s_addc_u32 s3, s3, s5
	s_add_u32 s2, s6, s2
	v_lshlrev_b32_e32 v2, 3, v0
	v_mov_b32_e32 v3, 0
	s_addc_u32 s3, s7, s3
	v_lshl_add_u64 v[4:5], s[2:3], 0, v[2:3]
	s_mov_b64 s[2:3], 0
	s_mov_b64 s[4:5], 0x1000
	v_mov_b32_e32 v1, v0
.LBB222_465:                            ; =>This Inner Loop Header: Depth=1
	ds_read_b64 v[6:7], v2
	v_add_u32_e32 v1, 0x200, v1
	v_cmp_le_u32_e32 vcc, s26, v1
	v_add_u32_e32 v2, 0x1000, v2
	s_or_b64 s[2:3], vcc, s[2:3]
	s_waitcnt lgkmcnt(0)
	global_store_dwordx2 v[4:5], v[6:7], off
	v_lshl_add_u64 v[4:5], v[4:5], 0, s[4:5]
	s_andn2_b64 exec, exec, s[2:3]
	s_cbranch_execnz .LBB222_465
.LBB222_466:
	s_or_b64 exec, exec, s[0:1]
	v_cmp_eq_u32_e32 vcc, 0, v0
	s_and_b64 s[0:1], vcc, s[24:25]
	s_and_saveexec_b64 s[2:3], s[0:1]
	s_cbranch_execz .LBB222_426
.LBB222_467:
	s_add_u32 s0, s22, s26
	s_addc_u32 s1, s23, 0
	s_add_u32 s0, s0, s16
	s_addc_u32 s1, s1, 0
	v_mov_b32_e32 v2, 0
	v_mov_b64_e32 v[0:1], s[0:1]
	global_store_dwordx2 v2, v[0:1], s[20:21]
	s_endpgm
	.section	.rodata,"a",@progbits
	.p2align	6, 0x0
	.amdhsa_kernel _ZN7rocprim17ROCPRIM_400000_NS6detail17trampoline_kernelINS0_14default_configENS1_25partition_config_selectorILNS1_17partition_subalgoE9EllbEEZZNS1_14partition_implILS5_9ELb0ES3_jPlS8_PNS0_10empty_typeENS0_5tupleIJS8_S9_EEENSB_IJS8_SA_EEENS0_18inequality_wrapperIZN2at6native12_GLOBAL__N_124unique_dim_cuda_templateIhEESt5tupleIJNSF_6TensorESK_SK_EERKSK_lbbbEUlllE0_EEPmJS9_EEE10hipError_tPvRmT3_T4_T5_T6_T7_T9_mT8_P12ihipStream_tbDpT10_ENKUlT_T0_E_clISt17integral_constantIbLb1EES19_IbLb0EEEEDaS15_S16_EUlS15_E_NS1_11comp_targetILNS1_3genE5ELNS1_11target_archE942ELNS1_3gpuE9ELNS1_3repE0EEENS1_30default_config_static_selectorELNS0_4arch9wavefront6targetE1EEEvT1_
		.amdhsa_group_segment_fixed_size 28684
		.amdhsa_private_segment_fixed_size 0
		.amdhsa_kernarg_size 120
		.amdhsa_user_sgpr_count 2
		.amdhsa_user_sgpr_dispatch_ptr 0
		.amdhsa_user_sgpr_queue_ptr 0
		.amdhsa_user_sgpr_kernarg_segment_ptr 1
		.amdhsa_user_sgpr_dispatch_id 0
		.amdhsa_user_sgpr_kernarg_preload_length 0
		.amdhsa_user_sgpr_kernarg_preload_offset 0
		.amdhsa_user_sgpr_private_segment_size 0
		.amdhsa_uses_dynamic_stack 0
		.amdhsa_enable_private_segment 0
		.amdhsa_system_sgpr_workgroup_id_x 1
		.amdhsa_system_sgpr_workgroup_id_y 0
		.amdhsa_system_sgpr_workgroup_id_z 0
		.amdhsa_system_sgpr_workgroup_info 0
		.amdhsa_system_vgpr_workitem_id 0
		.amdhsa_next_free_vgpr 66
		.amdhsa_next_free_sgpr 52
		.amdhsa_accum_offset 68
		.amdhsa_reserve_vcc 1
		.amdhsa_float_round_mode_32 0
		.amdhsa_float_round_mode_16_64 0
		.amdhsa_float_denorm_mode_32 3
		.amdhsa_float_denorm_mode_16_64 3
		.amdhsa_dx10_clamp 1
		.amdhsa_ieee_mode 1
		.amdhsa_fp16_overflow 0
		.amdhsa_tg_split 0
		.amdhsa_exception_fp_ieee_invalid_op 0
		.amdhsa_exception_fp_denorm_src 0
		.amdhsa_exception_fp_ieee_div_zero 0
		.amdhsa_exception_fp_ieee_overflow 0
		.amdhsa_exception_fp_ieee_underflow 0
		.amdhsa_exception_fp_ieee_inexact 0
		.amdhsa_exception_int_div_zero 0
	.end_amdhsa_kernel
	.section	.text._ZN7rocprim17ROCPRIM_400000_NS6detail17trampoline_kernelINS0_14default_configENS1_25partition_config_selectorILNS1_17partition_subalgoE9EllbEEZZNS1_14partition_implILS5_9ELb0ES3_jPlS8_PNS0_10empty_typeENS0_5tupleIJS8_S9_EEENSB_IJS8_SA_EEENS0_18inequality_wrapperIZN2at6native12_GLOBAL__N_124unique_dim_cuda_templateIhEESt5tupleIJNSF_6TensorESK_SK_EERKSK_lbbbEUlllE0_EEPmJS9_EEE10hipError_tPvRmT3_T4_T5_T6_T7_T9_mT8_P12ihipStream_tbDpT10_ENKUlT_T0_E_clISt17integral_constantIbLb1EES19_IbLb0EEEEDaS15_S16_EUlS15_E_NS1_11comp_targetILNS1_3genE5ELNS1_11target_archE942ELNS1_3gpuE9ELNS1_3repE0EEENS1_30default_config_static_selectorELNS0_4arch9wavefront6targetE1EEEvT1_,"axG",@progbits,_ZN7rocprim17ROCPRIM_400000_NS6detail17trampoline_kernelINS0_14default_configENS1_25partition_config_selectorILNS1_17partition_subalgoE9EllbEEZZNS1_14partition_implILS5_9ELb0ES3_jPlS8_PNS0_10empty_typeENS0_5tupleIJS8_S9_EEENSB_IJS8_SA_EEENS0_18inequality_wrapperIZN2at6native12_GLOBAL__N_124unique_dim_cuda_templateIhEESt5tupleIJNSF_6TensorESK_SK_EERKSK_lbbbEUlllE0_EEPmJS9_EEE10hipError_tPvRmT3_T4_T5_T6_T7_T9_mT8_P12ihipStream_tbDpT10_ENKUlT_T0_E_clISt17integral_constantIbLb1EES19_IbLb0EEEEDaS15_S16_EUlS15_E_NS1_11comp_targetILNS1_3genE5ELNS1_11target_archE942ELNS1_3gpuE9ELNS1_3repE0EEENS1_30default_config_static_selectorELNS0_4arch9wavefront6targetE1EEEvT1_,comdat
.Lfunc_end222:
	.size	_ZN7rocprim17ROCPRIM_400000_NS6detail17trampoline_kernelINS0_14default_configENS1_25partition_config_selectorILNS1_17partition_subalgoE9EllbEEZZNS1_14partition_implILS5_9ELb0ES3_jPlS8_PNS0_10empty_typeENS0_5tupleIJS8_S9_EEENSB_IJS8_SA_EEENS0_18inequality_wrapperIZN2at6native12_GLOBAL__N_124unique_dim_cuda_templateIhEESt5tupleIJNSF_6TensorESK_SK_EERKSK_lbbbEUlllE0_EEPmJS9_EEE10hipError_tPvRmT3_T4_T5_T6_T7_T9_mT8_P12ihipStream_tbDpT10_ENKUlT_T0_E_clISt17integral_constantIbLb1EES19_IbLb0EEEEDaS15_S16_EUlS15_E_NS1_11comp_targetILNS1_3genE5ELNS1_11target_archE942ELNS1_3gpuE9ELNS1_3repE0EEENS1_30default_config_static_selectorELNS0_4arch9wavefront6targetE1EEEvT1_, .Lfunc_end222-_ZN7rocprim17ROCPRIM_400000_NS6detail17trampoline_kernelINS0_14default_configENS1_25partition_config_selectorILNS1_17partition_subalgoE9EllbEEZZNS1_14partition_implILS5_9ELb0ES3_jPlS8_PNS0_10empty_typeENS0_5tupleIJS8_S9_EEENSB_IJS8_SA_EEENS0_18inequality_wrapperIZN2at6native12_GLOBAL__N_124unique_dim_cuda_templateIhEESt5tupleIJNSF_6TensorESK_SK_EERKSK_lbbbEUlllE0_EEPmJS9_EEE10hipError_tPvRmT3_T4_T5_T6_T7_T9_mT8_P12ihipStream_tbDpT10_ENKUlT_T0_E_clISt17integral_constantIbLb1EES19_IbLb0EEEEDaS15_S16_EUlS15_E_NS1_11comp_targetILNS1_3genE5ELNS1_11target_archE942ELNS1_3gpuE9ELNS1_3repE0EEENS1_30default_config_static_selectorELNS0_4arch9wavefront6targetE1EEEvT1_
                                        ; -- End function
	.section	.AMDGPU.csdata,"",@progbits
; Kernel info:
; codeLenInByte = 13708
; NumSgprs: 58
; NumVgprs: 66
; NumAgprs: 0
; TotalNumVgprs: 66
; ScratchSize: 0
; MemoryBound: 0
; FloatMode: 240
; IeeeMode: 1
; LDSByteSize: 28684 bytes/workgroup (compile time only)
; SGPRBlocks: 7
; VGPRBlocks: 8
; NumSGPRsForWavesPerEU: 58
; NumVGPRsForWavesPerEU: 66
; AccumOffset: 68
; Occupancy: 4
; WaveLimiterHint : 1
; COMPUTE_PGM_RSRC2:SCRATCH_EN: 0
; COMPUTE_PGM_RSRC2:USER_SGPR: 2
; COMPUTE_PGM_RSRC2:TRAP_HANDLER: 0
; COMPUTE_PGM_RSRC2:TGID_X_EN: 1
; COMPUTE_PGM_RSRC2:TGID_Y_EN: 0
; COMPUTE_PGM_RSRC2:TGID_Z_EN: 0
; COMPUTE_PGM_RSRC2:TIDIG_COMP_CNT: 0
; COMPUTE_PGM_RSRC3_GFX90A:ACCUM_OFFSET: 16
; COMPUTE_PGM_RSRC3_GFX90A:TG_SPLIT: 0
	.section	.text._ZN7rocprim17ROCPRIM_400000_NS6detail17trampoline_kernelINS0_14default_configENS1_25partition_config_selectorILNS1_17partition_subalgoE9EllbEEZZNS1_14partition_implILS5_9ELb0ES3_jPlS8_PNS0_10empty_typeENS0_5tupleIJS8_S9_EEENSB_IJS8_SA_EEENS0_18inequality_wrapperIZN2at6native12_GLOBAL__N_124unique_dim_cuda_templateIhEESt5tupleIJNSF_6TensorESK_SK_EERKSK_lbbbEUlllE0_EEPmJS9_EEE10hipError_tPvRmT3_T4_T5_T6_T7_T9_mT8_P12ihipStream_tbDpT10_ENKUlT_T0_E_clISt17integral_constantIbLb1EES19_IbLb0EEEEDaS15_S16_EUlS15_E_NS1_11comp_targetILNS1_3genE4ELNS1_11target_archE910ELNS1_3gpuE8ELNS1_3repE0EEENS1_30default_config_static_selectorELNS0_4arch9wavefront6targetE1EEEvT1_,"axG",@progbits,_ZN7rocprim17ROCPRIM_400000_NS6detail17trampoline_kernelINS0_14default_configENS1_25partition_config_selectorILNS1_17partition_subalgoE9EllbEEZZNS1_14partition_implILS5_9ELb0ES3_jPlS8_PNS0_10empty_typeENS0_5tupleIJS8_S9_EEENSB_IJS8_SA_EEENS0_18inequality_wrapperIZN2at6native12_GLOBAL__N_124unique_dim_cuda_templateIhEESt5tupleIJNSF_6TensorESK_SK_EERKSK_lbbbEUlllE0_EEPmJS9_EEE10hipError_tPvRmT3_T4_T5_T6_T7_T9_mT8_P12ihipStream_tbDpT10_ENKUlT_T0_E_clISt17integral_constantIbLb1EES19_IbLb0EEEEDaS15_S16_EUlS15_E_NS1_11comp_targetILNS1_3genE4ELNS1_11target_archE910ELNS1_3gpuE8ELNS1_3repE0EEENS1_30default_config_static_selectorELNS0_4arch9wavefront6targetE1EEEvT1_,comdat
	.globl	_ZN7rocprim17ROCPRIM_400000_NS6detail17trampoline_kernelINS0_14default_configENS1_25partition_config_selectorILNS1_17partition_subalgoE9EllbEEZZNS1_14partition_implILS5_9ELb0ES3_jPlS8_PNS0_10empty_typeENS0_5tupleIJS8_S9_EEENSB_IJS8_SA_EEENS0_18inequality_wrapperIZN2at6native12_GLOBAL__N_124unique_dim_cuda_templateIhEESt5tupleIJNSF_6TensorESK_SK_EERKSK_lbbbEUlllE0_EEPmJS9_EEE10hipError_tPvRmT3_T4_T5_T6_T7_T9_mT8_P12ihipStream_tbDpT10_ENKUlT_T0_E_clISt17integral_constantIbLb1EES19_IbLb0EEEEDaS15_S16_EUlS15_E_NS1_11comp_targetILNS1_3genE4ELNS1_11target_archE910ELNS1_3gpuE8ELNS1_3repE0EEENS1_30default_config_static_selectorELNS0_4arch9wavefront6targetE1EEEvT1_ ; -- Begin function _ZN7rocprim17ROCPRIM_400000_NS6detail17trampoline_kernelINS0_14default_configENS1_25partition_config_selectorILNS1_17partition_subalgoE9EllbEEZZNS1_14partition_implILS5_9ELb0ES3_jPlS8_PNS0_10empty_typeENS0_5tupleIJS8_S9_EEENSB_IJS8_SA_EEENS0_18inequality_wrapperIZN2at6native12_GLOBAL__N_124unique_dim_cuda_templateIhEESt5tupleIJNSF_6TensorESK_SK_EERKSK_lbbbEUlllE0_EEPmJS9_EEE10hipError_tPvRmT3_T4_T5_T6_T7_T9_mT8_P12ihipStream_tbDpT10_ENKUlT_T0_E_clISt17integral_constantIbLb1EES19_IbLb0EEEEDaS15_S16_EUlS15_E_NS1_11comp_targetILNS1_3genE4ELNS1_11target_archE910ELNS1_3gpuE8ELNS1_3repE0EEENS1_30default_config_static_selectorELNS0_4arch9wavefront6targetE1EEEvT1_
	.p2align	8
	.type	_ZN7rocprim17ROCPRIM_400000_NS6detail17trampoline_kernelINS0_14default_configENS1_25partition_config_selectorILNS1_17partition_subalgoE9EllbEEZZNS1_14partition_implILS5_9ELb0ES3_jPlS8_PNS0_10empty_typeENS0_5tupleIJS8_S9_EEENSB_IJS8_SA_EEENS0_18inequality_wrapperIZN2at6native12_GLOBAL__N_124unique_dim_cuda_templateIhEESt5tupleIJNSF_6TensorESK_SK_EERKSK_lbbbEUlllE0_EEPmJS9_EEE10hipError_tPvRmT3_T4_T5_T6_T7_T9_mT8_P12ihipStream_tbDpT10_ENKUlT_T0_E_clISt17integral_constantIbLb1EES19_IbLb0EEEEDaS15_S16_EUlS15_E_NS1_11comp_targetILNS1_3genE4ELNS1_11target_archE910ELNS1_3gpuE8ELNS1_3repE0EEENS1_30default_config_static_selectorELNS0_4arch9wavefront6targetE1EEEvT1_,@function
_ZN7rocprim17ROCPRIM_400000_NS6detail17trampoline_kernelINS0_14default_configENS1_25partition_config_selectorILNS1_17partition_subalgoE9EllbEEZZNS1_14partition_implILS5_9ELb0ES3_jPlS8_PNS0_10empty_typeENS0_5tupleIJS8_S9_EEENSB_IJS8_SA_EEENS0_18inequality_wrapperIZN2at6native12_GLOBAL__N_124unique_dim_cuda_templateIhEESt5tupleIJNSF_6TensorESK_SK_EERKSK_lbbbEUlllE0_EEPmJS9_EEE10hipError_tPvRmT3_T4_T5_T6_T7_T9_mT8_P12ihipStream_tbDpT10_ENKUlT_T0_E_clISt17integral_constantIbLb1EES19_IbLb0EEEEDaS15_S16_EUlS15_E_NS1_11comp_targetILNS1_3genE4ELNS1_11target_archE910ELNS1_3gpuE8ELNS1_3repE0EEENS1_30default_config_static_selectorELNS0_4arch9wavefront6targetE1EEEvT1_: ; @_ZN7rocprim17ROCPRIM_400000_NS6detail17trampoline_kernelINS0_14default_configENS1_25partition_config_selectorILNS1_17partition_subalgoE9EllbEEZZNS1_14partition_implILS5_9ELb0ES3_jPlS8_PNS0_10empty_typeENS0_5tupleIJS8_S9_EEENSB_IJS8_SA_EEENS0_18inequality_wrapperIZN2at6native12_GLOBAL__N_124unique_dim_cuda_templateIhEESt5tupleIJNSF_6TensorESK_SK_EERKSK_lbbbEUlllE0_EEPmJS9_EEE10hipError_tPvRmT3_T4_T5_T6_T7_T9_mT8_P12ihipStream_tbDpT10_ENKUlT_T0_E_clISt17integral_constantIbLb1EES19_IbLb0EEEEDaS15_S16_EUlS15_E_NS1_11comp_targetILNS1_3genE4ELNS1_11target_archE910ELNS1_3gpuE8ELNS1_3repE0EEENS1_30default_config_static_selectorELNS0_4arch9wavefront6targetE1EEEvT1_
; %bb.0:
	.section	.rodata,"a",@progbits
	.p2align	6, 0x0
	.amdhsa_kernel _ZN7rocprim17ROCPRIM_400000_NS6detail17trampoline_kernelINS0_14default_configENS1_25partition_config_selectorILNS1_17partition_subalgoE9EllbEEZZNS1_14partition_implILS5_9ELb0ES3_jPlS8_PNS0_10empty_typeENS0_5tupleIJS8_S9_EEENSB_IJS8_SA_EEENS0_18inequality_wrapperIZN2at6native12_GLOBAL__N_124unique_dim_cuda_templateIhEESt5tupleIJNSF_6TensorESK_SK_EERKSK_lbbbEUlllE0_EEPmJS9_EEE10hipError_tPvRmT3_T4_T5_T6_T7_T9_mT8_P12ihipStream_tbDpT10_ENKUlT_T0_E_clISt17integral_constantIbLb1EES19_IbLb0EEEEDaS15_S16_EUlS15_E_NS1_11comp_targetILNS1_3genE4ELNS1_11target_archE910ELNS1_3gpuE8ELNS1_3repE0EEENS1_30default_config_static_selectorELNS0_4arch9wavefront6targetE1EEEvT1_
		.amdhsa_group_segment_fixed_size 0
		.amdhsa_private_segment_fixed_size 0
		.amdhsa_kernarg_size 120
		.amdhsa_user_sgpr_count 2
		.amdhsa_user_sgpr_dispatch_ptr 0
		.amdhsa_user_sgpr_queue_ptr 0
		.amdhsa_user_sgpr_kernarg_segment_ptr 1
		.amdhsa_user_sgpr_dispatch_id 0
		.amdhsa_user_sgpr_kernarg_preload_length 0
		.amdhsa_user_sgpr_kernarg_preload_offset 0
		.amdhsa_user_sgpr_private_segment_size 0
		.amdhsa_uses_dynamic_stack 0
		.amdhsa_enable_private_segment 0
		.amdhsa_system_sgpr_workgroup_id_x 1
		.amdhsa_system_sgpr_workgroup_id_y 0
		.amdhsa_system_sgpr_workgroup_id_z 0
		.amdhsa_system_sgpr_workgroup_info 0
		.amdhsa_system_vgpr_workitem_id 0
		.amdhsa_next_free_vgpr 1
		.amdhsa_next_free_sgpr 0
		.amdhsa_accum_offset 4
		.amdhsa_reserve_vcc 0
		.amdhsa_float_round_mode_32 0
		.amdhsa_float_round_mode_16_64 0
		.amdhsa_float_denorm_mode_32 3
		.amdhsa_float_denorm_mode_16_64 3
		.amdhsa_dx10_clamp 1
		.amdhsa_ieee_mode 1
		.amdhsa_fp16_overflow 0
		.amdhsa_tg_split 0
		.amdhsa_exception_fp_ieee_invalid_op 0
		.amdhsa_exception_fp_denorm_src 0
		.amdhsa_exception_fp_ieee_div_zero 0
		.amdhsa_exception_fp_ieee_overflow 0
		.amdhsa_exception_fp_ieee_underflow 0
		.amdhsa_exception_fp_ieee_inexact 0
		.amdhsa_exception_int_div_zero 0
	.end_amdhsa_kernel
	.section	.text._ZN7rocprim17ROCPRIM_400000_NS6detail17trampoline_kernelINS0_14default_configENS1_25partition_config_selectorILNS1_17partition_subalgoE9EllbEEZZNS1_14partition_implILS5_9ELb0ES3_jPlS8_PNS0_10empty_typeENS0_5tupleIJS8_S9_EEENSB_IJS8_SA_EEENS0_18inequality_wrapperIZN2at6native12_GLOBAL__N_124unique_dim_cuda_templateIhEESt5tupleIJNSF_6TensorESK_SK_EERKSK_lbbbEUlllE0_EEPmJS9_EEE10hipError_tPvRmT3_T4_T5_T6_T7_T9_mT8_P12ihipStream_tbDpT10_ENKUlT_T0_E_clISt17integral_constantIbLb1EES19_IbLb0EEEEDaS15_S16_EUlS15_E_NS1_11comp_targetILNS1_3genE4ELNS1_11target_archE910ELNS1_3gpuE8ELNS1_3repE0EEENS1_30default_config_static_selectorELNS0_4arch9wavefront6targetE1EEEvT1_,"axG",@progbits,_ZN7rocprim17ROCPRIM_400000_NS6detail17trampoline_kernelINS0_14default_configENS1_25partition_config_selectorILNS1_17partition_subalgoE9EllbEEZZNS1_14partition_implILS5_9ELb0ES3_jPlS8_PNS0_10empty_typeENS0_5tupleIJS8_S9_EEENSB_IJS8_SA_EEENS0_18inequality_wrapperIZN2at6native12_GLOBAL__N_124unique_dim_cuda_templateIhEESt5tupleIJNSF_6TensorESK_SK_EERKSK_lbbbEUlllE0_EEPmJS9_EEE10hipError_tPvRmT3_T4_T5_T6_T7_T9_mT8_P12ihipStream_tbDpT10_ENKUlT_T0_E_clISt17integral_constantIbLb1EES19_IbLb0EEEEDaS15_S16_EUlS15_E_NS1_11comp_targetILNS1_3genE4ELNS1_11target_archE910ELNS1_3gpuE8ELNS1_3repE0EEENS1_30default_config_static_selectorELNS0_4arch9wavefront6targetE1EEEvT1_,comdat
.Lfunc_end223:
	.size	_ZN7rocprim17ROCPRIM_400000_NS6detail17trampoline_kernelINS0_14default_configENS1_25partition_config_selectorILNS1_17partition_subalgoE9EllbEEZZNS1_14partition_implILS5_9ELb0ES3_jPlS8_PNS0_10empty_typeENS0_5tupleIJS8_S9_EEENSB_IJS8_SA_EEENS0_18inequality_wrapperIZN2at6native12_GLOBAL__N_124unique_dim_cuda_templateIhEESt5tupleIJNSF_6TensorESK_SK_EERKSK_lbbbEUlllE0_EEPmJS9_EEE10hipError_tPvRmT3_T4_T5_T6_T7_T9_mT8_P12ihipStream_tbDpT10_ENKUlT_T0_E_clISt17integral_constantIbLb1EES19_IbLb0EEEEDaS15_S16_EUlS15_E_NS1_11comp_targetILNS1_3genE4ELNS1_11target_archE910ELNS1_3gpuE8ELNS1_3repE0EEENS1_30default_config_static_selectorELNS0_4arch9wavefront6targetE1EEEvT1_, .Lfunc_end223-_ZN7rocprim17ROCPRIM_400000_NS6detail17trampoline_kernelINS0_14default_configENS1_25partition_config_selectorILNS1_17partition_subalgoE9EllbEEZZNS1_14partition_implILS5_9ELb0ES3_jPlS8_PNS0_10empty_typeENS0_5tupleIJS8_S9_EEENSB_IJS8_SA_EEENS0_18inequality_wrapperIZN2at6native12_GLOBAL__N_124unique_dim_cuda_templateIhEESt5tupleIJNSF_6TensorESK_SK_EERKSK_lbbbEUlllE0_EEPmJS9_EEE10hipError_tPvRmT3_T4_T5_T6_T7_T9_mT8_P12ihipStream_tbDpT10_ENKUlT_T0_E_clISt17integral_constantIbLb1EES19_IbLb0EEEEDaS15_S16_EUlS15_E_NS1_11comp_targetILNS1_3genE4ELNS1_11target_archE910ELNS1_3gpuE8ELNS1_3repE0EEENS1_30default_config_static_selectorELNS0_4arch9wavefront6targetE1EEEvT1_
                                        ; -- End function
	.section	.AMDGPU.csdata,"",@progbits
; Kernel info:
; codeLenInByte = 0
; NumSgprs: 6
; NumVgprs: 0
; NumAgprs: 0
; TotalNumVgprs: 0
; ScratchSize: 0
; MemoryBound: 0
; FloatMode: 240
; IeeeMode: 1
; LDSByteSize: 0 bytes/workgroup (compile time only)
; SGPRBlocks: 0
; VGPRBlocks: 0
; NumSGPRsForWavesPerEU: 6
; NumVGPRsForWavesPerEU: 1
; AccumOffset: 4
; Occupancy: 8
; WaveLimiterHint : 0
; COMPUTE_PGM_RSRC2:SCRATCH_EN: 0
; COMPUTE_PGM_RSRC2:USER_SGPR: 2
; COMPUTE_PGM_RSRC2:TRAP_HANDLER: 0
; COMPUTE_PGM_RSRC2:TGID_X_EN: 1
; COMPUTE_PGM_RSRC2:TGID_Y_EN: 0
; COMPUTE_PGM_RSRC2:TGID_Z_EN: 0
; COMPUTE_PGM_RSRC2:TIDIG_COMP_CNT: 0
; COMPUTE_PGM_RSRC3_GFX90A:ACCUM_OFFSET: 0
; COMPUTE_PGM_RSRC3_GFX90A:TG_SPLIT: 0
	.section	.text._ZN7rocprim17ROCPRIM_400000_NS6detail17trampoline_kernelINS0_14default_configENS1_25partition_config_selectorILNS1_17partition_subalgoE9EllbEEZZNS1_14partition_implILS5_9ELb0ES3_jPlS8_PNS0_10empty_typeENS0_5tupleIJS8_S9_EEENSB_IJS8_SA_EEENS0_18inequality_wrapperIZN2at6native12_GLOBAL__N_124unique_dim_cuda_templateIhEESt5tupleIJNSF_6TensorESK_SK_EERKSK_lbbbEUlllE0_EEPmJS9_EEE10hipError_tPvRmT3_T4_T5_T6_T7_T9_mT8_P12ihipStream_tbDpT10_ENKUlT_T0_E_clISt17integral_constantIbLb1EES19_IbLb0EEEEDaS15_S16_EUlS15_E_NS1_11comp_targetILNS1_3genE3ELNS1_11target_archE908ELNS1_3gpuE7ELNS1_3repE0EEENS1_30default_config_static_selectorELNS0_4arch9wavefront6targetE1EEEvT1_,"axG",@progbits,_ZN7rocprim17ROCPRIM_400000_NS6detail17trampoline_kernelINS0_14default_configENS1_25partition_config_selectorILNS1_17partition_subalgoE9EllbEEZZNS1_14partition_implILS5_9ELb0ES3_jPlS8_PNS0_10empty_typeENS0_5tupleIJS8_S9_EEENSB_IJS8_SA_EEENS0_18inequality_wrapperIZN2at6native12_GLOBAL__N_124unique_dim_cuda_templateIhEESt5tupleIJNSF_6TensorESK_SK_EERKSK_lbbbEUlllE0_EEPmJS9_EEE10hipError_tPvRmT3_T4_T5_T6_T7_T9_mT8_P12ihipStream_tbDpT10_ENKUlT_T0_E_clISt17integral_constantIbLb1EES19_IbLb0EEEEDaS15_S16_EUlS15_E_NS1_11comp_targetILNS1_3genE3ELNS1_11target_archE908ELNS1_3gpuE7ELNS1_3repE0EEENS1_30default_config_static_selectorELNS0_4arch9wavefront6targetE1EEEvT1_,comdat
	.globl	_ZN7rocprim17ROCPRIM_400000_NS6detail17trampoline_kernelINS0_14default_configENS1_25partition_config_selectorILNS1_17partition_subalgoE9EllbEEZZNS1_14partition_implILS5_9ELb0ES3_jPlS8_PNS0_10empty_typeENS0_5tupleIJS8_S9_EEENSB_IJS8_SA_EEENS0_18inequality_wrapperIZN2at6native12_GLOBAL__N_124unique_dim_cuda_templateIhEESt5tupleIJNSF_6TensorESK_SK_EERKSK_lbbbEUlllE0_EEPmJS9_EEE10hipError_tPvRmT3_T4_T5_T6_T7_T9_mT8_P12ihipStream_tbDpT10_ENKUlT_T0_E_clISt17integral_constantIbLb1EES19_IbLb0EEEEDaS15_S16_EUlS15_E_NS1_11comp_targetILNS1_3genE3ELNS1_11target_archE908ELNS1_3gpuE7ELNS1_3repE0EEENS1_30default_config_static_selectorELNS0_4arch9wavefront6targetE1EEEvT1_ ; -- Begin function _ZN7rocprim17ROCPRIM_400000_NS6detail17trampoline_kernelINS0_14default_configENS1_25partition_config_selectorILNS1_17partition_subalgoE9EllbEEZZNS1_14partition_implILS5_9ELb0ES3_jPlS8_PNS0_10empty_typeENS0_5tupleIJS8_S9_EEENSB_IJS8_SA_EEENS0_18inequality_wrapperIZN2at6native12_GLOBAL__N_124unique_dim_cuda_templateIhEESt5tupleIJNSF_6TensorESK_SK_EERKSK_lbbbEUlllE0_EEPmJS9_EEE10hipError_tPvRmT3_T4_T5_T6_T7_T9_mT8_P12ihipStream_tbDpT10_ENKUlT_T0_E_clISt17integral_constantIbLb1EES19_IbLb0EEEEDaS15_S16_EUlS15_E_NS1_11comp_targetILNS1_3genE3ELNS1_11target_archE908ELNS1_3gpuE7ELNS1_3repE0EEENS1_30default_config_static_selectorELNS0_4arch9wavefront6targetE1EEEvT1_
	.p2align	8
	.type	_ZN7rocprim17ROCPRIM_400000_NS6detail17trampoline_kernelINS0_14default_configENS1_25partition_config_selectorILNS1_17partition_subalgoE9EllbEEZZNS1_14partition_implILS5_9ELb0ES3_jPlS8_PNS0_10empty_typeENS0_5tupleIJS8_S9_EEENSB_IJS8_SA_EEENS0_18inequality_wrapperIZN2at6native12_GLOBAL__N_124unique_dim_cuda_templateIhEESt5tupleIJNSF_6TensorESK_SK_EERKSK_lbbbEUlllE0_EEPmJS9_EEE10hipError_tPvRmT3_T4_T5_T6_T7_T9_mT8_P12ihipStream_tbDpT10_ENKUlT_T0_E_clISt17integral_constantIbLb1EES19_IbLb0EEEEDaS15_S16_EUlS15_E_NS1_11comp_targetILNS1_3genE3ELNS1_11target_archE908ELNS1_3gpuE7ELNS1_3repE0EEENS1_30default_config_static_selectorELNS0_4arch9wavefront6targetE1EEEvT1_,@function
_ZN7rocprim17ROCPRIM_400000_NS6detail17trampoline_kernelINS0_14default_configENS1_25partition_config_selectorILNS1_17partition_subalgoE9EllbEEZZNS1_14partition_implILS5_9ELb0ES3_jPlS8_PNS0_10empty_typeENS0_5tupleIJS8_S9_EEENSB_IJS8_SA_EEENS0_18inequality_wrapperIZN2at6native12_GLOBAL__N_124unique_dim_cuda_templateIhEESt5tupleIJNSF_6TensorESK_SK_EERKSK_lbbbEUlllE0_EEPmJS9_EEE10hipError_tPvRmT3_T4_T5_T6_T7_T9_mT8_P12ihipStream_tbDpT10_ENKUlT_T0_E_clISt17integral_constantIbLb1EES19_IbLb0EEEEDaS15_S16_EUlS15_E_NS1_11comp_targetILNS1_3genE3ELNS1_11target_archE908ELNS1_3gpuE7ELNS1_3repE0EEENS1_30default_config_static_selectorELNS0_4arch9wavefront6targetE1EEEvT1_: ; @_ZN7rocprim17ROCPRIM_400000_NS6detail17trampoline_kernelINS0_14default_configENS1_25partition_config_selectorILNS1_17partition_subalgoE9EllbEEZZNS1_14partition_implILS5_9ELb0ES3_jPlS8_PNS0_10empty_typeENS0_5tupleIJS8_S9_EEENSB_IJS8_SA_EEENS0_18inequality_wrapperIZN2at6native12_GLOBAL__N_124unique_dim_cuda_templateIhEESt5tupleIJNSF_6TensorESK_SK_EERKSK_lbbbEUlllE0_EEPmJS9_EEE10hipError_tPvRmT3_T4_T5_T6_T7_T9_mT8_P12ihipStream_tbDpT10_ENKUlT_T0_E_clISt17integral_constantIbLb1EES19_IbLb0EEEEDaS15_S16_EUlS15_E_NS1_11comp_targetILNS1_3genE3ELNS1_11target_archE908ELNS1_3gpuE7ELNS1_3repE0EEENS1_30default_config_static_selectorELNS0_4arch9wavefront6targetE1EEEvT1_
; %bb.0:
	.section	.rodata,"a",@progbits
	.p2align	6, 0x0
	.amdhsa_kernel _ZN7rocprim17ROCPRIM_400000_NS6detail17trampoline_kernelINS0_14default_configENS1_25partition_config_selectorILNS1_17partition_subalgoE9EllbEEZZNS1_14partition_implILS5_9ELb0ES3_jPlS8_PNS0_10empty_typeENS0_5tupleIJS8_S9_EEENSB_IJS8_SA_EEENS0_18inequality_wrapperIZN2at6native12_GLOBAL__N_124unique_dim_cuda_templateIhEESt5tupleIJNSF_6TensorESK_SK_EERKSK_lbbbEUlllE0_EEPmJS9_EEE10hipError_tPvRmT3_T4_T5_T6_T7_T9_mT8_P12ihipStream_tbDpT10_ENKUlT_T0_E_clISt17integral_constantIbLb1EES19_IbLb0EEEEDaS15_S16_EUlS15_E_NS1_11comp_targetILNS1_3genE3ELNS1_11target_archE908ELNS1_3gpuE7ELNS1_3repE0EEENS1_30default_config_static_selectorELNS0_4arch9wavefront6targetE1EEEvT1_
		.amdhsa_group_segment_fixed_size 0
		.amdhsa_private_segment_fixed_size 0
		.amdhsa_kernarg_size 120
		.amdhsa_user_sgpr_count 2
		.amdhsa_user_sgpr_dispatch_ptr 0
		.amdhsa_user_sgpr_queue_ptr 0
		.amdhsa_user_sgpr_kernarg_segment_ptr 1
		.amdhsa_user_sgpr_dispatch_id 0
		.amdhsa_user_sgpr_kernarg_preload_length 0
		.amdhsa_user_sgpr_kernarg_preload_offset 0
		.amdhsa_user_sgpr_private_segment_size 0
		.amdhsa_uses_dynamic_stack 0
		.amdhsa_enable_private_segment 0
		.amdhsa_system_sgpr_workgroup_id_x 1
		.amdhsa_system_sgpr_workgroup_id_y 0
		.amdhsa_system_sgpr_workgroup_id_z 0
		.amdhsa_system_sgpr_workgroup_info 0
		.amdhsa_system_vgpr_workitem_id 0
		.amdhsa_next_free_vgpr 1
		.amdhsa_next_free_sgpr 0
		.amdhsa_accum_offset 4
		.amdhsa_reserve_vcc 0
		.amdhsa_float_round_mode_32 0
		.amdhsa_float_round_mode_16_64 0
		.amdhsa_float_denorm_mode_32 3
		.amdhsa_float_denorm_mode_16_64 3
		.amdhsa_dx10_clamp 1
		.amdhsa_ieee_mode 1
		.amdhsa_fp16_overflow 0
		.amdhsa_tg_split 0
		.amdhsa_exception_fp_ieee_invalid_op 0
		.amdhsa_exception_fp_denorm_src 0
		.amdhsa_exception_fp_ieee_div_zero 0
		.amdhsa_exception_fp_ieee_overflow 0
		.amdhsa_exception_fp_ieee_underflow 0
		.amdhsa_exception_fp_ieee_inexact 0
		.amdhsa_exception_int_div_zero 0
	.end_amdhsa_kernel
	.section	.text._ZN7rocprim17ROCPRIM_400000_NS6detail17trampoline_kernelINS0_14default_configENS1_25partition_config_selectorILNS1_17partition_subalgoE9EllbEEZZNS1_14partition_implILS5_9ELb0ES3_jPlS8_PNS0_10empty_typeENS0_5tupleIJS8_S9_EEENSB_IJS8_SA_EEENS0_18inequality_wrapperIZN2at6native12_GLOBAL__N_124unique_dim_cuda_templateIhEESt5tupleIJNSF_6TensorESK_SK_EERKSK_lbbbEUlllE0_EEPmJS9_EEE10hipError_tPvRmT3_T4_T5_T6_T7_T9_mT8_P12ihipStream_tbDpT10_ENKUlT_T0_E_clISt17integral_constantIbLb1EES19_IbLb0EEEEDaS15_S16_EUlS15_E_NS1_11comp_targetILNS1_3genE3ELNS1_11target_archE908ELNS1_3gpuE7ELNS1_3repE0EEENS1_30default_config_static_selectorELNS0_4arch9wavefront6targetE1EEEvT1_,"axG",@progbits,_ZN7rocprim17ROCPRIM_400000_NS6detail17trampoline_kernelINS0_14default_configENS1_25partition_config_selectorILNS1_17partition_subalgoE9EllbEEZZNS1_14partition_implILS5_9ELb0ES3_jPlS8_PNS0_10empty_typeENS0_5tupleIJS8_S9_EEENSB_IJS8_SA_EEENS0_18inequality_wrapperIZN2at6native12_GLOBAL__N_124unique_dim_cuda_templateIhEESt5tupleIJNSF_6TensorESK_SK_EERKSK_lbbbEUlllE0_EEPmJS9_EEE10hipError_tPvRmT3_T4_T5_T6_T7_T9_mT8_P12ihipStream_tbDpT10_ENKUlT_T0_E_clISt17integral_constantIbLb1EES19_IbLb0EEEEDaS15_S16_EUlS15_E_NS1_11comp_targetILNS1_3genE3ELNS1_11target_archE908ELNS1_3gpuE7ELNS1_3repE0EEENS1_30default_config_static_selectorELNS0_4arch9wavefront6targetE1EEEvT1_,comdat
.Lfunc_end224:
	.size	_ZN7rocprim17ROCPRIM_400000_NS6detail17trampoline_kernelINS0_14default_configENS1_25partition_config_selectorILNS1_17partition_subalgoE9EllbEEZZNS1_14partition_implILS5_9ELb0ES3_jPlS8_PNS0_10empty_typeENS0_5tupleIJS8_S9_EEENSB_IJS8_SA_EEENS0_18inequality_wrapperIZN2at6native12_GLOBAL__N_124unique_dim_cuda_templateIhEESt5tupleIJNSF_6TensorESK_SK_EERKSK_lbbbEUlllE0_EEPmJS9_EEE10hipError_tPvRmT3_T4_T5_T6_T7_T9_mT8_P12ihipStream_tbDpT10_ENKUlT_T0_E_clISt17integral_constantIbLb1EES19_IbLb0EEEEDaS15_S16_EUlS15_E_NS1_11comp_targetILNS1_3genE3ELNS1_11target_archE908ELNS1_3gpuE7ELNS1_3repE0EEENS1_30default_config_static_selectorELNS0_4arch9wavefront6targetE1EEEvT1_, .Lfunc_end224-_ZN7rocprim17ROCPRIM_400000_NS6detail17trampoline_kernelINS0_14default_configENS1_25partition_config_selectorILNS1_17partition_subalgoE9EllbEEZZNS1_14partition_implILS5_9ELb0ES3_jPlS8_PNS0_10empty_typeENS0_5tupleIJS8_S9_EEENSB_IJS8_SA_EEENS0_18inequality_wrapperIZN2at6native12_GLOBAL__N_124unique_dim_cuda_templateIhEESt5tupleIJNSF_6TensorESK_SK_EERKSK_lbbbEUlllE0_EEPmJS9_EEE10hipError_tPvRmT3_T4_T5_T6_T7_T9_mT8_P12ihipStream_tbDpT10_ENKUlT_T0_E_clISt17integral_constantIbLb1EES19_IbLb0EEEEDaS15_S16_EUlS15_E_NS1_11comp_targetILNS1_3genE3ELNS1_11target_archE908ELNS1_3gpuE7ELNS1_3repE0EEENS1_30default_config_static_selectorELNS0_4arch9wavefront6targetE1EEEvT1_
                                        ; -- End function
	.section	.AMDGPU.csdata,"",@progbits
; Kernel info:
; codeLenInByte = 0
; NumSgprs: 6
; NumVgprs: 0
; NumAgprs: 0
; TotalNumVgprs: 0
; ScratchSize: 0
; MemoryBound: 0
; FloatMode: 240
; IeeeMode: 1
; LDSByteSize: 0 bytes/workgroup (compile time only)
; SGPRBlocks: 0
; VGPRBlocks: 0
; NumSGPRsForWavesPerEU: 6
; NumVGPRsForWavesPerEU: 1
; AccumOffset: 4
; Occupancy: 8
; WaveLimiterHint : 0
; COMPUTE_PGM_RSRC2:SCRATCH_EN: 0
; COMPUTE_PGM_RSRC2:USER_SGPR: 2
; COMPUTE_PGM_RSRC2:TRAP_HANDLER: 0
; COMPUTE_PGM_RSRC2:TGID_X_EN: 1
; COMPUTE_PGM_RSRC2:TGID_Y_EN: 0
; COMPUTE_PGM_RSRC2:TGID_Z_EN: 0
; COMPUTE_PGM_RSRC2:TIDIG_COMP_CNT: 0
; COMPUTE_PGM_RSRC3_GFX90A:ACCUM_OFFSET: 0
; COMPUTE_PGM_RSRC3_GFX90A:TG_SPLIT: 0
	.section	.text._ZN7rocprim17ROCPRIM_400000_NS6detail17trampoline_kernelINS0_14default_configENS1_25partition_config_selectorILNS1_17partition_subalgoE9EllbEEZZNS1_14partition_implILS5_9ELb0ES3_jPlS8_PNS0_10empty_typeENS0_5tupleIJS8_S9_EEENSB_IJS8_SA_EEENS0_18inequality_wrapperIZN2at6native12_GLOBAL__N_124unique_dim_cuda_templateIhEESt5tupleIJNSF_6TensorESK_SK_EERKSK_lbbbEUlllE0_EEPmJS9_EEE10hipError_tPvRmT3_T4_T5_T6_T7_T9_mT8_P12ihipStream_tbDpT10_ENKUlT_T0_E_clISt17integral_constantIbLb1EES19_IbLb0EEEEDaS15_S16_EUlS15_E_NS1_11comp_targetILNS1_3genE2ELNS1_11target_archE906ELNS1_3gpuE6ELNS1_3repE0EEENS1_30default_config_static_selectorELNS0_4arch9wavefront6targetE1EEEvT1_,"axG",@progbits,_ZN7rocprim17ROCPRIM_400000_NS6detail17trampoline_kernelINS0_14default_configENS1_25partition_config_selectorILNS1_17partition_subalgoE9EllbEEZZNS1_14partition_implILS5_9ELb0ES3_jPlS8_PNS0_10empty_typeENS0_5tupleIJS8_S9_EEENSB_IJS8_SA_EEENS0_18inequality_wrapperIZN2at6native12_GLOBAL__N_124unique_dim_cuda_templateIhEESt5tupleIJNSF_6TensorESK_SK_EERKSK_lbbbEUlllE0_EEPmJS9_EEE10hipError_tPvRmT3_T4_T5_T6_T7_T9_mT8_P12ihipStream_tbDpT10_ENKUlT_T0_E_clISt17integral_constantIbLb1EES19_IbLb0EEEEDaS15_S16_EUlS15_E_NS1_11comp_targetILNS1_3genE2ELNS1_11target_archE906ELNS1_3gpuE6ELNS1_3repE0EEENS1_30default_config_static_selectorELNS0_4arch9wavefront6targetE1EEEvT1_,comdat
	.globl	_ZN7rocprim17ROCPRIM_400000_NS6detail17trampoline_kernelINS0_14default_configENS1_25partition_config_selectorILNS1_17partition_subalgoE9EllbEEZZNS1_14partition_implILS5_9ELb0ES3_jPlS8_PNS0_10empty_typeENS0_5tupleIJS8_S9_EEENSB_IJS8_SA_EEENS0_18inequality_wrapperIZN2at6native12_GLOBAL__N_124unique_dim_cuda_templateIhEESt5tupleIJNSF_6TensorESK_SK_EERKSK_lbbbEUlllE0_EEPmJS9_EEE10hipError_tPvRmT3_T4_T5_T6_T7_T9_mT8_P12ihipStream_tbDpT10_ENKUlT_T0_E_clISt17integral_constantIbLb1EES19_IbLb0EEEEDaS15_S16_EUlS15_E_NS1_11comp_targetILNS1_3genE2ELNS1_11target_archE906ELNS1_3gpuE6ELNS1_3repE0EEENS1_30default_config_static_selectorELNS0_4arch9wavefront6targetE1EEEvT1_ ; -- Begin function _ZN7rocprim17ROCPRIM_400000_NS6detail17trampoline_kernelINS0_14default_configENS1_25partition_config_selectorILNS1_17partition_subalgoE9EllbEEZZNS1_14partition_implILS5_9ELb0ES3_jPlS8_PNS0_10empty_typeENS0_5tupleIJS8_S9_EEENSB_IJS8_SA_EEENS0_18inequality_wrapperIZN2at6native12_GLOBAL__N_124unique_dim_cuda_templateIhEESt5tupleIJNSF_6TensorESK_SK_EERKSK_lbbbEUlllE0_EEPmJS9_EEE10hipError_tPvRmT3_T4_T5_T6_T7_T9_mT8_P12ihipStream_tbDpT10_ENKUlT_T0_E_clISt17integral_constantIbLb1EES19_IbLb0EEEEDaS15_S16_EUlS15_E_NS1_11comp_targetILNS1_3genE2ELNS1_11target_archE906ELNS1_3gpuE6ELNS1_3repE0EEENS1_30default_config_static_selectorELNS0_4arch9wavefront6targetE1EEEvT1_
	.p2align	8
	.type	_ZN7rocprim17ROCPRIM_400000_NS6detail17trampoline_kernelINS0_14default_configENS1_25partition_config_selectorILNS1_17partition_subalgoE9EllbEEZZNS1_14partition_implILS5_9ELb0ES3_jPlS8_PNS0_10empty_typeENS0_5tupleIJS8_S9_EEENSB_IJS8_SA_EEENS0_18inequality_wrapperIZN2at6native12_GLOBAL__N_124unique_dim_cuda_templateIhEESt5tupleIJNSF_6TensorESK_SK_EERKSK_lbbbEUlllE0_EEPmJS9_EEE10hipError_tPvRmT3_T4_T5_T6_T7_T9_mT8_P12ihipStream_tbDpT10_ENKUlT_T0_E_clISt17integral_constantIbLb1EES19_IbLb0EEEEDaS15_S16_EUlS15_E_NS1_11comp_targetILNS1_3genE2ELNS1_11target_archE906ELNS1_3gpuE6ELNS1_3repE0EEENS1_30default_config_static_selectorELNS0_4arch9wavefront6targetE1EEEvT1_,@function
_ZN7rocprim17ROCPRIM_400000_NS6detail17trampoline_kernelINS0_14default_configENS1_25partition_config_selectorILNS1_17partition_subalgoE9EllbEEZZNS1_14partition_implILS5_9ELb0ES3_jPlS8_PNS0_10empty_typeENS0_5tupleIJS8_S9_EEENSB_IJS8_SA_EEENS0_18inequality_wrapperIZN2at6native12_GLOBAL__N_124unique_dim_cuda_templateIhEESt5tupleIJNSF_6TensorESK_SK_EERKSK_lbbbEUlllE0_EEPmJS9_EEE10hipError_tPvRmT3_T4_T5_T6_T7_T9_mT8_P12ihipStream_tbDpT10_ENKUlT_T0_E_clISt17integral_constantIbLb1EES19_IbLb0EEEEDaS15_S16_EUlS15_E_NS1_11comp_targetILNS1_3genE2ELNS1_11target_archE906ELNS1_3gpuE6ELNS1_3repE0EEENS1_30default_config_static_selectorELNS0_4arch9wavefront6targetE1EEEvT1_: ; @_ZN7rocprim17ROCPRIM_400000_NS6detail17trampoline_kernelINS0_14default_configENS1_25partition_config_selectorILNS1_17partition_subalgoE9EllbEEZZNS1_14partition_implILS5_9ELb0ES3_jPlS8_PNS0_10empty_typeENS0_5tupleIJS8_S9_EEENSB_IJS8_SA_EEENS0_18inequality_wrapperIZN2at6native12_GLOBAL__N_124unique_dim_cuda_templateIhEESt5tupleIJNSF_6TensorESK_SK_EERKSK_lbbbEUlllE0_EEPmJS9_EEE10hipError_tPvRmT3_T4_T5_T6_T7_T9_mT8_P12ihipStream_tbDpT10_ENKUlT_T0_E_clISt17integral_constantIbLb1EES19_IbLb0EEEEDaS15_S16_EUlS15_E_NS1_11comp_targetILNS1_3genE2ELNS1_11target_archE906ELNS1_3gpuE6ELNS1_3repE0EEENS1_30default_config_static_selectorELNS0_4arch9wavefront6targetE1EEEvT1_
; %bb.0:
	.section	.rodata,"a",@progbits
	.p2align	6, 0x0
	.amdhsa_kernel _ZN7rocprim17ROCPRIM_400000_NS6detail17trampoline_kernelINS0_14default_configENS1_25partition_config_selectorILNS1_17partition_subalgoE9EllbEEZZNS1_14partition_implILS5_9ELb0ES3_jPlS8_PNS0_10empty_typeENS0_5tupleIJS8_S9_EEENSB_IJS8_SA_EEENS0_18inequality_wrapperIZN2at6native12_GLOBAL__N_124unique_dim_cuda_templateIhEESt5tupleIJNSF_6TensorESK_SK_EERKSK_lbbbEUlllE0_EEPmJS9_EEE10hipError_tPvRmT3_T4_T5_T6_T7_T9_mT8_P12ihipStream_tbDpT10_ENKUlT_T0_E_clISt17integral_constantIbLb1EES19_IbLb0EEEEDaS15_S16_EUlS15_E_NS1_11comp_targetILNS1_3genE2ELNS1_11target_archE906ELNS1_3gpuE6ELNS1_3repE0EEENS1_30default_config_static_selectorELNS0_4arch9wavefront6targetE1EEEvT1_
		.amdhsa_group_segment_fixed_size 0
		.amdhsa_private_segment_fixed_size 0
		.amdhsa_kernarg_size 120
		.amdhsa_user_sgpr_count 2
		.amdhsa_user_sgpr_dispatch_ptr 0
		.amdhsa_user_sgpr_queue_ptr 0
		.amdhsa_user_sgpr_kernarg_segment_ptr 1
		.amdhsa_user_sgpr_dispatch_id 0
		.amdhsa_user_sgpr_kernarg_preload_length 0
		.amdhsa_user_sgpr_kernarg_preload_offset 0
		.amdhsa_user_sgpr_private_segment_size 0
		.amdhsa_uses_dynamic_stack 0
		.amdhsa_enable_private_segment 0
		.amdhsa_system_sgpr_workgroup_id_x 1
		.amdhsa_system_sgpr_workgroup_id_y 0
		.amdhsa_system_sgpr_workgroup_id_z 0
		.amdhsa_system_sgpr_workgroup_info 0
		.amdhsa_system_vgpr_workitem_id 0
		.amdhsa_next_free_vgpr 1
		.amdhsa_next_free_sgpr 0
		.amdhsa_accum_offset 4
		.amdhsa_reserve_vcc 0
		.amdhsa_float_round_mode_32 0
		.amdhsa_float_round_mode_16_64 0
		.amdhsa_float_denorm_mode_32 3
		.amdhsa_float_denorm_mode_16_64 3
		.amdhsa_dx10_clamp 1
		.amdhsa_ieee_mode 1
		.amdhsa_fp16_overflow 0
		.amdhsa_tg_split 0
		.amdhsa_exception_fp_ieee_invalid_op 0
		.amdhsa_exception_fp_denorm_src 0
		.amdhsa_exception_fp_ieee_div_zero 0
		.amdhsa_exception_fp_ieee_overflow 0
		.amdhsa_exception_fp_ieee_underflow 0
		.amdhsa_exception_fp_ieee_inexact 0
		.amdhsa_exception_int_div_zero 0
	.end_amdhsa_kernel
	.section	.text._ZN7rocprim17ROCPRIM_400000_NS6detail17trampoline_kernelINS0_14default_configENS1_25partition_config_selectorILNS1_17partition_subalgoE9EllbEEZZNS1_14partition_implILS5_9ELb0ES3_jPlS8_PNS0_10empty_typeENS0_5tupleIJS8_S9_EEENSB_IJS8_SA_EEENS0_18inequality_wrapperIZN2at6native12_GLOBAL__N_124unique_dim_cuda_templateIhEESt5tupleIJNSF_6TensorESK_SK_EERKSK_lbbbEUlllE0_EEPmJS9_EEE10hipError_tPvRmT3_T4_T5_T6_T7_T9_mT8_P12ihipStream_tbDpT10_ENKUlT_T0_E_clISt17integral_constantIbLb1EES19_IbLb0EEEEDaS15_S16_EUlS15_E_NS1_11comp_targetILNS1_3genE2ELNS1_11target_archE906ELNS1_3gpuE6ELNS1_3repE0EEENS1_30default_config_static_selectorELNS0_4arch9wavefront6targetE1EEEvT1_,"axG",@progbits,_ZN7rocprim17ROCPRIM_400000_NS6detail17trampoline_kernelINS0_14default_configENS1_25partition_config_selectorILNS1_17partition_subalgoE9EllbEEZZNS1_14partition_implILS5_9ELb0ES3_jPlS8_PNS0_10empty_typeENS0_5tupleIJS8_S9_EEENSB_IJS8_SA_EEENS0_18inequality_wrapperIZN2at6native12_GLOBAL__N_124unique_dim_cuda_templateIhEESt5tupleIJNSF_6TensorESK_SK_EERKSK_lbbbEUlllE0_EEPmJS9_EEE10hipError_tPvRmT3_T4_T5_T6_T7_T9_mT8_P12ihipStream_tbDpT10_ENKUlT_T0_E_clISt17integral_constantIbLb1EES19_IbLb0EEEEDaS15_S16_EUlS15_E_NS1_11comp_targetILNS1_3genE2ELNS1_11target_archE906ELNS1_3gpuE6ELNS1_3repE0EEENS1_30default_config_static_selectorELNS0_4arch9wavefront6targetE1EEEvT1_,comdat
.Lfunc_end225:
	.size	_ZN7rocprim17ROCPRIM_400000_NS6detail17trampoline_kernelINS0_14default_configENS1_25partition_config_selectorILNS1_17partition_subalgoE9EllbEEZZNS1_14partition_implILS5_9ELb0ES3_jPlS8_PNS0_10empty_typeENS0_5tupleIJS8_S9_EEENSB_IJS8_SA_EEENS0_18inequality_wrapperIZN2at6native12_GLOBAL__N_124unique_dim_cuda_templateIhEESt5tupleIJNSF_6TensorESK_SK_EERKSK_lbbbEUlllE0_EEPmJS9_EEE10hipError_tPvRmT3_T4_T5_T6_T7_T9_mT8_P12ihipStream_tbDpT10_ENKUlT_T0_E_clISt17integral_constantIbLb1EES19_IbLb0EEEEDaS15_S16_EUlS15_E_NS1_11comp_targetILNS1_3genE2ELNS1_11target_archE906ELNS1_3gpuE6ELNS1_3repE0EEENS1_30default_config_static_selectorELNS0_4arch9wavefront6targetE1EEEvT1_, .Lfunc_end225-_ZN7rocprim17ROCPRIM_400000_NS6detail17trampoline_kernelINS0_14default_configENS1_25partition_config_selectorILNS1_17partition_subalgoE9EllbEEZZNS1_14partition_implILS5_9ELb0ES3_jPlS8_PNS0_10empty_typeENS0_5tupleIJS8_S9_EEENSB_IJS8_SA_EEENS0_18inequality_wrapperIZN2at6native12_GLOBAL__N_124unique_dim_cuda_templateIhEESt5tupleIJNSF_6TensorESK_SK_EERKSK_lbbbEUlllE0_EEPmJS9_EEE10hipError_tPvRmT3_T4_T5_T6_T7_T9_mT8_P12ihipStream_tbDpT10_ENKUlT_T0_E_clISt17integral_constantIbLb1EES19_IbLb0EEEEDaS15_S16_EUlS15_E_NS1_11comp_targetILNS1_3genE2ELNS1_11target_archE906ELNS1_3gpuE6ELNS1_3repE0EEENS1_30default_config_static_selectorELNS0_4arch9wavefront6targetE1EEEvT1_
                                        ; -- End function
	.section	.AMDGPU.csdata,"",@progbits
; Kernel info:
; codeLenInByte = 0
; NumSgprs: 6
; NumVgprs: 0
; NumAgprs: 0
; TotalNumVgprs: 0
; ScratchSize: 0
; MemoryBound: 0
; FloatMode: 240
; IeeeMode: 1
; LDSByteSize: 0 bytes/workgroup (compile time only)
; SGPRBlocks: 0
; VGPRBlocks: 0
; NumSGPRsForWavesPerEU: 6
; NumVGPRsForWavesPerEU: 1
; AccumOffset: 4
; Occupancy: 8
; WaveLimiterHint : 0
; COMPUTE_PGM_RSRC2:SCRATCH_EN: 0
; COMPUTE_PGM_RSRC2:USER_SGPR: 2
; COMPUTE_PGM_RSRC2:TRAP_HANDLER: 0
; COMPUTE_PGM_RSRC2:TGID_X_EN: 1
; COMPUTE_PGM_RSRC2:TGID_Y_EN: 0
; COMPUTE_PGM_RSRC2:TGID_Z_EN: 0
; COMPUTE_PGM_RSRC2:TIDIG_COMP_CNT: 0
; COMPUTE_PGM_RSRC3_GFX90A:ACCUM_OFFSET: 0
; COMPUTE_PGM_RSRC3_GFX90A:TG_SPLIT: 0
	.section	.text._ZN7rocprim17ROCPRIM_400000_NS6detail17trampoline_kernelINS0_14default_configENS1_25partition_config_selectorILNS1_17partition_subalgoE9EllbEEZZNS1_14partition_implILS5_9ELb0ES3_jPlS8_PNS0_10empty_typeENS0_5tupleIJS8_S9_EEENSB_IJS8_SA_EEENS0_18inequality_wrapperIZN2at6native12_GLOBAL__N_124unique_dim_cuda_templateIhEESt5tupleIJNSF_6TensorESK_SK_EERKSK_lbbbEUlllE0_EEPmJS9_EEE10hipError_tPvRmT3_T4_T5_T6_T7_T9_mT8_P12ihipStream_tbDpT10_ENKUlT_T0_E_clISt17integral_constantIbLb1EES19_IbLb0EEEEDaS15_S16_EUlS15_E_NS1_11comp_targetILNS1_3genE10ELNS1_11target_archE1200ELNS1_3gpuE4ELNS1_3repE0EEENS1_30default_config_static_selectorELNS0_4arch9wavefront6targetE1EEEvT1_,"axG",@progbits,_ZN7rocprim17ROCPRIM_400000_NS6detail17trampoline_kernelINS0_14default_configENS1_25partition_config_selectorILNS1_17partition_subalgoE9EllbEEZZNS1_14partition_implILS5_9ELb0ES3_jPlS8_PNS0_10empty_typeENS0_5tupleIJS8_S9_EEENSB_IJS8_SA_EEENS0_18inequality_wrapperIZN2at6native12_GLOBAL__N_124unique_dim_cuda_templateIhEESt5tupleIJNSF_6TensorESK_SK_EERKSK_lbbbEUlllE0_EEPmJS9_EEE10hipError_tPvRmT3_T4_T5_T6_T7_T9_mT8_P12ihipStream_tbDpT10_ENKUlT_T0_E_clISt17integral_constantIbLb1EES19_IbLb0EEEEDaS15_S16_EUlS15_E_NS1_11comp_targetILNS1_3genE10ELNS1_11target_archE1200ELNS1_3gpuE4ELNS1_3repE0EEENS1_30default_config_static_selectorELNS0_4arch9wavefront6targetE1EEEvT1_,comdat
	.globl	_ZN7rocprim17ROCPRIM_400000_NS6detail17trampoline_kernelINS0_14default_configENS1_25partition_config_selectorILNS1_17partition_subalgoE9EllbEEZZNS1_14partition_implILS5_9ELb0ES3_jPlS8_PNS0_10empty_typeENS0_5tupleIJS8_S9_EEENSB_IJS8_SA_EEENS0_18inequality_wrapperIZN2at6native12_GLOBAL__N_124unique_dim_cuda_templateIhEESt5tupleIJNSF_6TensorESK_SK_EERKSK_lbbbEUlllE0_EEPmJS9_EEE10hipError_tPvRmT3_T4_T5_T6_T7_T9_mT8_P12ihipStream_tbDpT10_ENKUlT_T0_E_clISt17integral_constantIbLb1EES19_IbLb0EEEEDaS15_S16_EUlS15_E_NS1_11comp_targetILNS1_3genE10ELNS1_11target_archE1200ELNS1_3gpuE4ELNS1_3repE0EEENS1_30default_config_static_selectorELNS0_4arch9wavefront6targetE1EEEvT1_ ; -- Begin function _ZN7rocprim17ROCPRIM_400000_NS6detail17trampoline_kernelINS0_14default_configENS1_25partition_config_selectorILNS1_17partition_subalgoE9EllbEEZZNS1_14partition_implILS5_9ELb0ES3_jPlS8_PNS0_10empty_typeENS0_5tupleIJS8_S9_EEENSB_IJS8_SA_EEENS0_18inequality_wrapperIZN2at6native12_GLOBAL__N_124unique_dim_cuda_templateIhEESt5tupleIJNSF_6TensorESK_SK_EERKSK_lbbbEUlllE0_EEPmJS9_EEE10hipError_tPvRmT3_T4_T5_T6_T7_T9_mT8_P12ihipStream_tbDpT10_ENKUlT_T0_E_clISt17integral_constantIbLb1EES19_IbLb0EEEEDaS15_S16_EUlS15_E_NS1_11comp_targetILNS1_3genE10ELNS1_11target_archE1200ELNS1_3gpuE4ELNS1_3repE0EEENS1_30default_config_static_selectorELNS0_4arch9wavefront6targetE1EEEvT1_
	.p2align	8
	.type	_ZN7rocprim17ROCPRIM_400000_NS6detail17trampoline_kernelINS0_14default_configENS1_25partition_config_selectorILNS1_17partition_subalgoE9EllbEEZZNS1_14partition_implILS5_9ELb0ES3_jPlS8_PNS0_10empty_typeENS0_5tupleIJS8_S9_EEENSB_IJS8_SA_EEENS0_18inequality_wrapperIZN2at6native12_GLOBAL__N_124unique_dim_cuda_templateIhEESt5tupleIJNSF_6TensorESK_SK_EERKSK_lbbbEUlllE0_EEPmJS9_EEE10hipError_tPvRmT3_T4_T5_T6_T7_T9_mT8_P12ihipStream_tbDpT10_ENKUlT_T0_E_clISt17integral_constantIbLb1EES19_IbLb0EEEEDaS15_S16_EUlS15_E_NS1_11comp_targetILNS1_3genE10ELNS1_11target_archE1200ELNS1_3gpuE4ELNS1_3repE0EEENS1_30default_config_static_selectorELNS0_4arch9wavefront6targetE1EEEvT1_,@function
_ZN7rocprim17ROCPRIM_400000_NS6detail17trampoline_kernelINS0_14default_configENS1_25partition_config_selectorILNS1_17partition_subalgoE9EllbEEZZNS1_14partition_implILS5_9ELb0ES3_jPlS8_PNS0_10empty_typeENS0_5tupleIJS8_S9_EEENSB_IJS8_SA_EEENS0_18inequality_wrapperIZN2at6native12_GLOBAL__N_124unique_dim_cuda_templateIhEESt5tupleIJNSF_6TensorESK_SK_EERKSK_lbbbEUlllE0_EEPmJS9_EEE10hipError_tPvRmT3_T4_T5_T6_T7_T9_mT8_P12ihipStream_tbDpT10_ENKUlT_T0_E_clISt17integral_constantIbLb1EES19_IbLb0EEEEDaS15_S16_EUlS15_E_NS1_11comp_targetILNS1_3genE10ELNS1_11target_archE1200ELNS1_3gpuE4ELNS1_3repE0EEENS1_30default_config_static_selectorELNS0_4arch9wavefront6targetE1EEEvT1_: ; @_ZN7rocprim17ROCPRIM_400000_NS6detail17trampoline_kernelINS0_14default_configENS1_25partition_config_selectorILNS1_17partition_subalgoE9EllbEEZZNS1_14partition_implILS5_9ELb0ES3_jPlS8_PNS0_10empty_typeENS0_5tupleIJS8_S9_EEENSB_IJS8_SA_EEENS0_18inequality_wrapperIZN2at6native12_GLOBAL__N_124unique_dim_cuda_templateIhEESt5tupleIJNSF_6TensorESK_SK_EERKSK_lbbbEUlllE0_EEPmJS9_EEE10hipError_tPvRmT3_T4_T5_T6_T7_T9_mT8_P12ihipStream_tbDpT10_ENKUlT_T0_E_clISt17integral_constantIbLb1EES19_IbLb0EEEEDaS15_S16_EUlS15_E_NS1_11comp_targetILNS1_3genE10ELNS1_11target_archE1200ELNS1_3gpuE4ELNS1_3repE0EEENS1_30default_config_static_selectorELNS0_4arch9wavefront6targetE1EEEvT1_
; %bb.0:
	.section	.rodata,"a",@progbits
	.p2align	6, 0x0
	.amdhsa_kernel _ZN7rocprim17ROCPRIM_400000_NS6detail17trampoline_kernelINS0_14default_configENS1_25partition_config_selectorILNS1_17partition_subalgoE9EllbEEZZNS1_14partition_implILS5_9ELb0ES3_jPlS8_PNS0_10empty_typeENS0_5tupleIJS8_S9_EEENSB_IJS8_SA_EEENS0_18inequality_wrapperIZN2at6native12_GLOBAL__N_124unique_dim_cuda_templateIhEESt5tupleIJNSF_6TensorESK_SK_EERKSK_lbbbEUlllE0_EEPmJS9_EEE10hipError_tPvRmT3_T4_T5_T6_T7_T9_mT8_P12ihipStream_tbDpT10_ENKUlT_T0_E_clISt17integral_constantIbLb1EES19_IbLb0EEEEDaS15_S16_EUlS15_E_NS1_11comp_targetILNS1_3genE10ELNS1_11target_archE1200ELNS1_3gpuE4ELNS1_3repE0EEENS1_30default_config_static_selectorELNS0_4arch9wavefront6targetE1EEEvT1_
		.amdhsa_group_segment_fixed_size 0
		.amdhsa_private_segment_fixed_size 0
		.amdhsa_kernarg_size 120
		.amdhsa_user_sgpr_count 2
		.amdhsa_user_sgpr_dispatch_ptr 0
		.amdhsa_user_sgpr_queue_ptr 0
		.amdhsa_user_sgpr_kernarg_segment_ptr 1
		.amdhsa_user_sgpr_dispatch_id 0
		.amdhsa_user_sgpr_kernarg_preload_length 0
		.amdhsa_user_sgpr_kernarg_preload_offset 0
		.amdhsa_user_sgpr_private_segment_size 0
		.amdhsa_uses_dynamic_stack 0
		.amdhsa_enable_private_segment 0
		.amdhsa_system_sgpr_workgroup_id_x 1
		.amdhsa_system_sgpr_workgroup_id_y 0
		.amdhsa_system_sgpr_workgroup_id_z 0
		.amdhsa_system_sgpr_workgroup_info 0
		.amdhsa_system_vgpr_workitem_id 0
		.amdhsa_next_free_vgpr 1
		.amdhsa_next_free_sgpr 0
		.amdhsa_accum_offset 4
		.amdhsa_reserve_vcc 0
		.amdhsa_float_round_mode_32 0
		.amdhsa_float_round_mode_16_64 0
		.amdhsa_float_denorm_mode_32 3
		.amdhsa_float_denorm_mode_16_64 3
		.amdhsa_dx10_clamp 1
		.amdhsa_ieee_mode 1
		.amdhsa_fp16_overflow 0
		.amdhsa_tg_split 0
		.amdhsa_exception_fp_ieee_invalid_op 0
		.amdhsa_exception_fp_denorm_src 0
		.amdhsa_exception_fp_ieee_div_zero 0
		.amdhsa_exception_fp_ieee_overflow 0
		.amdhsa_exception_fp_ieee_underflow 0
		.amdhsa_exception_fp_ieee_inexact 0
		.amdhsa_exception_int_div_zero 0
	.end_amdhsa_kernel
	.section	.text._ZN7rocprim17ROCPRIM_400000_NS6detail17trampoline_kernelINS0_14default_configENS1_25partition_config_selectorILNS1_17partition_subalgoE9EllbEEZZNS1_14partition_implILS5_9ELb0ES3_jPlS8_PNS0_10empty_typeENS0_5tupleIJS8_S9_EEENSB_IJS8_SA_EEENS0_18inequality_wrapperIZN2at6native12_GLOBAL__N_124unique_dim_cuda_templateIhEESt5tupleIJNSF_6TensorESK_SK_EERKSK_lbbbEUlllE0_EEPmJS9_EEE10hipError_tPvRmT3_T4_T5_T6_T7_T9_mT8_P12ihipStream_tbDpT10_ENKUlT_T0_E_clISt17integral_constantIbLb1EES19_IbLb0EEEEDaS15_S16_EUlS15_E_NS1_11comp_targetILNS1_3genE10ELNS1_11target_archE1200ELNS1_3gpuE4ELNS1_3repE0EEENS1_30default_config_static_selectorELNS0_4arch9wavefront6targetE1EEEvT1_,"axG",@progbits,_ZN7rocprim17ROCPRIM_400000_NS6detail17trampoline_kernelINS0_14default_configENS1_25partition_config_selectorILNS1_17partition_subalgoE9EllbEEZZNS1_14partition_implILS5_9ELb0ES3_jPlS8_PNS0_10empty_typeENS0_5tupleIJS8_S9_EEENSB_IJS8_SA_EEENS0_18inequality_wrapperIZN2at6native12_GLOBAL__N_124unique_dim_cuda_templateIhEESt5tupleIJNSF_6TensorESK_SK_EERKSK_lbbbEUlllE0_EEPmJS9_EEE10hipError_tPvRmT3_T4_T5_T6_T7_T9_mT8_P12ihipStream_tbDpT10_ENKUlT_T0_E_clISt17integral_constantIbLb1EES19_IbLb0EEEEDaS15_S16_EUlS15_E_NS1_11comp_targetILNS1_3genE10ELNS1_11target_archE1200ELNS1_3gpuE4ELNS1_3repE0EEENS1_30default_config_static_selectorELNS0_4arch9wavefront6targetE1EEEvT1_,comdat
.Lfunc_end226:
	.size	_ZN7rocprim17ROCPRIM_400000_NS6detail17trampoline_kernelINS0_14default_configENS1_25partition_config_selectorILNS1_17partition_subalgoE9EllbEEZZNS1_14partition_implILS5_9ELb0ES3_jPlS8_PNS0_10empty_typeENS0_5tupleIJS8_S9_EEENSB_IJS8_SA_EEENS0_18inequality_wrapperIZN2at6native12_GLOBAL__N_124unique_dim_cuda_templateIhEESt5tupleIJNSF_6TensorESK_SK_EERKSK_lbbbEUlllE0_EEPmJS9_EEE10hipError_tPvRmT3_T4_T5_T6_T7_T9_mT8_P12ihipStream_tbDpT10_ENKUlT_T0_E_clISt17integral_constantIbLb1EES19_IbLb0EEEEDaS15_S16_EUlS15_E_NS1_11comp_targetILNS1_3genE10ELNS1_11target_archE1200ELNS1_3gpuE4ELNS1_3repE0EEENS1_30default_config_static_selectorELNS0_4arch9wavefront6targetE1EEEvT1_, .Lfunc_end226-_ZN7rocprim17ROCPRIM_400000_NS6detail17trampoline_kernelINS0_14default_configENS1_25partition_config_selectorILNS1_17partition_subalgoE9EllbEEZZNS1_14partition_implILS5_9ELb0ES3_jPlS8_PNS0_10empty_typeENS0_5tupleIJS8_S9_EEENSB_IJS8_SA_EEENS0_18inequality_wrapperIZN2at6native12_GLOBAL__N_124unique_dim_cuda_templateIhEESt5tupleIJNSF_6TensorESK_SK_EERKSK_lbbbEUlllE0_EEPmJS9_EEE10hipError_tPvRmT3_T4_T5_T6_T7_T9_mT8_P12ihipStream_tbDpT10_ENKUlT_T0_E_clISt17integral_constantIbLb1EES19_IbLb0EEEEDaS15_S16_EUlS15_E_NS1_11comp_targetILNS1_3genE10ELNS1_11target_archE1200ELNS1_3gpuE4ELNS1_3repE0EEENS1_30default_config_static_selectorELNS0_4arch9wavefront6targetE1EEEvT1_
                                        ; -- End function
	.section	.AMDGPU.csdata,"",@progbits
; Kernel info:
; codeLenInByte = 0
; NumSgprs: 6
; NumVgprs: 0
; NumAgprs: 0
; TotalNumVgprs: 0
; ScratchSize: 0
; MemoryBound: 0
; FloatMode: 240
; IeeeMode: 1
; LDSByteSize: 0 bytes/workgroup (compile time only)
; SGPRBlocks: 0
; VGPRBlocks: 0
; NumSGPRsForWavesPerEU: 6
; NumVGPRsForWavesPerEU: 1
; AccumOffset: 4
; Occupancy: 8
; WaveLimiterHint : 0
; COMPUTE_PGM_RSRC2:SCRATCH_EN: 0
; COMPUTE_PGM_RSRC2:USER_SGPR: 2
; COMPUTE_PGM_RSRC2:TRAP_HANDLER: 0
; COMPUTE_PGM_RSRC2:TGID_X_EN: 1
; COMPUTE_PGM_RSRC2:TGID_Y_EN: 0
; COMPUTE_PGM_RSRC2:TGID_Z_EN: 0
; COMPUTE_PGM_RSRC2:TIDIG_COMP_CNT: 0
; COMPUTE_PGM_RSRC3_GFX90A:ACCUM_OFFSET: 0
; COMPUTE_PGM_RSRC3_GFX90A:TG_SPLIT: 0
	.section	.text._ZN7rocprim17ROCPRIM_400000_NS6detail17trampoline_kernelINS0_14default_configENS1_25partition_config_selectorILNS1_17partition_subalgoE9EllbEEZZNS1_14partition_implILS5_9ELb0ES3_jPlS8_PNS0_10empty_typeENS0_5tupleIJS8_S9_EEENSB_IJS8_SA_EEENS0_18inequality_wrapperIZN2at6native12_GLOBAL__N_124unique_dim_cuda_templateIhEESt5tupleIJNSF_6TensorESK_SK_EERKSK_lbbbEUlllE0_EEPmJS9_EEE10hipError_tPvRmT3_T4_T5_T6_T7_T9_mT8_P12ihipStream_tbDpT10_ENKUlT_T0_E_clISt17integral_constantIbLb1EES19_IbLb0EEEEDaS15_S16_EUlS15_E_NS1_11comp_targetILNS1_3genE9ELNS1_11target_archE1100ELNS1_3gpuE3ELNS1_3repE0EEENS1_30default_config_static_selectorELNS0_4arch9wavefront6targetE1EEEvT1_,"axG",@progbits,_ZN7rocprim17ROCPRIM_400000_NS6detail17trampoline_kernelINS0_14default_configENS1_25partition_config_selectorILNS1_17partition_subalgoE9EllbEEZZNS1_14partition_implILS5_9ELb0ES3_jPlS8_PNS0_10empty_typeENS0_5tupleIJS8_S9_EEENSB_IJS8_SA_EEENS0_18inequality_wrapperIZN2at6native12_GLOBAL__N_124unique_dim_cuda_templateIhEESt5tupleIJNSF_6TensorESK_SK_EERKSK_lbbbEUlllE0_EEPmJS9_EEE10hipError_tPvRmT3_T4_T5_T6_T7_T9_mT8_P12ihipStream_tbDpT10_ENKUlT_T0_E_clISt17integral_constantIbLb1EES19_IbLb0EEEEDaS15_S16_EUlS15_E_NS1_11comp_targetILNS1_3genE9ELNS1_11target_archE1100ELNS1_3gpuE3ELNS1_3repE0EEENS1_30default_config_static_selectorELNS0_4arch9wavefront6targetE1EEEvT1_,comdat
	.globl	_ZN7rocprim17ROCPRIM_400000_NS6detail17trampoline_kernelINS0_14default_configENS1_25partition_config_selectorILNS1_17partition_subalgoE9EllbEEZZNS1_14partition_implILS5_9ELb0ES3_jPlS8_PNS0_10empty_typeENS0_5tupleIJS8_S9_EEENSB_IJS8_SA_EEENS0_18inequality_wrapperIZN2at6native12_GLOBAL__N_124unique_dim_cuda_templateIhEESt5tupleIJNSF_6TensorESK_SK_EERKSK_lbbbEUlllE0_EEPmJS9_EEE10hipError_tPvRmT3_T4_T5_T6_T7_T9_mT8_P12ihipStream_tbDpT10_ENKUlT_T0_E_clISt17integral_constantIbLb1EES19_IbLb0EEEEDaS15_S16_EUlS15_E_NS1_11comp_targetILNS1_3genE9ELNS1_11target_archE1100ELNS1_3gpuE3ELNS1_3repE0EEENS1_30default_config_static_selectorELNS0_4arch9wavefront6targetE1EEEvT1_ ; -- Begin function _ZN7rocprim17ROCPRIM_400000_NS6detail17trampoline_kernelINS0_14default_configENS1_25partition_config_selectorILNS1_17partition_subalgoE9EllbEEZZNS1_14partition_implILS5_9ELb0ES3_jPlS8_PNS0_10empty_typeENS0_5tupleIJS8_S9_EEENSB_IJS8_SA_EEENS0_18inequality_wrapperIZN2at6native12_GLOBAL__N_124unique_dim_cuda_templateIhEESt5tupleIJNSF_6TensorESK_SK_EERKSK_lbbbEUlllE0_EEPmJS9_EEE10hipError_tPvRmT3_T4_T5_T6_T7_T9_mT8_P12ihipStream_tbDpT10_ENKUlT_T0_E_clISt17integral_constantIbLb1EES19_IbLb0EEEEDaS15_S16_EUlS15_E_NS1_11comp_targetILNS1_3genE9ELNS1_11target_archE1100ELNS1_3gpuE3ELNS1_3repE0EEENS1_30default_config_static_selectorELNS0_4arch9wavefront6targetE1EEEvT1_
	.p2align	8
	.type	_ZN7rocprim17ROCPRIM_400000_NS6detail17trampoline_kernelINS0_14default_configENS1_25partition_config_selectorILNS1_17partition_subalgoE9EllbEEZZNS1_14partition_implILS5_9ELb0ES3_jPlS8_PNS0_10empty_typeENS0_5tupleIJS8_S9_EEENSB_IJS8_SA_EEENS0_18inequality_wrapperIZN2at6native12_GLOBAL__N_124unique_dim_cuda_templateIhEESt5tupleIJNSF_6TensorESK_SK_EERKSK_lbbbEUlllE0_EEPmJS9_EEE10hipError_tPvRmT3_T4_T5_T6_T7_T9_mT8_P12ihipStream_tbDpT10_ENKUlT_T0_E_clISt17integral_constantIbLb1EES19_IbLb0EEEEDaS15_S16_EUlS15_E_NS1_11comp_targetILNS1_3genE9ELNS1_11target_archE1100ELNS1_3gpuE3ELNS1_3repE0EEENS1_30default_config_static_selectorELNS0_4arch9wavefront6targetE1EEEvT1_,@function
_ZN7rocprim17ROCPRIM_400000_NS6detail17trampoline_kernelINS0_14default_configENS1_25partition_config_selectorILNS1_17partition_subalgoE9EllbEEZZNS1_14partition_implILS5_9ELb0ES3_jPlS8_PNS0_10empty_typeENS0_5tupleIJS8_S9_EEENSB_IJS8_SA_EEENS0_18inequality_wrapperIZN2at6native12_GLOBAL__N_124unique_dim_cuda_templateIhEESt5tupleIJNSF_6TensorESK_SK_EERKSK_lbbbEUlllE0_EEPmJS9_EEE10hipError_tPvRmT3_T4_T5_T6_T7_T9_mT8_P12ihipStream_tbDpT10_ENKUlT_T0_E_clISt17integral_constantIbLb1EES19_IbLb0EEEEDaS15_S16_EUlS15_E_NS1_11comp_targetILNS1_3genE9ELNS1_11target_archE1100ELNS1_3gpuE3ELNS1_3repE0EEENS1_30default_config_static_selectorELNS0_4arch9wavefront6targetE1EEEvT1_: ; @_ZN7rocprim17ROCPRIM_400000_NS6detail17trampoline_kernelINS0_14default_configENS1_25partition_config_selectorILNS1_17partition_subalgoE9EllbEEZZNS1_14partition_implILS5_9ELb0ES3_jPlS8_PNS0_10empty_typeENS0_5tupleIJS8_S9_EEENSB_IJS8_SA_EEENS0_18inequality_wrapperIZN2at6native12_GLOBAL__N_124unique_dim_cuda_templateIhEESt5tupleIJNSF_6TensorESK_SK_EERKSK_lbbbEUlllE0_EEPmJS9_EEE10hipError_tPvRmT3_T4_T5_T6_T7_T9_mT8_P12ihipStream_tbDpT10_ENKUlT_T0_E_clISt17integral_constantIbLb1EES19_IbLb0EEEEDaS15_S16_EUlS15_E_NS1_11comp_targetILNS1_3genE9ELNS1_11target_archE1100ELNS1_3gpuE3ELNS1_3repE0EEENS1_30default_config_static_selectorELNS0_4arch9wavefront6targetE1EEEvT1_
; %bb.0:
	.section	.rodata,"a",@progbits
	.p2align	6, 0x0
	.amdhsa_kernel _ZN7rocprim17ROCPRIM_400000_NS6detail17trampoline_kernelINS0_14default_configENS1_25partition_config_selectorILNS1_17partition_subalgoE9EllbEEZZNS1_14partition_implILS5_9ELb0ES3_jPlS8_PNS0_10empty_typeENS0_5tupleIJS8_S9_EEENSB_IJS8_SA_EEENS0_18inequality_wrapperIZN2at6native12_GLOBAL__N_124unique_dim_cuda_templateIhEESt5tupleIJNSF_6TensorESK_SK_EERKSK_lbbbEUlllE0_EEPmJS9_EEE10hipError_tPvRmT3_T4_T5_T6_T7_T9_mT8_P12ihipStream_tbDpT10_ENKUlT_T0_E_clISt17integral_constantIbLb1EES19_IbLb0EEEEDaS15_S16_EUlS15_E_NS1_11comp_targetILNS1_3genE9ELNS1_11target_archE1100ELNS1_3gpuE3ELNS1_3repE0EEENS1_30default_config_static_selectorELNS0_4arch9wavefront6targetE1EEEvT1_
		.amdhsa_group_segment_fixed_size 0
		.amdhsa_private_segment_fixed_size 0
		.amdhsa_kernarg_size 120
		.amdhsa_user_sgpr_count 2
		.amdhsa_user_sgpr_dispatch_ptr 0
		.amdhsa_user_sgpr_queue_ptr 0
		.amdhsa_user_sgpr_kernarg_segment_ptr 1
		.amdhsa_user_sgpr_dispatch_id 0
		.amdhsa_user_sgpr_kernarg_preload_length 0
		.amdhsa_user_sgpr_kernarg_preload_offset 0
		.amdhsa_user_sgpr_private_segment_size 0
		.amdhsa_uses_dynamic_stack 0
		.amdhsa_enable_private_segment 0
		.amdhsa_system_sgpr_workgroup_id_x 1
		.amdhsa_system_sgpr_workgroup_id_y 0
		.amdhsa_system_sgpr_workgroup_id_z 0
		.amdhsa_system_sgpr_workgroup_info 0
		.amdhsa_system_vgpr_workitem_id 0
		.amdhsa_next_free_vgpr 1
		.amdhsa_next_free_sgpr 0
		.amdhsa_accum_offset 4
		.amdhsa_reserve_vcc 0
		.amdhsa_float_round_mode_32 0
		.amdhsa_float_round_mode_16_64 0
		.amdhsa_float_denorm_mode_32 3
		.amdhsa_float_denorm_mode_16_64 3
		.amdhsa_dx10_clamp 1
		.amdhsa_ieee_mode 1
		.amdhsa_fp16_overflow 0
		.amdhsa_tg_split 0
		.amdhsa_exception_fp_ieee_invalid_op 0
		.amdhsa_exception_fp_denorm_src 0
		.amdhsa_exception_fp_ieee_div_zero 0
		.amdhsa_exception_fp_ieee_overflow 0
		.amdhsa_exception_fp_ieee_underflow 0
		.amdhsa_exception_fp_ieee_inexact 0
		.amdhsa_exception_int_div_zero 0
	.end_amdhsa_kernel
	.section	.text._ZN7rocprim17ROCPRIM_400000_NS6detail17trampoline_kernelINS0_14default_configENS1_25partition_config_selectorILNS1_17partition_subalgoE9EllbEEZZNS1_14partition_implILS5_9ELb0ES3_jPlS8_PNS0_10empty_typeENS0_5tupleIJS8_S9_EEENSB_IJS8_SA_EEENS0_18inequality_wrapperIZN2at6native12_GLOBAL__N_124unique_dim_cuda_templateIhEESt5tupleIJNSF_6TensorESK_SK_EERKSK_lbbbEUlllE0_EEPmJS9_EEE10hipError_tPvRmT3_T4_T5_T6_T7_T9_mT8_P12ihipStream_tbDpT10_ENKUlT_T0_E_clISt17integral_constantIbLb1EES19_IbLb0EEEEDaS15_S16_EUlS15_E_NS1_11comp_targetILNS1_3genE9ELNS1_11target_archE1100ELNS1_3gpuE3ELNS1_3repE0EEENS1_30default_config_static_selectorELNS0_4arch9wavefront6targetE1EEEvT1_,"axG",@progbits,_ZN7rocprim17ROCPRIM_400000_NS6detail17trampoline_kernelINS0_14default_configENS1_25partition_config_selectorILNS1_17partition_subalgoE9EllbEEZZNS1_14partition_implILS5_9ELb0ES3_jPlS8_PNS0_10empty_typeENS0_5tupleIJS8_S9_EEENSB_IJS8_SA_EEENS0_18inequality_wrapperIZN2at6native12_GLOBAL__N_124unique_dim_cuda_templateIhEESt5tupleIJNSF_6TensorESK_SK_EERKSK_lbbbEUlllE0_EEPmJS9_EEE10hipError_tPvRmT3_T4_T5_T6_T7_T9_mT8_P12ihipStream_tbDpT10_ENKUlT_T0_E_clISt17integral_constantIbLb1EES19_IbLb0EEEEDaS15_S16_EUlS15_E_NS1_11comp_targetILNS1_3genE9ELNS1_11target_archE1100ELNS1_3gpuE3ELNS1_3repE0EEENS1_30default_config_static_selectorELNS0_4arch9wavefront6targetE1EEEvT1_,comdat
.Lfunc_end227:
	.size	_ZN7rocprim17ROCPRIM_400000_NS6detail17trampoline_kernelINS0_14default_configENS1_25partition_config_selectorILNS1_17partition_subalgoE9EllbEEZZNS1_14partition_implILS5_9ELb0ES3_jPlS8_PNS0_10empty_typeENS0_5tupleIJS8_S9_EEENSB_IJS8_SA_EEENS0_18inequality_wrapperIZN2at6native12_GLOBAL__N_124unique_dim_cuda_templateIhEESt5tupleIJNSF_6TensorESK_SK_EERKSK_lbbbEUlllE0_EEPmJS9_EEE10hipError_tPvRmT3_T4_T5_T6_T7_T9_mT8_P12ihipStream_tbDpT10_ENKUlT_T0_E_clISt17integral_constantIbLb1EES19_IbLb0EEEEDaS15_S16_EUlS15_E_NS1_11comp_targetILNS1_3genE9ELNS1_11target_archE1100ELNS1_3gpuE3ELNS1_3repE0EEENS1_30default_config_static_selectorELNS0_4arch9wavefront6targetE1EEEvT1_, .Lfunc_end227-_ZN7rocprim17ROCPRIM_400000_NS6detail17trampoline_kernelINS0_14default_configENS1_25partition_config_selectorILNS1_17partition_subalgoE9EllbEEZZNS1_14partition_implILS5_9ELb0ES3_jPlS8_PNS0_10empty_typeENS0_5tupleIJS8_S9_EEENSB_IJS8_SA_EEENS0_18inequality_wrapperIZN2at6native12_GLOBAL__N_124unique_dim_cuda_templateIhEESt5tupleIJNSF_6TensorESK_SK_EERKSK_lbbbEUlllE0_EEPmJS9_EEE10hipError_tPvRmT3_T4_T5_T6_T7_T9_mT8_P12ihipStream_tbDpT10_ENKUlT_T0_E_clISt17integral_constantIbLb1EES19_IbLb0EEEEDaS15_S16_EUlS15_E_NS1_11comp_targetILNS1_3genE9ELNS1_11target_archE1100ELNS1_3gpuE3ELNS1_3repE0EEENS1_30default_config_static_selectorELNS0_4arch9wavefront6targetE1EEEvT1_
                                        ; -- End function
	.section	.AMDGPU.csdata,"",@progbits
; Kernel info:
; codeLenInByte = 0
; NumSgprs: 6
; NumVgprs: 0
; NumAgprs: 0
; TotalNumVgprs: 0
; ScratchSize: 0
; MemoryBound: 0
; FloatMode: 240
; IeeeMode: 1
; LDSByteSize: 0 bytes/workgroup (compile time only)
; SGPRBlocks: 0
; VGPRBlocks: 0
; NumSGPRsForWavesPerEU: 6
; NumVGPRsForWavesPerEU: 1
; AccumOffset: 4
; Occupancy: 8
; WaveLimiterHint : 0
; COMPUTE_PGM_RSRC2:SCRATCH_EN: 0
; COMPUTE_PGM_RSRC2:USER_SGPR: 2
; COMPUTE_PGM_RSRC2:TRAP_HANDLER: 0
; COMPUTE_PGM_RSRC2:TGID_X_EN: 1
; COMPUTE_PGM_RSRC2:TGID_Y_EN: 0
; COMPUTE_PGM_RSRC2:TGID_Z_EN: 0
; COMPUTE_PGM_RSRC2:TIDIG_COMP_CNT: 0
; COMPUTE_PGM_RSRC3_GFX90A:ACCUM_OFFSET: 0
; COMPUTE_PGM_RSRC3_GFX90A:TG_SPLIT: 0
	.section	.text._ZN7rocprim17ROCPRIM_400000_NS6detail17trampoline_kernelINS0_14default_configENS1_25partition_config_selectorILNS1_17partition_subalgoE9EllbEEZZNS1_14partition_implILS5_9ELb0ES3_jPlS8_PNS0_10empty_typeENS0_5tupleIJS8_S9_EEENSB_IJS8_SA_EEENS0_18inequality_wrapperIZN2at6native12_GLOBAL__N_124unique_dim_cuda_templateIhEESt5tupleIJNSF_6TensorESK_SK_EERKSK_lbbbEUlllE0_EEPmJS9_EEE10hipError_tPvRmT3_T4_T5_T6_T7_T9_mT8_P12ihipStream_tbDpT10_ENKUlT_T0_E_clISt17integral_constantIbLb1EES19_IbLb0EEEEDaS15_S16_EUlS15_E_NS1_11comp_targetILNS1_3genE8ELNS1_11target_archE1030ELNS1_3gpuE2ELNS1_3repE0EEENS1_30default_config_static_selectorELNS0_4arch9wavefront6targetE1EEEvT1_,"axG",@progbits,_ZN7rocprim17ROCPRIM_400000_NS6detail17trampoline_kernelINS0_14default_configENS1_25partition_config_selectorILNS1_17partition_subalgoE9EllbEEZZNS1_14partition_implILS5_9ELb0ES3_jPlS8_PNS0_10empty_typeENS0_5tupleIJS8_S9_EEENSB_IJS8_SA_EEENS0_18inequality_wrapperIZN2at6native12_GLOBAL__N_124unique_dim_cuda_templateIhEESt5tupleIJNSF_6TensorESK_SK_EERKSK_lbbbEUlllE0_EEPmJS9_EEE10hipError_tPvRmT3_T4_T5_T6_T7_T9_mT8_P12ihipStream_tbDpT10_ENKUlT_T0_E_clISt17integral_constantIbLb1EES19_IbLb0EEEEDaS15_S16_EUlS15_E_NS1_11comp_targetILNS1_3genE8ELNS1_11target_archE1030ELNS1_3gpuE2ELNS1_3repE0EEENS1_30default_config_static_selectorELNS0_4arch9wavefront6targetE1EEEvT1_,comdat
	.globl	_ZN7rocprim17ROCPRIM_400000_NS6detail17trampoline_kernelINS0_14default_configENS1_25partition_config_selectorILNS1_17partition_subalgoE9EllbEEZZNS1_14partition_implILS5_9ELb0ES3_jPlS8_PNS0_10empty_typeENS0_5tupleIJS8_S9_EEENSB_IJS8_SA_EEENS0_18inequality_wrapperIZN2at6native12_GLOBAL__N_124unique_dim_cuda_templateIhEESt5tupleIJNSF_6TensorESK_SK_EERKSK_lbbbEUlllE0_EEPmJS9_EEE10hipError_tPvRmT3_T4_T5_T6_T7_T9_mT8_P12ihipStream_tbDpT10_ENKUlT_T0_E_clISt17integral_constantIbLb1EES19_IbLb0EEEEDaS15_S16_EUlS15_E_NS1_11comp_targetILNS1_3genE8ELNS1_11target_archE1030ELNS1_3gpuE2ELNS1_3repE0EEENS1_30default_config_static_selectorELNS0_4arch9wavefront6targetE1EEEvT1_ ; -- Begin function _ZN7rocprim17ROCPRIM_400000_NS6detail17trampoline_kernelINS0_14default_configENS1_25partition_config_selectorILNS1_17partition_subalgoE9EllbEEZZNS1_14partition_implILS5_9ELb0ES3_jPlS8_PNS0_10empty_typeENS0_5tupleIJS8_S9_EEENSB_IJS8_SA_EEENS0_18inequality_wrapperIZN2at6native12_GLOBAL__N_124unique_dim_cuda_templateIhEESt5tupleIJNSF_6TensorESK_SK_EERKSK_lbbbEUlllE0_EEPmJS9_EEE10hipError_tPvRmT3_T4_T5_T6_T7_T9_mT8_P12ihipStream_tbDpT10_ENKUlT_T0_E_clISt17integral_constantIbLb1EES19_IbLb0EEEEDaS15_S16_EUlS15_E_NS1_11comp_targetILNS1_3genE8ELNS1_11target_archE1030ELNS1_3gpuE2ELNS1_3repE0EEENS1_30default_config_static_selectorELNS0_4arch9wavefront6targetE1EEEvT1_
	.p2align	8
	.type	_ZN7rocprim17ROCPRIM_400000_NS6detail17trampoline_kernelINS0_14default_configENS1_25partition_config_selectorILNS1_17partition_subalgoE9EllbEEZZNS1_14partition_implILS5_9ELb0ES3_jPlS8_PNS0_10empty_typeENS0_5tupleIJS8_S9_EEENSB_IJS8_SA_EEENS0_18inequality_wrapperIZN2at6native12_GLOBAL__N_124unique_dim_cuda_templateIhEESt5tupleIJNSF_6TensorESK_SK_EERKSK_lbbbEUlllE0_EEPmJS9_EEE10hipError_tPvRmT3_T4_T5_T6_T7_T9_mT8_P12ihipStream_tbDpT10_ENKUlT_T0_E_clISt17integral_constantIbLb1EES19_IbLb0EEEEDaS15_S16_EUlS15_E_NS1_11comp_targetILNS1_3genE8ELNS1_11target_archE1030ELNS1_3gpuE2ELNS1_3repE0EEENS1_30default_config_static_selectorELNS0_4arch9wavefront6targetE1EEEvT1_,@function
_ZN7rocprim17ROCPRIM_400000_NS6detail17trampoline_kernelINS0_14default_configENS1_25partition_config_selectorILNS1_17partition_subalgoE9EllbEEZZNS1_14partition_implILS5_9ELb0ES3_jPlS8_PNS0_10empty_typeENS0_5tupleIJS8_S9_EEENSB_IJS8_SA_EEENS0_18inequality_wrapperIZN2at6native12_GLOBAL__N_124unique_dim_cuda_templateIhEESt5tupleIJNSF_6TensorESK_SK_EERKSK_lbbbEUlllE0_EEPmJS9_EEE10hipError_tPvRmT3_T4_T5_T6_T7_T9_mT8_P12ihipStream_tbDpT10_ENKUlT_T0_E_clISt17integral_constantIbLb1EES19_IbLb0EEEEDaS15_S16_EUlS15_E_NS1_11comp_targetILNS1_3genE8ELNS1_11target_archE1030ELNS1_3gpuE2ELNS1_3repE0EEENS1_30default_config_static_selectorELNS0_4arch9wavefront6targetE1EEEvT1_: ; @_ZN7rocprim17ROCPRIM_400000_NS6detail17trampoline_kernelINS0_14default_configENS1_25partition_config_selectorILNS1_17partition_subalgoE9EllbEEZZNS1_14partition_implILS5_9ELb0ES3_jPlS8_PNS0_10empty_typeENS0_5tupleIJS8_S9_EEENSB_IJS8_SA_EEENS0_18inequality_wrapperIZN2at6native12_GLOBAL__N_124unique_dim_cuda_templateIhEESt5tupleIJNSF_6TensorESK_SK_EERKSK_lbbbEUlllE0_EEPmJS9_EEE10hipError_tPvRmT3_T4_T5_T6_T7_T9_mT8_P12ihipStream_tbDpT10_ENKUlT_T0_E_clISt17integral_constantIbLb1EES19_IbLb0EEEEDaS15_S16_EUlS15_E_NS1_11comp_targetILNS1_3genE8ELNS1_11target_archE1030ELNS1_3gpuE2ELNS1_3repE0EEENS1_30default_config_static_selectorELNS0_4arch9wavefront6targetE1EEEvT1_
; %bb.0:
	.section	.rodata,"a",@progbits
	.p2align	6, 0x0
	.amdhsa_kernel _ZN7rocprim17ROCPRIM_400000_NS6detail17trampoline_kernelINS0_14default_configENS1_25partition_config_selectorILNS1_17partition_subalgoE9EllbEEZZNS1_14partition_implILS5_9ELb0ES3_jPlS8_PNS0_10empty_typeENS0_5tupleIJS8_S9_EEENSB_IJS8_SA_EEENS0_18inequality_wrapperIZN2at6native12_GLOBAL__N_124unique_dim_cuda_templateIhEESt5tupleIJNSF_6TensorESK_SK_EERKSK_lbbbEUlllE0_EEPmJS9_EEE10hipError_tPvRmT3_T4_T5_T6_T7_T9_mT8_P12ihipStream_tbDpT10_ENKUlT_T0_E_clISt17integral_constantIbLb1EES19_IbLb0EEEEDaS15_S16_EUlS15_E_NS1_11comp_targetILNS1_3genE8ELNS1_11target_archE1030ELNS1_3gpuE2ELNS1_3repE0EEENS1_30default_config_static_selectorELNS0_4arch9wavefront6targetE1EEEvT1_
		.amdhsa_group_segment_fixed_size 0
		.amdhsa_private_segment_fixed_size 0
		.amdhsa_kernarg_size 120
		.amdhsa_user_sgpr_count 2
		.amdhsa_user_sgpr_dispatch_ptr 0
		.amdhsa_user_sgpr_queue_ptr 0
		.amdhsa_user_sgpr_kernarg_segment_ptr 1
		.amdhsa_user_sgpr_dispatch_id 0
		.amdhsa_user_sgpr_kernarg_preload_length 0
		.amdhsa_user_sgpr_kernarg_preload_offset 0
		.amdhsa_user_sgpr_private_segment_size 0
		.amdhsa_uses_dynamic_stack 0
		.amdhsa_enable_private_segment 0
		.amdhsa_system_sgpr_workgroup_id_x 1
		.amdhsa_system_sgpr_workgroup_id_y 0
		.amdhsa_system_sgpr_workgroup_id_z 0
		.amdhsa_system_sgpr_workgroup_info 0
		.amdhsa_system_vgpr_workitem_id 0
		.amdhsa_next_free_vgpr 1
		.amdhsa_next_free_sgpr 0
		.amdhsa_accum_offset 4
		.amdhsa_reserve_vcc 0
		.amdhsa_float_round_mode_32 0
		.amdhsa_float_round_mode_16_64 0
		.amdhsa_float_denorm_mode_32 3
		.amdhsa_float_denorm_mode_16_64 3
		.amdhsa_dx10_clamp 1
		.amdhsa_ieee_mode 1
		.amdhsa_fp16_overflow 0
		.amdhsa_tg_split 0
		.amdhsa_exception_fp_ieee_invalid_op 0
		.amdhsa_exception_fp_denorm_src 0
		.amdhsa_exception_fp_ieee_div_zero 0
		.amdhsa_exception_fp_ieee_overflow 0
		.amdhsa_exception_fp_ieee_underflow 0
		.amdhsa_exception_fp_ieee_inexact 0
		.amdhsa_exception_int_div_zero 0
	.end_amdhsa_kernel
	.section	.text._ZN7rocprim17ROCPRIM_400000_NS6detail17trampoline_kernelINS0_14default_configENS1_25partition_config_selectorILNS1_17partition_subalgoE9EllbEEZZNS1_14partition_implILS5_9ELb0ES3_jPlS8_PNS0_10empty_typeENS0_5tupleIJS8_S9_EEENSB_IJS8_SA_EEENS0_18inequality_wrapperIZN2at6native12_GLOBAL__N_124unique_dim_cuda_templateIhEESt5tupleIJNSF_6TensorESK_SK_EERKSK_lbbbEUlllE0_EEPmJS9_EEE10hipError_tPvRmT3_T4_T5_T6_T7_T9_mT8_P12ihipStream_tbDpT10_ENKUlT_T0_E_clISt17integral_constantIbLb1EES19_IbLb0EEEEDaS15_S16_EUlS15_E_NS1_11comp_targetILNS1_3genE8ELNS1_11target_archE1030ELNS1_3gpuE2ELNS1_3repE0EEENS1_30default_config_static_selectorELNS0_4arch9wavefront6targetE1EEEvT1_,"axG",@progbits,_ZN7rocprim17ROCPRIM_400000_NS6detail17trampoline_kernelINS0_14default_configENS1_25partition_config_selectorILNS1_17partition_subalgoE9EllbEEZZNS1_14partition_implILS5_9ELb0ES3_jPlS8_PNS0_10empty_typeENS0_5tupleIJS8_S9_EEENSB_IJS8_SA_EEENS0_18inequality_wrapperIZN2at6native12_GLOBAL__N_124unique_dim_cuda_templateIhEESt5tupleIJNSF_6TensorESK_SK_EERKSK_lbbbEUlllE0_EEPmJS9_EEE10hipError_tPvRmT3_T4_T5_T6_T7_T9_mT8_P12ihipStream_tbDpT10_ENKUlT_T0_E_clISt17integral_constantIbLb1EES19_IbLb0EEEEDaS15_S16_EUlS15_E_NS1_11comp_targetILNS1_3genE8ELNS1_11target_archE1030ELNS1_3gpuE2ELNS1_3repE0EEENS1_30default_config_static_selectorELNS0_4arch9wavefront6targetE1EEEvT1_,comdat
.Lfunc_end228:
	.size	_ZN7rocprim17ROCPRIM_400000_NS6detail17trampoline_kernelINS0_14default_configENS1_25partition_config_selectorILNS1_17partition_subalgoE9EllbEEZZNS1_14partition_implILS5_9ELb0ES3_jPlS8_PNS0_10empty_typeENS0_5tupleIJS8_S9_EEENSB_IJS8_SA_EEENS0_18inequality_wrapperIZN2at6native12_GLOBAL__N_124unique_dim_cuda_templateIhEESt5tupleIJNSF_6TensorESK_SK_EERKSK_lbbbEUlllE0_EEPmJS9_EEE10hipError_tPvRmT3_T4_T5_T6_T7_T9_mT8_P12ihipStream_tbDpT10_ENKUlT_T0_E_clISt17integral_constantIbLb1EES19_IbLb0EEEEDaS15_S16_EUlS15_E_NS1_11comp_targetILNS1_3genE8ELNS1_11target_archE1030ELNS1_3gpuE2ELNS1_3repE0EEENS1_30default_config_static_selectorELNS0_4arch9wavefront6targetE1EEEvT1_, .Lfunc_end228-_ZN7rocprim17ROCPRIM_400000_NS6detail17trampoline_kernelINS0_14default_configENS1_25partition_config_selectorILNS1_17partition_subalgoE9EllbEEZZNS1_14partition_implILS5_9ELb0ES3_jPlS8_PNS0_10empty_typeENS0_5tupleIJS8_S9_EEENSB_IJS8_SA_EEENS0_18inequality_wrapperIZN2at6native12_GLOBAL__N_124unique_dim_cuda_templateIhEESt5tupleIJNSF_6TensorESK_SK_EERKSK_lbbbEUlllE0_EEPmJS9_EEE10hipError_tPvRmT3_T4_T5_T6_T7_T9_mT8_P12ihipStream_tbDpT10_ENKUlT_T0_E_clISt17integral_constantIbLb1EES19_IbLb0EEEEDaS15_S16_EUlS15_E_NS1_11comp_targetILNS1_3genE8ELNS1_11target_archE1030ELNS1_3gpuE2ELNS1_3repE0EEENS1_30default_config_static_selectorELNS0_4arch9wavefront6targetE1EEEvT1_
                                        ; -- End function
	.section	.AMDGPU.csdata,"",@progbits
; Kernel info:
; codeLenInByte = 0
; NumSgprs: 6
; NumVgprs: 0
; NumAgprs: 0
; TotalNumVgprs: 0
; ScratchSize: 0
; MemoryBound: 0
; FloatMode: 240
; IeeeMode: 1
; LDSByteSize: 0 bytes/workgroup (compile time only)
; SGPRBlocks: 0
; VGPRBlocks: 0
; NumSGPRsForWavesPerEU: 6
; NumVGPRsForWavesPerEU: 1
; AccumOffset: 4
; Occupancy: 8
; WaveLimiterHint : 0
; COMPUTE_PGM_RSRC2:SCRATCH_EN: 0
; COMPUTE_PGM_RSRC2:USER_SGPR: 2
; COMPUTE_PGM_RSRC2:TRAP_HANDLER: 0
; COMPUTE_PGM_RSRC2:TGID_X_EN: 1
; COMPUTE_PGM_RSRC2:TGID_Y_EN: 0
; COMPUTE_PGM_RSRC2:TGID_Z_EN: 0
; COMPUTE_PGM_RSRC2:TIDIG_COMP_CNT: 0
; COMPUTE_PGM_RSRC3_GFX90A:ACCUM_OFFSET: 0
; COMPUTE_PGM_RSRC3_GFX90A:TG_SPLIT: 0
	.section	.text._ZN7rocprim17ROCPRIM_400000_NS6detail17trampoline_kernelINS0_14default_configENS1_25partition_config_selectorILNS1_17partition_subalgoE9EllbEEZZNS1_14partition_implILS5_9ELb0ES3_jPlS8_PNS0_10empty_typeENS0_5tupleIJS8_S9_EEENSB_IJS8_SA_EEENS0_18inequality_wrapperIZN2at6native12_GLOBAL__N_124unique_dim_cuda_templateIhEESt5tupleIJNSF_6TensorESK_SK_EERKSK_lbbbEUlllE0_EEPmJS9_EEE10hipError_tPvRmT3_T4_T5_T6_T7_T9_mT8_P12ihipStream_tbDpT10_ENKUlT_T0_E_clISt17integral_constantIbLb0EES19_IbLb1EEEEDaS15_S16_EUlS15_E_NS1_11comp_targetILNS1_3genE0ELNS1_11target_archE4294967295ELNS1_3gpuE0ELNS1_3repE0EEENS1_30default_config_static_selectorELNS0_4arch9wavefront6targetE1EEEvT1_,"axG",@progbits,_ZN7rocprim17ROCPRIM_400000_NS6detail17trampoline_kernelINS0_14default_configENS1_25partition_config_selectorILNS1_17partition_subalgoE9EllbEEZZNS1_14partition_implILS5_9ELb0ES3_jPlS8_PNS0_10empty_typeENS0_5tupleIJS8_S9_EEENSB_IJS8_SA_EEENS0_18inequality_wrapperIZN2at6native12_GLOBAL__N_124unique_dim_cuda_templateIhEESt5tupleIJNSF_6TensorESK_SK_EERKSK_lbbbEUlllE0_EEPmJS9_EEE10hipError_tPvRmT3_T4_T5_T6_T7_T9_mT8_P12ihipStream_tbDpT10_ENKUlT_T0_E_clISt17integral_constantIbLb0EES19_IbLb1EEEEDaS15_S16_EUlS15_E_NS1_11comp_targetILNS1_3genE0ELNS1_11target_archE4294967295ELNS1_3gpuE0ELNS1_3repE0EEENS1_30default_config_static_selectorELNS0_4arch9wavefront6targetE1EEEvT1_,comdat
	.globl	_ZN7rocprim17ROCPRIM_400000_NS6detail17trampoline_kernelINS0_14default_configENS1_25partition_config_selectorILNS1_17partition_subalgoE9EllbEEZZNS1_14partition_implILS5_9ELb0ES3_jPlS8_PNS0_10empty_typeENS0_5tupleIJS8_S9_EEENSB_IJS8_SA_EEENS0_18inequality_wrapperIZN2at6native12_GLOBAL__N_124unique_dim_cuda_templateIhEESt5tupleIJNSF_6TensorESK_SK_EERKSK_lbbbEUlllE0_EEPmJS9_EEE10hipError_tPvRmT3_T4_T5_T6_T7_T9_mT8_P12ihipStream_tbDpT10_ENKUlT_T0_E_clISt17integral_constantIbLb0EES19_IbLb1EEEEDaS15_S16_EUlS15_E_NS1_11comp_targetILNS1_3genE0ELNS1_11target_archE4294967295ELNS1_3gpuE0ELNS1_3repE0EEENS1_30default_config_static_selectorELNS0_4arch9wavefront6targetE1EEEvT1_ ; -- Begin function _ZN7rocprim17ROCPRIM_400000_NS6detail17trampoline_kernelINS0_14default_configENS1_25partition_config_selectorILNS1_17partition_subalgoE9EllbEEZZNS1_14partition_implILS5_9ELb0ES3_jPlS8_PNS0_10empty_typeENS0_5tupleIJS8_S9_EEENSB_IJS8_SA_EEENS0_18inequality_wrapperIZN2at6native12_GLOBAL__N_124unique_dim_cuda_templateIhEESt5tupleIJNSF_6TensorESK_SK_EERKSK_lbbbEUlllE0_EEPmJS9_EEE10hipError_tPvRmT3_T4_T5_T6_T7_T9_mT8_P12ihipStream_tbDpT10_ENKUlT_T0_E_clISt17integral_constantIbLb0EES19_IbLb1EEEEDaS15_S16_EUlS15_E_NS1_11comp_targetILNS1_3genE0ELNS1_11target_archE4294967295ELNS1_3gpuE0ELNS1_3repE0EEENS1_30default_config_static_selectorELNS0_4arch9wavefront6targetE1EEEvT1_
	.p2align	8
	.type	_ZN7rocprim17ROCPRIM_400000_NS6detail17trampoline_kernelINS0_14default_configENS1_25partition_config_selectorILNS1_17partition_subalgoE9EllbEEZZNS1_14partition_implILS5_9ELb0ES3_jPlS8_PNS0_10empty_typeENS0_5tupleIJS8_S9_EEENSB_IJS8_SA_EEENS0_18inequality_wrapperIZN2at6native12_GLOBAL__N_124unique_dim_cuda_templateIhEESt5tupleIJNSF_6TensorESK_SK_EERKSK_lbbbEUlllE0_EEPmJS9_EEE10hipError_tPvRmT3_T4_T5_T6_T7_T9_mT8_P12ihipStream_tbDpT10_ENKUlT_T0_E_clISt17integral_constantIbLb0EES19_IbLb1EEEEDaS15_S16_EUlS15_E_NS1_11comp_targetILNS1_3genE0ELNS1_11target_archE4294967295ELNS1_3gpuE0ELNS1_3repE0EEENS1_30default_config_static_selectorELNS0_4arch9wavefront6targetE1EEEvT1_,@function
_ZN7rocprim17ROCPRIM_400000_NS6detail17trampoline_kernelINS0_14default_configENS1_25partition_config_selectorILNS1_17partition_subalgoE9EllbEEZZNS1_14partition_implILS5_9ELb0ES3_jPlS8_PNS0_10empty_typeENS0_5tupleIJS8_S9_EEENSB_IJS8_SA_EEENS0_18inequality_wrapperIZN2at6native12_GLOBAL__N_124unique_dim_cuda_templateIhEESt5tupleIJNSF_6TensorESK_SK_EERKSK_lbbbEUlllE0_EEPmJS9_EEE10hipError_tPvRmT3_T4_T5_T6_T7_T9_mT8_P12ihipStream_tbDpT10_ENKUlT_T0_E_clISt17integral_constantIbLb0EES19_IbLb1EEEEDaS15_S16_EUlS15_E_NS1_11comp_targetILNS1_3genE0ELNS1_11target_archE4294967295ELNS1_3gpuE0ELNS1_3repE0EEENS1_30default_config_static_selectorELNS0_4arch9wavefront6targetE1EEEvT1_: ; @_ZN7rocprim17ROCPRIM_400000_NS6detail17trampoline_kernelINS0_14default_configENS1_25partition_config_selectorILNS1_17partition_subalgoE9EllbEEZZNS1_14partition_implILS5_9ELb0ES3_jPlS8_PNS0_10empty_typeENS0_5tupleIJS8_S9_EEENSB_IJS8_SA_EEENS0_18inequality_wrapperIZN2at6native12_GLOBAL__N_124unique_dim_cuda_templateIhEESt5tupleIJNSF_6TensorESK_SK_EERKSK_lbbbEUlllE0_EEPmJS9_EEE10hipError_tPvRmT3_T4_T5_T6_T7_T9_mT8_P12ihipStream_tbDpT10_ENKUlT_T0_E_clISt17integral_constantIbLb0EES19_IbLb1EEEEDaS15_S16_EUlS15_E_NS1_11comp_targetILNS1_3genE0ELNS1_11target_archE4294967295ELNS1_3gpuE0ELNS1_3repE0EEENS1_30default_config_static_selectorELNS0_4arch9wavefront6targetE1EEEvT1_
; %bb.0:
	.section	.rodata,"a",@progbits
	.p2align	6, 0x0
	.amdhsa_kernel _ZN7rocprim17ROCPRIM_400000_NS6detail17trampoline_kernelINS0_14default_configENS1_25partition_config_selectorILNS1_17partition_subalgoE9EllbEEZZNS1_14partition_implILS5_9ELb0ES3_jPlS8_PNS0_10empty_typeENS0_5tupleIJS8_S9_EEENSB_IJS8_SA_EEENS0_18inequality_wrapperIZN2at6native12_GLOBAL__N_124unique_dim_cuda_templateIhEESt5tupleIJNSF_6TensorESK_SK_EERKSK_lbbbEUlllE0_EEPmJS9_EEE10hipError_tPvRmT3_T4_T5_T6_T7_T9_mT8_P12ihipStream_tbDpT10_ENKUlT_T0_E_clISt17integral_constantIbLb0EES19_IbLb1EEEEDaS15_S16_EUlS15_E_NS1_11comp_targetILNS1_3genE0ELNS1_11target_archE4294967295ELNS1_3gpuE0ELNS1_3repE0EEENS1_30default_config_static_selectorELNS0_4arch9wavefront6targetE1EEEvT1_
		.amdhsa_group_segment_fixed_size 0
		.amdhsa_private_segment_fixed_size 0
		.amdhsa_kernarg_size 136
		.amdhsa_user_sgpr_count 2
		.amdhsa_user_sgpr_dispatch_ptr 0
		.amdhsa_user_sgpr_queue_ptr 0
		.amdhsa_user_sgpr_kernarg_segment_ptr 1
		.amdhsa_user_sgpr_dispatch_id 0
		.amdhsa_user_sgpr_kernarg_preload_length 0
		.amdhsa_user_sgpr_kernarg_preload_offset 0
		.amdhsa_user_sgpr_private_segment_size 0
		.amdhsa_uses_dynamic_stack 0
		.amdhsa_enable_private_segment 0
		.amdhsa_system_sgpr_workgroup_id_x 1
		.amdhsa_system_sgpr_workgroup_id_y 0
		.amdhsa_system_sgpr_workgroup_id_z 0
		.amdhsa_system_sgpr_workgroup_info 0
		.amdhsa_system_vgpr_workitem_id 0
		.amdhsa_next_free_vgpr 1
		.amdhsa_next_free_sgpr 0
		.amdhsa_accum_offset 4
		.amdhsa_reserve_vcc 0
		.amdhsa_float_round_mode_32 0
		.amdhsa_float_round_mode_16_64 0
		.amdhsa_float_denorm_mode_32 3
		.amdhsa_float_denorm_mode_16_64 3
		.amdhsa_dx10_clamp 1
		.amdhsa_ieee_mode 1
		.amdhsa_fp16_overflow 0
		.amdhsa_tg_split 0
		.amdhsa_exception_fp_ieee_invalid_op 0
		.amdhsa_exception_fp_denorm_src 0
		.amdhsa_exception_fp_ieee_div_zero 0
		.amdhsa_exception_fp_ieee_overflow 0
		.amdhsa_exception_fp_ieee_underflow 0
		.amdhsa_exception_fp_ieee_inexact 0
		.amdhsa_exception_int_div_zero 0
	.end_amdhsa_kernel
	.section	.text._ZN7rocprim17ROCPRIM_400000_NS6detail17trampoline_kernelINS0_14default_configENS1_25partition_config_selectorILNS1_17partition_subalgoE9EllbEEZZNS1_14partition_implILS5_9ELb0ES3_jPlS8_PNS0_10empty_typeENS0_5tupleIJS8_S9_EEENSB_IJS8_SA_EEENS0_18inequality_wrapperIZN2at6native12_GLOBAL__N_124unique_dim_cuda_templateIhEESt5tupleIJNSF_6TensorESK_SK_EERKSK_lbbbEUlllE0_EEPmJS9_EEE10hipError_tPvRmT3_T4_T5_T6_T7_T9_mT8_P12ihipStream_tbDpT10_ENKUlT_T0_E_clISt17integral_constantIbLb0EES19_IbLb1EEEEDaS15_S16_EUlS15_E_NS1_11comp_targetILNS1_3genE0ELNS1_11target_archE4294967295ELNS1_3gpuE0ELNS1_3repE0EEENS1_30default_config_static_selectorELNS0_4arch9wavefront6targetE1EEEvT1_,"axG",@progbits,_ZN7rocprim17ROCPRIM_400000_NS6detail17trampoline_kernelINS0_14default_configENS1_25partition_config_selectorILNS1_17partition_subalgoE9EllbEEZZNS1_14partition_implILS5_9ELb0ES3_jPlS8_PNS0_10empty_typeENS0_5tupleIJS8_S9_EEENSB_IJS8_SA_EEENS0_18inequality_wrapperIZN2at6native12_GLOBAL__N_124unique_dim_cuda_templateIhEESt5tupleIJNSF_6TensorESK_SK_EERKSK_lbbbEUlllE0_EEPmJS9_EEE10hipError_tPvRmT3_T4_T5_T6_T7_T9_mT8_P12ihipStream_tbDpT10_ENKUlT_T0_E_clISt17integral_constantIbLb0EES19_IbLb1EEEEDaS15_S16_EUlS15_E_NS1_11comp_targetILNS1_3genE0ELNS1_11target_archE4294967295ELNS1_3gpuE0ELNS1_3repE0EEENS1_30default_config_static_selectorELNS0_4arch9wavefront6targetE1EEEvT1_,comdat
.Lfunc_end229:
	.size	_ZN7rocprim17ROCPRIM_400000_NS6detail17trampoline_kernelINS0_14default_configENS1_25partition_config_selectorILNS1_17partition_subalgoE9EllbEEZZNS1_14partition_implILS5_9ELb0ES3_jPlS8_PNS0_10empty_typeENS0_5tupleIJS8_S9_EEENSB_IJS8_SA_EEENS0_18inequality_wrapperIZN2at6native12_GLOBAL__N_124unique_dim_cuda_templateIhEESt5tupleIJNSF_6TensorESK_SK_EERKSK_lbbbEUlllE0_EEPmJS9_EEE10hipError_tPvRmT3_T4_T5_T6_T7_T9_mT8_P12ihipStream_tbDpT10_ENKUlT_T0_E_clISt17integral_constantIbLb0EES19_IbLb1EEEEDaS15_S16_EUlS15_E_NS1_11comp_targetILNS1_3genE0ELNS1_11target_archE4294967295ELNS1_3gpuE0ELNS1_3repE0EEENS1_30default_config_static_selectorELNS0_4arch9wavefront6targetE1EEEvT1_, .Lfunc_end229-_ZN7rocprim17ROCPRIM_400000_NS6detail17trampoline_kernelINS0_14default_configENS1_25partition_config_selectorILNS1_17partition_subalgoE9EllbEEZZNS1_14partition_implILS5_9ELb0ES3_jPlS8_PNS0_10empty_typeENS0_5tupleIJS8_S9_EEENSB_IJS8_SA_EEENS0_18inequality_wrapperIZN2at6native12_GLOBAL__N_124unique_dim_cuda_templateIhEESt5tupleIJNSF_6TensorESK_SK_EERKSK_lbbbEUlllE0_EEPmJS9_EEE10hipError_tPvRmT3_T4_T5_T6_T7_T9_mT8_P12ihipStream_tbDpT10_ENKUlT_T0_E_clISt17integral_constantIbLb0EES19_IbLb1EEEEDaS15_S16_EUlS15_E_NS1_11comp_targetILNS1_3genE0ELNS1_11target_archE4294967295ELNS1_3gpuE0ELNS1_3repE0EEENS1_30default_config_static_selectorELNS0_4arch9wavefront6targetE1EEEvT1_
                                        ; -- End function
	.section	.AMDGPU.csdata,"",@progbits
; Kernel info:
; codeLenInByte = 0
; NumSgprs: 6
; NumVgprs: 0
; NumAgprs: 0
; TotalNumVgprs: 0
; ScratchSize: 0
; MemoryBound: 0
; FloatMode: 240
; IeeeMode: 1
; LDSByteSize: 0 bytes/workgroup (compile time only)
; SGPRBlocks: 0
; VGPRBlocks: 0
; NumSGPRsForWavesPerEU: 6
; NumVGPRsForWavesPerEU: 1
; AccumOffset: 4
; Occupancy: 8
; WaveLimiterHint : 0
; COMPUTE_PGM_RSRC2:SCRATCH_EN: 0
; COMPUTE_PGM_RSRC2:USER_SGPR: 2
; COMPUTE_PGM_RSRC2:TRAP_HANDLER: 0
; COMPUTE_PGM_RSRC2:TGID_X_EN: 1
; COMPUTE_PGM_RSRC2:TGID_Y_EN: 0
; COMPUTE_PGM_RSRC2:TGID_Z_EN: 0
; COMPUTE_PGM_RSRC2:TIDIG_COMP_CNT: 0
; COMPUTE_PGM_RSRC3_GFX90A:ACCUM_OFFSET: 0
; COMPUTE_PGM_RSRC3_GFX90A:TG_SPLIT: 0
	.section	.text._ZN7rocprim17ROCPRIM_400000_NS6detail17trampoline_kernelINS0_14default_configENS1_25partition_config_selectorILNS1_17partition_subalgoE9EllbEEZZNS1_14partition_implILS5_9ELb0ES3_jPlS8_PNS0_10empty_typeENS0_5tupleIJS8_S9_EEENSB_IJS8_SA_EEENS0_18inequality_wrapperIZN2at6native12_GLOBAL__N_124unique_dim_cuda_templateIhEESt5tupleIJNSF_6TensorESK_SK_EERKSK_lbbbEUlllE0_EEPmJS9_EEE10hipError_tPvRmT3_T4_T5_T6_T7_T9_mT8_P12ihipStream_tbDpT10_ENKUlT_T0_E_clISt17integral_constantIbLb0EES19_IbLb1EEEEDaS15_S16_EUlS15_E_NS1_11comp_targetILNS1_3genE5ELNS1_11target_archE942ELNS1_3gpuE9ELNS1_3repE0EEENS1_30default_config_static_selectorELNS0_4arch9wavefront6targetE1EEEvT1_,"axG",@progbits,_ZN7rocprim17ROCPRIM_400000_NS6detail17trampoline_kernelINS0_14default_configENS1_25partition_config_selectorILNS1_17partition_subalgoE9EllbEEZZNS1_14partition_implILS5_9ELb0ES3_jPlS8_PNS0_10empty_typeENS0_5tupleIJS8_S9_EEENSB_IJS8_SA_EEENS0_18inequality_wrapperIZN2at6native12_GLOBAL__N_124unique_dim_cuda_templateIhEESt5tupleIJNSF_6TensorESK_SK_EERKSK_lbbbEUlllE0_EEPmJS9_EEE10hipError_tPvRmT3_T4_T5_T6_T7_T9_mT8_P12ihipStream_tbDpT10_ENKUlT_T0_E_clISt17integral_constantIbLb0EES19_IbLb1EEEEDaS15_S16_EUlS15_E_NS1_11comp_targetILNS1_3genE5ELNS1_11target_archE942ELNS1_3gpuE9ELNS1_3repE0EEENS1_30default_config_static_selectorELNS0_4arch9wavefront6targetE1EEEvT1_,comdat
	.globl	_ZN7rocprim17ROCPRIM_400000_NS6detail17trampoline_kernelINS0_14default_configENS1_25partition_config_selectorILNS1_17partition_subalgoE9EllbEEZZNS1_14partition_implILS5_9ELb0ES3_jPlS8_PNS0_10empty_typeENS0_5tupleIJS8_S9_EEENSB_IJS8_SA_EEENS0_18inequality_wrapperIZN2at6native12_GLOBAL__N_124unique_dim_cuda_templateIhEESt5tupleIJNSF_6TensorESK_SK_EERKSK_lbbbEUlllE0_EEPmJS9_EEE10hipError_tPvRmT3_T4_T5_T6_T7_T9_mT8_P12ihipStream_tbDpT10_ENKUlT_T0_E_clISt17integral_constantIbLb0EES19_IbLb1EEEEDaS15_S16_EUlS15_E_NS1_11comp_targetILNS1_3genE5ELNS1_11target_archE942ELNS1_3gpuE9ELNS1_3repE0EEENS1_30default_config_static_selectorELNS0_4arch9wavefront6targetE1EEEvT1_ ; -- Begin function _ZN7rocprim17ROCPRIM_400000_NS6detail17trampoline_kernelINS0_14default_configENS1_25partition_config_selectorILNS1_17partition_subalgoE9EllbEEZZNS1_14partition_implILS5_9ELb0ES3_jPlS8_PNS0_10empty_typeENS0_5tupleIJS8_S9_EEENSB_IJS8_SA_EEENS0_18inequality_wrapperIZN2at6native12_GLOBAL__N_124unique_dim_cuda_templateIhEESt5tupleIJNSF_6TensorESK_SK_EERKSK_lbbbEUlllE0_EEPmJS9_EEE10hipError_tPvRmT3_T4_T5_T6_T7_T9_mT8_P12ihipStream_tbDpT10_ENKUlT_T0_E_clISt17integral_constantIbLb0EES19_IbLb1EEEEDaS15_S16_EUlS15_E_NS1_11comp_targetILNS1_3genE5ELNS1_11target_archE942ELNS1_3gpuE9ELNS1_3repE0EEENS1_30default_config_static_selectorELNS0_4arch9wavefront6targetE1EEEvT1_
	.p2align	8
	.type	_ZN7rocprim17ROCPRIM_400000_NS6detail17trampoline_kernelINS0_14default_configENS1_25partition_config_selectorILNS1_17partition_subalgoE9EllbEEZZNS1_14partition_implILS5_9ELb0ES3_jPlS8_PNS0_10empty_typeENS0_5tupleIJS8_S9_EEENSB_IJS8_SA_EEENS0_18inequality_wrapperIZN2at6native12_GLOBAL__N_124unique_dim_cuda_templateIhEESt5tupleIJNSF_6TensorESK_SK_EERKSK_lbbbEUlllE0_EEPmJS9_EEE10hipError_tPvRmT3_T4_T5_T6_T7_T9_mT8_P12ihipStream_tbDpT10_ENKUlT_T0_E_clISt17integral_constantIbLb0EES19_IbLb1EEEEDaS15_S16_EUlS15_E_NS1_11comp_targetILNS1_3genE5ELNS1_11target_archE942ELNS1_3gpuE9ELNS1_3repE0EEENS1_30default_config_static_selectorELNS0_4arch9wavefront6targetE1EEEvT1_,@function
_ZN7rocprim17ROCPRIM_400000_NS6detail17trampoline_kernelINS0_14default_configENS1_25partition_config_selectorILNS1_17partition_subalgoE9EllbEEZZNS1_14partition_implILS5_9ELb0ES3_jPlS8_PNS0_10empty_typeENS0_5tupleIJS8_S9_EEENSB_IJS8_SA_EEENS0_18inequality_wrapperIZN2at6native12_GLOBAL__N_124unique_dim_cuda_templateIhEESt5tupleIJNSF_6TensorESK_SK_EERKSK_lbbbEUlllE0_EEPmJS9_EEE10hipError_tPvRmT3_T4_T5_T6_T7_T9_mT8_P12ihipStream_tbDpT10_ENKUlT_T0_E_clISt17integral_constantIbLb0EES19_IbLb1EEEEDaS15_S16_EUlS15_E_NS1_11comp_targetILNS1_3genE5ELNS1_11target_archE942ELNS1_3gpuE9ELNS1_3repE0EEENS1_30default_config_static_selectorELNS0_4arch9wavefront6targetE1EEEvT1_: ; @_ZN7rocprim17ROCPRIM_400000_NS6detail17trampoline_kernelINS0_14default_configENS1_25partition_config_selectorILNS1_17partition_subalgoE9EllbEEZZNS1_14partition_implILS5_9ELb0ES3_jPlS8_PNS0_10empty_typeENS0_5tupleIJS8_S9_EEENSB_IJS8_SA_EEENS0_18inequality_wrapperIZN2at6native12_GLOBAL__N_124unique_dim_cuda_templateIhEESt5tupleIJNSF_6TensorESK_SK_EERKSK_lbbbEUlllE0_EEPmJS9_EEE10hipError_tPvRmT3_T4_T5_T6_T7_T9_mT8_P12ihipStream_tbDpT10_ENKUlT_T0_E_clISt17integral_constantIbLb0EES19_IbLb1EEEEDaS15_S16_EUlS15_E_NS1_11comp_targetILNS1_3genE5ELNS1_11target_archE942ELNS1_3gpuE9ELNS1_3repE0EEENS1_30default_config_static_selectorELNS0_4arch9wavefront6targetE1EEEvT1_
; %bb.0:
	s_load_dwordx4 s[4:7], s[0:1], 0x8
	s_load_dwordx2 s[10:11], s[0:1], 0x18
	s_load_dwordx8 s[20:27], s[0:1], 0x40
	s_load_dwordx4 s[36:39], s[0:1], 0x60
	v_cmp_ne_u32_e64 s[2:3], 0, v0
	v_cmp_eq_u32_e64 s[18:19], 0, v0
	s_and_saveexec_b64 s[8:9], s[18:19]
	s_cbranch_execz .LBB230_4
; %bb.1:
	s_mov_b64 s[14:15], exec
	v_mbcnt_lo_u32_b32 v1, s14, 0
	v_mbcnt_hi_u32_b32 v1, s15, v1
	v_cmp_eq_u32_e32 vcc, 0, v1
                                        ; implicit-def: $vgpr2
	s_and_saveexec_b64 s[12:13], vcc
	s_cbranch_execz .LBB230_3
; %bb.2:
	s_load_dwordx2 s[16:17], s[0:1], 0x78
	s_bcnt1_i32_b64 s14, s[14:15]
	v_mov_b32_e32 v2, 0
	v_mov_b32_e32 v3, s14
	s_waitcnt lgkmcnt(0)
	global_atomic_add v2, v2, v3, s[16:17] sc0
.LBB230_3:
	s_or_b64 exec, exec, s[12:13]
	s_waitcnt vmcnt(0)
	v_readfirstlane_b32 s12, v2
	v_mov_b32_e32 v2, 0
	s_nop 0
	v_add_u32_e32 v1, s12, v1
	ds_write_b32 v2, v1
.LBB230_4:
	s_or_b64 exec, exec, s[8:9]
	v_mov_b32_e32 v3, 0
	s_load_dwordx4 s[28:31], s[0:1], 0x28
	s_load_dword s8, s[0:1], 0x70
	s_waitcnt lgkmcnt(0)
	s_barrier
	ds_read_b32 v1, v3
	s_waitcnt lgkmcnt(0)
	s_barrier
	global_load_dwordx2 v[4:5], v3, s[22:23]
	s_lshl_b64 s[12:13], s[6:7], 3
	s_mul_i32 s14, s8, 0xe00
	s_add_u32 s16, s4, s12
	s_addc_u32 s17, s5, s13
	s_add_i32 s4, s14, s6
	s_sub_i32 s54, s24, s4
	s_add_i32 s15, s8, -1
	s_addk_i32 s54, 0xe00
	s_add_u32 s4, s6, s14
	v_readfirstlane_b32 s33, v1
	s_addc_u32 s5, s7, 0
	v_mov_b32_e32 v6, s24
	v_mov_b32_e32 v7, s25
	s_cmp_eq_u32 s33, s15
	s_mov_b32 s9, 0
	s_mul_i32 s8, s33, 0xe00
	v_cmp_ge_u64_e32 vcc, s[4:5], v[6:7]
	s_cselect_b64 s[24:25], -1, 0
	s_lshl_b64 s[14:15], s[8:9], 3
	s_and_b64 s[8:9], vcc, s[24:25]
	s_xor_b64 s[34:35], s[8:9], -1
	s_add_u32 s4, s16, s14
	s_mov_b64 s[0:1], -1
	s_addc_u32 s5, s17, s15
	s_and_b64 vcc, exec, s[34:35]
	s_waitcnt vmcnt(0)
	v_readfirstlane_b32 s22, v4
	v_readfirstlane_b32 s23, v5
	s_cbranch_vccz .LBB230_6
; %bb.5:
	v_lshlrev_b32_e32 v2, 3, v0
	v_lshl_add_u64 v[4:5], s[4:5], 0, v[2:3]
	v_add_co_u32_e32 v8, vcc, 0x1000, v4
	global_load_dwordx2 v[6:7], v2, s[4:5]
	s_nop 0
	v_addc_co_u32_e32 v9, vcc, 0, v5, vcc
	v_add_co_u32_e32 v10, vcc, 0x2000, v4
	s_mov_b64 s[0:1], 0
	s_nop 0
	v_addc_co_u32_e32 v11, vcc, 0, v5, vcc
	v_add_co_u32_e32 v12, vcc, 0x3000, v4
	s_nop 1
	v_addc_co_u32_e32 v13, vcc, 0, v5, vcc
	v_add_co_u32_e32 v14, vcc, 0x4000, v4
	s_nop 1
	v_addc_co_u32_e32 v15, vcc, 0, v5, vcc
	global_load_dwordx2 v[16:17], v[8:9], off
	global_load_dwordx2 v[18:19], v[10:11], off
	;; [unrolled: 1-line block ×4, first 2 shown]
	v_add_co_u32_e32 v8, vcc, 0x5000, v4
	s_nop 1
	v_addc_co_u32_e32 v9, vcc, 0, v5, vcc
	v_add_co_u32_e32 v4, vcc, 0x6000, v4
	global_load_dwordx2 v[8:9], v[8:9], off
	s_nop 0
	v_addc_co_u32_e32 v5, vcc, 0, v5, vcc
	global_load_dwordx2 v[4:5], v[4:5], off
	s_waitcnt vmcnt(5)
	ds_write2st64_b64 v2, v[6:7], v[16:17] offset1:8
	s_waitcnt vmcnt(3)
	ds_write2st64_b64 v2, v[18:19], v[20:21] offset0:16 offset1:24
	s_waitcnt vmcnt(1)
	ds_write2st64_b64 v2, v[22:23], v[8:9] offset0:32 offset1:40
	s_waitcnt vmcnt(0)
	ds_write_b64 v2, v[4:5] offset:24576
	s_waitcnt lgkmcnt(0)
	s_barrier
.LBB230_6:
	s_andn2_b64 vcc, exec, s[0:1]
	v_cmp_gt_u32_e64 s[0:1], s54, v0
	s_cbranch_vccnz .LBB230_22
; %bb.7:
                                        ; implicit-def: $vgpr2_vgpr3_vgpr4_vgpr5_vgpr6_vgpr7_vgpr8_vgpr9_vgpr10_vgpr11_vgpr12_vgpr13_vgpr14_vgpr15_vgpr16_vgpr17
	s_and_saveexec_b64 s[16:17], s[0:1]
	s_cbranch_execz .LBB230_9
; %bb.8:
	v_lshlrev_b32_e32 v1, 3, v0
	global_load_dwordx2 v[2:3], v1, s[4:5]
.LBB230_9:
	s_or_b64 exec, exec, s[16:17]
	v_or_b32_e32 v1, 0x200, v0
	v_cmp_gt_u32_e32 vcc, s54, v1
	s_and_saveexec_b64 s[0:1], vcc
	s_cbranch_execz .LBB230_11
; %bb.10:
	v_lshlrev_b32_e32 v1, 3, v1
	global_load_dwordx2 v[4:5], v1, s[4:5]
.LBB230_11:
	s_or_b64 exec, exec, s[0:1]
	v_or_b32_e32 v1, 0x400, v0
	v_cmp_gt_u32_e32 vcc, s54, v1
	s_and_saveexec_b64 s[0:1], vcc
	;; [unrolled: 9-line block ×6, first 2 shown]
	s_cbranch_execz .LBB230_21
; %bb.20:
	v_lshlrev_b32_e32 v1, 3, v1
	global_load_dwordx2 v[14:15], v1, s[4:5]
.LBB230_21:
	s_or_b64 exec, exec, s[0:1]
	v_lshlrev_b32_e32 v1, 3, v0
	s_waitcnt vmcnt(0)
	ds_write2st64_b64 v1, v[2:3], v[4:5] offset1:8
	ds_write2st64_b64 v1, v[6:7], v[8:9] offset0:16 offset1:24
	ds_write2st64_b64 v1, v[10:11], v[12:13] offset0:32 offset1:40
	ds_write_b64 v1, v[14:15] offset:24576
	s_waitcnt lgkmcnt(0)
	s_barrier
.LBB230_22:
	v_mul_u32_u24_e32 v1, 7, v0
	v_lshlrev_b32_e32 v44, 3, v1
	ds_read2_b64 v[22:25], v44 offset1:1
	ds_read2_b64 v[18:21], v44 offset0:2 offset1:3
	ds_read2_b64 v[14:17], v44 offset0:4 offset1:5
	ds_read_b64 v[28:29], v44 offset:48
	s_add_u32 s0, s10, s12
	s_addc_u32 s1, s11, s13
	s_add_u32 s0, s0, s14
	s_addc_u32 s1, s1, s15
	s_mov_b64 s[10:11], -1
	s_and_b64 vcc, exec, s[34:35]
	s_waitcnt lgkmcnt(0)
	s_barrier
	s_cbranch_vccz .LBB230_24
; %bb.23:
	v_lshlrev_b32_e32 v2, 3, v0
	v_mov_b32_e32 v3, 0
	v_lshl_add_u64 v[4:5], s[0:1], 0, v[2:3]
	v_add_co_u32_e32 v8, vcc, 0x1000, v4
	global_load_dwordx2 v[6:7], v2, s[0:1]
	s_nop 0
	v_addc_co_u32_e32 v9, vcc, 0, v5, vcc
	v_add_co_u32_e32 v10, vcc, 0x2000, v4
	s_mov_b64 s[10:11], 0
	s_nop 0
	v_addc_co_u32_e32 v11, vcc, 0, v5, vcc
	v_add_co_u32_e32 v12, vcc, 0x3000, v4
	s_nop 1
	v_addc_co_u32_e32 v13, vcc, 0, v5, vcc
	v_add_co_u32_e32 v26, vcc, 0x4000, v4
	s_nop 1
	v_addc_co_u32_e32 v27, vcc, 0, v5, vcc
	global_load_dwordx2 v[30:31], v[8:9], off
	global_load_dwordx2 v[32:33], v[10:11], off
	;; [unrolled: 1-line block ×4, first 2 shown]
	v_add_co_u32_e32 v8, vcc, 0x5000, v4
	s_nop 1
	v_addc_co_u32_e32 v9, vcc, 0, v5, vcc
	v_add_co_u32_e32 v4, vcc, 0x6000, v4
	global_load_dwordx2 v[8:9], v[8:9], off
	s_nop 0
	v_addc_co_u32_e32 v5, vcc, 0, v5, vcc
	global_load_dwordx2 v[4:5], v[4:5], off
	s_waitcnt vmcnt(5)
	ds_write2st64_b64 v2, v[6:7], v[30:31] offset1:8
	s_waitcnt vmcnt(3)
	ds_write2st64_b64 v2, v[32:33], v[34:35] offset0:16 offset1:24
	s_waitcnt vmcnt(1)
	ds_write2st64_b64 v2, v[36:37], v[8:9] offset0:32 offset1:40
	s_waitcnt vmcnt(0)
	ds_write_b64 v2, v[4:5] offset:24576
	s_waitcnt lgkmcnt(0)
	s_barrier
.LBB230_24:
	s_andn2_b64 vcc, exec, s[10:11]
	s_cbranch_vccnz .LBB230_40
; %bb.25:
	v_cmp_gt_u32_e32 vcc, s54, v0
                                        ; implicit-def: $vgpr2_vgpr3
	s_and_saveexec_b64 s[10:11], vcc
	s_cbranch_execz .LBB230_27
; %bb.26:
	v_lshlrev_b32_e32 v2, 3, v0
	global_load_dwordx2 v[2:3], v2, s[0:1]
.LBB230_27:
	s_or_b64 exec, exec, s[10:11]
	v_or_b32_e32 v6, 0x200, v0
	v_cmp_gt_u32_e32 vcc, s54, v6
                                        ; implicit-def: $vgpr4_vgpr5
	s_and_saveexec_b64 s[10:11], vcc
	s_cbranch_execz .LBB230_29
; %bb.28:
	v_lshlrev_b32_e32 v4, 3, v6
	global_load_dwordx2 v[4:5], v4, s[0:1]
.LBB230_29:
	s_or_b64 exec, exec, s[10:11]
	v_or_b32_e32 v8, 0x400, v0
	v_cmp_gt_u32_e32 vcc, s54, v8
                                        ; implicit-def: $vgpr6_vgpr7
	s_and_saveexec_b64 s[10:11], vcc
	s_cbranch_execz .LBB230_31
; %bb.30:
	v_lshlrev_b32_e32 v6, 3, v8
	global_load_dwordx2 v[6:7], v6, s[0:1]
.LBB230_31:
	s_or_b64 exec, exec, s[10:11]
	v_or_b32_e32 v10, 0x600, v0
	v_cmp_gt_u32_e32 vcc, s54, v10
                                        ; implicit-def: $vgpr8_vgpr9
	s_and_saveexec_b64 s[10:11], vcc
	s_cbranch_execz .LBB230_33
; %bb.32:
	v_lshlrev_b32_e32 v8, 3, v10
	global_load_dwordx2 v[8:9], v8, s[0:1]
.LBB230_33:
	s_or_b64 exec, exec, s[10:11]
	v_or_b32_e32 v12, 0x800, v0
	v_cmp_gt_u32_e32 vcc, s54, v12
                                        ; implicit-def: $vgpr10_vgpr11
	s_and_saveexec_b64 s[10:11], vcc
	s_cbranch_execz .LBB230_35
; %bb.34:
	v_lshlrev_b32_e32 v10, 3, v12
	global_load_dwordx2 v[10:11], v10, s[0:1]
.LBB230_35:
	s_or_b64 exec, exec, s[10:11]
	v_or_b32_e32 v26, 0xa00, v0
	v_cmp_gt_u32_e32 vcc, s54, v26
                                        ; implicit-def: $vgpr12_vgpr13
	s_and_saveexec_b64 s[10:11], vcc
	s_cbranch_execz .LBB230_37
; %bb.36:
	v_lshlrev_b32_e32 v12, 3, v26
	global_load_dwordx2 v[12:13], v12, s[0:1]
.LBB230_37:
	s_or_b64 exec, exec, s[10:11]
	v_or_b32_e32 v30, 0xc00, v0
	v_cmp_gt_u32_e32 vcc, s54, v30
                                        ; implicit-def: $vgpr26_vgpr27
	s_and_saveexec_b64 s[10:11], vcc
	s_cbranch_execz .LBB230_39
; %bb.38:
	v_lshlrev_b32_e32 v26, 3, v30
	global_load_dwordx2 v[26:27], v26, s[0:1]
.LBB230_39:
	s_or_b64 exec, exec, s[10:11]
	s_movk_i32 s0, 0xffd0
	v_mad_i32_i24 v30, v0, s0, v44
	s_waitcnt vmcnt(0)
	ds_write2st64_b64 v30, v[2:3], v[4:5] offset1:8
	ds_write2st64_b64 v30, v[6:7], v[8:9] offset0:16 offset1:24
	ds_write2st64_b64 v30, v[10:11], v[12:13] offset0:32 offset1:40
	ds_write_b64 v30, v[26:27] offset:24576
	s_waitcnt lgkmcnt(0)
	s_barrier
.LBB230_40:
	ds_read2_b64 v[10:13], v44 offset1:1
	ds_read2_b64 v[6:9], v44 offset0:2 offset1:3
	ds_read2_b64 v[2:5], v44 offset0:4 offset1:5
	ds_read_b64 v[26:27], v44 offset:48
	s_cmp_lg_u32 s33, 0
	s_cselect_b64 s[0:1], -1, 0
	s_cmp_lg_u64 s[6:7], 0
	s_cselect_b64 s[6:7], -1, 0
	s_or_b64 s[6:7], s[6:7], s[0:1]
	v_add_u32_e32 v41, 1, v1
	v_add_u32_e32 v38, 2, v1
	;; [unrolled: 1-line block ×6, first 2 shown]
	s_mov_b64 s[10:11], 0
	s_and_b64 vcc, exec, s[6:7]
	v_cmp_gt_i64_e64 s[12:13], s[26:27], 0
	s_waitcnt lgkmcnt(0)
	s_barrier
	s_cbranch_vccz .LBB230_49
; %bb.41:
	v_mov_b32_e32 v30, 0
	global_load_dwordx2 v[30:31], v30, s[4:5] offset:-8
	v_cndmask_b32_e64 v32, 0, 1, s[12:13]
	v_lshlrev_b32_e32 v45, 3, v0
	s_mov_b64 s[6:7], 0
	s_and_b64 vcc, exec, s[34:35]
	v_cmp_ne_u32_e64 s[4:5], 1, v32
	ds_write_b64 v45, v[28:29]
	s_cbranch_vccz .LBB230_51
; %bb.42:
	v_mul_lo_u32 v34, v17, s26
	v_mul_lo_u32 v35, v16, s27
	v_mad_u64_u32 v[32:33], s[10:11], v16, s26, 0
	v_add3_u32 v33, v33, v35, v34
	s_and_b64 vcc, exec, s[4:5]
	v_lshl_add_u64 v[32:33], s[36:37], 0, v[32:33]
	s_cbranch_vccnz .LBB230_54
; %bb.43:
	v_mov_b64_e32 v[34:35], s[36:37]
	v_mad_u64_u32 v[34:35], s[6:7], v28, s26, v[34:35]
	v_mul_lo_u32 v36, v28, s27
	v_mul_lo_u32 v37, v29, s26
	v_add3_u32 v35, v37, v35, v36
	global_load_ubyte v36, v[32:33], off
	global_load_ubyte v37, v[34:35], off
	s_mov_b64 s[6:7], -1
	s_waitcnt vmcnt(0)
	v_cmp_eq_u16_e32 vcc, v36, v37
	s_and_saveexec_b64 s[10:11], vcc
	s_cbranch_execz .LBB230_53
; %bb.44:
	s_mov_b64 s[14:15], 1
	s_mov_b64 s[6:7], 0
                                        ; implicit-def: $sgpr12_sgpr13
	s_branch .LBB230_47
.LBB230_45:                             ;   in Loop: Header=BB230_47 Depth=1
	v_lshl_add_u64 v[36:37], v[32:33], 0, s[14:15]
	v_lshl_add_u64 v[46:47], v[34:35], 0, s[14:15]
	global_load_ubyte v48, v[36:37], off
	global_load_ubyte v49, v[46:47], off
	s_add_u32 s16, s14, 1
	s_addc_u32 s17, s15, 0
	s_andn2_b64 s[12:13], s[12:13], exec
	s_waitcnt vmcnt(0)
	v_cmp_ne_u16_e32 vcc, v48, v49
	s_and_b64 s[40:41], vcc, exec
	s_or_b64 s[12:13], s[12:13], s[40:41]
.LBB230_46:                             ;   in Loop: Header=BB230_47 Depth=1
	s_and_b64 s[40:41], exec, s[12:13]
	s_or_b64 s[6:7], s[40:41], s[6:7]
	v_mov_b64_e32 v[36:37], s[14:15]
	s_mov_b64 s[14:15], s[16:17]
	s_andn2_b64 exec, exec, s[6:7]
	s_cbranch_execz .LBB230_52
.LBB230_47:                             ; =>This Inner Loop Header: Depth=1
	s_or_b64 s[12:13], s[12:13], exec
	s_cmp_eq_u64 s[26:27], s[14:15]
	s_cbranch_scc0 .LBB230_45
; %bb.48:                               ;   in Loop: Header=BB230_47 Depth=1
                                        ; implicit-def: $sgpr16_sgpr17
	s_mov_b64 s[14:15], s[26:27]
	s_branch .LBB230_46
.LBB230_49:
                                        ; implicit-def: $sgpr14_sgpr15
                                        ; implicit-def: $vgpr48
                                        ; implicit-def: $vgpr47
                                        ; implicit-def: $vgpr46
                                        ; implicit-def: $vgpr34
	s_branch .LBB230_192
.LBB230_50:
                                        ; implicit-def: $vgpr30_vgpr31
	s_branch .LBB230_340
.LBB230_51:
                                        ; implicit-def: $sgpr14_sgpr15
                                        ; implicit-def: $vgpr48
                                        ; implicit-def: $vgpr47
                                        ; implicit-def: $vgpr46
                                        ; implicit-def: $vgpr34
	s_cbranch_execnz .LBB230_111
	s_branch .LBB230_191
.LBB230_52:
	s_or_b64 exec, exec, s[6:7]
	v_cmp_gt_i64_e32 vcc, s[26:27], v[36:37]
	s_orn2_b64 s[6:7], vcc, exec
.LBB230_53:
	s_or_b64 exec, exec, s[10:11]
.LBB230_54:
	v_mul_lo_u32 v36, v15, s26
	v_mul_lo_u32 v37, v14, s27
	v_mad_u64_u32 v[34:35], s[10:11], v14, s26, 0
	v_add3_u32 v35, v35, v37, v36
	s_mov_b64 s[10:11], 0
	s_and_b64 vcc, exec, s[4:5]
	v_lshl_add_u64 v[34:35], s[36:37], 0, v[34:35]
	s_mov_b64 s[12:13], 0
	s_cbranch_vccnz .LBB230_63
; %bb.55:
	global_load_ubyte v36, v[34:35], off
	global_load_ubyte v37, v[32:33], off
	s_mov_b64 s[12:13], -1
	s_waitcnt vmcnt(0)
	v_cmp_eq_u16_e32 vcc, v36, v37
	s_and_saveexec_b64 s[14:15], vcc
	s_cbranch_execz .LBB230_62
; %bb.56:
	s_mov_b64 s[40:41], 1
	s_mov_b64 s[12:13], 0
                                        ; implicit-def: $sgpr16_sgpr17
	s_branch .LBB230_59
.LBB230_57:                             ;   in Loop: Header=BB230_59 Depth=1
	v_lshl_add_u64 v[36:37], v[34:35], 0, s[40:41]
	v_lshl_add_u64 v[46:47], v[32:33], 0, s[40:41]
	global_load_ubyte v48, v[36:37], off
	global_load_ubyte v49, v[46:47], off
	s_add_u32 s42, s40, 1
	s_addc_u32 s43, s41, 0
	s_andn2_b64 s[16:17], s[16:17], exec
	s_waitcnt vmcnt(0)
	v_cmp_ne_u16_e32 vcc, v48, v49
	s_and_b64 s[44:45], vcc, exec
	s_or_b64 s[16:17], s[16:17], s[44:45]
.LBB230_58:                             ;   in Loop: Header=BB230_59 Depth=1
	s_and_b64 s[44:45], exec, s[16:17]
	s_or_b64 s[12:13], s[44:45], s[12:13]
	v_mov_b64_e32 v[36:37], s[40:41]
	s_mov_b64 s[40:41], s[42:43]
	s_andn2_b64 exec, exec, s[12:13]
	s_cbranch_execz .LBB230_61
.LBB230_59:                             ; =>This Inner Loop Header: Depth=1
	s_or_b64 s[16:17], s[16:17], exec
	s_cmp_eq_u64 s[26:27], s[40:41]
	s_cbranch_scc0 .LBB230_57
; %bb.60:                               ;   in Loop: Header=BB230_59 Depth=1
                                        ; implicit-def: $sgpr42_sgpr43
	s_mov_b64 s[40:41], s[26:27]
	s_branch .LBB230_58
.LBB230_61:
	s_or_b64 exec, exec, s[12:13]
	v_cmp_gt_i64_e32 vcc, s[26:27], v[36:37]
	s_orn2_b64 s[12:13], vcc, exec
.LBB230_62:
	s_or_b64 exec, exec, s[14:15]
.LBB230_63:
	v_mul_lo_u32 v36, v21, s26
	v_mul_lo_u32 v37, v20, s27
	v_mad_u64_u32 v[32:33], s[14:15], v20, s26, 0
	v_add3_u32 v33, v33, v37, v36
	s_and_b64 vcc, exec, s[4:5]
	v_lshl_add_u64 v[32:33], s[36:37], 0, v[32:33]
	s_cbranch_vccnz .LBB230_72
; %bb.64:
	global_load_ubyte v36, v[32:33], off
	global_load_ubyte v37, v[34:35], off
	s_mov_b64 s[10:11], -1
	s_waitcnt vmcnt(0)
	v_cmp_eq_u16_e32 vcc, v36, v37
	s_and_saveexec_b64 s[14:15], vcc
	s_cbranch_execz .LBB230_71
; %bb.65:
	s_mov_b64 s[40:41], 1
	s_mov_b64 s[10:11], 0
                                        ; implicit-def: $sgpr16_sgpr17
	s_branch .LBB230_68
.LBB230_66:                             ;   in Loop: Header=BB230_68 Depth=1
	v_lshl_add_u64 v[36:37], v[32:33], 0, s[40:41]
	v_lshl_add_u64 v[46:47], v[34:35], 0, s[40:41]
	global_load_ubyte v48, v[36:37], off
	global_load_ubyte v49, v[46:47], off
	s_add_u32 s42, s40, 1
	s_addc_u32 s43, s41, 0
	s_andn2_b64 s[16:17], s[16:17], exec
	s_waitcnt vmcnt(0)
	v_cmp_ne_u16_e32 vcc, v48, v49
	s_and_b64 s[44:45], vcc, exec
	s_or_b64 s[16:17], s[16:17], s[44:45]
.LBB230_67:                             ;   in Loop: Header=BB230_68 Depth=1
	s_and_b64 s[44:45], exec, s[16:17]
	s_or_b64 s[10:11], s[44:45], s[10:11]
	v_mov_b64_e32 v[36:37], s[40:41]
	s_mov_b64 s[40:41], s[42:43]
	s_andn2_b64 exec, exec, s[10:11]
	s_cbranch_execz .LBB230_70
.LBB230_68:                             ; =>This Inner Loop Header: Depth=1
	s_or_b64 s[16:17], s[16:17], exec
	s_cmp_eq_u64 s[26:27], s[40:41]
	s_cbranch_scc0 .LBB230_66
; %bb.69:                               ;   in Loop: Header=BB230_68 Depth=1
                                        ; implicit-def: $sgpr42_sgpr43
	s_mov_b64 s[40:41], s[26:27]
	s_branch .LBB230_67
.LBB230_70:
	s_or_b64 exec, exec, s[10:11]
	v_cmp_gt_i64_e32 vcc, s[26:27], v[36:37]
	s_orn2_b64 s[10:11], vcc, exec
.LBB230_71:
	s_or_b64 exec, exec, s[14:15]
.LBB230_72:
	v_mul_lo_u32 v36, v19, s26
	v_mul_lo_u32 v37, v18, s27
	v_mad_u64_u32 v[34:35], s[14:15], v18, s26, 0
	v_add3_u32 v35, v35, v37, v36
	s_mov_b64 s[14:15], 0
	s_and_b64 vcc, exec, s[4:5]
	v_lshl_add_u64 v[36:37], s[36:37], 0, v[34:35]
	s_mov_b64 s[16:17], 0
	s_cbranch_vccnz .LBB230_81
; %bb.73:
	global_load_ubyte v34, v[36:37], off
	global_load_ubyte v35, v[32:33], off
	s_mov_b64 s[16:17], -1
	s_waitcnt vmcnt(0)
	v_cmp_eq_u16_e32 vcc, v34, v35
	s_and_saveexec_b64 s[40:41], vcc
	s_cbranch_execz .LBB230_80
; %bb.74:
	s_mov_b64 s[44:45], 1
	s_mov_b64 s[16:17], 0
                                        ; implicit-def: $sgpr42_sgpr43
	s_branch .LBB230_77
.LBB230_75:                             ;   in Loop: Header=BB230_77 Depth=1
	v_lshl_add_u64 v[34:35], v[36:37], 0, s[44:45]
	v_lshl_add_u64 v[46:47], v[32:33], 0, s[44:45]
	global_load_ubyte v48, v[34:35], off
	global_load_ubyte v49, v[46:47], off
	s_add_u32 s46, s44, 1
	s_addc_u32 s47, s45, 0
	s_andn2_b64 s[42:43], s[42:43], exec
	s_waitcnt vmcnt(0)
	v_cmp_ne_u16_e32 vcc, v48, v49
	s_and_b64 s[48:49], vcc, exec
	s_or_b64 s[42:43], s[42:43], s[48:49]
.LBB230_76:                             ;   in Loop: Header=BB230_77 Depth=1
	s_and_b64 s[48:49], exec, s[42:43]
	s_or_b64 s[16:17], s[48:49], s[16:17]
	v_mov_b64_e32 v[34:35], s[44:45]
	s_mov_b64 s[44:45], s[46:47]
	s_andn2_b64 exec, exec, s[16:17]
	s_cbranch_execz .LBB230_79
.LBB230_77:                             ; =>This Inner Loop Header: Depth=1
	s_or_b64 s[42:43], s[42:43], exec
	s_cmp_eq_u64 s[26:27], s[44:45]
	s_cbranch_scc0 .LBB230_75
; %bb.78:                               ;   in Loop: Header=BB230_77 Depth=1
                                        ; implicit-def: $sgpr46_sgpr47
	s_mov_b64 s[44:45], s[26:27]
	s_branch .LBB230_76
.LBB230_79:
	s_or_b64 exec, exec, s[16:17]
	v_cmp_gt_i64_e32 vcc, s[26:27], v[34:35]
	s_orn2_b64 s[16:17], vcc, exec
.LBB230_80:
	s_or_b64 exec, exec, s[40:41]
.LBB230_81:
	v_mul_lo_u32 v34, v25, s26
	v_mul_lo_u32 v35, v24, s27
	v_mad_u64_u32 v[32:33], s[40:41], v24, s26, 0
	v_add3_u32 v33, v33, v35, v34
	s_and_b64 vcc, exec, s[4:5]
	v_lshl_add_u64 v[34:35], s[36:37], 0, v[32:33]
	s_cbranch_vccnz .LBB230_90
; %bb.82:
	global_load_ubyte v32, v[34:35], off
	global_load_ubyte v33, v[36:37], off
	s_mov_b64 s[14:15], -1
	s_waitcnt vmcnt(0)
	v_cmp_eq_u16_e32 vcc, v32, v33
	s_and_saveexec_b64 s[40:41], vcc
	s_cbranch_execz .LBB230_89
; %bb.83:
	s_mov_b64 s[44:45], 1
	s_mov_b64 s[14:15], 0
                                        ; implicit-def: $sgpr42_sgpr43
	s_branch .LBB230_86
.LBB230_84:                             ;   in Loop: Header=BB230_86 Depth=1
	v_lshl_add_u64 v[32:33], v[34:35], 0, s[44:45]
	v_lshl_add_u64 v[46:47], v[36:37], 0, s[44:45]
	global_load_ubyte v48, v[32:33], off
	global_load_ubyte v49, v[46:47], off
	s_add_u32 s46, s44, 1
	s_addc_u32 s47, s45, 0
	s_andn2_b64 s[42:43], s[42:43], exec
	s_waitcnt vmcnt(0)
	v_cmp_ne_u16_e32 vcc, v48, v49
	s_and_b64 s[48:49], vcc, exec
	s_or_b64 s[42:43], s[42:43], s[48:49]
.LBB230_85:                             ;   in Loop: Header=BB230_86 Depth=1
	s_and_b64 s[48:49], exec, s[42:43]
	s_or_b64 s[14:15], s[48:49], s[14:15]
	v_mov_b64_e32 v[32:33], s[44:45]
	s_mov_b64 s[44:45], s[46:47]
	s_andn2_b64 exec, exec, s[14:15]
	s_cbranch_execz .LBB230_88
.LBB230_86:                             ; =>This Inner Loop Header: Depth=1
	s_or_b64 s[42:43], s[42:43], exec
	s_cmp_eq_u64 s[26:27], s[44:45]
	s_cbranch_scc0 .LBB230_84
; %bb.87:                               ;   in Loop: Header=BB230_86 Depth=1
                                        ; implicit-def: $sgpr46_sgpr47
	s_mov_b64 s[44:45], s[26:27]
	s_branch .LBB230_85
.LBB230_88:
	s_or_b64 exec, exec, s[14:15]
	v_cmp_gt_i64_e32 vcc, s[26:27], v[32:33]
	s_orn2_b64 s[14:15], vcc, exec
.LBB230_89:
	s_or_b64 exec, exec, s[40:41]
.LBB230_90:
	v_mul_lo_u32 v36, v23, s26
	v_mul_lo_u32 v37, v22, s27
	v_mad_u64_u32 v[32:33], s[40:41], v22, s26, 0
	v_add3_u32 v33, v33, v37, v36
	s_mov_b64 s[42:43], 0
	s_and_b64 vcc, exec, s[4:5]
	v_lshl_add_u64 v[32:33], s[36:37], 0, v[32:33]
	s_cbranch_vccnz .LBB230_99
; %bb.91:
	global_load_ubyte v36, v[32:33], off
	global_load_ubyte v37, v[34:35], off
	s_mov_b64 s[42:43], -1
	s_waitcnt vmcnt(0)
	v_cmp_eq_u16_e32 vcc, v36, v37
	s_and_saveexec_b64 s[40:41], vcc
	s_cbranch_execz .LBB230_98
; %bb.92:
	s_mov_b64 s[46:47], 1
	s_mov_b64 s[42:43], 0
                                        ; implicit-def: $sgpr44_sgpr45
	s_branch .LBB230_95
.LBB230_93:                             ;   in Loop: Header=BB230_95 Depth=1
	v_lshl_add_u64 v[36:37], v[32:33], 0, s[46:47]
	v_lshl_add_u64 v[46:47], v[34:35], 0, s[46:47]
	global_load_ubyte v48, v[36:37], off
	global_load_ubyte v49, v[46:47], off
	s_add_u32 s48, s46, 1
	s_addc_u32 s49, s47, 0
	s_andn2_b64 s[44:45], s[44:45], exec
	s_waitcnt vmcnt(0)
	v_cmp_ne_u16_e32 vcc, v48, v49
	s_and_b64 s[50:51], vcc, exec
	s_or_b64 s[44:45], s[44:45], s[50:51]
.LBB230_94:                             ;   in Loop: Header=BB230_95 Depth=1
	s_and_b64 s[50:51], exec, s[44:45]
	s_or_b64 s[42:43], s[50:51], s[42:43]
	v_mov_b64_e32 v[36:37], s[46:47]
	s_mov_b64 s[46:47], s[48:49]
	s_andn2_b64 exec, exec, s[42:43]
	s_cbranch_execz .LBB230_97
.LBB230_95:                             ; =>This Inner Loop Header: Depth=1
	s_or_b64 s[44:45], s[44:45], exec
	s_cmp_eq_u64 s[26:27], s[46:47]
	s_cbranch_scc0 .LBB230_93
; %bb.96:                               ;   in Loop: Header=BB230_95 Depth=1
                                        ; implicit-def: $sgpr48_sgpr49
	s_mov_b64 s[46:47], s[26:27]
	s_branch .LBB230_94
.LBB230_97:
	s_or_b64 exec, exec, s[42:43]
	v_cmp_gt_i64_e32 vcc, s[26:27], v[36:37]
	s_orn2_b64 s[42:43], vcc, exec
.LBB230_98:
	s_or_b64 exec, exec, s[40:41]
.LBB230_99:
	s_waitcnt vmcnt(0)
	v_mov_b64_e32 v[36:37], v[30:31]
	s_waitcnt lgkmcnt(0)
	s_barrier
	s_and_saveexec_b64 s[40:41], s[2:3]
	s_cbranch_execz .LBB230_101
; %bb.100:
	v_add_u32_e32 v34, -8, v45
	ds_read_b64 v[36:37], v34
.LBB230_101:
	s_or_b64 exec, exec, s[40:41]
	v_cndmask_b32_e64 v35, 0, 1, s[16:17]
	v_cndmask_b32_e64 v34, 0, 1, s[14:15]
	;; [unrolled: 1-line block ×3, first 2 shown]
	v_lshlrev_b16_e32 v35, 8, v35
	v_lshlrev_b16_e32 v49, 8, v46
	v_or_b32_sdwa v50, v34, v35 dst_sel:WORD_1 dst_unused:UNUSED_PAD src0_sel:DWORD src1_sel:DWORD
	s_mov_b64 s[16:17], 0
	s_and_b64 vcc, exec, s[4:5]
	s_mov_b64 s[14:15], 0
	s_cbranch_vccnz .LBB230_110
; %bb.102:
	v_mov_b64_e32 v[34:35], s[36:37]
	s_waitcnt lgkmcnt(0)
	v_mad_u64_u32 v[34:35], s[14:15], v36, s26, v[34:35]
	v_mul_lo_u32 v36, v36, s27
	v_mul_lo_u32 v37, v37, s26
	v_add3_u32 v35, v37, v35, v36
	global_load_ubyte v36, v[34:35], off
	global_load_ubyte v37, v[32:33], off
	s_mov_b64 s[14:15], -1
	s_waitcnt vmcnt(0)
	v_cmp_eq_u16_e32 vcc, v36, v37
	s_and_saveexec_b64 s[40:41], vcc
	s_cbranch_execz .LBB230_109
; %bb.103:
	s_mov_b64 s[44:45], 1
	s_mov_b64 s[14:15], 0
                                        ; implicit-def: $sgpr42_sgpr43
	s_branch .LBB230_106
.LBB230_104:                            ;   in Loop: Header=BB230_106 Depth=1
	v_lshl_add_u64 v[36:37], v[34:35], 0, s[44:45]
	v_lshl_add_u64 v[46:47], v[32:33], 0, s[44:45]
	global_load_ubyte v48, v[36:37], off
	global_load_ubyte v51, v[46:47], off
	s_add_u32 s46, s44, 1
	s_addc_u32 s47, s45, 0
	s_andn2_b64 s[42:43], s[42:43], exec
	s_waitcnt vmcnt(0)
	v_cmp_ne_u16_e32 vcc, v48, v51
	s_and_b64 s[48:49], vcc, exec
	s_or_b64 s[42:43], s[42:43], s[48:49]
.LBB230_105:                            ;   in Loop: Header=BB230_106 Depth=1
	s_and_b64 s[48:49], exec, s[42:43]
	s_or_b64 s[14:15], s[48:49], s[14:15]
	v_mov_b64_e32 v[36:37], s[44:45]
	s_mov_b64 s[44:45], s[46:47]
	s_andn2_b64 exec, exec, s[14:15]
	s_cbranch_execz .LBB230_108
.LBB230_106:                            ; =>This Inner Loop Header: Depth=1
	s_or_b64 s[42:43], s[42:43], exec
	s_cmp_eq_u64 s[26:27], s[44:45]
	s_cbranch_scc0 .LBB230_104
; %bb.107:                              ;   in Loop: Header=BB230_106 Depth=1
                                        ; implicit-def: $sgpr46_sgpr47
	s_mov_b64 s[44:45], s[26:27]
	s_branch .LBB230_105
.LBB230_108:
	s_or_b64 exec, exec, s[14:15]
	v_cmp_gt_i64_e32 vcc, s[26:27], v[36:37]
	s_orn2_b64 s[14:15], vcc, exec
.LBB230_109:
	s_or_b64 exec, exec, s[40:41]
.LBB230_110:
	v_cndmask_b32_e64 v46, 0, 1, s[10:11]
	v_cndmask_b32_e64 v47, 0, 1, s[12:13]
	;; [unrolled: 1-line block ×3, first 2 shown]
	v_or_b32_e32 v34, v49, v50
	s_and_b64 vcc, exec, s[16:17]
	s_cbranch_vccz .LBB230_191
.LBB230_111:
	v_cmp_gt_u32_e32 vcc, s54, v40
	s_mov_b64 s[10:11], 0
	s_mov_b64 s[6:7], 0
	s_and_saveexec_b64 s[12:13], vcc
	s_cbranch_execz .LBB230_122
; %bb.112:
	s_and_b64 vcc, exec, s[4:5]
	s_mov_b64 s[14:15], 0
	s_cbranch_vccnz .LBB230_121
; %bb.113:
	v_mov_b64_e32 v[34:35], s[36:37]
	v_mad_u64_u32 v[32:33], s[6:7], v16, s26, v[34:35]
	s_waitcnt lgkmcnt(0)
	v_mul_lo_u32 v36, v16, s27
	v_mul_lo_u32 v37, v17, s26
	v_add3_u32 v33, v37, v33, v36
	v_mad_u64_u32 v[34:35], s[6:7], v28, s26, v[34:35]
	v_mul_lo_u32 v36, v28, s27
	v_mul_lo_u32 v37, v29, s26
	v_add3_u32 v35, v37, v35, v36
	global_load_ubyte v36, v[32:33], off
	global_load_ubyte v37, v[34:35], off
	s_mov_b64 s[14:15], -1
	s_waitcnt vmcnt(0)
	v_cmp_eq_u16_e32 vcc, v36, v37
	s_and_saveexec_b64 s[6:7], vcc
	s_cbranch_execz .LBB230_120
; %bb.114:
	s_mov_b64 s[40:41], 1
	s_mov_b64 s[14:15], 0
                                        ; implicit-def: $sgpr16_sgpr17
	s_branch .LBB230_117
.LBB230_115:                            ;   in Loop: Header=BB230_117 Depth=1
	v_lshl_add_u64 v[36:37], v[32:33], 0, s[40:41]
	v_lshl_add_u64 v[46:47], v[34:35], 0, s[40:41]
	global_load_ubyte v48, v[36:37], off
	global_load_ubyte v49, v[46:47], off
	s_add_u32 s42, s40, 1
	s_addc_u32 s43, s41, 0
	s_andn2_b64 s[16:17], s[16:17], exec
	s_waitcnt vmcnt(0)
	v_cmp_ne_u16_e32 vcc, v48, v49
	s_and_b64 s[44:45], vcc, exec
	s_or_b64 s[16:17], s[16:17], s[44:45]
.LBB230_116:                            ;   in Loop: Header=BB230_117 Depth=1
	s_and_b64 s[44:45], exec, s[16:17]
	s_or_b64 s[14:15], s[44:45], s[14:15]
	v_mov_b64_e32 v[36:37], s[40:41]
	s_mov_b64 s[40:41], s[42:43]
	s_andn2_b64 exec, exec, s[14:15]
	s_cbranch_execz .LBB230_119
.LBB230_117:                            ; =>This Inner Loop Header: Depth=1
	s_or_b64 s[16:17], s[16:17], exec
	s_cmp_eq_u64 s[26:27], s[40:41]
	s_cbranch_scc0 .LBB230_115
; %bb.118:                              ;   in Loop: Header=BB230_117 Depth=1
                                        ; implicit-def: $sgpr42_sgpr43
	s_mov_b64 s[40:41], s[26:27]
	s_branch .LBB230_116
.LBB230_119:
	s_or_b64 exec, exec, s[14:15]
	v_cmp_gt_i64_e32 vcc, s[26:27], v[36:37]
	s_orn2_b64 s[14:15], vcc, exec
.LBB230_120:
	s_or_b64 exec, exec, s[6:7]
.LBB230_121:
	s_and_b64 s[6:7], s[14:15], exec
.LBB230_122:
	s_or_b64 exec, exec, s[12:13]
	v_cmp_gt_u32_e32 vcc, s54, v43
	s_and_saveexec_b64 s[12:13], vcc
	s_cbranch_execz .LBB230_133
; %bb.123:
	s_and_b64 vcc, exec, s[4:5]
	s_mov_b64 s[14:15], 0
	s_cbranch_vccnz .LBB230_132
; %bb.124:
	v_mov_b64_e32 v[34:35], s[36:37]
	v_mad_u64_u32 v[32:33], s[10:11], v14, s26, v[34:35]
	s_waitcnt lgkmcnt(0)
	v_mul_lo_u32 v36, v14, s27
	v_mul_lo_u32 v37, v15, s26
	v_add3_u32 v33, v37, v33, v36
	v_mad_u64_u32 v[34:35], s[10:11], v16, s26, v[34:35]
	v_mul_lo_u32 v36, v16, s27
	v_mul_lo_u32 v37, v17, s26
	v_add3_u32 v35, v37, v35, v36
	global_load_ubyte v36, v[32:33], off
	global_load_ubyte v37, v[34:35], off
	s_mov_b64 s[14:15], -1
	s_waitcnt vmcnt(0)
	v_cmp_eq_u16_e32 vcc, v36, v37
	s_and_saveexec_b64 s[10:11], vcc
	s_cbranch_execz .LBB230_131
; %bb.125:
	s_mov_b64 s[40:41], 1
	s_mov_b64 s[14:15], 0
                                        ; implicit-def: $sgpr16_sgpr17
	s_branch .LBB230_128
.LBB230_126:                            ;   in Loop: Header=BB230_128 Depth=1
	v_lshl_add_u64 v[36:37], v[32:33], 0, s[40:41]
	v_lshl_add_u64 v[46:47], v[34:35], 0, s[40:41]
	global_load_ubyte v48, v[36:37], off
	global_load_ubyte v49, v[46:47], off
	s_add_u32 s42, s40, 1
	s_addc_u32 s43, s41, 0
	s_andn2_b64 s[16:17], s[16:17], exec
	s_waitcnt vmcnt(0)
	v_cmp_ne_u16_e32 vcc, v48, v49
	s_and_b64 s[44:45], vcc, exec
	s_or_b64 s[16:17], s[16:17], s[44:45]
.LBB230_127:                            ;   in Loop: Header=BB230_128 Depth=1
	s_and_b64 s[44:45], exec, s[16:17]
	s_or_b64 s[14:15], s[44:45], s[14:15]
	v_mov_b64_e32 v[36:37], s[40:41]
	s_mov_b64 s[40:41], s[42:43]
	s_andn2_b64 exec, exec, s[14:15]
	s_cbranch_execz .LBB230_130
.LBB230_128:                            ; =>This Inner Loop Header: Depth=1
	s_or_b64 s[16:17], s[16:17], exec
	s_cmp_eq_u64 s[26:27], s[40:41]
	s_cbranch_scc0 .LBB230_126
; %bb.129:                              ;   in Loop: Header=BB230_128 Depth=1
                                        ; implicit-def: $sgpr42_sgpr43
	s_mov_b64 s[40:41], s[26:27]
	s_branch .LBB230_127
.LBB230_130:
	s_or_b64 exec, exec, s[14:15]
	v_cmp_gt_i64_e32 vcc, s[26:27], v[36:37]
	s_orn2_b64 s[14:15], vcc, exec
.LBB230_131:
	s_or_b64 exec, exec, s[10:11]
.LBB230_132:
	s_and_b64 s[10:11], s[14:15], exec
.LBB230_133:
	s_or_b64 exec, exec, s[12:13]
	v_cmp_gt_u32_e32 vcc, s54, v39
	s_mov_b64 s[14:15], 0
	s_mov_b64 s[12:13], 0
	s_and_saveexec_b64 s[16:17], vcc
	s_cbranch_execz .LBB230_144
; %bb.134:
	s_and_b64 vcc, exec, s[4:5]
	s_mov_b64 s[40:41], 0
	s_cbranch_vccnz .LBB230_143
; %bb.135:
	v_mov_b64_e32 v[34:35], s[36:37]
	v_mad_u64_u32 v[32:33], s[12:13], v20, s26, v[34:35]
	s_waitcnt lgkmcnt(0)
	v_mul_lo_u32 v36, v20, s27
	v_mul_lo_u32 v37, v21, s26
	v_add3_u32 v33, v37, v33, v36
	v_mad_u64_u32 v[34:35], s[12:13], v14, s26, v[34:35]
	v_mul_lo_u32 v36, v14, s27
	v_mul_lo_u32 v37, v15, s26
	v_add3_u32 v35, v37, v35, v36
	global_load_ubyte v36, v[32:33], off
	global_load_ubyte v37, v[34:35], off
	s_mov_b64 s[40:41], -1
	s_waitcnt vmcnt(0)
	v_cmp_eq_u16_e32 vcc, v36, v37
	s_and_saveexec_b64 s[12:13], vcc
	s_cbranch_execz .LBB230_142
; %bb.136:
	s_mov_b64 s[44:45], 1
	s_mov_b64 s[40:41], 0
                                        ; implicit-def: $sgpr42_sgpr43
	s_branch .LBB230_139
.LBB230_137:                            ;   in Loop: Header=BB230_139 Depth=1
	v_lshl_add_u64 v[36:37], v[32:33], 0, s[44:45]
	v_lshl_add_u64 v[46:47], v[34:35], 0, s[44:45]
	global_load_ubyte v48, v[36:37], off
	global_load_ubyte v49, v[46:47], off
	s_add_u32 s46, s44, 1
	s_addc_u32 s47, s45, 0
	s_andn2_b64 s[42:43], s[42:43], exec
	s_waitcnt vmcnt(0)
	v_cmp_ne_u16_e32 vcc, v48, v49
	s_and_b64 s[48:49], vcc, exec
	s_or_b64 s[42:43], s[42:43], s[48:49]
.LBB230_138:                            ;   in Loop: Header=BB230_139 Depth=1
	s_and_b64 s[48:49], exec, s[42:43]
	s_or_b64 s[40:41], s[48:49], s[40:41]
	v_mov_b64_e32 v[36:37], s[44:45]
	s_mov_b64 s[44:45], s[46:47]
	s_andn2_b64 exec, exec, s[40:41]
	s_cbranch_execz .LBB230_141
.LBB230_139:                            ; =>This Inner Loop Header: Depth=1
	s_or_b64 s[42:43], s[42:43], exec
	s_cmp_eq_u64 s[26:27], s[44:45]
	s_cbranch_scc0 .LBB230_137
; %bb.140:                              ;   in Loop: Header=BB230_139 Depth=1
                                        ; implicit-def: $sgpr46_sgpr47
	s_mov_b64 s[44:45], s[26:27]
	s_branch .LBB230_138
.LBB230_141:
	s_or_b64 exec, exec, s[40:41]
	v_cmp_gt_i64_e32 vcc, s[26:27], v[36:37]
	s_orn2_b64 s[40:41], vcc, exec
.LBB230_142:
	s_or_b64 exec, exec, s[12:13]
.LBB230_143:
	s_and_b64 s[12:13], s[40:41], exec
.LBB230_144:
	s_or_b64 exec, exec, s[16:17]
	v_cmp_gt_u32_e32 vcc, s54, v42
	s_and_saveexec_b64 s[16:17], vcc
	s_cbranch_execz .LBB230_155
; %bb.145:
	s_and_b64 vcc, exec, s[4:5]
	s_mov_b64 s[40:41], 0
	s_cbranch_vccnz .LBB230_154
; %bb.146:
	v_mov_b64_e32 v[34:35], s[36:37]
	v_mad_u64_u32 v[32:33], s[14:15], v18, s26, v[34:35]
	s_waitcnt lgkmcnt(0)
	v_mul_lo_u32 v36, v18, s27
	v_mul_lo_u32 v37, v19, s26
	v_add3_u32 v33, v37, v33, v36
	v_mad_u64_u32 v[34:35], s[14:15], v20, s26, v[34:35]
	v_mul_lo_u32 v36, v20, s27
	v_mul_lo_u32 v37, v21, s26
	v_add3_u32 v35, v37, v35, v36
	global_load_ubyte v36, v[32:33], off
	global_load_ubyte v37, v[34:35], off
	s_mov_b64 s[40:41], -1
	s_waitcnt vmcnt(0)
	v_cmp_eq_u16_e32 vcc, v36, v37
	s_and_saveexec_b64 s[14:15], vcc
	s_cbranch_execz .LBB230_153
; %bb.147:
	s_mov_b64 s[44:45], 1
	s_mov_b64 s[40:41], 0
                                        ; implicit-def: $sgpr42_sgpr43
	s_branch .LBB230_150
.LBB230_148:                            ;   in Loop: Header=BB230_150 Depth=1
	v_lshl_add_u64 v[36:37], v[32:33], 0, s[44:45]
	v_lshl_add_u64 v[46:47], v[34:35], 0, s[44:45]
	global_load_ubyte v48, v[36:37], off
	global_load_ubyte v49, v[46:47], off
	s_add_u32 s46, s44, 1
	s_addc_u32 s47, s45, 0
	s_andn2_b64 s[42:43], s[42:43], exec
	s_waitcnt vmcnt(0)
	v_cmp_ne_u16_e32 vcc, v48, v49
	s_and_b64 s[48:49], vcc, exec
	s_or_b64 s[42:43], s[42:43], s[48:49]
.LBB230_149:                            ;   in Loop: Header=BB230_150 Depth=1
	s_and_b64 s[48:49], exec, s[42:43]
	s_or_b64 s[40:41], s[48:49], s[40:41]
	v_mov_b64_e32 v[36:37], s[44:45]
	s_mov_b64 s[44:45], s[46:47]
	s_andn2_b64 exec, exec, s[40:41]
	s_cbranch_execz .LBB230_152
.LBB230_150:                            ; =>This Inner Loop Header: Depth=1
	s_or_b64 s[42:43], s[42:43], exec
	s_cmp_eq_u64 s[26:27], s[44:45]
	s_cbranch_scc0 .LBB230_148
; %bb.151:                              ;   in Loop: Header=BB230_150 Depth=1
                                        ; implicit-def: $sgpr46_sgpr47
	s_mov_b64 s[44:45], s[26:27]
	s_branch .LBB230_149
.LBB230_152:
	s_or_b64 exec, exec, s[40:41]
	v_cmp_gt_i64_e32 vcc, s[26:27], v[36:37]
	s_orn2_b64 s[40:41], vcc, exec
.LBB230_153:
	s_or_b64 exec, exec, s[14:15]
.LBB230_154:
	s_and_b64 s[14:15], s[40:41], exec
.LBB230_155:
	s_or_b64 exec, exec, s[16:17]
	v_cmp_gt_u32_e32 vcc, s54, v38
	s_mov_b64 s[16:17], 0
	s_mov_b64 s[40:41], 0
	s_and_saveexec_b64 s[42:43], vcc
	s_cbranch_execz .LBB230_166
; %bb.156:
	s_and_b64 vcc, exec, s[4:5]
	s_mov_b64 s[44:45], 0
	s_cbranch_vccnz .LBB230_165
; %bb.157:
	v_mov_b64_e32 v[34:35], s[36:37]
	v_mad_u64_u32 v[32:33], s[40:41], v24, s26, v[34:35]
	s_waitcnt lgkmcnt(0)
	v_mul_lo_u32 v36, v24, s27
	v_mul_lo_u32 v37, v25, s26
	v_add3_u32 v33, v37, v33, v36
	v_mad_u64_u32 v[34:35], s[40:41], v18, s26, v[34:35]
	v_mul_lo_u32 v36, v18, s27
	v_mul_lo_u32 v37, v19, s26
	v_add3_u32 v35, v37, v35, v36
	global_load_ubyte v36, v[32:33], off
	global_load_ubyte v37, v[34:35], off
	s_mov_b64 s[44:45], -1
	s_waitcnt vmcnt(0)
	v_cmp_eq_u16_e32 vcc, v36, v37
	s_and_saveexec_b64 s[40:41], vcc
	s_cbranch_execz .LBB230_164
; %bb.158:
	s_mov_b64 s[48:49], 1
	s_mov_b64 s[44:45], 0
                                        ; implicit-def: $sgpr46_sgpr47
	s_branch .LBB230_161
.LBB230_159:                            ;   in Loop: Header=BB230_161 Depth=1
	v_lshl_add_u64 v[36:37], v[32:33], 0, s[48:49]
	v_lshl_add_u64 v[46:47], v[34:35], 0, s[48:49]
	global_load_ubyte v36, v[36:37], off
	s_nop 0
	global_load_ubyte v37, v[46:47], off
	s_add_u32 s50, s48, 1
	s_addc_u32 s51, s49, 0
	s_andn2_b64 s[46:47], s[46:47], exec
	s_waitcnt vmcnt(0)
	v_cmp_ne_u16_e32 vcc, v36, v37
	s_and_b64 s[52:53], vcc, exec
	s_or_b64 s[46:47], s[46:47], s[52:53]
.LBB230_160:                            ;   in Loop: Header=BB230_161 Depth=1
	s_and_b64 s[52:53], exec, s[46:47]
	s_or_b64 s[44:45], s[52:53], s[44:45]
	v_mov_b64_e32 v[36:37], s[48:49]
	s_mov_b64 s[48:49], s[50:51]
	s_andn2_b64 exec, exec, s[44:45]
	s_cbranch_execz .LBB230_163
.LBB230_161:                            ; =>This Inner Loop Header: Depth=1
	s_or_b64 s[46:47], s[46:47], exec
	s_cmp_eq_u64 s[26:27], s[48:49]
	s_cbranch_scc0 .LBB230_159
; %bb.162:                              ;   in Loop: Header=BB230_161 Depth=1
                                        ; implicit-def: $sgpr50_sgpr51
	s_mov_b64 s[48:49], s[26:27]
	s_branch .LBB230_160
.LBB230_163:
	s_or_b64 exec, exec, s[44:45]
	v_cmp_gt_i64_e32 vcc, s[26:27], v[36:37]
	s_orn2_b64 s[44:45], vcc, exec
.LBB230_164:
	s_or_b64 exec, exec, s[40:41]
.LBB230_165:
	s_and_b64 s[40:41], s[44:45], exec
.LBB230_166:
	s_or_b64 exec, exec, s[42:43]
	v_cmp_gt_u32_e32 vcc, s54, v41
	s_and_saveexec_b64 s[42:43], vcc
	s_cbranch_execz .LBB230_177
; %bb.167:
	s_and_b64 vcc, exec, s[4:5]
	s_mov_b64 s[44:45], 0
	s_cbranch_vccnz .LBB230_176
; %bb.168:
	v_mov_b64_e32 v[34:35], s[36:37]
	v_mad_u64_u32 v[32:33], s[16:17], v22, s26, v[34:35]
	s_waitcnt lgkmcnt(0)
	v_mul_lo_u32 v36, v22, s27
	v_mul_lo_u32 v37, v23, s26
	v_add3_u32 v33, v37, v33, v36
	v_mad_u64_u32 v[34:35], s[16:17], v24, s26, v[34:35]
	v_mul_lo_u32 v36, v24, s27
	v_mul_lo_u32 v37, v25, s26
	v_add3_u32 v35, v37, v35, v36
	global_load_ubyte v36, v[32:33], off
	global_load_ubyte v37, v[34:35], off
	s_mov_b64 s[44:45], -1
	s_waitcnt vmcnt(0)
	v_cmp_eq_u16_e32 vcc, v36, v37
	s_and_saveexec_b64 s[16:17], vcc
	s_cbranch_execz .LBB230_175
; %bb.169:
	s_mov_b64 s[48:49], 1
	s_mov_b64 s[44:45], 0
                                        ; implicit-def: $sgpr46_sgpr47
	s_branch .LBB230_172
.LBB230_170:                            ;   in Loop: Header=BB230_172 Depth=1
	v_lshl_add_u64 v[36:37], v[32:33], 0, s[48:49]
	v_lshl_add_u64 v[46:47], v[34:35], 0, s[48:49]
	global_load_ubyte v36, v[36:37], off
	s_nop 0
	global_load_ubyte v37, v[46:47], off
	s_add_u32 s50, s48, 1
	s_addc_u32 s51, s49, 0
	s_andn2_b64 s[46:47], s[46:47], exec
	s_waitcnt vmcnt(0)
	v_cmp_ne_u16_e32 vcc, v36, v37
	s_and_b64 s[52:53], vcc, exec
	s_or_b64 s[46:47], s[46:47], s[52:53]
.LBB230_171:                            ;   in Loop: Header=BB230_172 Depth=1
	s_and_b64 s[52:53], exec, s[46:47]
	s_or_b64 s[44:45], s[52:53], s[44:45]
	v_mov_b64_e32 v[36:37], s[48:49]
	s_mov_b64 s[48:49], s[50:51]
	s_andn2_b64 exec, exec, s[44:45]
	s_cbranch_execz .LBB230_174
.LBB230_172:                            ; =>This Inner Loop Header: Depth=1
	s_or_b64 s[46:47], s[46:47], exec
	s_cmp_eq_u64 s[26:27], s[48:49]
	s_cbranch_scc0 .LBB230_170
; %bb.173:                              ;   in Loop: Header=BB230_172 Depth=1
                                        ; implicit-def: $sgpr50_sgpr51
	s_mov_b64 s[48:49], s[26:27]
	s_branch .LBB230_171
.LBB230_174:
	s_or_b64 exec, exec, s[44:45]
	v_cmp_gt_i64_e32 vcc, s[26:27], v[36:37]
	s_orn2_b64 s[44:45], vcc, exec
.LBB230_175:
	s_or_b64 exec, exec, s[16:17]
.LBB230_176:
	s_and_b64 s[16:17], s[44:45], exec
.LBB230_177:
	s_or_b64 exec, exec, s[42:43]
	s_waitcnt lgkmcnt(0)
	s_barrier
	s_and_saveexec_b64 s[42:43], s[2:3]
	s_cbranch_execz .LBB230_179
; %bb.178:
	s_waitcnt vmcnt(0)
	v_add_u32_e32 v30, -8, v45
	ds_read_b64 v[30:31], v30
.LBB230_179:
	s_or_b64 exec, exec, s[42:43]
	v_cndmask_b32_e64 v33, 0, 1, s[14:15]
	v_cndmask_b32_e64 v32, 0, 1, s[40:41]
	;; [unrolled: 1-line block ×3, first 2 shown]
	v_lshlrev_b16_e32 v33, 8, v33
	v_cmp_gt_u32_e32 vcc, s54, v1
	v_lshlrev_b16_e32 v36, 8, v34
	v_or_b32_sdwa v37, v32, v33 dst_sel:WORD_1 dst_unused:UNUSED_PAD src0_sel:DWORD src1_sel:DWORD
	s_mov_b64 s[14:15], 0
	s_and_saveexec_b64 s[16:17], vcc
	s_cbranch_execz .LBB230_190
; %bb.180:
	s_and_b64 vcc, exec, s[4:5]
	s_cbranch_vccnz .LBB230_189
; %bb.181:
	v_mov_b64_e32 v[34:35], s[36:37]
	s_waitcnt vmcnt(0) lgkmcnt(0)
	v_mad_u64_u32 v[32:33], s[4:5], v30, s26, v[34:35]
	v_mul_lo_u32 v30, v30, s27
	v_mul_lo_u32 v31, v31, s26
	v_add3_u32 v33, v31, v33, v30
	v_mad_u64_u32 v[30:31], s[4:5], v22, s26, v[34:35]
	v_mul_lo_u32 v34, v22, s27
	v_mul_lo_u32 v35, v23, s26
	v_add3_u32 v31, v35, v31, v34
	global_load_ubyte v34, v[32:33], off
	global_load_ubyte v35, v[30:31], off
	s_mov_b64 s[14:15], -1
	s_waitcnt vmcnt(0)
	v_cmp_eq_u16_e32 vcc, v34, v35
	s_and_saveexec_b64 s[4:5], vcc
	s_cbranch_execz .LBB230_188
; %bb.182:
	s_mov_b64 s[42:43], 1
	s_mov_b64 s[14:15], 0
                                        ; implicit-def: $sgpr40_sgpr41
	s_branch .LBB230_185
.LBB230_183:                            ;   in Loop: Header=BB230_185 Depth=1
	v_lshl_add_u64 v[34:35], v[32:33], 0, s[42:43]
	v_lshl_add_u64 v[46:47], v[30:31], 0, s[42:43]
	global_load_ubyte v45, v[34:35], off
	global_load_ubyte v48, v[46:47], off
	s_add_u32 s44, s42, 1
	s_addc_u32 s45, s43, 0
	s_andn2_b64 s[40:41], s[40:41], exec
	s_waitcnt vmcnt(0)
	v_cmp_ne_u16_e32 vcc, v45, v48
	s_and_b64 s[46:47], vcc, exec
	s_or_b64 s[40:41], s[40:41], s[46:47]
.LBB230_184:                            ;   in Loop: Header=BB230_185 Depth=1
	s_and_b64 s[46:47], exec, s[40:41]
	s_or_b64 s[14:15], s[46:47], s[14:15]
	v_mov_b64_e32 v[34:35], s[42:43]
	s_mov_b64 s[42:43], s[44:45]
	s_andn2_b64 exec, exec, s[14:15]
	s_cbranch_execz .LBB230_187
.LBB230_185:                            ; =>This Inner Loop Header: Depth=1
	s_or_b64 s[40:41], s[40:41], exec
	s_cmp_eq_u64 s[26:27], s[42:43]
	s_cbranch_scc0 .LBB230_183
; %bb.186:                              ;   in Loop: Header=BB230_185 Depth=1
                                        ; implicit-def: $sgpr44_sgpr45
	s_mov_b64 s[42:43], s[26:27]
	s_branch .LBB230_184
.LBB230_187:
	s_or_b64 exec, exec, s[14:15]
	v_cmp_gt_i64_e32 vcc, s[26:27], v[34:35]
	s_orn2_b64 s[14:15], vcc, exec
.LBB230_188:
	s_or_b64 exec, exec, s[4:5]
.LBB230_189:
	s_and_b64 s[14:15], s[14:15], exec
.LBB230_190:
	s_or_b64 exec, exec, s[16:17]
	v_cndmask_b32_e64 v46, 0, 1, s[12:13]
	v_cndmask_b32_e64 v47, 0, 1, s[10:11]
	;; [unrolled: 1-line block ×3, first 2 shown]
	v_or_b32_e32 v34, v36, v37
.LBB230_191:
	s_mov_b64 s[10:11], -1
	s_cbranch_execnz .LBB230_50
.LBB230_192:
	s_movk_i32 s4, 0xffd0
	v_mad_i32_i24 v44, v0, s4, v44
	s_mov_b64 s[12:13], 0
	v_cmp_gt_i64_e64 s[6:7], s[26:27], 0
	s_and_b64 vcc, exec, s[34:35]
	ds_write_b64 v44, v[28:29]
	s_cbranch_vccz .LBB230_200
; %bb.193:
	v_mul_lo_u32 v32, v17, s26
	v_mul_lo_u32 v33, v16, s27
	s_waitcnt vmcnt(0) lgkmcnt(1)
	v_mad_u64_u32 v[30:31], s[4:5], v16, s26, 0
	v_add3_u32 v31, v31, v33, v32
	v_cndmask_b32_e64 v32, 0, 1, s[6:7]
	v_cmp_ne_u32_e64 s[4:5], 1, v32
	s_andn2_b64 vcc, exec, s[6:7]
	v_lshl_add_u64 v[30:31], s[36:37], 0, v[30:31]
	s_cbranch_vccnz .LBB230_203
; %bb.194:
	v_mov_b64_e32 v[32:33], s[36:37]
	v_mad_u64_u32 v[32:33], s[12:13], v28, s26, v[32:33]
	v_mul_lo_u32 v34, v28, s27
	v_mul_lo_u32 v35, v29, s26
	v_add3_u32 v33, v35, v33, v34
	global_load_ubyte v34, v[30:31], off
	global_load_ubyte v35, v[32:33], off
	s_mov_b64 s[12:13], -1
	s_waitcnt vmcnt(0)
	v_cmp_eq_u16_e32 vcc, v34, v35
	s_and_saveexec_b64 s[14:15], vcc
	s_cbranch_execz .LBB230_202
; %bb.195:
	s_mov_b64 s[40:41], 1
	s_mov_b64 s[12:13], 0
                                        ; implicit-def: $sgpr16_sgpr17
	s_branch .LBB230_198
.LBB230_196:                            ;   in Loop: Header=BB230_198 Depth=1
	v_lshl_add_u64 v[34:35], v[30:31], 0, s[40:41]
	v_lshl_add_u64 v[36:37], v[32:33], 0, s[40:41]
	global_load_ubyte v45, v[34:35], off
	global_load_ubyte v46, v[36:37], off
	s_add_u32 s42, s40, 1
	s_addc_u32 s43, s41, 0
	s_andn2_b64 s[16:17], s[16:17], exec
	s_waitcnt vmcnt(0)
	v_cmp_ne_u16_e32 vcc, v45, v46
	s_and_b64 s[44:45], vcc, exec
	s_or_b64 s[16:17], s[16:17], s[44:45]
.LBB230_197:                            ;   in Loop: Header=BB230_198 Depth=1
	s_and_b64 s[44:45], exec, s[16:17]
	s_or_b64 s[12:13], s[44:45], s[12:13]
	v_mov_b64_e32 v[34:35], s[40:41]
	s_mov_b64 s[40:41], s[42:43]
	s_andn2_b64 exec, exec, s[12:13]
	s_cbranch_execz .LBB230_201
.LBB230_198:                            ; =>This Inner Loop Header: Depth=1
	s_or_b64 s[16:17], s[16:17], exec
	s_cmp_eq_u64 s[26:27], s[40:41]
	s_cbranch_scc0 .LBB230_196
; %bb.199:                              ;   in Loop: Header=BB230_198 Depth=1
                                        ; implicit-def: $sgpr42_sgpr43
	s_mov_b64 s[40:41], s[26:27]
	s_branch .LBB230_197
.LBB230_200:
                                        ; implicit-def: $sgpr14_sgpr15
                                        ; implicit-def: $vgpr48
                                        ; implicit-def: $vgpr47
                                        ; implicit-def: $vgpr46
                                        ; implicit-def: $vgpr34
                                        ; implicit-def: $vgpr30_vgpr31
	s_cbranch_execnz .LBB230_260
	s_branch .LBB230_340
.LBB230_201:
	s_or_b64 exec, exec, s[12:13]
	v_cmp_gt_i64_e32 vcc, s[26:27], v[34:35]
	s_orn2_b64 s[12:13], vcc, exec
.LBB230_202:
	s_or_b64 exec, exec, s[14:15]
.LBB230_203:
	v_mul_lo_u32 v34, v15, s26
	v_mul_lo_u32 v35, v14, s27
	v_mad_u64_u32 v[32:33], s[14:15], v14, s26, 0
	v_add3_u32 v33, v33, v35, v34
	s_mov_b64 s[14:15], 0
	s_and_b64 vcc, exec, s[4:5]
	v_lshl_add_u64 v[32:33], s[36:37], 0, v[32:33]
	s_mov_b64 s[16:17], 0
	s_cbranch_vccnz .LBB230_212
; %bb.204:
	global_load_ubyte v34, v[32:33], off
	global_load_ubyte v35, v[30:31], off
	s_mov_b64 s[16:17], -1
	s_waitcnt vmcnt(0)
	v_cmp_eq_u16_e32 vcc, v34, v35
	s_and_saveexec_b64 s[40:41], vcc
	s_cbranch_execz .LBB230_211
; %bb.205:
	s_mov_b64 s[44:45], 1
	s_mov_b64 s[16:17], 0
                                        ; implicit-def: $sgpr42_sgpr43
	s_branch .LBB230_208
.LBB230_206:                            ;   in Loop: Header=BB230_208 Depth=1
	v_lshl_add_u64 v[34:35], v[32:33], 0, s[44:45]
	v_lshl_add_u64 v[36:37], v[30:31], 0, s[44:45]
	global_load_ubyte v45, v[34:35], off
	global_load_ubyte v46, v[36:37], off
	s_add_u32 s46, s44, 1
	s_addc_u32 s47, s45, 0
	s_andn2_b64 s[42:43], s[42:43], exec
	s_waitcnt vmcnt(0)
	v_cmp_ne_u16_e32 vcc, v45, v46
	s_and_b64 s[48:49], vcc, exec
	s_or_b64 s[42:43], s[42:43], s[48:49]
.LBB230_207:                            ;   in Loop: Header=BB230_208 Depth=1
	s_and_b64 s[48:49], exec, s[42:43]
	s_or_b64 s[16:17], s[48:49], s[16:17]
	v_mov_b64_e32 v[34:35], s[44:45]
	s_mov_b64 s[44:45], s[46:47]
	s_andn2_b64 exec, exec, s[16:17]
	s_cbranch_execz .LBB230_210
.LBB230_208:                            ; =>This Inner Loop Header: Depth=1
	s_or_b64 s[42:43], s[42:43], exec
	s_cmp_eq_u64 s[26:27], s[44:45]
	s_cbranch_scc0 .LBB230_206
; %bb.209:                              ;   in Loop: Header=BB230_208 Depth=1
                                        ; implicit-def: $sgpr46_sgpr47
	s_mov_b64 s[44:45], s[26:27]
	s_branch .LBB230_207
.LBB230_210:
	s_or_b64 exec, exec, s[16:17]
	v_cmp_gt_i64_e32 vcc, s[26:27], v[34:35]
	s_orn2_b64 s[16:17], vcc, exec
.LBB230_211:
	s_or_b64 exec, exec, s[40:41]
.LBB230_212:
	v_mul_lo_u32 v34, v21, s26
	v_mul_lo_u32 v35, v20, s27
	v_mad_u64_u32 v[30:31], s[40:41], v20, s26, 0
	v_add3_u32 v31, v31, v35, v34
	s_and_b64 vcc, exec, s[4:5]
	v_lshl_add_u64 v[30:31], s[36:37], 0, v[30:31]
	s_cbranch_vccnz .LBB230_221
; %bb.213:
	global_load_ubyte v34, v[30:31], off
	global_load_ubyte v35, v[32:33], off
	s_mov_b64 s[14:15], -1
	s_waitcnt vmcnt(0)
	v_cmp_eq_u16_e32 vcc, v34, v35
	s_and_saveexec_b64 s[40:41], vcc
	s_cbranch_execz .LBB230_220
; %bb.214:
	s_mov_b64 s[44:45], 1
	s_mov_b64 s[14:15], 0
                                        ; implicit-def: $sgpr42_sgpr43
	s_branch .LBB230_217
.LBB230_215:                            ;   in Loop: Header=BB230_217 Depth=1
	v_lshl_add_u64 v[34:35], v[30:31], 0, s[44:45]
	v_lshl_add_u64 v[36:37], v[32:33], 0, s[44:45]
	global_load_ubyte v45, v[34:35], off
	global_load_ubyte v46, v[36:37], off
	s_add_u32 s46, s44, 1
	s_addc_u32 s47, s45, 0
	s_andn2_b64 s[42:43], s[42:43], exec
	s_waitcnt vmcnt(0)
	v_cmp_ne_u16_e32 vcc, v45, v46
	s_and_b64 s[48:49], vcc, exec
	s_or_b64 s[42:43], s[42:43], s[48:49]
.LBB230_216:                            ;   in Loop: Header=BB230_217 Depth=1
	s_and_b64 s[48:49], exec, s[42:43]
	s_or_b64 s[14:15], s[48:49], s[14:15]
	v_mov_b64_e32 v[34:35], s[44:45]
	s_mov_b64 s[44:45], s[46:47]
	s_andn2_b64 exec, exec, s[14:15]
	s_cbranch_execz .LBB230_219
.LBB230_217:                            ; =>This Inner Loop Header: Depth=1
	s_or_b64 s[42:43], s[42:43], exec
	s_cmp_eq_u64 s[26:27], s[44:45]
	s_cbranch_scc0 .LBB230_215
; %bb.218:                              ;   in Loop: Header=BB230_217 Depth=1
                                        ; implicit-def: $sgpr46_sgpr47
	s_mov_b64 s[44:45], s[26:27]
	s_branch .LBB230_216
.LBB230_219:
	s_or_b64 exec, exec, s[14:15]
	v_cmp_gt_i64_e32 vcc, s[26:27], v[34:35]
	s_orn2_b64 s[14:15], vcc, exec
.LBB230_220:
	s_or_b64 exec, exec, s[40:41]
.LBB230_221:
	v_mul_lo_u32 v34, v19, s26
	v_mul_lo_u32 v35, v18, s27
	v_mad_u64_u32 v[32:33], s[40:41], v18, s26, 0
	v_add3_u32 v33, v33, v35, v34
	s_mov_b64 s[40:41], 0
	s_and_b64 vcc, exec, s[4:5]
	v_lshl_add_u64 v[32:33], s[36:37], 0, v[32:33]
	s_mov_b64 s[42:43], 0
	s_cbranch_vccnz .LBB230_230
; %bb.222:
	global_load_ubyte v34, v[32:33], off
	global_load_ubyte v35, v[30:31], off
	s_mov_b64 s[42:43], -1
	s_waitcnt vmcnt(0)
	v_cmp_eq_u16_e32 vcc, v34, v35
	s_and_saveexec_b64 s[44:45], vcc
	s_cbranch_execz .LBB230_229
; %bb.223:
	s_mov_b64 s[48:49], 1
	s_mov_b64 s[42:43], 0
                                        ; implicit-def: $sgpr46_sgpr47
	s_branch .LBB230_226
.LBB230_224:                            ;   in Loop: Header=BB230_226 Depth=1
	v_lshl_add_u64 v[34:35], v[32:33], 0, s[48:49]
	v_lshl_add_u64 v[36:37], v[30:31], 0, s[48:49]
	global_load_ubyte v34, v[34:35], off
	s_nop 0
	global_load_ubyte v35, v[36:37], off
	s_add_u32 s50, s48, 1
	s_addc_u32 s51, s49, 0
	s_andn2_b64 s[46:47], s[46:47], exec
	s_waitcnt vmcnt(0)
	v_cmp_ne_u16_e32 vcc, v34, v35
	s_and_b64 s[52:53], vcc, exec
	s_or_b64 s[46:47], s[46:47], s[52:53]
.LBB230_225:                            ;   in Loop: Header=BB230_226 Depth=1
	s_and_b64 s[52:53], exec, s[46:47]
	s_or_b64 s[42:43], s[52:53], s[42:43]
	v_mov_b64_e32 v[34:35], s[48:49]
	s_mov_b64 s[48:49], s[50:51]
	s_andn2_b64 exec, exec, s[42:43]
	s_cbranch_execz .LBB230_228
.LBB230_226:                            ; =>This Inner Loop Header: Depth=1
	s_or_b64 s[46:47], s[46:47], exec
	s_cmp_eq_u64 s[26:27], s[48:49]
	s_cbranch_scc0 .LBB230_224
; %bb.227:                              ;   in Loop: Header=BB230_226 Depth=1
                                        ; implicit-def: $sgpr50_sgpr51
	s_mov_b64 s[48:49], s[26:27]
	s_branch .LBB230_225
.LBB230_228:
	s_or_b64 exec, exec, s[42:43]
	v_cmp_gt_i64_e32 vcc, s[26:27], v[34:35]
	s_orn2_b64 s[42:43], vcc, exec
.LBB230_229:
	s_or_b64 exec, exec, s[44:45]
.LBB230_230:
	v_mul_lo_u32 v34, v25, s26
	v_mul_lo_u32 v35, v24, s27
	v_mad_u64_u32 v[30:31], s[44:45], v24, s26, 0
	v_add3_u32 v31, v31, v35, v34
	s_and_b64 vcc, exec, s[4:5]
	v_lshl_add_u64 v[30:31], s[36:37], 0, v[30:31]
	s_cbranch_vccnz .LBB230_239
; %bb.231:
	global_load_ubyte v34, v[30:31], off
	global_load_ubyte v35, v[32:33], off
	s_mov_b64 s[40:41], -1
	s_waitcnt vmcnt(0)
	v_cmp_eq_u16_e32 vcc, v34, v35
	s_and_saveexec_b64 s[44:45], vcc
	s_cbranch_execz .LBB230_238
; %bb.232:
	s_mov_b64 s[48:49], 1
	s_mov_b64 s[40:41], 0
                                        ; implicit-def: $sgpr46_sgpr47
	s_branch .LBB230_235
.LBB230_233:                            ;   in Loop: Header=BB230_235 Depth=1
	v_lshl_add_u64 v[34:35], v[30:31], 0, s[48:49]
	v_lshl_add_u64 v[36:37], v[32:33], 0, s[48:49]
	global_load_ubyte v34, v[34:35], off
	s_nop 0
	global_load_ubyte v35, v[36:37], off
	s_add_u32 s50, s48, 1
	s_addc_u32 s51, s49, 0
	s_andn2_b64 s[46:47], s[46:47], exec
	s_waitcnt vmcnt(0)
	v_cmp_ne_u16_e32 vcc, v34, v35
	s_and_b64 s[52:53], vcc, exec
	s_or_b64 s[46:47], s[46:47], s[52:53]
.LBB230_234:                            ;   in Loop: Header=BB230_235 Depth=1
	s_and_b64 s[52:53], exec, s[46:47]
	s_or_b64 s[40:41], s[52:53], s[40:41]
	v_mov_b64_e32 v[34:35], s[48:49]
	s_mov_b64 s[48:49], s[50:51]
	s_andn2_b64 exec, exec, s[40:41]
	s_cbranch_execz .LBB230_237
.LBB230_235:                            ; =>This Inner Loop Header: Depth=1
	s_or_b64 s[46:47], s[46:47], exec
	s_cmp_eq_u64 s[26:27], s[48:49]
	s_cbranch_scc0 .LBB230_233
; %bb.236:                              ;   in Loop: Header=BB230_235 Depth=1
                                        ; implicit-def: $sgpr50_sgpr51
	s_mov_b64 s[48:49], s[26:27]
	s_branch .LBB230_234
.LBB230_237:
	s_or_b64 exec, exec, s[40:41]
	v_cmp_gt_i64_e32 vcc, s[26:27], v[34:35]
	s_orn2_b64 s[40:41], vcc, exec
.LBB230_238:
	s_or_b64 exec, exec, s[44:45]
.LBB230_239:
	v_mul_lo_u32 v34, v23, s26
	v_mul_lo_u32 v35, v22, s27
	v_mad_u64_u32 v[32:33], s[44:45], v22, s26, 0
	v_add3_u32 v33, v33, v35, v34
	s_and_b64 vcc, exec, s[4:5]
	s_mov_b64 s[46:47], 0
	s_cbranch_vccnz .LBB230_248
; %bb.240:
	v_lshl_add_u64 v[34:35], s[36:37], 0, v[32:33]
	global_load_ubyte v36, v[34:35], off
	global_load_ubyte v37, v[30:31], off
	s_mov_b64 s[46:47], -1
	s_waitcnt vmcnt(0)
	v_cmp_eq_u16_e32 vcc, v36, v37
	s_and_saveexec_b64 s[44:45], vcc
	s_cbranch_execz .LBB230_247
; %bb.241:
	s_mov_b64 s[50:51], 1
	s_mov_b64 s[46:47], 0
                                        ; implicit-def: $sgpr48_sgpr49
	s_branch .LBB230_244
.LBB230_242:                            ;   in Loop: Header=BB230_244 Depth=1
	v_lshl_add_u64 v[36:37], v[34:35], 0, s[50:51]
	v_lshl_add_u64 v[46:47], v[30:31], 0, s[50:51]
	global_load_ubyte v36, v[36:37], off
	s_nop 0
	global_load_ubyte v37, v[46:47], off
	s_add_u32 s52, s50, 1
	s_addc_u32 s53, s51, 0
	s_andn2_b64 s[48:49], s[48:49], exec
	s_waitcnt vmcnt(0)
	v_cmp_ne_u16_e32 vcc, v36, v37
	s_and_b64 s[56:57], vcc, exec
	s_or_b64 s[48:49], s[48:49], s[56:57]
.LBB230_243:                            ;   in Loop: Header=BB230_244 Depth=1
	s_and_b64 s[56:57], exec, s[48:49]
	s_or_b64 s[46:47], s[56:57], s[46:47]
	v_mov_b64_e32 v[36:37], s[50:51]
	s_mov_b64 s[50:51], s[52:53]
	s_andn2_b64 exec, exec, s[46:47]
	s_cbranch_execz .LBB230_246
.LBB230_244:                            ; =>This Inner Loop Header: Depth=1
	s_or_b64 s[48:49], s[48:49], exec
	s_cmp_eq_u64 s[26:27], s[50:51]
	s_cbranch_scc0 .LBB230_242
; %bb.245:                              ;   in Loop: Header=BB230_244 Depth=1
                                        ; implicit-def: $sgpr52_sgpr53
	s_mov_b64 s[50:51], s[26:27]
	s_branch .LBB230_243
.LBB230_246:
	s_or_b64 exec, exec, s[46:47]
	v_cmp_gt_i64_e32 vcc, s[26:27], v[36:37]
	s_orn2_b64 s[46:47], vcc, exec
.LBB230_247:
	s_or_b64 exec, exec, s[44:45]
.LBB230_248:
	v_cndmask_b32_e64 v31, 0, 1, s[42:43]
	v_cndmask_b32_e64 v30, 0, 1, s[40:41]
	;; [unrolled: 1-line block ×3, first 2 shown]
	v_lshlrev_b16_e32 v31, 8, v31
	v_cndmask_b32_e64 v46, 0, 1, s[14:15]
	v_cndmask_b32_e64 v34, 0, 1, s[46:47]
	v_or_b32_sdwa v30, v30, v31 dst_sel:WORD_1 dst_unused:UNUSED_PAD src0_sel:DWORD src1_sel:DWORD
	v_lshlrev_b16_e32 v31, 8, v47
	v_lshlrev_b16_e32 v34, 8, v34
	v_or_b32_e32 v31, v46, v31
	v_or_b32_e32 v34, 1, v34
	v_and_b32_e32 v31, 0xffff, v31
	v_cndmask_b32_e64 v48, 0, 1, s[12:13]
	v_or_b32_sdwa v30, v34, v30 dst_sel:DWORD dst_unused:UNUSED_PAD src0_sel:WORD_0 src1_sel:DWORD
	v_lshl_or_b32 v31, v48, 16, v31
	s_waitcnt lgkmcnt(0)
	s_barrier
	s_waitcnt lgkmcnt(0)
                                        ; implicit-def: $sgpr14_sgpr15
                                        ; implicit-def: $vgpr34
	s_and_saveexec_b64 s[12:13], s[2:3]
	s_xor_b64 s[12:13], exec, s[12:13]
	s_cbranch_execz .LBB230_259
; %bb.249:
	s_mov_b32 s44, 0x3020104
	s_and_b64 vcc, exec, s[4:5]
	s_mov_b64 s[14:15], 0
	s_cbranch_vccnz .LBB230_258
; %bb.250:
	v_add_u32_e32 v31, -8, v44
	ds_read_b64 v[34:35], v31
	v_mov_b64_e32 v[36:37], s[36:37]
	v_lshl_add_u64 v[32:33], s[36:37], 0, v[32:33]
	s_mov_b64 s[14:15], -1
	s_waitcnt lgkmcnt(0)
	v_mul_lo_u32 v31, v34, s27
	v_mul_lo_u32 v45, v35, s26
	v_mad_u64_u32 v[34:35], s[4:5], v34, s26, v[36:37]
	v_add3_u32 v35, v45, v35, v31
	global_load_ubyte v31, v[32:33], off
	global_load_ubyte v36, v[34:35], off
	s_waitcnt vmcnt(0)
	v_cmp_eq_u16_e32 vcc, v36, v31
	s_and_saveexec_b64 s[4:5], vcc
	s_cbranch_execz .LBB230_257
; %bb.251:
	s_mov_b64 s[40:41], 1
	s_mov_b64 s[14:15], 0
                                        ; implicit-def: $sgpr16_sgpr17
	s_branch .LBB230_254
.LBB230_252:                            ;   in Loop: Header=BB230_254 Depth=1
	v_lshl_add_u64 v[36:37], v[34:35], 0, s[40:41]
	v_lshl_add_u64 v[50:51], v[32:33], 0, s[40:41]
	global_load_ubyte v31, v[36:37], off
	global_load_ubyte v45, v[50:51], off
	s_add_u32 s42, s40, 1
	s_addc_u32 s43, s41, 0
	s_andn2_b64 s[16:17], s[16:17], exec
	s_waitcnt vmcnt(0)
	v_cmp_ne_u16_e32 vcc, v31, v45
	s_and_b64 s[46:47], vcc, exec
	s_or_b64 s[16:17], s[16:17], s[46:47]
.LBB230_253:                            ;   in Loop: Header=BB230_254 Depth=1
	s_and_b64 s[46:47], exec, s[16:17]
	s_or_b64 s[14:15], s[46:47], s[14:15]
	v_mov_b64_e32 v[36:37], s[40:41]
	s_mov_b64 s[40:41], s[42:43]
	s_andn2_b64 exec, exec, s[14:15]
	s_cbranch_execz .LBB230_256
.LBB230_254:                            ; =>This Inner Loop Header: Depth=1
	s_or_b64 s[16:17], s[16:17], exec
	s_cmp_eq_u64 s[26:27], s[40:41]
	s_cbranch_scc0 .LBB230_252
; %bb.255:                              ;   in Loop: Header=BB230_254 Depth=1
                                        ; implicit-def: $sgpr42_sgpr43
	s_mov_b64 s[40:41], s[26:27]
	s_branch .LBB230_253
.LBB230_256:
	s_or_b64 exec, exec, s[14:15]
	v_cmp_gt_i64_e32 vcc, s[26:27], v[36:37]
	s_orn2_b64 s[14:15], vcc, exec
.LBB230_257:
	s_or_b64 exec, exec, s[4:5]
.LBB230_258:
	v_perm_b32 v34, v30, v30, s44
	s_and_b64 s[14:15], s[14:15], exec
	s_or_b64 s[10:11], s[10:11], exec
                                        ; implicit-def: $vgpr30_vgpr31
.LBB230_259:
	s_or_b64 exec, exec, s[12:13]
	s_branch .LBB230_340
.LBB230_260:
	v_cmp_gt_u32_e32 vcc, s54, v40
	s_mov_b64 s[12:13], 0
	s_mov_b64 s[4:5], 0
	s_and_saveexec_b64 s[14:15], vcc
	s_cbranch_execz .LBB230_271
; %bb.261:
	s_andn2_b64 vcc, exec, s[6:7]
	s_mov_b64 s[16:17], 0
	s_cbranch_vccnz .LBB230_270
; %bb.262:
	v_mov_b64_e32 v[32:33], s[36:37]
	s_waitcnt vmcnt(0) lgkmcnt(1)
	v_mad_u64_u32 v[30:31], s[4:5], v16, s26, v[32:33]
	v_mul_lo_u32 v34, v16, s27
	v_mul_lo_u32 v35, v17, s26
	v_add3_u32 v31, v35, v31, v34
	v_mad_u64_u32 v[32:33], s[4:5], v28, s26, v[32:33]
	v_mul_lo_u32 v34, v28, s27
	v_mul_lo_u32 v35, v29, s26
	v_add3_u32 v33, v35, v33, v34
	global_load_ubyte v34, v[30:31], off
	global_load_ubyte v35, v[32:33], off
	s_mov_b64 s[16:17], -1
	s_waitcnt vmcnt(0)
	v_cmp_eq_u16_e32 vcc, v34, v35
	s_and_saveexec_b64 s[4:5], vcc
	s_cbranch_execz .LBB230_269
; %bb.263:
	s_mov_b64 s[42:43], 1
	s_mov_b64 s[16:17], 0
                                        ; implicit-def: $sgpr40_sgpr41
	s_branch .LBB230_266
.LBB230_264:                            ;   in Loop: Header=BB230_266 Depth=1
	v_lshl_add_u64 v[34:35], v[30:31], 0, s[42:43]
	v_lshl_add_u64 v[36:37], v[32:33], 0, s[42:43]
	global_load_ubyte v45, v[34:35], off
	global_load_ubyte v46, v[36:37], off
	s_add_u32 s44, s42, 1
	s_addc_u32 s45, s43, 0
	s_andn2_b64 s[40:41], s[40:41], exec
	s_waitcnt vmcnt(0)
	v_cmp_ne_u16_e32 vcc, v45, v46
	s_and_b64 s[46:47], vcc, exec
	s_or_b64 s[40:41], s[40:41], s[46:47]
.LBB230_265:                            ;   in Loop: Header=BB230_266 Depth=1
	s_and_b64 s[46:47], exec, s[40:41]
	s_or_b64 s[16:17], s[46:47], s[16:17]
	v_mov_b64_e32 v[34:35], s[42:43]
	s_mov_b64 s[42:43], s[44:45]
	s_andn2_b64 exec, exec, s[16:17]
	s_cbranch_execz .LBB230_268
.LBB230_266:                            ; =>This Inner Loop Header: Depth=1
	s_or_b64 s[40:41], s[40:41], exec
	s_cmp_eq_u64 s[26:27], s[42:43]
	s_cbranch_scc0 .LBB230_264
; %bb.267:                              ;   in Loop: Header=BB230_266 Depth=1
                                        ; implicit-def: $sgpr44_sgpr45
	s_mov_b64 s[42:43], s[26:27]
	s_branch .LBB230_265
.LBB230_268:
	s_or_b64 exec, exec, s[16:17]
	v_cmp_gt_i64_e32 vcc, s[26:27], v[34:35]
	s_orn2_b64 s[16:17], vcc, exec
.LBB230_269:
	s_or_b64 exec, exec, s[4:5]
.LBB230_270:
	s_and_b64 s[4:5], s[16:17], exec
.LBB230_271:
	s_or_b64 exec, exec, s[14:15]
	v_cmp_gt_u32_e32 vcc, s54, v43
	s_and_saveexec_b64 s[14:15], vcc
	s_cbranch_execz .LBB230_282
; %bb.272:
	s_andn2_b64 vcc, exec, s[6:7]
	s_mov_b64 s[16:17], 0
	s_cbranch_vccnz .LBB230_281
; %bb.273:
	v_mov_b64_e32 v[32:33], s[36:37]
	s_waitcnt vmcnt(0) lgkmcnt(1)
	v_mad_u64_u32 v[30:31], s[12:13], v14, s26, v[32:33]
	v_mul_lo_u32 v34, v14, s27
	v_mul_lo_u32 v35, v15, s26
	v_add3_u32 v31, v35, v31, v34
	v_mad_u64_u32 v[32:33], s[12:13], v16, s26, v[32:33]
	v_mul_lo_u32 v34, v16, s27
	v_mul_lo_u32 v35, v17, s26
	v_add3_u32 v33, v35, v33, v34
	global_load_ubyte v34, v[30:31], off
	global_load_ubyte v35, v[32:33], off
	s_mov_b64 s[16:17], -1
	s_waitcnt vmcnt(0)
	v_cmp_eq_u16_e32 vcc, v34, v35
	s_and_saveexec_b64 s[12:13], vcc
	s_cbranch_execz .LBB230_280
; %bb.274:
	s_mov_b64 s[42:43], 1
	s_mov_b64 s[16:17], 0
                                        ; implicit-def: $sgpr40_sgpr41
	s_branch .LBB230_277
.LBB230_275:                            ;   in Loop: Header=BB230_277 Depth=1
	v_lshl_add_u64 v[34:35], v[30:31], 0, s[42:43]
	v_lshl_add_u64 v[36:37], v[32:33], 0, s[42:43]
	global_load_ubyte v45, v[34:35], off
	global_load_ubyte v46, v[36:37], off
	s_add_u32 s44, s42, 1
	s_addc_u32 s45, s43, 0
	s_andn2_b64 s[40:41], s[40:41], exec
	s_waitcnt vmcnt(0)
	v_cmp_ne_u16_e32 vcc, v45, v46
	s_and_b64 s[46:47], vcc, exec
	s_or_b64 s[40:41], s[40:41], s[46:47]
.LBB230_276:                            ;   in Loop: Header=BB230_277 Depth=1
	s_and_b64 s[46:47], exec, s[40:41]
	s_or_b64 s[16:17], s[46:47], s[16:17]
	v_mov_b64_e32 v[34:35], s[42:43]
	s_mov_b64 s[42:43], s[44:45]
	s_andn2_b64 exec, exec, s[16:17]
	s_cbranch_execz .LBB230_279
.LBB230_277:                            ; =>This Inner Loop Header: Depth=1
	s_or_b64 s[40:41], s[40:41], exec
	s_cmp_eq_u64 s[26:27], s[42:43]
	s_cbranch_scc0 .LBB230_275
; %bb.278:                              ;   in Loop: Header=BB230_277 Depth=1
                                        ; implicit-def: $sgpr44_sgpr45
	s_mov_b64 s[42:43], s[26:27]
	s_branch .LBB230_276
.LBB230_279:
	s_or_b64 exec, exec, s[16:17]
	v_cmp_gt_i64_e32 vcc, s[26:27], v[34:35]
	s_orn2_b64 s[16:17], vcc, exec
.LBB230_280:
	s_or_b64 exec, exec, s[12:13]
.LBB230_281:
	s_and_b64 s[12:13], s[16:17], exec
.LBB230_282:
	s_or_b64 exec, exec, s[14:15]
	v_cmp_gt_u32_e32 vcc, s54, v39
	s_mov_b64 s[16:17], 0
	s_mov_b64 s[14:15], 0
	s_and_saveexec_b64 s[40:41], vcc
	s_cbranch_execz .LBB230_293
; %bb.283:
	s_andn2_b64 vcc, exec, s[6:7]
	s_mov_b64 s[42:43], 0
	s_cbranch_vccnz .LBB230_292
; %bb.284:
	v_mov_b64_e32 v[32:33], s[36:37]
	s_waitcnt vmcnt(0) lgkmcnt(1)
	v_mad_u64_u32 v[30:31], s[14:15], v20, s26, v[32:33]
	v_mul_lo_u32 v34, v20, s27
	v_mul_lo_u32 v35, v21, s26
	v_add3_u32 v31, v35, v31, v34
	v_mad_u64_u32 v[32:33], s[14:15], v14, s26, v[32:33]
	v_mul_lo_u32 v34, v14, s27
	v_mul_lo_u32 v35, v15, s26
	v_add3_u32 v33, v35, v33, v34
	global_load_ubyte v34, v[30:31], off
	global_load_ubyte v35, v[32:33], off
	s_mov_b64 s[42:43], -1
	s_waitcnt vmcnt(0)
	v_cmp_eq_u16_e32 vcc, v34, v35
	s_and_saveexec_b64 s[14:15], vcc
	s_cbranch_execz .LBB230_291
; %bb.285:
	s_mov_b64 s[46:47], 1
	s_mov_b64 s[42:43], 0
                                        ; implicit-def: $sgpr44_sgpr45
	s_branch .LBB230_288
.LBB230_286:                            ;   in Loop: Header=BB230_288 Depth=1
	v_lshl_add_u64 v[34:35], v[30:31], 0, s[46:47]
	v_lshl_add_u64 v[36:37], v[32:33], 0, s[46:47]
	global_load_ubyte v45, v[34:35], off
	global_load_ubyte v46, v[36:37], off
	s_add_u32 s48, s46, 1
	s_addc_u32 s49, s47, 0
	s_andn2_b64 s[44:45], s[44:45], exec
	s_waitcnt vmcnt(0)
	v_cmp_ne_u16_e32 vcc, v45, v46
	s_and_b64 s[50:51], vcc, exec
	s_or_b64 s[44:45], s[44:45], s[50:51]
.LBB230_287:                            ;   in Loop: Header=BB230_288 Depth=1
	s_and_b64 s[50:51], exec, s[44:45]
	s_or_b64 s[42:43], s[50:51], s[42:43]
	v_mov_b64_e32 v[34:35], s[46:47]
	s_mov_b64 s[46:47], s[48:49]
	s_andn2_b64 exec, exec, s[42:43]
	s_cbranch_execz .LBB230_290
.LBB230_288:                            ; =>This Inner Loop Header: Depth=1
	s_or_b64 s[44:45], s[44:45], exec
	s_cmp_eq_u64 s[26:27], s[46:47]
	s_cbranch_scc0 .LBB230_286
; %bb.289:                              ;   in Loop: Header=BB230_288 Depth=1
                                        ; implicit-def: $sgpr48_sgpr49
	s_mov_b64 s[46:47], s[26:27]
	s_branch .LBB230_287
.LBB230_290:
	s_or_b64 exec, exec, s[42:43]
	v_cmp_gt_i64_e32 vcc, s[26:27], v[34:35]
	s_orn2_b64 s[42:43], vcc, exec
.LBB230_291:
	s_or_b64 exec, exec, s[14:15]
.LBB230_292:
	s_and_b64 s[14:15], s[42:43], exec
.LBB230_293:
	s_or_b64 exec, exec, s[40:41]
	v_cmp_gt_u32_e32 vcc, s54, v42
	s_and_saveexec_b64 s[40:41], vcc
	s_cbranch_execz .LBB230_304
; %bb.294:
	s_andn2_b64 vcc, exec, s[6:7]
	s_mov_b64 s[42:43], 0
	s_cbranch_vccnz .LBB230_303
; %bb.295:
	v_mov_b64_e32 v[32:33], s[36:37]
	s_waitcnt vmcnt(0) lgkmcnt(1)
	v_mad_u64_u32 v[30:31], s[16:17], v18, s26, v[32:33]
	v_mul_lo_u32 v34, v18, s27
	v_mul_lo_u32 v35, v19, s26
	v_add3_u32 v31, v35, v31, v34
	v_mad_u64_u32 v[32:33], s[16:17], v20, s26, v[32:33]
	v_mul_lo_u32 v34, v20, s27
	v_mul_lo_u32 v35, v21, s26
	v_add3_u32 v33, v35, v33, v34
	global_load_ubyte v34, v[30:31], off
	global_load_ubyte v35, v[32:33], off
	s_mov_b64 s[42:43], -1
	s_waitcnt vmcnt(0)
	v_cmp_eq_u16_e32 vcc, v34, v35
	s_and_saveexec_b64 s[16:17], vcc
	s_cbranch_execz .LBB230_302
; %bb.296:
	s_mov_b64 s[46:47], 1
	s_mov_b64 s[42:43], 0
                                        ; implicit-def: $sgpr44_sgpr45
	s_branch .LBB230_299
.LBB230_297:                            ;   in Loop: Header=BB230_299 Depth=1
	v_lshl_add_u64 v[34:35], v[30:31], 0, s[46:47]
	v_lshl_add_u64 v[36:37], v[32:33], 0, s[46:47]
	global_load_ubyte v45, v[34:35], off
	global_load_ubyte v46, v[36:37], off
	s_add_u32 s48, s46, 1
	s_addc_u32 s49, s47, 0
	s_andn2_b64 s[44:45], s[44:45], exec
	s_waitcnt vmcnt(0)
	v_cmp_ne_u16_e32 vcc, v45, v46
	s_and_b64 s[50:51], vcc, exec
	s_or_b64 s[44:45], s[44:45], s[50:51]
.LBB230_298:                            ;   in Loop: Header=BB230_299 Depth=1
	s_and_b64 s[50:51], exec, s[44:45]
	s_or_b64 s[42:43], s[50:51], s[42:43]
	v_mov_b64_e32 v[34:35], s[46:47]
	s_mov_b64 s[46:47], s[48:49]
	s_andn2_b64 exec, exec, s[42:43]
	s_cbranch_execz .LBB230_301
.LBB230_299:                            ; =>This Inner Loop Header: Depth=1
	s_or_b64 s[44:45], s[44:45], exec
	s_cmp_eq_u64 s[26:27], s[46:47]
	s_cbranch_scc0 .LBB230_297
; %bb.300:                              ;   in Loop: Header=BB230_299 Depth=1
                                        ; implicit-def: $sgpr48_sgpr49
	s_mov_b64 s[46:47], s[26:27]
	s_branch .LBB230_298
.LBB230_301:
	s_or_b64 exec, exec, s[42:43]
	v_cmp_gt_i64_e32 vcc, s[26:27], v[34:35]
	s_orn2_b64 s[42:43], vcc, exec
.LBB230_302:
	s_or_b64 exec, exec, s[16:17]
.LBB230_303:
	s_and_b64 s[16:17], s[42:43], exec
.LBB230_304:
	s_or_b64 exec, exec, s[40:41]
	v_cmp_gt_u32_e32 vcc, s54, v38
	s_mov_b64 s[40:41], 0
	s_mov_b64 s[42:43], 0
	s_and_saveexec_b64 s[44:45], vcc
	s_cbranch_execz .LBB230_315
; %bb.305:
	s_andn2_b64 vcc, exec, s[6:7]
	s_mov_b64 s[46:47], 0
	s_cbranch_vccnz .LBB230_314
; %bb.306:
	v_mov_b64_e32 v[32:33], s[36:37]
	s_waitcnt vmcnt(0) lgkmcnt(1)
	v_mad_u64_u32 v[30:31], s[42:43], v24, s26, v[32:33]
	v_mul_lo_u32 v34, v24, s27
	v_mul_lo_u32 v35, v25, s26
	v_add3_u32 v31, v35, v31, v34
	v_mad_u64_u32 v[32:33], s[42:43], v18, s26, v[32:33]
	v_mul_lo_u32 v34, v18, s27
	v_mul_lo_u32 v35, v19, s26
	v_add3_u32 v33, v35, v33, v34
	global_load_ubyte v34, v[30:31], off
	global_load_ubyte v35, v[32:33], off
	s_mov_b64 s[46:47], -1
	s_waitcnt vmcnt(0)
	v_cmp_eq_u16_e32 vcc, v34, v35
	s_and_saveexec_b64 s[42:43], vcc
	s_cbranch_execz .LBB230_313
; %bb.307:
	s_mov_b64 s[50:51], 1
	s_mov_b64 s[46:47], 0
                                        ; implicit-def: $sgpr48_sgpr49
	s_branch .LBB230_310
.LBB230_308:                            ;   in Loop: Header=BB230_310 Depth=1
	v_lshl_add_u64 v[34:35], v[30:31], 0, s[50:51]
	v_lshl_add_u64 v[36:37], v[32:33], 0, s[50:51]
	global_load_ubyte v34, v[34:35], off
	s_nop 0
	global_load_ubyte v35, v[36:37], off
	s_add_u32 s52, s50, 1
	s_addc_u32 s53, s51, 0
	s_andn2_b64 s[48:49], s[48:49], exec
	s_waitcnt vmcnt(0)
	v_cmp_ne_u16_e32 vcc, v34, v35
	s_and_b64 s[56:57], vcc, exec
	s_or_b64 s[48:49], s[48:49], s[56:57]
.LBB230_309:                            ;   in Loop: Header=BB230_310 Depth=1
	s_and_b64 s[56:57], exec, s[48:49]
	s_or_b64 s[46:47], s[56:57], s[46:47]
	v_mov_b64_e32 v[34:35], s[50:51]
	s_mov_b64 s[50:51], s[52:53]
	s_andn2_b64 exec, exec, s[46:47]
	s_cbranch_execz .LBB230_312
.LBB230_310:                            ; =>This Inner Loop Header: Depth=1
	s_or_b64 s[48:49], s[48:49], exec
	s_cmp_eq_u64 s[26:27], s[50:51]
	s_cbranch_scc0 .LBB230_308
; %bb.311:                              ;   in Loop: Header=BB230_310 Depth=1
                                        ; implicit-def: $sgpr52_sgpr53
	s_mov_b64 s[50:51], s[26:27]
	s_branch .LBB230_309
.LBB230_312:
	s_or_b64 exec, exec, s[46:47]
	v_cmp_gt_i64_e32 vcc, s[26:27], v[34:35]
	s_orn2_b64 s[46:47], vcc, exec
.LBB230_313:
	s_or_b64 exec, exec, s[42:43]
.LBB230_314:
	s_and_b64 s[42:43], s[46:47], exec
.LBB230_315:
	s_or_b64 exec, exec, s[44:45]
	v_cmp_gt_u32_e32 vcc, s54, v41
	s_and_saveexec_b64 s[44:45], vcc
	s_cbranch_execz .LBB230_326
; %bb.316:
	s_andn2_b64 vcc, exec, s[6:7]
	s_mov_b64 s[46:47], 0
	s_cbranch_vccnz .LBB230_325
; %bb.317:
	v_mov_b64_e32 v[32:33], s[36:37]
	s_waitcnt vmcnt(0) lgkmcnt(1)
	v_mad_u64_u32 v[30:31], s[40:41], v22, s26, v[32:33]
	v_mul_lo_u32 v34, v22, s27
	v_mul_lo_u32 v35, v23, s26
	v_add3_u32 v31, v35, v31, v34
	v_mad_u64_u32 v[32:33], s[40:41], v24, s26, v[32:33]
	v_mul_lo_u32 v34, v24, s27
	v_mul_lo_u32 v35, v25, s26
	v_add3_u32 v33, v35, v33, v34
	global_load_ubyte v34, v[30:31], off
	global_load_ubyte v35, v[32:33], off
	s_mov_b64 s[46:47], -1
	s_waitcnt vmcnt(0)
	v_cmp_eq_u16_e32 vcc, v34, v35
	s_and_saveexec_b64 s[40:41], vcc
	s_cbranch_execz .LBB230_324
; %bb.318:
	s_mov_b64 s[50:51], 1
	s_mov_b64 s[46:47], 0
                                        ; implicit-def: $sgpr48_sgpr49
	s_branch .LBB230_321
.LBB230_319:                            ;   in Loop: Header=BB230_321 Depth=1
	v_lshl_add_u64 v[34:35], v[30:31], 0, s[50:51]
	v_lshl_add_u64 v[36:37], v[32:33], 0, s[50:51]
	global_load_ubyte v34, v[34:35], off
	s_nop 0
	global_load_ubyte v35, v[36:37], off
	s_add_u32 s52, s50, 1
	s_addc_u32 s53, s51, 0
	s_andn2_b64 s[48:49], s[48:49], exec
	s_waitcnt vmcnt(0)
	v_cmp_ne_u16_e32 vcc, v34, v35
	s_and_b64 s[56:57], vcc, exec
	s_or_b64 s[48:49], s[48:49], s[56:57]
.LBB230_320:                            ;   in Loop: Header=BB230_321 Depth=1
	s_and_b64 s[56:57], exec, s[48:49]
	s_or_b64 s[46:47], s[56:57], s[46:47]
	v_mov_b64_e32 v[34:35], s[50:51]
	s_mov_b64 s[50:51], s[52:53]
	s_andn2_b64 exec, exec, s[46:47]
	s_cbranch_execz .LBB230_323
.LBB230_321:                            ; =>This Inner Loop Header: Depth=1
	s_or_b64 s[48:49], s[48:49], exec
	s_cmp_eq_u64 s[26:27], s[50:51]
	s_cbranch_scc0 .LBB230_319
; %bb.322:                              ;   in Loop: Header=BB230_321 Depth=1
                                        ; implicit-def: $sgpr52_sgpr53
	s_mov_b64 s[50:51], s[26:27]
	s_branch .LBB230_320
.LBB230_323:
	s_or_b64 exec, exec, s[46:47]
	v_cmp_gt_i64_e32 vcc, s[26:27], v[34:35]
	s_orn2_b64 s[46:47], vcc, exec
.LBB230_324:
	s_or_b64 exec, exec, s[40:41]
.LBB230_325:
	s_and_b64 s[40:41], s[46:47], exec
.LBB230_326:
	s_or_b64 exec, exec, s[44:45]
	s_waitcnt vmcnt(0) lgkmcnt(1)
	v_cndmask_b32_e64 v31, 0, 1, s[16:17]
	v_cndmask_b32_e64 v30, 0, 1, s[42:43]
	;; [unrolled: 1-line block ×3, first 2 shown]
	v_lshlrev_b16_e32 v31, 8, v31
	v_cndmask_b32_e64 v46, 0, 1, s[14:15]
	v_cndmask_b32_e64 v32, 0, 1, s[40:41]
	v_or_b32_sdwa v30, v30, v31 dst_sel:WORD_1 dst_unused:UNUSED_PAD src0_sel:DWORD src1_sel:DWORD
	v_lshlrev_b16_e32 v31, 8, v47
	v_lshlrev_b16_e32 v32, 8, v32
	v_or_b32_e32 v31, v46, v31
	v_or_b32_e32 v32, 1, v32
	v_and_b32_e32 v31, 0xffff, v31
	v_cndmask_b32_e64 v48, 0, 1, s[4:5]
	v_or_b32_sdwa v30, v32, v30 dst_sel:DWORD dst_unused:UNUSED_PAD src0_sel:WORD_0 src1_sel:DWORD
	v_lshl_or_b32 v31, v48, 16, v31
	s_waitcnt lgkmcnt(0)
	s_barrier
	s_waitcnt lgkmcnt(0)
                                        ; implicit-def: $sgpr14_sgpr15
                                        ; implicit-def: $vgpr34
	s_and_saveexec_b64 s[4:5], s[2:3]
	s_cbranch_execz .LBB230_339
; %bb.327:
	v_cmp_gt_u32_e32 vcc, s54, v1
	s_mov_b32 s40, 0x3020104
	s_mov_b64 s[12:13], 0
	s_and_saveexec_b64 s[2:3], vcc
	s_cbranch_execz .LBB230_338
; %bb.328:
	s_andn2_b64 vcc, exec, s[6:7]
	s_cbranch_vccnz .LBB230_337
; %bb.329:
	v_add_u32_e32 v31, -8, v44
	ds_read_b64 v[32:33], v31
	v_mov_b64_e32 v[34:35], s[36:37]
	s_mov_b64 s[12:13], -1
	s_waitcnt lgkmcnt(0)
	v_mul_lo_u32 v31, v32, s27
	v_mul_lo_u32 v36, v33, s26
	v_mad_u64_u32 v[32:33], s[6:7], v32, s26, v[34:35]
	v_add3_u32 v33, v36, v33, v31
	v_mad_u64_u32 v[34:35], s[6:7], v22, s26, v[34:35]
	v_mul_lo_u32 v31, v22, s27
	v_mul_lo_u32 v36, v23, s26
	v_add3_u32 v35, v36, v35, v31
	global_load_ubyte v31, v[32:33], off
	global_load_ubyte v36, v[34:35], off
	s_waitcnt vmcnt(0)
	v_cmp_eq_u16_e32 vcc, v31, v36
	s_and_saveexec_b64 s[6:7], vcc
	s_cbranch_execz .LBB230_336
; %bb.330:
	s_mov_b64 s[16:17], 1
	s_mov_b64 s[12:13], 0
                                        ; implicit-def: $sgpr14_sgpr15
	s_branch .LBB230_333
.LBB230_331:                            ;   in Loop: Header=BB230_333 Depth=1
	v_lshl_add_u64 v[36:37], v[32:33], 0, s[16:17]
	v_lshl_add_u64 v[44:45], v[34:35], 0, s[16:17]
	global_load_ubyte v31, v[36:37], off
	global_load_ubyte v49, v[44:45], off
	s_add_u32 s36, s16, 1
	s_addc_u32 s37, s17, 0
	s_andn2_b64 s[14:15], s[14:15], exec
	s_waitcnt vmcnt(0)
	v_cmp_ne_u16_e32 vcc, v31, v49
	s_and_b64 s[42:43], vcc, exec
	s_or_b64 s[14:15], s[14:15], s[42:43]
.LBB230_332:                            ;   in Loop: Header=BB230_333 Depth=1
	s_and_b64 s[42:43], exec, s[14:15]
	s_or_b64 s[12:13], s[42:43], s[12:13]
	v_mov_b64_e32 v[36:37], s[16:17]
	s_mov_b64 s[16:17], s[36:37]
	s_andn2_b64 exec, exec, s[12:13]
	s_cbranch_execz .LBB230_335
.LBB230_333:                            ; =>This Inner Loop Header: Depth=1
	s_or_b64 s[14:15], s[14:15], exec
	s_cmp_eq_u64 s[26:27], s[16:17]
	s_cbranch_scc0 .LBB230_331
; %bb.334:                              ;   in Loop: Header=BB230_333 Depth=1
                                        ; implicit-def: $sgpr36_sgpr37
	s_mov_b64 s[16:17], s[26:27]
	s_branch .LBB230_332
.LBB230_335:
	s_or_b64 exec, exec, s[12:13]
	v_cmp_gt_i64_e32 vcc, s[26:27], v[36:37]
	s_orn2_b64 s[12:13], vcc, exec
.LBB230_336:
	s_or_b64 exec, exec, s[6:7]
.LBB230_337:
	s_and_b64 s[12:13], s[12:13], exec
.LBB230_338:
	s_or_b64 exec, exec, s[2:3]
	v_perm_b32 v34, v30, v30, s40
	s_and_b64 s[14:15], s[12:13], exec
	s_or_b64 s[10:11], s[10:11], exec
                                        ; implicit-def: $vgpr30_vgpr31
.LBB230_339:
	s_or_b64 exec, exec, s[4:5]
.LBB230_340:
	s_and_saveexec_b64 s[2:3], s[10:11]
	s_cbranch_execz .LBB230_342
; %bb.341:
	s_waitcnt vmcnt(0) lgkmcnt(0)
	v_lshlrev_b16_e32 v31, 8, v47
	v_and_b32_e32 v32, 0xff, v48
	v_or_b32_sdwa v31, v46, v31 dst_sel:DWORD dst_unused:UNUSED_PAD src0_sel:BYTE_0 src1_sel:DWORD
	v_lshlrev_b32_e32 v32, 16, v32
	s_movk_i32 s4, 0xff
	v_or_b32_sdwa v31, v31, v32 dst_sel:DWORD dst_unused:UNUSED_PAD src0_sel:WORD_0 src1_sel:DWORD
	v_lshrrev_b32_e32 v32, 24, v34
	v_lshlrev_b16_e32 v32, 8, v32
	v_and_b32_sdwa v33, v34, s4 dst_sel:DWORD dst_unused:UNUSED_PAD src0_sel:WORD_1 src1_sel:DWORD
	v_or_b32_sdwa v32, v33, v32 dst_sel:WORD_1 dst_unused:UNUSED_PAD src0_sel:DWORD src1_sel:DWORD
	v_mov_b32_e32 v33, 8
	v_cndmask_b32_e64 v30, 0, 1, s[14:15]
	v_lshrrev_b32_sdwa v33, v33, v34 dst_sel:BYTE_1 dst_unused:UNUSED_PAD src0_sel:DWORD src1_sel:DWORD
	s_nop 0
	v_or_b32_e32 v30, v30, v33
	v_or_b32_sdwa v30, v30, v32 dst_sel:DWORD dst_unused:UNUSED_PAD src0_sel:WORD_0 src1_sel:DWORD
.LBB230_342:
	s_or_b64 exec, exec, s[2:3]
	s_andn2_b64 vcc, exec, s[8:9]
	s_cbranch_vccnz .LBB230_344
; %bb.343:
	s_waitcnt vmcnt(0) lgkmcnt(0)
	v_and_b32_e32 v32, 0xffff0000, v30
	v_cmp_gt_u32_e32 vcc, s54, v1
	s_mov_b32 s2, 0x40c0100
	s_nop 0
	v_cndmask_b32_e32 v1, v32, v30, vcc
	v_and_b32_e32 v1, 0xffff00ff, v1
	v_cmp_gt_u32_e32 vcc, s54, v41
	s_nop 1
	v_cndmask_b32_e32 v1, v1, v30, vcc
	v_lshrrev_b32_e32 v32, 24, v1
	v_perm_b32 v1, v32, v1, s2
	v_cmp_gt_u32_e32 vcc, s54, v38
	v_and_b32_e32 v32, 0xffffff00, v31
	s_nop 0
	v_cndmask_b32_e32 v1, v1, v30, vcc
	v_and_b32_e32 v1, 0xffffff, v1
	v_cmp_gt_u32_e32 vcc, s54, v42
	s_nop 1
	v_cndmask_b32_e32 v1, v1, v30, vcc
	v_cmp_gt_u32_e32 vcc, s54, v39
	s_nop 1
	v_cndmask_b32_e32 v32, v32, v31, vcc
	v_and_b32_e32 v32, 0xffff00ff, v32
	v_cndmask_b32_e32 v1, v1, v30, vcc
	v_cmp_gt_u32_e32 vcc, s54, v43
	s_nop 1
	v_cndmask_b32_e32 v32, v32, v31, vcc
	v_lshrrev_b32_e32 v33, 24, v32
	v_cndmask_b32_e32 v1, v1, v30, vcc
	v_perm_b32 v32, v33, v32, s2
	v_cmp_gt_u32_e32 vcc, s54, v40
	s_mov_b32 s2, 0x3020104
	s_nop 0
	v_cndmask_b32_e32 v1, v1, v30, vcc
	v_cndmask_b32_e32 v30, v32, v31, vcc
	v_mov_b32_e32 v31, 8
	v_lshrrev_b32_sdwa v31, v31, v30 dst_sel:BYTE_1 dst_unused:UNUSED_PAD src0_sel:DWORD src1_sel:DWORD
	s_nop 0
	v_or_b32_sdwa v31, v30, v31 dst_sel:DWORD dst_unused:UNUSED_PAD src0_sel:BYTE_0 src1_sel:DWORD
	v_and_b32_e32 v31, 0xffff, v31
	v_bfe_u32 v30, v30, 16, 8
	v_lshl_or_b32 v31, v30, 16, v31
	v_perm_b32 v30, v1, v1, s2
.LBB230_344:
	s_waitcnt vmcnt(0) lgkmcnt(0)
	v_and_b32_e32 v1, 0xff, v30
	v_bfe_u32 v43, v30, 8, 8
	v_bfe_u32 v45, v30, 16, 8
	v_alignbit_b32 v32, v31, v30, 24
	v_and_b32_e32 v47, 0xff, v32
	v_and_b32_e32 v48, 0xff, v31
	v_add3_u32 v33, v43, v1, v45
	v_bfe_u32 v49, v31, 8, 8
	v_bfe_u32 v32, v31, 16, 8
	v_add3_u32 v33, v33, v47, v48
	v_add3_u32 v52, v33, v49, v32
	v_mbcnt_lo_u32_b32 v32, -1, 0
	v_mbcnt_hi_u32_b32 v50, -1, v32
	v_and_b32_e32 v32, 15, v50
	v_cmp_eq_u32_e64 s[14:15], 0, v32
	v_cmp_lt_u32_e64 s[12:13], 1, v32
	v_cmp_lt_u32_e64 s[10:11], 3, v32
	;; [unrolled: 1-line block ×3, first 2 shown]
	v_and_b32_e32 v32, 16, v50
	v_cmp_eq_u32_e64 s[6:7], 0, v32
	v_or_b32_e32 v32, 63, v0
	v_cmp_lt_u32_e64 s[2:3], 31, v50
	v_lshrrev_b32_e32 v51, 6, v0
	v_cmp_eq_u32_e64 s[4:5], v32, v0
	s_and_b64 vcc, exec, s[0:1]
	s_barrier
	s_cbranch_vccz .LBB230_371
; %bb.345:
	v_mov_b32_dpp v32, v52 row_shr:1 row_mask:0xf bank_mask:0xf
	v_cndmask_b32_e64 v32, v32, 0, s[14:15]
	v_add_u32_e32 v32, v32, v52
	s_nop 1
	v_mov_b32_dpp v33, v32 row_shr:2 row_mask:0xf bank_mask:0xf
	v_cndmask_b32_e64 v33, 0, v33, s[12:13]
	v_add_u32_e32 v32, v32, v33
	s_nop 1
	;; [unrolled: 4-line block ×4, first 2 shown]
	v_mov_b32_dpp v33, v32 row_bcast:15 row_mask:0xf bank_mask:0xf
	v_cndmask_b32_e64 v33, v33, 0, s[6:7]
	v_add_u32_e32 v32, v32, v33
	s_nop 1
	v_mov_b32_dpp v33, v32 row_bcast:31 row_mask:0xf bank_mask:0xf
	v_cndmask_b32_e64 v33, 0, v33, s[2:3]
	v_add_u32_e32 v32, v32, v33
	s_and_saveexec_b64 s[0:1], s[4:5]
	s_cbranch_execz .LBB230_347
; %bb.346:
	v_lshlrev_b32_e32 v33, 2, v51
	ds_write_b32 v33, v32
.LBB230_347:
	s_or_b64 exec, exec, s[0:1]
	v_cmp_gt_u32_e32 vcc, 8, v0
	s_waitcnt lgkmcnt(0)
	s_barrier
	s_and_saveexec_b64 s[0:1], vcc
	s_cbranch_execz .LBB230_349
; %bb.348:
	v_lshlrev_b32_e32 v33, 2, v0
	ds_read_b32 v34, v33
	v_and_b32_e32 v35, 7, v50
	v_cmp_ne_u32_e32 vcc, 0, v35
	s_waitcnt lgkmcnt(0)
	v_mov_b32_dpp v36, v34 row_shr:1 row_mask:0xf bank_mask:0xf
	v_cndmask_b32_e32 v36, 0, v36, vcc
	v_add_u32_e32 v34, v36, v34
	v_cmp_lt_u32_e32 vcc, 1, v35
	s_nop 0
	v_mov_b32_dpp v36, v34 row_shr:2 row_mask:0xf bank_mask:0xf
	v_cndmask_b32_e32 v36, 0, v36, vcc
	v_add_u32_e32 v34, v34, v36
	v_cmp_lt_u32_e32 vcc, 3, v35
	s_nop 0
	v_mov_b32_dpp v36, v34 row_shr:4 row_mask:0xf bank_mask:0xf
	v_cndmask_b32_e32 v35, 0, v36, vcc
	v_add_u32_e32 v34, v34, v35
	ds_write_b32 v33, v34
.LBB230_349:
	s_or_b64 exec, exec, s[0:1]
	v_cmp_gt_u32_e32 vcc, 64, v0
	v_cmp_lt_u32_e64 s[0:1], 63, v0
	s_waitcnt lgkmcnt(0)
	s_barrier
	s_waitcnt lgkmcnt(0)
                                        ; implicit-def: $vgpr42
	s_and_saveexec_b64 s[16:17], s[0:1]
	s_cbranch_execz .LBB230_351
; %bb.350:
	v_lshl_add_u32 v33, v51, 2, -4
	ds_read_b32 v42, v33
	s_waitcnt lgkmcnt(0)
	v_add_u32_e32 v32, v42, v32
.LBB230_351:
	s_or_b64 exec, exec, s[16:17]
	v_add_u32_e32 v33, -1, v50
	v_and_b32_e32 v34, 64, v50
	v_cmp_lt_i32_e64 s[0:1], v33, v34
	v_cmp_eq_u32_e64 s[16:17], 0, v50
	s_nop 0
	v_cndmask_b32_e64 v33, v33, v50, s[0:1]
	v_lshlrev_b32_e32 v33, 2, v33
	ds_bpermute_b32 v44, v33, v32
	s_and_saveexec_b64 s[0:1], vcc
	s_cbranch_execz .LBB230_370
; %bb.352:
	v_mov_b32_e32 v39, 0
	ds_read_b32 v32, v39 offset:28
	s_and_saveexec_b64 s[26:27], s[16:17]
	s_cbranch_execz .LBB230_354
; %bb.353:
	s_add_i32 s36, s33, 64
	s_mov_b32 s37, 0
	s_lshl_b64 s[36:37], s[36:37], 3
	s_add_u32 s36, s38, s36
	v_mov_b32_e32 v33, 1
	s_addc_u32 s37, s39, s37
	s_waitcnt lgkmcnt(0)
	global_store_dwordx2 v39, v[32:33], s[36:37] sc1
.LBB230_354:
	s_or_b64 exec, exec, s[26:27]
	v_xad_u32 v34, v50, -1, s33
	v_add_u32_e32 v38, 64, v34
	v_lshl_add_u64 v[40:41], v[38:39], 3, s[38:39]
	global_load_dwordx2 v[36:37], v[40:41], off sc1
	s_waitcnt vmcnt(0)
	v_cmp_eq_u16_sdwa s[36:37], v37, v39 src0_sel:BYTE_0 src1_sel:DWORD
	s_and_saveexec_b64 s[26:27], s[36:37]
	s_cbranch_execz .LBB230_358
; %bb.355:
	s_mov_b64 s[36:37], 0
	v_mov_b32_e32 v33, 0
.LBB230_356:                            ; =>This Inner Loop Header: Depth=1
	global_load_dwordx2 v[36:37], v[40:41], off sc1
	s_waitcnt vmcnt(0)
	v_cmp_ne_u16_sdwa s[40:41], v37, v33 src0_sel:BYTE_0 src1_sel:DWORD
	s_or_b64 s[36:37], s[40:41], s[36:37]
	s_andn2_b64 exec, exec, s[36:37]
	s_cbranch_execnz .LBB230_356
; %bb.357:
	s_or_b64 exec, exec, s[36:37]
.LBB230_358:
	s_or_b64 exec, exec, s[26:27]
	v_and_b32_e32 v46, 63, v50
	v_mov_b32_e32 v33, 2
	v_cmp_ne_u32_e32 vcc, 63, v46
	v_cmp_eq_u16_sdwa s[26:27], v37, v33 src0_sel:BYTE_0 src1_sel:DWORD
	v_lshlrev_b64 v[38:39], v50, -1
	v_addc_co_u32_e32 v41, vcc, 0, v50, vcc
	v_and_b32_e32 v35, s27, v39
	v_lshlrev_b32_e32 v53, 2, v41
	v_or_b32_e32 v35, 0x80000000, v35
	ds_bpermute_b32 v41, v53, v36
	v_and_b32_e32 v40, s26, v38
	v_ffbl_b32_e32 v35, v35
	v_add_u32_e32 v35, 32, v35
	v_ffbl_b32_e32 v40, v40
	v_min_u32_e32 v35, v40, v35
	v_cmp_lt_u32_e32 vcc, v46, v35
	v_add_u32_e32 v55, 2, v46
	v_add_u32_e32 v57, 4, v46
	s_waitcnt lgkmcnt(0)
	v_cndmask_b32_e32 v40, 0, v41, vcc
	v_cmp_gt_u32_e32 vcc, 62, v46
	v_add_u32_e32 v36, v40, v36
	v_add_u32_e32 v59, 8, v46
	v_cndmask_b32_e64 v40, 0, 1, vcc
	v_lshlrev_b32_e32 v40, 1, v40
	v_add_lshl_u32 v54, v40, v50, 2
	ds_bpermute_b32 v40, v54, v36
	v_cmp_le_u32_e32 vcc, v55, v35
	v_add_u32_e32 v62, 16, v46
	v_add_u32_e32 v64, 32, v46
	s_waitcnt lgkmcnt(0)
	v_cndmask_b32_e32 v40, 0, v40, vcc
	v_cmp_gt_u32_e32 vcc, 60, v46
	v_add_u32_e32 v36, v36, v40
	s_nop 0
	v_cndmask_b32_e64 v40, 0, 1, vcc
	v_lshlrev_b32_e32 v40, 2, v40
	v_add_lshl_u32 v56, v40, v50, 2
	ds_bpermute_b32 v40, v56, v36
	v_cmp_le_u32_e32 vcc, v57, v35
	s_waitcnt lgkmcnt(0)
	s_nop 0
	v_cndmask_b32_e32 v40, 0, v40, vcc
	v_cmp_gt_u32_e32 vcc, 56, v46
	v_add_u32_e32 v36, v36, v40
	s_nop 0
	v_cndmask_b32_e64 v40, 0, 1, vcc
	v_lshlrev_b32_e32 v40, 3, v40
	v_add_lshl_u32 v58, v40, v50, 2
	ds_bpermute_b32 v40, v58, v36
	v_cmp_le_u32_e32 vcc, v59, v35
	s_waitcnt lgkmcnt(0)
	s_nop 0
	v_cndmask_b32_e32 v40, 0, v40, vcc
	v_cmp_gt_u32_e32 vcc, 48, v46
	v_add_u32_e32 v36, v36, v40
	s_nop 0
	v_cndmask_b32_e64 v40, 0, 1, vcc
	v_lshlrev_b32_e32 v40, 4, v40
	v_add_lshl_u32 v61, v40, v50, 2
	ds_bpermute_b32 v40, v61, v36
	v_cmp_le_u32_e32 vcc, v62, v35
	s_waitcnt lgkmcnt(0)
	s_nop 0
	v_cndmask_b32_e32 v40, 0, v40, vcc
	v_cmp_gt_u32_e32 vcc, 32, v46
	v_add_u32_e32 v36, v36, v40
	s_nop 0
	v_cndmask_b32_e64 v40, 0, 1, vcc
	v_lshlrev_b32_e32 v40, 5, v40
	v_add_lshl_u32 v63, v40, v50, 2
	ds_bpermute_b32 v40, v63, v36
	v_cmp_le_u32_e32 vcc, v64, v35
	s_waitcnt lgkmcnt(0)
	s_nop 0
	v_cndmask_b32_e32 v35, 0, v40, vcc
	v_add_u32_e32 v36, v36, v35
	v_mov_b32_e32 v35, 0
	s_branch .LBB230_360
.LBB230_359:                            ;   in Loop: Header=BB230_360 Depth=1
	s_or_b64 exec, exec, s[26:27]
	v_cmp_eq_u16_sdwa s[26:27], v37, v33 src0_sel:BYTE_0 src1_sel:DWORD
	ds_bpermute_b32 v65, v53, v36
	v_subrev_u32_e32 v34, 64, v34
	v_and_b32_e32 v40, s27, v39
	v_or_b32_e32 v40, 0x80000000, v40
	v_and_b32_e32 v41, s26, v38
	v_ffbl_b32_e32 v40, v40
	v_add_u32_e32 v40, 32, v40
	v_ffbl_b32_e32 v41, v41
	v_min_u32_e32 v40, v41, v40
	v_cmp_lt_u32_e32 vcc, v46, v40
	s_waitcnt lgkmcnt(0)
	s_nop 0
	v_cndmask_b32_e32 v41, 0, v65, vcc
	v_add_u32_e32 v36, v41, v36
	ds_bpermute_b32 v41, v54, v36
	v_cmp_le_u32_e32 vcc, v55, v40
	s_waitcnt lgkmcnt(0)
	s_nop 0
	v_cndmask_b32_e32 v41, 0, v41, vcc
	v_add_u32_e32 v36, v36, v41
	ds_bpermute_b32 v41, v56, v36
	v_cmp_le_u32_e32 vcc, v57, v40
	;; [unrolled: 6-line block ×5, first 2 shown]
	s_waitcnt lgkmcnt(0)
	s_nop 0
	v_cndmask_b32_e32 v40, 0, v41, vcc
	v_add3_u32 v36, v40, v60, v36
.LBB230_360:                            ; =>This Loop Header: Depth=1
                                        ;     Child Loop BB230_363 Depth 2
	v_cmp_ne_u16_sdwa s[26:27], v37, v33 src0_sel:BYTE_0 src1_sel:DWORD
	v_mov_b32_e32 v60, v36
	s_nop 0
	v_cndmask_b32_e64 v37, 0, 1, s[26:27]
	;;#ASMSTART
	;;#ASMEND
	s_nop 0
	v_cmp_ne_u32_e32 vcc, 0, v37
	s_cmp_lg_u64 vcc, exec
	s_cbranch_scc1 .LBB230_365
; %bb.361:                              ;   in Loop: Header=BB230_360 Depth=1
	v_lshl_add_u64 v[40:41], v[34:35], 3, s[38:39]
	global_load_dwordx2 v[36:37], v[40:41], off sc1
	s_waitcnt vmcnt(0)
	v_cmp_eq_u16_sdwa s[36:37], v37, v35 src0_sel:BYTE_0 src1_sel:DWORD
	s_and_saveexec_b64 s[26:27], s[36:37]
	s_cbranch_execz .LBB230_359
; %bb.362:                              ;   in Loop: Header=BB230_360 Depth=1
	s_mov_b64 s[36:37], 0
.LBB230_363:                            ;   Parent Loop BB230_360 Depth=1
                                        ; =>  This Inner Loop Header: Depth=2
	global_load_dwordx2 v[36:37], v[40:41], off sc1
	s_waitcnt vmcnt(0)
	v_cmp_ne_u16_sdwa s[40:41], v37, v35 src0_sel:BYTE_0 src1_sel:DWORD
	s_or_b64 s[36:37], s[40:41], s[36:37]
	s_andn2_b64 exec, exec, s[36:37]
	s_cbranch_execnz .LBB230_363
; %bb.364:                              ;   in Loop: Header=BB230_360 Depth=1
	s_or_b64 exec, exec, s[36:37]
	s_branch .LBB230_359
.LBB230_365:                            ;   in Loop: Header=BB230_360 Depth=1
                                        ; implicit-def: $vgpr36
                                        ; implicit-def: $vgpr37
	s_cbranch_execz .LBB230_360
; %bb.366:
	s_and_saveexec_b64 s[26:27], s[16:17]
	s_cbranch_execz .LBB230_368
; %bb.367:
	s_add_i32 s36, s33, 64
	s_mov_b32 s37, 0
	s_lshl_b64 s[36:37], s[36:37], 3
	s_add_u32 s36, s38, s36
	v_add_u32_e32 v34, v60, v32
	v_mov_b32_e32 v35, 2
	s_addc_u32 s37, s39, s37
	v_mov_b32_e32 v33, 0
	s_movk_i32 s33, 0x7000
	global_store_dwordx2 v33, v[34:35], s[36:37] sc1
	v_add_u32_e64 v33, s33, 0
	ds_write2_b32 v33, v32, v60 offset1:2
.LBB230_368:
	s_or_b64 exec, exec, s[26:27]
	s_and_b64 exec, exec, s[18:19]
	s_cbranch_execz .LBB230_370
; %bb.369:
	v_mov_b32_e32 v32, 0
	ds_write_b32 v32, v60 offset:28
.LBB230_370:
	s_or_b64 exec, exec, s[0:1]
	v_mov_b32_e32 v32, 0
	s_waitcnt lgkmcnt(0)
	s_barrier
	ds_read_b32 v32, v32 offset:28
	v_cndmask_b32_e64 v33, v44, v42, s[16:17]
	v_cndmask_b32_e64 v33, v33, 0, s[18:19]
	s_movk_i32 s0, 0x7000
	s_waitcnt lgkmcnt(0)
	v_add_u32_e32 v46, v32, v33
	v_add_u32_e64 v32, s0, 0
	v_add_u32_e32 v44, v46, v1
	s_barrier
	ds_read2_b32 v[32:33], v32 offset1:2
	v_add_u32_e32 v42, v44, v43
	v_add_u32_e32 v40, v42, v45
	;; [unrolled: 1-line block ×5, first 2 shown]
	s_waitcnt lgkmcnt(0)
	v_readfirstlane_b32 s26, v32
	v_readfirstlane_b32 s16, v33
	v_lshrrev_b64 v[32:33], 24, v[30:31]
	s_branch .LBB230_381
.LBB230_371:
                                        ; implicit-def: $vgpr34
                                        ; implicit-def: $vgpr36
                                        ; implicit-def: $vgpr38
                                        ; implicit-def: $vgpr40
                                        ; implicit-def: $vgpr42
                                        ; implicit-def: $vgpr44
                                        ; implicit-def: $vgpr46
                                        ; implicit-def: $sgpr16
                                        ; implicit-def: $sgpr26
	v_lshrrev_b64 v[32:33], 24, v[30:31]
	s_cbranch_execz .LBB230_381
; %bb.372:
	s_nop 0
	v_mov_b32_dpp v33, v52 row_shr:1 row_mask:0xf bank_mask:0xf
	v_cndmask_b32_e64 v33, v33, 0, s[14:15]
	v_add_u32_e32 v33, v33, v52
	s_nop 1
	v_mov_b32_dpp v34, v33 row_shr:2 row_mask:0xf bank_mask:0xf
	v_cndmask_b32_e64 v34, 0, v34, s[12:13]
	v_add_u32_e32 v33, v33, v34
	;; [unrolled: 4-line block ×4, first 2 shown]
	s_nop 1
	v_mov_b32_dpp v34, v33 row_bcast:15 row_mask:0xf bank_mask:0xf
	v_cndmask_b32_e64 v34, v34, 0, s[6:7]
	v_add_u32_e32 v33, v33, v34
	s_nop 1
	v_mov_b32_dpp v34, v33 row_bcast:31 row_mask:0xf bank_mask:0xf
	v_cndmask_b32_e64 v34, 0, v34, s[2:3]
	v_add_u32_e32 v33, v33, v34
	s_and_saveexec_b64 s[0:1], s[4:5]
	s_cbranch_execz .LBB230_374
; %bb.373:
	v_lshlrev_b32_e32 v34, 2, v51
	ds_write_b32 v34, v33
.LBB230_374:
	s_or_b64 exec, exec, s[0:1]
	v_cmp_gt_u32_e32 vcc, 8, v0
	s_waitcnt lgkmcnt(0)
	s_barrier
	s_and_saveexec_b64 s[0:1], vcc
	s_cbranch_execz .LBB230_376
; %bb.375:
	v_lshlrev_b32_e32 v34, 2, v0
	ds_read_b32 v35, v34
	v_and_b32_e32 v36, 7, v50
	v_cmp_ne_u32_e32 vcc, 0, v36
	s_waitcnt lgkmcnt(0)
	v_mov_b32_dpp v37, v35 row_shr:1 row_mask:0xf bank_mask:0xf
	v_cndmask_b32_e32 v37, 0, v37, vcc
	v_add_u32_e32 v35, v37, v35
	v_cmp_lt_u32_e32 vcc, 1, v36
	s_nop 0
	v_mov_b32_dpp v37, v35 row_shr:2 row_mask:0xf bank_mask:0xf
	v_cndmask_b32_e32 v37, 0, v37, vcc
	v_add_u32_e32 v35, v35, v37
	v_cmp_lt_u32_e32 vcc, 3, v36
	s_nop 0
	v_mov_b32_dpp v37, v35 row_shr:4 row_mask:0xf bank_mask:0xf
	v_cndmask_b32_e32 v36, 0, v37, vcc
	v_add_u32_e32 v35, v35, v36
	ds_write_b32 v34, v35
.LBB230_376:
	s_or_b64 exec, exec, s[0:1]
	v_cmp_lt_u32_e32 vcc, 63, v0
	v_mov_b32_e32 v35, 0
	v_mov_b32_e32 v34, 0
	s_waitcnt lgkmcnt(0)
	s_barrier
	s_and_saveexec_b64 s[0:1], vcc
	s_cbranch_execz .LBB230_378
; %bb.377:
	v_lshl_add_u32 v34, v51, 2, -4
	ds_read_b32 v34, v34
.LBB230_378:
	s_or_b64 exec, exec, s[0:1]
	v_add_u32_e32 v36, -1, v50
	v_and_b32_e32 v37, 64, v50
	v_cmp_lt_i32_e32 vcc, v36, v37
	s_waitcnt lgkmcnt(0)
	v_add_u32_e32 v33, v34, v33
	ds_read_b32 v35, v35 offset:28
	v_cndmask_b32_e32 v36, v36, v50, vcc
	v_lshlrev_b32_e32 v36, 2, v36
	ds_bpermute_b32 v33, v36, v33
	s_waitcnt lgkmcnt(1)
	v_readfirstlane_b32 s26, v35
	s_and_saveexec_b64 s[0:1], s[18:19]
	s_cbranch_execz .LBB230_380
; %bb.379:
	v_mov_b32_e32 v35, 0
	v_mov_b32_e32 v36, s26
	;; [unrolled: 1-line block ×3, first 2 shown]
	global_store_dwordx2 v35, v[36:37], s[38:39] offset:512 sc1
.LBB230_380:
	s_or_b64 exec, exec, s[0:1]
	v_cmp_eq_u32_e32 vcc, 0, v50
	s_mov_b32 s16, 0
	s_waitcnt lgkmcnt(0)
	v_cndmask_b32_e32 v33, v33, v34, vcc
	v_cndmask_b32_e64 v46, v33, 0, s[18:19]
	v_add_u32_e32 v44, v46, v1
	v_add_u32_e32 v42, v44, v43
	;; [unrolled: 1-line block ×6, first 2 shown]
	s_barrier
.LBB230_381:
	s_cmpk_lt_u32 s26, 0x201
	s_cselect_b64 s[2:3], -1, 0
	v_lshrrev_b32_e32 v33, 8, v30
	v_lshrrev_b32_e32 v1, 8, v31
	s_mov_b64 s[0:1], -1
	s_and_b64 vcc, exec, s[2:3]
	s_cbranch_vccz .LBB230_404
; %bb.382:
	s_add_i32 s4, s16, s26
	v_cmp_gt_u32_e32 vcc, s4, v46
	s_or_b64 s[6:7], s[34:35], vcc
	s_and_saveexec_b64 s[0:1], s[6:7]
	s_cbranch_execz .LBB230_385
; %bb.383:
	v_and_b32_e32 v35, 1, v30
	v_cmp_eq_u32_e32 vcc, 1, v35
	s_and_b64 exec, exec, vcc
	s_cbranch_execz .LBB230_385
; %bb.384:
	s_lshl_b64 s[6:7], s[22:23], 3
	s_add_u32 s6, s28, s6
	s_addc_u32 s7, s29, s7
	v_mov_b32_e32 v47, 0
	v_lshl_add_u64 v[48:49], v[46:47], 3, s[6:7]
	global_store_dwordx2 v[48:49], v[22:23], off
.LBB230_385:
	s_or_b64 exec, exec, s[0:1]
	v_cmp_gt_u32_e32 vcc, s4, v44
	s_or_b64 s[6:7], s[34:35], vcc
	s_and_saveexec_b64 s[0:1], s[6:7]
	s_cbranch_execz .LBB230_388
; %bb.386:
	v_and_b32_e32 v35, 1, v33
	v_cmp_eq_u32_e32 vcc, 1, v35
	s_and_b64 exec, exec, vcc
	s_cbranch_execz .LBB230_388
; %bb.387:
	s_lshl_b64 s[6:7], s[22:23], 3
	s_add_u32 s6, s28, s6
	s_addc_u32 s7, s29, s7
	v_mov_b32_e32 v45, 0
	v_lshl_add_u64 v[48:49], v[44:45], 3, s[6:7]
	global_store_dwordx2 v[48:49], v[24:25], off
.LBB230_388:
	s_or_b64 exec, exec, s[0:1]
	v_cmp_gt_u32_e32 vcc, s4, v42
	s_or_b64 s[6:7], s[34:35], vcc
	s_and_saveexec_b64 s[0:1], s[6:7]
	s_cbranch_execz .LBB230_391
; %bb.389:
	v_mov_b32_e32 v35, 1
	v_and_b32_sdwa v35, v35, v30 dst_sel:DWORD dst_unused:UNUSED_PAD src0_sel:DWORD src1_sel:WORD_1
	v_cmp_eq_u32_e32 vcc, 1, v35
	s_and_b64 exec, exec, vcc
	s_cbranch_execz .LBB230_391
; %bb.390:
	s_lshl_b64 s[6:7], s[22:23], 3
	s_add_u32 s6, s28, s6
	s_addc_u32 s7, s29, s7
	v_mov_b32_e32 v43, 0
	v_lshl_add_u64 v[48:49], v[42:43], 3, s[6:7]
	global_store_dwordx2 v[48:49], v[18:19], off
.LBB230_391:
	s_or_b64 exec, exec, s[0:1]
	v_cmp_gt_u32_e32 vcc, s4, v40
	s_or_b64 s[6:7], s[34:35], vcc
	s_and_saveexec_b64 s[0:1], s[6:7]
	s_cbranch_execz .LBB230_394
; %bb.392:
	v_and_b32_e32 v35, 1, v32
	v_cmp_eq_u32_e32 vcc, 1, v35
	s_and_b64 exec, exec, vcc
	s_cbranch_execz .LBB230_394
; %bb.393:
	s_lshl_b64 s[6:7], s[22:23], 3
	s_add_u32 s6, s28, s6
	s_addc_u32 s7, s29, s7
	v_mov_b32_e32 v41, 0
	v_lshl_add_u64 v[48:49], v[40:41], 3, s[6:7]
	global_store_dwordx2 v[48:49], v[20:21], off
.LBB230_394:
	s_or_b64 exec, exec, s[0:1]
	v_cmp_gt_u32_e32 vcc, s4, v38
	s_or_b64 s[6:7], s[34:35], vcc
	s_and_saveexec_b64 s[0:1], s[6:7]
	s_cbranch_execz .LBB230_397
; %bb.395:
	v_and_b32_e32 v35, 1, v31
	v_cmp_eq_u32_e32 vcc, 1, v35
	s_and_b64 exec, exec, vcc
	s_cbranch_execz .LBB230_397
; %bb.396:
	s_lshl_b64 s[6:7], s[22:23], 3
	s_add_u32 s6, s28, s6
	s_addc_u32 s7, s29, s7
	v_mov_b32_e32 v39, 0
	v_lshl_add_u64 v[48:49], v[38:39], 3, s[6:7]
	global_store_dwordx2 v[48:49], v[14:15], off
.LBB230_397:
	;; [unrolled: 18-line block ×3, first 2 shown]
	s_or_b64 exec, exec, s[0:1]
	v_cmp_gt_u32_e32 vcc, s4, v34
	s_or_b64 s[4:5], s[34:35], vcc
	s_and_saveexec_b64 s[0:1], s[4:5]
	s_cbranch_execz .LBB230_403
; %bb.401:
	v_mov_b32_e32 v35, 1
	v_and_b32_sdwa v35, v35, v31 dst_sel:DWORD dst_unused:UNUSED_PAD src0_sel:DWORD src1_sel:WORD_1
	v_cmp_eq_u32_e32 vcc, 1, v35
	s_and_b64 exec, exec, vcc
	s_cbranch_execz .LBB230_403
; %bb.402:
	s_lshl_b64 s[4:5], s[22:23], 3
	s_add_u32 s4, s28, s4
	s_addc_u32 s5, s29, s5
	v_mov_b32_e32 v35, 0
	v_lshl_add_u64 v[48:49], v[34:35], 3, s[4:5]
	global_store_dwordx2 v[48:49], v[28:29], off
.LBB230_403:
	s_or_b64 exec, exec, s[0:1]
	s_mov_b64 s[0:1], 0
.LBB230_404:
	v_and_b32_e32 v48, 1, v30
	s_and_b64 vcc, exec, s[0:1]
	v_cmp_eq_u32_e64 s[0:1], 1, v48
	s_cbranch_vccz .LBB230_423
; %bb.405:
	s_and_saveexec_b64 s[4:5], s[0:1]
	s_cbranch_execz .LBB230_407
; %bb.406:
	v_subrev_u32_e32 v35, s16, v46
	v_lshlrev_b32_e32 v35, 3, v35
	ds_write_b64 v35, v[22:23]
.LBB230_407:
	s_or_b64 exec, exec, s[4:5]
	v_and_b32_e32 v22, 1, v33
	v_cmp_eq_u32_e32 vcc, 1, v22
	s_and_saveexec_b64 s[0:1], vcc
	s_cbranch_execz .LBB230_409
; %bb.408:
	v_subrev_u32_e32 v22, s16, v44
	v_lshlrev_b32_e32 v22, 3, v22
	ds_write_b64 v22, v[24:25]
.LBB230_409:
	s_or_b64 exec, exec, s[0:1]
	v_mov_b32_e32 v22, 1
	v_and_b32_sdwa v22, v22, v30 dst_sel:DWORD dst_unused:UNUSED_PAD src0_sel:DWORD src1_sel:WORD_1
	v_cmp_eq_u32_e32 vcc, 1, v22
	s_and_saveexec_b64 s[0:1], vcc
	s_cbranch_execz .LBB230_411
; %bb.410:
	v_subrev_u32_e32 v22, s16, v42
	v_lshlrev_b32_e32 v22, 3, v22
	ds_write_b64 v22, v[18:19]
.LBB230_411:
	s_or_b64 exec, exec, s[0:1]
	v_and_b32_e32 v18, 1, v32
	v_cmp_eq_u32_e32 vcc, 1, v18
	s_and_saveexec_b64 s[0:1], vcc
	s_cbranch_execz .LBB230_413
; %bb.412:
	v_subrev_u32_e32 v18, s16, v40
	v_lshlrev_b32_e32 v18, 3, v18
	ds_write_b64 v18, v[20:21]
.LBB230_413:
	s_or_b64 exec, exec, s[0:1]
	v_and_b32_e32 v18, 1, v31
	;; [unrolled: 10-line block ×3, first 2 shown]
	v_cmp_eq_u32_e32 vcc, 1, v14
	s_and_saveexec_b64 s[0:1], vcc
	s_cbranch_execz .LBB230_417
; %bb.416:
	v_subrev_u32_e32 v14, s16, v36
	v_lshlrev_b32_e32 v14, 3, v14
	ds_write_b64 v14, v[16:17]
.LBB230_417:
	s_or_b64 exec, exec, s[0:1]
	v_mov_b32_e32 v14, 1
	v_and_b32_sdwa v14, v14, v31 dst_sel:DWORD dst_unused:UNUSED_PAD src0_sel:DWORD src1_sel:WORD_1
	v_cmp_eq_u32_e32 vcc, 1, v14
	s_and_saveexec_b64 s[0:1], vcc
	s_cbranch_execz .LBB230_419
; %bb.418:
	v_subrev_u32_e32 v14, s16, v34
	v_lshlrev_b32_e32 v14, 3, v14
	ds_write_b64 v14, v[28:29]
.LBB230_419:
	s_or_b64 exec, exec, s[0:1]
	v_cmp_gt_u32_e32 vcc, s26, v0
	s_waitcnt lgkmcnt(0)
	s_barrier
	s_and_saveexec_b64 s[0:1], vcc
	s_cbranch_execz .LBB230_422
; %bb.420:
	s_mov_b32 s17, 0
	s_lshl_b64 s[4:5], s[22:23], 3
	s_lshl_b64 s[6:7], s[16:17], 3
	s_add_u32 s4, s4, s6
	s_addc_u32 s5, s5, s7
	s_add_u32 s4, s28, s4
	v_lshlrev_b32_e32 v14, 3, v0
	v_mov_b32_e32 v15, 0
	s_addc_u32 s5, s29, s5
	v_lshl_add_u64 v[16:17], s[4:5], 0, v[14:15]
	s_mov_b64 s[4:5], 0
	s_mov_b64 s[6:7], 0x1000
	v_mov_b32_e32 v15, v0
.LBB230_421:                            ; =>This Inner Loop Header: Depth=1
	ds_read_b64 v[18:19], v14
	v_add_u32_e32 v15, 0x200, v15
	v_cmp_le_u32_e32 vcc, s26, v15
	v_add_u32_e32 v14, 0x1000, v14
	s_or_b64 s[4:5], vcc, s[4:5]
	s_waitcnt lgkmcnt(0)
	global_store_dwordx2 v[16:17], v[18:19], off
	v_lshl_add_u64 v[16:17], v[16:17], 0, s[6:7]
	s_andn2_b64 exec, exec, s[4:5]
	s_cbranch_execnz .LBB230_421
.LBB230_422:
	s_or_b64 exec, exec, s[0:1]
.LBB230_423:
	s_mov_b64 s[0:1], -1
	s_and_b64 vcc, exec, s[2:3]
	s_barrier
	s_cbranch_vccnz .LBB230_427
; %bb.424:
	s_and_b64 vcc, exec, s[0:1]
	s_cbranch_vccnz .LBB230_449
.LBB230_425:
	s_and_b64 s[0:1], s[18:19], s[24:25]
	s_and_saveexec_b64 s[2:3], s[0:1]
	s_cbranch_execnz .LBB230_467
.LBB230_426:
	s_endpgm
.LBB230_427:
	s_add_i32 s2, s16, s26
	v_cmp_gt_u32_e32 vcc, s2, v46
	s_or_b64 s[4:5], s[34:35], vcc
	s_and_saveexec_b64 s[0:1], s[4:5]
	s_cbranch_execz .LBB230_430
; %bb.428:
	v_cmp_eq_u32_e32 vcc, 1, v48
	s_and_b64 exec, exec, vcc
	s_cbranch_execz .LBB230_430
; %bb.429:
	s_lshl_b64 s[4:5], s[22:23], 3
	s_add_u32 s4, s30, s4
	s_addc_u32 s5, s31, s5
	v_mov_b32_e32 v47, 0
	v_lshl_add_u64 v[14:15], v[46:47], 3, s[4:5]
	global_store_dwordx2 v[14:15], v[10:11], off
.LBB230_430:
	s_or_b64 exec, exec, s[0:1]
	v_cmp_gt_u32_e32 vcc, s2, v44
	s_or_b64 s[4:5], s[34:35], vcc
	s_and_saveexec_b64 s[0:1], s[4:5]
	s_cbranch_execz .LBB230_433
; %bb.431:
	v_and_b32_e32 v14, 1, v33
	v_cmp_eq_u32_e32 vcc, 1, v14
	s_and_b64 exec, exec, vcc
	s_cbranch_execz .LBB230_433
; %bb.432:
	s_lshl_b64 s[4:5], s[22:23], 3
	s_add_u32 s4, s30, s4
	s_addc_u32 s5, s31, s5
	v_mov_b32_e32 v45, 0
	v_lshl_add_u64 v[14:15], v[44:45], 3, s[4:5]
	global_store_dwordx2 v[14:15], v[12:13], off
.LBB230_433:
	s_or_b64 exec, exec, s[0:1]
	v_cmp_gt_u32_e32 vcc, s2, v42
	s_or_b64 s[4:5], s[34:35], vcc
	s_and_saveexec_b64 s[0:1], s[4:5]
	s_cbranch_execz .LBB230_436
; %bb.434:
	v_mov_b32_e32 v14, 1
	v_and_b32_sdwa v14, v14, v30 dst_sel:DWORD dst_unused:UNUSED_PAD src0_sel:DWORD src1_sel:WORD_1
	v_cmp_eq_u32_e32 vcc, 1, v14
	s_and_b64 exec, exec, vcc
	s_cbranch_execz .LBB230_436
; %bb.435:
	s_lshl_b64 s[4:5], s[22:23], 3
	s_add_u32 s4, s30, s4
	s_addc_u32 s5, s31, s5
	v_mov_b32_e32 v43, 0
	v_lshl_add_u64 v[14:15], v[42:43], 3, s[4:5]
	global_store_dwordx2 v[14:15], v[6:7], off
.LBB230_436:
	s_or_b64 exec, exec, s[0:1]
	v_cmp_gt_u32_e32 vcc, s2, v40
	s_or_b64 s[4:5], s[34:35], vcc
	s_and_saveexec_b64 s[0:1], s[4:5]
	s_cbranch_execz .LBB230_439
; %bb.437:
	v_and_b32_e32 v14, 1, v32
	v_cmp_eq_u32_e32 vcc, 1, v14
	s_and_b64 exec, exec, vcc
	s_cbranch_execz .LBB230_439
; %bb.438:
	s_lshl_b64 s[4:5], s[22:23], 3
	s_add_u32 s4, s30, s4
	s_addc_u32 s5, s31, s5
	v_mov_b32_e32 v41, 0
	v_lshl_add_u64 v[14:15], v[40:41], 3, s[4:5]
	global_store_dwordx2 v[14:15], v[8:9], off
.LBB230_439:
	s_or_b64 exec, exec, s[0:1]
	v_cmp_gt_u32_e32 vcc, s2, v38
	s_or_b64 s[4:5], s[34:35], vcc
	s_and_saveexec_b64 s[0:1], s[4:5]
	s_cbranch_execz .LBB230_442
; %bb.440:
	v_and_b32_e32 v14, 1, v31
	v_cmp_eq_u32_e32 vcc, 1, v14
	s_and_b64 exec, exec, vcc
	s_cbranch_execz .LBB230_442
; %bb.441:
	s_lshl_b64 s[4:5], s[22:23], 3
	s_add_u32 s4, s30, s4
	s_addc_u32 s5, s31, s5
	v_mov_b32_e32 v39, 0
	v_lshl_add_u64 v[14:15], v[38:39], 3, s[4:5]
	global_store_dwordx2 v[14:15], v[2:3], off
.LBB230_442:
	;; [unrolled: 18-line block ×3, first 2 shown]
	s_or_b64 exec, exec, s[0:1]
	v_cmp_gt_u32_e32 vcc, s2, v34
	s_or_b64 s[2:3], s[34:35], vcc
	s_and_saveexec_b64 s[0:1], s[2:3]
	s_cbranch_execz .LBB230_448
; %bb.446:
	v_mov_b32_e32 v14, 1
	v_and_b32_sdwa v14, v14, v31 dst_sel:DWORD dst_unused:UNUSED_PAD src0_sel:DWORD src1_sel:WORD_1
	v_cmp_eq_u32_e32 vcc, 1, v14
	s_and_b64 exec, exec, vcc
	s_cbranch_execz .LBB230_448
; %bb.447:
	s_lshl_b64 s[2:3], s[22:23], 3
	s_add_u32 s2, s30, s2
	s_addc_u32 s3, s31, s3
	v_mov_b32_e32 v35, 0
	v_lshl_add_u64 v[14:15], v[34:35], 3, s[2:3]
	global_store_dwordx2 v[14:15], v[26:27], off
.LBB230_448:
	s_or_b64 exec, exec, s[0:1]
	s_branch .LBB230_425
.LBB230_449:
	v_cmp_eq_u32_e32 vcc, 1, v48
	s_and_saveexec_b64 s[0:1], vcc
	s_cbranch_execz .LBB230_451
; %bb.450:
	v_subrev_u32_e32 v14, s16, v46
	v_lshlrev_b32_e32 v14, 3, v14
	ds_write_b64 v14, v[10:11]
.LBB230_451:
	s_or_b64 exec, exec, s[0:1]
	v_and_b32_e32 v10, 1, v33
	v_cmp_eq_u32_e32 vcc, 1, v10
	s_and_saveexec_b64 s[0:1], vcc
	s_cbranch_execz .LBB230_453
; %bb.452:
	v_subrev_u32_e32 v10, s16, v44
	v_lshlrev_b32_e32 v10, 3, v10
	ds_write_b64 v10, v[12:13]
.LBB230_453:
	s_or_b64 exec, exec, s[0:1]
	v_mov_b32_e32 v10, 1
	v_and_b32_sdwa v10, v10, v30 dst_sel:DWORD dst_unused:UNUSED_PAD src0_sel:DWORD src1_sel:WORD_1
	v_cmp_eq_u32_e32 vcc, 1, v10
	s_and_saveexec_b64 s[0:1], vcc
	s_cbranch_execz .LBB230_455
; %bb.454:
	v_subrev_u32_e32 v10, s16, v42
	v_lshlrev_b32_e32 v10, 3, v10
	ds_write_b64 v10, v[6:7]
.LBB230_455:
	s_or_b64 exec, exec, s[0:1]
	v_and_b32_e32 v6, 1, v32
	v_cmp_eq_u32_e32 vcc, 1, v6
	s_and_saveexec_b64 s[0:1], vcc
	s_cbranch_execz .LBB230_457
; %bb.456:
	v_subrev_u32_e32 v6, s16, v40
	v_lshlrev_b32_e32 v6, 3, v6
	ds_write_b64 v6, v[8:9]
.LBB230_457:
	s_or_b64 exec, exec, s[0:1]
	v_and_b32_e32 v6, 1, v31
	;; [unrolled: 10-line block ×3, first 2 shown]
	v_cmp_eq_u32_e32 vcc, 1, v1
	s_and_saveexec_b64 s[0:1], vcc
	s_cbranch_execz .LBB230_461
; %bb.460:
	v_subrev_u32_e32 v1, s16, v36
	v_lshlrev_b32_e32 v1, 3, v1
	ds_write_b64 v1, v[4:5]
.LBB230_461:
	s_or_b64 exec, exec, s[0:1]
	v_mov_b32_e32 v1, 1
	v_and_b32_sdwa v1, v1, v31 dst_sel:DWORD dst_unused:UNUSED_PAD src0_sel:DWORD src1_sel:WORD_1
	v_cmp_eq_u32_e32 vcc, 1, v1
	s_and_saveexec_b64 s[0:1], vcc
	s_cbranch_execz .LBB230_463
; %bb.462:
	v_subrev_u32_e32 v1, s16, v34
	v_lshlrev_b32_e32 v1, 3, v1
	ds_write_b64 v1, v[26:27]
.LBB230_463:
	s_or_b64 exec, exec, s[0:1]
	v_cmp_gt_u32_e32 vcc, s26, v0
	s_waitcnt lgkmcnt(0)
	s_barrier
	s_and_saveexec_b64 s[0:1], vcc
	s_cbranch_execz .LBB230_466
; %bb.464:
	s_mov_b32 s17, 0
	s_lshl_b64 s[2:3], s[22:23], 3
	s_lshl_b64 s[4:5], s[16:17], 3
	s_add_u32 s2, s2, s4
	s_addc_u32 s3, s3, s5
	s_add_u32 s2, s30, s2
	v_lshlrev_b32_e32 v2, 3, v0
	v_mov_b32_e32 v3, 0
	s_addc_u32 s3, s31, s3
	v_lshl_add_u64 v[4:5], s[2:3], 0, v[2:3]
	s_mov_b64 s[2:3], 0
	s_mov_b64 s[4:5], 0x1000
.LBB230_465:                            ; =>This Inner Loop Header: Depth=1
	ds_read_b64 v[6:7], v2
	v_add_u32_e32 v0, 0x200, v0
	v_cmp_le_u32_e32 vcc, s26, v0
	v_add_u32_e32 v2, 0x1000, v2
	s_or_b64 s[2:3], vcc, s[2:3]
	s_waitcnt lgkmcnt(0)
	global_store_dwordx2 v[4:5], v[6:7], off
	v_lshl_add_u64 v[4:5], v[4:5], 0, s[4:5]
	s_andn2_b64 exec, exec, s[2:3]
	s_cbranch_execnz .LBB230_465
.LBB230_466:
	s_or_b64 exec, exec, s[0:1]
	s_and_b64 s[0:1], s[18:19], s[24:25]
	s_and_saveexec_b64 s[2:3], s[0:1]
	s_cbranch_execz .LBB230_426
.LBB230_467:
	s_add_u32 s0, s22, s26
	s_addc_u32 s1, s23, 0
	s_add_u32 s0, s0, s16
	s_addc_u32 s1, s1, 0
	v_mov_b32_e32 v2, 0
	v_mov_b64_e32 v[0:1], s[0:1]
	global_store_dwordx2 v2, v[0:1], s[20:21]
	s_endpgm
	.section	.rodata,"a",@progbits
	.p2align	6, 0x0
	.amdhsa_kernel _ZN7rocprim17ROCPRIM_400000_NS6detail17trampoline_kernelINS0_14default_configENS1_25partition_config_selectorILNS1_17partition_subalgoE9EllbEEZZNS1_14partition_implILS5_9ELb0ES3_jPlS8_PNS0_10empty_typeENS0_5tupleIJS8_S9_EEENSB_IJS8_SA_EEENS0_18inequality_wrapperIZN2at6native12_GLOBAL__N_124unique_dim_cuda_templateIhEESt5tupleIJNSF_6TensorESK_SK_EERKSK_lbbbEUlllE0_EEPmJS9_EEE10hipError_tPvRmT3_T4_T5_T6_T7_T9_mT8_P12ihipStream_tbDpT10_ENKUlT_T0_E_clISt17integral_constantIbLb0EES19_IbLb1EEEEDaS15_S16_EUlS15_E_NS1_11comp_targetILNS1_3genE5ELNS1_11target_archE942ELNS1_3gpuE9ELNS1_3repE0EEENS1_30default_config_static_selectorELNS0_4arch9wavefront6targetE1EEEvT1_
		.amdhsa_group_segment_fixed_size 28684
		.amdhsa_private_segment_fixed_size 0
		.amdhsa_kernarg_size 136
		.amdhsa_user_sgpr_count 2
		.amdhsa_user_sgpr_dispatch_ptr 0
		.amdhsa_user_sgpr_queue_ptr 0
		.amdhsa_user_sgpr_kernarg_segment_ptr 1
		.amdhsa_user_sgpr_dispatch_id 0
		.amdhsa_user_sgpr_kernarg_preload_length 0
		.amdhsa_user_sgpr_kernarg_preload_offset 0
		.amdhsa_user_sgpr_private_segment_size 0
		.amdhsa_uses_dynamic_stack 0
		.amdhsa_enable_private_segment 0
		.amdhsa_system_sgpr_workgroup_id_x 1
		.amdhsa_system_sgpr_workgroup_id_y 0
		.amdhsa_system_sgpr_workgroup_id_z 0
		.amdhsa_system_sgpr_workgroup_info 0
		.amdhsa_system_vgpr_workitem_id 0
		.amdhsa_next_free_vgpr 66
		.amdhsa_next_free_sgpr 58
		.amdhsa_accum_offset 68
		.amdhsa_reserve_vcc 1
		.amdhsa_float_round_mode_32 0
		.amdhsa_float_round_mode_16_64 0
		.amdhsa_float_denorm_mode_32 3
		.amdhsa_float_denorm_mode_16_64 3
		.amdhsa_dx10_clamp 1
		.amdhsa_ieee_mode 1
		.amdhsa_fp16_overflow 0
		.amdhsa_tg_split 0
		.amdhsa_exception_fp_ieee_invalid_op 0
		.amdhsa_exception_fp_denorm_src 0
		.amdhsa_exception_fp_ieee_div_zero 0
		.amdhsa_exception_fp_ieee_overflow 0
		.amdhsa_exception_fp_ieee_underflow 0
		.amdhsa_exception_fp_ieee_inexact 0
		.amdhsa_exception_int_div_zero 0
	.end_amdhsa_kernel
	.section	.text._ZN7rocprim17ROCPRIM_400000_NS6detail17trampoline_kernelINS0_14default_configENS1_25partition_config_selectorILNS1_17partition_subalgoE9EllbEEZZNS1_14partition_implILS5_9ELb0ES3_jPlS8_PNS0_10empty_typeENS0_5tupleIJS8_S9_EEENSB_IJS8_SA_EEENS0_18inequality_wrapperIZN2at6native12_GLOBAL__N_124unique_dim_cuda_templateIhEESt5tupleIJNSF_6TensorESK_SK_EERKSK_lbbbEUlllE0_EEPmJS9_EEE10hipError_tPvRmT3_T4_T5_T6_T7_T9_mT8_P12ihipStream_tbDpT10_ENKUlT_T0_E_clISt17integral_constantIbLb0EES19_IbLb1EEEEDaS15_S16_EUlS15_E_NS1_11comp_targetILNS1_3genE5ELNS1_11target_archE942ELNS1_3gpuE9ELNS1_3repE0EEENS1_30default_config_static_selectorELNS0_4arch9wavefront6targetE1EEEvT1_,"axG",@progbits,_ZN7rocprim17ROCPRIM_400000_NS6detail17trampoline_kernelINS0_14default_configENS1_25partition_config_selectorILNS1_17partition_subalgoE9EllbEEZZNS1_14partition_implILS5_9ELb0ES3_jPlS8_PNS0_10empty_typeENS0_5tupleIJS8_S9_EEENSB_IJS8_SA_EEENS0_18inequality_wrapperIZN2at6native12_GLOBAL__N_124unique_dim_cuda_templateIhEESt5tupleIJNSF_6TensorESK_SK_EERKSK_lbbbEUlllE0_EEPmJS9_EEE10hipError_tPvRmT3_T4_T5_T6_T7_T9_mT8_P12ihipStream_tbDpT10_ENKUlT_T0_E_clISt17integral_constantIbLb0EES19_IbLb1EEEEDaS15_S16_EUlS15_E_NS1_11comp_targetILNS1_3genE5ELNS1_11target_archE942ELNS1_3gpuE9ELNS1_3repE0EEENS1_30default_config_static_selectorELNS0_4arch9wavefront6targetE1EEEvT1_,comdat
.Lfunc_end230:
	.size	_ZN7rocprim17ROCPRIM_400000_NS6detail17trampoline_kernelINS0_14default_configENS1_25partition_config_selectorILNS1_17partition_subalgoE9EllbEEZZNS1_14partition_implILS5_9ELb0ES3_jPlS8_PNS0_10empty_typeENS0_5tupleIJS8_S9_EEENSB_IJS8_SA_EEENS0_18inequality_wrapperIZN2at6native12_GLOBAL__N_124unique_dim_cuda_templateIhEESt5tupleIJNSF_6TensorESK_SK_EERKSK_lbbbEUlllE0_EEPmJS9_EEE10hipError_tPvRmT3_T4_T5_T6_T7_T9_mT8_P12ihipStream_tbDpT10_ENKUlT_T0_E_clISt17integral_constantIbLb0EES19_IbLb1EEEEDaS15_S16_EUlS15_E_NS1_11comp_targetILNS1_3genE5ELNS1_11target_archE942ELNS1_3gpuE9ELNS1_3repE0EEENS1_30default_config_static_selectorELNS0_4arch9wavefront6targetE1EEEvT1_, .Lfunc_end230-_ZN7rocprim17ROCPRIM_400000_NS6detail17trampoline_kernelINS0_14default_configENS1_25partition_config_selectorILNS1_17partition_subalgoE9EllbEEZZNS1_14partition_implILS5_9ELb0ES3_jPlS8_PNS0_10empty_typeENS0_5tupleIJS8_S9_EEENSB_IJS8_SA_EEENS0_18inequality_wrapperIZN2at6native12_GLOBAL__N_124unique_dim_cuda_templateIhEESt5tupleIJNSF_6TensorESK_SK_EERKSK_lbbbEUlllE0_EEPmJS9_EEE10hipError_tPvRmT3_T4_T5_T6_T7_T9_mT8_P12ihipStream_tbDpT10_ENKUlT_T0_E_clISt17integral_constantIbLb0EES19_IbLb1EEEEDaS15_S16_EUlS15_E_NS1_11comp_targetILNS1_3genE5ELNS1_11target_archE942ELNS1_3gpuE9ELNS1_3repE0EEENS1_30default_config_static_selectorELNS0_4arch9wavefront6targetE1EEEvT1_
                                        ; -- End function
	.section	.AMDGPU.csdata,"",@progbits
; Kernel info:
; codeLenInByte = 13788
; NumSgprs: 64
; NumVgprs: 66
; NumAgprs: 0
; TotalNumVgprs: 66
; ScratchSize: 0
; MemoryBound: 0
; FloatMode: 240
; IeeeMode: 1
; LDSByteSize: 28684 bytes/workgroup (compile time only)
; SGPRBlocks: 7
; VGPRBlocks: 8
; NumSGPRsForWavesPerEU: 64
; NumVGPRsForWavesPerEU: 66
; AccumOffset: 68
; Occupancy: 4
; WaveLimiterHint : 1
; COMPUTE_PGM_RSRC2:SCRATCH_EN: 0
; COMPUTE_PGM_RSRC2:USER_SGPR: 2
; COMPUTE_PGM_RSRC2:TRAP_HANDLER: 0
; COMPUTE_PGM_RSRC2:TGID_X_EN: 1
; COMPUTE_PGM_RSRC2:TGID_Y_EN: 0
; COMPUTE_PGM_RSRC2:TGID_Z_EN: 0
; COMPUTE_PGM_RSRC2:TIDIG_COMP_CNT: 0
; COMPUTE_PGM_RSRC3_GFX90A:ACCUM_OFFSET: 16
; COMPUTE_PGM_RSRC3_GFX90A:TG_SPLIT: 0
	.section	.text._ZN7rocprim17ROCPRIM_400000_NS6detail17trampoline_kernelINS0_14default_configENS1_25partition_config_selectorILNS1_17partition_subalgoE9EllbEEZZNS1_14partition_implILS5_9ELb0ES3_jPlS8_PNS0_10empty_typeENS0_5tupleIJS8_S9_EEENSB_IJS8_SA_EEENS0_18inequality_wrapperIZN2at6native12_GLOBAL__N_124unique_dim_cuda_templateIhEESt5tupleIJNSF_6TensorESK_SK_EERKSK_lbbbEUlllE0_EEPmJS9_EEE10hipError_tPvRmT3_T4_T5_T6_T7_T9_mT8_P12ihipStream_tbDpT10_ENKUlT_T0_E_clISt17integral_constantIbLb0EES19_IbLb1EEEEDaS15_S16_EUlS15_E_NS1_11comp_targetILNS1_3genE4ELNS1_11target_archE910ELNS1_3gpuE8ELNS1_3repE0EEENS1_30default_config_static_selectorELNS0_4arch9wavefront6targetE1EEEvT1_,"axG",@progbits,_ZN7rocprim17ROCPRIM_400000_NS6detail17trampoline_kernelINS0_14default_configENS1_25partition_config_selectorILNS1_17partition_subalgoE9EllbEEZZNS1_14partition_implILS5_9ELb0ES3_jPlS8_PNS0_10empty_typeENS0_5tupleIJS8_S9_EEENSB_IJS8_SA_EEENS0_18inequality_wrapperIZN2at6native12_GLOBAL__N_124unique_dim_cuda_templateIhEESt5tupleIJNSF_6TensorESK_SK_EERKSK_lbbbEUlllE0_EEPmJS9_EEE10hipError_tPvRmT3_T4_T5_T6_T7_T9_mT8_P12ihipStream_tbDpT10_ENKUlT_T0_E_clISt17integral_constantIbLb0EES19_IbLb1EEEEDaS15_S16_EUlS15_E_NS1_11comp_targetILNS1_3genE4ELNS1_11target_archE910ELNS1_3gpuE8ELNS1_3repE0EEENS1_30default_config_static_selectorELNS0_4arch9wavefront6targetE1EEEvT1_,comdat
	.globl	_ZN7rocprim17ROCPRIM_400000_NS6detail17trampoline_kernelINS0_14default_configENS1_25partition_config_selectorILNS1_17partition_subalgoE9EllbEEZZNS1_14partition_implILS5_9ELb0ES3_jPlS8_PNS0_10empty_typeENS0_5tupleIJS8_S9_EEENSB_IJS8_SA_EEENS0_18inequality_wrapperIZN2at6native12_GLOBAL__N_124unique_dim_cuda_templateIhEESt5tupleIJNSF_6TensorESK_SK_EERKSK_lbbbEUlllE0_EEPmJS9_EEE10hipError_tPvRmT3_T4_T5_T6_T7_T9_mT8_P12ihipStream_tbDpT10_ENKUlT_T0_E_clISt17integral_constantIbLb0EES19_IbLb1EEEEDaS15_S16_EUlS15_E_NS1_11comp_targetILNS1_3genE4ELNS1_11target_archE910ELNS1_3gpuE8ELNS1_3repE0EEENS1_30default_config_static_selectorELNS0_4arch9wavefront6targetE1EEEvT1_ ; -- Begin function _ZN7rocprim17ROCPRIM_400000_NS6detail17trampoline_kernelINS0_14default_configENS1_25partition_config_selectorILNS1_17partition_subalgoE9EllbEEZZNS1_14partition_implILS5_9ELb0ES3_jPlS8_PNS0_10empty_typeENS0_5tupleIJS8_S9_EEENSB_IJS8_SA_EEENS0_18inequality_wrapperIZN2at6native12_GLOBAL__N_124unique_dim_cuda_templateIhEESt5tupleIJNSF_6TensorESK_SK_EERKSK_lbbbEUlllE0_EEPmJS9_EEE10hipError_tPvRmT3_T4_T5_T6_T7_T9_mT8_P12ihipStream_tbDpT10_ENKUlT_T0_E_clISt17integral_constantIbLb0EES19_IbLb1EEEEDaS15_S16_EUlS15_E_NS1_11comp_targetILNS1_3genE4ELNS1_11target_archE910ELNS1_3gpuE8ELNS1_3repE0EEENS1_30default_config_static_selectorELNS0_4arch9wavefront6targetE1EEEvT1_
	.p2align	8
	.type	_ZN7rocprim17ROCPRIM_400000_NS6detail17trampoline_kernelINS0_14default_configENS1_25partition_config_selectorILNS1_17partition_subalgoE9EllbEEZZNS1_14partition_implILS5_9ELb0ES3_jPlS8_PNS0_10empty_typeENS0_5tupleIJS8_S9_EEENSB_IJS8_SA_EEENS0_18inequality_wrapperIZN2at6native12_GLOBAL__N_124unique_dim_cuda_templateIhEESt5tupleIJNSF_6TensorESK_SK_EERKSK_lbbbEUlllE0_EEPmJS9_EEE10hipError_tPvRmT3_T4_T5_T6_T7_T9_mT8_P12ihipStream_tbDpT10_ENKUlT_T0_E_clISt17integral_constantIbLb0EES19_IbLb1EEEEDaS15_S16_EUlS15_E_NS1_11comp_targetILNS1_3genE4ELNS1_11target_archE910ELNS1_3gpuE8ELNS1_3repE0EEENS1_30default_config_static_selectorELNS0_4arch9wavefront6targetE1EEEvT1_,@function
_ZN7rocprim17ROCPRIM_400000_NS6detail17trampoline_kernelINS0_14default_configENS1_25partition_config_selectorILNS1_17partition_subalgoE9EllbEEZZNS1_14partition_implILS5_9ELb0ES3_jPlS8_PNS0_10empty_typeENS0_5tupleIJS8_S9_EEENSB_IJS8_SA_EEENS0_18inequality_wrapperIZN2at6native12_GLOBAL__N_124unique_dim_cuda_templateIhEESt5tupleIJNSF_6TensorESK_SK_EERKSK_lbbbEUlllE0_EEPmJS9_EEE10hipError_tPvRmT3_T4_T5_T6_T7_T9_mT8_P12ihipStream_tbDpT10_ENKUlT_T0_E_clISt17integral_constantIbLb0EES19_IbLb1EEEEDaS15_S16_EUlS15_E_NS1_11comp_targetILNS1_3genE4ELNS1_11target_archE910ELNS1_3gpuE8ELNS1_3repE0EEENS1_30default_config_static_selectorELNS0_4arch9wavefront6targetE1EEEvT1_: ; @_ZN7rocprim17ROCPRIM_400000_NS6detail17trampoline_kernelINS0_14default_configENS1_25partition_config_selectorILNS1_17partition_subalgoE9EllbEEZZNS1_14partition_implILS5_9ELb0ES3_jPlS8_PNS0_10empty_typeENS0_5tupleIJS8_S9_EEENSB_IJS8_SA_EEENS0_18inequality_wrapperIZN2at6native12_GLOBAL__N_124unique_dim_cuda_templateIhEESt5tupleIJNSF_6TensorESK_SK_EERKSK_lbbbEUlllE0_EEPmJS9_EEE10hipError_tPvRmT3_T4_T5_T6_T7_T9_mT8_P12ihipStream_tbDpT10_ENKUlT_T0_E_clISt17integral_constantIbLb0EES19_IbLb1EEEEDaS15_S16_EUlS15_E_NS1_11comp_targetILNS1_3genE4ELNS1_11target_archE910ELNS1_3gpuE8ELNS1_3repE0EEENS1_30default_config_static_selectorELNS0_4arch9wavefront6targetE1EEEvT1_
; %bb.0:
	.section	.rodata,"a",@progbits
	.p2align	6, 0x0
	.amdhsa_kernel _ZN7rocprim17ROCPRIM_400000_NS6detail17trampoline_kernelINS0_14default_configENS1_25partition_config_selectorILNS1_17partition_subalgoE9EllbEEZZNS1_14partition_implILS5_9ELb0ES3_jPlS8_PNS0_10empty_typeENS0_5tupleIJS8_S9_EEENSB_IJS8_SA_EEENS0_18inequality_wrapperIZN2at6native12_GLOBAL__N_124unique_dim_cuda_templateIhEESt5tupleIJNSF_6TensorESK_SK_EERKSK_lbbbEUlllE0_EEPmJS9_EEE10hipError_tPvRmT3_T4_T5_T6_T7_T9_mT8_P12ihipStream_tbDpT10_ENKUlT_T0_E_clISt17integral_constantIbLb0EES19_IbLb1EEEEDaS15_S16_EUlS15_E_NS1_11comp_targetILNS1_3genE4ELNS1_11target_archE910ELNS1_3gpuE8ELNS1_3repE0EEENS1_30default_config_static_selectorELNS0_4arch9wavefront6targetE1EEEvT1_
		.amdhsa_group_segment_fixed_size 0
		.amdhsa_private_segment_fixed_size 0
		.amdhsa_kernarg_size 136
		.amdhsa_user_sgpr_count 2
		.amdhsa_user_sgpr_dispatch_ptr 0
		.amdhsa_user_sgpr_queue_ptr 0
		.amdhsa_user_sgpr_kernarg_segment_ptr 1
		.amdhsa_user_sgpr_dispatch_id 0
		.amdhsa_user_sgpr_kernarg_preload_length 0
		.amdhsa_user_sgpr_kernarg_preload_offset 0
		.amdhsa_user_sgpr_private_segment_size 0
		.amdhsa_uses_dynamic_stack 0
		.amdhsa_enable_private_segment 0
		.amdhsa_system_sgpr_workgroup_id_x 1
		.amdhsa_system_sgpr_workgroup_id_y 0
		.amdhsa_system_sgpr_workgroup_id_z 0
		.amdhsa_system_sgpr_workgroup_info 0
		.amdhsa_system_vgpr_workitem_id 0
		.amdhsa_next_free_vgpr 1
		.amdhsa_next_free_sgpr 0
		.amdhsa_accum_offset 4
		.amdhsa_reserve_vcc 0
		.amdhsa_float_round_mode_32 0
		.amdhsa_float_round_mode_16_64 0
		.amdhsa_float_denorm_mode_32 3
		.amdhsa_float_denorm_mode_16_64 3
		.amdhsa_dx10_clamp 1
		.amdhsa_ieee_mode 1
		.amdhsa_fp16_overflow 0
		.amdhsa_tg_split 0
		.amdhsa_exception_fp_ieee_invalid_op 0
		.amdhsa_exception_fp_denorm_src 0
		.amdhsa_exception_fp_ieee_div_zero 0
		.amdhsa_exception_fp_ieee_overflow 0
		.amdhsa_exception_fp_ieee_underflow 0
		.amdhsa_exception_fp_ieee_inexact 0
		.amdhsa_exception_int_div_zero 0
	.end_amdhsa_kernel
	.section	.text._ZN7rocprim17ROCPRIM_400000_NS6detail17trampoline_kernelINS0_14default_configENS1_25partition_config_selectorILNS1_17partition_subalgoE9EllbEEZZNS1_14partition_implILS5_9ELb0ES3_jPlS8_PNS0_10empty_typeENS0_5tupleIJS8_S9_EEENSB_IJS8_SA_EEENS0_18inequality_wrapperIZN2at6native12_GLOBAL__N_124unique_dim_cuda_templateIhEESt5tupleIJNSF_6TensorESK_SK_EERKSK_lbbbEUlllE0_EEPmJS9_EEE10hipError_tPvRmT3_T4_T5_T6_T7_T9_mT8_P12ihipStream_tbDpT10_ENKUlT_T0_E_clISt17integral_constantIbLb0EES19_IbLb1EEEEDaS15_S16_EUlS15_E_NS1_11comp_targetILNS1_3genE4ELNS1_11target_archE910ELNS1_3gpuE8ELNS1_3repE0EEENS1_30default_config_static_selectorELNS0_4arch9wavefront6targetE1EEEvT1_,"axG",@progbits,_ZN7rocprim17ROCPRIM_400000_NS6detail17trampoline_kernelINS0_14default_configENS1_25partition_config_selectorILNS1_17partition_subalgoE9EllbEEZZNS1_14partition_implILS5_9ELb0ES3_jPlS8_PNS0_10empty_typeENS0_5tupleIJS8_S9_EEENSB_IJS8_SA_EEENS0_18inequality_wrapperIZN2at6native12_GLOBAL__N_124unique_dim_cuda_templateIhEESt5tupleIJNSF_6TensorESK_SK_EERKSK_lbbbEUlllE0_EEPmJS9_EEE10hipError_tPvRmT3_T4_T5_T6_T7_T9_mT8_P12ihipStream_tbDpT10_ENKUlT_T0_E_clISt17integral_constantIbLb0EES19_IbLb1EEEEDaS15_S16_EUlS15_E_NS1_11comp_targetILNS1_3genE4ELNS1_11target_archE910ELNS1_3gpuE8ELNS1_3repE0EEENS1_30default_config_static_selectorELNS0_4arch9wavefront6targetE1EEEvT1_,comdat
.Lfunc_end231:
	.size	_ZN7rocprim17ROCPRIM_400000_NS6detail17trampoline_kernelINS0_14default_configENS1_25partition_config_selectorILNS1_17partition_subalgoE9EllbEEZZNS1_14partition_implILS5_9ELb0ES3_jPlS8_PNS0_10empty_typeENS0_5tupleIJS8_S9_EEENSB_IJS8_SA_EEENS0_18inequality_wrapperIZN2at6native12_GLOBAL__N_124unique_dim_cuda_templateIhEESt5tupleIJNSF_6TensorESK_SK_EERKSK_lbbbEUlllE0_EEPmJS9_EEE10hipError_tPvRmT3_T4_T5_T6_T7_T9_mT8_P12ihipStream_tbDpT10_ENKUlT_T0_E_clISt17integral_constantIbLb0EES19_IbLb1EEEEDaS15_S16_EUlS15_E_NS1_11comp_targetILNS1_3genE4ELNS1_11target_archE910ELNS1_3gpuE8ELNS1_3repE0EEENS1_30default_config_static_selectorELNS0_4arch9wavefront6targetE1EEEvT1_, .Lfunc_end231-_ZN7rocprim17ROCPRIM_400000_NS6detail17trampoline_kernelINS0_14default_configENS1_25partition_config_selectorILNS1_17partition_subalgoE9EllbEEZZNS1_14partition_implILS5_9ELb0ES3_jPlS8_PNS0_10empty_typeENS0_5tupleIJS8_S9_EEENSB_IJS8_SA_EEENS0_18inequality_wrapperIZN2at6native12_GLOBAL__N_124unique_dim_cuda_templateIhEESt5tupleIJNSF_6TensorESK_SK_EERKSK_lbbbEUlllE0_EEPmJS9_EEE10hipError_tPvRmT3_T4_T5_T6_T7_T9_mT8_P12ihipStream_tbDpT10_ENKUlT_T0_E_clISt17integral_constantIbLb0EES19_IbLb1EEEEDaS15_S16_EUlS15_E_NS1_11comp_targetILNS1_3genE4ELNS1_11target_archE910ELNS1_3gpuE8ELNS1_3repE0EEENS1_30default_config_static_selectorELNS0_4arch9wavefront6targetE1EEEvT1_
                                        ; -- End function
	.section	.AMDGPU.csdata,"",@progbits
; Kernel info:
; codeLenInByte = 0
; NumSgprs: 6
; NumVgprs: 0
; NumAgprs: 0
; TotalNumVgprs: 0
; ScratchSize: 0
; MemoryBound: 0
; FloatMode: 240
; IeeeMode: 1
; LDSByteSize: 0 bytes/workgroup (compile time only)
; SGPRBlocks: 0
; VGPRBlocks: 0
; NumSGPRsForWavesPerEU: 6
; NumVGPRsForWavesPerEU: 1
; AccumOffset: 4
; Occupancy: 8
; WaveLimiterHint : 0
; COMPUTE_PGM_RSRC2:SCRATCH_EN: 0
; COMPUTE_PGM_RSRC2:USER_SGPR: 2
; COMPUTE_PGM_RSRC2:TRAP_HANDLER: 0
; COMPUTE_PGM_RSRC2:TGID_X_EN: 1
; COMPUTE_PGM_RSRC2:TGID_Y_EN: 0
; COMPUTE_PGM_RSRC2:TGID_Z_EN: 0
; COMPUTE_PGM_RSRC2:TIDIG_COMP_CNT: 0
; COMPUTE_PGM_RSRC3_GFX90A:ACCUM_OFFSET: 0
; COMPUTE_PGM_RSRC3_GFX90A:TG_SPLIT: 0
	.section	.text._ZN7rocprim17ROCPRIM_400000_NS6detail17trampoline_kernelINS0_14default_configENS1_25partition_config_selectorILNS1_17partition_subalgoE9EllbEEZZNS1_14partition_implILS5_9ELb0ES3_jPlS8_PNS0_10empty_typeENS0_5tupleIJS8_S9_EEENSB_IJS8_SA_EEENS0_18inequality_wrapperIZN2at6native12_GLOBAL__N_124unique_dim_cuda_templateIhEESt5tupleIJNSF_6TensorESK_SK_EERKSK_lbbbEUlllE0_EEPmJS9_EEE10hipError_tPvRmT3_T4_T5_T6_T7_T9_mT8_P12ihipStream_tbDpT10_ENKUlT_T0_E_clISt17integral_constantIbLb0EES19_IbLb1EEEEDaS15_S16_EUlS15_E_NS1_11comp_targetILNS1_3genE3ELNS1_11target_archE908ELNS1_3gpuE7ELNS1_3repE0EEENS1_30default_config_static_selectorELNS0_4arch9wavefront6targetE1EEEvT1_,"axG",@progbits,_ZN7rocprim17ROCPRIM_400000_NS6detail17trampoline_kernelINS0_14default_configENS1_25partition_config_selectorILNS1_17partition_subalgoE9EllbEEZZNS1_14partition_implILS5_9ELb0ES3_jPlS8_PNS0_10empty_typeENS0_5tupleIJS8_S9_EEENSB_IJS8_SA_EEENS0_18inequality_wrapperIZN2at6native12_GLOBAL__N_124unique_dim_cuda_templateIhEESt5tupleIJNSF_6TensorESK_SK_EERKSK_lbbbEUlllE0_EEPmJS9_EEE10hipError_tPvRmT3_T4_T5_T6_T7_T9_mT8_P12ihipStream_tbDpT10_ENKUlT_T0_E_clISt17integral_constantIbLb0EES19_IbLb1EEEEDaS15_S16_EUlS15_E_NS1_11comp_targetILNS1_3genE3ELNS1_11target_archE908ELNS1_3gpuE7ELNS1_3repE0EEENS1_30default_config_static_selectorELNS0_4arch9wavefront6targetE1EEEvT1_,comdat
	.globl	_ZN7rocprim17ROCPRIM_400000_NS6detail17trampoline_kernelINS0_14default_configENS1_25partition_config_selectorILNS1_17partition_subalgoE9EllbEEZZNS1_14partition_implILS5_9ELb0ES3_jPlS8_PNS0_10empty_typeENS0_5tupleIJS8_S9_EEENSB_IJS8_SA_EEENS0_18inequality_wrapperIZN2at6native12_GLOBAL__N_124unique_dim_cuda_templateIhEESt5tupleIJNSF_6TensorESK_SK_EERKSK_lbbbEUlllE0_EEPmJS9_EEE10hipError_tPvRmT3_T4_T5_T6_T7_T9_mT8_P12ihipStream_tbDpT10_ENKUlT_T0_E_clISt17integral_constantIbLb0EES19_IbLb1EEEEDaS15_S16_EUlS15_E_NS1_11comp_targetILNS1_3genE3ELNS1_11target_archE908ELNS1_3gpuE7ELNS1_3repE0EEENS1_30default_config_static_selectorELNS0_4arch9wavefront6targetE1EEEvT1_ ; -- Begin function _ZN7rocprim17ROCPRIM_400000_NS6detail17trampoline_kernelINS0_14default_configENS1_25partition_config_selectorILNS1_17partition_subalgoE9EllbEEZZNS1_14partition_implILS5_9ELb0ES3_jPlS8_PNS0_10empty_typeENS0_5tupleIJS8_S9_EEENSB_IJS8_SA_EEENS0_18inequality_wrapperIZN2at6native12_GLOBAL__N_124unique_dim_cuda_templateIhEESt5tupleIJNSF_6TensorESK_SK_EERKSK_lbbbEUlllE0_EEPmJS9_EEE10hipError_tPvRmT3_T4_T5_T6_T7_T9_mT8_P12ihipStream_tbDpT10_ENKUlT_T0_E_clISt17integral_constantIbLb0EES19_IbLb1EEEEDaS15_S16_EUlS15_E_NS1_11comp_targetILNS1_3genE3ELNS1_11target_archE908ELNS1_3gpuE7ELNS1_3repE0EEENS1_30default_config_static_selectorELNS0_4arch9wavefront6targetE1EEEvT1_
	.p2align	8
	.type	_ZN7rocprim17ROCPRIM_400000_NS6detail17trampoline_kernelINS0_14default_configENS1_25partition_config_selectorILNS1_17partition_subalgoE9EllbEEZZNS1_14partition_implILS5_9ELb0ES3_jPlS8_PNS0_10empty_typeENS0_5tupleIJS8_S9_EEENSB_IJS8_SA_EEENS0_18inequality_wrapperIZN2at6native12_GLOBAL__N_124unique_dim_cuda_templateIhEESt5tupleIJNSF_6TensorESK_SK_EERKSK_lbbbEUlllE0_EEPmJS9_EEE10hipError_tPvRmT3_T4_T5_T6_T7_T9_mT8_P12ihipStream_tbDpT10_ENKUlT_T0_E_clISt17integral_constantIbLb0EES19_IbLb1EEEEDaS15_S16_EUlS15_E_NS1_11comp_targetILNS1_3genE3ELNS1_11target_archE908ELNS1_3gpuE7ELNS1_3repE0EEENS1_30default_config_static_selectorELNS0_4arch9wavefront6targetE1EEEvT1_,@function
_ZN7rocprim17ROCPRIM_400000_NS6detail17trampoline_kernelINS0_14default_configENS1_25partition_config_selectorILNS1_17partition_subalgoE9EllbEEZZNS1_14partition_implILS5_9ELb0ES3_jPlS8_PNS0_10empty_typeENS0_5tupleIJS8_S9_EEENSB_IJS8_SA_EEENS0_18inequality_wrapperIZN2at6native12_GLOBAL__N_124unique_dim_cuda_templateIhEESt5tupleIJNSF_6TensorESK_SK_EERKSK_lbbbEUlllE0_EEPmJS9_EEE10hipError_tPvRmT3_T4_T5_T6_T7_T9_mT8_P12ihipStream_tbDpT10_ENKUlT_T0_E_clISt17integral_constantIbLb0EES19_IbLb1EEEEDaS15_S16_EUlS15_E_NS1_11comp_targetILNS1_3genE3ELNS1_11target_archE908ELNS1_3gpuE7ELNS1_3repE0EEENS1_30default_config_static_selectorELNS0_4arch9wavefront6targetE1EEEvT1_: ; @_ZN7rocprim17ROCPRIM_400000_NS6detail17trampoline_kernelINS0_14default_configENS1_25partition_config_selectorILNS1_17partition_subalgoE9EllbEEZZNS1_14partition_implILS5_9ELb0ES3_jPlS8_PNS0_10empty_typeENS0_5tupleIJS8_S9_EEENSB_IJS8_SA_EEENS0_18inequality_wrapperIZN2at6native12_GLOBAL__N_124unique_dim_cuda_templateIhEESt5tupleIJNSF_6TensorESK_SK_EERKSK_lbbbEUlllE0_EEPmJS9_EEE10hipError_tPvRmT3_T4_T5_T6_T7_T9_mT8_P12ihipStream_tbDpT10_ENKUlT_T0_E_clISt17integral_constantIbLb0EES19_IbLb1EEEEDaS15_S16_EUlS15_E_NS1_11comp_targetILNS1_3genE3ELNS1_11target_archE908ELNS1_3gpuE7ELNS1_3repE0EEENS1_30default_config_static_selectorELNS0_4arch9wavefront6targetE1EEEvT1_
; %bb.0:
	.section	.rodata,"a",@progbits
	.p2align	6, 0x0
	.amdhsa_kernel _ZN7rocprim17ROCPRIM_400000_NS6detail17trampoline_kernelINS0_14default_configENS1_25partition_config_selectorILNS1_17partition_subalgoE9EllbEEZZNS1_14partition_implILS5_9ELb0ES3_jPlS8_PNS0_10empty_typeENS0_5tupleIJS8_S9_EEENSB_IJS8_SA_EEENS0_18inequality_wrapperIZN2at6native12_GLOBAL__N_124unique_dim_cuda_templateIhEESt5tupleIJNSF_6TensorESK_SK_EERKSK_lbbbEUlllE0_EEPmJS9_EEE10hipError_tPvRmT3_T4_T5_T6_T7_T9_mT8_P12ihipStream_tbDpT10_ENKUlT_T0_E_clISt17integral_constantIbLb0EES19_IbLb1EEEEDaS15_S16_EUlS15_E_NS1_11comp_targetILNS1_3genE3ELNS1_11target_archE908ELNS1_3gpuE7ELNS1_3repE0EEENS1_30default_config_static_selectorELNS0_4arch9wavefront6targetE1EEEvT1_
		.amdhsa_group_segment_fixed_size 0
		.amdhsa_private_segment_fixed_size 0
		.amdhsa_kernarg_size 136
		.amdhsa_user_sgpr_count 2
		.amdhsa_user_sgpr_dispatch_ptr 0
		.amdhsa_user_sgpr_queue_ptr 0
		.amdhsa_user_sgpr_kernarg_segment_ptr 1
		.amdhsa_user_sgpr_dispatch_id 0
		.amdhsa_user_sgpr_kernarg_preload_length 0
		.amdhsa_user_sgpr_kernarg_preload_offset 0
		.amdhsa_user_sgpr_private_segment_size 0
		.amdhsa_uses_dynamic_stack 0
		.amdhsa_enable_private_segment 0
		.amdhsa_system_sgpr_workgroup_id_x 1
		.amdhsa_system_sgpr_workgroup_id_y 0
		.amdhsa_system_sgpr_workgroup_id_z 0
		.amdhsa_system_sgpr_workgroup_info 0
		.amdhsa_system_vgpr_workitem_id 0
		.amdhsa_next_free_vgpr 1
		.amdhsa_next_free_sgpr 0
		.amdhsa_accum_offset 4
		.amdhsa_reserve_vcc 0
		.amdhsa_float_round_mode_32 0
		.amdhsa_float_round_mode_16_64 0
		.amdhsa_float_denorm_mode_32 3
		.amdhsa_float_denorm_mode_16_64 3
		.amdhsa_dx10_clamp 1
		.amdhsa_ieee_mode 1
		.amdhsa_fp16_overflow 0
		.amdhsa_tg_split 0
		.amdhsa_exception_fp_ieee_invalid_op 0
		.amdhsa_exception_fp_denorm_src 0
		.amdhsa_exception_fp_ieee_div_zero 0
		.amdhsa_exception_fp_ieee_overflow 0
		.amdhsa_exception_fp_ieee_underflow 0
		.amdhsa_exception_fp_ieee_inexact 0
		.amdhsa_exception_int_div_zero 0
	.end_amdhsa_kernel
	.section	.text._ZN7rocprim17ROCPRIM_400000_NS6detail17trampoline_kernelINS0_14default_configENS1_25partition_config_selectorILNS1_17partition_subalgoE9EllbEEZZNS1_14partition_implILS5_9ELb0ES3_jPlS8_PNS0_10empty_typeENS0_5tupleIJS8_S9_EEENSB_IJS8_SA_EEENS0_18inequality_wrapperIZN2at6native12_GLOBAL__N_124unique_dim_cuda_templateIhEESt5tupleIJNSF_6TensorESK_SK_EERKSK_lbbbEUlllE0_EEPmJS9_EEE10hipError_tPvRmT3_T4_T5_T6_T7_T9_mT8_P12ihipStream_tbDpT10_ENKUlT_T0_E_clISt17integral_constantIbLb0EES19_IbLb1EEEEDaS15_S16_EUlS15_E_NS1_11comp_targetILNS1_3genE3ELNS1_11target_archE908ELNS1_3gpuE7ELNS1_3repE0EEENS1_30default_config_static_selectorELNS0_4arch9wavefront6targetE1EEEvT1_,"axG",@progbits,_ZN7rocprim17ROCPRIM_400000_NS6detail17trampoline_kernelINS0_14default_configENS1_25partition_config_selectorILNS1_17partition_subalgoE9EllbEEZZNS1_14partition_implILS5_9ELb0ES3_jPlS8_PNS0_10empty_typeENS0_5tupleIJS8_S9_EEENSB_IJS8_SA_EEENS0_18inequality_wrapperIZN2at6native12_GLOBAL__N_124unique_dim_cuda_templateIhEESt5tupleIJNSF_6TensorESK_SK_EERKSK_lbbbEUlllE0_EEPmJS9_EEE10hipError_tPvRmT3_T4_T5_T6_T7_T9_mT8_P12ihipStream_tbDpT10_ENKUlT_T0_E_clISt17integral_constantIbLb0EES19_IbLb1EEEEDaS15_S16_EUlS15_E_NS1_11comp_targetILNS1_3genE3ELNS1_11target_archE908ELNS1_3gpuE7ELNS1_3repE0EEENS1_30default_config_static_selectorELNS0_4arch9wavefront6targetE1EEEvT1_,comdat
.Lfunc_end232:
	.size	_ZN7rocprim17ROCPRIM_400000_NS6detail17trampoline_kernelINS0_14default_configENS1_25partition_config_selectorILNS1_17partition_subalgoE9EllbEEZZNS1_14partition_implILS5_9ELb0ES3_jPlS8_PNS0_10empty_typeENS0_5tupleIJS8_S9_EEENSB_IJS8_SA_EEENS0_18inequality_wrapperIZN2at6native12_GLOBAL__N_124unique_dim_cuda_templateIhEESt5tupleIJNSF_6TensorESK_SK_EERKSK_lbbbEUlllE0_EEPmJS9_EEE10hipError_tPvRmT3_T4_T5_T6_T7_T9_mT8_P12ihipStream_tbDpT10_ENKUlT_T0_E_clISt17integral_constantIbLb0EES19_IbLb1EEEEDaS15_S16_EUlS15_E_NS1_11comp_targetILNS1_3genE3ELNS1_11target_archE908ELNS1_3gpuE7ELNS1_3repE0EEENS1_30default_config_static_selectorELNS0_4arch9wavefront6targetE1EEEvT1_, .Lfunc_end232-_ZN7rocprim17ROCPRIM_400000_NS6detail17trampoline_kernelINS0_14default_configENS1_25partition_config_selectorILNS1_17partition_subalgoE9EllbEEZZNS1_14partition_implILS5_9ELb0ES3_jPlS8_PNS0_10empty_typeENS0_5tupleIJS8_S9_EEENSB_IJS8_SA_EEENS0_18inequality_wrapperIZN2at6native12_GLOBAL__N_124unique_dim_cuda_templateIhEESt5tupleIJNSF_6TensorESK_SK_EERKSK_lbbbEUlllE0_EEPmJS9_EEE10hipError_tPvRmT3_T4_T5_T6_T7_T9_mT8_P12ihipStream_tbDpT10_ENKUlT_T0_E_clISt17integral_constantIbLb0EES19_IbLb1EEEEDaS15_S16_EUlS15_E_NS1_11comp_targetILNS1_3genE3ELNS1_11target_archE908ELNS1_3gpuE7ELNS1_3repE0EEENS1_30default_config_static_selectorELNS0_4arch9wavefront6targetE1EEEvT1_
                                        ; -- End function
	.section	.AMDGPU.csdata,"",@progbits
; Kernel info:
; codeLenInByte = 0
; NumSgprs: 6
; NumVgprs: 0
; NumAgprs: 0
; TotalNumVgprs: 0
; ScratchSize: 0
; MemoryBound: 0
; FloatMode: 240
; IeeeMode: 1
; LDSByteSize: 0 bytes/workgroup (compile time only)
; SGPRBlocks: 0
; VGPRBlocks: 0
; NumSGPRsForWavesPerEU: 6
; NumVGPRsForWavesPerEU: 1
; AccumOffset: 4
; Occupancy: 8
; WaveLimiterHint : 0
; COMPUTE_PGM_RSRC2:SCRATCH_EN: 0
; COMPUTE_PGM_RSRC2:USER_SGPR: 2
; COMPUTE_PGM_RSRC2:TRAP_HANDLER: 0
; COMPUTE_PGM_RSRC2:TGID_X_EN: 1
; COMPUTE_PGM_RSRC2:TGID_Y_EN: 0
; COMPUTE_PGM_RSRC2:TGID_Z_EN: 0
; COMPUTE_PGM_RSRC2:TIDIG_COMP_CNT: 0
; COMPUTE_PGM_RSRC3_GFX90A:ACCUM_OFFSET: 0
; COMPUTE_PGM_RSRC3_GFX90A:TG_SPLIT: 0
	.section	.text._ZN7rocprim17ROCPRIM_400000_NS6detail17trampoline_kernelINS0_14default_configENS1_25partition_config_selectorILNS1_17partition_subalgoE9EllbEEZZNS1_14partition_implILS5_9ELb0ES3_jPlS8_PNS0_10empty_typeENS0_5tupleIJS8_S9_EEENSB_IJS8_SA_EEENS0_18inequality_wrapperIZN2at6native12_GLOBAL__N_124unique_dim_cuda_templateIhEESt5tupleIJNSF_6TensorESK_SK_EERKSK_lbbbEUlllE0_EEPmJS9_EEE10hipError_tPvRmT3_T4_T5_T6_T7_T9_mT8_P12ihipStream_tbDpT10_ENKUlT_T0_E_clISt17integral_constantIbLb0EES19_IbLb1EEEEDaS15_S16_EUlS15_E_NS1_11comp_targetILNS1_3genE2ELNS1_11target_archE906ELNS1_3gpuE6ELNS1_3repE0EEENS1_30default_config_static_selectorELNS0_4arch9wavefront6targetE1EEEvT1_,"axG",@progbits,_ZN7rocprim17ROCPRIM_400000_NS6detail17trampoline_kernelINS0_14default_configENS1_25partition_config_selectorILNS1_17partition_subalgoE9EllbEEZZNS1_14partition_implILS5_9ELb0ES3_jPlS8_PNS0_10empty_typeENS0_5tupleIJS8_S9_EEENSB_IJS8_SA_EEENS0_18inequality_wrapperIZN2at6native12_GLOBAL__N_124unique_dim_cuda_templateIhEESt5tupleIJNSF_6TensorESK_SK_EERKSK_lbbbEUlllE0_EEPmJS9_EEE10hipError_tPvRmT3_T4_T5_T6_T7_T9_mT8_P12ihipStream_tbDpT10_ENKUlT_T0_E_clISt17integral_constantIbLb0EES19_IbLb1EEEEDaS15_S16_EUlS15_E_NS1_11comp_targetILNS1_3genE2ELNS1_11target_archE906ELNS1_3gpuE6ELNS1_3repE0EEENS1_30default_config_static_selectorELNS0_4arch9wavefront6targetE1EEEvT1_,comdat
	.globl	_ZN7rocprim17ROCPRIM_400000_NS6detail17trampoline_kernelINS0_14default_configENS1_25partition_config_selectorILNS1_17partition_subalgoE9EllbEEZZNS1_14partition_implILS5_9ELb0ES3_jPlS8_PNS0_10empty_typeENS0_5tupleIJS8_S9_EEENSB_IJS8_SA_EEENS0_18inequality_wrapperIZN2at6native12_GLOBAL__N_124unique_dim_cuda_templateIhEESt5tupleIJNSF_6TensorESK_SK_EERKSK_lbbbEUlllE0_EEPmJS9_EEE10hipError_tPvRmT3_T4_T5_T6_T7_T9_mT8_P12ihipStream_tbDpT10_ENKUlT_T0_E_clISt17integral_constantIbLb0EES19_IbLb1EEEEDaS15_S16_EUlS15_E_NS1_11comp_targetILNS1_3genE2ELNS1_11target_archE906ELNS1_3gpuE6ELNS1_3repE0EEENS1_30default_config_static_selectorELNS0_4arch9wavefront6targetE1EEEvT1_ ; -- Begin function _ZN7rocprim17ROCPRIM_400000_NS6detail17trampoline_kernelINS0_14default_configENS1_25partition_config_selectorILNS1_17partition_subalgoE9EllbEEZZNS1_14partition_implILS5_9ELb0ES3_jPlS8_PNS0_10empty_typeENS0_5tupleIJS8_S9_EEENSB_IJS8_SA_EEENS0_18inequality_wrapperIZN2at6native12_GLOBAL__N_124unique_dim_cuda_templateIhEESt5tupleIJNSF_6TensorESK_SK_EERKSK_lbbbEUlllE0_EEPmJS9_EEE10hipError_tPvRmT3_T4_T5_T6_T7_T9_mT8_P12ihipStream_tbDpT10_ENKUlT_T0_E_clISt17integral_constantIbLb0EES19_IbLb1EEEEDaS15_S16_EUlS15_E_NS1_11comp_targetILNS1_3genE2ELNS1_11target_archE906ELNS1_3gpuE6ELNS1_3repE0EEENS1_30default_config_static_selectorELNS0_4arch9wavefront6targetE1EEEvT1_
	.p2align	8
	.type	_ZN7rocprim17ROCPRIM_400000_NS6detail17trampoline_kernelINS0_14default_configENS1_25partition_config_selectorILNS1_17partition_subalgoE9EllbEEZZNS1_14partition_implILS5_9ELb0ES3_jPlS8_PNS0_10empty_typeENS0_5tupleIJS8_S9_EEENSB_IJS8_SA_EEENS0_18inequality_wrapperIZN2at6native12_GLOBAL__N_124unique_dim_cuda_templateIhEESt5tupleIJNSF_6TensorESK_SK_EERKSK_lbbbEUlllE0_EEPmJS9_EEE10hipError_tPvRmT3_T4_T5_T6_T7_T9_mT8_P12ihipStream_tbDpT10_ENKUlT_T0_E_clISt17integral_constantIbLb0EES19_IbLb1EEEEDaS15_S16_EUlS15_E_NS1_11comp_targetILNS1_3genE2ELNS1_11target_archE906ELNS1_3gpuE6ELNS1_3repE0EEENS1_30default_config_static_selectorELNS0_4arch9wavefront6targetE1EEEvT1_,@function
_ZN7rocprim17ROCPRIM_400000_NS6detail17trampoline_kernelINS0_14default_configENS1_25partition_config_selectorILNS1_17partition_subalgoE9EllbEEZZNS1_14partition_implILS5_9ELb0ES3_jPlS8_PNS0_10empty_typeENS0_5tupleIJS8_S9_EEENSB_IJS8_SA_EEENS0_18inequality_wrapperIZN2at6native12_GLOBAL__N_124unique_dim_cuda_templateIhEESt5tupleIJNSF_6TensorESK_SK_EERKSK_lbbbEUlllE0_EEPmJS9_EEE10hipError_tPvRmT3_T4_T5_T6_T7_T9_mT8_P12ihipStream_tbDpT10_ENKUlT_T0_E_clISt17integral_constantIbLb0EES19_IbLb1EEEEDaS15_S16_EUlS15_E_NS1_11comp_targetILNS1_3genE2ELNS1_11target_archE906ELNS1_3gpuE6ELNS1_3repE0EEENS1_30default_config_static_selectorELNS0_4arch9wavefront6targetE1EEEvT1_: ; @_ZN7rocprim17ROCPRIM_400000_NS6detail17trampoline_kernelINS0_14default_configENS1_25partition_config_selectorILNS1_17partition_subalgoE9EllbEEZZNS1_14partition_implILS5_9ELb0ES3_jPlS8_PNS0_10empty_typeENS0_5tupleIJS8_S9_EEENSB_IJS8_SA_EEENS0_18inequality_wrapperIZN2at6native12_GLOBAL__N_124unique_dim_cuda_templateIhEESt5tupleIJNSF_6TensorESK_SK_EERKSK_lbbbEUlllE0_EEPmJS9_EEE10hipError_tPvRmT3_T4_T5_T6_T7_T9_mT8_P12ihipStream_tbDpT10_ENKUlT_T0_E_clISt17integral_constantIbLb0EES19_IbLb1EEEEDaS15_S16_EUlS15_E_NS1_11comp_targetILNS1_3genE2ELNS1_11target_archE906ELNS1_3gpuE6ELNS1_3repE0EEENS1_30default_config_static_selectorELNS0_4arch9wavefront6targetE1EEEvT1_
; %bb.0:
	.section	.rodata,"a",@progbits
	.p2align	6, 0x0
	.amdhsa_kernel _ZN7rocprim17ROCPRIM_400000_NS6detail17trampoline_kernelINS0_14default_configENS1_25partition_config_selectorILNS1_17partition_subalgoE9EllbEEZZNS1_14partition_implILS5_9ELb0ES3_jPlS8_PNS0_10empty_typeENS0_5tupleIJS8_S9_EEENSB_IJS8_SA_EEENS0_18inequality_wrapperIZN2at6native12_GLOBAL__N_124unique_dim_cuda_templateIhEESt5tupleIJNSF_6TensorESK_SK_EERKSK_lbbbEUlllE0_EEPmJS9_EEE10hipError_tPvRmT3_T4_T5_T6_T7_T9_mT8_P12ihipStream_tbDpT10_ENKUlT_T0_E_clISt17integral_constantIbLb0EES19_IbLb1EEEEDaS15_S16_EUlS15_E_NS1_11comp_targetILNS1_3genE2ELNS1_11target_archE906ELNS1_3gpuE6ELNS1_3repE0EEENS1_30default_config_static_selectorELNS0_4arch9wavefront6targetE1EEEvT1_
		.amdhsa_group_segment_fixed_size 0
		.amdhsa_private_segment_fixed_size 0
		.amdhsa_kernarg_size 136
		.amdhsa_user_sgpr_count 2
		.amdhsa_user_sgpr_dispatch_ptr 0
		.amdhsa_user_sgpr_queue_ptr 0
		.amdhsa_user_sgpr_kernarg_segment_ptr 1
		.amdhsa_user_sgpr_dispatch_id 0
		.amdhsa_user_sgpr_kernarg_preload_length 0
		.amdhsa_user_sgpr_kernarg_preload_offset 0
		.amdhsa_user_sgpr_private_segment_size 0
		.amdhsa_uses_dynamic_stack 0
		.amdhsa_enable_private_segment 0
		.amdhsa_system_sgpr_workgroup_id_x 1
		.amdhsa_system_sgpr_workgroup_id_y 0
		.amdhsa_system_sgpr_workgroup_id_z 0
		.amdhsa_system_sgpr_workgroup_info 0
		.amdhsa_system_vgpr_workitem_id 0
		.amdhsa_next_free_vgpr 1
		.amdhsa_next_free_sgpr 0
		.amdhsa_accum_offset 4
		.amdhsa_reserve_vcc 0
		.amdhsa_float_round_mode_32 0
		.amdhsa_float_round_mode_16_64 0
		.amdhsa_float_denorm_mode_32 3
		.amdhsa_float_denorm_mode_16_64 3
		.amdhsa_dx10_clamp 1
		.amdhsa_ieee_mode 1
		.amdhsa_fp16_overflow 0
		.amdhsa_tg_split 0
		.amdhsa_exception_fp_ieee_invalid_op 0
		.amdhsa_exception_fp_denorm_src 0
		.amdhsa_exception_fp_ieee_div_zero 0
		.amdhsa_exception_fp_ieee_overflow 0
		.amdhsa_exception_fp_ieee_underflow 0
		.amdhsa_exception_fp_ieee_inexact 0
		.amdhsa_exception_int_div_zero 0
	.end_amdhsa_kernel
	.section	.text._ZN7rocprim17ROCPRIM_400000_NS6detail17trampoline_kernelINS0_14default_configENS1_25partition_config_selectorILNS1_17partition_subalgoE9EllbEEZZNS1_14partition_implILS5_9ELb0ES3_jPlS8_PNS0_10empty_typeENS0_5tupleIJS8_S9_EEENSB_IJS8_SA_EEENS0_18inequality_wrapperIZN2at6native12_GLOBAL__N_124unique_dim_cuda_templateIhEESt5tupleIJNSF_6TensorESK_SK_EERKSK_lbbbEUlllE0_EEPmJS9_EEE10hipError_tPvRmT3_T4_T5_T6_T7_T9_mT8_P12ihipStream_tbDpT10_ENKUlT_T0_E_clISt17integral_constantIbLb0EES19_IbLb1EEEEDaS15_S16_EUlS15_E_NS1_11comp_targetILNS1_3genE2ELNS1_11target_archE906ELNS1_3gpuE6ELNS1_3repE0EEENS1_30default_config_static_selectorELNS0_4arch9wavefront6targetE1EEEvT1_,"axG",@progbits,_ZN7rocprim17ROCPRIM_400000_NS6detail17trampoline_kernelINS0_14default_configENS1_25partition_config_selectorILNS1_17partition_subalgoE9EllbEEZZNS1_14partition_implILS5_9ELb0ES3_jPlS8_PNS0_10empty_typeENS0_5tupleIJS8_S9_EEENSB_IJS8_SA_EEENS0_18inequality_wrapperIZN2at6native12_GLOBAL__N_124unique_dim_cuda_templateIhEESt5tupleIJNSF_6TensorESK_SK_EERKSK_lbbbEUlllE0_EEPmJS9_EEE10hipError_tPvRmT3_T4_T5_T6_T7_T9_mT8_P12ihipStream_tbDpT10_ENKUlT_T0_E_clISt17integral_constantIbLb0EES19_IbLb1EEEEDaS15_S16_EUlS15_E_NS1_11comp_targetILNS1_3genE2ELNS1_11target_archE906ELNS1_3gpuE6ELNS1_3repE0EEENS1_30default_config_static_selectorELNS0_4arch9wavefront6targetE1EEEvT1_,comdat
.Lfunc_end233:
	.size	_ZN7rocprim17ROCPRIM_400000_NS6detail17trampoline_kernelINS0_14default_configENS1_25partition_config_selectorILNS1_17partition_subalgoE9EllbEEZZNS1_14partition_implILS5_9ELb0ES3_jPlS8_PNS0_10empty_typeENS0_5tupleIJS8_S9_EEENSB_IJS8_SA_EEENS0_18inequality_wrapperIZN2at6native12_GLOBAL__N_124unique_dim_cuda_templateIhEESt5tupleIJNSF_6TensorESK_SK_EERKSK_lbbbEUlllE0_EEPmJS9_EEE10hipError_tPvRmT3_T4_T5_T6_T7_T9_mT8_P12ihipStream_tbDpT10_ENKUlT_T0_E_clISt17integral_constantIbLb0EES19_IbLb1EEEEDaS15_S16_EUlS15_E_NS1_11comp_targetILNS1_3genE2ELNS1_11target_archE906ELNS1_3gpuE6ELNS1_3repE0EEENS1_30default_config_static_selectorELNS0_4arch9wavefront6targetE1EEEvT1_, .Lfunc_end233-_ZN7rocprim17ROCPRIM_400000_NS6detail17trampoline_kernelINS0_14default_configENS1_25partition_config_selectorILNS1_17partition_subalgoE9EllbEEZZNS1_14partition_implILS5_9ELb0ES3_jPlS8_PNS0_10empty_typeENS0_5tupleIJS8_S9_EEENSB_IJS8_SA_EEENS0_18inequality_wrapperIZN2at6native12_GLOBAL__N_124unique_dim_cuda_templateIhEESt5tupleIJNSF_6TensorESK_SK_EERKSK_lbbbEUlllE0_EEPmJS9_EEE10hipError_tPvRmT3_T4_T5_T6_T7_T9_mT8_P12ihipStream_tbDpT10_ENKUlT_T0_E_clISt17integral_constantIbLb0EES19_IbLb1EEEEDaS15_S16_EUlS15_E_NS1_11comp_targetILNS1_3genE2ELNS1_11target_archE906ELNS1_3gpuE6ELNS1_3repE0EEENS1_30default_config_static_selectorELNS0_4arch9wavefront6targetE1EEEvT1_
                                        ; -- End function
	.section	.AMDGPU.csdata,"",@progbits
; Kernel info:
; codeLenInByte = 0
; NumSgprs: 6
; NumVgprs: 0
; NumAgprs: 0
; TotalNumVgprs: 0
; ScratchSize: 0
; MemoryBound: 0
; FloatMode: 240
; IeeeMode: 1
; LDSByteSize: 0 bytes/workgroup (compile time only)
; SGPRBlocks: 0
; VGPRBlocks: 0
; NumSGPRsForWavesPerEU: 6
; NumVGPRsForWavesPerEU: 1
; AccumOffset: 4
; Occupancy: 8
; WaveLimiterHint : 0
; COMPUTE_PGM_RSRC2:SCRATCH_EN: 0
; COMPUTE_PGM_RSRC2:USER_SGPR: 2
; COMPUTE_PGM_RSRC2:TRAP_HANDLER: 0
; COMPUTE_PGM_RSRC2:TGID_X_EN: 1
; COMPUTE_PGM_RSRC2:TGID_Y_EN: 0
; COMPUTE_PGM_RSRC2:TGID_Z_EN: 0
; COMPUTE_PGM_RSRC2:TIDIG_COMP_CNT: 0
; COMPUTE_PGM_RSRC3_GFX90A:ACCUM_OFFSET: 0
; COMPUTE_PGM_RSRC3_GFX90A:TG_SPLIT: 0
	.section	.text._ZN7rocprim17ROCPRIM_400000_NS6detail17trampoline_kernelINS0_14default_configENS1_25partition_config_selectorILNS1_17partition_subalgoE9EllbEEZZNS1_14partition_implILS5_9ELb0ES3_jPlS8_PNS0_10empty_typeENS0_5tupleIJS8_S9_EEENSB_IJS8_SA_EEENS0_18inequality_wrapperIZN2at6native12_GLOBAL__N_124unique_dim_cuda_templateIhEESt5tupleIJNSF_6TensorESK_SK_EERKSK_lbbbEUlllE0_EEPmJS9_EEE10hipError_tPvRmT3_T4_T5_T6_T7_T9_mT8_P12ihipStream_tbDpT10_ENKUlT_T0_E_clISt17integral_constantIbLb0EES19_IbLb1EEEEDaS15_S16_EUlS15_E_NS1_11comp_targetILNS1_3genE10ELNS1_11target_archE1200ELNS1_3gpuE4ELNS1_3repE0EEENS1_30default_config_static_selectorELNS0_4arch9wavefront6targetE1EEEvT1_,"axG",@progbits,_ZN7rocprim17ROCPRIM_400000_NS6detail17trampoline_kernelINS0_14default_configENS1_25partition_config_selectorILNS1_17partition_subalgoE9EllbEEZZNS1_14partition_implILS5_9ELb0ES3_jPlS8_PNS0_10empty_typeENS0_5tupleIJS8_S9_EEENSB_IJS8_SA_EEENS0_18inequality_wrapperIZN2at6native12_GLOBAL__N_124unique_dim_cuda_templateIhEESt5tupleIJNSF_6TensorESK_SK_EERKSK_lbbbEUlllE0_EEPmJS9_EEE10hipError_tPvRmT3_T4_T5_T6_T7_T9_mT8_P12ihipStream_tbDpT10_ENKUlT_T0_E_clISt17integral_constantIbLb0EES19_IbLb1EEEEDaS15_S16_EUlS15_E_NS1_11comp_targetILNS1_3genE10ELNS1_11target_archE1200ELNS1_3gpuE4ELNS1_3repE0EEENS1_30default_config_static_selectorELNS0_4arch9wavefront6targetE1EEEvT1_,comdat
	.globl	_ZN7rocprim17ROCPRIM_400000_NS6detail17trampoline_kernelINS0_14default_configENS1_25partition_config_selectorILNS1_17partition_subalgoE9EllbEEZZNS1_14partition_implILS5_9ELb0ES3_jPlS8_PNS0_10empty_typeENS0_5tupleIJS8_S9_EEENSB_IJS8_SA_EEENS0_18inequality_wrapperIZN2at6native12_GLOBAL__N_124unique_dim_cuda_templateIhEESt5tupleIJNSF_6TensorESK_SK_EERKSK_lbbbEUlllE0_EEPmJS9_EEE10hipError_tPvRmT3_T4_T5_T6_T7_T9_mT8_P12ihipStream_tbDpT10_ENKUlT_T0_E_clISt17integral_constantIbLb0EES19_IbLb1EEEEDaS15_S16_EUlS15_E_NS1_11comp_targetILNS1_3genE10ELNS1_11target_archE1200ELNS1_3gpuE4ELNS1_3repE0EEENS1_30default_config_static_selectorELNS0_4arch9wavefront6targetE1EEEvT1_ ; -- Begin function _ZN7rocprim17ROCPRIM_400000_NS6detail17trampoline_kernelINS0_14default_configENS1_25partition_config_selectorILNS1_17partition_subalgoE9EllbEEZZNS1_14partition_implILS5_9ELb0ES3_jPlS8_PNS0_10empty_typeENS0_5tupleIJS8_S9_EEENSB_IJS8_SA_EEENS0_18inequality_wrapperIZN2at6native12_GLOBAL__N_124unique_dim_cuda_templateIhEESt5tupleIJNSF_6TensorESK_SK_EERKSK_lbbbEUlllE0_EEPmJS9_EEE10hipError_tPvRmT3_T4_T5_T6_T7_T9_mT8_P12ihipStream_tbDpT10_ENKUlT_T0_E_clISt17integral_constantIbLb0EES19_IbLb1EEEEDaS15_S16_EUlS15_E_NS1_11comp_targetILNS1_3genE10ELNS1_11target_archE1200ELNS1_3gpuE4ELNS1_3repE0EEENS1_30default_config_static_selectorELNS0_4arch9wavefront6targetE1EEEvT1_
	.p2align	8
	.type	_ZN7rocprim17ROCPRIM_400000_NS6detail17trampoline_kernelINS0_14default_configENS1_25partition_config_selectorILNS1_17partition_subalgoE9EllbEEZZNS1_14partition_implILS5_9ELb0ES3_jPlS8_PNS0_10empty_typeENS0_5tupleIJS8_S9_EEENSB_IJS8_SA_EEENS0_18inequality_wrapperIZN2at6native12_GLOBAL__N_124unique_dim_cuda_templateIhEESt5tupleIJNSF_6TensorESK_SK_EERKSK_lbbbEUlllE0_EEPmJS9_EEE10hipError_tPvRmT3_T4_T5_T6_T7_T9_mT8_P12ihipStream_tbDpT10_ENKUlT_T0_E_clISt17integral_constantIbLb0EES19_IbLb1EEEEDaS15_S16_EUlS15_E_NS1_11comp_targetILNS1_3genE10ELNS1_11target_archE1200ELNS1_3gpuE4ELNS1_3repE0EEENS1_30default_config_static_selectorELNS0_4arch9wavefront6targetE1EEEvT1_,@function
_ZN7rocprim17ROCPRIM_400000_NS6detail17trampoline_kernelINS0_14default_configENS1_25partition_config_selectorILNS1_17partition_subalgoE9EllbEEZZNS1_14partition_implILS5_9ELb0ES3_jPlS8_PNS0_10empty_typeENS0_5tupleIJS8_S9_EEENSB_IJS8_SA_EEENS0_18inequality_wrapperIZN2at6native12_GLOBAL__N_124unique_dim_cuda_templateIhEESt5tupleIJNSF_6TensorESK_SK_EERKSK_lbbbEUlllE0_EEPmJS9_EEE10hipError_tPvRmT3_T4_T5_T6_T7_T9_mT8_P12ihipStream_tbDpT10_ENKUlT_T0_E_clISt17integral_constantIbLb0EES19_IbLb1EEEEDaS15_S16_EUlS15_E_NS1_11comp_targetILNS1_3genE10ELNS1_11target_archE1200ELNS1_3gpuE4ELNS1_3repE0EEENS1_30default_config_static_selectorELNS0_4arch9wavefront6targetE1EEEvT1_: ; @_ZN7rocprim17ROCPRIM_400000_NS6detail17trampoline_kernelINS0_14default_configENS1_25partition_config_selectorILNS1_17partition_subalgoE9EllbEEZZNS1_14partition_implILS5_9ELb0ES3_jPlS8_PNS0_10empty_typeENS0_5tupleIJS8_S9_EEENSB_IJS8_SA_EEENS0_18inequality_wrapperIZN2at6native12_GLOBAL__N_124unique_dim_cuda_templateIhEESt5tupleIJNSF_6TensorESK_SK_EERKSK_lbbbEUlllE0_EEPmJS9_EEE10hipError_tPvRmT3_T4_T5_T6_T7_T9_mT8_P12ihipStream_tbDpT10_ENKUlT_T0_E_clISt17integral_constantIbLb0EES19_IbLb1EEEEDaS15_S16_EUlS15_E_NS1_11comp_targetILNS1_3genE10ELNS1_11target_archE1200ELNS1_3gpuE4ELNS1_3repE0EEENS1_30default_config_static_selectorELNS0_4arch9wavefront6targetE1EEEvT1_
; %bb.0:
	.section	.rodata,"a",@progbits
	.p2align	6, 0x0
	.amdhsa_kernel _ZN7rocprim17ROCPRIM_400000_NS6detail17trampoline_kernelINS0_14default_configENS1_25partition_config_selectorILNS1_17partition_subalgoE9EllbEEZZNS1_14partition_implILS5_9ELb0ES3_jPlS8_PNS0_10empty_typeENS0_5tupleIJS8_S9_EEENSB_IJS8_SA_EEENS0_18inequality_wrapperIZN2at6native12_GLOBAL__N_124unique_dim_cuda_templateIhEESt5tupleIJNSF_6TensorESK_SK_EERKSK_lbbbEUlllE0_EEPmJS9_EEE10hipError_tPvRmT3_T4_T5_T6_T7_T9_mT8_P12ihipStream_tbDpT10_ENKUlT_T0_E_clISt17integral_constantIbLb0EES19_IbLb1EEEEDaS15_S16_EUlS15_E_NS1_11comp_targetILNS1_3genE10ELNS1_11target_archE1200ELNS1_3gpuE4ELNS1_3repE0EEENS1_30default_config_static_selectorELNS0_4arch9wavefront6targetE1EEEvT1_
		.amdhsa_group_segment_fixed_size 0
		.amdhsa_private_segment_fixed_size 0
		.amdhsa_kernarg_size 136
		.amdhsa_user_sgpr_count 2
		.amdhsa_user_sgpr_dispatch_ptr 0
		.amdhsa_user_sgpr_queue_ptr 0
		.amdhsa_user_sgpr_kernarg_segment_ptr 1
		.amdhsa_user_sgpr_dispatch_id 0
		.amdhsa_user_sgpr_kernarg_preload_length 0
		.amdhsa_user_sgpr_kernarg_preload_offset 0
		.amdhsa_user_sgpr_private_segment_size 0
		.amdhsa_uses_dynamic_stack 0
		.amdhsa_enable_private_segment 0
		.amdhsa_system_sgpr_workgroup_id_x 1
		.amdhsa_system_sgpr_workgroup_id_y 0
		.amdhsa_system_sgpr_workgroup_id_z 0
		.amdhsa_system_sgpr_workgroup_info 0
		.amdhsa_system_vgpr_workitem_id 0
		.amdhsa_next_free_vgpr 1
		.amdhsa_next_free_sgpr 0
		.amdhsa_accum_offset 4
		.amdhsa_reserve_vcc 0
		.amdhsa_float_round_mode_32 0
		.amdhsa_float_round_mode_16_64 0
		.amdhsa_float_denorm_mode_32 3
		.amdhsa_float_denorm_mode_16_64 3
		.amdhsa_dx10_clamp 1
		.amdhsa_ieee_mode 1
		.amdhsa_fp16_overflow 0
		.amdhsa_tg_split 0
		.amdhsa_exception_fp_ieee_invalid_op 0
		.amdhsa_exception_fp_denorm_src 0
		.amdhsa_exception_fp_ieee_div_zero 0
		.amdhsa_exception_fp_ieee_overflow 0
		.amdhsa_exception_fp_ieee_underflow 0
		.amdhsa_exception_fp_ieee_inexact 0
		.amdhsa_exception_int_div_zero 0
	.end_amdhsa_kernel
	.section	.text._ZN7rocprim17ROCPRIM_400000_NS6detail17trampoline_kernelINS0_14default_configENS1_25partition_config_selectorILNS1_17partition_subalgoE9EllbEEZZNS1_14partition_implILS5_9ELb0ES3_jPlS8_PNS0_10empty_typeENS0_5tupleIJS8_S9_EEENSB_IJS8_SA_EEENS0_18inequality_wrapperIZN2at6native12_GLOBAL__N_124unique_dim_cuda_templateIhEESt5tupleIJNSF_6TensorESK_SK_EERKSK_lbbbEUlllE0_EEPmJS9_EEE10hipError_tPvRmT3_T4_T5_T6_T7_T9_mT8_P12ihipStream_tbDpT10_ENKUlT_T0_E_clISt17integral_constantIbLb0EES19_IbLb1EEEEDaS15_S16_EUlS15_E_NS1_11comp_targetILNS1_3genE10ELNS1_11target_archE1200ELNS1_3gpuE4ELNS1_3repE0EEENS1_30default_config_static_selectorELNS0_4arch9wavefront6targetE1EEEvT1_,"axG",@progbits,_ZN7rocprim17ROCPRIM_400000_NS6detail17trampoline_kernelINS0_14default_configENS1_25partition_config_selectorILNS1_17partition_subalgoE9EllbEEZZNS1_14partition_implILS5_9ELb0ES3_jPlS8_PNS0_10empty_typeENS0_5tupleIJS8_S9_EEENSB_IJS8_SA_EEENS0_18inequality_wrapperIZN2at6native12_GLOBAL__N_124unique_dim_cuda_templateIhEESt5tupleIJNSF_6TensorESK_SK_EERKSK_lbbbEUlllE0_EEPmJS9_EEE10hipError_tPvRmT3_T4_T5_T6_T7_T9_mT8_P12ihipStream_tbDpT10_ENKUlT_T0_E_clISt17integral_constantIbLb0EES19_IbLb1EEEEDaS15_S16_EUlS15_E_NS1_11comp_targetILNS1_3genE10ELNS1_11target_archE1200ELNS1_3gpuE4ELNS1_3repE0EEENS1_30default_config_static_selectorELNS0_4arch9wavefront6targetE1EEEvT1_,comdat
.Lfunc_end234:
	.size	_ZN7rocprim17ROCPRIM_400000_NS6detail17trampoline_kernelINS0_14default_configENS1_25partition_config_selectorILNS1_17partition_subalgoE9EllbEEZZNS1_14partition_implILS5_9ELb0ES3_jPlS8_PNS0_10empty_typeENS0_5tupleIJS8_S9_EEENSB_IJS8_SA_EEENS0_18inequality_wrapperIZN2at6native12_GLOBAL__N_124unique_dim_cuda_templateIhEESt5tupleIJNSF_6TensorESK_SK_EERKSK_lbbbEUlllE0_EEPmJS9_EEE10hipError_tPvRmT3_T4_T5_T6_T7_T9_mT8_P12ihipStream_tbDpT10_ENKUlT_T0_E_clISt17integral_constantIbLb0EES19_IbLb1EEEEDaS15_S16_EUlS15_E_NS1_11comp_targetILNS1_3genE10ELNS1_11target_archE1200ELNS1_3gpuE4ELNS1_3repE0EEENS1_30default_config_static_selectorELNS0_4arch9wavefront6targetE1EEEvT1_, .Lfunc_end234-_ZN7rocprim17ROCPRIM_400000_NS6detail17trampoline_kernelINS0_14default_configENS1_25partition_config_selectorILNS1_17partition_subalgoE9EllbEEZZNS1_14partition_implILS5_9ELb0ES3_jPlS8_PNS0_10empty_typeENS0_5tupleIJS8_S9_EEENSB_IJS8_SA_EEENS0_18inequality_wrapperIZN2at6native12_GLOBAL__N_124unique_dim_cuda_templateIhEESt5tupleIJNSF_6TensorESK_SK_EERKSK_lbbbEUlllE0_EEPmJS9_EEE10hipError_tPvRmT3_T4_T5_T6_T7_T9_mT8_P12ihipStream_tbDpT10_ENKUlT_T0_E_clISt17integral_constantIbLb0EES19_IbLb1EEEEDaS15_S16_EUlS15_E_NS1_11comp_targetILNS1_3genE10ELNS1_11target_archE1200ELNS1_3gpuE4ELNS1_3repE0EEENS1_30default_config_static_selectorELNS0_4arch9wavefront6targetE1EEEvT1_
                                        ; -- End function
	.section	.AMDGPU.csdata,"",@progbits
; Kernel info:
; codeLenInByte = 0
; NumSgprs: 6
; NumVgprs: 0
; NumAgprs: 0
; TotalNumVgprs: 0
; ScratchSize: 0
; MemoryBound: 0
; FloatMode: 240
; IeeeMode: 1
; LDSByteSize: 0 bytes/workgroup (compile time only)
; SGPRBlocks: 0
; VGPRBlocks: 0
; NumSGPRsForWavesPerEU: 6
; NumVGPRsForWavesPerEU: 1
; AccumOffset: 4
; Occupancy: 8
; WaveLimiterHint : 0
; COMPUTE_PGM_RSRC2:SCRATCH_EN: 0
; COMPUTE_PGM_RSRC2:USER_SGPR: 2
; COMPUTE_PGM_RSRC2:TRAP_HANDLER: 0
; COMPUTE_PGM_RSRC2:TGID_X_EN: 1
; COMPUTE_PGM_RSRC2:TGID_Y_EN: 0
; COMPUTE_PGM_RSRC2:TGID_Z_EN: 0
; COMPUTE_PGM_RSRC2:TIDIG_COMP_CNT: 0
; COMPUTE_PGM_RSRC3_GFX90A:ACCUM_OFFSET: 0
; COMPUTE_PGM_RSRC3_GFX90A:TG_SPLIT: 0
	.section	.text._ZN7rocprim17ROCPRIM_400000_NS6detail17trampoline_kernelINS0_14default_configENS1_25partition_config_selectorILNS1_17partition_subalgoE9EllbEEZZNS1_14partition_implILS5_9ELb0ES3_jPlS8_PNS0_10empty_typeENS0_5tupleIJS8_S9_EEENSB_IJS8_SA_EEENS0_18inequality_wrapperIZN2at6native12_GLOBAL__N_124unique_dim_cuda_templateIhEESt5tupleIJNSF_6TensorESK_SK_EERKSK_lbbbEUlllE0_EEPmJS9_EEE10hipError_tPvRmT3_T4_T5_T6_T7_T9_mT8_P12ihipStream_tbDpT10_ENKUlT_T0_E_clISt17integral_constantIbLb0EES19_IbLb1EEEEDaS15_S16_EUlS15_E_NS1_11comp_targetILNS1_3genE9ELNS1_11target_archE1100ELNS1_3gpuE3ELNS1_3repE0EEENS1_30default_config_static_selectorELNS0_4arch9wavefront6targetE1EEEvT1_,"axG",@progbits,_ZN7rocprim17ROCPRIM_400000_NS6detail17trampoline_kernelINS0_14default_configENS1_25partition_config_selectorILNS1_17partition_subalgoE9EllbEEZZNS1_14partition_implILS5_9ELb0ES3_jPlS8_PNS0_10empty_typeENS0_5tupleIJS8_S9_EEENSB_IJS8_SA_EEENS0_18inequality_wrapperIZN2at6native12_GLOBAL__N_124unique_dim_cuda_templateIhEESt5tupleIJNSF_6TensorESK_SK_EERKSK_lbbbEUlllE0_EEPmJS9_EEE10hipError_tPvRmT3_T4_T5_T6_T7_T9_mT8_P12ihipStream_tbDpT10_ENKUlT_T0_E_clISt17integral_constantIbLb0EES19_IbLb1EEEEDaS15_S16_EUlS15_E_NS1_11comp_targetILNS1_3genE9ELNS1_11target_archE1100ELNS1_3gpuE3ELNS1_3repE0EEENS1_30default_config_static_selectorELNS0_4arch9wavefront6targetE1EEEvT1_,comdat
	.globl	_ZN7rocprim17ROCPRIM_400000_NS6detail17trampoline_kernelINS0_14default_configENS1_25partition_config_selectorILNS1_17partition_subalgoE9EllbEEZZNS1_14partition_implILS5_9ELb0ES3_jPlS8_PNS0_10empty_typeENS0_5tupleIJS8_S9_EEENSB_IJS8_SA_EEENS0_18inequality_wrapperIZN2at6native12_GLOBAL__N_124unique_dim_cuda_templateIhEESt5tupleIJNSF_6TensorESK_SK_EERKSK_lbbbEUlllE0_EEPmJS9_EEE10hipError_tPvRmT3_T4_T5_T6_T7_T9_mT8_P12ihipStream_tbDpT10_ENKUlT_T0_E_clISt17integral_constantIbLb0EES19_IbLb1EEEEDaS15_S16_EUlS15_E_NS1_11comp_targetILNS1_3genE9ELNS1_11target_archE1100ELNS1_3gpuE3ELNS1_3repE0EEENS1_30default_config_static_selectorELNS0_4arch9wavefront6targetE1EEEvT1_ ; -- Begin function _ZN7rocprim17ROCPRIM_400000_NS6detail17trampoline_kernelINS0_14default_configENS1_25partition_config_selectorILNS1_17partition_subalgoE9EllbEEZZNS1_14partition_implILS5_9ELb0ES3_jPlS8_PNS0_10empty_typeENS0_5tupleIJS8_S9_EEENSB_IJS8_SA_EEENS0_18inequality_wrapperIZN2at6native12_GLOBAL__N_124unique_dim_cuda_templateIhEESt5tupleIJNSF_6TensorESK_SK_EERKSK_lbbbEUlllE0_EEPmJS9_EEE10hipError_tPvRmT3_T4_T5_T6_T7_T9_mT8_P12ihipStream_tbDpT10_ENKUlT_T0_E_clISt17integral_constantIbLb0EES19_IbLb1EEEEDaS15_S16_EUlS15_E_NS1_11comp_targetILNS1_3genE9ELNS1_11target_archE1100ELNS1_3gpuE3ELNS1_3repE0EEENS1_30default_config_static_selectorELNS0_4arch9wavefront6targetE1EEEvT1_
	.p2align	8
	.type	_ZN7rocprim17ROCPRIM_400000_NS6detail17trampoline_kernelINS0_14default_configENS1_25partition_config_selectorILNS1_17partition_subalgoE9EllbEEZZNS1_14partition_implILS5_9ELb0ES3_jPlS8_PNS0_10empty_typeENS0_5tupleIJS8_S9_EEENSB_IJS8_SA_EEENS0_18inequality_wrapperIZN2at6native12_GLOBAL__N_124unique_dim_cuda_templateIhEESt5tupleIJNSF_6TensorESK_SK_EERKSK_lbbbEUlllE0_EEPmJS9_EEE10hipError_tPvRmT3_T4_T5_T6_T7_T9_mT8_P12ihipStream_tbDpT10_ENKUlT_T0_E_clISt17integral_constantIbLb0EES19_IbLb1EEEEDaS15_S16_EUlS15_E_NS1_11comp_targetILNS1_3genE9ELNS1_11target_archE1100ELNS1_3gpuE3ELNS1_3repE0EEENS1_30default_config_static_selectorELNS0_4arch9wavefront6targetE1EEEvT1_,@function
_ZN7rocprim17ROCPRIM_400000_NS6detail17trampoline_kernelINS0_14default_configENS1_25partition_config_selectorILNS1_17partition_subalgoE9EllbEEZZNS1_14partition_implILS5_9ELb0ES3_jPlS8_PNS0_10empty_typeENS0_5tupleIJS8_S9_EEENSB_IJS8_SA_EEENS0_18inequality_wrapperIZN2at6native12_GLOBAL__N_124unique_dim_cuda_templateIhEESt5tupleIJNSF_6TensorESK_SK_EERKSK_lbbbEUlllE0_EEPmJS9_EEE10hipError_tPvRmT3_T4_T5_T6_T7_T9_mT8_P12ihipStream_tbDpT10_ENKUlT_T0_E_clISt17integral_constantIbLb0EES19_IbLb1EEEEDaS15_S16_EUlS15_E_NS1_11comp_targetILNS1_3genE9ELNS1_11target_archE1100ELNS1_3gpuE3ELNS1_3repE0EEENS1_30default_config_static_selectorELNS0_4arch9wavefront6targetE1EEEvT1_: ; @_ZN7rocprim17ROCPRIM_400000_NS6detail17trampoline_kernelINS0_14default_configENS1_25partition_config_selectorILNS1_17partition_subalgoE9EllbEEZZNS1_14partition_implILS5_9ELb0ES3_jPlS8_PNS0_10empty_typeENS0_5tupleIJS8_S9_EEENSB_IJS8_SA_EEENS0_18inequality_wrapperIZN2at6native12_GLOBAL__N_124unique_dim_cuda_templateIhEESt5tupleIJNSF_6TensorESK_SK_EERKSK_lbbbEUlllE0_EEPmJS9_EEE10hipError_tPvRmT3_T4_T5_T6_T7_T9_mT8_P12ihipStream_tbDpT10_ENKUlT_T0_E_clISt17integral_constantIbLb0EES19_IbLb1EEEEDaS15_S16_EUlS15_E_NS1_11comp_targetILNS1_3genE9ELNS1_11target_archE1100ELNS1_3gpuE3ELNS1_3repE0EEENS1_30default_config_static_selectorELNS0_4arch9wavefront6targetE1EEEvT1_
; %bb.0:
	.section	.rodata,"a",@progbits
	.p2align	6, 0x0
	.amdhsa_kernel _ZN7rocprim17ROCPRIM_400000_NS6detail17trampoline_kernelINS0_14default_configENS1_25partition_config_selectorILNS1_17partition_subalgoE9EllbEEZZNS1_14partition_implILS5_9ELb0ES3_jPlS8_PNS0_10empty_typeENS0_5tupleIJS8_S9_EEENSB_IJS8_SA_EEENS0_18inequality_wrapperIZN2at6native12_GLOBAL__N_124unique_dim_cuda_templateIhEESt5tupleIJNSF_6TensorESK_SK_EERKSK_lbbbEUlllE0_EEPmJS9_EEE10hipError_tPvRmT3_T4_T5_T6_T7_T9_mT8_P12ihipStream_tbDpT10_ENKUlT_T0_E_clISt17integral_constantIbLb0EES19_IbLb1EEEEDaS15_S16_EUlS15_E_NS1_11comp_targetILNS1_3genE9ELNS1_11target_archE1100ELNS1_3gpuE3ELNS1_3repE0EEENS1_30default_config_static_selectorELNS0_4arch9wavefront6targetE1EEEvT1_
		.amdhsa_group_segment_fixed_size 0
		.amdhsa_private_segment_fixed_size 0
		.amdhsa_kernarg_size 136
		.amdhsa_user_sgpr_count 2
		.amdhsa_user_sgpr_dispatch_ptr 0
		.amdhsa_user_sgpr_queue_ptr 0
		.amdhsa_user_sgpr_kernarg_segment_ptr 1
		.amdhsa_user_sgpr_dispatch_id 0
		.amdhsa_user_sgpr_kernarg_preload_length 0
		.amdhsa_user_sgpr_kernarg_preload_offset 0
		.amdhsa_user_sgpr_private_segment_size 0
		.amdhsa_uses_dynamic_stack 0
		.amdhsa_enable_private_segment 0
		.amdhsa_system_sgpr_workgroup_id_x 1
		.amdhsa_system_sgpr_workgroup_id_y 0
		.amdhsa_system_sgpr_workgroup_id_z 0
		.amdhsa_system_sgpr_workgroup_info 0
		.amdhsa_system_vgpr_workitem_id 0
		.amdhsa_next_free_vgpr 1
		.amdhsa_next_free_sgpr 0
		.amdhsa_accum_offset 4
		.amdhsa_reserve_vcc 0
		.amdhsa_float_round_mode_32 0
		.amdhsa_float_round_mode_16_64 0
		.amdhsa_float_denorm_mode_32 3
		.amdhsa_float_denorm_mode_16_64 3
		.amdhsa_dx10_clamp 1
		.amdhsa_ieee_mode 1
		.amdhsa_fp16_overflow 0
		.amdhsa_tg_split 0
		.amdhsa_exception_fp_ieee_invalid_op 0
		.amdhsa_exception_fp_denorm_src 0
		.amdhsa_exception_fp_ieee_div_zero 0
		.amdhsa_exception_fp_ieee_overflow 0
		.amdhsa_exception_fp_ieee_underflow 0
		.amdhsa_exception_fp_ieee_inexact 0
		.amdhsa_exception_int_div_zero 0
	.end_amdhsa_kernel
	.section	.text._ZN7rocprim17ROCPRIM_400000_NS6detail17trampoline_kernelINS0_14default_configENS1_25partition_config_selectorILNS1_17partition_subalgoE9EllbEEZZNS1_14partition_implILS5_9ELb0ES3_jPlS8_PNS0_10empty_typeENS0_5tupleIJS8_S9_EEENSB_IJS8_SA_EEENS0_18inequality_wrapperIZN2at6native12_GLOBAL__N_124unique_dim_cuda_templateIhEESt5tupleIJNSF_6TensorESK_SK_EERKSK_lbbbEUlllE0_EEPmJS9_EEE10hipError_tPvRmT3_T4_T5_T6_T7_T9_mT8_P12ihipStream_tbDpT10_ENKUlT_T0_E_clISt17integral_constantIbLb0EES19_IbLb1EEEEDaS15_S16_EUlS15_E_NS1_11comp_targetILNS1_3genE9ELNS1_11target_archE1100ELNS1_3gpuE3ELNS1_3repE0EEENS1_30default_config_static_selectorELNS0_4arch9wavefront6targetE1EEEvT1_,"axG",@progbits,_ZN7rocprim17ROCPRIM_400000_NS6detail17trampoline_kernelINS0_14default_configENS1_25partition_config_selectorILNS1_17partition_subalgoE9EllbEEZZNS1_14partition_implILS5_9ELb0ES3_jPlS8_PNS0_10empty_typeENS0_5tupleIJS8_S9_EEENSB_IJS8_SA_EEENS0_18inequality_wrapperIZN2at6native12_GLOBAL__N_124unique_dim_cuda_templateIhEESt5tupleIJNSF_6TensorESK_SK_EERKSK_lbbbEUlllE0_EEPmJS9_EEE10hipError_tPvRmT3_T4_T5_T6_T7_T9_mT8_P12ihipStream_tbDpT10_ENKUlT_T0_E_clISt17integral_constantIbLb0EES19_IbLb1EEEEDaS15_S16_EUlS15_E_NS1_11comp_targetILNS1_3genE9ELNS1_11target_archE1100ELNS1_3gpuE3ELNS1_3repE0EEENS1_30default_config_static_selectorELNS0_4arch9wavefront6targetE1EEEvT1_,comdat
.Lfunc_end235:
	.size	_ZN7rocprim17ROCPRIM_400000_NS6detail17trampoline_kernelINS0_14default_configENS1_25partition_config_selectorILNS1_17partition_subalgoE9EllbEEZZNS1_14partition_implILS5_9ELb0ES3_jPlS8_PNS0_10empty_typeENS0_5tupleIJS8_S9_EEENSB_IJS8_SA_EEENS0_18inequality_wrapperIZN2at6native12_GLOBAL__N_124unique_dim_cuda_templateIhEESt5tupleIJNSF_6TensorESK_SK_EERKSK_lbbbEUlllE0_EEPmJS9_EEE10hipError_tPvRmT3_T4_T5_T6_T7_T9_mT8_P12ihipStream_tbDpT10_ENKUlT_T0_E_clISt17integral_constantIbLb0EES19_IbLb1EEEEDaS15_S16_EUlS15_E_NS1_11comp_targetILNS1_3genE9ELNS1_11target_archE1100ELNS1_3gpuE3ELNS1_3repE0EEENS1_30default_config_static_selectorELNS0_4arch9wavefront6targetE1EEEvT1_, .Lfunc_end235-_ZN7rocprim17ROCPRIM_400000_NS6detail17trampoline_kernelINS0_14default_configENS1_25partition_config_selectorILNS1_17partition_subalgoE9EllbEEZZNS1_14partition_implILS5_9ELb0ES3_jPlS8_PNS0_10empty_typeENS0_5tupleIJS8_S9_EEENSB_IJS8_SA_EEENS0_18inequality_wrapperIZN2at6native12_GLOBAL__N_124unique_dim_cuda_templateIhEESt5tupleIJNSF_6TensorESK_SK_EERKSK_lbbbEUlllE0_EEPmJS9_EEE10hipError_tPvRmT3_T4_T5_T6_T7_T9_mT8_P12ihipStream_tbDpT10_ENKUlT_T0_E_clISt17integral_constantIbLb0EES19_IbLb1EEEEDaS15_S16_EUlS15_E_NS1_11comp_targetILNS1_3genE9ELNS1_11target_archE1100ELNS1_3gpuE3ELNS1_3repE0EEENS1_30default_config_static_selectorELNS0_4arch9wavefront6targetE1EEEvT1_
                                        ; -- End function
	.section	.AMDGPU.csdata,"",@progbits
; Kernel info:
; codeLenInByte = 0
; NumSgprs: 6
; NumVgprs: 0
; NumAgprs: 0
; TotalNumVgprs: 0
; ScratchSize: 0
; MemoryBound: 0
; FloatMode: 240
; IeeeMode: 1
; LDSByteSize: 0 bytes/workgroup (compile time only)
; SGPRBlocks: 0
; VGPRBlocks: 0
; NumSGPRsForWavesPerEU: 6
; NumVGPRsForWavesPerEU: 1
; AccumOffset: 4
; Occupancy: 8
; WaveLimiterHint : 0
; COMPUTE_PGM_RSRC2:SCRATCH_EN: 0
; COMPUTE_PGM_RSRC2:USER_SGPR: 2
; COMPUTE_PGM_RSRC2:TRAP_HANDLER: 0
; COMPUTE_PGM_RSRC2:TGID_X_EN: 1
; COMPUTE_PGM_RSRC2:TGID_Y_EN: 0
; COMPUTE_PGM_RSRC2:TGID_Z_EN: 0
; COMPUTE_PGM_RSRC2:TIDIG_COMP_CNT: 0
; COMPUTE_PGM_RSRC3_GFX90A:ACCUM_OFFSET: 0
; COMPUTE_PGM_RSRC3_GFX90A:TG_SPLIT: 0
	.section	.text._ZN7rocprim17ROCPRIM_400000_NS6detail17trampoline_kernelINS0_14default_configENS1_25partition_config_selectorILNS1_17partition_subalgoE9EllbEEZZNS1_14partition_implILS5_9ELb0ES3_jPlS8_PNS0_10empty_typeENS0_5tupleIJS8_S9_EEENSB_IJS8_SA_EEENS0_18inequality_wrapperIZN2at6native12_GLOBAL__N_124unique_dim_cuda_templateIhEESt5tupleIJNSF_6TensorESK_SK_EERKSK_lbbbEUlllE0_EEPmJS9_EEE10hipError_tPvRmT3_T4_T5_T6_T7_T9_mT8_P12ihipStream_tbDpT10_ENKUlT_T0_E_clISt17integral_constantIbLb0EES19_IbLb1EEEEDaS15_S16_EUlS15_E_NS1_11comp_targetILNS1_3genE8ELNS1_11target_archE1030ELNS1_3gpuE2ELNS1_3repE0EEENS1_30default_config_static_selectorELNS0_4arch9wavefront6targetE1EEEvT1_,"axG",@progbits,_ZN7rocprim17ROCPRIM_400000_NS6detail17trampoline_kernelINS0_14default_configENS1_25partition_config_selectorILNS1_17partition_subalgoE9EllbEEZZNS1_14partition_implILS5_9ELb0ES3_jPlS8_PNS0_10empty_typeENS0_5tupleIJS8_S9_EEENSB_IJS8_SA_EEENS0_18inequality_wrapperIZN2at6native12_GLOBAL__N_124unique_dim_cuda_templateIhEESt5tupleIJNSF_6TensorESK_SK_EERKSK_lbbbEUlllE0_EEPmJS9_EEE10hipError_tPvRmT3_T4_T5_T6_T7_T9_mT8_P12ihipStream_tbDpT10_ENKUlT_T0_E_clISt17integral_constantIbLb0EES19_IbLb1EEEEDaS15_S16_EUlS15_E_NS1_11comp_targetILNS1_3genE8ELNS1_11target_archE1030ELNS1_3gpuE2ELNS1_3repE0EEENS1_30default_config_static_selectorELNS0_4arch9wavefront6targetE1EEEvT1_,comdat
	.globl	_ZN7rocprim17ROCPRIM_400000_NS6detail17trampoline_kernelINS0_14default_configENS1_25partition_config_selectorILNS1_17partition_subalgoE9EllbEEZZNS1_14partition_implILS5_9ELb0ES3_jPlS8_PNS0_10empty_typeENS0_5tupleIJS8_S9_EEENSB_IJS8_SA_EEENS0_18inequality_wrapperIZN2at6native12_GLOBAL__N_124unique_dim_cuda_templateIhEESt5tupleIJNSF_6TensorESK_SK_EERKSK_lbbbEUlllE0_EEPmJS9_EEE10hipError_tPvRmT3_T4_T5_T6_T7_T9_mT8_P12ihipStream_tbDpT10_ENKUlT_T0_E_clISt17integral_constantIbLb0EES19_IbLb1EEEEDaS15_S16_EUlS15_E_NS1_11comp_targetILNS1_3genE8ELNS1_11target_archE1030ELNS1_3gpuE2ELNS1_3repE0EEENS1_30default_config_static_selectorELNS0_4arch9wavefront6targetE1EEEvT1_ ; -- Begin function _ZN7rocprim17ROCPRIM_400000_NS6detail17trampoline_kernelINS0_14default_configENS1_25partition_config_selectorILNS1_17partition_subalgoE9EllbEEZZNS1_14partition_implILS5_9ELb0ES3_jPlS8_PNS0_10empty_typeENS0_5tupleIJS8_S9_EEENSB_IJS8_SA_EEENS0_18inequality_wrapperIZN2at6native12_GLOBAL__N_124unique_dim_cuda_templateIhEESt5tupleIJNSF_6TensorESK_SK_EERKSK_lbbbEUlllE0_EEPmJS9_EEE10hipError_tPvRmT3_T4_T5_T6_T7_T9_mT8_P12ihipStream_tbDpT10_ENKUlT_T0_E_clISt17integral_constantIbLb0EES19_IbLb1EEEEDaS15_S16_EUlS15_E_NS1_11comp_targetILNS1_3genE8ELNS1_11target_archE1030ELNS1_3gpuE2ELNS1_3repE0EEENS1_30default_config_static_selectorELNS0_4arch9wavefront6targetE1EEEvT1_
	.p2align	8
	.type	_ZN7rocprim17ROCPRIM_400000_NS6detail17trampoline_kernelINS0_14default_configENS1_25partition_config_selectorILNS1_17partition_subalgoE9EllbEEZZNS1_14partition_implILS5_9ELb0ES3_jPlS8_PNS0_10empty_typeENS0_5tupleIJS8_S9_EEENSB_IJS8_SA_EEENS0_18inequality_wrapperIZN2at6native12_GLOBAL__N_124unique_dim_cuda_templateIhEESt5tupleIJNSF_6TensorESK_SK_EERKSK_lbbbEUlllE0_EEPmJS9_EEE10hipError_tPvRmT3_T4_T5_T6_T7_T9_mT8_P12ihipStream_tbDpT10_ENKUlT_T0_E_clISt17integral_constantIbLb0EES19_IbLb1EEEEDaS15_S16_EUlS15_E_NS1_11comp_targetILNS1_3genE8ELNS1_11target_archE1030ELNS1_3gpuE2ELNS1_3repE0EEENS1_30default_config_static_selectorELNS0_4arch9wavefront6targetE1EEEvT1_,@function
_ZN7rocprim17ROCPRIM_400000_NS6detail17trampoline_kernelINS0_14default_configENS1_25partition_config_selectorILNS1_17partition_subalgoE9EllbEEZZNS1_14partition_implILS5_9ELb0ES3_jPlS8_PNS0_10empty_typeENS0_5tupleIJS8_S9_EEENSB_IJS8_SA_EEENS0_18inequality_wrapperIZN2at6native12_GLOBAL__N_124unique_dim_cuda_templateIhEESt5tupleIJNSF_6TensorESK_SK_EERKSK_lbbbEUlllE0_EEPmJS9_EEE10hipError_tPvRmT3_T4_T5_T6_T7_T9_mT8_P12ihipStream_tbDpT10_ENKUlT_T0_E_clISt17integral_constantIbLb0EES19_IbLb1EEEEDaS15_S16_EUlS15_E_NS1_11comp_targetILNS1_3genE8ELNS1_11target_archE1030ELNS1_3gpuE2ELNS1_3repE0EEENS1_30default_config_static_selectorELNS0_4arch9wavefront6targetE1EEEvT1_: ; @_ZN7rocprim17ROCPRIM_400000_NS6detail17trampoline_kernelINS0_14default_configENS1_25partition_config_selectorILNS1_17partition_subalgoE9EllbEEZZNS1_14partition_implILS5_9ELb0ES3_jPlS8_PNS0_10empty_typeENS0_5tupleIJS8_S9_EEENSB_IJS8_SA_EEENS0_18inequality_wrapperIZN2at6native12_GLOBAL__N_124unique_dim_cuda_templateIhEESt5tupleIJNSF_6TensorESK_SK_EERKSK_lbbbEUlllE0_EEPmJS9_EEE10hipError_tPvRmT3_T4_T5_T6_T7_T9_mT8_P12ihipStream_tbDpT10_ENKUlT_T0_E_clISt17integral_constantIbLb0EES19_IbLb1EEEEDaS15_S16_EUlS15_E_NS1_11comp_targetILNS1_3genE8ELNS1_11target_archE1030ELNS1_3gpuE2ELNS1_3repE0EEENS1_30default_config_static_selectorELNS0_4arch9wavefront6targetE1EEEvT1_
; %bb.0:
	.section	.rodata,"a",@progbits
	.p2align	6, 0x0
	.amdhsa_kernel _ZN7rocprim17ROCPRIM_400000_NS6detail17trampoline_kernelINS0_14default_configENS1_25partition_config_selectorILNS1_17partition_subalgoE9EllbEEZZNS1_14partition_implILS5_9ELb0ES3_jPlS8_PNS0_10empty_typeENS0_5tupleIJS8_S9_EEENSB_IJS8_SA_EEENS0_18inequality_wrapperIZN2at6native12_GLOBAL__N_124unique_dim_cuda_templateIhEESt5tupleIJNSF_6TensorESK_SK_EERKSK_lbbbEUlllE0_EEPmJS9_EEE10hipError_tPvRmT3_T4_T5_T6_T7_T9_mT8_P12ihipStream_tbDpT10_ENKUlT_T0_E_clISt17integral_constantIbLb0EES19_IbLb1EEEEDaS15_S16_EUlS15_E_NS1_11comp_targetILNS1_3genE8ELNS1_11target_archE1030ELNS1_3gpuE2ELNS1_3repE0EEENS1_30default_config_static_selectorELNS0_4arch9wavefront6targetE1EEEvT1_
		.amdhsa_group_segment_fixed_size 0
		.amdhsa_private_segment_fixed_size 0
		.amdhsa_kernarg_size 136
		.amdhsa_user_sgpr_count 2
		.amdhsa_user_sgpr_dispatch_ptr 0
		.amdhsa_user_sgpr_queue_ptr 0
		.amdhsa_user_sgpr_kernarg_segment_ptr 1
		.amdhsa_user_sgpr_dispatch_id 0
		.amdhsa_user_sgpr_kernarg_preload_length 0
		.amdhsa_user_sgpr_kernarg_preload_offset 0
		.amdhsa_user_sgpr_private_segment_size 0
		.amdhsa_uses_dynamic_stack 0
		.amdhsa_enable_private_segment 0
		.amdhsa_system_sgpr_workgroup_id_x 1
		.amdhsa_system_sgpr_workgroup_id_y 0
		.amdhsa_system_sgpr_workgroup_id_z 0
		.amdhsa_system_sgpr_workgroup_info 0
		.amdhsa_system_vgpr_workitem_id 0
		.amdhsa_next_free_vgpr 1
		.amdhsa_next_free_sgpr 0
		.amdhsa_accum_offset 4
		.amdhsa_reserve_vcc 0
		.amdhsa_float_round_mode_32 0
		.amdhsa_float_round_mode_16_64 0
		.amdhsa_float_denorm_mode_32 3
		.amdhsa_float_denorm_mode_16_64 3
		.amdhsa_dx10_clamp 1
		.amdhsa_ieee_mode 1
		.amdhsa_fp16_overflow 0
		.amdhsa_tg_split 0
		.amdhsa_exception_fp_ieee_invalid_op 0
		.amdhsa_exception_fp_denorm_src 0
		.amdhsa_exception_fp_ieee_div_zero 0
		.amdhsa_exception_fp_ieee_overflow 0
		.amdhsa_exception_fp_ieee_underflow 0
		.amdhsa_exception_fp_ieee_inexact 0
		.amdhsa_exception_int_div_zero 0
	.end_amdhsa_kernel
	.section	.text._ZN7rocprim17ROCPRIM_400000_NS6detail17trampoline_kernelINS0_14default_configENS1_25partition_config_selectorILNS1_17partition_subalgoE9EllbEEZZNS1_14partition_implILS5_9ELb0ES3_jPlS8_PNS0_10empty_typeENS0_5tupleIJS8_S9_EEENSB_IJS8_SA_EEENS0_18inequality_wrapperIZN2at6native12_GLOBAL__N_124unique_dim_cuda_templateIhEESt5tupleIJNSF_6TensorESK_SK_EERKSK_lbbbEUlllE0_EEPmJS9_EEE10hipError_tPvRmT3_T4_T5_T6_T7_T9_mT8_P12ihipStream_tbDpT10_ENKUlT_T0_E_clISt17integral_constantIbLb0EES19_IbLb1EEEEDaS15_S16_EUlS15_E_NS1_11comp_targetILNS1_3genE8ELNS1_11target_archE1030ELNS1_3gpuE2ELNS1_3repE0EEENS1_30default_config_static_selectorELNS0_4arch9wavefront6targetE1EEEvT1_,"axG",@progbits,_ZN7rocprim17ROCPRIM_400000_NS6detail17trampoline_kernelINS0_14default_configENS1_25partition_config_selectorILNS1_17partition_subalgoE9EllbEEZZNS1_14partition_implILS5_9ELb0ES3_jPlS8_PNS0_10empty_typeENS0_5tupleIJS8_S9_EEENSB_IJS8_SA_EEENS0_18inequality_wrapperIZN2at6native12_GLOBAL__N_124unique_dim_cuda_templateIhEESt5tupleIJNSF_6TensorESK_SK_EERKSK_lbbbEUlllE0_EEPmJS9_EEE10hipError_tPvRmT3_T4_T5_T6_T7_T9_mT8_P12ihipStream_tbDpT10_ENKUlT_T0_E_clISt17integral_constantIbLb0EES19_IbLb1EEEEDaS15_S16_EUlS15_E_NS1_11comp_targetILNS1_3genE8ELNS1_11target_archE1030ELNS1_3gpuE2ELNS1_3repE0EEENS1_30default_config_static_selectorELNS0_4arch9wavefront6targetE1EEEvT1_,comdat
.Lfunc_end236:
	.size	_ZN7rocprim17ROCPRIM_400000_NS6detail17trampoline_kernelINS0_14default_configENS1_25partition_config_selectorILNS1_17partition_subalgoE9EllbEEZZNS1_14partition_implILS5_9ELb0ES3_jPlS8_PNS0_10empty_typeENS0_5tupleIJS8_S9_EEENSB_IJS8_SA_EEENS0_18inequality_wrapperIZN2at6native12_GLOBAL__N_124unique_dim_cuda_templateIhEESt5tupleIJNSF_6TensorESK_SK_EERKSK_lbbbEUlllE0_EEPmJS9_EEE10hipError_tPvRmT3_T4_T5_T6_T7_T9_mT8_P12ihipStream_tbDpT10_ENKUlT_T0_E_clISt17integral_constantIbLb0EES19_IbLb1EEEEDaS15_S16_EUlS15_E_NS1_11comp_targetILNS1_3genE8ELNS1_11target_archE1030ELNS1_3gpuE2ELNS1_3repE0EEENS1_30default_config_static_selectorELNS0_4arch9wavefront6targetE1EEEvT1_, .Lfunc_end236-_ZN7rocprim17ROCPRIM_400000_NS6detail17trampoline_kernelINS0_14default_configENS1_25partition_config_selectorILNS1_17partition_subalgoE9EllbEEZZNS1_14partition_implILS5_9ELb0ES3_jPlS8_PNS0_10empty_typeENS0_5tupleIJS8_S9_EEENSB_IJS8_SA_EEENS0_18inequality_wrapperIZN2at6native12_GLOBAL__N_124unique_dim_cuda_templateIhEESt5tupleIJNSF_6TensorESK_SK_EERKSK_lbbbEUlllE0_EEPmJS9_EEE10hipError_tPvRmT3_T4_T5_T6_T7_T9_mT8_P12ihipStream_tbDpT10_ENKUlT_T0_E_clISt17integral_constantIbLb0EES19_IbLb1EEEEDaS15_S16_EUlS15_E_NS1_11comp_targetILNS1_3genE8ELNS1_11target_archE1030ELNS1_3gpuE2ELNS1_3repE0EEENS1_30default_config_static_selectorELNS0_4arch9wavefront6targetE1EEEvT1_
                                        ; -- End function
	.section	.AMDGPU.csdata,"",@progbits
; Kernel info:
; codeLenInByte = 0
; NumSgprs: 6
; NumVgprs: 0
; NumAgprs: 0
; TotalNumVgprs: 0
; ScratchSize: 0
; MemoryBound: 0
; FloatMode: 240
; IeeeMode: 1
; LDSByteSize: 0 bytes/workgroup (compile time only)
; SGPRBlocks: 0
; VGPRBlocks: 0
; NumSGPRsForWavesPerEU: 6
; NumVGPRsForWavesPerEU: 1
; AccumOffset: 4
; Occupancy: 8
; WaveLimiterHint : 0
; COMPUTE_PGM_RSRC2:SCRATCH_EN: 0
; COMPUTE_PGM_RSRC2:USER_SGPR: 2
; COMPUTE_PGM_RSRC2:TRAP_HANDLER: 0
; COMPUTE_PGM_RSRC2:TGID_X_EN: 1
; COMPUTE_PGM_RSRC2:TGID_Y_EN: 0
; COMPUTE_PGM_RSRC2:TGID_Z_EN: 0
; COMPUTE_PGM_RSRC2:TIDIG_COMP_CNT: 0
; COMPUTE_PGM_RSRC3_GFX90A:ACCUM_OFFSET: 0
; COMPUTE_PGM_RSRC3_GFX90A:TG_SPLIT: 0
	.section	.text._ZN7rocprim17ROCPRIM_400000_NS6detail17trampoline_kernelINS0_14default_configENS1_35adjacent_difference_config_selectorILb0ElEEZNS1_24adjacent_difference_implIS3_Lb0ELb0EPlS7_N6thrust23THRUST_200600_302600_NS5minusIlEEEE10hipError_tPvRmT2_T3_mT4_P12ihipStream_tbEUlT_E_NS1_11comp_targetILNS1_3genE0ELNS1_11target_archE4294967295ELNS1_3gpuE0ELNS1_3repE0EEENS1_30default_config_static_selectorELNS0_4arch9wavefront6targetE1EEEvT1_,"axG",@progbits,_ZN7rocprim17ROCPRIM_400000_NS6detail17trampoline_kernelINS0_14default_configENS1_35adjacent_difference_config_selectorILb0ElEEZNS1_24adjacent_difference_implIS3_Lb0ELb0EPlS7_N6thrust23THRUST_200600_302600_NS5minusIlEEEE10hipError_tPvRmT2_T3_mT4_P12ihipStream_tbEUlT_E_NS1_11comp_targetILNS1_3genE0ELNS1_11target_archE4294967295ELNS1_3gpuE0ELNS1_3repE0EEENS1_30default_config_static_selectorELNS0_4arch9wavefront6targetE1EEEvT1_,comdat
	.protected	_ZN7rocprim17ROCPRIM_400000_NS6detail17trampoline_kernelINS0_14default_configENS1_35adjacent_difference_config_selectorILb0ElEEZNS1_24adjacent_difference_implIS3_Lb0ELb0EPlS7_N6thrust23THRUST_200600_302600_NS5minusIlEEEE10hipError_tPvRmT2_T3_mT4_P12ihipStream_tbEUlT_E_NS1_11comp_targetILNS1_3genE0ELNS1_11target_archE4294967295ELNS1_3gpuE0ELNS1_3repE0EEENS1_30default_config_static_selectorELNS0_4arch9wavefront6targetE1EEEvT1_ ; -- Begin function _ZN7rocprim17ROCPRIM_400000_NS6detail17trampoline_kernelINS0_14default_configENS1_35adjacent_difference_config_selectorILb0ElEEZNS1_24adjacent_difference_implIS3_Lb0ELb0EPlS7_N6thrust23THRUST_200600_302600_NS5minusIlEEEE10hipError_tPvRmT2_T3_mT4_P12ihipStream_tbEUlT_E_NS1_11comp_targetILNS1_3genE0ELNS1_11target_archE4294967295ELNS1_3gpuE0ELNS1_3repE0EEENS1_30default_config_static_selectorELNS0_4arch9wavefront6targetE1EEEvT1_
	.globl	_ZN7rocprim17ROCPRIM_400000_NS6detail17trampoline_kernelINS0_14default_configENS1_35adjacent_difference_config_selectorILb0ElEEZNS1_24adjacent_difference_implIS3_Lb0ELb0EPlS7_N6thrust23THRUST_200600_302600_NS5minusIlEEEE10hipError_tPvRmT2_T3_mT4_P12ihipStream_tbEUlT_E_NS1_11comp_targetILNS1_3genE0ELNS1_11target_archE4294967295ELNS1_3gpuE0ELNS1_3repE0EEENS1_30default_config_static_selectorELNS0_4arch9wavefront6targetE1EEEvT1_
	.p2align	8
	.type	_ZN7rocprim17ROCPRIM_400000_NS6detail17trampoline_kernelINS0_14default_configENS1_35adjacent_difference_config_selectorILb0ElEEZNS1_24adjacent_difference_implIS3_Lb0ELb0EPlS7_N6thrust23THRUST_200600_302600_NS5minusIlEEEE10hipError_tPvRmT2_T3_mT4_P12ihipStream_tbEUlT_E_NS1_11comp_targetILNS1_3genE0ELNS1_11target_archE4294967295ELNS1_3gpuE0ELNS1_3repE0EEENS1_30default_config_static_selectorELNS0_4arch9wavefront6targetE1EEEvT1_,@function
_ZN7rocprim17ROCPRIM_400000_NS6detail17trampoline_kernelINS0_14default_configENS1_35adjacent_difference_config_selectorILb0ElEEZNS1_24adjacent_difference_implIS3_Lb0ELb0EPlS7_N6thrust23THRUST_200600_302600_NS5minusIlEEEE10hipError_tPvRmT2_T3_mT4_P12ihipStream_tbEUlT_E_NS1_11comp_targetILNS1_3genE0ELNS1_11target_archE4294967295ELNS1_3gpuE0ELNS1_3repE0EEENS1_30default_config_static_selectorELNS0_4arch9wavefront6targetE1EEEvT1_: ; @_ZN7rocprim17ROCPRIM_400000_NS6detail17trampoline_kernelINS0_14default_configENS1_35adjacent_difference_config_selectorILb0ElEEZNS1_24adjacent_difference_implIS3_Lb0ELb0EPlS7_N6thrust23THRUST_200600_302600_NS5minusIlEEEE10hipError_tPvRmT2_T3_mT4_P12ihipStream_tbEUlT_E_NS1_11comp_targetILNS1_3genE0ELNS1_11target_archE4294967295ELNS1_3gpuE0ELNS1_3repE0EEENS1_30default_config_static_selectorELNS0_4arch9wavefront6targetE1EEEvT1_
; %bb.0:
	.section	.rodata,"a",@progbits
	.p2align	6, 0x0
	.amdhsa_kernel _ZN7rocprim17ROCPRIM_400000_NS6detail17trampoline_kernelINS0_14default_configENS1_35adjacent_difference_config_selectorILb0ElEEZNS1_24adjacent_difference_implIS3_Lb0ELb0EPlS7_N6thrust23THRUST_200600_302600_NS5minusIlEEEE10hipError_tPvRmT2_T3_mT4_P12ihipStream_tbEUlT_E_NS1_11comp_targetILNS1_3genE0ELNS1_11target_archE4294967295ELNS1_3gpuE0ELNS1_3repE0EEENS1_30default_config_static_selectorELNS0_4arch9wavefront6targetE1EEEvT1_
		.amdhsa_group_segment_fixed_size 0
		.amdhsa_private_segment_fixed_size 0
		.amdhsa_kernarg_size 56
		.amdhsa_user_sgpr_count 2
		.amdhsa_user_sgpr_dispatch_ptr 0
		.amdhsa_user_sgpr_queue_ptr 0
		.amdhsa_user_sgpr_kernarg_segment_ptr 1
		.amdhsa_user_sgpr_dispatch_id 0
		.amdhsa_user_sgpr_kernarg_preload_length 0
		.amdhsa_user_sgpr_kernarg_preload_offset 0
		.amdhsa_user_sgpr_private_segment_size 0
		.amdhsa_uses_dynamic_stack 0
		.amdhsa_enable_private_segment 0
		.amdhsa_system_sgpr_workgroup_id_x 1
		.amdhsa_system_sgpr_workgroup_id_y 0
		.amdhsa_system_sgpr_workgroup_id_z 0
		.amdhsa_system_sgpr_workgroup_info 0
		.amdhsa_system_vgpr_workitem_id 0
		.amdhsa_next_free_vgpr 1
		.amdhsa_next_free_sgpr 0
		.amdhsa_accum_offset 4
		.amdhsa_reserve_vcc 0
		.amdhsa_float_round_mode_32 0
		.amdhsa_float_round_mode_16_64 0
		.amdhsa_float_denorm_mode_32 3
		.amdhsa_float_denorm_mode_16_64 3
		.amdhsa_dx10_clamp 1
		.amdhsa_ieee_mode 1
		.amdhsa_fp16_overflow 0
		.amdhsa_tg_split 0
		.amdhsa_exception_fp_ieee_invalid_op 0
		.amdhsa_exception_fp_denorm_src 0
		.amdhsa_exception_fp_ieee_div_zero 0
		.amdhsa_exception_fp_ieee_overflow 0
		.amdhsa_exception_fp_ieee_underflow 0
		.amdhsa_exception_fp_ieee_inexact 0
		.amdhsa_exception_int_div_zero 0
	.end_amdhsa_kernel
	.section	.text._ZN7rocprim17ROCPRIM_400000_NS6detail17trampoline_kernelINS0_14default_configENS1_35adjacent_difference_config_selectorILb0ElEEZNS1_24adjacent_difference_implIS3_Lb0ELb0EPlS7_N6thrust23THRUST_200600_302600_NS5minusIlEEEE10hipError_tPvRmT2_T3_mT4_P12ihipStream_tbEUlT_E_NS1_11comp_targetILNS1_3genE0ELNS1_11target_archE4294967295ELNS1_3gpuE0ELNS1_3repE0EEENS1_30default_config_static_selectorELNS0_4arch9wavefront6targetE1EEEvT1_,"axG",@progbits,_ZN7rocprim17ROCPRIM_400000_NS6detail17trampoline_kernelINS0_14default_configENS1_35adjacent_difference_config_selectorILb0ElEEZNS1_24adjacent_difference_implIS3_Lb0ELb0EPlS7_N6thrust23THRUST_200600_302600_NS5minusIlEEEE10hipError_tPvRmT2_T3_mT4_P12ihipStream_tbEUlT_E_NS1_11comp_targetILNS1_3genE0ELNS1_11target_archE4294967295ELNS1_3gpuE0ELNS1_3repE0EEENS1_30default_config_static_selectorELNS0_4arch9wavefront6targetE1EEEvT1_,comdat
.Lfunc_end237:
	.size	_ZN7rocprim17ROCPRIM_400000_NS6detail17trampoline_kernelINS0_14default_configENS1_35adjacent_difference_config_selectorILb0ElEEZNS1_24adjacent_difference_implIS3_Lb0ELb0EPlS7_N6thrust23THRUST_200600_302600_NS5minusIlEEEE10hipError_tPvRmT2_T3_mT4_P12ihipStream_tbEUlT_E_NS1_11comp_targetILNS1_3genE0ELNS1_11target_archE4294967295ELNS1_3gpuE0ELNS1_3repE0EEENS1_30default_config_static_selectorELNS0_4arch9wavefront6targetE1EEEvT1_, .Lfunc_end237-_ZN7rocprim17ROCPRIM_400000_NS6detail17trampoline_kernelINS0_14default_configENS1_35adjacent_difference_config_selectorILb0ElEEZNS1_24adjacent_difference_implIS3_Lb0ELb0EPlS7_N6thrust23THRUST_200600_302600_NS5minusIlEEEE10hipError_tPvRmT2_T3_mT4_P12ihipStream_tbEUlT_E_NS1_11comp_targetILNS1_3genE0ELNS1_11target_archE4294967295ELNS1_3gpuE0ELNS1_3repE0EEENS1_30default_config_static_selectorELNS0_4arch9wavefront6targetE1EEEvT1_
                                        ; -- End function
	.section	.AMDGPU.csdata,"",@progbits
; Kernel info:
; codeLenInByte = 0
; NumSgprs: 6
; NumVgprs: 0
; NumAgprs: 0
; TotalNumVgprs: 0
; ScratchSize: 0
; MemoryBound: 0
; FloatMode: 240
; IeeeMode: 1
; LDSByteSize: 0 bytes/workgroup (compile time only)
; SGPRBlocks: 0
; VGPRBlocks: 0
; NumSGPRsForWavesPerEU: 6
; NumVGPRsForWavesPerEU: 1
; AccumOffset: 4
; Occupancy: 8
; WaveLimiterHint : 0
; COMPUTE_PGM_RSRC2:SCRATCH_EN: 0
; COMPUTE_PGM_RSRC2:USER_SGPR: 2
; COMPUTE_PGM_RSRC2:TRAP_HANDLER: 0
; COMPUTE_PGM_RSRC2:TGID_X_EN: 1
; COMPUTE_PGM_RSRC2:TGID_Y_EN: 0
; COMPUTE_PGM_RSRC2:TGID_Z_EN: 0
; COMPUTE_PGM_RSRC2:TIDIG_COMP_CNT: 0
; COMPUTE_PGM_RSRC3_GFX90A:ACCUM_OFFSET: 0
; COMPUTE_PGM_RSRC3_GFX90A:TG_SPLIT: 0
	.section	.text._ZN7rocprim17ROCPRIM_400000_NS6detail17trampoline_kernelINS0_14default_configENS1_35adjacent_difference_config_selectorILb0ElEEZNS1_24adjacent_difference_implIS3_Lb0ELb0EPlS7_N6thrust23THRUST_200600_302600_NS5minusIlEEEE10hipError_tPvRmT2_T3_mT4_P12ihipStream_tbEUlT_E_NS1_11comp_targetILNS1_3genE10ELNS1_11target_archE1201ELNS1_3gpuE5ELNS1_3repE0EEENS1_30default_config_static_selectorELNS0_4arch9wavefront6targetE1EEEvT1_,"axG",@progbits,_ZN7rocprim17ROCPRIM_400000_NS6detail17trampoline_kernelINS0_14default_configENS1_35adjacent_difference_config_selectorILb0ElEEZNS1_24adjacent_difference_implIS3_Lb0ELb0EPlS7_N6thrust23THRUST_200600_302600_NS5minusIlEEEE10hipError_tPvRmT2_T3_mT4_P12ihipStream_tbEUlT_E_NS1_11comp_targetILNS1_3genE10ELNS1_11target_archE1201ELNS1_3gpuE5ELNS1_3repE0EEENS1_30default_config_static_selectorELNS0_4arch9wavefront6targetE1EEEvT1_,comdat
	.protected	_ZN7rocprim17ROCPRIM_400000_NS6detail17trampoline_kernelINS0_14default_configENS1_35adjacent_difference_config_selectorILb0ElEEZNS1_24adjacent_difference_implIS3_Lb0ELb0EPlS7_N6thrust23THRUST_200600_302600_NS5minusIlEEEE10hipError_tPvRmT2_T3_mT4_P12ihipStream_tbEUlT_E_NS1_11comp_targetILNS1_3genE10ELNS1_11target_archE1201ELNS1_3gpuE5ELNS1_3repE0EEENS1_30default_config_static_selectorELNS0_4arch9wavefront6targetE1EEEvT1_ ; -- Begin function _ZN7rocprim17ROCPRIM_400000_NS6detail17trampoline_kernelINS0_14default_configENS1_35adjacent_difference_config_selectorILb0ElEEZNS1_24adjacent_difference_implIS3_Lb0ELb0EPlS7_N6thrust23THRUST_200600_302600_NS5minusIlEEEE10hipError_tPvRmT2_T3_mT4_P12ihipStream_tbEUlT_E_NS1_11comp_targetILNS1_3genE10ELNS1_11target_archE1201ELNS1_3gpuE5ELNS1_3repE0EEENS1_30default_config_static_selectorELNS0_4arch9wavefront6targetE1EEEvT1_
	.globl	_ZN7rocprim17ROCPRIM_400000_NS6detail17trampoline_kernelINS0_14default_configENS1_35adjacent_difference_config_selectorILb0ElEEZNS1_24adjacent_difference_implIS3_Lb0ELb0EPlS7_N6thrust23THRUST_200600_302600_NS5minusIlEEEE10hipError_tPvRmT2_T3_mT4_P12ihipStream_tbEUlT_E_NS1_11comp_targetILNS1_3genE10ELNS1_11target_archE1201ELNS1_3gpuE5ELNS1_3repE0EEENS1_30default_config_static_selectorELNS0_4arch9wavefront6targetE1EEEvT1_
	.p2align	8
	.type	_ZN7rocprim17ROCPRIM_400000_NS6detail17trampoline_kernelINS0_14default_configENS1_35adjacent_difference_config_selectorILb0ElEEZNS1_24adjacent_difference_implIS3_Lb0ELb0EPlS7_N6thrust23THRUST_200600_302600_NS5minusIlEEEE10hipError_tPvRmT2_T3_mT4_P12ihipStream_tbEUlT_E_NS1_11comp_targetILNS1_3genE10ELNS1_11target_archE1201ELNS1_3gpuE5ELNS1_3repE0EEENS1_30default_config_static_selectorELNS0_4arch9wavefront6targetE1EEEvT1_,@function
_ZN7rocprim17ROCPRIM_400000_NS6detail17trampoline_kernelINS0_14default_configENS1_35adjacent_difference_config_selectorILb0ElEEZNS1_24adjacent_difference_implIS3_Lb0ELb0EPlS7_N6thrust23THRUST_200600_302600_NS5minusIlEEEE10hipError_tPvRmT2_T3_mT4_P12ihipStream_tbEUlT_E_NS1_11comp_targetILNS1_3genE10ELNS1_11target_archE1201ELNS1_3gpuE5ELNS1_3repE0EEENS1_30default_config_static_selectorELNS0_4arch9wavefront6targetE1EEEvT1_: ; @_ZN7rocprim17ROCPRIM_400000_NS6detail17trampoline_kernelINS0_14default_configENS1_35adjacent_difference_config_selectorILb0ElEEZNS1_24adjacent_difference_implIS3_Lb0ELb0EPlS7_N6thrust23THRUST_200600_302600_NS5minusIlEEEE10hipError_tPvRmT2_T3_mT4_P12ihipStream_tbEUlT_E_NS1_11comp_targetILNS1_3genE10ELNS1_11target_archE1201ELNS1_3gpuE5ELNS1_3repE0EEENS1_30default_config_static_selectorELNS0_4arch9wavefront6targetE1EEEvT1_
; %bb.0:
	.section	.rodata,"a",@progbits
	.p2align	6, 0x0
	.amdhsa_kernel _ZN7rocprim17ROCPRIM_400000_NS6detail17trampoline_kernelINS0_14default_configENS1_35adjacent_difference_config_selectorILb0ElEEZNS1_24adjacent_difference_implIS3_Lb0ELb0EPlS7_N6thrust23THRUST_200600_302600_NS5minusIlEEEE10hipError_tPvRmT2_T3_mT4_P12ihipStream_tbEUlT_E_NS1_11comp_targetILNS1_3genE10ELNS1_11target_archE1201ELNS1_3gpuE5ELNS1_3repE0EEENS1_30default_config_static_selectorELNS0_4arch9wavefront6targetE1EEEvT1_
		.amdhsa_group_segment_fixed_size 0
		.amdhsa_private_segment_fixed_size 0
		.amdhsa_kernarg_size 56
		.amdhsa_user_sgpr_count 2
		.amdhsa_user_sgpr_dispatch_ptr 0
		.amdhsa_user_sgpr_queue_ptr 0
		.amdhsa_user_sgpr_kernarg_segment_ptr 1
		.amdhsa_user_sgpr_dispatch_id 0
		.amdhsa_user_sgpr_kernarg_preload_length 0
		.amdhsa_user_sgpr_kernarg_preload_offset 0
		.amdhsa_user_sgpr_private_segment_size 0
		.amdhsa_uses_dynamic_stack 0
		.amdhsa_enable_private_segment 0
		.amdhsa_system_sgpr_workgroup_id_x 1
		.amdhsa_system_sgpr_workgroup_id_y 0
		.amdhsa_system_sgpr_workgroup_id_z 0
		.amdhsa_system_sgpr_workgroup_info 0
		.amdhsa_system_vgpr_workitem_id 0
		.amdhsa_next_free_vgpr 1
		.amdhsa_next_free_sgpr 0
		.amdhsa_accum_offset 4
		.amdhsa_reserve_vcc 0
		.amdhsa_float_round_mode_32 0
		.amdhsa_float_round_mode_16_64 0
		.amdhsa_float_denorm_mode_32 3
		.amdhsa_float_denorm_mode_16_64 3
		.amdhsa_dx10_clamp 1
		.amdhsa_ieee_mode 1
		.amdhsa_fp16_overflow 0
		.amdhsa_tg_split 0
		.amdhsa_exception_fp_ieee_invalid_op 0
		.amdhsa_exception_fp_denorm_src 0
		.amdhsa_exception_fp_ieee_div_zero 0
		.amdhsa_exception_fp_ieee_overflow 0
		.amdhsa_exception_fp_ieee_underflow 0
		.amdhsa_exception_fp_ieee_inexact 0
		.amdhsa_exception_int_div_zero 0
	.end_amdhsa_kernel
	.section	.text._ZN7rocprim17ROCPRIM_400000_NS6detail17trampoline_kernelINS0_14default_configENS1_35adjacent_difference_config_selectorILb0ElEEZNS1_24adjacent_difference_implIS3_Lb0ELb0EPlS7_N6thrust23THRUST_200600_302600_NS5minusIlEEEE10hipError_tPvRmT2_T3_mT4_P12ihipStream_tbEUlT_E_NS1_11comp_targetILNS1_3genE10ELNS1_11target_archE1201ELNS1_3gpuE5ELNS1_3repE0EEENS1_30default_config_static_selectorELNS0_4arch9wavefront6targetE1EEEvT1_,"axG",@progbits,_ZN7rocprim17ROCPRIM_400000_NS6detail17trampoline_kernelINS0_14default_configENS1_35adjacent_difference_config_selectorILb0ElEEZNS1_24adjacent_difference_implIS3_Lb0ELb0EPlS7_N6thrust23THRUST_200600_302600_NS5minusIlEEEE10hipError_tPvRmT2_T3_mT4_P12ihipStream_tbEUlT_E_NS1_11comp_targetILNS1_3genE10ELNS1_11target_archE1201ELNS1_3gpuE5ELNS1_3repE0EEENS1_30default_config_static_selectorELNS0_4arch9wavefront6targetE1EEEvT1_,comdat
.Lfunc_end238:
	.size	_ZN7rocprim17ROCPRIM_400000_NS6detail17trampoline_kernelINS0_14default_configENS1_35adjacent_difference_config_selectorILb0ElEEZNS1_24adjacent_difference_implIS3_Lb0ELb0EPlS7_N6thrust23THRUST_200600_302600_NS5minusIlEEEE10hipError_tPvRmT2_T3_mT4_P12ihipStream_tbEUlT_E_NS1_11comp_targetILNS1_3genE10ELNS1_11target_archE1201ELNS1_3gpuE5ELNS1_3repE0EEENS1_30default_config_static_selectorELNS0_4arch9wavefront6targetE1EEEvT1_, .Lfunc_end238-_ZN7rocprim17ROCPRIM_400000_NS6detail17trampoline_kernelINS0_14default_configENS1_35adjacent_difference_config_selectorILb0ElEEZNS1_24adjacent_difference_implIS3_Lb0ELb0EPlS7_N6thrust23THRUST_200600_302600_NS5minusIlEEEE10hipError_tPvRmT2_T3_mT4_P12ihipStream_tbEUlT_E_NS1_11comp_targetILNS1_3genE10ELNS1_11target_archE1201ELNS1_3gpuE5ELNS1_3repE0EEENS1_30default_config_static_selectorELNS0_4arch9wavefront6targetE1EEEvT1_
                                        ; -- End function
	.section	.AMDGPU.csdata,"",@progbits
; Kernel info:
; codeLenInByte = 0
; NumSgprs: 6
; NumVgprs: 0
; NumAgprs: 0
; TotalNumVgprs: 0
; ScratchSize: 0
; MemoryBound: 0
; FloatMode: 240
; IeeeMode: 1
; LDSByteSize: 0 bytes/workgroup (compile time only)
; SGPRBlocks: 0
; VGPRBlocks: 0
; NumSGPRsForWavesPerEU: 6
; NumVGPRsForWavesPerEU: 1
; AccumOffset: 4
; Occupancy: 8
; WaveLimiterHint : 0
; COMPUTE_PGM_RSRC2:SCRATCH_EN: 0
; COMPUTE_PGM_RSRC2:USER_SGPR: 2
; COMPUTE_PGM_RSRC2:TRAP_HANDLER: 0
; COMPUTE_PGM_RSRC2:TGID_X_EN: 1
; COMPUTE_PGM_RSRC2:TGID_Y_EN: 0
; COMPUTE_PGM_RSRC2:TGID_Z_EN: 0
; COMPUTE_PGM_RSRC2:TIDIG_COMP_CNT: 0
; COMPUTE_PGM_RSRC3_GFX90A:ACCUM_OFFSET: 0
; COMPUTE_PGM_RSRC3_GFX90A:TG_SPLIT: 0
	.section	.text._ZN7rocprim17ROCPRIM_400000_NS6detail17trampoline_kernelINS0_14default_configENS1_35adjacent_difference_config_selectorILb0ElEEZNS1_24adjacent_difference_implIS3_Lb0ELb0EPlS7_N6thrust23THRUST_200600_302600_NS5minusIlEEEE10hipError_tPvRmT2_T3_mT4_P12ihipStream_tbEUlT_E_NS1_11comp_targetILNS1_3genE5ELNS1_11target_archE942ELNS1_3gpuE9ELNS1_3repE0EEENS1_30default_config_static_selectorELNS0_4arch9wavefront6targetE1EEEvT1_,"axG",@progbits,_ZN7rocprim17ROCPRIM_400000_NS6detail17trampoline_kernelINS0_14default_configENS1_35adjacent_difference_config_selectorILb0ElEEZNS1_24adjacent_difference_implIS3_Lb0ELb0EPlS7_N6thrust23THRUST_200600_302600_NS5minusIlEEEE10hipError_tPvRmT2_T3_mT4_P12ihipStream_tbEUlT_E_NS1_11comp_targetILNS1_3genE5ELNS1_11target_archE942ELNS1_3gpuE9ELNS1_3repE0EEENS1_30default_config_static_selectorELNS0_4arch9wavefront6targetE1EEEvT1_,comdat
	.protected	_ZN7rocprim17ROCPRIM_400000_NS6detail17trampoline_kernelINS0_14default_configENS1_35adjacent_difference_config_selectorILb0ElEEZNS1_24adjacent_difference_implIS3_Lb0ELb0EPlS7_N6thrust23THRUST_200600_302600_NS5minusIlEEEE10hipError_tPvRmT2_T3_mT4_P12ihipStream_tbEUlT_E_NS1_11comp_targetILNS1_3genE5ELNS1_11target_archE942ELNS1_3gpuE9ELNS1_3repE0EEENS1_30default_config_static_selectorELNS0_4arch9wavefront6targetE1EEEvT1_ ; -- Begin function _ZN7rocprim17ROCPRIM_400000_NS6detail17trampoline_kernelINS0_14default_configENS1_35adjacent_difference_config_selectorILb0ElEEZNS1_24adjacent_difference_implIS3_Lb0ELb0EPlS7_N6thrust23THRUST_200600_302600_NS5minusIlEEEE10hipError_tPvRmT2_T3_mT4_P12ihipStream_tbEUlT_E_NS1_11comp_targetILNS1_3genE5ELNS1_11target_archE942ELNS1_3gpuE9ELNS1_3repE0EEENS1_30default_config_static_selectorELNS0_4arch9wavefront6targetE1EEEvT1_
	.globl	_ZN7rocprim17ROCPRIM_400000_NS6detail17trampoline_kernelINS0_14default_configENS1_35adjacent_difference_config_selectorILb0ElEEZNS1_24adjacent_difference_implIS3_Lb0ELb0EPlS7_N6thrust23THRUST_200600_302600_NS5minusIlEEEE10hipError_tPvRmT2_T3_mT4_P12ihipStream_tbEUlT_E_NS1_11comp_targetILNS1_3genE5ELNS1_11target_archE942ELNS1_3gpuE9ELNS1_3repE0EEENS1_30default_config_static_selectorELNS0_4arch9wavefront6targetE1EEEvT1_
	.p2align	8
	.type	_ZN7rocprim17ROCPRIM_400000_NS6detail17trampoline_kernelINS0_14default_configENS1_35adjacent_difference_config_selectorILb0ElEEZNS1_24adjacent_difference_implIS3_Lb0ELb0EPlS7_N6thrust23THRUST_200600_302600_NS5minusIlEEEE10hipError_tPvRmT2_T3_mT4_P12ihipStream_tbEUlT_E_NS1_11comp_targetILNS1_3genE5ELNS1_11target_archE942ELNS1_3gpuE9ELNS1_3repE0EEENS1_30default_config_static_selectorELNS0_4arch9wavefront6targetE1EEEvT1_,@function
_ZN7rocprim17ROCPRIM_400000_NS6detail17trampoline_kernelINS0_14default_configENS1_35adjacent_difference_config_selectorILb0ElEEZNS1_24adjacent_difference_implIS3_Lb0ELb0EPlS7_N6thrust23THRUST_200600_302600_NS5minusIlEEEE10hipError_tPvRmT2_T3_mT4_P12ihipStream_tbEUlT_E_NS1_11comp_targetILNS1_3genE5ELNS1_11target_archE942ELNS1_3gpuE9ELNS1_3repE0EEENS1_30default_config_static_selectorELNS0_4arch9wavefront6targetE1EEEvT1_: ; @_ZN7rocprim17ROCPRIM_400000_NS6detail17trampoline_kernelINS0_14default_configENS1_35adjacent_difference_config_selectorILb0ElEEZNS1_24adjacent_difference_implIS3_Lb0ELb0EPlS7_N6thrust23THRUST_200600_302600_NS5minusIlEEEE10hipError_tPvRmT2_T3_mT4_P12ihipStream_tbEUlT_E_NS1_11comp_targetILNS1_3genE5ELNS1_11target_archE942ELNS1_3gpuE9ELNS1_3repE0EEENS1_30default_config_static_selectorELNS0_4arch9wavefront6targetE1EEEvT1_
; %bb.0:
	s_load_dwordx8 s[4:11], s[0:1], 0x0
	s_mov_b32 s12, 0xcec4e8e0
	v_bfrev_b32_e32 v1, 1
	s_movk_i32 s3, 0x340
	s_load_dwordx2 s[0:1], s[0:1], 0x30
	s_waitcnt lgkmcnt(0)
	s_lshl_b64 s[6:7], s[6:7], 3
	s_add_u32 s20, s4, s6
	s_addc_u32 s21, s5, s7
	s_add_u32 s12, 0x150, s12
	s_addc_u32 s13, 0, 0
	v_add_co_u32_e32 v1, vcc, s12, v1
	s_cmp_lg_u64 vcc, 0
	v_readfirstlane_b32 s14, v1
	s_addc_u32 s12, s13, 0x4ec4eb
	s_mul_hi_u32 s15, s14, 0xfffffcc0
	s_mul_i32 s13, s12, 0xfffffcc0
	s_sub_i32 s15, s15, s14
	s_add_i32 s15, s15, s13
	s_mul_i32 s17, s14, 0xfffffcc0
	s_mul_hi_u32 s13, s14, s15
	s_mul_i32 s16, s14, s15
	s_mul_hi_u32 s14, s14, s17
	s_add_u32 s14, s14, s16
	s_addc_u32 s13, 0, s13
	s_mul_hi_u32 s18, s12, s17
	s_mul_i32 s17, s12, s17
	s_add_u32 s14, s14, s17
	s_mul_hi_u32 s16, s12, s15
	s_addc_u32 s13, s13, s18
	s_addc_u32 s14, s16, 0
	s_mul_i32 s15, s12, s15
	s_add_u32 s13, s13, s15
	s_addc_u32 s14, 0, s14
	v_add_co_u32_e32 v1, vcc, s13, v1
	s_cmp_lg_u64 vcc, 0
	s_addc_u32 s12, s12, s14
	v_readfirstlane_b32 s15, v1
	s_mul_i32 s14, s10, s12
	s_mul_hi_u32 s16, s10, s15
	s_mul_hi_u32 s13, s10, s12
	s_add_u32 s14, s16, s14
	s_addc_u32 s13, 0, s13
	s_mul_hi_u32 s17, s11, s15
	s_mul_i32 s15, s11, s15
	s_add_u32 s14, s14, s15
	s_mul_hi_u32 s16, s11, s12
	s_addc_u32 s13, s13, s17
	s_addc_u32 s14, s16, 0
	s_mul_i32 s12, s11, s12
	s_add_u32 s12, s13, s12
	s_addc_u32 s13, 0, s14
	s_add_u32 s14, s12, 1
	s_addc_u32 s15, s13, 0
	s_add_u32 s16, s12, 2
	s_mul_i32 s18, s13, 0x340
	s_mul_hi_u32 s19, s12, 0x340
	s_addc_u32 s17, s13, 0
	s_add_i32 s19, s19, s18
	s_mul_i32 s18, s12, 0x340
	v_mov_b32_e32 v1, s18
	v_sub_co_u32_e32 v1, vcc, s10, v1
	s_cmp_lg_u64 vcc, 0
	s_subb_u32 s18, s11, s19
	v_subrev_co_u32_e32 v2, vcc, s3, v1
	s_cmp_lg_u64 vcc, 0
	s_subb_u32 s3, s18, 0
	v_readfirstlane_b32 s19, v2
	s_cmpk_gt_u32 s19, 0x33f
	s_cselect_b32 s19, -1, 0
	s_cmp_eq_u32 s3, 0
	s_cselect_b32 s3, s19, -1
	s_cmp_lg_u32 s3, 0
	s_cselect_b32 s3, s16, s14
	s_cselect_b32 s14, s17, s15
	v_readfirstlane_b32 s15, v1
	s_cmpk_gt_u32 s15, 0x33f
	s_cselect_b32 s15, -1, 0
	s_cmp_eq_u32 s18, 0
	s_cselect_b32 s15, s15, -1
	s_cmp_lg_u32 s15, 0
	s_cselect_b32 s14, s14, s13
	s_cselect_b32 s3, s3, s12
	s_mul_i32 s12, s14, 0x340
	s_mul_hi_u32 s13, s3, 0x340
	s_add_i32 s13, s13, s12
	s_mul_i32 s12, s3, 0x340
	s_sub_u32 s12, s10, s12
	s_subb_u32 s13, s11, s13
	s_cmp_lg_u64 s[12:13], 0
	s_cselect_b64 s[12:13], -1, 0
	v_cndmask_b32_e64 v1, 0, 1, s[12:13]
	s_mul_i32 s4, s2, 0x340
	v_readfirstlane_b32 s11, v1
	s_add_u32 s12, s3, s11
	s_addc_u32 s13, s14, 0
	s_add_u32 s2, s0, s2
	s_addc_u32 s3, s1, 0
	s_add_u32 s14, s12, -1
	s_addc_u32 s15, s13, -1
	v_mov_b64_e32 v[2:3], s[14:15]
	v_cmp_ge_u64_e64 s[0:1], s[2:3], v[2:3]
	s_mov_b32 s5, 0
	s_mov_b64 s[16:17], -1
	s_and_b64 vcc, exec, s[0:1]
	s_mul_i32 s11, s14, 0xfffffcc0
	s_cbranch_vccz .LBB239_28
; %bb.1:
	s_add_i32 s22, s11, s10
	s_lshl_b64 s[16:17], s[4:5], 3
	s_add_u32 s16, s20, s16
	s_addc_u32 s17, s21, s17
	v_cmp_gt_u32_e32 vcc, s22, v0
                                        ; implicit-def: $vgpr2_vgpr3_vgpr4_vgpr5_vgpr6_vgpr7_vgpr8_vgpr9_vgpr10_vgpr11_vgpr12_vgpr13_vgpr14_vgpr15_vgpr16_vgpr17_vgpr18_vgpr19_vgpr20_vgpr21_vgpr22_vgpr23_vgpr24_vgpr25_vgpr26_vgpr27_vgpr28_vgpr29_vgpr30_vgpr31_vgpr32_vgpr33
	s_and_saveexec_b64 s[18:19], vcc
	s_cbranch_execz .LBB239_3
; %bb.2:
	v_lshlrev_b32_e32 v1, 3, v0
	global_load_dwordx2 v[2:3], v1, s[16:17]
.LBB239_3:
	s_or_b64 exec, exec, s[18:19]
	v_or_b32_e32 v1, 64, v0
	v_cmp_gt_u32_e32 vcc, s22, v1
	s_and_saveexec_b64 s[18:19], vcc
	s_cbranch_execz .LBB239_5
; %bb.4:
	v_lshlrev_b32_e32 v1, 3, v0
	global_load_dwordx2 v[4:5], v1, s[16:17] offset:512
.LBB239_5:
	s_or_b64 exec, exec, s[18:19]
	v_or_b32_e32 v1, 0x80, v0
	v_cmp_gt_u32_e32 vcc, s22, v1
	s_and_saveexec_b64 s[18:19], vcc
	s_cbranch_execz .LBB239_7
; %bb.6:
	v_lshlrev_b32_e32 v1, 3, v0
	global_load_dwordx2 v[6:7], v1, s[16:17] offset:1024
.LBB239_7:
	;; [unrolled: 9-line block ×7, first 2 shown]
	s_or_b64 exec, exec, s[18:19]
	v_or_b32_e32 v1, 0x200, v0
	v_cmp_gt_u32_e32 vcc, s22, v1
	s_and_saveexec_b64 s[18:19], vcc
	s_cbranch_execz .LBB239_19
; %bb.18:
	v_lshlrev_b32_e32 v1, 3, v1
	global_load_dwordx2 v[18:19], v1, s[16:17]
.LBB239_19:
	s_or_b64 exec, exec, s[18:19]
	v_or_b32_e32 v1, 0x240, v0
	v_cmp_gt_u32_e32 vcc, s22, v1
	s_and_saveexec_b64 s[18:19], vcc
	s_cbranch_execz .LBB239_21
; %bb.20:
	v_lshlrev_b32_e32 v1, 3, v1
	global_load_dwordx2 v[20:21], v1, s[16:17]
.LBB239_21:
	;; [unrolled: 9-line block ×5, first 2 shown]
	s_or_b64 exec, exec, s[18:19]
	v_lshlrev_b32_e32 v1, 3, v0
	s_mov_b64 s[16:17], 0
	s_waitcnt vmcnt(0)
	ds_write2st64_b64 v1, v[2:3], v[4:5] offset1:1
	ds_write2st64_b64 v1, v[6:7], v[8:9] offset0:2 offset1:3
	ds_write2st64_b64 v1, v[10:11], v[12:13] offset0:4 offset1:5
	;; [unrolled: 1-line block ×5, first 2 shown]
	ds_write_b64 v1, v[26:27] offset:6144
	s_waitcnt lgkmcnt(0)
	; wave barrier
.LBB239_28:
	s_and_b64 vcc, exec, s[16:17]
	v_lshlrev_b32_e32 v26, 3, v0
	s_cbranch_vccz .LBB239_30
; %bb.29:
	s_lshl_b64 s[16:17], s[4:5], 3
	s_add_u32 s16, s20, s16
	s_addc_u32 s17, s21, s17
	v_mov_b32_e32 v27, 0
	v_lshl_add_u64 v[2:3], s[16:17], 0, v[26:27]
	s_movk_i32 s5, 0x1000
	v_add_co_u32_e32 v2, vcc, s5, v2
	global_load_dwordx2 v[4:5], v26, s[16:17]
	global_load_dwordx2 v[6:7], v26, s[16:17] offset:512
	global_load_dwordx2 v[8:9], v26, s[16:17] offset:1024
	;; [unrolled: 1-line block ×7, first 2 shown]
	v_addc_co_u32_e32 v3, vcc, 0, v3, vcc
	global_load_dwordx2 v[20:21], v[2:3], off
	global_load_dwordx2 v[22:23], v[2:3], off offset:512
	global_load_dwordx2 v[24:25], v[2:3], off offset:1024
	;; [unrolled: 1-line block ×4, first 2 shown]
	s_waitcnt vmcnt(11)
	ds_write2st64_b64 v26, v[4:5], v[6:7] offset1:1
	s_waitcnt vmcnt(9)
	ds_write2st64_b64 v26, v[8:9], v[10:11] offset0:2 offset1:3
	s_waitcnt vmcnt(7)
	ds_write2st64_b64 v26, v[12:13], v[14:15] offset0:4 offset1:5
	;; [unrolled: 2-line block ×5, first 2 shown]
	s_waitcnt vmcnt(0)
	ds_write_b64 v26, v[30:31] offset:6144
	s_waitcnt lgkmcnt(0)
	; wave barrier
.LBB239_30:
	v_mul_u32_u24_e32 v1, 13, v0
	v_lshlrev_b32_e32 v1, 3, v1
	s_waitcnt lgkmcnt(0)
	ds_read2_b64 v[2:5], v1 offset1:1
	ds_read2_b64 v[6:9], v1 offset0:2 offset1:3
	ds_read2_b64 v[10:13], v1 offset0:4 offset1:5
	ds_read2_b64 v[14:17], v1 offset0:6 offset1:7
	ds_read2_b64 v[18:21], v1 offset0:8 offset1:9
	ds_read2_b64 v[22:25], v1 offset0:10 offset1:11
	ds_read_b64 v[30:31], v1 offset:96
	s_cmp_eq_u64 s[2:3], 0
	s_waitcnt lgkmcnt(0)
	; wave barrier
	s_waitcnt lgkmcnt(0)
	s_cbranch_scc1 .LBB239_35
; %bb.31:
	s_mov_b32 s5, 0
	s_lshl_b64 s[16:17], s[4:5], 3
	s_add_u32 s5, s20, s16
	s_addc_u32 s17, s21, s17
	s_add_u32 s16, s5, -8
	s_addc_u32 s17, s17, -1
	s_load_dwordx2 s[16:17], s[16:17], 0x0
	s_cmp_eq_u64 s[2:3], s[14:15]
	s_cbranch_scc1 .LBB239_36
; %bb.32:
	v_cmp_ne_u32_e32 vcc, 0, v0
	s_waitcnt lgkmcnt(0)
	v_mov_b64_e32 v[28:29], s[16:17]
	ds_write_b64 v26, v[30:31]
	s_waitcnt lgkmcnt(0)
	; wave barrier
	s_waitcnt lgkmcnt(0)
	s_and_saveexec_b64 s[14:15], vcc
	s_cbranch_execz .LBB239_34
; %bb.33:
	v_add_u32_e32 v1, -8, v26
	ds_read_b64 v[28:29], v1
.LBB239_34:
	s_or_b64 exec, exec, s[14:15]
	s_waitcnt lgkmcnt(0)
	v_sub_co_u32_e32 v28, vcc, v2, v28
	s_mov_b64 s[14:15], 0
	s_nop 0
	v_subb_co_u32_e32 v29, vcc, v3, v29, vcc
	s_branch .LBB239_37
.LBB239_35:
                                        ; implicit-def: $vgpr32_vgpr33
                                        ; implicit-def: $vgpr34_vgpr35
                                        ; implicit-def: $vgpr36_vgpr37
                                        ; implicit-def: $vgpr28_vgpr29
                                        ; implicit-def: $vgpr54_vgpr55
                                        ; implicit-def: $vgpr48_vgpr49
                                        ; implicit-def: $vgpr52_vgpr53
                                        ; implicit-def: $vgpr46_vgpr47
                                        ; implicit-def: $vgpr50_vgpr51
                                        ; implicit-def: $vgpr44_vgpr45
                                        ; implicit-def: $vgpr42_vgpr43
                                        ; implicit-def: $vgpr40_vgpr41
                                        ; implicit-def: $vgpr38_vgpr39
	s_branch .LBB239_42
.LBB239_36:
	s_mov_b64 s[14:15], -1
                                        ; implicit-def: $vgpr28_vgpr29
.LBB239_37:
	s_and_b64 vcc, exec, s[14:15]
	v_mov_b64_e32 v[32:33], v[24:25]
	v_mov_b64_e32 v[34:35], v[22:23]
	v_mov_b64_e32 v[36:37], v[20:21]
	v_mov_b64_e32 v[54:55], v[2:3]
	v_mov_b64_e32 v[48:49], v[4:5]
	v_mov_b64_e32 v[52:53], v[6:7]
	v_mov_b64_e32 v[46:47], v[8:9]
	v_mov_b64_e32 v[50:51], v[10:11]
	v_mov_b64_e32 v[44:45], v[12:13]
	v_mov_b64_e32 v[42:43], v[14:15]
	v_mov_b64_e32 v[40:41], v[16:17]
	v_mov_b64_e32 v[38:39], v[18:19]
	s_cbranch_vccz .LBB239_41
; %bb.38:
	v_mul_u32_u24_e32 v1, 13, v0
	v_cmp_ne_u32_e32 vcc, 0, v0
	s_waitcnt lgkmcnt(0)
	v_mov_b64_e32 v[28:29], s[16:17]
	ds_write_b64 v26, v[30:31]
	s_waitcnt lgkmcnt(0)
	; wave barrier
	s_waitcnt lgkmcnt(0)
	s_and_saveexec_b64 s[14:15], vcc
	s_cbranch_execz .LBB239_40
; %bb.39:
	v_add_u32_e32 v27, -8, v26
	ds_read_b64 v[28:29], v27
.LBB239_40:
	s_or_b64 exec, exec, s[14:15]
	s_mulk_i32 s2, 0xfcc0
	s_add_i32 s2, s2, s10
	v_add_u32_e32 v27, 12, v1
	v_cmp_gt_u32_e32 vcc, s2, v27
	v_add_u32_e32 v27, 11, v1
	s_nop 0
	v_cndmask_b32_e32 v33, 0, v25, vcc
	v_cndmask_b32_e32 v32, 0, v24, vcc
	v_cmp_gt_u32_e32 vcc, s2, v27
	v_add_u32_e32 v27, 10, v1
	s_nop 0
	v_cndmask_b32_e32 v35, 0, v23, vcc
	v_cndmask_b32_e32 v34, 0, v22, vcc
	;; [unrolled: 5-line block ×11, first 2 shown]
	v_cmp_gt_u32_e32 vcc, s2, v27
	s_nop 1
	v_cndmask_b32_e32 v55, 0, v3, vcc
	v_cndmask_b32_e32 v54, 0, v2, vcc
	v_cmp_gt_u32_e32 vcc, s2, v1
	s_waitcnt lgkmcnt(0)
	s_nop 0
	v_cndmask_b32_e32 v27, 0, v28, vcc
	v_cndmask_b32_e32 v1, 0, v29, vcc
	v_sub_co_u32_e32 v28, vcc, v2, v27
	s_nop 1
	v_subb_co_u32_e32 v29, vcc, v3, v1, vcc
.LBB239_41:
	s_cbranch_execnz .LBB239_52
.LBB239_42:
	s_cmp_eq_u64 s[12:13], 1
	v_cmp_ne_u32_e32 vcc, 0, v0
	s_cbranch_scc1 .LBB239_46
; %bb.43:
	v_mov_b64_e32 v[28:29], v[2:3]
	ds_write_b64 v26, v[30:31]
	s_waitcnt lgkmcnt(0)
	; wave barrier
	s_waitcnt lgkmcnt(0)
	s_and_saveexec_b64 s[2:3], vcc
	s_cbranch_execz .LBB239_45
; %bb.44:
	v_add_u32_e32 v1, -8, v26
	ds_read_b64 v[28:29], v1
	s_waitcnt lgkmcnt(0)
	v_sub_co_u32_e32 v28, vcc, v2, v28
	s_nop 1
	v_subb_co_u32_e32 v29, vcc, v3, v29, vcc
.LBB239_45:
	s_or_b64 exec, exec, s[2:3]
	s_mov_b64 s[2:3], 0
	s_branch .LBB239_47
.LBB239_46:
	s_mov_b64 s[2:3], -1
                                        ; implicit-def: $vgpr28_vgpr29
.LBB239_47:
	s_andn2_b64 vcc, exec, s[2:3]
	v_mov_b64_e32 v[32:33], v[24:25]
	v_mov_b64_e32 v[34:35], v[22:23]
	;; [unrolled: 1-line block ×11, first 2 shown]
	s_cbranch_vccnz .LBB239_51
; %bb.48:
	v_mad_u32_u24 v27, v0, 13, 12
	v_cmp_gt_u32_e32 vcc, s10, v27
	v_mad_u32_u24 v27, v0, 13, 11
	v_mul_u32_u24_e32 v1, 13, v0
	v_cndmask_b32_e32 v33, 0, v25, vcc
	v_cndmask_b32_e32 v32, 0, v24, vcc
	v_cmp_gt_u32_e32 vcc, s10, v27
	v_mad_u32_u24 v27, v0, 13, 10
	v_cmp_gt_u32_e64 s[2:3], s10, v1
	v_cndmask_b32_e32 v35, 0, v23, vcc
	v_cndmask_b32_e32 v34, 0, v22, vcc
	v_cmp_gt_u32_e32 vcc, s10, v27
	v_mad_u32_u24 v27, v0, 13, 9
	ds_write_b64 v26, v[30:31]
	v_cndmask_b32_e32 v37, 0, v21, vcc
	v_cndmask_b32_e32 v36, 0, v20, vcc
	v_cmp_gt_u32_e32 vcc, s10, v27
	v_mad_u32_u24 v27, v0, 13, 8
	s_waitcnt lgkmcnt(0)
	v_cndmask_b32_e32 v39, 0, v19, vcc
	v_cndmask_b32_e32 v38, 0, v18, vcc
	v_cmp_gt_u32_e32 vcc, s10, v27
	v_mad_u32_u24 v27, v0, 13, 7
	; wave barrier
	s_nop 0
	v_cndmask_b32_e32 v41, 0, v17, vcc
	v_cndmask_b32_e32 v40, 0, v16, vcc
	v_cmp_gt_u32_e32 vcc, s10, v27
	v_mad_u32_u24 v27, v0, 13, 6
	s_nop 0
	v_cndmask_b32_e32 v43, 0, v15, vcc
	v_cndmask_b32_e32 v42, 0, v14, vcc
	v_cmp_gt_u32_e32 vcc, s10, v27
	v_mad_u32_u24 v27, v0, 13, 5
	;; [unrolled: 5-line block ×6, first 2 shown]
	s_nop 0
	v_cndmask_b32_e32 v49, 0, v5, vcc
	v_cndmask_b32_e32 v48, 0, v4, vcc
	v_cmp_gt_u32_e32 vcc, s10, v27
	s_nop 1
	v_cndmask_b32_e32 v55, 0, v3, vcc
	v_cndmask_b32_e32 v54, 0, v2, vcc
	v_cmp_ne_u32_e32 vcc, 0, v0
	s_and_b64 s[12:13], vcc, s[2:3]
	s_and_saveexec_b64 s[2:3], s[12:13]
	s_cbranch_execz .LBB239_50
; %bb.49:
	v_add_u32_e32 v1, -8, v26
	ds_read_b64 v[28:29], v1
	s_waitcnt lgkmcnt(0)
	v_sub_co_u32_e32 v2, vcc, v2, v28
	s_nop 1
	v_subb_co_u32_e32 v3, vcc, v3, v29, vcc
.LBB239_50:
	s_or_b64 exec, exec, s[2:3]
	v_mov_b64_e32 v[28:29], v[2:3]
	v_mov_b64_e32 v[2:3], v[54:55]
.LBB239_51:
	v_mov_b64_e32 v[54:55], v[2:3]
.LBB239_52:
	v_sub_co_u32_e32 v30, vcc, v30, v32
	s_add_u32 s6, s8, s6
	s_nop 0
	v_subb_co_u32_e32 v31, vcc, v31, v33, vcc
	v_sub_co_u32_e32 v32, vcc, v24, v34
	s_addc_u32 s7, s9, s7
	s_nop 0
	v_subb_co_u32_e32 v33, vcc, v25, v35, vcc
	v_sub_co_u32_e32 v34, vcc, v22, v36
	s_waitcnt lgkmcnt(0)
	s_nop 0
	v_subb_co_u32_e32 v35, vcc, v23, v37, vcc
	v_sub_co_u32_e32 v54, vcc, v4, v54
	; wave barrier
	s_nop 1
	v_subb_co_u32_e32 v55, vcc, v5, v55, vcc
	v_sub_co_u32_e32 v48, vcc, v6, v48
	s_nop 1
	v_subb_co_u32_e32 v49, vcc, v7, v49, vcc
	v_sub_co_u32_e32 v52, vcc, v8, v52
	;; [unrolled: 3-line block ×8, first 2 shown]
	s_nop 1
	v_subb_co_u32_e32 v39, vcc, v21, v39, vcc
	s_and_b64 vcc, exec, s[0:1]
	s_cbranch_vccz .LBB239_78
; %bb.53:
	s_movk_i32 s2, 0x68
	v_mul_i32_i24_e32 v56, 0xffffffa0, v0
	v_mul_u32_u24_e32 v1, 0x68, v0
	v_mad_u32_u24 v2, v0, s2, v56
	ds_write2_b64 v1, v[28:29], v[54:55] offset1:1
	ds_write2_b64 v1, v[48:49], v[52:53] offset0:2 offset1:3
	ds_write2_b64 v1, v[46:47], v[50:51] offset0:4 offset1:5
	ds_write2_b64 v1, v[44:45], v[42:43] offset0:6 offset1:7
	ds_write2_b64 v1, v[36:37], v[38:39] offset0:8 offset1:9
	ds_write2_b64 v1, v[34:35], v[32:33] offset0:10 offset1:11
	ds_write_b64 v1, v[30:31] offset:96
	s_waitcnt lgkmcnt(0)
	; wave barrier
	s_waitcnt lgkmcnt(0)
	ds_read2st64_b64 v[22:25], v2 offset0:1 offset1:2
	ds_read2st64_b64 v[18:21], v2 offset0:3 offset1:4
	;; [unrolled: 1-line block ×6, first 2 shown]
	s_mov_b32 s5, 0
	s_add_i32 s11, s11, s10
	s_lshl_b64 s[0:1], s[4:5], 3
	s_add_u32 s0, s6, s0
	s_addc_u32 s1, s7, s1
	v_mov_b32_e32 v27, 0
	v_lshl_add_u64 v[40:41], s[0:1], 0, v[26:27]
	v_cmp_gt_u32_e32 vcc, s11, v0
	s_and_saveexec_b64 s[0:1], vcc
	s_cbranch_execz .LBB239_55
; %bb.54:
	v_add_u32_e32 v1, v1, v56
	ds_read_b64 v[56:57], v1
	s_waitcnt lgkmcnt(0)
	global_store_dwordx2 v[40:41], v[56:57], off
.LBB239_55:
	s_or_b64 exec, exec, s[0:1]
	v_or_b32_e32 v1, 64, v0
	v_cmp_gt_u32_e32 vcc, s11, v1
	s_and_saveexec_b64 s[0:1], vcc
	s_cbranch_execz .LBB239_57
; %bb.56:
	s_waitcnt lgkmcnt(5)
	global_store_dwordx2 v[40:41], v[22:23], off offset:512
.LBB239_57:
	s_or_b64 exec, exec, s[0:1]
	v_or_b32_e32 v1, 0x80, v0
	v_cmp_gt_u32_e32 vcc, s11, v1
	s_and_saveexec_b64 s[0:1], vcc
	s_cbranch_execz .LBB239_59
; %bb.58:
	s_waitcnt lgkmcnt(5)
	global_store_dwordx2 v[40:41], v[24:25], off offset:1024
.LBB239_59:
	;; [unrolled: 9-line block ×7, first 2 shown]
	s_or_b64 exec, exec, s[0:1]
	v_or_b32_e32 v1, 0x200, v0
	v_cmp_gt_u32_e32 vcc, s11, v1
	s_and_saveexec_b64 s[0:1], vcc
	s_cbranch_execz .LBB239_71
; %bb.70:
	s_waitcnt lgkmcnt(2)
	v_add_co_u32_e32 v10, vcc, 0x1000, v40
	s_nop 1
	v_addc_co_u32_e32 v11, vcc, 0, v41, vcc
	global_store_dwordx2 v[10:11], v[12:13], off
.LBB239_71:
	s_or_b64 exec, exec, s[0:1]
	v_or_b32_e32 v1, 0x240, v0
	v_cmp_gt_u32_e32 vcc, s11, v1
	s_and_saveexec_b64 s[0:1], vcc
	s_cbranch_execz .LBB239_73
; %bb.72:
	s_waitcnt lgkmcnt(2)
	v_add_co_u32_e32 v10, vcc, 0x1000, v40
	s_nop 1
	v_addc_co_u32_e32 v11, vcc, 0, v41, vcc
	s_waitcnt lgkmcnt(1)
	global_store_dwordx2 v[10:11], v[6:7], off offset:512
.LBB239_73:
	s_or_b64 exec, exec, s[0:1]
	v_or_b32_e32 v1, 0x280, v0
	v_cmp_gt_u32_e32 vcc, s11, v1
	s_and_saveexec_b64 s[0:1], vcc
	s_cbranch_execz .LBB239_75
; %bb.74:
	s_waitcnt lgkmcnt(1)
	v_add_co_u32_e32 v6, vcc, 0x1000, v40
	s_nop 1
	v_addc_co_u32_e32 v7, vcc, 0, v41, vcc
	global_store_dwordx2 v[6:7], v[8:9], off offset:1024
.LBB239_75:
	s_or_b64 exec, exec, s[0:1]
	v_or_b32_e32 v1, 0x2c0, v0
	v_cmp_gt_u32_e32 vcc, s11, v1
	s_and_saveexec_b64 s[0:1], vcc
	s_cbranch_execz .LBB239_77
; %bb.76:
	s_waitcnt lgkmcnt(1)
	v_add_co_u32_e32 v6, vcc, 0x1000, v40
	s_nop 1
	v_addc_co_u32_e32 v7, vcc, 0, v41, vcc
	s_waitcnt lgkmcnt(0)
	global_store_dwordx2 v[6:7], v[2:3], off offset:1536
.LBB239_77:
	s_or_b64 exec, exec, s[0:1]
	v_or_b32_e32 v1, 0x300, v0
	v_cmp_gt_u32_e64 s[0:1], s11, v1
	s_branch .LBB239_80
.LBB239_78:
	s_mov_b64 s[0:1], 0
                                        ; implicit-def: $vgpr4_vgpr5
                                        ; implicit-def: $vgpr40_vgpr41
	s_cbranch_execz .LBB239_80
; %bb.79:
	s_mov_b32 s5, 0
	v_mul_u32_u24_e32 v1, 0x68, v0
	s_lshl_b64 s[2:3], s[4:5], 3
	s_movk_i32 s4, 0x68
	ds_write2_b64 v1, v[28:29], v[54:55] offset1:1
	ds_write2_b64 v1, v[48:49], v[52:53] offset0:2 offset1:3
	ds_write2_b64 v1, v[46:47], v[50:51] offset0:4 offset1:5
	;; [unrolled: 1-line block ×5, first 2 shown]
	ds_write_b64 v1, v[30:31] offset:96
	v_mul_i32_i24_e32 v1, 0xffffffa0, v0
	s_add_u32 s2, s6, s2
	s_waitcnt lgkmcnt(7)
	v_mad_u32_u24 v4, v0, s4, v1
	s_addc_u32 s3, s7, s3
	s_waitcnt lgkmcnt(0)
	; wave barrier
	s_waitcnt lgkmcnt(0)
	ds_read2st64_b64 v[0:3], v4 offset1:1
	ds_read2st64_b64 v[6:9], v4 offset0:2 offset1:3
	ds_read2st64_b64 v[10:13], v4 offset0:4 offset1:5
	;; [unrolled: 1-line block ×5, first 2 shown]
	ds_read_b64 v[4:5], v4 offset:6144
	v_mov_b32_e32 v27, 0
	v_lshl_add_u64 v[40:41], s[2:3], 0, v[26:27]
	s_waitcnt lgkmcnt(6)
	global_store_dwordx2 v26, v[0:1], s[2:3]
	global_store_dwordx2 v26, v[2:3], s[2:3] offset:512
	s_waitcnt lgkmcnt(5)
	global_store_dwordx2 v26, v[6:7], s[2:3] offset:1024
	global_store_dwordx2 v26, v[8:9], s[2:3] offset:1536
	s_waitcnt lgkmcnt(4)
	global_store_dwordx2 v26, v[10:11], s[2:3] offset:2048
	global_store_dwordx2 v26, v[12:13], s[2:3] offset:2560
	s_waitcnt lgkmcnt(3)
	global_store_dwordx2 v26, v[14:15], s[2:3] offset:3072
	global_store_dwordx2 v26, v[16:17], s[2:3] offset:3584
	v_add_co_u32_e32 v0, vcc, 0x1000, v40
	s_or_b64 s[0:1], s[0:1], exec
	s_nop 0
	v_addc_co_u32_e32 v1, vcc, 0, v41, vcc
	s_waitcnt lgkmcnt(2)
	global_store_dwordx2 v[0:1], v[18:19], off
	global_store_dwordx2 v[0:1], v[20:21], off offset:512
	s_waitcnt lgkmcnt(1)
	global_store_dwordx2 v[0:1], v[22:23], off offset:1024
	global_store_dwordx2 v[0:1], v[24:25], off offset:1536
.LBB239_80:
	s_and_saveexec_b64 s[2:3], s[0:1]
	s_cbranch_execnz .LBB239_82
; %bb.81:
	s_endpgm
.LBB239_82:
	v_add_co_u32_e32 v0, vcc, 0x1000, v40
	s_nop 1
	v_addc_co_u32_e32 v1, vcc, 0, v41, vcc
	s_waitcnt lgkmcnt(0)
	global_store_dwordx2 v[0:1], v[4:5], off offset:2048
	s_endpgm
	.section	.rodata,"a",@progbits
	.p2align	6, 0x0
	.amdhsa_kernel _ZN7rocprim17ROCPRIM_400000_NS6detail17trampoline_kernelINS0_14default_configENS1_35adjacent_difference_config_selectorILb0ElEEZNS1_24adjacent_difference_implIS3_Lb0ELb0EPlS7_N6thrust23THRUST_200600_302600_NS5minusIlEEEE10hipError_tPvRmT2_T3_mT4_P12ihipStream_tbEUlT_E_NS1_11comp_targetILNS1_3genE5ELNS1_11target_archE942ELNS1_3gpuE9ELNS1_3repE0EEENS1_30default_config_static_selectorELNS0_4arch9wavefront6targetE1EEEvT1_
		.amdhsa_group_segment_fixed_size 6656
		.amdhsa_private_segment_fixed_size 0
		.amdhsa_kernarg_size 56
		.amdhsa_user_sgpr_count 2
		.amdhsa_user_sgpr_dispatch_ptr 0
		.amdhsa_user_sgpr_queue_ptr 0
		.amdhsa_user_sgpr_kernarg_segment_ptr 1
		.amdhsa_user_sgpr_dispatch_id 0
		.amdhsa_user_sgpr_kernarg_preload_length 0
		.amdhsa_user_sgpr_kernarg_preload_offset 0
		.amdhsa_user_sgpr_private_segment_size 0
		.amdhsa_uses_dynamic_stack 0
		.amdhsa_enable_private_segment 0
		.amdhsa_system_sgpr_workgroup_id_x 1
		.amdhsa_system_sgpr_workgroup_id_y 0
		.amdhsa_system_sgpr_workgroup_id_z 0
		.amdhsa_system_sgpr_workgroup_info 0
		.amdhsa_system_vgpr_workitem_id 0
		.amdhsa_next_free_vgpr 58
		.amdhsa_next_free_sgpr 23
		.amdhsa_accum_offset 60
		.amdhsa_reserve_vcc 1
		.amdhsa_float_round_mode_32 0
		.amdhsa_float_round_mode_16_64 0
		.amdhsa_float_denorm_mode_32 3
		.amdhsa_float_denorm_mode_16_64 3
		.amdhsa_dx10_clamp 1
		.amdhsa_ieee_mode 1
		.amdhsa_fp16_overflow 0
		.amdhsa_tg_split 0
		.amdhsa_exception_fp_ieee_invalid_op 0
		.amdhsa_exception_fp_denorm_src 0
		.amdhsa_exception_fp_ieee_div_zero 0
		.amdhsa_exception_fp_ieee_overflow 0
		.amdhsa_exception_fp_ieee_underflow 0
		.amdhsa_exception_fp_ieee_inexact 0
		.amdhsa_exception_int_div_zero 0
	.end_amdhsa_kernel
	.section	.text._ZN7rocprim17ROCPRIM_400000_NS6detail17trampoline_kernelINS0_14default_configENS1_35adjacent_difference_config_selectorILb0ElEEZNS1_24adjacent_difference_implIS3_Lb0ELb0EPlS7_N6thrust23THRUST_200600_302600_NS5minusIlEEEE10hipError_tPvRmT2_T3_mT4_P12ihipStream_tbEUlT_E_NS1_11comp_targetILNS1_3genE5ELNS1_11target_archE942ELNS1_3gpuE9ELNS1_3repE0EEENS1_30default_config_static_selectorELNS0_4arch9wavefront6targetE1EEEvT1_,"axG",@progbits,_ZN7rocprim17ROCPRIM_400000_NS6detail17trampoline_kernelINS0_14default_configENS1_35adjacent_difference_config_selectorILb0ElEEZNS1_24adjacent_difference_implIS3_Lb0ELb0EPlS7_N6thrust23THRUST_200600_302600_NS5minusIlEEEE10hipError_tPvRmT2_T3_mT4_P12ihipStream_tbEUlT_E_NS1_11comp_targetILNS1_3genE5ELNS1_11target_archE942ELNS1_3gpuE9ELNS1_3repE0EEENS1_30default_config_static_selectorELNS0_4arch9wavefront6targetE1EEEvT1_,comdat
.Lfunc_end239:
	.size	_ZN7rocprim17ROCPRIM_400000_NS6detail17trampoline_kernelINS0_14default_configENS1_35adjacent_difference_config_selectorILb0ElEEZNS1_24adjacent_difference_implIS3_Lb0ELb0EPlS7_N6thrust23THRUST_200600_302600_NS5minusIlEEEE10hipError_tPvRmT2_T3_mT4_P12ihipStream_tbEUlT_E_NS1_11comp_targetILNS1_3genE5ELNS1_11target_archE942ELNS1_3gpuE9ELNS1_3repE0EEENS1_30default_config_static_selectorELNS0_4arch9wavefront6targetE1EEEvT1_, .Lfunc_end239-_ZN7rocprim17ROCPRIM_400000_NS6detail17trampoline_kernelINS0_14default_configENS1_35adjacent_difference_config_selectorILb0ElEEZNS1_24adjacent_difference_implIS3_Lb0ELb0EPlS7_N6thrust23THRUST_200600_302600_NS5minusIlEEEE10hipError_tPvRmT2_T3_mT4_P12ihipStream_tbEUlT_E_NS1_11comp_targetILNS1_3genE5ELNS1_11target_archE942ELNS1_3gpuE9ELNS1_3repE0EEENS1_30default_config_static_selectorELNS0_4arch9wavefront6targetE1EEEvT1_
                                        ; -- End function
	.section	.AMDGPU.csdata,"",@progbits
; Kernel info:
; codeLenInByte = 3612
; NumSgprs: 29
; NumVgprs: 58
; NumAgprs: 0
; TotalNumVgprs: 58
; ScratchSize: 0
; MemoryBound: 0
; FloatMode: 240
; IeeeMode: 1
; LDSByteSize: 6656 bytes/workgroup (compile time only)
; SGPRBlocks: 3
; VGPRBlocks: 7
; NumSGPRsForWavesPerEU: 29
; NumVGPRsForWavesPerEU: 58
; AccumOffset: 60
; Occupancy: 3
; WaveLimiterHint : 1
; COMPUTE_PGM_RSRC2:SCRATCH_EN: 0
; COMPUTE_PGM_RSRC2:USER_SGPR: 2
; COMPUTE_PGM_RSRC2:TRAP_HANDLER: 0
; COMPUTE_PGM_RSRC2:TGID_X_EN: 1
; COMPUTE_PGM_RSRC2:TGID_Y_EN: 0
; COMPUTE_PGM_RSRC2:TGID_Z_EN: 0
; COMPUTE_PGM_RSRC2:TIDIG_COMP_CNT: 0
; COMPUTE_PGM_RSRC3_GFX90A:ACCUM_OFFSET: 14
; COMPUTE_PGM_RSRC3_GFX90A:TG_SPLIT: 0
	.section	.text._ZN7rocprim17ROCPRIM_400000_NS6detail17trampoline_kernelINS0_14default_configENS1_35adjacent_difference_config_selectorILb0ElEEZNS1_24adjacent_difference_implIS3_Lb0ELb0EPlS7_N6thrust23THRUST_200600_302600_NS5minusIlEEEE10hipError_tPvRmT2_T3_mT4_P12ihipStream_tbEUlT_E_NS1_11comp_targetILNS1_3genE4ELNS1_11target_archE910ELNS1_3gpuE8ELNS1_3repE0EEENS1_30default_config_static_selectorELNS0_4arch9wavefront6targetE1EEEvT1_,"axG",@progbits,_ZN7rocprim17ROCPRIM_400000_NS6detail17trampoline_kernelINS0_14default_configENS1_35adjacent_difference_config_selectorILb0ElEEZNS1_24adjacent_difference_implIS3_Lb0ELb0EPlS7_N6thrust23THRUST_200600_302600_NS5minusIlEEEE10hipError_tPvRmT2_T3_mT4_P12ihipStream_tbEUlT_E_NS1_11comp_targetILNS1_3genE4ELNS1_11target_archE910ELNS1_3gpuE8ELNS1_3repE0EEENS1_30default_config_static_selectorELNS0_4arch9wavefront6targetE1EEEvT1_,comdat
	.protected	_ZN7rocprim17ROCPRIM_400000_NS6detail17trampoline_kernelINS0_14default_configENS1_35adjacent_difference_config_selectorILb0ElEEZNS1_24adjacent_difference_implIS3_Lb0ELb0EPlS7_N6thrust23THRUST_200600_302600_NS5minusIlEEEE10hipError_tPvRmT2_T3_mT4_P12ihipStream_tbEUlT_E_NS1_11comp_targetILNS1_3genE4ELNS1_11target_archE910ELNS1_3gpuE8ELNS1_3repE0EEENS1_30default_config_static_selectorELNS0_4arch9wavefront6targetE1EEEvT1_ ; -- Begin function _ZN7rocprim17ROCPRIM_400000_NS6detail17trampoline_kernelINS0_14default_configENS1_35adjacent_difference_config_selectorILb0ElEEZNS1_24adjacent_difference_implIS3_Lb0ELb0EPlS7_N6thrust23THRUST_200600_302600_NS5minusIlEEEE10hipError_tPvRmT2_T3_mT4_P12ihipStream_tbEUlT_E_NS1_11comp_targetILNS1_3genE4ELNS1_11target_archE910ELNS1_3gpuE8ELNS1_3repE0EEENS1_30default_config_static_selectorELNS0_4arch9wavefront6targetE1EEEvT1_
	.globl	_ZN7rocprim17ROCPRIM_400000_NS6detail17trampoline_kernelINS0_14default_configENS1_35adjacent_difference_config_selectorILb0ElEEZNS1_24adjacent_difference_implIS3_Lb0ELb0EPlS7_N6thrust23THRUST_200600_302600_NS5minusIlEEEE10hipError_tPvRmT2_T3_mT4_P12ihipStream_tbEUlT_E_NS1_11comp_targetILNS1_3genE4ELNS1_11target_archE910ELNS1_3gpuE8ELNS1_3repE0EEENS1_30default_config_static_selectorELNS0_4arch9wavefront6targetE1EEEvT1_
	.p2align	8
	.type	_ZN7rocprim17ROCPRIM_400000_NS6detail17trampoline_kernelINS0_14default_configENS1_35adjacent_difference_config_selectorILb0ElEEZNS1_24adjacent_difference_implIS3_Lb0ELb0EPlS7_N6thrust23THRUST_200600_302600_NS5minusIlEEEE10hipError_tPvRmT2_T3_mT4_P12ihipStream_tbEUlT_E_NS1_11comp_targetILNS1_3genE4ELNS1_11target_archE910ELNS1_3gpuE8ELNS1_3repE0EEENS1_30default_config_static_selectorELNS0_4arch9wavefront6targetE1EEEvT1_,@function
_ZN7rocprim17ROCPRIM_400000_NS6detail17trampoline_kernelINS0_14default_configENS1_35adjacent_difference_config_selectorILb0ElEEZNS1_24adjacent_difference_implIS3_Lb0ELb0EPlS7_N6thrust23THRUST_200600_302600_NS5minusIlEEEE10hipError_tPvRmT2_T3_mT4_P12ihipStream_tbEUlT_E_NS1_11comp_targetILNS1_3genE4ELNS1_11target_archE910ELNS1_3gpuE8ELNS1_3repE0EEENS1_30default_config_static_selectorELNS0_4arch9wavefront6targetE1EEEvT1_: ; @_ZN7rocprim17ROCPRIM_400000_NS6detail17trampoline_kernelINS0_14default_configENS1_35adjacent_difference_config_selectorILb0ElEEZNS1_24adjacent_difference_implIS3_Lb0ELb0EPlS7_N6thrust23THRUST_200600_302600_NS5minusIlEEEE10hipError_tPvRmT2_T3_mT4_P12ihipStream_tbEUlT_E_NS1_11comp_targetILNS1_3genE4ELNS1_11target_archE910ELNS1_3gpuE8ELNS1_3repE0EEENS1_30default_config_static_selectorELNS0_4arch9wavefront6targetE1EEEvT1_
; %bb.0:
	.section	.rodata,"a",@progbits
	.p2align	6, 0x0
	.amdhsa_kernel _ZN7rocprim17ROCPRIM_400000_NS6detail17trampoline_kernelINS0_14default_configENS1_35adjacent_difference_config_selectorILb0ElEEZNS1_24adjacent_difference_implIS3_Lb0ELb0EPlS7_N6thrust23THRUST_200600_302600_NS5minusIlEEEE10hipError_tPvRmT2_T3_mT4_P12ihipStream_tbEUlT_E_NS1_11comp_targetILNS1_3genE4ELNS1_11target_archE910ELNS1_3gpuE8ELNS1_3repE0EEENS1_30default_config_static_selectorELNS0_4arch9wavefront6targetE1EEEvT1_
		.amdhsa_group_segment_fixed_size 0
		.amdhsa_private_segment_fixed_size 0
		.amdhsa_kernarg_size 56
		.amdhsa_user_sgpr_count 2
		.amdhsa_user_sgpr_dispatch_ptr 0
		.amdhsa_user_sgpr_queue_ptr 0
		.amdhsa_user_sgpr_kernarg_segment_ptr 1
		.amdhsa_user_sgpr_dispatch_id 0
		.amdhsa_user_sgpr_kernarg_preload_length 0
		.amdhsa_user_sgpr_kernarg_preload_offset 0
		.amdhsa_user_sgpr_private_segment_size 0
		.amdhsa_uses_dynamic_stack 0
		.amdhsa_enable_private_segment 0
		.amdhsa_system_sgpr_workgroup_id_x 1
		.amdhsa_system_sgpr_workgroup_id_y 0
		.amdhsa_system_sgpr_workgroup_id_z 0
		.amdhsa_system_sgpr_workgroup_info 0
		.amdhsa_system_vgpr_workitem_id 0
		.amdhsa_next_free_vgpr 1
		.amdhsa_next_free_sgpr 0
		.amdhsa_accum_offset 4
		.amdhsa_reserve_vcc 0
		.amdhsa_float_round_mode_32 0
		.amdhsa_float_round_mode_16_64 0
		.amdhsa_float_denorm_mode_32 3
		.amdhsa_float_denorm_mode_16_64 3
		.amdhsa_dx10_clamp 1
		.amdhsa_ieee_mode 1
		.amdhsa_fp16_overflow 0
		.amdhsa_tg_split 0
		.amdhsa_exception_fp_ieee_invalid_op 0
		.amdhsa_exception_fp_denorm_src 0
		.amdhsa_exception_fp_ieee_div_zero 0
		.amdhsa_exception_fp_ieee_overflow 0
		.amdhsa_exception_fp_ieee_underflow 0
		.amdhsa_exception_fp_ieee_inexact 0
		.amdhsa_exception_int_div_zero 0
	.end_amdhsa_kernel
	.section	.text._ZN7rocprim17ROCPRIM_400000_NS6detail17trampoline_kernelINS0_14default_configENS1_35adjacent_difference_config_selectorILb0ElEEZNS1_24adjacent_difference_implIS3_Lb0ELb0EPlS7_N6thrust23THRUST_200600_302600_NS5minusIlEEEE10hipError_tPvRmT2_T3_mT4_P12ihipStream_tbEUlT_E_NS1_11comp_targetILNS1_3genE4ELNS1_11target_archE910ELNS1_3gpuE8ELNS1_3repE0EEENS1_30default_config_static_selectorELNS0_4arch9wavefront6targetE1EEEvT1_,"axG",@progbits,_ZN7rocprim17ROCPRIM_400000_NS6detail17trampoline_kernelINS0_14default_configENS1_35adjacent_difference_config_selectorILb0ElEEZNS1_24adjacent_difference_implIS3_Lb0ELb0EPlS7_N6thrust23THRUST_200600_302600_NS5minusIlEEEE10hipError_tPvRmT2_T3_mT4_P12ihipStream_tbEUlT_E_NS1_11comp_targetILNS1_3genE4ELNS1_11target_archE910ELNS1_3gpuE8ELNS1_3repE0EEENS1_30default_config_static_selectorELNS0_4arch9wavefront6targetE1EEEvT1_,comdat
.Lfunc_end240:
	.size	_ZN7rocprim17ROCPRIM_400000_NS6detail17trampoline_kernelINS0_14default_configENS1_35adjacent_difference_config_selectorILb0ElEEZNS1_24adjacent_difference_implIS3_Lb0ELb0EPlS7_N6thrust23THRUST_200600_302600_NS5minusIlEEEE10hipError_tPvRmT2_T3_mT4_P12ihipStream_tbEUlT_E_NS1_11comp_targetILNS1_3genE4ELNS1_11target_archE910ELNS1_3gpuE8ELNS1_3repE0EEENS1_30default_config_static_selectorELNS0_4arch9wavefront6targetE1EEEvT1_, .Lfunc_end240-_ZN7rocprim17ROCPRIM_400000_NS6detail17trampoline_kernelINS0_14default_configENS1_35adjacent_difference_config_selectorILb0ElEEZNS1_24adjacent_difference_implIS3_Lb0ELb0EPlS7_N6thrust23THRUST_200600_302600_NS5minusIlEEEE10hipError_tPvRmT2_T3_mT4_P12ihipStream_tbEUlT_E_NS1_11comp_targetILNS1_3genE4ELNS1_11target_archE910ELNS1_3gpuE8ELNS1_3repE0EEENS1_30default_config_static_selectorELNS0_4arch9wavefront6targetE1EEEvT1_
                                        ; -- End function
	.section	.AMDGPU.csdata,"",@progbits
; Kernel info:
; codeLenInByte = 0
; NumSgprs: 6
; NumVgprs: 0
; NumAgprs: 0
; TotalNumVgprs: 0
; ScratchSize: 0
; MemoryBound: 0
; FloatMode: 240
; IeeeMode: 1
; LDSByteSize: 0 bytes/workgroup (compile time only)
; SGPRBlocks: 0
; VGPRBlocks: 0
; NumSGPRsForWavesPerEU: 6
; NumVGPRsForWavesPerEU: 1
; AccumOffset: 4
; Occupancy: 8
; WaveLimiterHint : 0
; COMPUTE_PGM_RSRC2:SCRATCH_EN: 0
; COMPUTE_PGM_RSRC2:USER_SGPR: 2
; COMPUTE_PGM_RSRC2:TRAP_HANDLER: 0
; COMPUTE_PGM_RSRC2:TGID_X_EN: 1
; COMPUTE_PGM_RSRC2:TGID_Y_EN: 0
; COMPUTE_PGM_RSRC2:TGID_Z_EN: 0
; COMPUTE_PGM_RSRC2:TIDIG_COMP_CNT: 0
; COMPUTE_PGM_RSRC3_GFX90A:ACCUM_OFFSET: 0
; COMPUTE_PGM_RSRC3_GFX90A:TG_SPLIT: 0
	.section	.text._ZN7rocprim17ROCPRIM_400000_NS6detail17trampoline_kernelINS0_14default_configENS1_35adjacent_difference_config_selectorILb0ElEEZNS1_24adjacent_difference_implIS3_Lb0ELb0EPlS7_N6thrust23THRUST_200600_302600_NS5minusIlEEEE10hipError_tPvRmT2_T3_mT4_P12ihipStream_tbEUlT_E_NS1_11comp_targetILNS1_3genE3ELNS1_11target_archE908ELNS1_3gpuE7ELNS1_3repE0EEENS1_30default_config_static_selectorELNS0_4arch9wavefront6targetE1EEEvT1_,"axG",@progbits,_ZN7rocprim17ROCPRIM_400000_NS6detail17trampoline_kernelINS0_14default_configENS1_35adjacent_difference_config_selectorILb0ElEEZNS1_24adjacent_difference_implIS3_Lb0ELb0EPlS7_N6thrust23THRUST_200600_302600_NS5minusIlEEEE10hipError_tPvRmT2_T3_mT4_P12ihipStream_tbEUlT_E_NS1_11comp_targetILNS1_3genE3ELNS1_11target_archE908ELNS1_3gpuE7ELNS1_3repE0EEENS1_30default_config_static_selectorELNS0_4arch9wavefront6targetE1EEEvT1_,comdat
	.protected	_ZN7rocprim17ROCPRIM_400000_NS6detail17trampoline_kernelINS0_14default_configENS1_35adjacent_difference_config_selectorILb0ElEEZNS1_24adjacent_difference_implIS3_Lb0ELb0EPlS7_N6thrust23THRUST_200600_302600_NS5minusIlEEEE10hipError_tPvRmT2_T3_mT4_P12ihipStream_tbEUlT_E_NS1_11comp_targetILNS1_3genE3ELNS1_11target_archE908ELNS1_3gpuE7ELNS1_3repE0EEENS1_30default_config_static_selectorELNS0_4arch9wavefront6targetE1EEEvT1_ ; -- Begin function _ZN7rocprim17ROCPRIM_400000_NS6detail17trampoline_kernelINS0_14default_configENS1_35adjacent_difference_config_selectorILb0ElEEZNS1_24adjacent_difference_implIS3_Lb0ELb0EPlS7_N6thrust23THRUST_200600_302600_NS5minusIlEEEE10hipError_tPvRmT2_T3_mT4_P12ihipStream_tbEUlT_E_NS1_11comp_targetILNS1_3genE3ELNS1_11target_archE908ELNS1_3gpuE7ELNS1_3repE0EEENS1_30default_config_static_selectorELNS0_4arch9wavefront6targetE1EEEvT1_
	.globl	_ZN7rocprim17ROCPRIM_400000_NS6detail17trampoline_kernelINS0_14default_configENS1_35adjacent_difference_config_selectorILb0ElEEZNS1_24adjacent_difference_implIS3_Lb0ELb0EPlS7_N6thrust23THRUST_200600_302600_NS5minusIlEEEE10hipError_tPvRmT2_T3_mT4_P12ihipStream_tbEUlT_E_NS1_11comp_targetILNS1_3genE3ELNS1_11target_archE908ELNS1_3gpuE7ELNS1_3repE0EEENS1_30default_config_static_selectorELNS0_4arch9wavefront6targetE1EEEvT1_
	.p2align	8
	.type	_ZN7rocprim17ROCPRIM_400000_NS6detail17trampoline_kernelINS0_14default_configENS1_35adjacent_difference_config_selectorILb0ElEEZNS1_24adjacent_difference_implIS3_Lb0ELb0EPlS7_N6thrust23THRUST_200600_302600_NS5minusIlEEEE10hipError_tPvRmT2_T3_mT4_P12ihipStream_tbEUlT_E_NS1_11comp_targetILNS1_3genE3ELNS1_11target_archE908ELNS1_3gpuE7ELNS1_3repE0EEENS1_30default_config_static_selectorELNS0_4arch9wavefront6targetE1EEEvT1_,@function
_ZN7rocprim17ROCPRIM_400000_NS6detail17trampoline_kernelINS0_14default_configENS1_35adjacent_difference_config_selectorILb0ElEEZNS1_24adjacent_difference_implIS3_Lb0ELb0EPlS7_N6thrust23THRUST_200600_302600_NS5minusIlEEEE10hipError_tPvRmT2_T3_mT4_P12ihipStream_tbEUlT_E_NS1_11comp_targetILNS1_3genE3ELNS1_11target_archE908ELNS1_3gpuE7ELNS1_3repE0EEENS1_30default_config_static_selectorELNS0_4arch9wavefront6targetE1EEEvT1_: ; @_ZN7rocprim17ROCPRIM_400000_NS6detail17trampoline_kernelINS0_14default_configENS1_35adjacent_difference_config_selectorILb0ElEEZNS1_24adjacent_difference_implIS3_Lb0ELb0EPlS7_N6thrust23THRUST_200600_302600_NS5minusIlEEEE10hipError_tPvRmT2_T3_mT4_P12ihipStream_tbEUlT_E_NS1_11comp_targetILNS1_3genE3ELNS1_11target_archE908ELNS1_3gpuE7ELNS1_3repE0EEENS1_30default_config_static_selectorELNS0_4arch9wavefront6targetE1EEEvT1_
; %bb.0:
	.section	.rodata,"a",@progbits
	.p2align	6, 0x0
	.amdhsa_kernel _ZN7rocprim17ROCPRIM_400000_NS6detail17trampoline_kernelINS0_14default_configENS1_35adjacent_difference_config_selectorILb0ElEEZNS1_24adjacent_difference_implIS3_Lb0ELb0EPlS7_N6thrust23THRUST_200600_302600_NS5minusIlEEEE10hipError_tPvRmT2_T3_mT4_P12ihipStream_tbEUlT_E_NS1_11comp_targetILNS1_3genE3ELNS1_11target_archE908ELNS1_3gpuE7ELNS1_3repE0EEENS1_30default_config_static_selectorELNS0_4arch9wavefront6targetE1EEEvT1_
		.amdhsa_group_segment_fixed_size 0
		.amdhsa_private_segment_fixed_size 0
		.amdhsa_kernarg_size 56
		.amdhsa_user_sgpr_count 2
		.amdhsa_user_sgpr_dispatch_ptr 0
		.amdhsa_user_sgpr_queue_ptr 0
		.amdhsa_user_sgpr_kernarg_segment_ptr 1
		.amdhsa_user_sgpr_dispatch_id 0
		.amdhsa_user_sgpr_kernarg_preload_length 0
		.amdhsa_user_sgpr_kernarg_preload_offset 0
		.amdhsa_user_sgpr_private_segment_size 0
		.amdhsa_uses_dynamic_stack 0
		.amdhsa_enable_private_segment 0
		.amdhsa_system_sgpr_workgroup_id_x 1
		.amdhsa_system_sgpr_workgroup_id_y 0
		.amdhsa_system_sgpr_workgroup_id_z 0
		.amdhsa_system_sgpr_workgroup_info 0
		.amdhsa_system_vgpr_workitem_id 0
		.amdhsa_next_free_vgpr 1
		.amdhsa_next_free_sgpr 0
		.amdhsa_accum_offset 4
		.amdhsa_reserve_vcc 0
		.amdhsa_float_round_mode_32 0
		.amdhsa_float_round_mode_16_64 0
		.amdhsa_float_denorm_mode_32 3
		.amdhsa_float_denorm_mode_16_64 3
		.amdhsa_dx10_clamp 1
		.amdhsa_ieee_mode 1
		.amdhsa_fp16_overflow 0
		.amdhsa_tg_split 0
		.amdhsa_exception_fp_ieee_invalid_op 0
		.amdhsa_exception_fp_denorm_src 0
		.amdhsa_exception_fp_ieee_div_zero 0
		.amdhsa_exception_fp_ieee_overflow 0
		.amdhsa_exception_fp_ieee_underflow 0
		.amdhsa_exception_fp_ieee_inexact 0
		.amdhsa_exception_int_div_zero 0
	.end_amdhsa_kernel
	.section	.text._ZN7rocprim17ROCPRIM_400000_NS6detail17trampoline_kernelINS0_14default_configENS1_35adjacent_difference_config_selectorILb0ElEEZNS1_24adjacent_difference_implIS3_Lb0ELb0EPlS7_N6thrust23THRUST_200600_302600_NS5minusIlEEEE10hipError_tPvRmT2_T3_mT4_P12ihipStream_tbEUlT_E_NS1_11comp_targetILNS1_3genE3ELNS1_11target_archE908ELNS1_3gpuE7ELNS1_3repE0EEENS1_30default_config_static_selectorELNS0_4arch9wavefront6targetE1EEEvT1_,"axG",@progbits,_ZN7rocprim17ROCPRIM_400000_NS6detail17trampoline_kernelINS0_14default_configENS1_35adjacent_difference_config_selectorILb0ElEEZNS1_24adjacent_difference_implIS3_Lb0ELb0EPlS7_N6thrust23THRUST_200600_302600_NS5minusIlEEEE10hipError_tPvRmT2_T3_mT4_P12ihipStream_tbEUlT_E_NS1_11comp_targetILNS1_3genE3ELNS1_11target_archE908ELNS1_3gpuE7ELNS1_3repE0EEENS1_30default_config_static_selectorELNS0_4arch9wavefront6targetE1EEEvT1_,comdat
.Lfunc_end241:
	.size	_ZN7rocprim17ROCPRIM_400000_NS6detail17trampoline_kernelINS0_14default_configENS1_35adjacent_difference_config_selectorILb0ElEEZNS1_24adjacent_difference_implIS3_Lb0ELb0EPlS7_N6thrust23THRUST_200600_302600_NS5minusIlEEEE10hipError_tPvRmT2_T3_mT4_P12ihipStream_tbEUlT_E_NS1_11comp_targetILNS1_3genE3ELNS1_11target_archE908ELNS1_3gpuE7ELNS1_3repE0EEENS1_30default_config_static_selectorELNS0_4arch9wavefront6targetE1EEEvT1_, .Lfunc_end241-_ZN7rocprim17ROCPRIM_400000_NS6detail17trampoline_kernelINS0_14default_configENS1_35adjacent_difference_config_selectorILb0ElEEZNS1_24adjacent_difference_implIS3_Lb0ELb0EPlS7_N6thrust23THRUST_200600_302600_NS5minusIlEEEE10hipError_tPvRmT2_T3_mT4_P12ihipStream_tbEUlT_E_NS1_11comp_targetILNS1_3genE3ELNS1_11target_archE908ELNS1_3gpuE7ELNS1_3repE0EEENS1_30default_config_static_selectorELNS0_4arch9wavefront6targetE1EEEvT1_
                                        ; -- End function
	.section	.AMDGPU.csdata,"",@progbits
; Kernel info:
; codeLenInByte = 0
; NumSgprs: 6
; NumVgprs: 0
; NumAgprs: 0
; TotalNumVgprs: 0
; ScratchSize: 0
; MemoryBound: 0
; FloatMode: 240
; IeeeMode: 1
; LDSByteSize: 0 bytes/workgroup (compile time only)
; SGPRBlocks: 0
; VGPRBlocks: 0
; NumSGPRsForWavesPerEU: 6
; NumVGPRsForWavesPerEU: 1
; AccumOffset: 4
; Occupancy: 8
; WaveLimiterHint : 0
; COMPUTE_PGM_RSRC2:SCRATCH_EN: 0
; COMPUTE_PGM_RSRC2:USER_SGPR: 2
; COMPUTE_PGM_RSRC2:TRAP_HANDLER: 0
; COMPUTE_PGM_RSRC2:TGID_X_EN: 1
; COMPUTE_PGM_RSRC2:TGID_Y_EN: 0
; COMPUTE_PGM_RSRC2:TGID_Z_EN: 0
; COMPUTE_PGM_RSRC2:TIDIG_COMP_CNT: 0
; COMPUTE_PGM_RSRC3_GFX90A:ACCUM_OFFSET: 0
; COMPUTE_PGM_RSRC3_GFX90A:TG_SPLIT: 0
	.section	.text._ZN7rocprim17ROCPRIM_400000_NS6detail17trampoline_kernelINS0_14default_configENS1_35adjacent_difference_config_selectorILb0ElEEZNS1_24adjacent_difference_implIS3_Lb0ELb0EPlS7_N6thrust23THRUST_200600_302600_NS5minusIlEEEE10hipError_tPvRmT2_T3_mT4_P12ihipStream_tbEUlT_E_NS1_11comp_targetILNS1_3genE2ELNS1_11target_archE906ELNS1_3gpuE6ELNS1_3repE0EEENS1_30default_config_static_selectorELNS0_4arch9wavefront6targetE1EEEvT1_,"axG",@progbits,_ZN7rocprim17ROCPRIM_400000_NS6detail17trampoline_kernelINS0_14default_configENS1_35adjacent_difference_config_selectorILb0ElEEZNS1_24adjacent_difference_implIS3_Lb0ELb0EPlS7_N6thrust23THRUST_200600_302600_NS5minusIlEEEE10hipError_tPvRmT2_T3_mT4_P12ihipStream_tbEUlT_E_NS1_11comp_targetILNS1_3genE2ELNS1_11target_archE906ELNS1_3gpuE6ELNS1_3repE0EEENS1_30default_config_static_selectorELNS0_4arch9wavefront6targetE1EEEvT1_,comdat
	.protected	_ZN7rocprim17ROCPRIM_400000_NS6detail17trampoline_kernelINS0_14default_configENS1_35adjacent_difference_config_selectorILb0ElEEZNS1_24adjacent_difference_implIS3_Lb0ELb0EPlS7_N6thrust23THRUST_200600_302600_NS5minusIlEEEE10hipError_tPvRmT2_T3_mT4_P12ihipStream_tbEUlT_E_NS1_11comp_targetILNS1_3genE2ELNS1_11target_archE906ELNS1_3gpuE6ELNS1_3repE0EEENS1_30default_config_static_selectorELNS0_4arch9wavefront6targetE1EEEvT1_ ; -- Begin function _ZN7rocprim17ROCPRIM_400000_NS6detail17trampoline_kernelINS0_14default_configENS1_35adjacent_difference_config_selectorILb0ElEEZNS1_24adjacent_difference_implIS3_Lb0ELb0EPlS7_N6thrust23THRUST_200600_302600_NS5minusIlEEEE10hipError_tPvRmT2_T3_mT4_P12ihipStream_tbEUlT_E_NS1_11comp_targetILNS1_3genE2ELNS1_11target_archE906ELNS1_3gpuE6ELNS1_3repE0EEENS1_30default_config_static_selectorELNS0_4arch9wavefront6targetE1EEEvT1_
	.globl	_ZN7rocprim17ROCPRIM_400000_NS6detail17trampoline_kernelINS0_14default_configENS1_35adjacent_difference_config_selectorILb0ElEEZNS1_24adjacent_difference_implIS3_Lb0ELb0EPlS7_N6thrust23THRUST_200600_302600_NS5minusIlEEEE10hipError_tPvRmT2_T3_mT4_P12ihipStream_tbEUlT_E_NS1_11comp_targetILNS1_3genE2ELNS1_11target_archE906ELNS1_3gpuE6ELNS1_3repE0EEENS1_30default_config_static_selectorELNS0_4arch9wavefront6targetE1EEEvT1_
	.p2align	8
	.type	_ZN7rocprim17ROCPRIM_400000_NS6detail17trampoline_kernelINS0_14default_configENS1_35adjacent_difference_config_selectorILb0ElEEZNS1_24adjacent_difference_implIS3_Lb0ELb0EPlS7_N6thrust23THRUST_200600_302600_NS5minusIlEEEE10hipError_tPvRmT2_T3_mT4_P12ihipStream_tbEUlT_E_NS1_11comp_targetILNS1_3genE2ELNS1_11target_archE906ELNS1_3gpuE6ELNS1_3repE0EEENS1_30default_config_static_selectorELNS0_4arch9wavefront6targetE1EEEvT1_,@function
_ZN7rocprim17ROCPRIM_400000_NS6detail17trampoline_kernelINS0_14default_configENS1_35adjacent_difference_config_selectorILb0ElEEZNS1_24adjacent_difference_implIS3_Lb0ELb0EPlS7_N6thrust23THRUST_200600_302600_NS5minusIlEEEE10hipError_tPvRmT2_T3_mT4_P12ihipStream_tbEUlT_E_NS1_11comp_targetILNS1_3genE2ELNS1_11target_archE906ELNS1_3gpuE6ELNS1_3repE0EEENS1_30default_config_static_selectorELNS0_4arch9wavefront6targetE1EEEvT1_: ; @_ZN7rocprim17ROCPRIM_400000_NS6detail17trampoline_kernelINS0_14default_configENS1_35adjacent_difference_config_selectorILb0ElEEZNS1_24adjacent_difference_implIS3_Lb0ELb0EPlS7_N6thrust23THRUST_200600_302600_NS5minusIlEEEE10hipError_tPvRmT2_T3_mT4_P12ihipStream_tbEUlT_E_NS1_11comp_targetILNS1_3genE2ELNS1_11target_archE906ELNS1_3gpuE6ELNS1_3repE0EEENS1_30default_config_static_selectorELNS0_4arch9wavefront6targetE1EEEvT1_
; %bb.0:
	.section	.rodata,"a",@progbits
	.p2align	6, 0x0
	.amdhsa_kernel _ZN7rocprim17ROCPRIM_400000_NS6detail17trampoline_kernelINS0_14default_configENS1_35adjacent_difference_config_selectorILb0ElEEZNS1_24adjacent_difference_implIS3_Lb0ELb0EPlS7_N6thrust23THRUST_200600_302600_NS5minusIlEEEE10hipError_tPvRmT2_T3_mT4_P12ihipStream_tbEUlT_E_NS1_11comp_targetILNS1_3genE2ELNS1_11target_archE906ELNS1_3gpuE6ELNS1_3repE0EEENS1_30default_config_static_selectorELNS0_4arch9wavefront6targetE1EEEvT1_
		.amdhsa_group_segment_fixed_size 0
		.amdhsa_private_segment_fixed_size 0
		.amdhsa_kernarg_size 56
		.amdhsa_user_sgpr_count 2
		.amdhsa_user_sgpr_dispatch_ptr 0
		.amdhsa_user_sgpr_queue_ptr 0
		.amdhsa_user_sgpr_kernarg_segment_ptr 1
		.amdhsa_user_sgpr_dispatch_id 0
		.amdhsa_user_sgpr_kernarg_preload_length 0
		.amdhsa_user_sgpr_kernarg_preload_offset 0
		.amdhsa_user_sgpr_private_segment_size 0
		.amdhsa_uses_dynamic_stack 0
		.amdhsa_enable_private_segment 0
		.amdhsa_system_sgpr_workgroup_id_x 1
		.amdhsa_system_sgpr_workgroup_id_y 0
		.amdhsa_system_sgpr_workgroup_id_z 0
		.amdhsa_system_sgpr_workgroup_info 0
		.amdhsa_system_vgpr_workitem_id 0
		.amdhsa_next_free_vgpr 1
		.amdhsa_next_free_sgpr 0
		.amdhsa_accum_offset 4
		.amdhsa_reserve_vcc 0
		.amdhsa_float_round_mode_32 0
		.amdhsa_float_round_mode_16_64 0
		.amdhsa_float_denorm_mode_32 3
		.amdhsa_float_denorm_mode_16_64 3
		.amdhsa_dx10_clamp 1
		.amdhsa_ieee_mode 1
		.amdhsa_fp16_overflow 0
		.amdhsa_tg_split 0
		.amdhsa_exception_fp_ieee_invalid_op 0
		.amdhsa_exception_fp_denorm_src 0
		.amdhsa_exception_fp_ieee_div_zero 0
		.amdhsa_exception_fp_ieee_overflow 0
		.amdhsa_exception_fp_ieee_underflow 0
		.amdhsa_exception_fp_ieee_inexact 0
		.amdhsa_exception_int_div_zero 0
	.end_amdhsa_kernel
	.section	.text._ZN7rocprim17ROCPRIM_400000_NS6detail17trampoline_kernelINS0_14default_configENS1_35adjacent_difference_config_selectorILb0ElEEZNS1_24adjacent_difference_implIS3_Lb0ELb0EPlS7_N6thrust23THRUST_200600_302600_NS5minusIlEEEE10hipError_tPvRmT2_T3_mT4_P12ihipStream_tbEUlT_E_NS1_11comp_targetILNS1_3genE2ELNS1_11target_archE906ELNS1_3gpuE6ELNS1_3repE0EEENS1_30default_config_static_selectorELNS0_4arch9wavefront6targetE1EEEvT1_,"axG",@progbits,_ZN7rocprim17ROCPRIM_400000_NS6detail17trampoline_kernelINS0_14default_configENS1_35adjacent_difference_config_selectorILb0ElEEZNS1_24adjacent_difference_implIS3_Lb0ELb0EPlS7_N6thrust23THRUST_200600_302600_NS5minusIlEEEE10hipError_tPvRmT2_T3_mT4_P12ihipStream_tbEUlT_E_NS1_11comp_targetILNS1_3genE2ELNS1_11target_archE906ELNS1_3gpuE6ELNS1_3repE0EEENS1_30default_config_static_selectorELNS0_4arch9wavefront6targetE1EEEvT1_,comdat
.Lfunc_end242:
	.size	_ZN7rocprim17ROCPRIM_400000_NS6detail17trampoline_kernelINS0_14default_configENS1_35adjacent_difference_config_selectorILb0ElEEZNS1_24adjacent_difference_implIS3_Lb0ELb0EPlS7_N6thrust23THRUST_200600_302600_NS5minusIlEEEE10hipError_tPvRmT2_T3_mT4_P12ihipStream_tbEUlT_E_NS1_11comp_targetILNS1_3genE2ELNS1_11target_archE906ELNS1_3gpuE6ELNS1_3repE0EEENS1_30default_config_static_selectorELNS0_4arch9wavefront6targetE1EEEvT1_, .Lfunc_end242-_ZN7rocprim17ROCPRIM_400000_NS6detail17trampoline_kernelINS0_14default_configENS1_35adjacent_difference_config_selectorILb0ElEEZNS1_24adjacent_difference_implIS3_Lb0ELb0EPlS7_N6thrust23THRUST_200600_302600_NS5minusIlEEEE10hipError_tPvRmT2_T3_mT4_P12ihipStream_tbEUlT_E_NS1_11comp_targetILNS1_3genE2ELNS1_11target_archE906ELNS1_3gpuE6ELNS1_3repE0EEENS1_30default_config_static_selectorELNS0_4arch9wavefront6targetE1EEEvT1_
                                        ; -- End function
	.section	.AMDGPU.csdata,"",@progbits
; Kernel info:
; codeLenInByte = 0
; NumSgprs: 6
; NumVgprs: 0
; NumAgprs: 0
; TotalNumVgprs: 0
; ScratchSize: 0
; MemoryBound: 0
; FloatMode: 240
; IeeeMode: 1
; LDSByteSize: 0 bytes/workgroup (compile time only)
; SGPRBlocks: 0
; VGPRBlocks: 0
; NumSGPRsForWavesPerEU: 6
; NumVGPRsForWavesPerEU: 1
; AccumOffset: 4
; Occupancy: 8
; WaveLimiterHint : 0
; COMPUTE_PGM_RSRC2:SCRATCH_EN: 0
; COMPUTE_PGM_RSRC2:USER_SGPR: 2
; COMPUTE_PGM_RSRC2:TRAP_HANDLER: 0
; COMPUTE_PGM_RSRC2:TGID_X_EN: 1
; COMPUTE_PGM_RSRC2:TGID_Y_EN: 0
; COMPUTE_PGM_RSRC2:TGID_Z_EN: 0
; COMPUTE_PGM_RSRC2:TIDIG_COMP_CNT: 0
; COMPUTE_PGM_RSRC3_GFX90A:ACCUM_OFFSET: 0
; COMPUTE_PGM_RSRC3_GFX90A:TG_SPLIT: 0
	.section	.text._ZN7rocprim17ROCPRIM_400000_NS6detail17trampoline_kernelINS0_14default_configENS1_35adjacent_difference_config_selectorILb0ElEEZNS1_24adjacent_difference_implIS3_Lb0ELb0EPlS7_N6thrust23THRUST_200600_302600_NS5minusIlEEEE10hipError_tPvRmT2_T3_mT4_P12ihipStream_tbEUlT_E_NS1_11comp_targetILNS1_3genE9ELNS1_11target_archE1100ELNS1_3gpuE3ELNS1_3repE0EEENS1_30default_config_static_selectorELNS0_4arch9wavefront6targetE1EEEvT1_,"axG",@progbits,_ZN7rocprim17ROCPRIM_400000_NS6detail17trampoline_kernelINS0_14default_configENS1_35adjacent_difference_config_selectorILb0ElEEZNS1_24adjacent_difference_implIS3_Lb0ELb0EPlS7_N6thrust23THRUST_200600_302600_NS5minusIlEEEE10hipError_tPvRmT2_T3_mT4_P12ihipStream_tbEUlT_E_NS1_11comp_targetILNS1_3genE9ELNS1_11target_archE1100ELNS1_3gpuE3ELNS1_3repE0EEENS1_30default_config_static_selectorELNS0_4arch9wavefront6targetE1EEEvT1_,comdat
	.protected	_ZN7rocprim17ROCPRIM_400000_NS6detail17trampoline_kernelINS0_14default_configENS1_35adjacent_difference_config_selectorILb0ElEEZNS1_24adjacent_difference_implIS3_Lb0ELb0EPlS7_N6thrust23THRUST_200600_302600_NS5minusIlEEEE10hipError_tPvRmT2_T3_mT4_P12ihipStream_tbEUlT_E_NS1_11comp_targetILNS1_3genE9ELNS1_11target_archE1100ELNS1_3gpuE3ELNS1_3repE0EEENS1_30default_config_static_selectorELNS0_4arch9wavefront6targetE1EEEvT1_ ; -- Begin function _ZN7rocprim17ROCPRIM_400000_NS6detail17trampoline_kernelINS0_14default_configENS1_35adjacent_difference_config_selectorILb0ElEEZNS1_24adjacent_difference_implIS3_Lb0ELb0EPlS7_N6thrust23THRUST_200600_302600_NS5minusIlEEEE10hipError_tPvRmT2_T3_mT4_P12ihipStream_tbEUlT_E_NS1_11comp_targetILNS1_3genE9ELNS1_11target_archE1100ELNS1_3gpuE3ELNS1_3repE0EEENS1_30default_config_static_selectorELNS0_4arch9wavefront6targetE1EEEvT1_
	.globl	_ZN7rocprim17ROCPRIM_400000_NS6detail17trampoline_kernelINS0_14default_configENS1_35adjacent_difference_config_selectorILb0ElEEZNS1_24adjacent_difference_implIS3_Lb0ELb0EPlS7_N6thrust23THRUST_200600_302600_NS5minusIlEEEE10hipError_tPvRmT2_T3_mT4_P12ihipStream_tbEUlT_E_NS1_11comp_targetILNS1_3genE9ELNS1_11target_archE1100ELNS1_3gpuE3ELNS1_3repE0EEENS1_30default_config_static_selectorELNS0_4arch9wavefront6targetE1EEEvT1_
	.p2align	8
	.type	_ZN7rocprim17ROCPRIM_400000_NS6detail17trampoline_kernelINS0_14default_configENS1_35adjacent_difference_config_selectorILb0ElEEZNS1_24adjacent_difference_implIS3_Lb0ELb0EPlS7_N6thrust23THRUST_200600_302600_NS5minusIlEEEE10hipError_tPvRmT2_T3_mT4_P12ihipStream_tbEUlT_E_NS1_11comp_targetILNS1_3genE9ELNS1_11target_archE1100ELNS1_3gpuE3ELNS1_3repE0EEENS1_30default_config_static_selectorELNS0_4arch9wavefront6targetE1EEEvT1_,@function
_ZN7rocprim17ROCPRIM_400000_NS6detail17trampoline_kernelINS0_14default_configENS1_35adjacent_difference_config_selectorILb0ElEEZNS1_24adjacent_difference_implIS3_Lb0ELb0EPlS7_N6thrust23THRUST_200600_302600_NS5minusIlEEEE10hipError_tPvRmT2_T3_mT4_P12ihipStream_tbEUlT_E_NS1_11comp_targetILNS1_3genE9ELNS1_11target_archE1100ELNS1_3gpuE3ELNS1_3repE0EEENS1_30default_config_static_selectorELNS0_4arch9wavefront6targetE1EEEvT1_: ; @_ZN7rocprim17ROCPRIM_400000_NS6detail17trampoline_kernelINS0_14default_configENS1_35adjacent_difference_config_selectorILb0ElEEZNS1_24adjacent_difference_implIS3_Lb0ELb0EPlS7_N6thrust23THRUST_200600_302600_NS5minusIlEEEE10hipError_tPvRmT2_T3_mT4_P12ihipStream_tbEUlT_E_NS1_11comp_targetILNS1_3genE9ELNS1_11target_archE1100ELNS1_3gpuE3ELNS1_3repE0EEENS1_30default_config_static_selectorELNS0_4arch9wavefront6targetE1EEEvT1_
; %bb.0:
	.section	.rodata,"a",@progbits
	.p2align	6, 0x0
	.amdhsa_kernel _ZN7rocprim17ROCPRIM_400000_NS6detail17trampoline_kernelINS0_14default_configENS1_35adjacent_difference_config_selectorILb0ElEEZNS1_24adjacent_difference_implIS3_Lb0ELb0EPlS7_N6thrust23THRUST_200600_302600_NS5minusIlEEEE10hipError_tPvRmT2_T3_mT4_P12ihipStream_tbEUlT_E_NS1_11comp_targetILNS1_3genE9ELNS1_11target_archE1100ELNS1_3gpuE3ELNS1_3repE0EEENS1_30default_config_static_selectorELNS0_4arch9wavefront6targetE1EEEvT1_
		.amdhsa_group_segment_fixed_size 0
		.amdhsa_private_segment_fixed_size 0
		.amdhsa_kernarg_size 56
		.amdhsa_user_sgpr_count 2
		.amdhsa_user_sgpr_dispatch_ptr 0
		.amdhsa_user_sgpr_queue_ptr 0
		.amdhsa_user_sgpr_kernarg_segment_ptr 1
		.amdhsa_user_sgpr_dispatch_id 0
		.amdhsa_user_sgpr_kernarg_preload_length 0
		.amdhsa_user_sgpr_kernarg_preload_offset 0
		.amdhsa_user_sgpr_private_segment_size 0
		.amdhsa_uses_dynamic_stack 0
		.amdhsa_enable_private_segment 0
		.amdhsa_system_sgpr_workgroup_id_x 1
		.amdhsa_system_sgpr_workgroup_id_y 0
		.amdhsa_system_sgpr_workgroup_id_z 0
		.amdhsa_system_sgpr_workgroup_info 0
		.amdhsa_system_vgpr_workitem_id 0
		.amdhsa_next_free_vgpr 1
		.amdhsa_next_free_sgpr 0
		.amdhsa_accum_offset 4
		.amdhsa_reserve_vcc 0
		.amdhsa_float_round_mode_32 0
		.amdhsa_float_round_mode_16_64 0
		.amdhsa_float_denorm_mode_32 3
		.amdhsa_float_denorm_mode_16_64 3
		.amdhsa_dx10_clamp 1
		.amdhsa_ieee_mode 1
		.amdhsa_fp16_overflow 0
		.amdhsa_tg_split 0
		.amdhsa_exception_fp_ieee_invalid_op 0
		.amdhsa_exception_fp_denorm_src 0
		.amdhsa_exception_fp_ieee_div_zero 0
		.amdhsa_exception_fp_ieee_overflow 0
		.amdhsa_exception_fp_ieee_underflow 0
		.amdhsa_exception_fp_ieee_inexact 0
		.amdhsa_exception_int_div_zero 0
	.end_amdhsa_kernel
	.section	.text._ZN7rocprim17ROCPRIM_400000_NS6detail17trampoline_kernelINS0_14default_configENS1_35adjacent_difference_config_selectorILb0ElEEZNS1_24adjacent_difference_implIS3_Lb0ELb0EPlS7_N6thrust23THRUST_200600_302600_NS5minusIlEEEE10hipError_tPvRmT2_T3_mT4_P12ihipStream_tbEUlT_E_NS1_11comp_targetILNS1_3genE9ELNS1_11target_archE1100ELNS1_3gpuE3ELNS1_3repE0EEENS1_30default_config_static_selectorELNS0_4arch9wavefront6targetE1EEEvT1_,"axG",@progbits,_ZN7rocprim17ROCPRIM_400000_NS6detail17trampoline_kernelINS0_14default_configENS1_35adjacent_difference_config_selectorILb0ElEEZNS1_24adjacent_difference_implIS3_Lb0ELb0EPlS7_N6thrust23THRUST_200600_302600_NS5minusIlEEEE10hipError_tPvRmT2_T3_mT4_P12ihipStream_tbEUlT_E_NS1_11comp_targetILNS1_3genE9ELNS1_11target_archE1100ELNS1_3gpuE3ELNS1_3repE0EEENS1_30default_config_static_selectorELNS0_4arch9wavefront6targetE1EEEvT1_,comdat
.Lfunc_end243:
	.size	_ZN7rocprim17ROCPRIM_400000_NS6detail17trampoline_kernelINS0_14default_configENS1_35adjacent_difference_config_selectorILb0ElEEZNS1_24adjacent_difference_implIS3_Lb0ELb0EPlS7_N6thrust23THRUST_200600_302600_NS5minusIlEEEE10hipError_tPvRmT2_T3_mT4_P12ihipStream_tbEUlT_E_NS1_11comp_targetILNS1_3genE9ELNS1_11target_archE1100ELNS1_3gpuE3ELNS1_3repE0EEENS1_30default_config_static_selectorELNS0_4arch9wavefront6targetE1EEEvT1_, .Lfunc_end243-_ZN7rocprim17ROCPRIM_400000_NS6detail17trampoline_kernelINS0_14default_configENS1_35adjacent_difference_config_selectorILb0ElEEZNS1_24adjacent_difference_implIS3_Lb0ELb0EPlS7_N6thrust23THRUST_200600_302600_NS5minusIlEEEE10hipError_tPvRmT2_T3_mT4_P12ihipStream_tbEUlT_E_NS1_11comp_targetILNS1_3genE9ELNS1_11target_archE1100ELNS1_3gpuE3ELNS1_3repE0EEENS1_30default_config_static_selectorELNS0_4arch9wavefront6targetE1EEEvT1_
                                        ; -- End function
	.section	.AMDGPU.csdata,"",@progbits
; Kernel info:
; codeLenInByte = 0
; NumSgprs: 6
; NumVgprs: 0
; NumAgprs: 0
; TotalNumVgprs: 0
; ScratchSize: 0
; MemoryBound: 0
; FloatMode: 240
; IeeeMode: 1
; LDSByteSize: 0 bytes/workgroup (compile time only)
; SGPRBlocks: 0
; VGPRBlocks: 0
; NumSGPRsForWavesPerEU: 6
; NumVGPRsForWavesPerEU: 1
; AccumOffset: 4
; Occupancy: 8
; WaveLimiterHint : 0
; COMPUTE_PGM_RSRC2:SCRATCH_EN: 0
; COMPUTE_PGM_RSRC2:USER_SGPR: 2
; COMPUTE_PGM_RSRC2:TRAP_HANDLER: 0
; COMPUTE_PGM_RSRC2:TGID_X_EN: 1
; COMPUTE_PGM_RSRC2:TGID_Y_EN: 0
; COMPUTE_PGM_RSRC2:TGID_Z_EN: 0
; COMPUTE_PGM_RSRC2:TIDIG_COMP_CNT: 0
; COMPUTE_PGM_RSRC3_GFX90A:ACCUM_OFFSET: 0
; COMPUTE_PGM_RSRC3_GFX90A:TG_SPLIT: 0
	.section	.text._ZN7rocprim17ROCPRIM_400000_NS6detail17trampoline_kernelINS0_14default_configENS1_35adjacent_difference_config_selectorILb0ElEEZNS1_24adjacent_difference_implIS3_Lb0ELb0EPlS7_N6thrust23THRUST_200600_302600_NS5minusIlEEEE10hipError_tPvRmT2_T3_mT4_P12ihipStream_tbEUlT_E_NS1_11comp_targetILNS1_3genE8ELNS1_11target_archE1030ELNS1_3gpuE2ELNS1_3repE0EEENS1_30default_config_static_selectorELNS0_4arch9wavefront6targetE1EEEvT1_,"axG",@progbits,_ZN7rocprim17ROCPRIM_400000_NS6detail17trampoline_kernelINS0_14default_configENS1_35adjacent_difference_config_selectorILb0ElEEZNS1_24adjacent_difference_implIS3_Lb0ELb0EPlS7_N6thrust23THRUST_200600_302600_NS5minusIlEEEE10hipError_tPvRmT2_T3_mT4_P12ihipStream_tbEUlT_E_NS1_11comp_targetILNS1_3genE8ELNS1_11target_archE1030ELNS1_3gpuE2ELNS1_3repE0EEENS1_30default_config_static_selectorELNS0_4arch9wavefront6targetE1EEEvT1_,comdat
	.protected	_ZN7rocprim17ROCPRIM_400000_NS6detail17trampoline_kernelINS0_14default_configENS1_35adjacent_difference_config_selectorILb0ElEEZNS1_24adjacent_difference_implIS3_Lb0ELb0EPlS7_N6thrust23THRUST_200600_302600_NS5minusIlEEEE10hipError_tPvRmT2_T3_mT4_P12ihipStream_tbEUlT_E_NS1_11comp_targetILNS1_3genE8ELNS1_11target_archE1030ELNS1_3gpuE2ELNS1_3repE0EEENS1_30default_config_static_selectorELNS0_4arch9wavefront6targetE1EEEvT1_ ; -- Begin function _ZN7rocprim17ROCPRIM_400000_NS6detail17trampoline_kernelINS0_14default_configENS1_35adjacent_difference_config_selectorILb0ElEEZNS1_24adjacent_difference_implIS3_Lb0ELb0EPlS7_N6thrust23THRUST_200600_302600_NS5minusIlEEEE10hipError_tPvRmT2_T3_mT4_P12ihipStream_tbEUlT_E_NS1_11comp_targetILNS1_3genE8ELNS1_11target_archE1030ELNS1_3gpuE2ELNS1_3repE0EEENS1_30default_config_static_selectorELNS0_4arch9wavefront6targetE1EEEvT1_
	.globl	_ZN7rocprim17ROCPRIM_400000_NS6detail17trampoline_kernelINS0_14default_configENS1_35adjacent_difference_config_selectorILb0ElEEZNS1_24adjacent_difference_implIS3_Lb0ELb0EPlS7_N6thrust23THRUST_200600_302600_NS5minusIlEEEE10hipError_tPvRmT2_T3_mT4_P12ihipStream_tbEUlT_E_NS1_11comp_targetILNS1_3genE8ELNS1_11target_archE1030ELNS1_3gpuE2ELNS1_3repE0EEENS1_30default_config_static_selectorELNS0_4arch9wavefront6targetE1EEEvT1_
	.p2align	8
	.type	_ZN7rocprim17ROCPRIM_400000_NS6detail17trampoline_kernelINS0_14default_configENS1_35adjacent_difference_config_selectorILb0ElEEZNS1_24adjacent_difference_implIS3_Lb0ELb0EPlS7_N6thrust23THRUST_200600_302600_NS5minusIlEEEE10hipError_tPvRmT2_T3_mT4_P12ihipStream_tbEUlT_E_NS1_11comp_targetILNS1_3genE8ELNS1_11target_archE1030ELNS1_3gpuE2ELNS1_3repE0EEENS1_30default_config_static_selectorELNS0_4arch9wavefront6targetE1EEEvT1_,@function
_ZN7rocprim17ROCPRIM_400000_NS6detail17trampoline_kernelINS0_14default_configENS1_35adjacent_difference_config_selectorILb0ElEEZNS1_24adjacent_difference_implIS3_Lb0ELb0EPlS7_N6thrust23THRUST_200600_302600_NS5minusIlEEEE10hipError_tPvRmT2_T3_mT4_P12ihipStream_tbEUlT_E_NS1_11comp_targetILNS1_3genE8ELNS1_11target_archE1030ELNS1_3gpuE2ELNS1_3repE0EEENS1_30default_config_static_selectorELNS0_4arch9wavefront6targetE1EEEvT1_: ; @_ZN7rocprim17ROCPRIM_400000_NS6detail17trampoline_kernelINS0_14default_configENS1_35adjacent_difference_config_selectorILb0ElEEZNS1_24adjacent_difference_implIS3_Lb0ELb0EPlS7_N6thrust23THRUST_200600_302600_NS5minusIlEEEE10hipError_tPvRmT2_T3_mT4_P12ihipStream_tbEUlT_E_NS1_11comp_targetILNS1_3genE8ELNS1_11target_archE1030ELNS1_3gpuE2ELNS1_3repE0EEENS1_30default_config_static_selectorELNS0_4arch9wavefront6targetE1EEEvT1_
; %bb.0:
	.section	.rodata,"a",@progbits
	.p2align	6, 0x0
	.amdhsa_kernel _ZN7rocprim17ROCPRIM_400000_NS6detail17trampoline_kernelINS0_14default_configENS1_35adjacent_difference_config_selectorILb0ElEEZNS1_24adjacent_difference_implIS3_Lb0ELb0EPlS7_N6thrust23THRUST_200600_302600_NS5minusIlEEEE10hipError_tPvRmT2_T3_mT4_P12ihipStream_tbEUlT_E_NS1_11comp_targetILNS1_3genE8ELNS1_11target_archE1030ELNS1_3gpuE2ELNS1_3repE0EEENS1_30default_config_static_selectorELNS0_4arch9wavefront6targetE1EEEvT1_
		.amdhsa_group_segment_fixed_size 0
		.amdhsa_private_segment_fixed_size 0
		.amdhsa_kernarg_size 56
		.amdhsa_user_sgpr_count 2
		.amdhsa_user_sgpr_dispatch_ptr 0
		.amdhsa_user_sgpr_queue_ptr 0
		.amdhsa_user_sgpr_kernarg_segment_ptr 1
		.amdhsa_user_sgpr_dispatch_id 0
		.amdhsa_user_sgpr_kernarg_preload_length 0
		.amdhsa_user_sgpr_kernarg_preload_offset 0
		.amdhsa_user_sgpr_private_segment_size 0
		.amdhsa_uses_dynamic_stack 0
		.amdhsa_enable_private_segment 0
		.amdhsa_system_sgpr_workgroup_id_x 1
		.amdhsa_system_sgpr_workgroup_id_y 0
		.amdhsa_system_sgpr_workgroup_id_z 0
		.amdhsa_system_sgpr_workgroup_info 0
		.amdhsa_system_vgpr_workitem_id 0
		.amdhsa_next_free_vgpr 1
		.amdhsa_next_free_sgpr 0
		.amdhsa_accum_offset 4
		.amdhsa_reserve_vcc 0
		.amdhsa_float_round_mode_32 0
		.amdhsa_float_round_mode_16_64 0
		.amdhsa_float_denorm_mode_32 3
		.amdhsa_float_denorm_mode_16_64 3
		.amdhsa_dx10_clamp 1
		.amdhsa_ieee_mode 1
		.amdhsa_fp16_overflow 0
		.amdhsa_tg_split 0
		.amdhsa_exception_fp_ieee_invalid_op 0
		.amdhsa_exception_fp_denorm_src 0
		.amdhsa_exception_fp_ieee_div_zero 0
		.amdhsa_exception_fp_ieee_overflow 0
		.amdhsa_exception_fp_ieee_underflow 0
		.amdhsa_exception_fp_ieee_inexact 0
		.amdhsa_exception_int_div_zero 0
	.end_amdhsa_kernel
	.section	.text._ZN7rocprim17ROCPRIM_400000_NS6detail17trampoline_kernelINS0_14default_configENS1_35adjacent_difference_config_selectorILb0ElEEZNS1_24adjacent_difference_implIS3_Lb0ELb0EPlS7_N6thrust23THRUST_200600_302600_NS5minusIlEEEE10hipError_tPvRmT2_T3_mT4_P12ihipStream_tbEUlT_E_NS1_11comp_targetILNS1_3genE8ELNS1_11target_archE1030ELNS1_3gpuE2ELNS1_3repE0EEENS1_30default_config_static_selectorELNS0_4arch9wavefront6targetE1EEEvT1_,"axG",@progbits,_ZN7rocprim17ROCPRIM_400000_NS6detail17trampoline_kernelINS0_14default_configENS1_35adjacent_difference_config_selectorILb0ElEEZNS1_24adjacent_difference_implIS3_Lb0ELb0EPlS7_N6thrust23THRUST_200600_302600_NS5minusIlEEEE10hipError_tPvRmT2_T3_mT4_P12ihipStream_tbEUlT_E_NS1_11comp_targetILNS1_3genE8ELNS1_11target_archE1030ELNS1_3gpuE2ELNS1_3repE0EEENS1_30default_config_static_selectorELNS0_4arch9wavefront6targetE1EEEvT1_,comdat
.Lfunc_end244:
	.size	_ZN7rocprim17ROCPRIM_400000_NS6detail17trampoline_kernelINS0_14default_configENS1_35adjacent_difference_config_selectorILb0ElEEZNS1_24adjacent_difference_implIS3_Lb0ELb0EPlS7_N6thrust23THRUST_200600_302600_NS5minusIlEEEE10hipError_tPvRmT2_T3_mT4_P12ihipStream_tbEUlT_E_NS1_11comp_targetILNS1_3genE8ELNS1_11target_archE1030ELNS1_3gpuE2ELNS1_3repE0EEENS1_30default_config_static_selectorELNS0_4arch9wavefront6targetE1EEEvT1_, .Lfunc_end244-_ZN7rocprim17ROCPRIM_400000_NS6detail17trampoline_kernelINS0_14default_configENS1_35adjacent_difference_config_selectorILb0ElEEZNS1_24adjacent_difference_implIS3_Lb0ELb0EPlS7_N6thrust23THRUST_200600_302600_NS5minusIlEEEE10hipError_tPvRmT2_T3_mT4_P12ihipStream_tbEUlT_E_NS1_11comp_targetILNS1_3genE8ELNS1_11target_archE1030ELNS1_3gpuE2ELNS1_3repE0EEENS1_30default_config_static_selectorELNS0_4arch9wavefront6targetE1EEEvT1_
                                        ; -- End function
	.section	.AMDGPU.csdata,"",@progbits
; Kernel info:
; codeLenInByte = 0
; NumSgprs: 6
; NumVgprs: 0
; NumAgprs: 0
; TotalNumVgprs: 0
; ScratchSize: 0
; MemoryBound: 0
; FloatMode: 240
; IeeeMode: 1
; LDSByteSize: 0 bytes/workgroup (compile time only)
; SGPRBlocks: 0
; VGPRBlocks: 0
; NumSGPRsForWavesPerEU: 6
; NumVGPRsForWavesPerEU: 1
; AccumOffset: 4
; Occupancy: 8
; WaveLimiterHint : 0
; COMPUTE_PGM_RSRC2:SCRATCH_EN: 0
; COMPUTE_PGM_RSRC2:USER_SGPR: 2
; COMPUTE_PGM_RSRC2:TRAP_HANDLER: 0
; COMPUTE_PGM_RSRC2:TGID_X_EN: 1
; COMPUTE_PGM_RSRC2:TGID_Y_EN: 0
; COMPUTE_PGM_RSRC2:TGID_Z_EN: 0
; COMPUTE_PGM_RSRC2:TIDIG_COMP_CNT: 0
; COMPUTE_PGM_RSRC3_GFX90A:ACCUM_OFFSET: 0
; COMPUTE_PGM_RSRC3_GFX90A:TG_SPLIT: 0
	.section	.text._ZN7rocprim17ROCPRIM_400000_NS6detail17trampoline_kernelINS0_14default_configENS1_25transform_config_selectorIlLb0EEEZNS1_14transform_implILb0ES3_S5_NS0_18transform_iteratorINS0_17counting_iteratorImlEEZNS1_24adjacent_difference_implIS3_Lb1ELb0EPlSB_N6thrust23THRUST_200600_302600_NS5minusIlEEEE10hipError_tPvRmT2_T3_mT4_P12ihipStream_tbEUlmE_lEESB_NS0_8identityIvEEEESG_SJ_SK_mSL_SN_bEUlT_E_NS1_11comp_targetILNS1_3genE0ELNS1_11target_archE4294967295ELNS1_3gpuE0ELNS1_3repE0EEENS1_30default_config_static_selectorELNS0_4arch9wavefront6targetE1EEEvT1_,"axG",@progbits,_ZN7rocprim17ROCPRIM_400000_NS6detail17trampoline_kernelINS0_14default_configENS1_25transform_config_selectorIlLb0EEEZNS1_14transform_implILb0ES3_S5_NS0_18transform_iteratorINS0_17counting_iteratorImlEEZNS1_24adjacent_difference_implIS3_Lb1ELb0EPlSB_N6thrust23THRUST_200600_302600_NS5minusIlEEEE10hipError_tPvRmT2_T3_mT4_P12ihipStream_tbEUlmE_lEESB_NS0_8identityIvEEEESG_SJ_SK_mSL_SN_bEUlT_E_NS1_11comp_targetILNS1_3genE0ELNS1_11target_archE4294967295ELNS1_3gpuE0ELNS1_3repE0EEENS1_30default_config_static_selectorELNS0_4arch9wavefront6targetE1EEEvT1_,comdat
	.protected	_ZN7rocprim17ROCPRIM_400000_NS6detail17trampoline_kernelINS0_14default_configENS1_25transform_config_selectorIlLb0EEEZNS1_14transform_implILb0ES3_S5_NS0_18transform_iteratorINS0_17counting_iteratorImlEEZNS1_24adjacent_difference_implIS3_Lb1ELb0EPlSB_N6thrust23THRUST_200600_302600_NS5minusIlEEEE10hipError_tPvRmT2_T3_mT4_P12ihipStream_tbEUlmE_lEESB_NS0_8identityIvEEEESG_SJ_SK_mSL_SN_bEUlT_E_NS1_11comp_targetILNS1_3genE0ELNS1_11target_archE4294967295ELNS1_3gpuE0ELNS1_3repE0EEENS1_30default_config_static_selectorELNS0_4arch9wavefront6targetE1EEEvT1_ ; -- Begin function _ZN7rocprim17ROCPRIM_400000_NS6detail17trampoline_kernelINS0_14default_configENS1_25transform_config_selectorIlLb0EEEZNS1_14transform_implILb0ES3_S5_NS0_18transform_iteratorINS0_17counting_iteratorImlEEZNS1_24adjacent_difference_implIS3_Lb1ELb0EPlSB_N6thrust23THRUST_200600_302600_NS5minusIlEEEE10hipError_tPvRmT2_T3_mT4_P12ihipStream_tbEUlmE_lEESB_NS0_8identityIvEEEESG_SJ_SK_mSL_SN_bEUlT_E_NS1_11comp_targetILNS1_3genE0ELNS1_11target_archE4294967295ELNS1_3gpuE0ELNS1_3repE0EEENS1_30default_config_static_selectorELNS0_4arch9wavefront6targetE1EEEvT1_
	.globl	_ZN7rocprim17ROCPRIM_400000_NS6detail17trampoline_kernelINS0_14default_configENS1_25transform_config_selectorIlLb0EEEZNS1_14transform_implILb0ES3_S5_NS0_18transform_iteratorINS0_17counting_iteratorImlEEZNS1_24adjacent_difference_implIS3_Lb1ELb0EPlSB_N6thrust23THRUST_200600_302600_NS5minusIlEEEE10hipError_tPvRmT2_T3_mT4_P12ihipStream_tbEUlmE_lEESB_NS0_8identityIvEEEESG_SJ_SK_mSL_SN_bEUlT_E_NS1_11comp_targetILNS1_3genE0ELNS1_11target_archE4294967295ELNS1_3gpuE0ELNS1_3repE0EEENS1_30default_config_static_selectorELNS0_4arch9wavefront6targetE1EEEvT1_
	.p2align	8
	.type	_ZN7rocprim17ROCPRIM_400000_NS6detail17trampoline_kernelINS0_14default_configENS1_25transform_config_selectorIlLb0EEEZNS1_14transform_implILb0ES3_S5_NS0_18transform_iteratorINS0_17counting_iteratorImlEEZNS1_24adjacent_difference_implIS3_Lb1ELb0EPlSB_N6thrust23THRUST_200600_302600_NS5minusIlEEEE10hipError_tPvRmT2_T3_mT4_P12ihipStream_tbEUlmE_lEESB_NS0_8identityIvEEEESG_SJ_SK_mSL_SN_bEUlT_E_NS1_11comp_targetILNS1_3genE0ELNS1_11target_archE4294967295ELNS1_3gpuE0ELNS1_3repE0EEENS1_30default_config_static_selectorELNS0_4arch9wavefront6targetE1EEEvT1_,@function
_ZN7rocprim17ROCPRIM_400000_NS6detail17trampoline_kernelINS0_14default_configENS1_25transform_config_selectorIlLb0EEEZNS1_14transform_implILb0ES3_S5_NS0_18transform_iteratorINS0_17counting_iteratorImlEEZNS1_24adjacent_difference_implIS3_Lb1ELb0EPlSB_N6thrust23THRUST_200600_302600_NS5minusIlEEEE10hipError_tPvRmT2_T3_mT4_P12ihipStream_tbEUlmE_lEESB_NS0_8identityIvEEEESG_SJ_SK_mSL_SN_bEUlT_E_NS1_11comp_targetILNS1_3genE0ELNS1_11target_archE4294967295ELNS1_3gpuE0ELNS1_3repE0EEENS1_30default_config_static_selectorELNS0_4arch9wavefront6targetE1EEEvT1_: ; @_ZN7rocprim17ROCPRIM_400000_NS6detail17trampoline_kernelINS0_14default_configENS1_25transform_config_selectorIlLb0EEEZNS1_14transform_implILb0ES3_S5_NS0_18transform_iteratorINS0_17counting_iteratorImlEEZNS1_24adjacent_difference_implIS3_Lb1ELb0EPlSB_N6thrust23THRUST_200600_302600_NS5minusIlEEEE10hipError_tPvRmT2_T3_mT4_P12ihipStream_tbEUlmE_lEESB_NS0_8identityIvEEEESG_SJ_SK_mSL_SN_bEUlT_E_NS1_11comp_targetILNS1_3genE0ELNS1_11target_archE4294967295ELNS1_3gpuE0ELNS1_3repE0EEENS1_30default_config_static_selectorELNS0_4arch9wavefront6targetE1EEEvT1_
; %bb.0:
	.section	.rodata,"a",@progbits
	.p2align	6, 0x0
	.amdhsa_kernel _ZN7rocprim17ROCPRIM_400000_NS6detail17trampoline_kernelINS0_14default_configENS1_25transform_config_selectorIlLb0EEEZNS1_14transform_implILb0ES3_S5_NS0_18transform_iteratorINS0_17counting_iteratorImlEEZNS1_24adjacent_difference_implIS3_Lb1ELb0EPlSB_N6thrust23THRUST_200600_302600_NS5minusIlEEEE10hipError_tPvRmT2_T3_mT4_P12ihipStream_tbEUlmE_lEESB_NS0_8identityIvEEEESG_SJ_SK_mSL_SN_bEUlT_E_NS1_11comp_targetILNS1_3genE0ELNS1_11target_archE4294967295ELNS1_3gpuE0ELNS1_3repE0EEENS1_30default_config_static_selectorELNS0_4arch9wavefront6targetE1EEEvT1_
		.amdhsa_group_segment_fixed_size 0
		.amdhsa_private_segment_fixed_size 0
		.amdhsa_kernarg_size 56
		.amdhsa_user_sgpr_count 2
		.amdhsa_user_sgpr_dispatch_ptr 0
		.amdhsa_user_sgpr_queue_ptr 0
		.amdhsa_user_sgpr_kernarg_segment_ptr 1
		.amdhsa_user_sgpr_dispatch_id 0
		.amdhsa_user_sgpr_kernarg_preload_length 0
		.amdhsa_user_sgpr_kernarg_preload_offset 0
		.amdhsa_user_sgpr_private_segment_size 0
		.amdhsa_uses_dynamic_stack 0
		.amdhsa_enable_private_segment 0
		.amdhsa_system_sgpr_workgroup_id_x 1
		.amdhsa_system_sgpr_workgroup_id_y 0
		.amdhsa_system_sgpr_workgroup_id_z 0
		.amdhsa_system_sgpr_workgroup_info 0
		.amdhsa_system_vgpr_workitem_id 0
		.amdhsa_next_free_vgpr 1
		.amdhsa_next_free_sgpr 0
		.amdhsa_accum_offset 4
		.amdhsa_reserve_vcc 0
		.amdhsa_float_round_mode_32 0
		.amdhsa_float_round_mode_16_64 0
		.amdhsa_float_denorm_mode_32 3
		.amdhsa_float_denorm_mode_16_64 3
		.amdhsa_dx10_clamp 1
		.amdhsa_ieee_mode 1
		.amdhsa_fp16_overflow 0
		.amdhsa_tg_split 0
		.amdhsa_exception_fp_ieee_invalid_op 0
		.amdhsa_exception_fp_denorm_src 0
		.amdhsa_exception_fp_ieee_div_zero 0
		.amdhsa_exception_fp_ieee_overflow 0
		.amdhsa_exception_fp_ieee_underflow 0
		.amdhsa_exception_fp_ieee_inexact 0
		.amdhsa_exception_int_div_zero 0
	.end_amdhsa_kernel
	.section	.text._ZN7rocprim17ROCPRIM_400000_NS6detail17trampoline_kernelINS0_14default_configENS1_25transform_config_selectorIlLb0EEEZNS1_14transform_implILb0ES3_S5_NS0_18transform_iteratorINS0_17counting_iteratorImlEEZNS1_24adjacent_difference_implIS3_Lb1ELb0EPlSB_N6thrust23THRUST_200600_302600_NS5minusIlEEEE10hipError_tPvRmT2_T3_mT4_P12ihipStream_tbEUlmE_lEESB_NS0_8identityIvEEEESG_SJ_SK_mSL_SN_bEUlT_E_NS1_11comp_targetILNS1_3genE0ELNS1_11target_archE4294967295ELNS1_3gpuE0ELNS1_3repE0EEENS1_30default_config_static_selectorELNS0_4arch9wavefront6targetE1EEEvT1_,"axG",@progbits,_ZN7rocprim17ROCPRIM_400000_NS6detail17trampoline_kernelINS0_14default_configENS1_25transform_config_selectorIlLb0EEEZNS1_14transform_implILb0ES3_S5_NS0_18transform_iteratorINS0_17counting_iteratorImlEEZNS1_24adjacent_difference_implIS3_Lb1ELb0EPlSB_N6thrust23THRUST_200600_302600_NS5minusIlEEEE10hipError_tPvRmT2_T3_mT4_P12ihipStream_tbEUlmE_lEESB_NS0_8identityIvEEEESG_SJ_SK_mSL_SN_bEUlT_E_NS1_11comp_targetILNS1_3genE0ELNS1_11target_archE4294967295ELNS1_3gpuE0ELNS1_3repE0EEENS1_30default_config_static_selectorELNS0_4arch9wavefront6targetE1EEEvT1_,comdat
.Lfunc_end245:
	.size	_ZN7rocprim17ROCPRIM_400000_NS6detail17trampoline_kernelINS0_14default_configENS1_25transform_config_selectorIlLb0EEEZNS1_14transform_implILb0ES3_S5_NS0_18transform_iteratorINS0_17counting_iteratorImlEEZNS1_24adjacent_difference_implIS3_Lb1ELb0EPlSB_N6thrust23THRUST_200600_302600_NS5minusIlEEEE10hipError_tPvRmT2_T3_mT4_P12ihipStream_tbEUlmE_lEESB_NS0_8identityIvEEEESG_SJ_SK_mSL_SN_bEUlT_E_NS1_11comp_targetILNS1_3genE0ELNS1_11target_archE4294967295ELNS1_3gpuE0ELNS1_3repE0EEENS1_30default_config_static_selectorELNS0_4arch9wavefront6targetE1EEEvT1_, .Lfunc_end245-_ZN7rocprim17ROCPRIM_400000_NS6detail17trampoline_kernelINS0_14default_configENS1_25transform_config_selectorIlLb0EEEZNS1_14transform_implILb0ES3_S5_NS0_18transform_iteratorINS0_17counting_iteratorImlEEZNS1_24adjacent_difference_implIS3_Lb1ELb0EPlSB_N6thrust23THRUST_200600_302600_NS5minusIlEEEE10hipError_tPvRmT2_T3_mT4_P12ihipStream_tbEUlmE_lEESB_NS0_8identityIvEEEESG_SJ_SK_mSL_SN_bEUlT_E_NS1_11comp_targetILNS1_3genE0ELNS1_11target_archE4294967295ELNS1_3gpuE0ELNS1_3repE0EEENS1_30default_config_static_selectorELNS0_4arch9wavefront6targetE1EEEvT1_
                                        ; -- End function
	.section	.AMDGPU.csdata,"",@progbits
; Kernel info:
; codeLenInByte = 0
; NumSgprs: 6
; NumVgprs: 0
; NumAgprs: 0
; TotalNumVgprs: 0
; ScratchSize: 0
; MemoryBound: 0
; FloatMode: 240
; IeeeMode: 1
; LDSByteSize: 0 bytes/workgroup (compile time only)
; SGPRBlocks: 0
; VGPRBlocks: 0
; NumSGPRsForWavesPerEU: 6
; NumVGPRsForWavesPerEU: 1
; AccumOffset: 4
; Occupancy: 8
; WaveLimiterHint : 0
; COMPUTE_PGM_RSRC2:SCRATCH_EN: 0
; COMPUTE_PGM_RSRC2:USER_SGPR: 2
; COMPUTE_PGM_RSRC2:TRAP_HANDLER: 0
; COMPUTE_PGM_RSRC2:TGID_X_EN: 1
; COMPUTE_PGM_RSRC2:TGID_Y_EN: 0
; COMPUTE_PGM_RSRC2:TGID_Z_EN: 0
; COMPUTE_PGM_RSRC2:TIDIG_COMP_CNT: 0
; COMPUTE_PGM_RSRC3_GFX90A:ACCUM_OFFSET: 0
; COMPUTE_PGM_RSRC3_GFX90A:TG_SPLIT: 0
	.section	.text._ZN7rocprim17ROCPRIM_400000_NS6detail17trampoline_kernelINS0_14default_configENS1_25transform_config_selectorIlLb0EEEZNS1_14transform_implILb0ES3_S5_NS0_18transform_iteratorINS0_17counting_iteratorImlEEZNS1_24adjacent_difference_implIS3_Lb1ELb0EPlSB_N6thrust23THRUST_200600_302600_NS5minusIlEEEE10hipError_tPvRmT2_T3_mT4_P12ihipStream_tbEUlmE_lEESB_NS0_8identityIvEEEESG_SJ_SK_mSL_SN_bEUlT_E_NS1_11comp_targetILNS1_3genE5ELNS1_11target_archE942ELNS1_3gpuE9ELNS1_3repE0EEENS1_30default_config_static_selectorELNS0_4arch9wavefront6targetE1EEEvT1_,"axG",@progbits,_ZN7rocprim17ROCPRIM_400000_NS6detail17trampoline_kernelINS0_14default_configENS1_25transform_config_selectorIlLb0EEEZNS1_14transform_implILb0ES3_S5_NS0_18transform_iteratorINS0_17counting_iteratorImlEEZNS1_24adjacent_difference_implIS3_Lb1ELb0EPlSB_N6thrust23THRUST_200600_302600_NS5minusIlEEEE10hipError_tPvRmT2_T3_mT4_P12ihipStream_tbEUlmE_lEESB_NS0_8identityIvEEEESG_SJ_SK_mSL_SN_bEUlT_E_NS1_11comp_targetILNS1_3genE5ELNS1_11target_archE942ELNS1_3gpuE9ELNS1_3repE0EEENS1_30default_config_static_selectorELNS0_4arch9wavefront6targetE1EEEvT1_,comdat
	.protected	_ZN7rocprim17ROCPRIM_400000_NS6detail17trampoline_kernelINS0_14default_configENS1_25transform_config_selectorIlLb0EEEZNS1_14transform_implILb0ES3_S5_NS0_18transform_iteratorINS0_17counting_iteratorImlEEZNS1_24adjacent_difference_implIS3_Lb1ELb0EPlSB_N6thrust23THRUST_200600_302600_NS5minusIlEEEE10hipError_tPvRmT2_T3_mT4_P12ihipStream_tbEUlmE_lEESB_NS0_8identityIvEEEESG_SJ_SK_mSL_SN_bEUlT_E_NS1_11comp_targetILNS1_3genE5ELNS1_11target_archE942ELNS1_3gpuE9ELNS1_3repE0EEENS1_30default_config_static_selectorELNS0_4arch9wavefront6targetE1EEEvT1_ ; -- Begin function _ZN7rocprim17ROCPRIM_400000_NS6detail17trampoline_kernelINS0_14default_configENS1_25transform_config_selectorIlLb0EEEZNS1_14transform_implILb0ES3_S5_NS0_18transform_iteratorINS0_17counting_iteratorImlEEZNS1_24adjacent_difference_implIS3_Lb1ELb0EPlSB_N6thrust23THRUST_200600_302600_NS5minusIlEEEE10hipError_tPvRmT2_T3_mT4_P12ihipStream_tbEUlmE_lEESB_NS0_8identityIvEEEESG_SJ_SK_mSL_SN_bEUlT_E_NS1_11comp_targetILNS1_3genE5ELNS1_11target_archE942ELNS1_3gpuE9ELNS1_3repE0EEENS1_30default_config_static_selectorELNS0_4arch9wavefront6targetE1EEEvT1_
	.globl	_ZN7rocprim17ROCPRIM_400000_NS6detail17trampoline_kernelINS0_14default_configENS1_25transform_config_selectorIlLb0EEEZNS1_14transform_implILb0ES3_S5_NS0_18transform_iteratorINS0_17counting_iteratorImlEEZNS1_24adjacent_difference_implIS3_Lb1ELb0EPlSB_N6thrust23THRUST_200600_302600_NS5minusIlEEEE10hipError_tPvRmT2_T3_mT4_P12ihipStream_tbEUlmE_lEESB_NS0_8identityIvEEEESG_SJ_SK_mSL_SN_bEUlT_E_NS1_11comp_targetILNS1_3genE5ELNS1_11target_archE942ELNS1_3gpuE9ELNS1_3repE0EEENS1_30default_config_static_selectorELNS0_4arch9wavefront6targetE1EEEvT1_
	.p2align	8
	.type	_ZN7rocprim17ROCPRIM_400000_NS6detail17trampoline_kernelINS0_14default_configENS1_25transform_config_selectorIlLb0EEEZNS1_14transform_implILb0ES3_S5_NS0_18transform_iteratorINS0_17counting_iteratorImlEEZNS1_24adjacent_difference_implIS3_Lb1ELb0EPlSB_N6thrust23THRUST_200600_302600_NS5minusIlEEEE10hipError_tPvRmT2_T3_mT4_P12ihipStream_tbEUlmE_lEESB_NS0_8identityIvEEEESG_SJ_SK_mSL_SN_bEUlT_E_NS1_11comp_targetILNS1_3genE5ELNS1_11target_archE942ELNS1_3gpuE9ELNS1_3repE0EEENS1_30default_config_static_selectorELNS0_4arch9wavefront6targetE1EEEvT1_,@function
_ZN7rocprim17ROCPRIM_400000_NS6detail17trampoline_kernelINS0_14default_configENS1_25transform_config_selectorIlLb0EEEZNS1_14transform_implILb0ES3_S5_NS0_18transform_iteratorINS0_17counting_iteratorImlEEZNS1_24adjacent_difference_implIS3_Lb1ELb0EPlSB_N6thrust23THRUST_200600_302600_NS5minusIlEEEE10hipError_tPvRmT2_T3_mT4_P12ihipStream_tbEUlmE_lEESB_NS0_8identityIvEEEESG_SJ_SK_mSL_SN_bEUlT_E_NS1_11comp_targetILNS1_3genE5ELNS1_11target_archE942ELNS1_3gpuE9ELNS1_3repE0EEENS1_30default_config_static_selectorELNS0_4arch9wavefront6targetE1EEEvT1_: ; @_ZN7rocprim17ROCPRIM_400000_NS6detail17trampoline_kernelINS0_14default_configENS1_25transform_config_selectorIlLb0EEEZNS1_14transform_implILb0ES3_S5_NS0_18transform_iteratorINS0_17counting_iteratorImlEEZNS1_24adjacent_difference_implIS3_Lb1ELb0EPlSB_N6thrust23THRUST_200600_302600_NS5minusIlEEEE10hipError_tPvRmT2_T3_mT4_P12ihipStream_tbEUlmE_lEESB_NS0_8identityIvEEEESG_SJ_SK_mSL_SN_bEUlT_E_NS1_11comp_targetILNS1_3genE5ELNS1_11target_archE942ELNS1_3gpuE9ELNS1_3repE0EEENS1_30default_config_static_selectorELNS0_4arch9wavefront6targetE1EEEvT1_
; %bb.0:
	s_load_dwordx4 s[8:11], s[0:1], 0x18
	s_load_dwordx2 s[12:13], s[0:1], 0x28
	s_load_dwordx4 s[4:7], s[0:1], 0x0
	s_load_dword s14, s[0:1], 0x10
	s_load_dword s3, s[0:1], 0x38
	s_waitcnt lgkmcnt(0)
	s_lshl_b64 s[0:1], s[8:9], 3
	s_add_u32 s11, s12, s0
	s_addc_u32 s16, s13, s1
	s_lshl_b32 s12, s2, 10
	s_add_i32 s3, s3, -1
	s_add_u32 s0, s4, s12
	s_addc_u32 s1, s5, 0
	s_add_u32 s4, s0, s8
	s_addc_u32 s5, s1, s9
	s_mov_b32 s13, 0
	s_cmp_lg_u32 s2, s3
	v_lshlrev_b32_e32 v6, 3, v0
	s_cbranch_scc0 .LBB246_2
; %bb.1:
	v_mov_b32_e32 v1, 0
	v_lshl_add_u64 v[2:3], s[4:5], 0, v[0:1]
	v_mad_u64_u32 v[4:5], s[0:1], v2, s14, 0
	v_mov_b32_e32 v2, v5
	v_mad_u64_u32 v[2:3], s[0:1], v3, s14, v[2:3]
	s_mov_b32 s15, s13
	v_mov_b32_e32 v5, v2
	v_lshl_add_u64 v[2:3], v[4:5], 3, s[6:7]
	s_lshl_b64 s[0:1], s[14:15], 12
	global_load_dwordx2 v[10:11], v[2:3], off
	v_lshl_add_u64 v[2:3], v[2:3], 0, s[0:1]
	global_load_dwordx2 v[4:5], v[2:3], off
	s_lshl_b64 s[2:3], s[12:13], 3
	s_add_u32 s2, s11, s2
	v_mov_b32_e32 v7, v1
	s_addc_u32 s3, s16, s3
	v_lshl_add_u64 v[8:9], s[2:3], 0, v[6:7]
	s_waitcnt vmcnt(1)
	global_store_dwordx2 v6, v[10:11], s[2:3]
	s_mov_b64 s[2:3], -1
	s_cbranch_execz .LBB246_3
	s_branch .LBB246_12
.LBB246_2:
	s_mov_b64 s[2:3], 0
                                        ; implicit-def: $vgpr4_vgpr5
                                        ; implicit-def: $vgpr8_vgpr9
.LBB246_3:
	s_sub_i32 s8, s10, s12
	v_cmp_gt_u32_e32 vcc, s8, v0
                                        ; implicit-def: $vgpr2_vgpr3_vgpr4_vgpr5
	s_and_saveexec_b64 s[0:1], vcc
	s_cbranch_execz .LBB246_5
; %bb.4:
	v_mov_b32_e32 v1, 0
	v_lshl_add_u64 v[2:3], s[4:5], 0, v[0:1]
	s_waitcnt vmcnt(1)
	v_mad_u64_u32 v[4:5], s[18:19], v2, s14, 0
	v_mov_b32_e32 v2, v5
	v_mad_u64_u32 v[2:3], s[18:19], v3, s14, v[2:3]
	v_mov_b32_e32 v5, v2
	v_lshl_add_u64 v[2:3], v[4:5], 3, s[6:7]
	global_load_dwordx2 v[2:3], v[2:3], off
.LBB246_5:
	s_or_b64 exec, exec, s[0:1]
	v_or_b32_e32 v0, 0x200, v0
	v_cmp_gt_u32_e64 s[0:1], s8, v0
	s_and_saveexec_b64 s[8:9], s[0:1]
	s_cbranch_execz .LBB246_7
; %bb.6:
	v_mov_b32_e32 v1, 0
	v_lshl_add_u64 v[0:1], s[4:5], 0, v[0:1]
	s_waitcnt vmcnt(1)
	v_mad_u64_u32 v[4:5], s[4:5], v0, s14, 0
	v_mov_b32_e32 v0, v5
	v_mad_u64_u32 v[0:1], s[4:5], v1, s14, v[0:1]
	v_mov_b32_e32 v5, v0
	v_lshl_add_u64 v[0:1], v[4:5], 3, s[6:7]
	global_load_dwordx2 v[4:5], v[0:1], off
.LBB246_7:
	s_or_b64 exec, exec, s[8:9]
	s_lshl_b64 s[4:5], s[12:13], 3
	s_add_u32 s4, s11, s4
	s_addc_u32 s5, s16, s5
	v_mov_b32_e32 v7, 0
	v_lshl_add_u64 v[8:9], s[4:5], 0, v[6:7]
	s_and_saveexec_b64 s[4:5], vcc
	s_cbranch_execz .LBB246_9
; %bb.8:
	s_waitcnt vmcnt(0)
	global_store_dwordx2 v[8:9], v[2:3], off
.LBB246_9:
	s_or_b64 exec, exec, s[4:5]
	s_and_saveexec_b64 s[4:5], s[0:1]
; %bb.10:
	s_or_b64 s[2:3], s[2:3], exec
; %bb.11:
	s_or_b64 exec, exec, s[4:5]
.LBB246_12:
	s_and_saveexec_b64 s[0:1], s[2:3]
	s_cbranch_execnz .LBB246_14
; %bb.13:
	s_endpgm
.LBB246_14:
	v_add_co_u32_e32 v0, vcc, 0x1000, v8
	s_nop 1
	v_addc_co_u32_e32 v1, vcc, 0, v9, vcc
	s_waitcnt vmcnt(0)
	global_store_dwordx2 v[0:1], v[4:5], off
	s_endpgm
	.section	.rodata,"a",@progbits
	.p2align	6, 0x0
	.amdhsa_kernel _ZN7rocprim17ROCPRIM_400000_NS6detail17trampoline_kernelINS0_14default_configENS1_25transform_config_selectorIlLb0EEEZNS1_14transform_implILb0ES3_S5_NS0_18transform_iteratorINS0_17counting_iteratorImlEEZNS1_24adjacent_difference_implIS3_Lb1ELb0EPlSB_N6thrust23THRUST_200600_302600_NS5minusIlEEEE10hipError_tPvRmT2_T3_mT4_P12ihipStream_tbEUlmE_lEESB_NS0_8identityIvEEEESG_SJ_SK_mSL_SN_bEUlT_E_NS1_11comp_targetILNS1_3genE5ELNS1_11target_archE942ELNS1_3gpuE9ELNS1_3repE0EEENS1_30default_config_static_selectorELNS0_4arch9wavefront6targetE1EEEvT1_
		.amdhsa_group_segment_fixed_size 0
		.amdhsa_private_segment_fixed_size 0
		.amdhsa_kernarg_size 312
		.amdhsa_user_sgpr_count 2
		.amdhsa_user_sgpr_dispatch_ptr 0
		.amdhsa_user_sgpr_queue_ptr 0
		.amdhsa_user_sgpr_kernarg_segment_ptr 1
		.amdhsa_user_sgpr_dispatch_id 0
		.amdhsa_user_sgpr_kernarg_preload_length 0
		.amdhsa_user_sgpr_kernarg_preload_offset 0
		.amdhsa_user_sgpr_private_segment_size 0
		.amdhsa_uses_dynamic_stack 0
		.amdhsa_enable_private_segment 0
		.amdhsa_system_sgpr_workgroup_id_x 1
		.amdhsa_system_sgpr_workgroup_id_y 0
		.amdhsa_system_sgpr_workgroup_id_z 0
		.amdhsa_system_sgpr_workgroup_info 0
		.amdhsa_system_vgpr_workitem_id 0
		.amdhsa_next_free_vgpr 12
		.amdhsa_next_free_sgpr 20
		.amdhsa_accum_offset 12
		.amdhsa_reserve_vcc 1
		.amdhsa_float_round_mode_32 0
		.amdhsa_float_round_mode_16_64 0
		.amdhsa_float_denorm_mode_32 3
		.amdhsa_float_denorm_mode_16_64 3
		.amdhsa_dx10_clamp 1
		.amdhsa_ieee_mode 1
		.amdhsa_fp16_overflow 0
		.amdhsa_tg_split 0
		.amdhsa_exception_fp_ieee_invalid_op 0
		.amdhsa_exception_fp_denorm_src 0
		.amdhsa_exception_fp_ieee_div_zero 0
		.amdhsa_exception_fp_ieee_overflow 0
		.amdhsa_exception_fp_ieee_underflow 0
		.amdhsa_exception_fp_ieee_inexact 0
		.amdhsa_exception_int_div_zero 0
	.end_amdhsa_kernel
	.section	.text._ZN7rocprim17ROCPRIM_400000_NS6detail17trampoline_kernelINS0_14default_configENS1_25transform_config_selectorIlLb0EEEZNS1_14transform_implILb0ES3_S5_NS0_18transform_iteratorINS0_17counting_iteratorImlEEZNS1_24adjacent_difference_implIS3_Lb1ELb0EPlSB_N6thrust23THRUST_200600_302600_NS5minusIlEEEE10hipError_tPvRmT2_T3_mT4_P12ihipStream_tbEUlmE_lEESB_NS0_8identityIvEEEESG_SJ_SK_mSL_SN_bEUlT_E_NS1_11comp_targetILNS1_3genE5ELNS1_11target_archE942ELNS1_3gpuE9ELNS1_3repE0EEENS1_30default_config_static_selectorELNS0_4arch9wavefront6targetE1EEEvT1_,"axG",@progbits,_ZN7rocprim17ROCPRIM_400000_NS6detail17trampoline_kernelINS0_14default_configENS1_25transform_config_selectorIlLb0EEEZNS1_14transform_implILb0ES3_S5_NS0_18transform_iteratorINS0_17counting_iteratorImlEEZNS1_24adjacent_difference_implIS3_Lb1ELb0EPlSB_N6thrust23THRUST_200600_302600_NS5minusIlEEEE10hipError_tPvRmT2_T3_mT4_P12ihipStream_tbEUlmE_lEESB_NS0_8identityIvEEEESG_SJ_SK_mSL_SN_bEUlT_E_NS1_11comp_targetILNS1_3genE5ELNS1_11target_archE942ELNS1_3gpuE9ELNS1_3repE0EEENS1_30default_config_static_selectorELNS0_4arch9wavefront6targetE1EEEvT1_,comdat
.Lfunc_end246:
	.size	_ZN7rocprim17ROCPRIM_400000_NS6detail17trampoline_kernelINS0_14default_configENS1_25transform_config_selectorIlLb0EEEZNS1_14transform_implILb0ES3_S5_NS0_18transform_iteratorINS0_17counting_iteratorImlEEZNS1_24adjacent_difference_implIS3_Lb1ELb0EPlSB_N6thrust23THRUST_200600_302600_NS5minusIlEEEE10hipError_tPvRmT2_T3_mT4_P12ihipStream_tbEUlmE_lEESB_NS0_8identityIvEEEESG_SJ_SK_mSL_SN_bEUlT_E_NS1_11comp_targetILNS1_3genE5ELNS1_11target_archE942ELNS1_3gpuE9ELNS1_3repE0EEENS1_30default_config_static_selectorELNS0_4arch9wavefront6targetE1EEEvT1_, .Lfunc_end246-_ZN7rocprim17ROCPRIM_400000_NS6detail17trampoline_kernelINS0_14default_configENS1_25transform_config_selectorIlLb0EEEZNS1_14transform_implILb0ES3_S5_NS0_18transform_iteratorINS0_17counting_iteratorImlEEZNS1_24adjacent_difference_implIS3_Lb1ELb0EPlSB_N6thrust23THRUST_200600_302600_NS5minusIlEEEE10hipError_tPvRmT2_T3_mT4_P12ihipStream_tbEUlmE_lEESB_NS0_8identityIvEEEESG_SJ_SK_mSL_SN_bEUlT_E_NS1_11comp_targetILNS1_3genE5ELNS1_11target_archE942ELNS1_3gpuE9ELNS1_3repE0EEENS1_30default_config_static_selectorELNS0_4arch9wavefront6targetE1EEEvT1_
                                        ; -- End function
	.section	.AMDGPU.csdata,"",@progbits
; Kernel info:
; codeLenInByte = 488
; NumSgprs: 26
; NumVgprs: 12
; NumAgprs: 0
; TotalNumVgprs: 12
; ScratchSize: 0
; MemoryBound: 0
; FloatMode: 240
; IeeeMode: 1
; LDSByteSize: 0 bytes/workgroup (compile time only)
; SGPRBlocks: 3
; VGPRBlocks: 1
; NumSGPRsForWavesPerEU: 26
; NumVGPRsForWavesPerEU: 12
; AccumOffset: 12
; Occupancy: 8
; WaveLimiterHint : 0
; COMPUTE_PGM_RSRC2:SCRATCH_EN: 0
; COMPUTE_PGM_RSRC2:USER_SGPR: 2
; COMPUTE_PGM_RSRC2:TRAP_HANDLER: 0
; COMPUTE_PGM_RSRC2:TGID_X_EN: 1
; COMPUTE_PGM_RSRC2:TGID_Y_EN: 0
; COMPUTE_PGM_RSRC2:TGID_Z_EN: 0
; COMPUTE_PGM_RSRC2:TIDIG_COMP_CNT: 0
; COMPUTE_PGM_RSRC3_GFX90A:ACCUM_OFFSET: 2
; COMPUTE_PGM_RSRC3_GFX90A:TG_SPLIT: 0
	.section	.text._ZN7rocprim17ROCPRIM_400000_NS6detail17trampoline_kernelINS0_14default_configENS1_25transform_config_selectorIlLb0EEEZNS1_14transform_implILb0ES3_S5_NS0_18transform_iteratorINS0_17counting_iteratorImlEEZNS1_24adjacent_difference_implIS3_Lb1ELb0EPlSB_N6thrust23THRUST_200600_302600_NS5minusIlEEEE10hipError_tPvRmT2_T3_mT4_P12ihipStream_tbEUlmE_lEESB_NS0_8identityIvEEEESG_SJ_SK_mSL_SN_bEUlT_E_NS1_11comp_targetILNS1_3genE4ELNS1_11target_archE910ELNS1_3gpuE8ELNS1_3repE0EEENS1_30default_config_static_selectorELNS0_4arch9wavefront6targetE1EEEvT1_,"axG",@progbits,_ZN7rocprim17ROCPRIM_400000_NS6detail17trampoline_kernelINS0_14default_configENS1_25transform_config_selectorIlLb0EEEZNS1_14transform_implILb0ES3_S5_NS0_18transform_iteratorINS0_17counting_iteratorImlEEZNS1_24adjacent_difference_implIS3_Lb1ELb0EPlSB_N6thrust23THRUST_200600_302600_NS5minusIlEEEE10hipError_tPvRmT2_T3_mT4_P12ihipStream_tbEUlmE_lEESB_NS0_8identityIvEEEESG_SJ_SK_mSL_SN_bEUlT_E_NS1_11comp_targetILNS1_3genE4ELNS1_11target_archE910ELNS1_3gpuE8ELNS1_3repE0EEENS1_30default_config_static_selectorELNS0_4arch9wavefront6targetE1EEEvT1_,comdat
	.protected	_ZN7rocprim17ROCPRIM_400000_NS6detail17trampoline_kernelINS0_14default_configENS1_25transform_config_selectorIlLb0EEEZNS1_14transform_implILb0ES3_S5_NS0_18transform_iteratorINS0_17counting_iteratorImlEEZNS1_24adjacent_difference_implIS3_Lb1ELb0EPlSB_N6thrust23THRUST_200600_302600_NS5minusIlEEEE10hipError_tPvRmT2_T3_mT4_P12ihipStream_tbEUlmE_lEESB_NS0_8identityIvEEEESG_SJ_SK_mSL_SN_bEUlT_E_NS1_11comp_targetILNS1_3genE4ELNS1_11target_archE910ELNS1_3gpuE8ELNS1_3repE0EEENS1_30default_config_static_selectorELNS0_4arch9wavefront6targetE1EEEvT1_ ; -- Begin function _ZN7rocprim17ROCPRIM_400000_NS6detail17trampoline_kernelINS0_14default_configENS1_25transform_config_selectorIlLb0EEEZNS1_14transform_implILb0ES3_S5_NS0_18transform_iteratorINS0_17counting_iteratorImlEEZNS1_24adjacent_difference_implIS3_Lb1ELb0EPlSB_N6thrust23THRUST_200600_302600_NS5minusIlEEEE10hipError_tPvRmT2_T3_mT4_P12ihipStream_tbEUlmE_lEESB_NS0_8identityIvEEEESG_SJ_SK_mSL_SN_bEUlT_E_NS1_11comp_targetILNS1_3genE4ELNS1_11target_archE910ELNS1_3gpuE8ELNS1_3repE0EEENS1_30default_config_static_selectorELNS0_4arch9wavefront6targetE1EEEvT1_
	.globl	_ZN7rocprim17ROCPRIM_400000_NS6detail17trampoline_kernelINS0_14default_configENS1_25transform_config_selectorIlLb0EEEZNS1_14transform_implILb0ES3_S5_NS0_18transform_iteratorINS0_17counting_iteratorImlEEZNS1_24adjacent_difference_implIS3_Lb1ELb0EPlSB_N6thrust23THRUST_200600_302600_NS5minusIlEEEE10hipError_tPvRmT2_T3_mT4_P12ihipStream_tbEUlmE_lEESB_NS0_8identityIvEEEESG_SJ_SK_mSL_SN_bEUlT_E_NS1_11comp_targetILNS1_3genE4ELNS1_11target_archE910ELNS1_3gpuE8ELNS1_3repE0EEENS1_30default_config_static_selectorELNS0_4arch9wavefront6targetE1EEEvT1_
	.p2align	8
	.type	_ZN7rocprim17ROCPRIM_400000_NS6detail17trampoline_kernelINS0_14default_configENS1_25transform_config_selectorIlLb0EEEZNS1_14transform_implILb0ES3_S5_NS0_18transform_iteratorINS0_17counting_iteratorImlEEZNS1_24adjacent_difference_implIS3_Lb1ELb0EPlSB_N6thrust23THRUST_200600_302600_NS5minusIlEEEE10hipError_tPvRmT2_T3_mT4_P12ihipStream_tbEUlmE_lEESB_NS0_8identityIvEEEESG_SJ_SK_mSL_SN_bEUlT_E_NS1_11comp_targetILNS1_3genE4ELNS1_11target_archE910ELNS1_3gpuE8ELNS1_3repE0EEENS1_30default_config_static_selectorELNS0_4arch9wavefront6targetE1EEEvT1_,@function
_ZN7rocprim17ROCPRIM_400000_NS6detail17trampoline_kernelINS0_14default_configENS1_25transform_config_selectorIlLb0EEEZNS1_14transform_implILb0ES3_S5_NS0_18transform_iteratorINS0_17counting_iteratorImlEEZNS1_24adjacent_difference_implIS3_Lb1ELb0EPlSB_N6thrust23THRUST_200600_302600_NS5minusIlEEEE10hipError_tPvRmT2_T3_mT4_P12ihipStream_tbEUlmE_lEESB_NS0_8identityIvEEEESG_SJ_SK_mSL_SN_bEUlT_E_NS1_11comp_targetILNS1_3genE4ELNS1_11target_archE910ELNS1_3gpuE8ELNS1_3repE0EEENS1_30default_config_static_selectorELNS0_4arch9wavefront6targetE1EEEvT1_: ; @_ZN7rocprim17ROCPRIM_400000_NS6detail17trampoline_kernelINS0_14default_configENS1_25transform_config_selectorIlLb0EEEZNS1_14transform_implILb0ES3_S5_NS0_18transform_iteratorINS0_17counting_iteratorImlEEZNS1_24adjacent_difference_implIS3_Lb1ELb0EPlSB_N6thrust23THRUST_200600_302600_NS5minusIlEEEE10hipError_tPvRmT2_T3_mT4_P12ihipStream_tbEUlmE_lEESB_NS0_8identityIvEEEESG_SJ_SK_mSL_SN_bEUlT_E_NS1_11comp_targetILNS1_3genE4ELNS1_11target_archE910ELNS1_3gpuE8ELNS1_3repE0EEENS1_30default_config_static_selectorELNS0_4arch9wavefront6targetE1EEEvT1_
; %bb.0:
	.section	.rodata,"a",@progbits
	.p2align	6, 0x0
	.amdhsa_kernel _ZN7rocprim17ROCPRIM_400000_NS6detail17trampoline_kernelINS0_14default_configENS1_25transform_config_selectorIlLb0EEEZNS1_14transform_implILb0ES3_S5_NS0_18transform_iteratorINS0_17counting_iteratorImlEEZNS1_24adjacent_difference_implIS3_Lb1ELb0EPlSB_N6thrust23THRUST_200600_302600_NS5minusIlEEEE10hipError_tPvRmT2_T3_mT4_P12ihipStream_tbEUlmE_lEESB_NS0_8identityIvEEEESG_SJ_SK_mSL_SN_bEUlT_E_NS1_11comp_targetILNS1_3genE4ELNS1_11target_archE910ELNS1_3gpuE8ELNS1_3repE0EEENS1_30default_config_static_selectorELNS0_4arch9wavefront6targetE1EEEvT1_
		.amdhsa_group_segment_fixed_size 0
		.amdhsa_private_segment_fixed_size 0
		.amdhsa_kernarg_size 56
		.amdhsa_user_sgpr_count 2
		.amdhsa_user_sgpr_dispatch_ptr 0
		.amdhsa_user_sgpr_queue_ptr 0
		.amdhsa_user_sgpr_kernarg_segment_ptr 1
		.amdhsa_user_sgpr_dispatch_id 0
		.amdhsa_user_sgpr_kernarg_preload_length 0
		.amdhsa_user_sgpr_kernarg_preload_offset 0
		.amdhsa_user_sgpr_private_segment_size 0
		.amdhsa_uses_dynamic_stack 0
		.amdhsa_enable_private_segment 0
		.amdhsa_system_sgpr_workgroup_id_x 1
		.amdhsa_system_sgpr_workgroup_id_y 0
		.amdhsa_system_sgpr_workgroup_id_z 0
		.amdhsa_system_sgpr_workgroup_info 0
		.amdhsa_system_vgpr_workitem_id 0
		.amdhsa_next_free_vgpr 1
		.amdhsa_next_free_sgpr 0
		.amdhsa_accum_offset 4
		.amdhsa_reserve_vcc 0
		.amdhsa_float_round_mode_32 0
		.amdhsa_float_round_mode_16_64 0
		.amdhsa_float_denorm_mode_32 3
		.amdhsa_float_denorm_mode_16_64 3
		.amdhsa_dx10_clamp 1
		.amdhsa_ieee_mode 1
		.amdhsa_fp16_overflow 0
		.amdhsa_tg_split 0
		.amdhsa_exception_fp_ieee_invalid_op 0
		.amdhsa_exception_fp_denorm_src 0
		.amdhsa_exception_fp_ieee_div_zero 0
		.amdhsa_exception_fp_ieee_overflow 0
		.amdhsa_exception_fp_ieee_underflow 0
		.amdhsa_exception_fp_ieee_inexact 0
		.amdhsa_exception_int_div_zero 0
	.end_amdhsa_kernel
	.section	.text._ZN7rocprim17ROCPRIM_400000_NS6detail17trampoline_kernelINS0_14default_configENS1_25transform_config_selectorIlLb0EEEZNS1_14transform_implILb0ES3_S5_NS0_18transform_iteratorINS0_17counting_iteratorImlEEZNS1_24adjacent_difference_implIS3_Lb1ELb0EPlSB_N6thrust23THRUST_200600_302600_NS5minusIlEEEE10hipError_tPvRmT2_T3_mT4_P12ihipStream_tbEUlmE_lEESB_NS0_8identityIvEEEESG_SJ_SK_mSL_SN_bEUlT_E_NS1_11comp_targetILNS1_3genE4ELNS1_11target_archE910ELNS1_3gpuE8ELNS1_3repE0EEENS1_30default_config_static_selectorELNS0_4arch9wavefront6targetE1EEEvT1_,"axG",@progbits,_ZN7rocprim17ROCPRIM_400000_NS6detail17trampoline_kernelINS0_14default_configENS1_25transform_config_selectorIlLb0EEEZNS1_14transform_implILb0ES3_S5_NS0_18transform_iteratorINS0_17counting_iteratorImlEEZNS1_24adjacent_difference_implIS3_Lb1ELb0EPlSB_N6thrust23THRUST_200600_302600_NS5minusIlEEEE10hipError_tPvRmT2_T3_mT4_P12ihipStream_tbEUlmE_lEESB_NS0_8identityIvEEEESG_SJ_SK_mSL_SN_bEUlT_E_NS1_11comp_targetILNS1_3genE4ELNS1_11target_archE910ELNS1_3gpuE8ELNS1_3repE0EEENS1_30default_config_static_selectorELNS0_4arch9wavefront6targetE1EEEvT1_,comdat
.Lfunc_end247:
	.size	_ZN7rocprim17ROCPRIM_400000_NS6detail17trampoline_kernelINS0_14default_configENS1_25transform_config_selectorIlLb0EEEZNS1_14transform_implILb0ES3_S5_NS0_18transform_iteratorINS0_17counting_iteratorImlEEZNS1_24adjacent_difference_implIS3_Lb1ELb0EPlSB_N6thrust23THRUST_200600_302600_NS5minusIlEEEE10hipError_tPvRmT2_T3_mT4_P12ihipStream_tbEUlmE_lEESB_NS0_8identityIvEEEESG_SJ_SK_mSL_SN_bEUlT_E_NS1_11comp_targetILNS1_3genE4ELNS1_11target_archE910ELNS1_3gpuE8ELNS1_3repE0EEENS1_30default_config_static_selectorELNS0_4arch9wavefront6targetE1EEEvT1_, .Lfunc_end247-_ZN7rocprim17ROCPRIM_400000_NS6detail17trampoline_kernelINS0_14default_configENS1_25transform_config_selectorIlLb0EEEZNS1_14transform_implILb0ES3_S5_NS0_18transform_iteratorINS0_17counting_iteratorImlEEZNS1_24adjacent_difference_implIS3_Lb1ELb0EPlSB_N6thrust23THRUST_200600_302600_NS5minusIlEEEE10hipError_tPvRmT2_T3_mT4_P12ihipStream_tbEUlmE_lEESB_NS0_8identityIvEEEESG_SJ_SK_mSL_SN_bEUlT_E_NS1_11comp_targetILNS1_3genE4ELNS1_11target_archE910ELNS1_3gpuE8ELNS1_3repE0EEENS1_30default_config_static_selectorELNS0_4arch9wavefront6targetE1EEEvT1_
                                        ; -- End function
	.section	.AMDGPU.csdata,"",@progbits
; Kernel info:
; codeLenInByte = 0
; NumSgprs: 6
; NumVgprs: 0
; NumAgprs: 0
; TotalNumVgprs: 0
; ScratchSize: 0
; MemoryBound: 0
; FloatMode: 240
; IeeeMode: 1
; LDSByteSize: 0 bytes/workgroup (compile time only)
; SGPRBlocks: 0
; VGPRBlocks: 0
; NumSGPRsForWavesPerEU: 6
; NumVGPRsForWavesPerEU: 1
; AccumOffset: 4
; Occupancy: 8
; WaveLimiterHint : 0
; COMPUTE_PGM_RSRC2:SCRATCH_EN: 0
; COMPUTE_PGM_RSRC2:USER_SGPR: 2
; COMPUTE_PGM_RSRC2:TRAP_HANDLER: 0
; COMPUTE_PGM_RSRC2:TGID_X_EN: 1
; COMPUTE_PGM_RSRC2:TGID_Y_EN: 0
; COMPUTE_PGM_RSRC2:TGID_Z_EN: 0
; COMPUTE_PGM_RSRC2:TIDIG_COMP_CNT: 0
; COMPUTE_PGM_RSRC3_GFX90A:ACCUM_OFFSET: 0
; COMPUTE_PGM_RSRC3_GFX90A:TG_SPLIT: 0
	.section	.text._ZN7rocprim17ROCPRIM_400000_NS6detail17trampoline_kernelINS0_14default_configENS1_25transform_config_selectorIlLb0EEEZNS1_14transform_implILb0ES3_S5_NS0_18transform_iteratorINS0_17counting_iteratorImlEEZNS1_24adjacent_difference_implIS3_Lb1ELb0EPlSB_N6thrust23THRUST_200600_302600_NS5minusIlEEEE10hipError_tPvRmT2_T3_mT4_P12ihipStream_tbEUlmE_lEESB_NS0_8identityIvEEEESG_SJ_SK_mSL_SN_bEUlT_E_NS1_11comp_targetILNS1_3genE3ELNS1_11target_archE908ELNS1_3gpuE7ELNS1_3repE0EEENS1_30default_config_static_selectorELNS0_4arch9wavefront6targetE1EEEvT1_,"axG",@progbits,_ZN7rocprim17ROCPRIM_400000_NS6detail17trampoline_kernelINS0_14default_configENS1_25transform_config_selectorIlLb0EEEZNS1_14transform_implILb0ES3_S5_NS0_18transform_iteratorINS0_17counting_iteratorImlEEZNS1_24adjacent_difference_implIS3_Lb1ELb0EPlSB_N6thrust23THRUST_200600_302600_NS5minusIlEEEE10hipError_tPvRmT2_T3_mT4_P12ihipStream_tbEUlmE_lEESB_NS0_8identityIvEEEESG_SJ_SK_mSL_SN_bEUlT_E_NS1_11comp_targetILNS1_3genE3ELNS1_11target_archE908ELNS1_3gpuE7ELNS1_3repE0EEENS1_30default_config_static_selectorELNS0_4arch9wavefront6targetE1EEEvT1_,comdat
	.protected	_ZN7rocprim17ROCPRIM_400000_NS6detail17trampoline_kernelINS0_14default_configENS1_25transform_config_selectorIlLb0EEEZNS1_14transform_implILb0ES3_S5_NS0_18transform_iteratorINS0_17counting_iteratorImlEEZNS1_24adjacent_difference_implIS3_Lb1ELb0EPlSB_N6thrust23THRUST_200600_302600_NS5minusIlEEEE10hipError_tPvRmT2_T3_mT4_P12ihipStream_tbEUlmE_lEESB_NS0_8identityIvEEEESG_SJ_SK_mSL_SN_bEUlT_E_NS1_11comp_targetILNS1_3genE3ELNS1_11target_archE908ELNS1_3gpuE7ELNS1_3repE0EEENS1_30default_config_static_selectorELNS0_4arch9wavefront6targetE1EEEvT1_ ; -- Begin function _ZN7rocprim17ROCPRIM_400000_NS6detail17trampoline_kernelINS0_14default_configENS1_25transform_config_selectorIlLb0EEEZNS1_14transform_implILb0ES3_S5_NS0_18transform_iteratorINS0_17counting_iteratorImlEEZNS1_24adjacent_difference_implIS3_Lb1ELb0EPlSB_N6thrust23THRUST_200600_302600_NS5minusIlEEEE10hipError_tPvRmT2_T3_mT4_P12ihipStream_tbEUlmE_lEESB_NS0_8identityIvEEEESG_SJ_SK_mSL_SN_bEUlT_E_NS1_11comp_targetILNS1_3genE3ELNS1_11target_archE908ELNS1_3gpuE7ELNS1_3repE0EEENS1_30default_config_static_selectorELNS0_4arch9wavefront6targetE1EEEvT1_
	.globl	_ZN7rocprim17ROCPRIM_400000_NS6detail17trampoline_kernelINS0_14default_configENS1_25transform_config_selectorIlLb0EEEZNS1_14transform_implILb0ES3_S5_NS0_18transform_iteratorINS0_17counting_iteratorImlEEZNS1_24adjacent_difference_implIS3_Lb1ELb0EPlSB_N6thrust23THRUST_200600_302600_NS5minusIlEEEE10hipError_tPvRmT2_T3_mT4_P12ihipStream_tbEUlmE_lEESB_NS0_8identityIvEEEESG_SJ_SK_mSL_SN_bEUlT_E_NS1_11comp_targetILNS1_3genE3ELNS1_11target_archE908ELNS1_3gpuE7ELNS1_3repE0EEENS1_30default_config_static_selectorELNS0_4arch9wavefront6targetE1EEEvT1_
	.p2align	8
	.type	_ZN7rocprim17ROCPRIM_400000_NS6detail17trampoline_kernelINS0_14default_configENS1_25transform_config_selectorIlLb0EEEZNS1_14transform_implILb0ES3_S5_NS0_18transform_iteratorINS0_17counting_iteratorImlEEZNS1_24adjacent_difference_implIS3_Lb1ELb0EPlSB_N6thrust23THRUST_200600_302600_NS5minusIlEEEE10hipError_tPvRmT2_T3_mT4_P12ihipStream_tbEUlmE_lEESB_NS0_8identityIvEEEESG_SJ_SK_mSL_SN_bEUlT_E_NS1_11comp_targetILNS1_3genE3ELNS1_11target_archE908ELNS1_3gpuE7ELNS1_3repE0EEENS1_30default_config_static_selectorELNS0_4arch9wavefront6targetE1EEEvT1_,@function
_ZN7rocprim17ROCPRIM_400000_NS6detail17trampoline_kernelINS0_14default_configENS1_25transform_config_selectorIlLb0EEEZNS1_14transform_implILb0ES3_S5_NS0_18transform_iteratorINS0_17counting_iteratorImlEEZNS1_24adjacent_difference_implIS3_Lb1ELb0EPlSB_N6thrust23THRUST_200600_302600_NS5minusIlEEEE10hipError_tPvRmT2_T3_mT4_P12ihipStream_tbEUlmE_lEESB_NS0_8identityIvEEEESG_SJ_SK_mSL_SN_bEUlT_E_NS1_11comp_targetILNS1_3genE3ELNS1_11target_archE908ELNS1_3gpuE7ELNS1_3repE0EEENS1_30default_config_static_selectorELNS0_4arch9wavefront6targetE1EEEvT1_: ; @_ZN7rocprim17ROCPRIM_400000_NS6detail17trampoline_kernelINS0_14default_configENS1_25transform_config_selectorIlLb0EEEZNS1_14transform_implILb0ES3_S5_NS0_18transform_iteratorINS0_17counting_iteratorImlEEZNS1_24adjacent_difference_implIS3_Lb1ELb0EPlSB_N6thrust23THRUST_200600_302600_NS5minusIlEEEE10hipError_tPvRmT2_T3_mT4_P12ihipStream_tbEUlmE_lEESB_NS0_8identityIvEEEESG_SJ_SK_mSL_SN_bEUlT_E_NS1_11comp_targetILNS1_3genE3ELNS1_11target_archE908ELNS1_3gpuE7ELNS1_3repE0EEENS1_30default_config_static_selectorELNS0_4arch9wavefront6targetE1EEEvT1_
; %bb.0:
	.section	.rodata,"a",@progbits
	.p2align	6, 0x0
	.amdhsa_kernel _ZN7rocprim17ROCPRIM_400000_NS6detail17trampoline_kernelINS0_14default_configENS1_25transform_config_selectorIlLb0EEEZNS1_14transform_implILb0ES3_S5_NS0_18transform_iteratorINS0_17counting_iteratorImlEEZNS1_24adjacent_difference_implIS3_Lb1ELb0EPlSB_N6thrust23THRUST_200600_302600_NS5minusIlEEEE10hipError_tPvRmT2_T3_mT4_P12ihipStream_tbEUlmE_lEESB_NS0_8identityIvEEEESG_SJ_SK_mSL_SN_bEUlT_E_NS1_11comp_targetILNS1_3genE3ELNS1_11target_archE908ELNS1_3gpuE7ELNS1_3repE0EEENS1_30default_config_static_selectorELNS0_4arch9wavefront6targetE1EEEvT1_
		.amdhsa_group_segment_fixed_size 0
		.amdhsa_private_segment_fixed_size 0
		.amdhsa_kernarg_size 56
		.amdhsa_user_sgpr_count 2
		.amdhsa_user_sgpr_dispatch_ptr 0
		.amdhsa_user_sgpr_queue_ptr 0
		.amdhsa_user_sgpr_kernarg_segment_ptr 1
		.amdhsa_user_sgpr_dispatch_id 0
		.amdhsa_user_sgpr_kernarg_preload_length 0
		.amdhsa_user_sgpr_kernarg_preload_offset 0
		.amdhsa_user_sgpr_private_segment_size 0
		.amdhsa_uses_dynamic_stack 0
		.amdhsa_enable_private_segment 0
		.amdhsa_system_sgpr_workgroup_id_x 1
		.amdhsa_system_sgpr_workgroup_id_y 0
		.amdhsa_system_sgpr_workgroup_id_z 0
		.amdhsa_system_sgpr_workgroup_info 0
		.amdhsa_system_vgpr_workitem_id 0
		.amdhsa_next_free_vgpr 1
		.amdhsa_next_free_sgpr 0
		.amdhsa_accum_offset 4
		.amdhsa_reserve_vcc 0
		.amdhsa_float_round_mode_32 0
		.amdhsa_float_round_mode_16_64 0
		.amdhsa_float_denorm_mode_32 3
		.amdhsa_float_denorm_mode_16_64 3
		.amdhsa_dx10_clamp 1
		.amdhsa_ieee_mode 1
		.amdhsa_fp16_overflow 0
		.amdhsa_tg_split 0
		.amdhsa_exception_fp_ieee_invalid_op 0
		.amdhsa_exception_fp_denorm_src 0
		.amdhsa_exception_fp_ieee_div_zero 0
		.amdhsa_exception_fp_ieee_overflow 0
		.amdhsa_exception_fp_ieee_underflow 0
		.amdhsa_exception_fp_ieee_inexact 0
		.amdhsa_exception_int_div_zero 0
	.end_amdhsa_kernel
	.section	.text._ZN7rocprim17ROCPRIM_400000_NS6detail17trampoline_kernelINS0_14default_configENS1_25transform_config_selectorIlLb0EEEZNS1_14transform_implILb0ES3_S5_NS0_18transform_iteratorINS0_17counting_iteratorImlEEZNS1_24adjacent_difference_implIS3_Lb1ELb0EPlSB_N6thrust23THRUST_200600_302600_NS5minusIlEEEE10hipError_tPvRmT2_T3_mT4_P12ihipStream_tbEUlmE_lEESB_NS0_8identityIvEEEESG_SJ_SK_mSL_SN_bEUlT_E_NS1_11comp_targetILNS1_3genE3ELNS1_11target_archE908ELNS1_3gpuE7ELNS1_3repE0EEENS1_30default_config_static_selectorELNS0_4arch9wavefront6targetE1EEEvT1_,"axG",@progbits,_ZN7rocprim17ROCPRIM_400000_NS6detail17trampoline_kernelINS0_14default_configENS1_25transform_config_selectorIlLb0EEEZNS1_14transform_implILb0ES3_S5_NS0_18transform_iteratorINS0_17counting_iteratorImlEEZNS1_24adjacent_difference_implIS3_Lb1ELb0EPlSB_N6thrust23THRUST_200600_302600_NS5minusIlEEEE10hipError_tPvRmT2_T3_mT4_P12ihipStream_tbEUlmE_lEESB_NS0_8identityIvEEEESG_SJ_SK_mSL_SN_bEUlT_E_NS1_11comp_targetILNS1_3genE3ELNS1_11target_archE908ELNS1_3gpuE7ELNS1_3repE0EEENS1_30default_config_static_selectorELNS0_4arch9wavefront6targetE1EEEvT1_,comdat
.Lfunc_end248:
	.size	_ZN7rocprim17ROCPRIM_400000_NS6detail17trampoline_kernelINS0_14default_configENS1_25transform_config_selectorIlLb0EEEZNS1_14transform_implILb0ES3_S5_NS0_18transform_iteratorINS0_17counting_iteratorImlEEZNS1_24adjacent_difference_implIS3_Lb1ELb0EPlSB_N6thrust23THRUST_200600_302600_NS5minusIlEEEE10hipError_tPvRmT2_T3_mT4_P12ihipStream_tbEUlmE_lEESB_NS0_8identityIvEEEESG_SJ_SK_mSL_SN_bEUlT_E_NS1_11comp_targetILNS1_3genE3ELNS1_11target_archE908ELNS1_3gpuE7ELNS1_3repE0EEENS1_30default_config_static_selectorELNS0_4arch9wavefront6targetE1EEEvT1_, .Lfunc_end248-_ZN7rocprim17ROCPRIM_400000_NS6detail17trampoline_kernelINS0_14default_configENS1_25transform_config_selectorIlLb0EEEZNS1_14transform_implILb0ES3_S5_NS0_18transform_iteratorINS0_17counting_iteratorImlEEZNS1_24adjacent_difference_implIS3_Lb1ELb0EPlSB_N6thrust23THRUST_200600_302600_NS5minusIlEEEE10hipError_tPvRmT2_T3_mT4_P12ihipStream_tbEUlmE_lEESB_NS0_8identityIvEEEESG_SJ_SK_mSL_SN_bEUlT_E_NS1_11comp_targetILNS1_3genE3ELNS1_11target_archE908ELNS1_3gpuE7ELNS1_3repE0EEENS1_30default_config_static_selectorELNS0_4arch9wavefront6targetE1EEEvT1_
                                        ; -- End function
	.section	.AMDGPU.csdata,"",@progbits
; Kernel info:
; codeLenInByte = 0
; NumSgprs: 6
; NumVgprs: 0
; NumAgprs: 0
; TotalNumVgprs: 0
; ScratchSize: 0
; MemoryBound: 0
; FloatMode: 240
; IeeeMode: 1
; LDSByteSize: 0 bytes/workgroup (compile time only)
; SGPRBlocks: 0
; VGPRBlocks: 0
; NumSGPRsForWavesPerEU: 6
; NumVGPRsForWavesPerEU: 1
; AccumOffset: 4
; Occupancy: 8
; WaveLimiterHint : 0
; COMPUTE_PGM_RSRC2:SCRATCH_EN: 0
; COMPUTE_PGM_RSRC2:USER_SGPR: 2
; COMPUTE_PGM_RSRC2:TRAP_HANDLER: 0
; COMPUTE_PGM_RSRC2:TGID_X_EN: 1
; COMPUTE_PGM_RSRC2:TGID_Y_EN: 0
; COMPUTE_PGM_RSRC2:TGID_Z_EN: 0
; COMPUTE_PGM_RSRC2:TIDIG_COMP_CNT: 0
; COMPUTE_PGM_RSRC3_GFX90A:ACCUM_OFFSET: 0
; COMPUTE_PGM_RSRC3_GFX90A:TG_SPLIT: 0
	.section	.text._ZN7rocprim17ROCPRIM_400000_NS6detail17trampoline_kernelINS0_14default_configENS1_25transform_config_selectorIlLb0EEEZNS1_14transform_implILb0ES3_S5_NS0_18transform_iteratorINS0_17counting_iteratorImlEEZNS1_24adjacent_difference_implIS3_Lb1ELb0EPlSB_N6thrust23THRUST_200600_302600_NS5minusIlEEEE10hipError_tPvRmT2_T3_mT4_P12ihipStream_tbEUlmE_lEESB_NS0_8identityIvEEEESG_SJ_SK_mSL_SN_bEUlT_E_NS1_11comp_targetILNS1_3genE2ELNS1_11target_archE906ELNS1_3gpuE6ELNS1_3repE0EEENS1_30default_config_static_selectorELNS0_4arch9wavefront6targetE1EEEvT1_,"axG",@progbits,_ZN7rocprim17ROCPRIM_400000_NS6detail17trampoline_kernelINS0_14default_configENS1_25transform_config_selectorIlLb0EEEZNS1_14transform_implILb0ES3_S5_NS0_18transform_iteratorINS0_17counting_iteratorImlEEZNS1_24adjacent_difference_implIS3_Lb1ELb0EPlSB_N6thrust23THRUST_200600_302600_NS5minusIlEEEE10hipError_tPvRmT2_T3_mT4_P12ihipStream_tbEUlmE_lEESB_NS0_8identityIvEEEESG_SJ_SK_mSL_SN_bEUlT_E_NS1_11comp_targetILNS1_3genE2ELNS1_11target_archE906ELNS1_3gpuE6ELNS1_3repE0EEENS1_30default_config_static_selectorELNS0_4arch9wavefront6targetE1EEEvT1_,comdat
	.protected	_ZN7rocprim17ROCPRIM_400000_NS6detail17trampoline_kernelINS0_14default_configENS1_25transform_config_selectorIlLb0EEEZNS1_14transform_implILb0ES3_S5_NS0_18transform_iteratorINS0_17counting_iteratorImlEEZNS1_24adjacent_difference_implIS3_Lb1ELb0EPlSB_N6thrust23THRUST_200600_302600_NS5minusIlEEEE10hipError_tPvRmT2_T3_mT4_P12ihipStream_tbEUlmE_lEESB_NS0_8identityIvEEEESG_SJ_SK_mSL_SN_bEUlT_E_NS1_11comp_targetILNS1_3genE2ELNS1_11target_archE906ELNS1_3gpuE6ELNS1_3repE0EEENS1_30default_config_static_selectorELNS0_4arch9wavefront6targetE1EEEvT1_ ; -- Begin function _ZN7rocprim17ROCPRIM_400000_NS6detail17trampoline_kernelINS0_14default_configENS1_25transform_config_selectorIlLb0EEEZNS1_14transform_implILb0ES3_S5_NS0_18transform_iteratorINS0_17counting_iteratorImlEEZNS1_24adjacent_difference_implIS3_Lb1ELb0EPlSB_N6thrust23THRUST_200600_302600_NS5minusIlEEEE10hipError_tPvRmT2_T3_mT4_P12ihipStream_tbEUlmE_lEESB_NS0_8identityIvEEEESG_SJ_SK_mSL_SN_bEUlT_E_NS1_11comp_targetILNS1_3genE2ELNS1_11target_archE906ELNS1_3gpuE6ELNS1_3repE0EEENS1_30default_config_static_selectorELNS0_4arch9wavefront6targetE1EEEvT1_
	.globl	_ZN7rocprim17ROCPRIM_400000_NS6detail17trampoline_kernelINS0_14default_configENS1_25transform_config_selectorIlLb0EEEZNS1_14transform_implILb0ES3_S5_NS0_18transform_iteratorINS0_17counting_iteratorImlEEZNS1_24adjacent_difference_implIS3_Lb1ELb0EPlSB_N6thrust23THRUST_200600_302600_NS5minusIlEEEE10hipError_tPvRmT2_T3_mT4_P12ihipStream_tbEUlmE_lEESB_NS0_8identityIvEEEESG_SJ_SK_mSL_SN_bEUlT_E_NS1_11comp_targetILNS1_3genE2ELNS1_11target_archE906ELNS1_3gpuE6ELNS1_3repE0EEENS1_30default_config_static_selectorELNS0_4arch9wavefront6targetE1EEEvT1_
	.p2align	8
	.type	_ZN7rocprim17ROCPRIM_400000_NS6detail17trampoline_kernelINS0_14default_configENS1_25transform_config_selectorIlLb0EEEZNS1_14transform_implILb0ES3_S5_NS0_18transform_iteratorINS0_17counting_iteratorImlEEZNS1_24adjacent_difference_implIS3_Lb1ELb0EPlSB_N6thrust23THRUST_200600_302600_NS5minusIlEEEE10hipError_tPvRmT2_T3_mT4_P12ihipStream_tbEUlmE_lEESB_NS0_8identityIvEEEESG_SJ_SK_mSL_SN_bEUlT_E_NS1_11comp_targetILNS1_3genE2ELNS1_11target_archE906ELNS1_3gpuE6ELNS1_3repE0EEENS1_30default_config_static_selectorELNS0_4arch9wavefront6targetE1EEEvT1_,@function
_ZN7rocprim17ROCPRIM_400000_NS6detail17trampoline_kernelINS0_14default_configENS1_25transform_config_selectorIlLb0EEEZNS1_14transform_implILb0ES3_S5_NS0_18transform_iteratorINS0_17counting_iteratorImlEEZNS1_24adjacent_difference_implIS3_Lb1ELb0EPlSB_N6thrust23THRUST_200600_302600_NS5minusIlEEEE10hipError_tPvRmT2_T3_mT4_P12ihipStream_tbEUlmE_lEESB_NS0_8identityIvEEEESG_SJ_SK_mSL_SN_bEUlT_E_NS1_11comp_targetILNS1_3genE2ELNS1_11target_archE906ELNS1_3gpuE6ELNS1_3repE0EEENS1_30default_config_static_selectorELNS0_4arch9wavefront6targetE1EEEvT1_: ; @_ZN7rocprim17ROCPRIM_400000_NS6detail17trampoline_kernelINS0_14default_configENS1_25transform_config_selectorIlLb0EEEZNS1_14transform_implILb0ES3_S5_NS0_18transform_iteratorINS0_17counting_iteratorImlEEZNS1_24adjacent_difference_implIS3_Lb1ELb0EPlSB_N6thrust23THRUST_200600_302600_NS5minusIlEEEE10hipError_tPvRmT2_T3_mT4_P12ihipStream_tbEUlmE_lEESB_NS0_8identityIvEEEESG_SJ_SK_mSL_SN_bEUlT_E_NS1_11comp_targetILNS1_3genE2ELNS1_11target_archE906ELNS1_3gpuE6ELNS1_3repE0EEENS1_30default_config_static_selectorELNS0_4arch9wavefront6targetE1EEEvT1_
; %bb.0:
	.section	.rodata,"a",@progbits
	.p2align	6, 0x0
	.amdhsa_kernel _ZN7rocprim17ROCPRIM_400000_NS6detail17trampoline_kernelINS0_14default_configENS1_25transform_config_selectorIlLb0EEEZNS1_14transform_implILb0ES3_S5_NS0_18transform_iteratorINS0_17counting_iteratorImlEEZNS1_24adjacent_difference_implIS3_Lb1ELb0EPlSB_N6thrust23THRUST_200600_302600_NS5minusIlEEEE10hipError_tPvRmT2_T3_mT4_P12ihipStream_tbEUlmE_lEESB_NS0_8identityIvEEEESG_SJ_SK_mSL_SN_bEUlT_E_NS1_11comp_targetILNS1_3genE2ELNS1_11target_archE906ELNS1_3gpuE6ELNS1_3repE0EEENS1_30default_config_static_selectorELNS0_4arch9wavefront6targetE1EEEvT1_
		.amdhsa_group_segment_fixed_size 0
		.amdhsa_private_segment_fixed_size 0
		.amdhsa_kernarg_size 56
		.amdhsa_user_sgpr_count 2
		.amdhsa_user_sgpr_dispatch_ptr 0
		.amdhsa_user_sgpr_queue_ptr 0
		.amdhsa_user_sgpr_kernarg_segment_ptr 1
		.amdhsa_user_sgpr_dispatch_id 0
		.amdhsa_user_sgpr_kernarg_preload_length 0
		.amdhsa_user_sgpr_kernarg_preload_offset 0
		.amdhsa_user_sgpr_private_segment_size 0
		.amdhsa_uses_dynamic_stack 0
		.amdhsa_enable_private_segment 0
		.amdhsa_system_sgpr_workgroup_id_x 1
		.amdhsa_system_sgpr_workgroup_id_y 0
		.amdhsa_system_sgpr_workgroup_id_z 0
		.amdhsa_system_sgpr_workgroup_info 0
		.amdhsa_system_vgpr_workitem_id 0
		.amdhsa_next_free_vgpr 1
		.amdhsa_next_free_sgpr 0
		.amdhsa_accum_offset 4
		.amdhsa_reserve_vcc 0
		.amdhsa_float_round_mode_32 0
		.amdhsa_float_round_mode_16_64 0
		.amdhsa_float_denorm_mode_32 3
		.amdhsa_float_denorm_mode_16_64 3
		.amdhsa_dx10_clamp 1
		.amdhsa_ieee_mode 1
		.amdhsa_fp16_overflow 0
		.amdhsa_tg_split 0
		.amdhsa_exception_fp_ieee_invalid_op 0
		.amdhsa_exception_fp_denorm_src 0
		.amdhsa_exception_fp_ieee_div_zero 0
		.amdhsa_exception_fp_ieee_overflow 0
		.amdhsa_exception_fp_ieee_underflow 0
		.amdhsa_exception_fp_ieee_inexact 0
		.amdhsa_exception_int_div_zero 0
	.end_amdhsa_kernel
	.section	.text._ZN7rocprim17ROCPRIM_400000_NS6detail17trampoline_kernelINS0_14default_configENS1_25transform_config_selectorIlLb0EEEZNS1_14transform_implILb0ES3_S5_NS0_18transform_iteratorINS0_17counting_iteratorImlEEZNS1_24adjacent_difference_implIS3_Lb1ELb0EPlSB_N6thrust23THRUST_200600_302600_NS5minusIlEEEE10hipError_tPvRmT2_T3_mT4_P12ihipStream_tbEUlmE_lEESB_NS0_8identityIvEEEESG_SJ_SK_mSL_SN_bEUlT_E_NS1_11comp_targetILNS1_3genE2ELNS1_11target_archE906ELNS1_3gpuE6ELNS1_3repE0EEENS1_30default_config_static_selectorELNS0_4arch9wavefront6targetE1EEEvT1_,"axG",@progbits,_ZN7rocprim17ROCPRIM_400000_NS6detail17trampoline_kernelINS0_14default_configENS1_25transform_config_selectorIlLb0EEEZNS1_14transform_implILb0ES3_S5_NS0_18transform_iteratorINS0_17counting_iteratorImlEEZNS1_24adjacent_difference_implIS3_Lb1ELb0EPlSB_N6thrust23THRUST_200600_302600_NS5minusIlEEEE10hipError_tPvRmT2_T3_mT4_P12ihipStream_tbEUlmE_lEESB_NS0_8identityIvEEEESG_SJ_SK_mSL_SN_bEUlT_E_NS1_11comp_targetILNS1_3genE2ELNS1_11target_archE906ELNS1_3gpuE6ELNS1_3repE0EEENS1_30default_config_static_selectorELNS0_4arch9wavefront6targetE1EEEvT1_,comdat
.Lfunc_end249:
	.size	_ZN7rocprim17ROCPRIM_400000_NS6detail17trampoline_kernelINS0_14default_configENS1_25transform_config_selectorIlLb0EEEZNS1_14transform_implILb0ES3_S5_NS0_18transform_iteratorINS0_17counting_iteratorImlEEZNS1_24adjacent_difference_implIS3_Lb1ELb0EPlSB_N6thrust23THRUST_200600_302600_NS5minusIlEEEE10hipError_tPvRmT2_T3_mT4_P12ihipStream_tbEUlmE_lEESB_NS0_8identityIvEEEESG_SJ_SK_mSL_SN_bEUlT_E_NS1_11comp_targetILNS1_3genE2ELNS1_11target_archE906ELNS1_3gpuE6ELNS1_3repE0EEENS1_30default_config_static_selectorELNS0_4arch9wavefront6targetE1EEEvT1_, .Lfunc_end249-_ZN7rocprim17ROCPRIM_400000_NS6detail17trampoline_kernelINS0_14default_configENS1_25transform_config_selectorIlLb0EEEZNS1_14transform_implILb0ES3_S5_NS0_18transform_iteratorINS0_17counting_iteratorImlEEZNS1_24adjacent_difference_implIS3_Lb1ELb0EPlSB_N6thrust23THRUST_200600_302600_NS5minusIlEEEE10hipError_tPvRmT2_T3_mT4_P12ihipStream_tbEUlmE_lEESB_NS0_8identityIvEEEESG_SJ_SK_mSL_SN_bEUlT_E_NS1_11comp_targetILNS1_3genE2ELNS1_11target_archE906ELNS1_3gpuE6ELNS1_3repE0EEENS1_30default_config_static_selectorELNS0_4arch9wavefront6targetE1EEEvT1_
                                        ; -- End function
	.section	.AMDGPU.csdata,"",@progbits
; Kernel info:
; codeLenInByte = 0
; NumSgprs: 6
; NumVgprs: 0
; NumAgprs: 0
; TotalNumVgprs: 0
; ScratchSize: 0
; MemoryBound: 0
; FloatMode: 240
; IeeeMode: 1
; LDSByteSize: 0 bytes/workgroup (compile time only)
; SGPRBlocks: 0
; VGPRBlocks: 0
; NumSGPRsForWavesPerEU: 6
; NumVGPRsForWavesPerEU: 1
; AccumOffset: 4
; Occupancy: 8
; WaveLimiterHint : 0
; COMPUTE_PGM_RSRC2:SCRATCH_EN: 0
; COMPUTE_PGM_RSRC2:USER_SGPR: 2
; COMPUTE_PGM_RSRC2:TRAP_HANDLER: 0
; COMPUTE_PGM_RSRC2:TGID_X_EN: 1
; COMPUTE_PGM_RSRC2:TGID_Y_EN: 0
; COMPUTE_PGM_RSRC2:TGID_Z_EN: 0
; COMPUTE_PGM_RSRC2:TIDIG_COMP_CNT: 0
; COMPUTE_PGM_RSRC3_GFX90A:ACCUM_OFFSET: 0
; COMPUTE_PGM_RSRC3_GFX90A:TG_SPLIT: 0
	.section	.text._ZN7rocprim17ROCPRIM_400000_NS6detail17trampoline_kernelINS0_14default_configENS1_25transform_config_selectorIlLb0EEEZNS1_14transform_implILb0ES3_S5_NS0_18transform_iteratorINS0_17counting_iteratorImlEEZNS1_24adjacent_difference_implIS3_Lb1ELb0EPlSB_N6thrust23THRUST_200600_302600_NS5minusIlEEEE10hipError_tPvRmT2_T3_mT4_P12ihipStream_tbEUlmE_lEESB_NS0_8identityIvEEEESG_SJ_SK_mSL_SN_bEUlT_E_NS1_11comp_targetILNS1_3genE10ELNS1_11target_archE1201ELNS1_3gpuE5ELNS1_3repE0EEENS1_30default_config_static_selectorELNS0_4arch9wavefront6targetE1EEEvT1_,"axG",@progbits,_ZN7rocprim17ROCPRIM_400000_NS6detail17trampoline_kernelINS0_14default_configENS1_25transform_config_selectorIlLb0EEEZNS1_14transform_implILb0ES3_S5_NS0_18transform_iteratorINS0_17counting_iteratorImlEEZNS1_24adjacent_difference_implIS3_Lb1ELb0EPlSB_N6thrust23THRUST_200600_302600_NS5minusIlEEEE10hipError_tPvRmT2_T3_mT4_P12ihipStream_tbEUlmE_lEESB_NS0_8identityIvEEEESG_SJ_SK_mSL_SN_bEUlT_E_NS1_11comp_targetILNS1_3genE10ELNS1_11target_archE1201ELNS1_3gpuE5ELNS1_3repE0EEENS1_30default_config_static_selectorELNS0_4arch9wavefront6targetE1EEEvT1_,comdat
	.protected	_ZN7rocprim17ROCPRIM_400000_NS6detail17trampoline_kernelINS0_14default_configENS1_25transform_config_selectorIlLb0EEEZNS1_14transform_implILb0ES3_S5_NS0_18transform_iteratorINS0_17counting_iteratorImlEEZNS1_24adjacent_difference_implIS3_Lb1ELb0EPlSB_N6thrust23THRUST_200600_302600_NS5minusIlEEEE10hipError_tPvRmT2_T3_mT4_P12ihipStream_tbEUlmE_lEESB_NS0_8identityIvEEEESG_SJ_SK_mSL_SN_bEUlT_E_NS1_11comp_targetILNS1_3genE10ELNS1_11target_archE1201ELNS1_3gpuE5ELNS1_3repE0EEENS1_30default_config_static_selectorELNS0_4arch9wavefront6targetE1EEEvT1_ ; -- Begin function _ZN7rocprim17ROCPRIM_400000_NS6detail17trampoline_kernelINS0_14default_configENS1_25transform_config_selectorIlLb0EEEZNS1_14transform_implILb0ES3_S5_NS0_18transform_iteratorINS0_17counting_iteratorImlEEZNS1_24adjacent_difference_implIS3_Lb1ELb0EPlSB_N6thrust23THRUST_200600_302600_NS5minusIlEEEE10hipError_tPvRmT2_T3_mT4_P12ihipStream_tbEUlmE_lEESB_NS0_8identityIvEEEESG_SJ_SK_mSL_SN_bEUlT_E_NS1_11comp_targetILNS1_3genE10ELNS1_11target_archE1201ELNS1_3gpuE5ELNS1_3repE0EEENS1_30default_config_static_selectorELNS0_4arch9wavefront6targetE1EEEvT1_
	.globl	_ZN7rocprim17ROCPRIM_400000_NS6detail17trampoline_kernelINS0_14default_configENS1_25transform_config_selectorIlLb0EEEZNS1_14transform_implILb0ES3_S5_NS0_18transform_iteratorINS0_17counting_iteratorImlEEZNS1_24adjacent_difference_implIS3_Lb1ELb0EPlSB_N6thrust23THRUST_200600_302600_NS5minusIlEEEE10hipError_tPvRmT2_T3_mT4_P12ihipStream_tbEUlmE_lEESB_NS0_8identityIvEEEESG_SJ_SK_mSL_SN_bEUlT_E_NS1_11comp_targetILNS1_3genE10ELNS1_11target_archE1201ELNS1_3gpuE5ELNS1_3repE0EEENS1_30default_config_static_selectorELNS0_4arch9wavefront6targetE1EEEvT1_
	.p2align	8
	.type	_ZN7rocprim17ROCPRIM_400000_NS6detail17trampoline_kernelINS0_14default_configENS1_25transform_config_selectorIlLb0EEEZNS1_14transform_implILb0ES3_S5_NS0_18transform_iteratorINS0_17counting_iteratorImlEEZNS1_24adjacent_difference_implIS3_Lb1ELb0EPlSB_N6thrust23THRUST_200600_302600_NS5minusIlEEEE10hipError_tPvRmT2_T3_mT4_P12ihipStream_tbEUlmE_lEESB_NS0_8identityIvEEEESG_SJ_SK_mSL_SN_bEUlT_E_NS1_11comp_targetILNS1_3genE10ELNS1_11target_archE1201ELNS1_3gpuE5ELNS1_3repE0EEENS1_30default_config_static_selectorELNS0_4arch9wavefront6targetE1EEEvT1_,@function
_ZN7rocprim17ROCPRIM_400000_NS6detail17trampoline_kernelINS0_14default_configENS1_25transform_config_selectorIlLb0EEEZNS1_14transform_implILb0ES3_S5_NS0_18transform_iteratorINS0_17counting_iteratorImlEEZNS1_24adjacent_difference_implIS3_Lb1ELb0EPlSB_N6thrust23THRUST_200600_302600_NS5minusIlEEEE10hipError_tPvRmT2_T3_mT4_P12ihipStream_tbEUlmE_lEESB_NS0_8identityIvEEEESG_SJ_SK_mSL_SN_bEUlT_E_NS1_11comp_targetILNS1_3genE10ELNS1_11target_archE1201ELNS1_3gpuE5ELNS1_3repE0EEENS1_30default_config_static_selectorELNS0_4arch9wavefront6targetE1EEEvT1_: ; @_ZN7rocprim17ROCPRIM_400000_NS6detail17trampoline_kernelINS0_14default_configENS1_25transform_config_selectorIlLb0EEEZNS1_14transform_implILb0ES3_S5_NS0_18transform_iteratorINS0_17counting_iteratorImlEEZNS1_24adjacent_difference_implIS3_Lb1ELb0EPlSB_N6thrust23THRUST_200600_302600_NS5minusIlEEEE10hipError_tPvRmT2_T3_mT4_P12ihipStream_tbEUlmE_lEESB_NS0_8identityIvEEEESG_SJ_SK_mSL_SN_bEUlT_E_NS1_11comp_targetILNS1_3genE10ELNS1_11target_archE1201ELNS1_3gpuE5ELNS1_3repE0EEENS1_30default_config_static_selectorELNS0_4arch9wavefront6targetE1EEEvT1_
; %bb.0:
	.section	.rodata,"a",@progbits
	.p2align	6, 0x0
	.amdhsa_kernel _ZN7rocprim17ROCPRIM_400000_NS6detail17trampoline_kernelINS0_14default_configENS1_25transform_config_selectorIlLb0EEEZNS1_14transform_implILb0ES3_S5_NS0_18transform_iteratorINS0_17counting_iteratorImlEEZNS1_24adjacent_difference_implIS3_Lb1ELb0EPlSB_N6thrust23THRUST_200600_302600_NS5minusIlEEEE10hipError_tPvRmT2_T3_mT4_P12ihipStream_tbEUlmE_lEESB_NS0_8identityIvEEEESG_SJ_SK_mSL_SN_bEUlT_E_NS1_11comp_targetILNS1_3genE10ELNS1_11target_archE1201ELNS1_3gpuE5ELNS1_3repE0EEENS1_30default_config_static_selectorELNS0_4arch9wavefront6targetE1EEEvT1_
		.amdhsa_group_segment_fixed_size 0
		.amdhsa_private_segment_fixed_size 0
		.amdhsa_kernarg_size 56
		.amdhsa_user_sgpr_count 2
		.amdhsa_user_sgpr_dispatch_ptr 0
		.amdhsa_user_sgpr_queue_ptr 0
		.amdhsa_user_sgpr_kernarg_segment_ptr 1
		.amdhsa_user_sgpr_dispatch_id 0
		.amdhsa_user_sgpr_kernarg_preload_length 0
		.amdhsa_user_sgpr_kernarg_preload_offset 0
		.amdhsa_user_sgpr_private_segment_size 0
		.amdhsa_uses_dynamic_stack 0
		.amdhsa_enable_private_segment 0
		.amdhsa_system_sgpr_workgroup_id_x 1
		.amdhsa_system_sgpr_workgroup_id_y 0
		.amdhsa_system_sgpr_workgroup_id_z 0
		.amdhsa_system_sgpr_workgroup_info 0
		.amdhsa_system_vgpr_workitem_id 0
		.amdhsa_next_free_vgpr 1
		.amdhsa_next_free_sgpr 0
		.amdhsa_accum_offset 4
		.amdhsa_reserve_vcc 0
		.amdhsa_float_round_mode_32 0
		.amdhsa_float_round_mode_16_64 0
		.amdhsa_float_denorm_mode_32 3
		.amdhsa_float_denorm_mode_16_64 3
		.amdhsa_dx10_clamp 1
		.amdhsa_ieee_mode 1
		.amdhsa_fp16_overflow 0
		.amdhsa_tg_split 0
		.amdhsa_exception_fp_ieee_invalid_op 0
		.amdhsa_exception_fp_denorm_src 0
		.amdhsa_exception_fp_ieee_div_zero 0
		.amdhsa_exception_fp_ieee_overflow 0
		.amdhsa_exception_fp_ieee_underflow 0
		.amdhsa_exception_fp_ieee_inexact 0
		.amdhsa_exception_int_div_zero 0
	.end_amdhsa_kernel
	.section	.text._ZN7rocprim17ROCPRIM_400000_NS6detail17trampoline_kernelINS0_14default_configENS1_25transform_config_selectorIlLb0EEEZNS1_14transform_implILb0ES3_S5_NS0_18transform_iteratorINS0_17counting_iteratorImlEEZNS1_24adjacent_difference_implIS3_Lb1ELb0EPlSB_N6thrust23THRUST_200600_302600_NS5minusIlEEEE10hipError_tPvRmT2_T3_mT4_P12ihipStream_tbEUlmE_lEESB_NS0_8identityIvEEEESG_SJ_SK_mSL_SN_bEUlT_E_NS1_11comp_targetILNS1_3genE10ELNS1_11target_archE1201ELNS1_3gpuE5ELNS1_3repE0EEENS1_30default_config_static_selectorELNS0_4arch9wavefront6targetE1EEEvT1_,"axG",@progbits,_ZN7rocprim17ROCPRIM_400000_NS6detail17trampoline_kernelINS0_14default_configENS1_25transform_config_selectorIlLb0EEEZNS1_14transform_implILb0ES3_S5_NS0_18transform_iteratorINS0_17counting_iteratorImlEEZNS1_24adjacent_difference_implIS3_Lb1ELb0EPlSB_N6thrust23THRUST_200600_302600_NS5minusIlEEEE10hipError_tPvRmT2_T3_mT4_P12ihipStream_tbEUlmE_lEESB_NS0_8identityIvEEEESG_SJ_SK_mSL_SN_bEUlT_E_NS1_11comp_targetILNS1_3genE10ELNS1_11target_archE1201ELNS1_3gpuE5ELNS1_3repE0EEENS1_30default_config_static_selectorELNS0_4arch9wavefront6targetE1EEEvT1_,comdat
.Lfunc_end250:
	.size	_ZN7rocprim17ROCPRIM_400000_NS6detail17trampoline_kernelINS0_14default_configENS1_25transform_config_selectorIlLb0EEEZNS1_14transform_implILb0ES3_S5_NS0_18transform_iteratorINS0_17counting_iteratorImlEEZNS1_24adjacent_difference_implIS3_Lb1ELb0EPlSB_N6thrust23THRUST_200600_302600_NS5minusIlEEEE10hipError_tPvRmT2_T3_mT4_P12ihipStream_tbEUlmE_lEESB_NS0_8identityIvEEEESG_SJ_SK_mSL_SN_bEUlT_E_NS1_11comp_targetILNS1_3genE10ELNS1_11target_archE1201ELNS1_3gpuE5ELNS1_3repE0EEENS1_30default_config_static_selectorELNS0_4arch9wavefront6targetE1EEEvT1_, .Lfunc_end250-_ZN7rocprim17ROCPRIM_400000_NS6detail17trampoline_kernelINS0_14default_configENS1_25transform_config_selectorIlLb0EEEZNS1_14transform_implILb0ES3_S5_NS0_18transform_iteratorINS0_17counting_iteratorImlEEZNS1_24adjacent_difference_implIS3_Lb1ELb0EPlSB_N6thrust23THRUST_200600_302600_NS5minusIlEEEE10hipError_tPvRmT2_T3_mT4_P12ihipStream_tbEUlmE_lEESB_NS0_8identityIvEEEESG_SJ_SK_mSL_SN_bEUlT_E_NS1_11comp_targetILNS1_3genE10ELNS1_11target_archE1201ELNS1_3gpuE5ELNS1_3repE0EEENS1_30default_config_static_selectorELNS0_4arch9wavefront6targetE1EEEvT1_
                                        ; -- End function
	.section	.AMDGPU.csdata,"",@progbits
; Kernel info:
; codeLenInByte = 0
; NumSgprs: 6
; NumVgprs: 0
; NumAgprs: 0
; TotalNumVgprs: 0
; ScratchSize: 0
; MemoryBound: 0
; FloatMode: 240
; IeeeMode: 1
; LDSByteSize: 0 bytes/workgroup (compile time only)
; SGPRBlocks: 0
; VGPRBlocks: 0
; NumSGPRsForWavesPerEU: 6
; NumVGPRsForWavesPerEU: 1
; AccumOffset: 4
; Occupancy: 8
; WaveLimiterHint : 0
; COMPUTE_PGM_RSRC2:SCRATCH_EN: 0
; COMPUTE_PGM_RSRC2:USER_SGPR: 2
; COMPUTE_PGM_RSRC2:TRAP_HANDLER: 0
; COMPUTE_PGM_RSRC2:TGID_X_EN: 1
; COMPUTE_PGM_RSRC2:TGID_Y_EN: 0
; COMPUTE_PGM_RSRC2:TGID_Z_EN: 0
; COMPUTE_PGM_RSRC2:TIDIG_COMP_CNT: 0
; COMPUTE_PGM_RSRC3_GFX90A:ACCUM_OFFSET: 0
; COMPUTE_PGM_RSRC3_GFX90A:TG_SPLIT: 0
	.section	.text._ZN7rocprim17ROCPRIM_400000_NS6detail17trampoline_kernelINS0_14default_configENS1_25transform_config_selectorIlLb0EEEZNS1_14transform_implILb0ES3_S5_NS0_18transform_iteratorINS0_17counting_iteratorImlEEZNS1_24adjacent_difference_implIS3_Lb1ELb0EPlSB_N6thrust23THRUST_200600_302600_NS5minusIlEEEE10hipError_tPvRmT2_T3_mT4_P12ihipStream_tbEUlmE_lEESB_NS0_8identityIvEEEESG_SJ_SK_mSL_SN_bEUlT_E_NS1_11comp_targetILNS1_3genE10ELNS1_11target_archE1200ELNS1_3gpuE4ELNS1_3repE0EEENS1_30default_config_static_selectorELNS0_4arch9wavefront6targetE1EEEvT1_,"axG",@progbits,_ZN7rocprim17ROCPRIM_400000_NS6detail17trampoline_kernelINS0_14default_configENS1_25transform_config_selectorIlLb0EEEZNS1_14transform_implILb0ES3_S5_NS0_18transform_iteratorINS0_17counting_iteratorImlEEZNS1_24adjacent_difference_implIS3_Lb1ELb0EPlSB_N6thrust23THRUST_200600_302600_NS5minusIlEEEE10hipError_tPvRmT2_T3_mT4_P12ihipStream_tbEUlmE_lEESB_NS0_8identityIvEEEESG_SJ_SK_mSL_SN_bEUlT_E_NS1_11comp_targetILNS1_3genE10ELNS1_11target_archE1200ELNS1_3gpuE4ELNS1_3repE0EEENS1_30default_config_static_selectorELNS0_4arch9wavefront6targetE1EEEvT1_,comdat
	.protected	_ZN7rocprim17ROCPRIM_400000_NS6detail17trampoline_kernelINS0_14default_configENS1_25transform_config_selectorIlLb0EEEZNS1_14transform_implILb0ES3_S5_NS0_18transform_iteratorINS0_17counting_iteratorImlEEZNS1_24adjacent_difference_implIS3_Lb1ELb0EPlSB_N6thrust23THRUST_200600_302600_NS5minusIlEEEE10hipError_tPvRmT2_T3_mT4_P12ihipStream_tbEUlmE_lEESB_NS0_8identityIvEEEESG_SJ_SK_mSL_SN_bEUlT_E_NS1_11comp_targetILNS1_3genE10ELNS1_11target_archE1200ELNS1_3gpuE4ELNS1_3repE0EEENS1_30default_config_static_selectorELNS0_4arch9wavefront6targetE1EEEvT1_ ; -- Begin function _ZN7rocprim17ROCPRIM_400000_NS6detail17trampoline_kernelINS0_14default_configENS1_25transform_config_selectorIlLb0EEEZNS1_14transform_implILb0ES3_S5_NS0_18transform_iteratorINS0_17counting_iteratorImlEEZNS1_24adjacent_difference_implIS3_Lb1ELb0EPlSB_N6thrust23THRUST_200600_302600_NS5minusIlEEEE10hipError_tPvRmT2_T3_mT4_P12ihipStream_tbEUlmE_lEESB_NS0_8identityIvEEEESG_SJ_SK_mSL_SN_bEUlT_E_NS1_11comp_targetILNS1_3genE10ELNS1_11target_archE1200ELNS1_3gpuE4ELNS1_3repE0EEENS1_30default_config_static_selectorELNS0_4arch9wavefront6targetE1EEEvT1_
	.globl	_ZN7rocprim17ROCPRIM_400000_NS6detail17trampoline_kernelINS0_14default_configENS1_25transform_config_selectorIlLb0EEEZNS1_14transform_implILb0ES3_S5_NS0_18transform_iteratorINS0_17counting_iteratorImlEEZNS1_24adjacent_difference_implIS3_Lb1ELb0EPlSB_N6thrust23THRUST_200600_302600_NS5minusIlEEEE10hipError_tPvRmT2_T3_mT4_P12ihipStream_tbEUlmE_lEESB_NS0_8identityIvEEEESG_SJ_SK_mSL_SN_bEUlT_E_NS1_11comp_targetILNS1_3genE10ELNS1_11target_archE1200ELNS1_3gpuE4ELNS1_3repE0EEENS1_30default_config_static_selectorELNS0_4arch9wavefront6targetE1EEEvT1_
	.p2align	8
	.type	_ZN7rocprim17ROCPRIM_400000_NS6detail17trampoline_kernelINS0_14default_configENS1_25transform_config_selectorIlLb0EEEZNS1_14transform_implILb0ES3_S5_NS0_18transform_iteratorINS0_17counting_iteratorImlEEZNS1_24adjacent_difference_implIS3_Lb1ELb0EPlSB_N6thrust23THRUST_200600_302600_NS5minusIlEEEE10hipError_tPvRmT2_T3_mT4_P12ihipStream_tbEUlmE_lEESB_NS0_8identityIvEEEESG_SJ_SK_mSL_SN_bEUlT_E_NS1_11comp_targetILNS1_3genE10ELNS1_11target_archE1200ELNS1_3gpuE4ELNS1_3repE0EEENS1_30default_config_static_selectorELNS0_4arch9wavefront6targetE1EEEvT1_,@function
_ZN7rocprim17ROCPRIM_400000_NS6detail17trampoline_kernelINS0_14default_configENS1_25transform_config_selectorIlLb0EEEZNS1_14transform_implILb0ES3_S5_NS0_18transform_iteratorINS0_17counting_iteratorImlEEZNS1_24adjacent_difference_implIS3_Lb1ELb0EPlSB_N6thrust23THRUST_200600_302600_NS5minusIlEEEE10hipError_tPvRmT2_T3_mT4_P12ihipStream_tbEUlmE_lEESB_NS0_8identityIvEEEESG_SJ_SK_mSL_SN_bEUlT_E_NS1_11comp_targetILNS1_3genE10ELNS1_11target_archE1200ELNS1_3gpuE4ELNS1_3repE0EEENS1_30default_config_static_selectorELNS0_4arch9wavefront6targetE1EEEvT1_: ; @_ZN7rocprim17ROCPRIM_400000_NS6detail17trampoline_kernelINS0_14default_configENS1_25transform_config_selectorIlLb0EEEZNS1_14transform_implILb0ES3_S5_NS0_18transform_iteratorINS0_17counting_iteratorImlEEZNS1_24adjacent_difference_implIS3_Lb1ELb0EPlSB_N6thrust23THRUST_200600_302600_NS5minusIlEEEE10hipError_tPvRmT2_T3_mT4_P12ihipStream_tbEUlmE_lEESB_NS0_8identityIvEEEESG_SJ_SK_mSL_SN_bEUlT_E_NS1_11comp_targetILNS1_3genE10ELNS1_11target_archE1200ELNS1_3gpuE4ELNS1_3repE0EEENS1_30default_config_static_selectorELNS0_4arch9wavefront6targetE1EEEvT1_
; %bb.0:
	.section	.rodata,"a",@progbits
	.p2align	6, 0x0
	.amdhsa_kernel _ZN7rocprim17ROCPRIM_400000_NS6detail17trampoline_kernelINS0_14default_configENS1_25transform_config_selectorIlLb0EEEZNS1_14transform_implILb0ES3_S5_NS0_18transform_iteratorINS0_17counting_iteratorImlEEZNS1_24adjacent_difference_implIS3_Lb1ELb0EPlSB_N6thrust23THRUST_200600_302600_NS5minusIlEEEE10hipError_tPvRmT2_T3_mT4_P12ihipStream_tbEUlmE_lEESB_NS0_8identityIvEEEESG_SJ_SK_mSL_SN_bEUlT_E_NS1_11comp_targetILNS1_3genE10ELNS1_11target_archE1200ELNS1_3gpuE4ELNS1_3repE0EEENS1_30default_config_static_selectorELNS0_4arch9wavefront6targetE1EEEvT1_
		.amdhsa_group_segment_fixed_size 0
		.amdhsa_private_segment_fixed_size 0
		.amdhsa_kernarg_size 56
		.amdhsa_user_sgpr_count 2
		.amdhsa_user_sgpr_dispatch_ptr 0
		.amdhsa_user_sgpr_queue_ptr 0
		.amdhsa_user_sgpr_kernarg_segment_ptr 1
		.amdhsa_user_sgpr_dispatch_id 0
		.amdhsa_user_sgpr_kernarg_preload_length 0
		.amdhsa_user_sgpr_kernarg_preload_offset 0
		.amdhsa_user_sgpr_private_segment_size 0
		.amdhsa_uses_dynamic_stack 0
		.amdhsa_enable_private_segment 0
		.amdhsa_system_sgpr_workgroup_id_x 1
		.amdhsa_system_sgpr_workgroup_id_y 0
		.amdhsa_system_sgpr_workgroup_id_z 0
		.amdhsa_system_sgpr_workgroup_info 0
		.amdhsa_system_vgpr_workitem_id 0
		.amdhsa_next_free_vgpr 1
		.amdhsa_next_free_sgpr 0
		.amdhsa_accum_offset 4
		.amdhsa_reserve_vcc 0
		.amdhsa_float_round_mode_32 0
		.amdhsa_float_round_mode_16_64 0
		.amdhsa_float_denorm_mode_32 3
		.amdhsa_float_denorm_mode_16_64 3
		.amdhsa_dx10_clamp 1
		.amdhsa_ieee_mode 1
		.amdhsa_fp16_overflow 0
		.amdhsa_tg_split 0
		.amdhsa_exception_fp_ieee_invalid_op 0
		.amdhsa_exception_fp_denorm_src 0
		.amdhsa_exception_fp_ieee_div_zero 0
		.amdhsa_exception_fp_ieee_overflow 0
		.amdhsa_exception_fp_ieee_underflow 0
		.amdhsa_exception_fp_ieee_inexact 0
		.amdhsa_exception_int_div_zero 0
	.end_amdhsa_kernel
	.section	.text._ZN7rocprim17ROCPRIM_400000_NS6detail17trampoline_kernelINS0_14default_configENS1_25transform_config_selectorIlLb0EEEZNS1_14transform_implILb0ES3_S5_NS0_18transform_iteratorINS0_17counting_iteratorImlEEZNS1_24adjacent_difference_implIS3_Lb1ELb0EPlSB_N6thrust23THRUST_200600_302600_NS5minusIlEEEE10hipError_tPvRmT2_T3_mT4_P12ihipStream_tbEUlmE_lEESB_NS0_8identityIvEEEESG_SJ_SK_mSL_SN_bEUlT_E_NS1_11comp_targetILNS1_3genE10ELNS1_11target_archE1200ELNS1_3gpuE4ELNS1_3repE0EEENS1_30default_config_static_selectorELNS0_4arch9wavefront6targetE1EEEvT1_,"axG",@progbits,_ZN7rocprim17ROCPRIM_400000_NS6detail17trampoline_kernelINS0_14default_configENS1_25transform_config_selectorIlLb0EEEZNS1_14transform_implILb0ES3_S5_NS0_18transform_iteratorINS0_17counting_iteratorImlEEZNS1_24adjacent_difference_implIS3_Lb1ELb0EPlSB_N6thrust23THRUST_200600_302600_NS5minusIlEEEE10hipError_tPvRmT2_T3_mT4_P12ihipStream_tbEUlmE_lEESB_NS0_8identityIvEEEESG_SJ_SK_mSL_SN_bEUlT_E_NS1_11comp_targetILNS1_3genE10ELNS1_11target_archE1200ELNS1_3gpuE4ELNS1_3repE0EEENS1_30default_config_static_selectorELNS0_4arch9wavefront6targetE1EEEvT1_,comdat
.Lfunc_end251:
	.size	_ZN7rocprim17ROCPRIM_400000_NS6detail17trampoline_kernelINS0_14default_configENS1_25transform_config_selectorIlLb0EEEZNS1_14transform_implILb0ES3_S5_NS0_18transform_iteratorINS0_17counting_iteratorImlEEZNS1_24adjacent_difference_implIS3_Lb1ELb0EPlSB_N6thrust23THRUST_200600_302600_NS5minusIlEEEE10hipError_tPvRmT2_T3_mT4_P12ihipStream_tbEUlmE_lEESB_NS0_8identityIvEEEESG_SJ_SK_mSL_SN_bEUlT_E_NS1_11comp_targetILNS1_3genE10ELNS1_11target_archE1200ELNS1_3gpuE4ELNS1_3repE0EEENS1_30default_config_static_selectorELNS0_4arch9wavefront6targetE1EEEvT1_, .Lfunc_end251-_ZN7rocprim17ROCPRIM_400000_NS6detail17trampoline_kernelINS0_14default_configENS1_25transform_config_selectorIlLb0EEEZNS1_14transform_implILb0ES3_S5_NS0_18transform_iteratorINS0_17counting_iteratorImlEEZNS1_24adjacent_difference_implIS3_Lb1ELb0EPlSB_N6thrust23THRUST_200600_302600_NS5minusIlEEEE10hipError_tPvRmT2_T3_mT4_P12ihipStream_tbEUlmE_lEESB_NS0_8identityIvEEEESG_SJ_SK_mSL_SN_bEUlT_E_NS1_11comp_targetILNS1_3genE10ELNS1_11target_archE1200ELNS1_3gpuE4ELNS1_3repE0EEENS1_30default_config_static_selectorELNS0_4arch9wavefront6targetE1EEEvT1_
                                        ; -- End function
	.section	.AMDGPU.csdata,"",@progbits
; Kernel info:
; codeLenInByte = 0
; NumSgprs: 6
; NumVgprs: 0
; NumAgprs: 0
; TotalNumVgprs: 0
; ScratchSize: 0
; MemoryBound: 0
; FloatMode: 240
; IeeeMode: 1
; LDSByteSize: 0 bytes/workgroup (compile time only)
; SGPRBlocks: 0
; VGPRBlocks: 0
; NumSGPRsForWavesPerEU: 6
; NumVGPRsForWavesPerEU: 1
; AccumOffset: 4
; Occupancy: 8
; WaveLimiterHint : 0
; COMPUTE_PGM_RSRC2:SCRATCH_EN: 0
; COMPUTE_PGM_RSRC2:USER_SGPR: 2
; COMPUTE_PGM_RSRC2:TRAP_HANDLER: 0
; COMPUTE_PGM_RSRC2:TGID_X_EN: 1
; COMPUTE_PGM_RSRC2:TGID_Y_EN: 0
; COMPUTE_PGM_RSRC2:TGID_Z_EN: 0
; COMPUTE_PGM_RSRC2:TIDIG_COMP_CNT: 0
; COMPUTE_PGM_RSRC3_GFX90A:ACCUM_OFFSET: 0
; COMPUTE_PGM_RSRC3_GFX90A:TG_SPLIT: 0
	.section	.text._ZN7rocprim17ROCPRIM_400000_NS6detail17trampoline_kernelINS0_14default_configENS1_25transform_config_selectorIlLb0EEEZNS1_14transform_implILb0ES3_S5_NS0_18transform_iteratorINS0_17counting_iteratorImlEEZNS1_24adjacent_difference_implIS3_Lb1ELb0EPlSB_N6thrust23THRUST_200600_302600_NS5minusIlEEEE10hipError_tPvRmT2_T3_mT4_P12ihipStream_tbEUlmE_lEESB_NS0_8identityIvEEEESG_SJ_SK_mSL_SN_bEUlT_E_NS1_11comp_targetILNS1_3genE9ELNS1_11target_archE1100ELNS1_3gpuE3ELNS1_3repE0EEENS1_30default_config_static_selectorELNS0_4arch9wavefront6targetE1EEEvT1_,"axG",@progbits,_ZN7rocprim17ROCPRIM_400000_NS6detail17trampoline_kernelINS0_14default_configENS1_25transform_config_selectorIlLb0EEEZNS1_14transform_implILb0ES3_S5_NS0_18transform_iteratorINS0_17counting_iteratorImlEEZNS1_24adjacent_difference_implIS3_Lb1ELb0EPlSB_N6thrust23THRUST_200600_302600_NS5minusIlEEEE10hipError_tPvRmT2_T3_mT4_P12ihipStream_tbEUlmE_lEESB_NS0_8identityIvEEEESG_SJ_SK_mSL_SN_bEUlT_E_NS1_11comp_targetILNS1_3genE9ELNS1_11target_archE1100ELNS1_3gpuE3ELNS1_3repE0EEENS1_30default_config_static_selectorELNS0_4arch9wavefront6targetE1EEEvT1_,comdat
	.protected	_ZN7rocprim17ROCPRIM_400000_NS6detail17trampoline_kernelINS0_14default_configENS1_25transform_config_selectorIlLb0EEEZNS1_14transform_implILb0ES3_S5_NS0_18transform_iteratorINS0_17counting_iteratorImlEEZNS1_24adjacent_difference_implIS3_Lb1ELb0EPlSB_N6thrust23THRUST_200600_302600_NS5minusIlEEEE10hipError_tPvRmT2_T3_mT4_P12ihipStream_tbEUlmE_lEESB_NS0_8identityIvEEEESG_SJ_SK_mSL_SN_bEUlT_E_NS1_11comp_targetILNS1_3genE9ELNS1_11target_archE1100ELNS1_3gpuE3ELNS1_3repE0EEENS1_30default_config_static_selectorELNS0_4arch9wavefront6targetE1EEEvT1_ ; -- Begin function _ZN7rocprim17ROCPRIM_400000_NS6detail17trampoline_kernelINS0_14default_configENS1_25transform_config_selectorIlLb0EEEZNS1_14transform_implILb0ES3_S5_NS0_18transform_iteratorINS0_17counting_iteratorImlEEZNS1_24adjacent_difference_implIS3_Lb1ELb0EPlSB_N6thrust23THRUST_200600_302600_NS5minusIlEEEE10hipError_tPvRmT2_T3_mT4_P12ihipStream_tbEUlmE_lEESB_NS0_8identityIvEEEESG_SJ_SK_mSL_SN_bEUlT_E_NS1_11comp_targetILNS1_3genE9ELNS1_11target_archE1100ELNS1_3gpuE3ELNS1_3repE0EEENS1_30default_config_static_selectorELNS0_4arch9wavefront6targetE1EEEvT1_
	.globl	_ZN7rocprim17ROCPRIM_400000_NS6detail17trampoline_kernelINS0_14default_configENS1_25transform_config_selectorIlLb0EEEZNS1_14transform_implILb0ES3_S5_NS0_18transform_iteratorINS0_17counting_iteratorImlEEZNS1_24adjacent_difference_implIS3_Lb1ELb0EPlSB_N6thrust23THRUST_200600_302600_NS5minusIlEEEE10hipError_tPvRmT2_T3_mT4_P12ihipStream_tbEUlmE_lEESB_NS0_8identityIvEEEESG_SJ_SK_mSL_SN_bEUlT_E_NS1_11comp_targetILNS1_3genE9ELNS1_11target_archE1100ELNS1_3gpuE3ELNS1_3repE0EEENS1_30default_config_static_selectorELNS0_4arch9wavefront6targetE1EEEvT1_
	.p2align	8
	.type	_ZN7rocprim17ROCPRIM_400000_NS6detail17trampoline_kernelINS0_14default_configENS1_25transform_config_selectorIlLb0EEEZNS1_14transform_implILb0ES3_S5_NS0_18transform_iteratorINS0_17counting_iteratorImlEEZNS1_24adjacent_difference_implIS3_Lb1ELb0EPlSB_N6thrust23THRUST_200600_302600_NS5minusIlEEEE10hipError_tPvRmT2_T3_mT4_P12ihipStream_tbEUlmE_lEESB_NS0_8identityIvEEEESG_SJ_SK_mSL_SN_bEUlT_E_NS1_11comp_targetILNS1_3genE9ELNS1_11target_archE1100ELNS1_3gpuE3ELNS1_3repE0EEENS1_30default_config_static_selectorELNS0_4arch9wavefront6targetE1EEEvT1_,@function
_ZN7rocprim17ROCPRIM_400000_NS6detail17trampoline_kernelINS0_14default_configENS1_25transform_config_selectorIlLb0EEEZNS1_14transform_implILb0ES3_S5_NS0_18transform_iteratorINS0_17counting_iteratorImlEEZNS1_24adjacent_difference_implIS3_Lb1ELb0EPlSB_N6thrust23THRUST_200600_302600_NS5minusIlEEEE10hipError_tPvRmT2_T3_mT4_P12ihipStream_tbEUlmE_lEESB_NS0_8identityIvEEEESG_SJ_SK_mSL_SN_bEUlT_E_NS1_11comp_targetILNS1_3genE9ELNS1_11target_archE1100ELNS1_3gpuE3ELNS1_3repE0EEENS1_30default_config_static_selectorELNS0_4arch9wavefront6targetE1EEEvT1_: ; @_ZN7rocprim17ROCPRIM_400000_NS6detail17trampoline_kernelINS0_14default_configENS1_25transform_config_selectorIlLb0EEEZNS1_14transform_implILb0ES3_S5_NS0_18transform_iteratorINS0_17counting_iteratorImlEEZNS1_24adjacent_difference_implIS3_Lb1ELb0EPlSB_N6thrust23THRUST_200600_302600_NS5minusIlEEEE10hipError_tPvRmT2_T3_mT4_P12ihipStream_tbEUlmE_lEESB_NS0_8identityIvEEEESG_SJ_SK_mSL_SN_bEUlT_E_NS1_11comp_targetILNS1_3genE9ELNS1_11target_archE1100ELNS1_3gpuE3ELNS1_3repE0EEENS1_30default_config_static_selectorELNS0_4arch9wavefront6targetE1EEEvT1_
; %bb.0:
	.section	.rodata,"a",@progbits
	.p2align	6, 0x0
	.amdhsa_kernel _ZN7rocprim17ROCPRIM_400000_NS6detail17trampoline_kernelINS0_14default_configENS1_25transform_config_selectorIlLb0EEEZNS1_14transform_implILb0ES3_S5_NS0_18transform_iteratorINS0_17counting_iteratorImlEEZNS1_24adjacent_difference_implIS3_Lb1ELb0EPlSB_N6thrust23THRUST_200600_302600_NS5minusIlEEEE10hipError_tPvRmT2_T3_mT4_P12ihipStream_tbEUlmE_lEESB_NS0_8identityIvEEEESG_SJ_SK_mSL_SN_bEUlT_E_NS1_11comp_targetILNS1_3genE9ELNS1_11target_archE1100ELNS1_3gpuE3ELNS1_3repE0EEENS1_30default_config_static_selectorELNS0_4arch9wavefront6targetE1EEEvT1_
		.amdhsa_group_segment_fixed_size 0
		.amdhsa_private_segment_fixed_size 0
		.amdhsa_kernarg_size 56
		.amdhsa_user_sgpr_count 2
		.amdhsa_user_sgpr_dispatch_ptr 0
		.amdhsa_user_sgpr_queue_ptr 0
		.amdhsa_user_sgpr_kernarg_segment_ptr 1
		.amdhsa_user_sgpr_dispatch_id 0
		.amdhsa_user_sgpr_kernarg_preload_length 0
		.amdhsa_user_sgpr_kernarg_preload_offset 0
		.amdhsa_user_sgpr_private_segment_size 0
		.amdhsa_uses_dynamic_stack 0
		.amdhsa_enable_private_segment 0
		.amdhsa_system_sgpr_workgroup_id_x 1
		.amdhsa_system_sgpr_workgroup_id_y 0
		.amdhsa_system_sgpr_workgroup_id_z 0
		.amdhsa_system_sgpr_workgroup_info 0
		.amdhsa_system_vgpr_workitem_id 0
		.amdhsa_next_free_vgpr 1
		.amdhsa_next_free_sgpr 0
		.amdhsa_accum_offset 4
		.amdhsa_reserve_vcc 0
		.amdhsa_float_round_mode_32 0
		.amdhsa_float_round_mode_16_64 0
		.amdhsa_float_denorm_mode_32 3
		.amdhsa_float_denorm_mode_16_64 3
		.amdhsa_dx10_clamp 1
		.amdhsa_ieee_mode 1
		.amdhsa_fp16_overflow 0
		.amdhsa_tg_split 0
		.amdhsa_exception_fp_ieee_invalid_op 0
		.amdhsa_exception_fp_denorm_src 0
		.amdhsa_exception_fp_ieee_div_zero 0
		.amdhsa_exception_fp_ieee_overflow 0
		.amdhsa_exception_fp_ieee_underflow 0
		.amdhsa_exception_fp_ieee_inexact 0
		.amdhsa_exception_int_div_zero 0
	.end_amdhsa_kernel
	.section	.text._ZN7rocprim17ROCPRIM_400000_NS6detail17trampoline_kernelINS0_14default_configENS1_25transform_config_selectorIlLb0EEEZNS1_14transform_implILb0ES3_S5_NS0_18transform_iteratorINS0_17counting_iteratorImlEEZNS1_24adjacent_difference_implIS3_Lb1ELb0EPlSB_N6thrust23THRUST_200600_302600_NS5minusIlEEEE10hipError_tPvRmT2_T3_mT4_P12ihipStream_tbEUlmE_lEESB_NS0_8identityIvEEEESG_SJ_SK_mSL_SN_bEUlT_E_NS1_11comp_targetILNS1_3genE9ELNS1_11target_archE1100ELNS1_3gpuE3ELNS1_3repE0EEENS1_30default_config_static_selectorELNS0_4arch9wavefront6targetE1EEEvT1_,"axG",@progbits,_ZN7rocprim17ROCPRIM_400000_NS6detail17trampoline_kernelINS0_14default_configENS1_25transform_config_selectorIlLb0EEEZNS1_14transform_implILb0ES3_S5_NS0_18transform_iteratorINS0_17counting_iteratorImlEEZNS1_24adjacent_difference_implIS3_Lb1ELb0EPlSB_N6thrust23THRUST_200600_302600_NS5minusIlEEEE10hipError_tPvRmT2_T3_mT4_P12ihipStream_tbEUlmE_lEESB_NS0_8identityIvEEEESG_SJ_SK_mSL_SN_bEUlT_E_NS1_11comp_targetILNS1_3genE9ELNS1_11target_archE1100ELNS1_3gpuE3ELNS1_3repE0EEENS1_30default_config_static_selectorELNS0_4arch9wavefront6targetE1EEEvT1_,comdat
.Lfunc_end252:
	.size	_ZN7rocprim17ROCPRIM_400000_NS6detail17trampoline_kernelINS0_14default_configENS1_25transform_config_selectorIlLb0EEEZNS1_14transform_implILb0ES3_S5_NS0_18transform_iteratorINS0_17counting_iteratorImlEEZNS1_24adjacent_difference_implIS3_Lb1ELb0EPlSB_N6thrust23THRUST_200600_302600_NS5minusIlEEEE10hipError_tPvRmT2_T3_mT4_P12ihipStream_tbEUlmE_lEESB_NS0_8identityIvEEEESG_SJ_SK_mSL_SN_bEUlT_E_NS1_11comp_targetILNS1_3genE9ELNS1_11target_archE1100ELNS1_3gpuE3ELNS1_3repE0EEENS1_30default_config_static_selectorELNS0_4arch9wavefront6targetE1EEEvT1_, .Lfunc_end252-_ZN7rocprim17ROCPRIM_400000_NS6detail17trampoline_kernelINS0_14default_configENS1_25transform_config_selectorIlLb0EEEZNS1_14transform_implILb0ES3_S5_NS0_18transform_iteratorINS0_17counting_iteratorImlEEZNS1_24adjacent_difference_implIS3_Lb1ELb0EPlSB_N6thrust23THRUST_200600_302600_NS5minusIlEEEE10hipError_tPvRmT2_T3_mT4_P12ihipStream_tbEUlmE_lEESB_NS0_8identityIvEEEESG_SJ_SK_mSL_SN_bEUlT_E_NS1_11comp_targetILNS1_3genE9ELNS1_11target_archE1100ELNS1_3gpuE3ELNS1_3repE0EEENS1_30default_config_static_selectorELNS0_4arch9wavefront6targetE1EEEvT1_
                                        ; -- End function
	.section	.AMDGPU.csdata,"",@progbits
; Kernel info:
; codeLenInByte = 0
; NumSgprs: 6
; NumVgprs: 0
; NumAgprs: 0
; TotalNumVgprs: 0
; ScratchSize: 0
; MemoryBound: 0
; FloatMode: 240
; IeeeMode: 1
; LDSByteSize: 0 bytes/workgroup (compile time only)
; SGPRBlocks: 0
; VGPRBlocks: 0
; NumSGPRsForWavesPerEU: 6
; NumVGPRsForWavesPerEU: 1
; AccumOffset: 4
; Occupancy: 8
; WaveLimiterHint : 0
; COMPUTE_PGM_RSRC2:SCRATCH_EN: 0
; COMPUTE_PGM_RSRC2:USER_SGPR: 2
; COMPUTE_PGM_RSRC2:TRAP_HANDLER: 0
; COMPUTE_PGM_RSRC2:TGID_X_EN: 1
; COMPUTE_PGM_RSRC2:TGID_Y_EN: 0
; COMPUTE_PGM_RSRC2:TGID_Z_EN: 0
; COMPUTE_PGM_RSRC2:TIDIG_COMP_CNT: 0
; COMPUTE_PGM_RSRC3_GFX90A:ACCUM_OFFSET: 0
; COMPUTE_PGM_RSRC3_GFX90A:TG_SPLIT: 0
	.section	.text._ZN7rocprim17ROCPRIM_400000_NS6detail17trampoline_kernelINS0_14default_configENS1_25transform_config_selectorIlLb0EEEZNS1_14transform_implILb0ES3_S5_NS0_18transform_iteratorINS0_17counting_iteratorImlEEZNS1_24adjacent_difference_implIS3_Lb1ELb0EPlSB_N6thrust23THRUST_200600_302600_NS5minusIlEEEE10hipError_tPvRmT2_T3_mT4_P12ihipStream_tbEUlmE_lEESB_NS0_8identityIvEEEESG_SJ_SK_mSL_SN_bEUlT_E_NS1_11comp_targetILNS1_3genE8ELNS1_11target_archE1030ELNS1_3gpuE2ELNS1_3repE0EEENS1_30default_config_static_selectorELNS0_4arch9wavefront6targetE1EEEvT1_,"axG",@progbits,_ZN7rocprim17ROCPRIM_400000_NS6detail17trampoline_kernelINS0_14default_configENS1_25transform_config_selectorIlLb0EEEZNS1_14transform_implILb0ES3_S5_NS0_18transform_iteratorINS0_17counting_iteratorImlEEZNS1_24adjacent_difference_implIS3_Lb1ELb0EPlSB_N6thrust23THRUST_200600_302600_NS5minusIlEEEE10hipError_tPvRmT2_T3_mT4_P12ihipStream_tbEUlmE_lEESB_NS0_8identityIvEEEESG_SJ_SK_mSL_SN_bEUlT_E_NS1_11comp_targetILNS1_3genE8ELNS1_11target_archE1030ELNS1_3gpuE2ELNS1_3repE0EEENS1_30default_config_static_selectorELNS0_4arch9wavefront6targetE1EEEvT1_,comdat
	.protected	_ZN7rocprim17ROCPRIM_400000_NS6detail17trampoline_kernelINS0_14default_configENS1_25transform_config_selectorIlLb0EEEZNS1_14transform_implILb0ES3_S5_NS0_18transform_iteratorINS0_17counting_iteratorImlEEZNS1_24adjacent_difference_implIS3_Lb1ELb0EPlSB_N6thrust23THRUST_200600_302600_NS5minusIlEEEE10hipError_tPvRmT2_T3_mT4_P12ihipStream_tbEUlmE_lEESB_NS0_8identityIvEEEESG_SJ_SK_mSL_SN_bEUlT_E_NS1_11comp_targetILNS1_3genE8ELNS1_11target_archE1030ELNS1_3gpuE2ELNS1_3repE0EEENS1_30default_config_static_selectorELNS0_4arch9wavefront6targetE1EEEvT1_ ; -- Begin function _ZN7rocprim17ROCPRIM_400000_NS6detail17trampoline_kernelINS0_14default_configENS1_25transform_config_selectorIlLb0EEEZNS1_14transform_implILb0ES3_S5_NS0_18transform_iteratorINS0_17counting_iteratorImlEEZNS1_24adjacent_difference_implIS3_Lb1ELb0EPlSB_N6thrust23THRUST_200600_302600_NS5minusIlEEEE10hipError_tPvRmT2_T3_mT4_P12ihipStream_tbEUlmE_lEESB_NS0_8identityIvEEEESG_SJ_SK_mSL_SN_bEUlT_E_NS1_11comp_targetILNS1_3genE8ELNS1_11target_archE1030ELNS1_3gpuE2ELNS1_3repE0EEENS1_30default_config_static_selectorELNS0_4arch9wavefront6targetE1EEEvT1_
	.globl	_ZN7rocprim17ROCPRIM_400000_NS6detail17trampoline_kernelINS0_14default_configENS1_25transform_config_selectorIlLb0EEEZNS1_14transform_implILb0ES3_S5_NS0_18transform_iteratorINS0_17counting_iteratorImlEEZNS1_24adjacent_difference_implIS3_Lb1ELb0EPlSB_N6thrust23THRUST_200600_302600_NS5minusIlEEEE10hipError_tPvRmT2_T3_mT4_P12ihipStream_tbEUlmE_lEESB_NS0_8identityIvEEEESG_SJ_SK_mSL_SN_bEUlT_E_NS1_11comp_targetILNS1_3genE8ELNS1_11target_archE1030ELNS1_3gpuE2ELNS1_3repE0EEENS1_30default_config_static_selectorELNS0_4arch9wavefront6targetE1EEEvT1_
	.p2align	8
	.type	_ZN7rocprim17ROCPRIM_400000_NS6detail17trampoline_kernelINS0_14default_configENS1_25transform_config_selectorIlLb0EEEZNS1_14transform_implILb0ES3_S5_NS0_18transform_iteratorINS0_17counting_iteratorImlEEZNS1_24adjacent_difference_implIS3_Lb1ELb0EPlSB_N6thrust23THRUST_200600_302600_NS5minusIlEEEE10hipError_tPvRmT2_T3_mT4_P12ihipStream_tbEUlmE_lEESB_NS0_8identityIvEEEESG_SJ_SK_mSL_SN_bEUlT_E_NS1_11comp_targetILNS1_3genE8ELNS1_11target_archE1030ELNS1_3gpuE2ELNS1_3repE0EEENS1_30default_config_static_selectorELNS0_4arch9wavefront6targetE1EEEvT1_,@function
_ZN7rocprim17ROCPRIM_400000_NS6detail17trampoline_kernelINS0_14default_configENS1_25transform_config_selectorIlLb0EEEZNS1_14transform_implILb0ES3_S5_NS0_18transform_iteratorINS0_17counting_iteratorImlEEZNS1_24adjacent_difference_implIS3_Lb1ELb0EPlSB_N6thrust23THRUST_200600_302600_NS5minusIlEEEE10hipError_tPvRmT2_T3_mT4_P12ihipStream_tbEUlmE_lEESB_NS0_8identityIvEEEESG_SJ_SK_mSL_SN_bEUlT_E_NS1_11comp_targetILNS1_3genE8ELNS1_11target_archE1030ELNS1_3gpuE2ELNS1_3repE0EEENS1_30default_config_static_selectorELNS0_4arch9wavefront6targetE1EEEvT1_: ; @_ZN7rocprim17ROCPRIM_400000_NS6detail17trampoline_kernelINS0_14default_configENS1_25transform_config_selectorIlLb0EEEZNS1_14transform_implILb0ES3_S5_NS0_18transform_iteratorINS0_17counting_iteratorImlEEZNS1_24adjacent_difference_implIS3_Lb1ELb0EPlSB_N6thrust23THRUST_200600_302600_NS5minusIlEEEE10hipError_tPvRmT2_T3_mT4_P12ihipStream_tbEUlmE_lEESB_NS0_8identityIvEEEESG_SJ_SK_mSL_SN_bEUlT_E_NS1_11comp_targetILNS1_3genE8ELNS1_11target_archE1030ELNS1_3gpuE2ELNS1_3repE0EEENS1_30default_config_static_selectorELNS0_4arch9wavefront6targetE1EEEvT1_
; %bb.0:
	.section	.rodata,"a",@progbits
	.p2align	6, 0x0
	.amdhsa_kernel _ZN7rocprim17ROCPRIM_400000_NS6detail17trampoline_kernelINS0_14default_configENS1_25transform_config_selectorIlLb0EEEZNS1_14transform_implILb0ES3_S5_NS0_18transform_iteratorINS0_17counting_iteratorImlEEZNS1_24adjacent_difference_implIS3_Lb1ELb0EPlSB_N6thrust23THRUST_200600_302600_NS5minusIlEEEE10hipError_tPvRmT2_T3_mT4_P12ihipStream_tbEUlmE_lEESB_NS0_8identityIvEEEESG_SJ_SK_mSL_SN_bEUlT_E_NS1_11comp_targetILNS1_3genE8ELNS1_11target_archE1030ELNS1_3gpuE2ELNS1_3repE0EEENS1_30default_config_static_selectorELNS0_4arch9wavefront6targetE1EEEvT1_
		.amdhsa_group_segment_fixed_size 0
		.amdhsa_private_segment_fixed_size 0
		.amdhsa_kernarg_size 56
		.amdhsa_user_sgpr_count 2
		.amdhsa_user_sgpr_dispatch_ptr 0
		.amdhsa_user_sgpr_queue_ptr 0
		.amdhsa_user_sgpr_kernarg_segment_ptr 1
		.amdhsa_user_sgpr_dispatch_id 0
		.amdhsa_user_sgpr_kernarg_preload_length 0
		.amdhsa_user_sgpr_kernarg_preload_offset 0
		.amdhsa_user_sgpr_private_segment_size 0
		.amdhsa_uses_dynamic_stack 0
		.amdhsa_enable_private_segment 0
		.amdhsa_system_sgpr_workgroup_id_x 1
		.amdhsa_system_sgpr_workgroup_id_y 0
		.amdhsa_system_sgpr_workgroup_id_z 0
		.amdhsa_system_sgpr_workgroup_info 0
		.amdhsa_system_vgpr_workitem_id 0
		.amdhsa_next_free_vgpr 1
		.amdhsa_next_free_sgpr 0
		.amdhsa_accum_offset 4
		.amdhsa_reserve_vcc 0
		.amdhsa_float_round_mode_32 0
		.amdhsa_float_round_mode_16_64 0
		.amdhsa_float_denorm_mode_32 3
		.amdhsa_float_denorm_mode_16_64 3
		.amdhsa_dx10_clamp 1
		.amdhsa_ieee_mode 1
		.amdhsa_fp16_overflow 0
		.amdhsa_tg_split 0
		.amdhsa_exception_fp_ieee_invalid_op 0
		.amdhsa_exception_fp_denorm_src 0
		.amdhsa_exception_fp_ieee_div_zero 0
		.amdhsa_exception_fp_ieee_overflow 0
		.amdhsa_exception_fp_ieee_underflow 0
		.amdhsa_exception_fp_ieee_inexact 0
		.amdhsa_exception_int_div_zero 0
	.end_amdhsa_kernel
	.section	.text._ZN7rocprim17ROCPRIM_400000_NS6detail17trampoline_kernelINS0_14default_configENS1_25transform_config_selectorIlLb0EEEZNS1_14transform_implILb0ES3_S5_NS0_18transform_iteratorINS0_17counting_iteratorImlEEZNS1_24adjacent_difference_implIS3_Lb1ELb0EPlSB_N6thrust23THRUST_200600_302600_NS5minusIlEEEE10hipError_tPvRmT2_T3_mT4_P12ihipStream_tbEUlmE_lEESB_NS0_8identityIvEEEESG_SJ_SK_mSL_SN_bEUlT_E_NS1_11comp_targetILNS1_3genE8ELNS1_11target_archE1030ELNS1_3gpuE2ELNS1_3repE0EEENS1_30default_config_static_selectorELNS0_4arch9wavefront6targetE1EEEvT1_,"axG",@progbits,_ZN7rocprim17ROCPRIM_400000_NS6detail17trampoline_kernelINS0_14default_configENS1_25transform_config_selectorIlLb0EEEZNS1_14transform_implILb0ES3_S5_NS0_18transform_iteratorINS0_17counting_iteratorImlEEZNS1_24adjacent_difference_implIS3_Lb1ELb0EPlSB_N6thrust23THRUST_200600_302600_NS5minusIlEEEE10hipError_tPvRmT2_T3_mT4_P12ihipStream_tbEUlmE_lEESB_NS0_8identityIvEEEESG_SJ_SK_mSL_SN_bEUlT_E_NS1_11comp_targetILNS1_3genE8ELNS1_11target_archE1030ELNS1_3gpuE2ELNS1_3repE0EEENS1_30default_config_static_selectorELNS0_4arch9wavefront6targetE1EEEvT1_,comdat
.Lfunc_end253:
	.size	_ZN7rocprim17ROCPRIM_400000_NS6detail17trampoline_kernelINS0_14default_configENS1_25transform_config_selectorIlLb0EEEZNS1_14transform_implILb0ES3_S5_NS0_18transform_iteratorINS0_17counting_iteratorImlEEZNS1_24adjacent_difference_implIS3_Lb1ELb0EPlSB_N6thrust23THRUST_200600_302600_NS5minusIlEEEE10hipError_tPvRmT2_T3_mT4_P12ihipStream_tbEUlmE_lEESB_NS0_8identityIvEEEESG_SJ_SK_mSL_SN_bEUlT_E_NS1_11comp_targetILNS1_3genE8ELNS1_11target_archE1030ELNS1_3gpuE2ELNS1_3repE0EEENS1_30default_config_static_selectorELNS0_4arch9wavefront6targetE1EEEvT1_, .Lfunc_end253-_ZN7rocprim17ROCPRIM_400000_NS6detail17trampoline_kernelINS0_14default_configENS1_25transform_config_selectorIlLb0EEEZNS1_14transform_implILb0ES3_S5_NS0_18transform_iteratorINS0_17counting_iteratorImlEEZNS1_24adjacent_difference_implIS3_Lb1ELb0EPlSB_N6thrust23THRUST_200600_302600_NS5minusIlEEEE10hipError_tPvRmT2_T3_mT4_P12ihipStream_tbEUlmE_lEESB_NS0_8identityIvEEEESG_SJ_SK_mSL_SN_bEUlT_E_NS1_11comp_targetILNS1_3genE8ELNS1_11target_archE1030ELNS1_3gpuE2ELNS1_3repE0EEENS1_30default_config_static_selectorELNS0_4arch9wavefront6targetE1EEEvT1_
                                        ; -- End function
	.section	.AMDGPU.csdata,"",@progbits
; Kernel info:
; codeLenInByte = 0
; NumSgprs: 6
; NumVgprs: 0
; NumAgprs: 0
; TotalNumVgprs: 0
; ScratchSize: 0
; MemoryBound: 0
; FloatMode: 240
; IeeeMode: 1
; LDSByteSize: 0 bytes/workgroup (compile time only)
; SGPRBlocks: 0
; VGPRBlocks: 0
; NumSGPRsForWavesPerEU: 6
; NumVGPRsForWavesPerEU: 1
; AccumOffset: 4
; Occupancy: 8
; WaveLimiterHint : 0
; COMPUTE_PGM_RSRC2:SCRATCH_EN: 0
; COMPUTE_PGM_RSRC2:USER_SGPR: 2
; COMPUTE_PGM_RSRC2:TRAP_HANDLER: 0
; COMPUTE_PGM_RSRC2:TGID_X_EN: 1
; COMPUTE_PGM_RSRC2:TGID_Y_EN: 0
; COMPUTE_PGM_RSRC2:TGID_Z_EN: 0
; COMPUTE_PGM_RSRC2:TIDIG_COMP_CNT: 0
; COMPUTE_PGM_RSRC3_GFX90A:ACCUM_OFFSET: 0
; COMPUTE_PGM_RSRC3_GFX90A:TG_SPLIT: 0
	.section	.text._ZN7rocprim17ROCPRIM_400000_NS6detail17trampoline_kernelINS0_14default_configENS1_35adjacent_difference_config_selectorILb1ElEEZNS1_24adjacent_difference_implIS3_Lb1ELb0EPlS7_N6thrust23THRUST_200600_302600_NS5minusIlEEEE10hipError_tPvRmT2_T3_mT4_P12ihipStream_tbEUlT_E_NS1_11comp_targetILNS1_3genE0ELNS1_11target_archE4294967295ELNS1_3gpuE0ELNS1_3repE0EEENS1_30default_config_static_selectorELNS0_4arch9wavefront6targetE1EEEvT1_,"axG",@progbits,_ZN7rocprim17ROCPRIM_400000_NS6detail17trampoline_kernelINS0_14default_configENS1_35adjacent_difference_config_selectorILb1ElEEZNS1_24adjacent_difference_implIS3_Lb1ELb0EPlS7_N6thrust23THRUST_200600_302600_NS5minusIlEEEE10hipError_tPvRmT2_T3_mT4_P12ihipStream_tbEUlT_E_NS1_11comp_targetILNS1_3genE0ELNS1_11target_archE4294967295ELNS1_3gpuE0ELNS1_3repE0EEENS1_30default_config_static_selectorELNS0_4arch9wavefront6targetE1EEEvT1_,comdat
	.protected	_ZN7rocprim17ROCPRIM_400000_NS6detail17trampoline_kernelINS0_14default_configENS1_35adjacent_difference_config_selectorILb1ElEEZNS1_24adjacent_difference_implIS3_Lb1ELb0EPlS7_N6thrust23THRUST_200600_302600_NS5minusIlEEEE10hipError_tPvRmT2_T3_mT4_P12ihipStream_tbEUlT_E_NS1_11comp_targetILNS1_3genE0ELNS1_11target_archE4294967295ELNS1_3gpuE0ELNS1_3repE0EEENS1_30default_config_static_selectorELNS0_4arch9wavefront6targetE1EEEvT1_ ; -- Begin function _ZN7rocprim17ROCPRIM_400000_NS6detail17trampoline_kernelINS0_14default_configENS1_35adjacent_difference_config_selectorILb1ElEEZNS1_24adjacent_difference_implIS3_Lb1ELb0EPlS7_N6thrust23THRUST_200600_302600_NS5minusIlEEEE10hipError_tPvRmT2_T3_mT4_P12ihipStream_tbEUlT_E_NS1_11comp_targetILNS1_3genE0ELNS1_11target_archE4294967295ELNS1_3gpuE0ELNS1_3repE0EEENS1_30default_config_static_selectorELNS0_4arch9wavefront6targetE1EEEvT1_
	.globl	_ZN7rocprim17ROCPRIM_400000_NS6detail17trampoline_kernelINS0_14default_configENS1_35adjacent_difference_config_selectorILb1ElEEZNS1_24adjacent_difference_implIS3_Lb1ELb0EPlS7_N6thrust23THRUST_200600_302600_NS5minusIlEEEE10hipError_tPvRmT2_T3_mT4_P12ihipStream_tbEUlT_E_NS1_11comp_targetILNS1_3genE0ELNS1_11target_archE4294967295ELNS1_3gpuE0ELNS1_3repE0EEENS1_30default_config_static_selectorELNS0_4arch9wavefront6targetE1EEEvT1_
	.p2align	8
	.type	_ZN7rocprim17ROCPRIM_400000_NS6detail17trampoline_kernelINS0_14default_configENS1_35adjacent_difference_config_selectorILb1ElEEZNS1_24adjacent_difference_implIS3_Lb1ELb0EPlS7_N6thrust23THRUST_200600_302600_NS5minusIlEEEE10hipError_tPvRmT2_T3_mT4_P12ihipStream_tbEUlT_E_NS1_11comp_targetILNS1_3genE0ELNS1_11target_archE4294967295ELNS1_3gpuE0ELNS1_3repE0EEENS1_30default_config_static_selectorELNS0_4arch9wavefront6targetE1EEEvT1_,@function
_ZN7rocprim17ROCPRIM_400000_NS6detail17trampoline_kernelINS0_14default_configENS1_35adjacent_difference_config_selectorILb1ElEEZNS1_24adjacent_difference_implIS3_Lb1ELb0EPlS7_N6thrust23THRUST_200600_302600_NS5minusIlEEEE10hipError_tPvRmT2_T3_mT4_P12ihipStream_tbEUlT_E_NS1_11comp_targetILNS1_3genE0ELNS1_11target_archE4294967295ELNS1_3gpuE0ELNS1_3repE0EEENS1_30default_config_static_selectorELNS0_4arch9wavefront6targetE1EEEvT1_: ; @_ZN7rocprim17ROCPRIM_400000_NS6detail17trampoline_kernelINS0_14default_configENS1_35adjacent_difference_config_selectorILb1ElEEZNS1_24adjacent_difference_implIS3_Lb1ELb0EPlS7_N6thrust23THRUST_200600_302600_NS5minusIlEEEE10hipError_tPvRmT2_T3_mT4_P12ihipStream_tbEUlT_E_NS1_11comp_targetILNS1_3genE0ELNS1_11target_archE4294967295ELNS1_3gpuE0ELNS1_3repE0EEENS1_30default_config_static_selectorELNS0_4arch9wavefront6targetE1EEEvT1_
; %bb.0:
	.section	.rodata,"a",@progbits
	.p2align	6, 0x0
	.amdhsa_kernel _ZN7rocprim17ROCPRIM_400000_NS6detail17trampoline_kernelINS0_14default_configENS1_35adjacent_difference_config_selectorILb1ElEEZNS1_24adjacent_difference_implIS3_Lb1ELb0EPlS7_N6thrust23THRUST_200600_302600_NS5minusIlEEEE10hipError_tPvRmT2_T3_mT4_P12ihipStream_tbEUlT_E_NS1_11comp_targetILNS1_3genE0ELNS1_11target_archE4294967295ELNS1_3gpuE0ELNS1_3repE0EEENS1_30default_config_static_selectorELNS0_4arch9wavefront6targetE1EEEvT1_
		.amdhsa_group_segment_fixed_size 0
		.amdhsa_private_segment_fixed_size 0
		.amdhsa_kernarg_size 56
		.amdhsa_user_sgpr_count 2
		.amdhsa_user_sgpr_dispatch_ptr 0
		.amdhsa_user_sgpr_queue_ptr 0
		.amdhsa_user_sgpr_kernarg_segment_ptr 1
		.amdhsa_user_sgpr_dispatch_id 0
		.amdhsa_user_sgpr_kernarg_preload_length 0
		.amdhsa_user_sgpr_kernarg_preload_offset 0
		.amdhsa_user_sgpr_private_segment_size 0
		.amdhsa_uses_dynamic_stack 0
		.amdhsa_enable_private_segment 0
		.amdhsa_system_sgpr_workgroup_id_x 1
		.amdhsa_system_sgpr_workgroup_id_y 0
		.amdhsa_system_sgpr_workgroup_id_z 0
		.amdhsa_system_sgpr_workgroup_info 0
		.amdhsa_system_vgpr_workitem_id 0
		.amdhsa_next_free_vgpr 1
		.amdhsa_next_free_sgpr 0
		.amdhsa_accum_offset 4
		.amdhsa_reserve_vcc 0
		.amdhsa_float_round_mode_32 0
		.amdhsa_float_round_mode_16_64 0
		.amdhsa_float_denorm_mode_32 3
		.amdhsa_float_denorm_mode_16_64 3
		.amdhsa_dx10_clamp 1
		.amdhsa_ieee_mode 1
		.amdhsa_fp16_overflow 0
		.amdhsa_tg_split 0
		.amdhsa_exception_fp_ieee_invalid_op 0
		.amdhsa_exception_fp_denorm_src 0
		.amdhsa_exception_fp_ieee_div_zero 0
		.amdhsa_exception_fp_ieee_overflow 0
		.amdhsa_exception_fp_ieee_underflow 0
		.amdhsa_exception_fp_ieee_inexact 0
		.amdhsa_exception_int_div_zero 0
	.end_amdhsa_kernel
	.section	.text._ZN7rocprim17ROCPRIM_400000_NS6detail17trampoline_kernelINS0_14default_configENS1_35adjacent_difference_config_selectorILb1ElEEZNS1_24adjacent_difference_implIS3_Lb1ELb0EPlS7_N6thrust23THRUST_200600_302600_NS5minusIlEEEE10hipError_tPvRmT2_T3_mT4_P12ihipStream_tbEUlT_E_NS1_11comp_targetILNS1_3genE0ELNS1_11target_archE4294967295ELNS1_3gpuE0ELNS1_3repE0EEENS1_30default_config_static_selectorELNS0_4arch9wavefront6targetE1EEEvT1_,"axG",@progbits,_ZN7rocprim17ROCPRIM_400000_NS6detail17trampoline_kernelINS0_14default_configENS1_35adjacent_difference_config_selectorILb1ElEEZNS1_24adjacent_difference_implIS3_Lb1ELb0EPlS7_N6thrust23THRUST_200600_302600_NS5minusIlEEEE10hipError_tPvRmT2_T3_mT4_P12ihipStream_tbEUlT_E_NS1_11comp_targetILNS1_3genE0ELNS1_11target_archE4294967295ELNS1_3gpuE0ELNS1_3repE0EEENS1_30default_config_static_selectorELNS0_4arch9wavefront6targetE1EEEvT1_,comdat
.Lfunc_end254:
	.size	_ZN7rocprim17ROCPRIM_400000_NS6detail17trampoline_kernelINS0_14default_configENS1_35adjacent_difference_config_selectorILb1ElEEZNS1_24adjacent_difference_implIS3_Lb1ELb0EPlS7_N6thrust23THRUST_200600_302600_NS5minusIlEEEE10hipError_tPvRmT2_T3_mT4_P12ihipStream_tbEUlT_E_NS1_11comp_targetILNS1_3genE0ELNS1_11target_archE4294967295ELNS1_3gpuE0ELNS1_3repE0EEENS1_30default_config_static_selectorELNS0_4arch9wavefront6targetE1EEEvT1_, .Lfunc_end254-_ZN7rocprim17ROCPRIM_400000_NS6detail17trampoline_kernelINS0_14default_configENS1_35adjacent_difference_config_selectorILb1ElEEZNS1_24adjacent_difference_implIS3_Lb1ELb0EPlS7_N6thrust23THRUST_200600_302600_NS5minusIlEEEE10hipError_tPvRmT2_T3_mT4_P12ihipStream_tbEUlT_E_NS1_11comp_targetILNS1_3genE0ELNS1_11target_archE4294967295ELNS1_3gpuE0ELNS1_3repE0EEENS1_30default_config_static_selectorELNS0_4arch9wavefront6targetE1EEEvT1_
                                        ; -- End function
	.section	.AMDGPU.csdata,"",@progbits
; Kernel info:
; codeLenInByte = 0
; NumSgprs: 6
; NumVgprs: 0
; NumAgprs: 0
; TotalNumVgprs: 0
; ScratchSize: 0
; MemoryBound: 0
; FloatMode: 240
; IeeeMode: 1
; LDSByteSize: 0 bytes/workgroup (compile time only)
; SGPRBlocks: 0
; VGPRBlocks: 0
; NumSGPRsForWavesPerEU: 6
; NumVGPRsForWavesPerEU: 1
; AccumOffset: 4
; Occupancy: 8
; WaveLimiterHint : 0
; COMPUTE_PGM_RSRC2:SCRATCH_EN: 0
; COMPUTE_PGM_RSRC2:USER_SGPR: 2
; COMPUTE_PGM_RSRC2:TRAP_HANDLER: 0
; COMPUTE_PGM_RSRC2:TGID_X_EN: 1
; COMPUTE_PGM_RSRC2:TGID_Y_EN: 0
; COMPUTE_PGM_RSRC2:TGID_Z_EN: 0
; COMPUTE_PGM_RSRC2:TIDIG_COMP_CNT: 0
; COMPUTE_PGM_RSRC3_GFX90A:ACCUM_OFFSET: 0
; COMPUTE_PGM_RSRC3_GFX90A:TG_SPLIT: 0
	.section	.text._ZN7rocprim17ROCPRIM_400000_NS6detail17trampoline_kernelINS0_14default_configENS1_35adjacent_difference_config_selectorILb1ElEEZNS1_24adjacent_difference_implIS3_Lb1ELb0EPlS7_N6thrust23THRUST_200600_302600_NS5minusIlEEEE10hipError_tPvRmT2_T3_mT4_P12ihipStream_tbEUlT_E_NS1_11comp_targetILNS1_3genE10ELNS1_11target_archE1201ELNS1_3gpuE5ELNS1_3repE0EEENS1_30default_config_static_selectorELNS0_4arch9wavefront6targetE1EEEvT1_,"axG",@progbits,_ZN7rocprim17ROCPRIM_400000_NS6detail17trampoline_kernelINS0_14default_configENS1_35adjacent_difference_config_selectorILb1ElEEZNS1_24adjacent_difference_implIS3_Lb1ELb0EPlS7_N6thrust23THRUST_200600_302600_NS5minusIlEEEE10hipError_tPvRmT2_T3_mT4_P12ihipStream_tbEUlT_E_NS1_11comp_targetILNS1_3genE10ELNS1_11target_archE1201ELNS1_3gpuE5ELNS1_3repE0EEENS1_30default_config_static_selectorELNS0_4arch9wavefront6targetE1EEEvT1_,comdat
	.protected	_ZN7rocprim17ROCPRIM_400000_NS6detail17trampoline_kernelINS0_14default_configENS1_35adjacent_difference_config_selectorILb1ElEEZNS1_24adjacent_difference_implIS3_Lb1ELb0EPlS7_N6thrust23THRUST_200600_302600_NS5minusIlEEEE10hipError_tPvRmT2_T3_mT4_P12ihipStream_tbEUlT_E_NS1_11comp_targetILNS1_3genE10ELNS1_11target_archE1201ELNS1_3gpuE5ELNS1_3repE0EEENS1_30default_config_static_selectorELNS0_4arch9wavefront6targetE1EEEvT1_ ; -- Begin function _ZN7rocprim17ROCPRIM_400000_NS6detail17trampoline_kernelINS0_14default_configENS1_35adjacent_difference_config_selectorILb1ElEEZNS1_24adjacent_difference_implIS3_Lb1ELb0EPlS7_N6thrust23THRUST_200600_302600_NS5minusIlEEEE10hipError_tPvRmT2_T3_mT4_P12ihipStream_tbEUlT_E_NS1_11comp_targetILNS1_3genE10ELNS1_11target_archE1201ELNS1_3gpuE5ELNS1_3repE0EEENS1_30default_config_static_selectorELNS0_4arch9wavefront6targetE1EEEvT1_
	.globl	_ZN7rocprim17ROCPRIM_400000_NS6detail17trampoline_kernelINS0_14default_configENS1_35adjacent_difference_config_selectorILb1ElEEZNS1_24adjacent_difference_implIS3_Lb1ELb0EPlS7_N6thrust23THRUST_200600_302600_NS5minusIlEEEE10hipError_tPvRmT2_T3_mT4_P12ihipStream_tbEUlT_E_NS1_11comp_targetILNS1_3genE10ELNS1_11target_archE1201ELNS1_3gpuE5ELNS1_3repE0EEENS1_30default_config_static_selectorELNS0_4arch9wavefront6targetE1EEEvT1_
	.p2align	8
	.type	_ZN7rocprim17ROCPRIM_400000_NS6detail17trampoline_kernelINS0_14default_configENS1_35adjacent_difference_config_selectorILb1ElEEZNS1_24adjacent_difference_implIS3_Lb1ELb0EPlS7_N6thrust23THRUST_200600_302600_NS5minusIlEEEE10hipError_tPvRmT2_T3_mT4_P12ihipStream_tbEUlT_E_NS1_11comp_targetILNS1_3genE10ELNS1_11target_archE1201ELNS1_3gpuE5ELNS1_3repE0EEENS1_30default_config_static_selectorELNS0_4arch9wavefront6targetE1EEEvT1_,@function
_ZN7rocprim17ROCPRIM_400000_NS6detail17trampoline_kernelINS0_14default_configENS1_35adjacent_difference_config_selectorILb1ElEEZNS1_24adjacent_difference_implIS3_Lb1ELb0EPlS7_N6thrust23THRUST_200600_302600_NS5minusIlEEEE10hipError_tPvRmT2_T3_mT4_P12ihipStream_tbEUlT_E_NS1_11comp_targetILNS1_3genE10ELNS1_11target_archE1201ELNS1_3gpuE5ELNS1_3repE0EEENS1_30default_config_static_selectorELNS0_4arch9wavefront6targetE1EEEvT1_: ; @_ZN7rocprim17ROCPRIM_400000_NS6detail17trampoline_kernelINS0_14default_configENS1_35adjacent_difference_config_selectorILb1ElEEZNS1_24adjacent_difference_implIS3_Lb1ELb0EPlS7_N6thrust23THRUST_200600_302600_NS5minusIlEEEE10hipError_tPvRmT2_T3_mT4_P12ihipStream_tbEUlT_E_NS1_11comp_targetILNS1_3genE10ELNS1_11target_archE1201ELNS1_3gpuE5ELNS1_3repE0EEENS1_30default_config_static_selectorELNS0_4arch9wavefront6targetE1EEEvT1_
; %bb.0:
	.section	.rodata,"a",@progbits
	.p2align	6, 0x0
	.amdhsa_kernel _ZN7rocprim17ROCPRIM_400000_NS6detail17trampoline_kernelINS0_14default_configENS1_35adjacent_difference_config_selectorILb1ElEEZNS1_24adjacent_difference_implIS3_Lb1ELb0EPlS7_N6thrust23THRUST_200600_302600_NS5minusIlEEEE10hipError_tPvRmT2_T3_mT4_P12ihipStream_tbEUlT_E_NS1_11comp_targetILNS1_3genE10ELNS1_11target_archE1201ELNS1_3gpuE5ELNS1_3repE0EEENS1_30default_config_static_selectorELNS0_4arch9wavefront6targetE1EEEvT1_
		.amdhsa_group_segment_fixed_size 0
		.amdhsa_private_segment_fixed_size 0
		.amdhsa_kernarg_size 56
		.amdhsa_user_sgpr_count 2
		.amdhsa_user_sgpr_dispatch_ptr 0
		.amdhsa_user_sgpr_queue_ptr 0
		.amdhsa_user_sgpr_kernarg_segment_ptr 1
		.amdhsa_user_sgpr_dispatch_id 0
		.amdhsa_user_sgpr_kernarg_preload_length 0
		.amdhsa_user_sgpr_kernarg_preload_offset 0
		.amdhsa_user_sgpr_private_segment_size 0
		.amdhsa_uses_dynamic_stack 0
		.amdhsa_enable_private_segment 0
		.amdhsa_system_sgpr_workgroup_id_x 1
		.amdhsa_system_sgpr_workgroup_id_y 0
		.amdhsa_system_sgpr_workgroup_id_z 0
		.amdhsa_system_sgpr_workgroup_info 0
		.amdhsa_system_vgpr_workitem_id 0
		.amdhsa_next_free_vgpr 1
		.amdhsa_next_free_sgpr 0
		.amdhsa_accum_offset 4
		.amdhsa_reserve_vcc 0
		.amdhsa_float_round_mode_32 0
		.amdhsa_float_round_mode_16_64 0
		.amdhsa_float_denorm_mode_32 3
		.amdhsa_float_denorm_mode_16_64 3
		.amdhsa_dx10_clamp 1
		.amdhsa_ieee_mode 1
		.amdhsa_fp16_overflow 0
		.amdhsa_tg_split 0
		.amdhsa_exception_fp_ieee_invalid_op 0
		.amdhsa_exception_fp_denorm_src 0
		.amdhsa_exception_fp_ieee_div_zero 0
		.amdhsa_exception_fp_ieee_overflow 0
		.amdhsa_exception_fp_ieee_underflow 0
		.amdhsa_exception_fp_ieee_inexact 0
		.amdhsa_exception_int_div_zero 0
	.end_amdhsa_kernel
	.section	.text._ZN7rocprim17ROCPRIM_400000_NS6detail17trampoline_kernelINS0_14default_configENS1_35adjacent_difference_config_selectorILb1ElEEZNS1_24adjacent_difference_implIS3_Lb1ELb0EPlS7_N6thrust23THRUST_200600_302600_NS5minusIlEEEE10hipError_tPvRmT2_T3_mT4_P12ihipStream_tbEUlT_E_NS1_11comp_targetILNS1_3genE10ELNS1_11target_archE1201ELNS1_3gpuE5ELNS1_3repE0EEENS1_30default_config_static_selectorELNS0_4arch9wavefront6targetE1EEEvT1_,"axG",@progbits,_ZN7rocprim17ROCPRIM_400000_NS6detail17trampoline_kernelINS0_14default_configENS1_35adjacent_difference_config_selectorILb1ElEEZNS1_24adjacent_difference_implIS3_Lb1ELb0EPlS7_N6thrust23THRUST_200600_302600_NS5minusIlEEEE10hipError_tPvRmT2_T3_mT4_P12ihipStream_tbEUlT_E_NS1_11comp_targetILNS1_3genE10ELNS1_11target_archE1201ELNS1_3gpuE5ELNS1_3repE0EEENS1_30default_config_static_selectorELNS0_4arch9wavefront6targetE1EEEvT1_,comdat
.Lfunc_end255:
	.size	_ZN7rocprim17ROCPRIM_400000_NS6detail17trampoline_kernelINS0_14default_configENS1_35adjacent_difference_config_selectorILb1ElEEZNS1_24adjacent_difference_implIS3_Lb1ELb0EPlS7_N6thrust23THRUST_200600_302600_NS5minusIlEEEE10hipError_tPvRmT2_T3_mT4_P12ihipStream_tbEUlT_E_NS1_11comp_targetILNS1_3genE10ELNS1_11target_archE1201ELNS1_3gpuE5ELNS1_3repE0EEENS1_30default_config_static_selectorELNS0_4arch9wavefront6targetE1EEEvT1_, .Lfunc_end255-_ZN7rocprim17ROCPRIM_400000_NS6detail17trampoline_kernelINS0_14default_configENS1_35adjacent_difference_config_selectorILb1ElEEZNS1_24adjacent_difference_implIS3_Lb1ELb0EPlS7_N6thrust23THRUST_200600_302600_NS5minusIlEEEE10hipError_tPvRmT2_T3_mT4_P12ihipStream_tbEUlT_E_NS1_11comp_targetILNS1_3genE10ELNS1_11target_archE1201ELNS1_3gpuE5ELNS1_3repE0EEENS1_30default_config_static_selectorELNS0_4arch9wavefront6targetE1EEEvT1_
                                        ; -- End function
	.section	.AMDGPU.csdata,"",@progbits
; Kernel info:
; codeLenInByte = 0
; NumSgprs: 6
; NumVgprs: 0
; NumAgprs: 0
; TotalNumVgprs: 0
; ScratchSize: 0
; MemoryBound: 0
; FloatMode: 240
; IeeeMode: 1
; LDSByteSize: 0 bytes/workgroup (compile time only)
; SGPRBlocks: 0
; VGPRBlocks: 0
; NumSGPRsForWavesPerEU: 6
; NumVGPRsForWavesPerEU: 1
; AccumOffset: 4
; Occupancy: 8
; WaveLimiterHint : 0
; COMPUTE_PGM_RSRC2:SCRATCH_EN: 0
; COMPUTE_PGM_RSRC2:USER_SGPR: 2
; COMPUTE_PGM_RSRC2:TRAP_HANDLER: 0
; COMPUTE_PGM_RSRC2:TGID_X_EN: 1
; COMPUTE_PGM_RSRC2:TGID_Y_EN: 0
; COMPUTE_PGM_RSRC2:TGID_Z_EN: 0
; COMPUTE_PGM_RSRC2:TIDIG_COMP_CNT: 0
; COMPUTE_PGM_RSRC3_GFX90A:ACCUM_OFFSET: 0
; COMPUTE_PGM_RSRC3_GFX90A:TG_SPLIT: 0
	.section	.text._ZN7rocprim17ROCPRIM_400000_NS6detail17trampoline_kernelINS0_14default_configENS1_35adjacent_difference_config_selectorILb1ElEEZNS1_24adjacent_difference_implIS3_Lb1ELb0EPlS7_N6thrust23THRUST_200600_302600_NS5minusIlEEEE10hipError_tPvRmT2_T3_mT4_P12ihipStream_tbEUlT_E_NS1_11comp_targetILNS1_3genE5ELNS1_11target_archE942ELNS1_3gpuE9ELNS1_3repE0EEENS1_30default_config_static_selectorELNS0_4arch9wavefront6targetE1EEEvT1_,"axG",@progbits,_ZN7rocprim17ROCPRIM_400000_NS6detail17trampoline_kernelINS0_14default_configENS1_35adjacent_difference_config_selectorILb1ElEEZNS1_24adjacent_difference_implIS3_Lb1ELb0EPlS7_N6thrust23THRUST_200600_302600_NS5minusIlEEEE10hipError_tPvRmT2_T3_mT4_P12ihipStream_tbEUlT_E_NS1_11comp_targetILNS1_3genE5ELNS1_11target_archE942ELNS1_3gpuE9ELNS1_3repE0EEENS1_30default_config_static_selectorELNS0_4arch9wavefront6targetE1EEEvT1_,comdat
	.protected	_ZN7rocprim17ROCPRIM_400000_NS6detail17trampoline_kernelINS0_14default_configENS1_35adjacent_difference_config_selectorILb1ElEEZNS1_24adjacent_difference_implIS3_Lb1ELb0EPlS7_N6thrust23THRUST_200600_302600_NS5minusIlEEEE10hipError_tPvRmT2_T3_mT4_P12ihipStream_tbEUlT_E_NS1_11comp_targetILNS1_3genE5ELNS1_11target_archE942ELNS1_3gpuE9ELNS1_3repE0EEENS1_30default_config_static_selectorELNS0_4arch9wavefront6targetE1EEEvT1_ ; -- Begin function _ZN7rocprim17ROCPRIM_400000_NS6detail17trampoline_kernelINS0_14default_configENS1_35adjacent_difference_config_selectorILb1ElEEZNS1_24adjacent_difference_implIS3_Lb1ELb0EPlS7_N6thrust23THRUST_200600_302600_NS5minusIlEEEE10hipError_tPvRmT2_T3_mT4_P12ihipStream_tbEUlT_E_NS1_11comp_targetILNS1_3genE5ELNS1_11target_archE942ELNS1_3gpuE9ELNS1_3repE0EEENS1_30default_config_static_selectorELNS0_4arch9wavefront6targetE1EEEvT1_
	.globl	_ZN7rocprim17ROCPRIM_400000_NS6detail17trampoline_kernelINS0_14default_configENS1_35adjacent_difference_config_selectorILb1ElEEZNS1_24adjacent_difference_implIS3_Lb1ELb0EPlS7_N6thrust23THRUST_200600_302600_NS5minusIlEEEE10hipError_tPvRmT2_T3_mT4_P12ihipStream_tbEUlT_E_NS1_11comp_targetILNS1_3genE5ELNS1_11target_archE942ELNS1_3gpuE9ELNS1_3repE0EEENS1_30default_config_static_selectorELNS0_4arch9wavefront6targetE1EEEvT1_
	.p2align	8
	.type	_ZN7rocprim17ROCPRIM_400000_NS6detail17trampoline_kernelINS0_14default_configENS1_35adjacent_difference_config_selectorILb1ElEEZNS1_24adjacent_difference_implIS3_Lb1ELb0EPlS7_N6thrust23THRUST_200600_302600_NS5minusIlEEEE10hipError_tPvRmT2_T3_mT4_P12ihipStream_tbEUlT_E_NS1_11comp_targetILNS1_3genE5ELNS1_11target_archE942ELNS1_3gpuE9ELNS1_3repE0EEENS1_30default_config_static_selectorELNS0_4arch9wavefront6targetE1EEEvT1_,@function
_ZN7rocprim17ROCPRIM_400000_NS6detail17trampoline_kernelINS0_14default_configENS1_35adjacent_difference_config_selectorILb1ElEEZNS1_24adjacent_difference_implIS3_Lb1ELb0EPlS7_N6thrust23THRUST_200600_302600_NS5minusIlEEEE10hipError_tPvRmT2_T3_mT4_P12ihipStream_tbEUlT_E_NS1_11comp_targetILNS1_3genE5ELNS1_11target_archE942ELNS1_3gpuE9ELNS1_3repE0EEENS1_30default_config_static_selectorELNS0_4arch9wavefront6targetE1EEEvT1_: ; @_ZN7rocprim17ROCPRIM_400000_NS6detail17trampoline_kernelINS0_14default_configENS1_35adjacent_difference_config_selectorILb1ElEEZNS1_24adjacent_difference_implIS3_Lb1ELb0EPlS7_N6thrust23THRUST_200600_302600_NS5minusIlEEEE10hipError_tPvRmT2_T3_mT4_P12ihipStream_tbEUlT_E_NS1_11comp_targetILNS1_3genE5ELNS1_11target_archE942ELNS1_3gpuE9ELNS1_3repE0EEENS1_30default_config_static_selectorELNS0_4arch9wavefront6targetE1EEEvT1_
; %bb.0:
	s_load_dwordx8 s[4:11], s[0:1], 0x0
	s_load_dwordx4 s[12:15], s[0:1], 0x28
	s_mov_b32 s0, 0x545d15a0
	v_bfrev_b32_e32 v1, 4
	s_movk_i32 s16, 0xb00
	s_waitcnt lgkmcnt(0)
	s_lshl_b64 s[6:7], s[6:7], 3
	s_add_u32 s26, s4, s6
	s_addc_u32 s27, s5, s7
	s_add_u32 s0, 0x74, s0
	s_addc_u32 s1, 0, 0
	v_add_co_u32_e32 v1, vcc, s0, v1
	s_cmp_lg_u64 vcc, 0
	v_readfirstlane_b32 s5, v1
	s_addc_u32 s0, s1, 0x1745d1
	s_mul_hi_u32 s17, s5, 0xfffff500
	s_mul_i32 s1, s0, 0xfffff500
	s_sub_i32 s17, s17, s5
	s_add_i32 s17, s17, s1
	s_mul_i32 s19, s5, 0xfffff500
	s_mul_hi_u32 s1, s5, s17
	s_mul_i32 s18, s5, s17
	s_mul_hi_u32 s5, s5, s19
	s_add_u32 s5, s5, s18
	s_addc_u32 s1, 0, s1
	s_mul_hi_u32 s20, s0, s19
	s_mul_i32 s19, s0, s19
	s_add_u32 s5, s5, s19
	s_mul_hi_u32 s18, s0, s17
	s_addc_u32 s1, s1, s20
	s_addc_u32 s5, s18, 0
	s_mul_i32 s17, s0, s17
	s_add_u32 s1, s1, s17
	s_addc_u32 s5, 0, s5
	v_add_co_u32_e32 v1, vcc, s1, v1
	s_cmp_lg_u64 vcc, 0
	s_addc_u32 s0, s0, s5
	v_readfirstlane_b32 s17, v1
	s_mul_i32 s5, s10, s0
	s_mul_hi_u32 s18, s10, s17
	s_mul_hi_u32 s1, s10, s0
	s_add_u32 s5, s18, s5
	s_addc_u32 s1, 0, s1
	s_mul_hi_u32 s19, s11, s17
	s_mul_i32 s17, s11, s17
	s_add_u32 s5, s5, s17
	s_mul_hi_u32 s18, s11, s0
	s_addc_u32 s1, s1, s19
	s_addc_u32 s5, s18, 0
	s_mul_i32 s0, s11, s0
	s_add_u32 s0, s1, s0
	s_addc_u32 s1, 0, s5
	s_add_u32 s5, s0, 1
	s_addc_u32 s17, s1, 0
	s_add_u32 s18, s0, 2
	s_mul_i32 s20, s1, 0xb00
	s_mul_hi_u32 s21, s0, 0xb00
	s_addc_u32 s19, s1, 0
	s_add_i32 s21, s21, s20
	s_mul_i32 s20, s0, 0xb00
	v_mov_b32_e32 v1, s20
	v_sub_co_u32_e32 v1, vcc, s10, v1
	s_cmp_lg_u64 vcc, 0
	s_subb_u32 s20, s11, s21
	v_subrev_co_u32_e32 v2, vcc, s16, v1
	s_cmp_lg_u64 vcc, 0
	s_subb_u32 s16, s20, 0
	v_readfirstlane_b32 s21, v2
	s_cmpk_gt_u32 s21, 0xaff
	s_cselect_b32 s21, -1, 0
	s_cmp_eq_u32 s16, 0
	s_cselect_b32 s16, s21, -1
	s_cmp_lg_u32 s16, 0
	s_cselect_b32 s16, s19, s17
	v_readfirstlane_b32 s17, v1
	s_cselect_b32 s5, s18, s5
	s_cmpk_gt_u32 s17, 0xaff
	s_cselect_b32 s17, -1, 0
	s_cmp_eq_u32 s20, 0
	s_cselect_b32 s17, s17, -1
	s_cmp_lg_u32 s17, 0
	s_cselect_b32 s17, s16, s1
	s_cselect_b32 s5, s5, s0
	s_mul_i32 s0, s17, 0xb00
	s_mul_hi_u32 s1, s5, 0xb00
	s_add_i32 s1, s1, s0
	s_mul_i32 s0, s5, 0xb00
	s_sub_u32 s0, s10, s0
	s_subb_u32 s1, s11, s1
	s_cmp_lg_u64 s[0:1], 0
	s_cselect_b64 s[0:1], -1, 0
	v_cndmask_b32_e64 v1, 0, 1, s[0:1]
	s_mul_i32 s4, s2, 0xb00
	v_readfirstlane_b32 s0, v1
	s_add_u32 s16, s5, s0
	s_addc_u32 s17, s17, 0
	s_add_u32 s18, s14, s2
	s_addc_u32 s19, s15, 0
	s_add_u32 s20, s16, -1
	s_addc_u32 s21, s17, -1
	v_mov_b64_e32 v[2:3], s[20:21]
	v_cmp_ge_u64_e64 s[0:1], s[18:19], v[2:3]
	s_mov_b32 s3, 0
	s_mov_b64 s[22:23], -1
	s_and_b64 vcc, exec, s[0:1]
	s_mul_i32 s11, s20, 0xfffff500
	s_cbranch_vccz .LBB256_24
; %bb.1:
	s_mov_b32 s5, s3
	s_add_i32 s28, s11, s10
	s_lshl_b64 s[22:23], s[4:5], 3
	s_add_u32 s22, s26, s22
	s_addc_u32 s23, s27, s23
	v_cmp_gt_u32_e32 vcc, s28, v0
                                        ; implicit-def: $vgpr2_vgpr3_vgpr4_vgpr5_vgpr6_vgpr7_vgpr8_vgpr9_vgpr10_vgpr11_vgpr12_vgpr13_vgpr14_vgpr15_vgpr16_vgpr17_vgpr18_vgpr19_vgpr20_vgpr21_vgpr22_vgpr23_vgpr24_vgpr25_vgpr26_vgpr27_vgpr28_vgpr29_vgpr30_vgpr31_vgpr32_vgpr33
	s_and_saveexec_b64 s[24:25], vcc
	s_cbranch_execz .LBB256_3
; %bb.2:
	v_lshlrev_b32_e32 v1, 3, v0
	global_load_dwordx2 v[2:3], v1, s[22:23]
.LBB256_3:
	s_or_b64 exec, exec, s[24:25]
	v_or_b32_e32 v1, 0x100, v0
	v_cmp_gt_u32_e32 vcc, s28, v1
	s_and_saveexec_b64 s[24:25], vcc
	s_cbranch_execz .LBB256_5
; %bb.4:
	v_lshlrev_b32_e32 v1, 3, v0
	global_load_dwordx2 v[4:5], v1, s[22:23] offset:2048
.LBB256_5:
	s_or_b64 exec, exec, s[24:25]
	v_or_b32_e32 v1, 0x200, v0
	v_cmp_gt_u32_e32 vcc, s28, v1
	s_and_saveexec_b64 s[24:25], vcc
	s_cbranch_execz .LBB256_7
; %bb.6:
	v_lshlrev_b32_e32 v1, 3, v1
	global_load_dwordx2 v[6:7], v1, s[22:23]
.LBB256_7:
	s_or_b64 exec, exec, s[24:25]
	v_or_b32_e32 v1, 0x300, v0
	v_cmp_gt_u32_e32 vcc, s28, v1
	s_and_saveexec_b64 s[24:25], vcc
	s_cbranch_execz .LBB256_9
; %bb.8:
	v_lshlrev_b32_e32 v1, 3, v1
	global_load_dwordx2 v[8:9], v1, s[22:23]
.LBB256_9:
	;; [unrolled: 9-line block ×9, first 2 shown]
	s_or_b64 exec, exec, s[24:25]
	v_lshlrev_b32_e32 v1, 3, v0
	s_mov_b64 s[22:23], 0
	s_waitcnt vmcnt(0)
	ds_write2st64_b64 v1, v[2:3], v[4:5] offset1:4
	ds_write2st64_b64 v1, v[6:7], v[8:9] offset0:8 offset1:12
	ds_write2st64_b64 v1, v[10:11], v[12:13] offset0:16 offset1:20
	;; [unrolled: 1-line block ×4, first 2 shown]
	ds_write_b64 v1, v[22:23] offset:20480
	s_waitcnt lgkmcnt(0)
	s_barrier
.LBB256_24:
	s_and_b64 vcc, exec, s[22:23]
	v_lshlrev_b32_e32 v22, 3, v0
	s_cbranch_vccz .LBB256_26
; %bb.25:
	s_mov_b32 s5, 0
	s_lshl_b64 s[22:23], s[4:5], 3
	s_add_u32 s22, s26, s22
	s_addc_u32 s23, s27, s23
	v_mov_b32_e32 v23, 0
	v_lshl_add_u64 v[2:3], s[22:23], 0, v[22:23]
	v_add_co_u32_e32 v8, vcc, 0x1000, v2
	global_load_dwordx2 v[4:5], v22, s[22:23]
	global_load_dwordx2 v[6:7], v22, s[22:23] offset:2048
	v_addc_co_u32_e32 v9, vcc, 0, v3, vcc
	v_add_co_u32_e32 v10, vcc, 0x2000, v2
	s_nop 1
	v_addc_co_u32_e32 v11, vcc, 0, v3, vcc
	global_load_dwordx2 v[12:13], v[8:9], off
	global_load_dwordx2 v[14:15], v[8:9], off offset:2048
	global_load_dwordx2 v[16:17], v[10:11], off
	global_load_dwordx2 v[18:19], v[10:11], off offset:2048
	v_add_co_u32_e32 v8, vcc, 0x3000, v2
	s_nop 1
	v_addc_co_u32_e32 v9, vcc, 0, v3, vcc
	v_add_co_u32_e32 v10, vcc, 0x4000, v2
	s_nop 1
	v_addc_co_u32_e32 v11, vcc, 0, v3, vcc
	global_load_dwordx2 v[20:21], v[8:9], off
	global_load_dwordx2 v[24:25], v[8:9], off offset:2048
	global_load_dwordx2 v[26:27], v[10:11], off
	global_load_dwordx2 v[28:29], v[10:11], off offset:2048
	v_add_co_u32_e32 v2, vcc, 0x5000, v2
	s_nop 1
	v_addc_co_u32_e32 v3, vcc, 0, v3, vcc
	global_load_dwordx2 v[2:3], v[2:3], off
	s_waitcnt vmcnt(9)
	ds_write2st64_b64 v22, v[4:5], v[6:7] offset1:4
	s_waitcnt vmcnt(7)
	ds_write2st64_b64 v22, v[12:13], v[14:15] offset0:8 offset1:12
	s_waitcnt vmcnt(5)
	ds_write2st64_b64 v22, v[16:17], v[18:19] offset0:16 offset1:20
	;; [unrolled: 2-line block ×4, first 2 shown]
	s_waitcnt vmcnt(0)
	ds_write_b64 v22, v[2:3] offset:20480
	s_waitcnt lgkmcnt(0)
	s_barrier
.LBB256_26:
	v_mul_u32_u24_e32 v1, 11, v0
	v_lshlrev_b32_e32 v1, 3, v1
	ds_read2_b64 v[2:5], v1 offset1:1
	ds_read2_b64 v[6:9], v1 offset0:2 offset1:3
	ds_read2_b64 v[10:13], v1 offset0:4 offset1:5
	;; [unrolled: 1-line block ×4, first 2 shown]
	ds_read_b64 v[26:27], v1 offset:80
	s_cmp_eq_u64 s[18:19], 0
	s_waitcnt lgkmcnt(0)
	s_barrier
	s_cbranch_scc1 .LBB256_31
; %bb.27:
	s_lshl_b64 s[14:15], s[14:15], 3
	s_add_u32 s5, s12, s14
	s_addc_u32 s12, s13, s15
	s_lshl_b64 s[2:3], s[2:3], 3
	s_add_u32 s2, s5, s2
	s_addc_u32 s3, s12, s3
	s_add_u32 s2, s2, -8
	s_addc_u32 s3, s3, -1
	s_load_dwordx2 s[2:3], s[2:3], 0x0
	s_cmp_eq_u64 s[18:19], s[20:21]
	s_cbranch_scc1 .LBB256_32
; %bb.28:
	v_cmp_ne_u32_e32 vcc, 0, v0
	s_waitcnt lgkmcnt(0)
	v_mov_b64_e32 v[24:25], s[2:3]
	ds_write_b64 v22, v[26:27]
	s_waitcnt lgkmcnt(0)
	s_barrier
	s_and_saveexec_b64 s[12:13], vcc
	s_cbranch_execz .LBB256_30
; %bb.29:
	v_add_u32_e32 v1, -8, v22
	ds_read_b64 v[24:25], v1
.LBB256_30:
	s_or_b64 exec, exec, s[12:13]
	s_waitcnt lgkmcnt(0)
	v_sub_co_u32_e32 v24, vcc, v2, v24
	s_mov_b64 s[12:13], 0
	s_nop 0
	v_subb_co_u32_e32 v25, vcc, v3, v25, vcc
	s_branch .LBB256_33
.LBB256_31:
                                        ; implicit-def: $vgpr28_vgpr29
                                        ; implicit-def: $vgpr30_vgpr31
                                        ; implicit-def: $vgpr32_vgpr33
                                        ; implicit-def: $vgpr24_vgpr25
                                        ; implicit-def: $vgpr44_vgpr45
                                        ; implicit-def: $vgpr36_vgpr37
                                        ; implicit-def: $vgpr42_vgpr43
                                        ; implicit-def: $vgpr34_vgpr35
                                        ; implicit-def: $vgpr40_vgpr41
                                        ; implicit-def: $vgpr46_vgpr47
                                        ; implicit-def: $vgpr38_vgpr39
	s_branch .LBB256_38
.LBB256_32:
	s_mov_b64 s[12:13], -1
                                        ; implicit-def: $vgpr24_vgpr25
.LBB256_33:
	s_and_b64 vcc, exec, s[12:13]
	v_mov_b64_e32 v[28:29], v[20:21]
	v_mov_b64_e32 v[30:31], v[18:19]
	;; [unrolled: 1-line block ×10, first 2 shown]
	s_cbranch_vccz .LBB256_37
; %bb.34:
	v_mul_u32_u24_e32 v1, 11, v0
	v_cmp_ne_u32_e32 vcc, 0, v0
	s_waitcnt lgkmcnt(0)
	v_mov_b64_e32 v[24:25], s[2:3]
	ds_write_b64 v22, v[26:27]
	s_waitcnt lgkmcnt(0)
	s_barrier
	s_and_saveexec_b64 s[2:3], vcc
	s_cbranch_execz .LBB256_36
; %bb.35:
	v_add_u32_e32 v23, -8, v22
	ds_read_b64 v[24:25], v23
.LBB256_36:
	s_or_b64 exec, exec, s[2:3]
	s_mul_i32 s2, s18, 0xfffff500
	s_add_i32 s2, s2, s10
	v_add_u32_e32 v23, 10, v1
	v_cmp_gt_u32_e32 vcc, s2, v23
	v_add_u32_e32 v23, 9, v1
	s_nop 0
	v_cndmask_b32_e32 v29, 0, v21, vcc
	v_cndmask_b32_e32 v28, 0, v20, vcc
	v_cmp_gt_u32_e32 vcc, s2, v23
	v_add_u32_e32 v23, 8, v1
	s_nop 0
	v_cndmask_b32_e32 v31, 0, v19, vcc
	v_cndmask_b32_e32 v30, 0, v18, vcc
	;; [unrolled: 5-line block ×9, first 2 shown]
	v_cmp_gt_u32_e32 vcc, s2, v23
	s_nop 1
	v_cndmask_b32_e32 v45, 0, v3, vcc
	v_cndmask_b32_e32 v44, 0, v2, vcc
	v_cmp_gt_u32_e32 vcc, s2, v1
	s_waitcnt lgkmcnt(0)
	s_nop 0
	v_cndmask_b32_e32 v23, 0, v24, vcc
	v_cndmask_b32_e32 v1, 0, v25, vcc
	v_sub_co_u32_e32 v24, vcc, v2, v23
	s_nop 1
	v_subb_co_u32_e32 v25, vcc, v3, v1, vcc
.LBB256_37:
	s_waitcnt lgkmcnt(0)
	s_cbranch_execnz .LBB256_48
.LBB256_38:
	s_cmp_eq_u64 s[16:17], 1
	v_cmp_ne_u32_e32 vcc, 0, v0
	s_cbranch_scc1 .LBB256_42
; %bb.39:
	v_mov_b64_e32 v[24:25], v[2:3]
	ds_write_b64 v22, v[26:27]
	s_waitcnt lgkmcnt(0)
	s_barrier
	s_and_saveexec_b64 s[2:3], vcc
	s_cbranch_execz .LBB256_41
; %bb.40:
	v_add_u32_e32 v1, -8, v22
	ds_read_b64 v[24:25], v1
	s_waitcnt lgkmcnt(0)
	v_sub_co_u32_e32 v24, vcc, v2, v24
	s_nop 1
	v_subb_co_u32_e32 v25, vcc, v3, v25, vcc
.LBB256_41:
	s_or_b64 exec, exec, s[2:3]
	s_mov_b64 s[2:3], 0
	s_branch .LBB256_43
.LBB256_42:
	s_mov_b64 s[2:3], -1
                                        ; implicit-def: $vgpr24_vgpr25
.LBB256_43:
	s_andn2_b64 vcc, exec, s[2:3]
	v_mov_b64_e32 v[28:29], v[20:21]
	v_mov_b64_e32 v[30:31], v[18:19]
	;; [unrolled: 1-line block ×9, first 2 shown]
	s_cbranch_vccnz .LBB256_47
; %bb.44:
	v_mad_u32_u24 v23, v0, 11, 10
	v_cmp_gt_u32_e32 vcc, s10, v23
	v_mad_u32_u24 v23, v0, 11, 9
	v_mul_u32_u24_e32 v1, 11, v0
	v_cndmask_b32_e32 v29, 0, v21, vcc
	v_cndmask_b32_e32 v28, 0, v20, vcc
	v_cmp_gt_u32_e32 vcc, s10, v23
	v_mad_u32_u24 v23, v0, 11, 8
	v_cmp_gt_u32_e64 s[2:3], s10, v1
	v_cndmask_b32_e32 v31, 0, v19, vcc
	v_cndmask_b32_e32 v30, 0, v18, vcc
	v_cmp_gt_u32_e32 vcc, s10, v23
	v_mad_u32_u24 v23, v0, 11, 7
	ds_write_b64 v22, v[26:27]
	v_cndmask_b32_e32 v33, 0, v17, vcc
	v_cndmask_b32_e32 v32, 0, v16, vcc
	v_cmp_gt_u32_e32 vcc, s10, v23
	v_mad_u32_u24 v23, v0, 11, 6
	s_waitcnt lgkmcnt(0)
	v_cndmask_b32_e32 v39, 0, v15, vcc
	v_cndmask_b32_e32 v38, 0, v14, vcc
	v_cmp_gt_u32_e32 vcc, s10, v23
	v_mad_u32_u24 v23, v0, 11, 5
	s_barrier
	v_cndmask_b32_e32 v47, 0, v13, vcc
	v_cndmask_b32_e32 v46, 0, v12, vcc
	v_cmp_gt_u32_e32 vcc, s10, v23
	v_mad_u32_u24 v23, v0, 11, 4
	s_nop 0
	v_cndmask_b32_e32 v41, 0, v11, vcc
	v_cndmask_b32_e32 v40, 0, v10, vcc
	v_cmp_gt_u32_e32 vcc, s10, v23
	v_mad_u32_u24 v23, v0, 11, 3
	s_nop 0
	;; [unrolled: 5-line block ×4, first 2 shown]
	v_cndmask_b32_e32 v37, 0, v5, vcc
	v_cndmask_b32_e32 v36, 0, v4, vcc
	v_cmp_gt_u32_e32 vcc, s10, v23
	s_nop 1
	v_cndmask_b32_e32 v45, 0, v3, vcc
	v_cndmask_b32_e32 v44, 0, v2, vcc
	v_cmp_ne_u32_e32 vcc, 0, v0
	s_and_b64 s[12:13], vcc, s[2:3]
	s_and_saveexec_b64 s[2:3], s[12:13]
	s_cbranch_execz .LBB256_46
; %bb.45:
	v_add_u32_e32 v1, -8, v22
	ds_read_b64 v[24:25], v1
	s_waitcnt lgkmcnt(0)
	v_sub_co_u32_e32 v2, vcc, v2, v24
	s_nop 1
	v_subb_co_u32_e32 v3, vcc, v3, v25, vcc
.LBB256_46:
	s_or_b64 exec, exec, s[2:3]
	v_mov_b64_e32 v[24:25], v[2:3]
	v_mov_b64_e32 v[2:3], v[44:45]
.LBB256_47:
	v_mov_b64_e32 v[44:45], v[2:3]
.LBB256_48:
	v_sub_co_u32_e32 v26, vcc, v26, v28
	s_add_u32 s6, s8, s6
	s_nop 0
	v_subb_co_u32_e32 v27, vcc, v27, v29, vcc
	v_sub_co_u32_e32 v28, vcc, v20, v30
	s_addc_u32 s7, s9, s7
	s_nop 0
	v_subb_co_u32_e32 v29, vcc, v21, v31, vcc
	v_sub_co_u32_e32 v30, vcc, v18, v32
	s_nop 1
	v_subb_co_u32_e32 v31, vcc, v19, v33, vcc
	v_sub_co_u32_e32 v44, vcc, v4, v44
	s_barrier
	s_nop 0
	v_subb_co_u32_e32 v45, vcc, v5, v45, vcc
	v_sub_co_u32_e32 v36, vcc, v6, v36
	s_nop 1
	v_subb_co_u32_e32 v37, vcc, v7, v37, vcc
	v_sub_co_u32_e32 v42, vcc, v8, v42
	;; [unrolled: 3-line block ×6, first 2 shown]
	s_nop 1
	v_subb_co_u32_e32 v39, vcc, v17, v39, vcc
	s_and_b64 vcc, exec, s[0:1]
	s_cbranch_vccz .LBB256_70
; %bb.49:
	s_movk_i32 s2, 0x58
	v_mul_i32_i24_e32 v48, 0xffffffb0, v0
	v_mul_u32_u24_e32 v1, 0x58, v0
	v_mad_u32_u24 v2, v0, s2, v48
	ds_write2_b64 v1, v[24:25], v[44:45] offset1:1
	ds_write2_b64 v1, v[36:37], v[42:43] offset0:2 offset1:3
	ds_write2_b64 v1, v[34:35], v[40:41] offset0:4 offset1:5
	ds_write2_b64 v1, v[32:33], v[38:39] offset0:6 offset1:7
	ds_write2_b64 v1, v[30:31], v[28:29] offset0:8 offset1:9
	ds_write_b64 v1, v[26:27] offset:80
	s_waitcnt lgkmcnt(0)
	s_barrier
	ds_read2st64_b64 v[18:21], v2 offset0:4 offset1:8
	ds_read2st64_b64 v[14:17], v2 offset0:12 offset1:16
	;; [unrolled: 1-line block ×5, first 2 shown]
	s_mov_b32 s5, 0
	s_add_i32 s11, s11, s10
	s_lshl_b64 s[0:1], s[4:5], 3
	s_add_u32 s0, s6, s0
	s_addc_u32 s1, s7, s1
	v_mov_b32_e32 v23, 0
	v_lshl_add_u64 v[46:47], s[0:1], 0, v[22:23]
	v_cmp_gt_u32_e32 vcc, s11, v0
	s_and_saveexec_b64 s[0:1], vcc
	s_cbranch_execz .LBB256_51
; %bb.50:
	v_add_u32_e32 v1, v1, v48
	ds_read_b64 v[48:49], v1
	s_waitcnt lgkmcnt(0)
	global_store_dwordx2 v[46:47], v[48:49], off
.LBB256_51:
	s_or_b64 exec, exec, s[0:1]
	v_or_b32_e32 v1, 0x100, v0
	v_cmp_gt_u32_e32 vcc, s11, v1
	s_and_saveexec_b64 s[0:1], vcc
	s_cbranch_execz .LBB256_53
; %bb.52:
	s_waitcnt lgkmcnt(4)
	global_store_dwordx2 v[46:47], v[18:19], off offset:2048
.LBB256_53:
	s_or_b64 exec, exec, s[0:1]
	v_or_b32_e32 v1, 0x200, v0
	v_cmp_gt_u32_e32 vcc, s11, v1
	s_and_saveexec_b64 s[0:1], vcc
	s_cbranch_execz .LBB256_55
; %bb.54:
	s_waitcnt lgkmcnt(4)
	v_add_co_u32_e32 v18, vcc, 0x1000, v46
	s_nop 1
	v_addc_co_u32_e32 v19, vcc, 0, v47, vcc
	global_store_dwordx2 v[18:19], v[20:21], off
.LBB256_55:
	s_or_b64 exec, exec, s[0:1]
	v_or_b32_e32 v1, 0x300, v0
	v_cmp_gt_u32_e32 vcc, s11, v1
	s_and_saveexec_b64 s[0:1], vcc
	s_cbranch_execz .LBB256_57
; %bb.56:
	s_waitcnt lgkmcnt(4)
	v_add_co_u32_e32 v18, vcc, 0x1000, v46
	s_nop 1
	v_addc_co_u32_e32 v19, vcc, 0, v47, vcc
	s_waitcnt lgkmcnt(3)
	global_store_dwordx2 v[18:19], v[14:15], off offset:2048
.LBB256_57:
	s_or_b64 exec, exec, s[0:1]
	v_or_b32_e32 v1, 0x400, v0
	v_cmp_gt_u32_e32 vcc, s11, v1
	s_and_saveexec_b64 s[0:1], vcc
	s_cbranch_execz .LBB256_59
; %bb.58:
	s_waitcnt lgkmcnt(3)
	v_add_co_u32_e32 v14, vcc, 0x2000, v46
	s_nop 1
	v_addc_co_u32_e32 v15, vcc, 0, v47, vcc
	global_store_dwordx2 v[14:15], v[16:17], off
.LBB256_59:
	s_or_b64 exec, exec, s[0:1]
	v_or_b32_e32 v1, 0x500, v0
	v_cmp_gt_u32_e32 vcc, s11, v1
	s_and_saveexec_b64 s[0:1], vcc
	s_cbranch_execz .LBB256_61
; %bb.60:
	s_waitcnt lgkmcnt(3)
	v_add_co_u32_e32 v14, vcc, 0x2000, v46
	s_nop 1
	v_addc_co_u32_e32 v15, vcc, 0, v47, vcc
	s_waitcnt lgkmcnt(2)
	global_store_dwordx2 v[14:15], v[10:11], off offset:2048
.LBB256_61:
	s_or_b64 exec, exec, s[0:1]
	v_or_b32_e32 v1, 0x600, v0
	v_cmp_gt_u32_e32 vcc, s11, v1
	s_and_saveexec_b64 s[0:1], vcc
	s_cbranch_execz .LBB256_63
; %bb.62:
	s_waitcnt lgkmcnt(2)
	v_add_co_u32_e32 v10, vcc, 0x3000, v46
	s_nop 1
	v_addc_co_u32_e32 v11, vcc, 0, v47, vcc
	global_store_dwordx2 v[10:11], v[12:13], off
.LBB256_63:
	s_or_b64 exec, exec, s[0:1]
	v_or_b32_e32 v1, 0x700, v0
	v_cmp_gt_u32_e32 vcc, s11, v1
	s_and_saveexec_b64 s[0:1], vcc
	s_cbranch_execz .LBB256_65
; %bb.64:
	s_waitcnt lgkmcnt(2)
	v_add_co_u32_e32 v10, vcc, 0x3000, v46
	s_nop 1
	v_addc_co_u32_e32 v11, vcc, 0, v47, vcc
	s_waitcnt lgkmcnt(1)
	global_store_dwordx2 v[10:11], v[6:7], off offset:2048
.LBB256_65:
	s_or_b64 exec, exec, s[0:1]
	v_or_b32_e32 v1, 0x800, v0
	v_cmp_gt_u32_e32 vcc, s11, v1
	s_and_saveexec_b64 s[0:1], vcc
	s_cbranch_execz .LBB256_67
; %bb.66:
	s_waitcnt lgkmcnt(1)
	v_add_co_u32_e32 v6, vcc, 0x4000, v46
	s_nop 1
	v_addc_co_u32_e32 v7, vcc, 0, v47, vcc
	global_store_dwordx2 v[6:7], v[8:9], off
.LBB256_67:
	s_or_b64 exec, exec, s[0:1]
	v_or_b32_e32 v1, 0x900, v0
	v_cmp_gt_u32_e32 vcc, s11, v1
	s_and_saveexec_b64 s[0:1], vcc
	s_cbranch_execz .LBB256_69
; %bb.68:
	s_waitcnt lgkmcnt(1)
	v_add_co_u32_e32 v6, vcc, 0x4000, v46
	s_nop 1
	v_addc_co_u32_e32 v7, vcc, 0, v47, vcc
	s_waitcnt lgkmcnt(0)
	global_store_dwordx2 v[6:7], v[2:3], off offset:2048
.LBB256_69:
	s_or_b64 exec, exec, s[0:1]
	v_or_b32_e32 v1, 0xa00, v0
	v_cmp_gt_u32_e64 s[0:1], s11, v1
	s_branch .LBB256_72
.LBB256_70:
	s_mov_b64 s[0:1], 0
                                        ; implicit-def: $vgpr4_vgpr5
                                        ; implicit-def: $vgpr46_vgpr47
	s_cbranch_execz .LBB256_72
; %bb.71:
	s_mov_b32 s5, 0
	s_lshl_b64 s[2:3], s[4:5], 3
	v_mul_u32_u24_e32 v1, 0x58, v0
	s_add_u32 s2, s6, s2
	s_movk_i32 s4, 0x58
	ds_write2_b64 v1, v[24:25], v[44:45] offset1:1
	ds_write2_b64 v1, v[36:37], v[42:43] offset0:2 offset1:3
	ds_write2_b64 v1, v[34:35], v[40:41] offset0:4 offset1:5
	;; [unrolled: 1-line block ×4, first 2 shown]
	ds_write_b64 v1, v[26:27] offset:80
	v_mul_i32_i24_e32 v1, 0xffffffb0, v0
	s_addc_u32 s3, s7, s3
	s_waitcnt lgkmcnt(6)
	v_mad_u32_u24 v4, v0, s4, v1
	v_mov_b32_e32 v23, 0
	s_waitcnt lgkmcnt(0)
	s_barrier
	ds_read2st64_b64 v[0:3], v4 offset1:4
	ds_read2st64_b64 v[6:9], v4 offset0:8 offset1:12
	ds_read2st64_b64 v[10:13], v4 offset0:16 offset1:20
	;; [unrolled: 1-line block ×4, first 2 shown]
	ds_read_b64 v[4:5], v4 offset:20480
	v_lshl_add_u64 v[46:47], s[2:3], 0, v[22:23]
	s_waitcnt lgkmcnt(5)
	global_store_dwordx2 v22, v[0:1], s[2:3]
	global_store_dwordx2 v22, v[2:3], s[2:3] offset:2048
	s_movk_i32 s2, 0x1000
	v_add_co_u32_e32 v0, vcc, s2, v46
	s_movk_i32 s2, 0x2000
	s_nop 0
	v_addc_co_u32_e32 v1, vcc, 0, v47, vcc
	v_add_co_u32_e32 v2, vcc, s2, v46
	s_or_b64 s[0:1], s[0:1], exec
	s_nop 0
	v_addc_co_u32_e32 v3, vcc, 0, v47, vcc
	s_waitcnt lgkmcnt(4)
	global_store_dwordx2 v[2:3], v[6:7], off offset:-4096
	global_store_dwordx2 v[0:1], v[8:9], off offset:2048
	s_waitcnt lgkmcnt(3)
	global_store_dwordx2 v[2:3], v[10:11], off
	global_store_dwordx2 v[2:3], v[12:13], off offset:2048
	v_add_co_u32_e32 v0, vcc, 0x3000, v46
	s_nop 1
	v_addc_co_u32_e32 v1, vcc, 0, v47, vcc
	s_waitcnt lgkmcnt(2)
	global_store_dwordx2 v[0:1], v[14:15], off
	global_store_dwordx2 v[0:1], v[16:17], off offset:2048
	v_add_co_u32_e32 v0, vcc, 0x4000, v46
	s_nop 1
	v_addc_co_u32_e32 v1, vcc, 0, v47, vcc
	s_waitcnt lgkmcnt(1)
	global_store_dwordx2 v[0:1], v[18:19], off
	global_store_dwordx2 v[0:1], v[20:21], off offset:2048
.LBB256_72:
	s_and_saveexec_b64 s[2:3], s[0:1]
	s_cbranch_execnz .LBB256_74
; %bb.73:
	s_endpgm
.LBB256_74:
	v_add_co_u32_e32 v0, vcc, 0x5000, v46
	s_nop 1
	v_addc_co_u32_e32 v1, vcc, 0, v47, vcc
	s_waitcnt lgkmcnt(0)
	global_store_dwordx2 v[0:1], v[4:5], off
	s_endpgm
	.section	.rodata,"a",@progbits
	.p2align	6, 0x0
	.amdhsa_kernel _ZN7rocprim17ROCPRIM_400000_NS6detail17trampoline_kernelINS0_14default_configENS1_35adjacent_difference_config_selectorILb1ElEEZNS1_24adjacent_difference_implIS3_Lb1ELb0EPlS7_N6thrust23THRUST_200600_302600_NS5minusIlEEEE10hipError_tPvRmT2_T3_mT4_P12ihipStream_tbEUlT_E_NS1_11comp_targetILNS1_3genE5ELNS1_11target_archE942ELNS1_3gpuE9ELNS1_3repE0EEENS1_30default_config_static_selectorELNS0_4arch9wavefront6targetE1EEEvT1_
		.amdhsa_group_segment_fixed_size 22528
		.amdhsa_private_segment_fixed_size 0
		.amdhsa_kernarg_size 56
		.amdhsa_user_sgpr_count 2
		.amdhsa_user_sgpr_dispatch_ptr 0
		.amdhsa_user_sgpr_queue_ptr 0
		.amdhsa_user_sgpr_kernarg_segment_ptr 1
		.amdhsa_user_sgpr_dispatch_id 0
		.amdhsa_user_sgpr_kernarg_preload_length 0
		.amdhsa_user_sgpr_kernarg_preload_offset 0
		.amdhsa_user_sgpr_private_segment_size 0
		.amdhsa_uses_dynamic_stack 0
		.amdhsa_enable_private_segment 0
		.amdhsa_system_sgpr_workgroup_id_x 1
		.amdhsa_system_sgpr_workgroup_id_y 0
		.amdhsa_system_sgpr_workgroup_id_z 0
		.amdhsa_system_sgpr_workgroup_info 0
		.amdhsa_system_vgpr_workitem_id 0
		.amdhsa_next_free_vgpr 50
		.amdhsa_next_free_sgpr 29
		.amdhsa_accum_offset 52
		.amdhsa_reserve_vcc 1
		.amdhsa_float_round_mode_32 0
		.amdhsa_float_round_mode_16_64 0
		.amdhsa_float_denorm_mode_32 3
		.amdhsa_float_denorm_mode_16_64 3
		.amdhsa_dx10_clamp 1
		.amdhsa_ieee_mode 1
		.amdhsa_fp16_overflow 0
		.amdhsa_tg_split 0
		.amdhsa_exception_fp_ieee_invalid_op 0
		.amdhsa_exception_fp_denorm_src 0
		.amdhsa_exception_fp_ieee_div_zero 0
		.amdhsa_exception_fp_ieee_overflow 0
		.amdhsa_exception_fp_ieee_underflow 0
		.amdhsa_exception_fp_ieee_inexact 0
		.amdhsa_exception_int_div_zero 0
	.end_amdhsa_kernel
	.section	.text._ZN7rocprim17ROCPRIM_400000_NS6detail17trampoline_kernelINS0_14default_configENS1_35adjacent_difference_config_selectorILb1ElEEZNS1_24adjacent_difference_implIS3_Lb1ELb0EPlS7_N6thrust23THRUST_200600_302600_NS5minusIlEEEE10hipError_tPvRmT2_T3_mT4_P12ihipStream_tbEUlT_E_NS1_11comp_targetILNS1_3genE5ELNS1_11target_archE942ELNS1_3gpuE9ELNS1_3repE0EEENS1_30default_config_static_selectorELNS0_4arch9wavefront6targetE1EEEvT1_,"axG",@progbits,_ZN7rocprim17ROCPRIM_400000_NS6detail17trampoline_kernelINS0_14default_configENS1_35adjacent_difference_config_selectorILb1ElEEZNS1_24adjacent_difference_implIS3_Lb1ELb0EPlS7_N6thrust23THRUST_200600_302600_NS5minusIlEEEE10hipError_tPvRmT2_T3_mT4_P12ihipStream_tbEUlT_E_NS1_11comp_targetILNS1_3genE5ELNS1_11target_archE942ELNS1_3gpuE9ELNS1_3repE0EEENS1_30default_config_static_selectorELNS0_4arch9wavefront6targetE1EEEvT1_,comdat
.Lfunc_end256:
	.size	_ZN7rocprim17ROCPRIM_400000_NS6detail17trampoline_kernelINS0_14default_configENS1_35adjacent_difference_config_selectorILb1ElEEZNS1_24adjacent_difference_implIS3_Lb1ELb0EPlS7_N6thrust23THRUST_200600_302600_NS5minusIlEEEE10hipError_tPvRmT2_T3_mT4_P12ihipStream_tbEUlT_E_NS1_11comp_targetILNS1_3genE5ELNS1_11target_archE942ELNS1_3gpuE9ELNS1_3repE0EEENS1_30default_config_static_selectorELNS0_4arch9wavefront6targetE1EEEvT1_, .Lfunc_end256-_ZN7rocprim17ROCPRIM_400000_NS6detail17trampoline_kernelINS0_14default_configENS1_35adjacent_difference_config_selectorILb1ElEEZNS1_24adjacent_difference_implIS3_Lb1ELb0EPlS7_N6thrust23THRUST_200600_302600_NS5minusIlEEEE10hipError_tPvRmT2_T3_mT4_P12ihipStream_tbEUlT_E_NS1_11comp_targetILNS1_3genE5ELNS1_11target_archE942ELNS1_3gpuE9ELNS1_3repE0EEENS1_30default_config_static_selectorELNS0_4arch9wavefront6targetE1EEEvT1_
                                        ; -- End function
	.section	.AMDGPU.csdata,"",@progbits
; Kernel info:
; codeLenInByte = 3464
; NumSgprs: 35
; NumVgprs: 50
; NumAgprs: 0
; TotalNumVgprs: 50
; ScratchSize: 0
; MemoryBound: 0
; FloatMode: 240
; IeeeMode: 1
; LDSByteSize: 22528 bytes/workgroup (compile time only)
; SGPRBlocks: 4
; VGPRBlocks: 6
; NumSGPRsForWavesPerEU: 35
; NumVGPRsForWavesPerEU: 50
; AccumOffset: 52
; Occupancy: 2
; WaveLimiterHint : 1
; COMPUTE_PGM_RSRC2:SCRATCH_EN: 0
; COMPUTE_PGM_RSRC2:USER_SGPR: 2
; COMPUTE_PGM_RSRC2:TRAP_HANDLER: 0
; COMPUTE_PGM_RSRC2:TGID_X_EN: 1
; COMPUTE_PGM_RSRC2:TGID_Y_EN: 0
; COMPUTE_PGM_RSRC2:TGID_Z_EN: 0
; COMPUTE_PGM_RSRC2:TIDIG_COMP_CNT: 0
; COMPUTE_PGM_RSRC3_GFX90A:ACCUM_OFFSET: 12
; COMPUTE_PGM_RSRC3_GFX90A:TG_SPLIT: 0
	.section	.text._ZN7rocprim17ROCPRIM_400000_NS6detail17trampoline_kernelINS0_14default_configENS1_35adjacent_difference_config_selectorILb1ElEEZNS1_24adjacent_difference_implIS3_Lb1ELb0EPlS7_N6thrust23THRUST_200600_302600_NS5minusIlEEEE10hipError_tPvRmT2_T3_mT4_P12ihipStream_tbEUlT_E_NS1_11comp_targetILNS1_3genE4ELNS1_11target_archE910ELNS1_3gpuE8ELNS1_3repE0EEENS1_30default_config_static_selectorELNS0_4arch9wavefront6targetE1EEEvT1_,"axG",@progbits,_ZN7rocprim17ROCPRIM_400000_NS6detail17trampoline_kernelINS0_14default_configENS1_35adjacent_difference_config_selectorILb1ElEEZNS1_24adjacent_difference_implIS3_Lb1ELb0EPlS7_N6thrust23THRUST_200600_302600_NS5minusIlEEEE10hipError_tPvRmT2_T3_mT4_P12ihipStream_tbEUlT_E_NS1_11comp_targetILNS1_3genE4ELNS1_11target_archE910ELNS1_3gpuE8ELNS1_3repE0EEENS1_30default_config_static_selectorELNS0_4arch9wavefront6targetE1EEEvT1_,comdat
	.protected	_ZN7rocprim17ROCPRIM_400000_NS6detail17trampoline_kernelINS0_14default_configENS1_35adjacent_difference_config_selectorILb1ElEEZNS1_24adjacent_difference_implIS3_Lb1ELb0EPlS7_N6thrust23THRUST_200600_302600_NS5minusIlEEEE10hipError_tPvRmT2_T3_mT4_P12ihipStream_tbEUlT_E_NS1_11comp_targetILNS1_3genE4ELNS1_11target_archE910ELNS1_3gpuE8ELNS1_3repE0EEENS1_30default_config_static_selectorELNS0_4arch9wavefront6targetE1EEEvT1_ ; -- Begin function _ZN7rocprim17ROCPRIM_400000_NS6detail17trampoline_kernelINS0_14default_configENS1_35adjacent_difference_config_selectorILb1ElEEZNS1_24adjacent_difference_implIS3_Lb1ELb0EPlS7_N6thrust23THRUST_200600_302600_NS5minusIlEEEE10hipError_tPvRmT2_T3_mT4_P12ihipStream_tbEUlT_E_NS1_11comp_targetILNS1_3genE4ELNS1_11target_archE910ELNS1_3gpuE8ELNS1_3repE0EEENS1_30default_config_static_selectorELNS0_4arch9wavefront6targetE1EEEvT1_
	.globl	_ZN7rocprim17ROCPRIM_400000_NS6detail17trampoline_kernelINS0_14default_configENS1_35adjacent_difference_config_selectorILb1ElEEZNS1_24adjacent_difference_implIS3_Lb1ELb0EPlS7_N6thrust23THRUST_200600_302600_NS5minusIlEEEE10hipError_tPvRmT2_T3_mT4_P12ihipStream_tbEUlT_E_NS1_11comp_targetILNS1_3genE4ELNS1_11target_archE910ELNS1_3gpuE8ELNS1_3repE0EEENS1_30default_config_static_selectorELNS0_4arch9wavefront6targetE1EEEvT1_
	.p2align	8
	.type	_ZN7rocprim17ROCPRIM_400000_NS6detail17trampoline_kernelINS0_14default_configENS1_35adjacent_difference_config_selectorILb1ElEEZNS1_24adjacent_difference_implIS3_Lb1ELb0EPlS7_N6thrust23THRUST_200600_302600_NS5minusIlEEEE10hipError_tPvRmT2_T3_mT4_P12ihipStream_tbEUlT_E_NS1_11comp_targetILNS1_3genE4ELNS1_11target_archE910ELNS1_3gpuE8ELNS1_3repE0EEENS1_30default_config_static_selectorELNS0_4arch9wavefront6targetE1EEEvT1_,@function
_ZN7rocprim17ROCPRIM_400000_NS6detail17trampoline_kernelINS0_14default_configENS1_35adjacent_difference_config_selectorILb1ElEEZNS1_24adjacent_difference_implIS3_Lb1ELb0EPlS7_N6thrust23THRUST_200600_302600_NS5minusIlEEEE10hipError_tPvRmT2_T3_mT4_P12ihipStream_tbEUlT_E_NS1_11comp_targetILNS1_3genE4ELNS1_11target_archE910ELNS1_3gpuE8ELNS1_3repE0EEENS1_30default_config_static_selectorELNS0_4arch9wavefront6targetE1EEEvT1_: ; @_ZN7rocprim17ROCPRIM_400000_NS6detail17trampoline_kernelINS0_14default_configENS1_35adjacent_difference_config_selectorILb1ElEEZNS1_24adjacent_difference_implIS3_Lb1ELb0EPlS7_N6thrust23THRUST_200600_302600_NS5minusIlEEEE10hipError_tPvRmT2_T3_mT4_P12ihipStream_tbEUlT_E_NS1_11comp_targetILNS1_3genE4ELNS1_11target_archE910ELNS1_3gpuE8ELNS1_3repE0EEENS1_30default_config_static_selectorELNS0_4arch9wavefront6targetE1EEEvT1_
; %bb.0:
	.section	.rodata,"a",@progbits
	.p2align	6, 0x0
	.amdhsa_kernel _ZN7rocprim17ROCPRIM_400000_NS6detail17trampoline_kernelINS0_14default_configENS1_35adjacent_difference_config_selectorILb1ElEEZNS1_24adjacent_difference_implIS3_Lb1ELb0EPlS7_N6thrust23THRUST_200600_302600_NS5minusIlEEEE10hipError_tPvRmT2_T3_mT4_P12ihipStream_tbEUlT_E_NS1_11comp_targetILNS1_3genE4ELNS1_11target_archE910ELNS1_3gpuE8ELNS1_3repE0EEENS1_30default_config_static_selectorELNS0_4arch9wavefront6targetE1EEEvT1_
		.amdhsa_group_segment_fixed_size 0
		.amdhsa_private_segment_fixed_size 0
		.amdhsa_kernarg_size 56
		.amdhsa_user_sgpr_count 2
		.amdhsa_user_sgpr_dispatch_ptr 0
		.amdhsa_user_sgpr_queue_ptr 0
		.amdhsa_user_sgpr_kernarg_segment_ptr 1
		.amdhsa_user_sgpr_dispatch_id 0
		.amdhsa_user_sgpr_kernarg_preload_length 0
		.amdhsa_user_sgpr_kernarg_preload_offset 0
		.amdhsa_user_sgpr_private_segment_size 0
		.amdhsa_uses_dynamic_stack 0
		.amdhsa_enable_private_segment 0
		.amdhsa_system_sgpr_workgroup_id_x 1
		.amdhsa_system_sgpr_workgroup_id_y 0
		.amdhsa_system_sgpr_workgroup_id_z 0
		.amdhsa_system_sgpr_workgroup_info 0
		.amdhsa_system_vgpr_workitem_id 0
		.amdhsa_next_free_vgpr 1
		.amdhsa_next_free_sgpr 0
		.amdhsa_accum_offset 4
		.amdhsa_reserve_vcc 0
		.amdhsa_float_round_mode_32 0
		.amdhsa_float_round_mode_16_64 0
		.amdhsa_float_denorm_mode_32 3
		.amdhsa_float_denorm_mode_16_64 3
		.amdhsa_dx10_clamp 1
		.amdhsa_ieee_mode 1
		.amdhsa_fp16_overflow 0
		.amdhsa_tg_split 0
		.amdhsa_exception_fp_ieee_invalid_op 0
		.amdhsa_exception_fp_denorm_src 0
		.amdhsa_exception_fp_ieee_div_zero 0
		.amdhsa_exception_fp_ieee_overflow 0
		.amdhsa_exception_fp_ieee_underflow 0
		.amdhsa_exception_fp_ieee_inexact 0
		.amdhsa_exception_int_div_zero 0
	.end_amdhsa_kernel
	.section	.text._ZN7rocprim17ROCPRIM_400000_NS6detail17trampoline_kernelINS0_14default_configENS1_35adjacent_difference_config_selectorILb1ElEEZNS1_24adjacent_difference_implIS3_Lb1ELb0EPlS7_N6thrust23THRUST_200600_302600_NS5minusIlEEEE10hipError_tPvRmT2_T3_mT4_P12ihipStream_tbEUlT_E_NS1_11comp_targetILNS1_3genE4ELNS1_11target_archE910ELNS1_3gpuE8ELNS1_3repE0EEENS1_30default_config_static_selectorELNS0_4arch9wavefront6targetE1EEEvT1_,"axG",@progbits,_ZN7rocprim17ROCPRIM_400000_NS6detail17trampoline_kernelINS0_14default_configENS1_35adjacent_difference_config_selectorILb1ElEEZNS1_24adjacent_difference_implIS3_Lb1ELb0EPlS7_N6thrust23THRUST_200600_302600_NS5minusIlEEEE10hipError_tPvRmT2_T3_mT4_P12ihipStream_tbEUlT_E_NS1_11comp_targetILNS1_3genE4ELNS1_11target_archE910ELNS1_3gpuE8ELNS1_3repE0EEENS1_30default_config_static_selectorELNS0_4arch9wavefront6targetE1EEEvT1_,comdat
.Lfunc_end257:
	.size	_ZN7rocprim17ROCPRIM_400000_NS6detail17trampoline_kernelINS0_14default_configENS1_35adjacent_difference_config_selectorILb1ElEEZNS1_24adjacent_difference_implIS3_Lb1ELb0EPlS7_N6thrust23THRUST_200600_302600_NS5minusIlEEEE10hipError_tPvRmT2_T3_mT4_P12ihipStream_tbEUlT_E_NS1_11comp_targetILNS1_3genE4ELNS1_11target_archE910ELNS1_3gpuE8ELNS1_3repE0EEENS1_30default_config_static_selectorELNS0_4arch9wavefront6targetE1EEEvT1_, .Lfunc_end257-_ZN7rocprim17ROCPRIM_400000_NS6detail17trampoline_kernelINS0_14default_configENS1_35adjacent_difference_config_selectorILb1ElEEZNS1_24adjacent_difference_implIS3_Lb1ELb0EPlS7_N6thrust23THRUST_200600_302600_NS5minusIlEEEE10hipError_tPvRmT2_T3_mT4_P12ihipStream_tbEUlT_E_NS1_11comp_targetILNS1_3genE4ELNS1_11target_archE910ELNS1_3gpuE8ELNS1_3repE0EEENS1_30default_config_static_selectorELNS0_4arch9wavefront6targetE1EEEvT1_
                                        ; -- End function
	.section	.AMDGPU.csdata,"",@progbits
; Kernel info:
; codeLenInByte = 0
; NumSgprs: 6
; NumVgprs: 0
; NumAgprs: 0
; TotalNumVgprs: 0
; ScratchSize: 0
; MemoryBound: 0
; FloatMode: 240
; IeeeMode: 1
; LDSByteSize: 0 bytes/workgroup (compile time only)
; SGPRBlocks: 0
; VGPRBlocks: 0
; NumSGPRsForWavesPerEU: 6
; NumVGPRsForWavesPerEU: 1
; AccumOffset: 4
; Occupancy: 8
; WaveLimiterHint : 0
; COMPUTE_PGM_RSRC2:SCRATCH_EN: 0
; COMPUTE_PGM_RSRC2:USER_SGPR: 2
; COMPUTE_PGM_RSRC2:TRAP_HANDLER: 0
; COMPUTE_PGM_RSRC2:TGID_X_EN: 1
; COMPUTE_PGM_RSRC2:TGID_Y_EN: 0
; COMPUTE_PGM_RSRC2:TGID_Z_EN: 0
; COMPUTE_PGM_RSRC2:TIDIG_COMP_CNT: 0
; COMPUTE_PGM_RSRC3_GFX90A:ACCUM_OFFSET: 0
; COMPUTE_PGM_RSRC3_GFX90A:TG_SPLIT: 0
	.section	.text._ZN7rocprim17ROCPRIM_400000_NS6detail17trampoline_kernelINS0_14default_configENS1_35adjacent_difference_config_selectorILb1ElEEZNS1_24adjacent_difference_implIS3_Lb1ELb0EPlS7_N6thrust23THRUST_200600_302600_NS5minusIlEEEE10hipError_tPvRmT2_T3_mT4_P12ihipStream_tbEUlT_E_NS1_11comp_targetILNS1_3genE3ELNS1_11target_archE908ELNS1_3gpuE7ELNS1_3repE0EEENS1_30default_config_static_selectorELNS0_4arch9wavefront6targetE1EEEvT1_,"axG",@progbits,_ZN7rocprim17ROCPRIM_400000_NS6detail17trampoline_kernelINS0_14default_configENS1_35adjacent_difference_config_selectorILb1ElEEZNS1_24adjacent_difference_implIS3_Lb1ELb0EPlS7_N6thrust23THRUST_200600_302600_NS5minusIlEEEE10hipError_tPvRmT2_T3_mT4_P12ihipStream_tbEUlT_E_NS1_11comp_targetILNS1_3genE3ELNS1_11target_archE908ELNS1_3gpuE7ELNS1_3repE0EEENS1_30default_config_static_selectorELNS0_4arch9wavefront6targetE1EEEvT1_,comdat
	.protected	_ZN7rocprim17ROCPRIM_400000_NS6detail17trampoline_kernelINS0_14default_configENS1_35adjacent_difference_config_selectorILb1ElEEZNS1_24adjacent_difference_implIS3_Lb1ELb0EPlS7_N6thrust23THRUST_200600_302600_NS5minusIlEEEE10hipError_tPvRmT2_T3_mT4_P12ihipStream_tbEUlT_E_NS1_11comp_targetILNS1_3genE3ELNS1_11target_archE908ELNS1_3gpuE7ELNS1_3repE0EEENS1_30default_config_static_selectorELNS0_4arch9wavefront6targetE1EEEvT1_ ; -- Begin function _ZN7rocprim17ROCPRIM_400000_NS6detail17trampoline_kernelINS0_14default_configENS1_35adjacent_difference_config_selectorILb1ElEEZNS1_24adjacent_difference_implIS3_Lb1ELb0EPlS7_N6thrust23THRUST_200600_302600_NS5minusIlEEEE10hipError_tPvRmT2_T3_mT4_P12ihipStream_tbEUlT_E_NS1_11comp_targetILNS1_3genE3ELNS1_11target_archE908ELNS1_3gpuE7ELNS1_3repE0EEENS1_30default_config_static_selectorELNS0_4arch9wavefront6targetE1EEEvT1_
	.globl	_ZN7rocprim17ROCPRIM_400000_NS6detail17trampoline_kernelINS0_14default_configENS1_35adjacent_difference_config_selectorILb1ElEEZNS1_24adjacent_difference_implIS3_Lb1ELb0EPlS7_N6thrust23THRUST_200600_302600_NS5minusIlEEEE10hipError_tPvRmT2_T3_mT4_P12ihipStream_tbEUlT_E_NS1_11comp_targetILNS1_3genE3ELNS1_11target_archE908ELNS1_3gpuE7ELNS1_3repE0EEENS1_30default_config_static_selectorELNS0_4arch9wavefront6targetE1EEEvT1_
	.p2align	8
	.type	_ZN7rocprim17ROCPRIM_400000_NS6detail17trampoline_kernelINS0_14default_configENS1_35adjacent_difference_config_selectorILb1ElEEZNS1_24adjacent_difference_implIS3_Lb1ELb0EPlS7_N6thrust23THRUST_200600_302600_NS5minusIlEEEE10hipError_tPvRmT2_T3_mT4_P12ihipStream_tbEUlT_E_NS1_11comp_targetILNS1_3genE3ELNS1_11target_archE908ELNS1_3gpuE7ELNS1_3repE0EEENS1_30default_config_static_selectorELNS0_4arch9wavefront6targetE1EEEvT1_,@function
_ZN7rocprim17ROCPRIM_400000_NS6detail17trampoline_kernelINS0_14default_configENS1_35adjacent_difference_config_selectorILb1ElEEZNS1_24adjacent_difference_implIS3_Lb1ELb0EPlS7_N6thrust23THRUST_200600_302600_NS5minusIlEEEE10hipError_tPvRmT2_T3_mT4_P12ihipStream_tbEUlT_E_NS1_11comp_targetILNS1_3genE3ELNS1_11target_archE908ELNS1_3gpuE7ELNS1_3repE0EEENS1_30default_config_static_selectorELNS0_4arch9wavefront6targetE1EEEvT1_: ; @_ZN7rocprim17ROCPRIM_400000_NS6detail17trampoline_kernelINS0_14default_configENS1_35adjacent_difference_config_selectorILb1ElEEZNS1_24adjacent_difference_implIS3_Lb1ELb0EPlS7_N6thrust23THRUST_200600_302600_NS5minusIlEEEE10hipError_tPvRmT2_T3_mT4_P12ihipStream_tbEUlT_E_NS1_11comp_targetILNS1_3genE3ELNS1_11target_archE908ELNS1_3gpuE7ELNS1_3repE0EEENS1_30default_config_static_selectorELNS0_4arch9wavefront6targetE1EEEvT1_
; %bb.0:
	.section	.rodata,"a",@progbits
	.p2align	6, 0x0
	.amdhsa_kernel _ZN7rocprim17ROCPRIM_400000_NS6detail17trampoline_kernelINS0_14default_configENS1_35adjacent_difference_config_selectorILb1ElEEZNS1_24adjacent_difference_implIS3_Lb1ELb0EPlS7_N6thrust23THRUST_200600_302600_NS5minusIlEEEE10hipError_tPvRmT2_T3_mT4_P12ihipStream_tbEUlT_E_NS1_11comp_targetILNS1_3genE3ELNS1_11target_archE908ELNS1_3gpuE7ELNS1_3repE0EEENS1_30default_config_static_selectorELNS0_4arch9wavefront6targetE1EEEvT1_
		.amdhsa_group_segment_fixed_size 0
		.amdhsa_private_segment_fixed_size 0
		.amdhsa_kernarg_size 56
		.amdhsa_user_sgpr_count 2
		.amdhsa_user_sgpr_dispatch_ptr 0
		.amdhsa_user_sgpr_queue_ptr 0
		.amdhsa_user_sgpr_kernarg_segment_ptr 1
		.amdhsa_user_sgpr_dispatch_id 0
		.amdhsa_user_sgpr_kernarg_preload_length 0
		.amdhsa_user_sgpr_kernarg_preload_offset 0
		.amdhsa_user_sgpr_private_segment_size 0
		.amdhsa_uses_dynamic_stack 0
		.amdhsa_enable_private_segment 0
		.amdhsa_system_sgpr_workgroup_id_x 1
		.amdhsa_system_sgpr_workgroup_id_y 0
		.amdhsa_system_sgpr_workgroup_id_z 0
		.amdhsa_system_sgpr_workgroup_info 0
		.amdhsa_system_vgpr_workitem_id 0
		.amdhsa_next_free_vgpr 1
		.amdhsa_next_free_sgpr 0
		.amdhsa_accum_offset 4
		.amdhsa_reserve_vcc 0
		.amdhsa_float_round_mode_32 0
		.amdhsa_float_round_mode_16_64 0
		.amdhsa_float_denorm_mode_32 3
		.amdhsa_float_denorm_mode_16_64 3
		.amdhsa_dx10_clamp 1
		.amdhsa_ieee_mode 1
		.amdhsa_fp16_overflow 0
		.amdhsa_tg_split 0
		.amdhsa_exception_fp_ieee_invalid_op 0
		.amdhsa_exception_fp_denorm_src 0
		.amdhsa_exception_fp_ieee_div_zero 0
		.amdhsa_exception_fp_ieee_overflow 0
		.amdhsa_exception_fp_ieee_underflow 0
		.amdhsa_exception_fp_ieee_inexact 0
		.amdhsa_exception_int_div_zero 0
	.end_amdhsa_kernel
	.section	.text._ZN7rocprim17ROCPRIM_400000_NS6detail17trampoline_kernelINS0_14default_configENS1_35adjacent_difference_config_selectorILb1ElEEZNS1_24adjacent_difference_implIS3_Lb1ELb0EPlS7_N6thrust23THRUST_200600_302600_NS5minusIlEEEE10hipError_tPvRmT2_T3_mT4_P12ihipStream_tbEUlT_E_NS1_11comp_targetILNS1_3genE3ELNS1_11target_archE908ELNS1_3gpuE7ELNS1_3repE0EEENS1_30default_config_static_selectorELNS0_4arch9wavefront6targetE1EEEvT1_,"axG",@progbits,_ZN7rocprim17ROCPRIM_400000_NS6detail17trampoline_kernelINS0_14default_configENS1_35adjacent_difference_config_selectorILb1ElEEZNS1_24adjacent_difference_implIS3_Lb1ELb0EPlS7_N6thrust23THRUST_200600_302600_NS5minusIlEEEE10hipError_tPvRmT2_T3_mT4_P12ihipStream_tbEUlT_E_NS1_11comp_targetILNS1_3genE3ELNS1_11target_archE908ELNS1_3gpuE7ELNS1_3repE0EEENS1_30default_config_static_selectorELNS0_4arch9wavefront6targetE1EEEvT1_,comdat
.Lfunc_end258:
	.size	_ZN7rocprim17ROCPRIM_400000_NS6detail17trampoline_kernelINS0_14default_configENS1_35adjacent_difference_config_selectorILb1ElEEZNS1_24adjacent_difference_implIS3_Lb1ELb0EPlS7_N6thrust23THRUST_200600_302600_NS5minusIlEEEE10hipError_tPvRmT2_T3_mT4_P12ihipStream_tbEUlT_E_NS1_11comp_targetILNS1_3genE3ELNS1_11target_archE908ELNS1_3gpuE7ELNS1_3repE0EEENS1_30default_config_static_selectorELNS0_4arch9wavefront6targetE1EEEvT1_, .Lfunc_end258-_ZN7rocprim17ROCPRIM_400000_NS6detail17trampoline_kernelINS0_14default_configENS1_35adjacent_difference_config_selectorILb1ElEEZNS1_24adjacent_difference_implIS3_Lb1ELb0EPlS7_N6thrust23THRUST_200600_302600_NS5minusIlEEEE10hipError_tPvRmT2_T3_mT4_P12ihipStream_tbEUlT_E_NS1_11comp_targetILNS1_3genE3ELNS1_11target_archE908ELNS1_3gpuE7ELNS1_3repE0EEENS1_30default_config_static_selectorELNS0_4arch9wavefront6targetE1EEEvT1_
                                        ; -- End function
	.section	.AMDGPU.csdata,"",@progbits
; Kernel info:
; codeLenInByte = 0
; NumSgprs: 6
; NumVgprs: 0
; NumAgprs: 0
; TotalNumVgprs: 0
; ScratchSize: 0
; MemoryBound: 0
; FloatMode: 240
; IeeeMode: 1
; LDSByteSize: 0 bytes/workgroup (compile time only)
; SGPRBlocks: 0
; VGPRBlocks: 0
; NumSGPRsForWavesPerEU: 6
; NumVGPRsForWavesPerEU: 1
; AccumOffset: 4
; Occupancy: 8
; WaveLimiterHint : 0
; COMPUTE_PGM_RSRC2:SCRATCH_EN: 0
; COMPUTE_PGM_RSRC2:USER_SGPR: 2
; COMPUTE_PGM_RSRC2:TRAP_HANDLER: 0
; COMPUTE_PGM_RSRC2:TGID_X_EN: 1
; COMPUTE_PGM_RSRC2:TGID_Y_EN: 0
; COMPUTE_PGM_RSRC2:TGID_Z_EN: 0
; COMPUTE_PGM_RSRC2:TIDIG_COMP_CNT: 0
; COMPUTE_PGM_RSRC3_GFX90A:ACCUM_OFFSET: 0
; COMPUTE_PGM_RSRC3_GFX90A:TG_SPLIT: 0
	.section	.text._ZN7rocprim17ROCPRIM_400000_NS6detail17trampoline_kernelINS0_14default_configENS1_35adjacent_difference_config_selectorILb1ElEEZNS1_24adjacent_difference_implIS3_Lb1ELb0EPlS7_N6thrust23THRUST_200600_302600_NS5minusIlEEEE10hipError_tPvRmT2_T3_mT4_P12ihipStream_tbEUlT_E_NS1_11comp_targetILNS1_3genE2ELNS1_11target_archE906ELNS1_3gpuE6ELNS1_3repE0EEENS1_30default_config_static_selectorELNS0_4arch9wavefront6targetE1EEEvT1_,"axG",@progbits,_ZN7rocprim17ROCPRIM_400000_NS6detail17trampoline_kernelINS0_14default_configENS1_35adjacent_difference_config_selectorILb1ElEEZNS1_24adjacent_difference_implIS3_Lb1ELb0EPlS7_N6thrust23THRUST_200600_302600_NS5minusIlEEEE10hipError_tPvRmT2_T3_mT4_P12ihipStream_tbEUlT_E_NS1_11comp_targetILNS1_3genE2ELNS1_11target_archE906ELNS1_3gpuE6ELNS1_3repE0EEENS1_30default_config_static_selectorELNS0_4arch9wavefront6targetE1EEEvT1_,comdat
	.protected	_ZN7rocprim17ROCPRIM_400000_NS6detail17trampoline_kernelINS0_14default_configENS1_35adjacent_difference_config_selectorILb1ElEEZNS1_24adjacent_difference_implIS3_Lb1ELb0EPlS7_N6thrust23THRUST_200600_302600_NS5minusIlEEEE10hipError_tPvRmT2_T3_mT4_P12ihipStream_tbEUlT_E_NS1_11comp_targetILNS1_3genE2ELNS1_11target_archE906ELNS1_3gpuE6ELNS1_3repE0EEENS1_30default_config_static_selectorELNS0_4arch9wavefront6targetE1EEEvT1_ ; -- Begin function _ZN7rocprim17ROCPRIM_400000_NS6detail17trampoline_kernelINS0_14default_configENS1_35adjacent_difference_config_selectorILb1ElEEZNS1_24adjacent_difference_implIS3_Lb1ELb0EPlS7_N6thrust23THRUST_200600_302600_NS5minusIlEEEE10hipError_tPvRmT2_T3_mT4_P12ihipStream_tbEUlT_E_NS1_11comp_targetILNS1_3genE2ELNS1_11target_archE906ELNS1_3gpuE6ELNS1_3repE0EEENS1_30default_config_static_selectorELNS0_4arch9wavefront6targetE1EEEvT1_
	.globl	_ZN7rocprim17ROCPRIM_400000_NS6detail17trampoline_kernelINS0_14default_configENS1_35adjacent_difference_config_selectorILb1ElEEZNS1_24adjacent_difference_implIS3_Lb1ELb0EPlS7_N6thrust23THRUST_200600_302600_NS5minusIlEEEE10hipError_tPvRmT2_T3_mT4_P12ihipStream_tbEUlT_E_NS1_11comp_targetILNS1_3genE2ELNS1_11target_archE906ELNS1_3gpuE6ELNS1_3repE0EEENS1_30default_config_static_selectorELNS0_4arch9wavefront6targetE1EEEvT1_
	.p2align	8
	.type	_ZN7rocprim17ROCPRIM_400000_NS6detail17trampoline_kernelINS0_14default_configENS1_35adjacent_difference_config_selectorILb1ElEEZNS1_24adjacent_difference_implIS3_Lb1ELb0EPlS7_N6thrust23THRUST_200600_302600_NS5minusIlEEEE10hipError_tPvRmT2_T3_mT4_P12ihipStream_tbEUlT_E_NS1_11comp_targetILNS1_3genE2ELNS1_11target_archE906ELNS1_3gpuE6ELNS1_3repE0EEENS1_30default_config_static_selectorELNS0_4arch9wavefront6targetE1EEEvT1_,@function
_ZN7rocprim17ROCPRIM_400000_NS6detail17trampoline_kernelINS0_14default_configENS1_35adjacent_difference_config_selectorILb1ElEEZNS1_24adjacent_difference_implIS3_Lb1ELb0EPlS7_N6thrust23THRUST_200600_302600_NS5minusIlEEEE10hipError_tPvRmT2_T3_mT4_P12ihipStream_tbEUlT_E_NS1_11comp_targetILNS1_3genE2ELNS1_11target_archE906ELNS1_3gpuE6ELNS1_3repE0EEENS1_30default_config_static_selectorELNS0_4arch9wavefront6targetE1EEEvT1_: ; @_ZN7rocprim17ROCPRIM_400000_NS6detail17trampoline_kernelINS0_14default_configENS1_35adjacent_difference_config_selectorILb1ElEEZNS1_24adjacent_difference_implIS3_Lb1ELb0EPlS7_N6thrust23THRUST_200600_302600_NS5minusIlEEEE10hipError_tPvRmT2_T3_mT4_P12ihipStream_tbEUlT_E_NS1_11comp_targetILNS1_3genE2ELNS1_11target_archE906ELNS1_3gpuE6ELNS1_3repE0EEENS1_30default_config_static_selectorELNS0_4arch9wavefront6targetE1EEEvT1_
; %bb.0:
	.section	.rodata,"a",@progbits
	.p2align	6, 0x0
	.amdhsa_kernel _ZN7rocprim17ROCPRIM_400000_NS6detail17trampoline_kernelINS0_14default_configENS1_35adjacent_difference_config_selectorILb1ElEEZNS1_24adjacent_difference_implIS3_Lb1ELb0EPlS7_N6thrust23THRUST_200600_302600_NS5minusIlEEEE10hipError_tPvRmT2_T3_mT4_P12ihipStream_tbEUlT_E_NS1_11comp_targetILNS1_3genE2ELNS1_11target_archE906ELNS1_3gpuE6ELNS1_3repE0EEENS1_30default_config_static_selectorELNS0_4arch9wavefront6targetE1EEEvT1_
		.amdhsa_group_segment_fixed_size 0
		.amdhsa_private_segment_fixed_size 0
		.amdhsa_kernarg_size 56
		.amdhsa_user_sgpr_count 2
		.amdhsa_user_sgpr_dispatch_ptr 0
		.amdhsa_user_sgpr_queue_ptr 0
		.amdhsa_user_sgpr_kernarg_segment_ptr 1
		.amdhsa_user_sgpr_dispatch_id 0
		.amdhsa_user_sgpr_kernarg_preload_length 0
		.amdhsa_user_sgpr_kernarg_preload_offset 0
		.amdhsa_user_sgpr_private_segment_size 0
		.amdhsa_uses_dynamic_stack 0
		.amdhsa_enable_private_segment 0
		.amdhsa_system_sgpr_workgroup_id_x 1
		.amdhsa_system_sgpr_workgroup_id_y 0
		.amdhsa_system_sgpr_workgroup_id_z 0
		.amdhsa_system_sgpr_workgroup_info 0
		.amdhsa_system_vgpr_workitem_id 0
		.amdhsa_next_free_vgpr 1
		.amdhsa_next_free_sgpr 0
		.amdhsa_accum_offset 4
		.amdhsa_reserve_vcc 0
		.amdhsa_float_round_mode_32 0
		.amdhsa_float_round_mode_16_64 0
		.amdhsa_float_denorm_mode_32 3
		.amdhsa_float_denorm_mode_16_64 3
		.amdhsa_dx10_clamp 1
		.amdhsa_ieee_mode 1
		.amdhsa_fp16_overflow 0
		.amdhsa_tg_split 0
		.amdhsa_exception_fp_ieee_invalid_op 0
		.amdhsa_exception_fp_denorm_src 0
		.amdhsa_exception_fp_ieee_div_zero 0
		.amdhsa_exception_fp_ieee_overflow 0
		.amdhsa_exception_fp_ieee_underflow 0
		.amdhsa_exception_fp_ieee_inexact 0
		.amdhsa_exception_int_div_zero 0
	.end_amdhsa_kernel
	.section	.text._ZN7rocprim17ROCPRIM_400000_NS6detail17trampoline_kernelINS0_14default_configENS1_35adjacent_difference_config_selectorILb1ElEEZNS1_24adjacent_difference_implIS3_Lb1ELb0EPlS7_N6thrust23THRUST_200600_302600_NS5minusIlEEEE10hipError_tPvRmT2_T3_mT4_P12ihipStream_tbEUlT_E_NS1_11comp_targetILNS1_3genE2ELNS1_11target_archE906ELNS1_3gpuE6ELNS1_3repE0EEENS1_30default_config_static_selectorELNS0_4arch9wavefront6targetE1EEEvT1_,"axG",@progbits,_ZN7rocprim17ROCPRIM_400000_NS6detail17trampoline_kernelINS0_14default_configENS1_35adjacent_difference_config_selectorILb1ElEEZNS1_24adjacent_difference_implIS3_Lb1ELb0EPlS7_N6thrust23THRUST_200600_302600_NS5minusIlEEEE10hipError_tPvRmT2_T3_mT4_P12ihipStream_tbEUlT_E_NS1_11comp_targetILNS1_3genE2ELNS1_11target_archE906ELNS1_3gpuE6ELNS1_3repE0EEENS1_30default_config_static_selectorELNS0_4arch9wavefront6targetE1EEEvT1_,comdat
.Lfunc_end259:
	.size	_ZN7rocprim17ROCPRIM_400000_NS6detail17trampoline_kernelINS0_14default_configENS1_35adjacent_difference_config_selectorILb1ElEEZNS1_24adjacent_difference_implIS3_Lb1ELb0EPlS7_N6thrust23THRUST_200600_302600_NS5minusIlEEEE10hipError_tPvRmT2_T3_mT4_P12ihipStream_tbEUlT_E_NS1_11comp_targetILNS1_3genE2ELNS1_11target_archE906ELNS1_3gpuE6ELNS1_3repE0EEENS1_30default_config_static_selectorELNS0_4arch9wavefront6targetE1EEEvT1_, .Lfunc_end259-_ZN7rocprim17ROCPRIM_400000_NS6detail17trampoline_kernelINS0_14default_configENS1_35adjacent_difference_config_selectorILb1ElEEZNS1_24adjacent_difference_implIS3_Lb1ELb0EPlS7_N6thrust23THRUST_200600_302600_NS5minusIlEEEE10hipError_tPvRmT2_T3_mT4_P12ihipStream_tbEUlT_E_NS1_11comp_targetILNS1_3genE2ELNS1_11target_archE906ELNS1_3gpuE6ELNS1_3repE0EEENS1_30default_config_static_selectorELNS0_4arch9wavefront6targetE1EEEvT1_
                                        ; -- End function
	.section	.AMDGPU.csdata,"",@progbits
; Kernel info:
; codeLenInByte = 0
; NumSgprs: 6
; NumVgprs: 0
; NumAgprs: 0
; TotalNumVgprs: 0
; ScratchSize: 0
; MemoryBound: 0
; FloatMode: 240
; IeeeMode: 1
; LDSByteSize: 0 bytes/workgroup (compile time only)
; SGPRBlocks: 0
; VGPRBlocks: 0
; NumSGPRsForWavesPerEU: 6
; NumVGPRsForWavesPerEU: 1
; AccumOffset: 4
; Occupancy: 8
; WaveLimiterHint : 0
; COMPUTE_PGM_RSRC2:SCRATCH_EN: 0
; COMPUTE_PGM_RSRC2:USER_SGPR: 2
; COMPUTE_PGM_RSRC2:TRAP_HANDLER: 0
; COMPUTE_PGM_RSRC2:TGID_X_EN: 1
; COMPUTE_PGM_RSRC2:TGID_Y_EN: 0
; COMPUTE_PGM_RSRC2:TGID_Z_EN: 0
; COMPUTE_PGM_RSRC2:TIDIG_COMP_CNT: 0
; COMPUTE_PGM_RSRC3_GFX90A:ACCUM_OFFSET: 0
; COMPUTE_PGM_RSRC3_GFX90A:TG_SPLIT: 0
	.section	.text._ZN7rocprim17ROCPRIM_400000_NS6detail17trampoline_kernelINS0_14default_configENS1_35adjacent_difference_config_selectorILb1ElEEZNS1_24adjacent_difference_implIS3_Lb1ELb0EPlS7_N6thrust23THRUST_200600_302600_NS5minusIlEEEE10hipError_tPvRmT2_T3_mT4_P12ihipStream_tbEUlT_E_NS1_11comp_targetILNS1_3genE9ELNS1_11target_archE1100ELNS1_3gpuE3ELNS1_3repE0EEENS1_30default_config_static_selectorELNS0_4arch9wavefront6targetE1EEEvT1_,"axG",@progbits,_ZN7rocprim17ROCPRIM_400000_NS6detail17trampoline_kernelINS0_14default_configENS1_35adjacent_difference_config_selectorILb1ElEEZNS1_24adjacent_difference_implIS3_Lb1ELb0EPlS7_N6thrust23THRUST_200600_302600_NS5minusIlEEEE10hipError_tPvRmT2_T3_mT4_P12ihipStream_tbEUlT_E_NS1_11comp_targetILNS1_3genE9ELNS1_11target_archE1100ELNS1_3gpuE3ELNS1_3repE0EEENS1_30default_config_static_selectorELNS0_4arch9wavefront6targetE1EEEvT1_,comdat
	.protected	_ZN7rocprim17ROCPRIM_400000_NS6detail17trampoline_kernelINS0_14default_configENS1_35adjacent_difference_config_selectorILb1ElEEZNS1_24adjacent_difference_implIS3_Lb1ELb0EPlS7_N6thrust23THRUST_200600_302600_NS5minusIlEEEE10hipError_tPvRmT2_T3_mT4_P12ihipStream_tbEUlT_E_NS1_11comp_targetILNS1_3genE9ELNS1_11target_archE1100ELNS1_3gpuE3ELNS1_3repE0EEENS1_30default_config_static_selectorELNS0_4arch9wavefront6targetE1EEEvT1_ ; -- Begin function _ZN7rocprim17ROCPRIM_400000_NS6detail17trampoline_kernelINS0_14default_configENS1_35adjacent_difference_config_selectorILb1ElEEZNS1_24adjacent_difference_implIS3_Lb1ELb0EPlS7_N6thrust23THRUST_200600_302600_NS5minusIlEEEE10hipError_tPvRmT2_T3_mT4_P12ihipStream_tbEUlT_E_NS1_11comp_targetILNS1_3genE9ELNS1_11target_archE1100ELNS1_3gpuE3ELNS1_3repE0EEENS1_30default_config_static_selectorELNS0_4arch9wavefront6targetE1EEEvT1_
	.globl	_ZN7rocprim17ROCPRIM_400000_NS6detail17trampoline_kernelINS0_14default_configENS1_35adjacent_difference_config_selectorILb1ElEEZNS1_24adjacent_difference_implIS3_Lb1ELb0EPlS7_N6thrust23THRUST_200600_302600_NS5minusIlEEEE10hipError_tPvRmT2_T3_mT4_P12ihipStream_tbEUlT_E_NS1_11comp_targetILNS1_3genE9ELNS1_11target_archE1100ELNS1_3gpuE3ELNS1_3repE0EEENS1_30default_config_static_selectorELNS0_4arch9wavefront6targetE1EEEvT1_
	.p2align	8
	.type	_ZN7rocprim17ROCPRIM_400000_NS6detail17trampoline_kernelINS0_14default_configENS1_35adjacent_difference_config_selectorILb1ElEEZNS1_24adjacent_difference_implIS3_Lb1ELb0EPlS7_N6thrust23THRUST_200600_302600_NS5minusIlEEEE10hipError_tPvRmT2_T3_mT4_P12ihipStream_tbEUlT_E_NS1_11comp_targetILNS1_3genE9ELNS1_11target_archE1100ELNS1_3gpuE3ELNS1_3repE0EEENS1_30default_config_static_selectorELNS0_4arch9wavefront6targetE1EEEvT1_,@function
_ZN7rocprim17ROCPRIM_400000_NS6detail17trampoline_kernelINS0_14default_configENS1_35adjacent_difference_config_selectorILb1ElEEZNS1_24adjacent_difference_implIS3_Lb1ELb0EPlS7_N6thrust23THRUST_200600_302600_NS5minusIlEEEE10hipError_tPvRmT2_T3_mT4_P12ihipStream_tbEUlT_E_NS1_11comp_targetILNS1_3genE9ELNS1_11target_archE1100ELNS1_3gpuE3ELNS1_3repE0EEENS1_30default_config_static_selectorELNS0_4arch9wavefront6targetE1EEEvT1_: ; @_ZN7rocprim17ROCPRIM_400000_NS6detail17trampoline_kernelINS0_14default_configENS1_35adjacent_difference_config_selectorILb1ElEEZNS1_24adjacent_difference_implIS3_Lb1ELb0EPlS7_N6thrust23THRUST_200600_302600_NS5minusIlEEEE10hipError_tPvRmT2_T3_mT4_P12ihipStream_tbEUlT_E_NS1_11comp_targetILNS1_3genE9ELNS1_11target_archE1100ELNS1_3gpuE3ELNS1_3repE0EEENS1_30default_config_static_selectorELNS0_4arch9wavefront6targetE1EEEvT1_
; %bb.0:
	.section	.rodata,"a",@progbits
	.p2align	6, 0x0
	.amdhsa_kernel _ZN7rocprim17ROCPRIM_400000_NS6detail17trampoline_kernelINS0_14default_configENS1_35adjacent_difference_config_selectorILb1ElEEZNS1_24adjacent_difference_implIS3_Lb1ELb0EPlS7_N6thrust23THRUST_200600_302600_NS5minusIlEEEE10hipError_tPvRmT2_T3_mT4_P12ihipStream_tbEUlT_E_NS1_11comp_targetILNS1_3genE9ELNS1_11target_archE1100ELNS1_3gpuE3ELNS1_3repE0EEENS1_30default_config_static_selectorELNS0_4arch9wavefront6targetE1EEEvT1_
		.amdhsa_group_segment_fixed_size 0
		.amdhsa_private_segment_fixed_size 0
		.amdhsa_kernarg_size 56
		.amdhsa_user_sgpr_count 2
		.amdhsa_user_sgpr_dispatch_ptr 0
		.amdhsa_user_sgpr_queue_ptr 0
		.amdhsa_user_sgpr_kernarg_segment_ptr 1
		.amdhsa_user_sgpr_dispatch_id 0
		.amdhsa_user_sgpr_kernarg_preload_length 0
		.amdhsa_user_sgpr_kernarg_preload_offset 0
		.amdhsa_user_sgpr_private_segment_size 0
		.amdhsa_uses_dynamic_stack 0
		.amdhsa_enable_private_segment 0
		.amdhsa_system_sgpr_workgroup_id_x 1
		.amdhsa_system_sgpr_workgroup_id_y 0
		.amdhsa_system_sgpr_workgroup_id_z 0
		.amdhsa_system_sgpr_workgroup_info 0
		.amdhsa_system_vgpr_workitem_id 0
		.amdhsa_next_free_vgpr 1
		.amdhsa_next_free_sgpr 0
		.amdhsa_accum_offset 4
		.amdhsa_reserve_vcc 0
		.amdhsa_float_round_mode_32 0
		.amdhsa_float_round_mode_16_64 0
		.amdhsa_float_denorm_mode_32 3
		.amdhsa_float_denorm_mode_16_64 3
		.amdhsa_dx10_clamp 1
		.amdhsa_ieee_mode 1
		.amdhsa_fp16_overflow 0
		.amdhsa_tg_split 0
		.amdhsa_exception_fp_ieee_invalid_op 0
		.amdhsa_exception_fp_denorm_src 0
		.amdhsa_exception_fp_ieee_div_zero 0
		.amdhsa_exception_fp_ieee_overflow 0
		.amdhsa_exception_fp_ieee_underflow 0
		.amdhsa_exception_fp_ieee_inexact 0
		.amdhsa_exception_int_div_zero 0
	.end_amdhsa_kernel
	.section	.text._ZN7rocprim17ROCPRIM_400000_NS6detail17trampoline_kernelINS0_14default_configENS1_35adjacent_difference_config_selectorILb1ElEEZNS1_24adjacent_difference_implIS3_Lb1ELb0EPlS7_N6thrust23THRUST_200600_302600_NS5minusIlEEEE10hipError_tPvRmT2_T3_mT4_P12ihipStream_tbEUlT_E_NS1_11comp_targetILNS1_3genE9ELNS1_11target_archE1100ELNS1_3gpuE3ELNS1_3repE0EEENS1_30default_config_static_selectorELNS0_4arch9wavefront6targetE1EEEvT1_,"axG",@progbits,_ZN7rocprim17ROCPRIM_400000_NS6detail17trampoline_kernelINS0_14default_configENS1_35adjacent_difference_config_selectorILb1ElEEZNS1_24adjacent_difference_implIS3_Lb1ELb0EPlS7_N6thrust23THRUST_200600_302600_NS5minusIlEEEE10hipError_tPvRmT2_T3_mT4_P12ihipStream_tbEUlT_E_NS1_11comp_targetILNS1_3genE9ELNS1_11target_archE1100ELNS1_3gpuE3ELNS1_3repE0EEENS1_30default_config_static_selectorELNS0_4arch9wavefront6targetE1EEEvT1_,comdat
.Lfunc_end260:
	.size	_ZN7rocprim17ROCPRIM_400000_NS6detail17trampoline_kernelINS0_14default_configENS1_35adjacent_difference_config_selectorILb1ElEEZNS1_24adjacent_difference_implIS3_Lb1ELb0EPlS7_N6thrust23THRUST_200600_302600_NS5minusIlEEEE10hipError_tPvRmT2_T3_mT4_P12ihipStream_tbEUlT_E_NS1_11comp_targetILNS1_3genE9ELNS1_11target_archE1100ELNS1_3gpuE3ELNS1_3repE0EEENS1_30default_config_static_selectorELNS0_4arch9wavefront6targetE1EEEvT1_, .Lfunc_end260-_ZN7rocprim17ROCPRIM_400000_NS6detail17trampoline_kernelINS0_14default_configENS1_35adjacent_difference_config_selectorILb1ElEEZNS1_24adjacent_difference_implIS3_Lb1ELb0EPlS7_N6thrust23THRUST_200600_302600_NS5minusIlEEEE10hipError_tPvRmT2_T3_mT4_P12ihipStream_tbEUlT_E_NS1_11comp_targetILNS1_3genE9ELNS1_11target_archE1100ELNS1_3gpuE3ELNS1_3repE0EEENS1_30default_config_static_selectorELNS0_4arch9wavefront6targetE1EEEvT1_
                                        ; -- End function
	.section	.AMDGPU.csdata,"",@progbits
; Kernel info:
; codeLenInByte = 0
; NumSgprs: 6
; NumVgprs: 0
; NumAgprs: 0
; TotalNumVgprs: 0
; ScratchSize: 0
; MemoryBound: 0
; FloatMode: 240
; IeeeMode: 1
; LDSByteSize: 0 bytes/workgroup (compile time only)
; SGPRBlocks: 0
; VGPRBlocks: 0
; NumSGPRsForWavesPerEU: 6
; NumVGPRsForWavesPerEU: 1
; AccumOffset: 4
; Occupancy: 8
; WaveLimiterHint : 0
; COMPUTE_PGM_RSRC2:SCRATCH_EN: 0
; COMPUTE_PGM_RSRC2:USER_SGPR: 2
; COMPUTE_PGM_RSRC2:TRAP_HANDLER: 0
; COMPUTE_PGM_RSRC2:TGID_X_EN: 1
; COMPUTE_PGM_RSRC2:TGID_Y_EN: 0
; COMPUTE_PGM_RSRC2:TGID_Z_EN: 0
; COMPUTE_PGM_RSRC2:TIDIG_COMP_CNT: 0
; COMPUTE_PGM_RSRC3_GFX90A:ACCUM_OFFSET: 0
; COMPUTE_PGM_RSRC3_GFX90A:TG_SPLIT: 0
	.section	.text._ZN7rocprim17ROCPRIM_400000_NS6detail17trampoline_kernelINS0_14default_configENS1_35adjacent_difference_config_selectorILb1ElEEZNS1_24adjacent_difference_implIS3_Lb1ELb0EPlS7_N6thrust23THRUST_200600_302600_NS5minusIlEEEE10hipError_tPvRmT2_T3_mT4_P12ihipStream_tbEUlT_E_NS1_11comp_targetILNS1_3genE8ELNS1_11target_archE1030ELNS1_3gpuE2ELNS1_3repE0EEENS1_30default_config_static_selectorELNS0_4arch9wavefront6targetE1EEEvT1_,"axG",@progbits,_ZN7rocprim17ROCPRIM_400000_NS6detail17trampoline_kernelINS0_14default_configENS1_35adjacent_difference_config_selectorILb1ElEEZNS1_24adjacent_difference_implIS3_Lb1ELb0EPlS7_N6thrust23THRUST_200600_302600_NS5minusIlEEEE10hipError_tPvRmT2_T3_mT4_P12ihipStream_tbEUlT_E_NS1_11comp_targetILNS1_3genE8ELNS1_11target_archE1030ELNS1_3gpuE2ELNS1_3repE0EEENS1_30default_config_static_selectorELNS0_4arch9wavefront6targetE1EEEvT1_,comdat
	.protected	_ZN7rocprim17ROCPRIM_400000_NS6detail17trampoline_kernelINS0_14default_configENS1_35adjacent_difference_config_selectorILb1ElEEZNS1_24adjacent_difference_implIS3_Lb1ELb0EPlS7_N6thrust23THRUST_200600_302600_NS5minusIlEEEE10hipError_tPvRmT2_T3_mT4_P12ihipStream_tbEUlT_E_NS1_11comp_targetILNS1_3genE8ELNS1_11target_archE1030ELNS1_3gpuE2ELNS1_3repE0EEENS1_30default_config_static_selectorELNS0_4arch9wavefront6targetE1EEEvT1_ ; -- Begin function _ZN7rocprim17ROCPRIM_400000_NS6detail17trampoline_kernelINS0_14default_configENS1_35adjacent_difference_config_selectorILb1ElEEZNS1_24adjacent_difference_implIS3_Lb1ELb0EPlS7_N6thrust23THRUST_200600_302600_NS5minusIlEEEE10hipError_tPvRmT2_T3_mT4_P12ihipStream_tbEUlT_E_NS1_11comp_targetILNS1_3genE8ELNS1_11target_archE1030ELNS1_3gpuE2ELNS1_3repE0EEENS1_30default_config_static_selectorELNS0_4arch9wavefront6targetE1EEEvT1_
	.globl	_ZN7rocprim17ROCPRIM_400000_NS6detail17trampoline_kernelINS0_14default_configENS1_35adjacent_difference_config_selectorILb1ElEEZNS1_24adjacent_difference_implIS3_Lb1ELb0EPlS7_N6thrust23THRUST_200600_302600_NS5minusIlEEEE10hipError_tPvRmT2_T3_mT4_P12ihipStream_tbEUlT_E_NS1_11comp_targetILNS1_3genE8ELNS1_11target_archE1030ELNS1_3gpuE2ELNS1_3repE0EEENS1_30default_config_static_selectorELNS0_4arch9wavefront6targetE1EEEvT1_
	.p2align	8
	.type	_ZN7rocprim17ROCPRIM_400000_NS6detail17trampoline_kernelINS0_14default_configENS1_35adjacent_difference_config_selectorILb1ElEEZNS1_24adjacent_difference_implIS3_Lb1ELb0EPlS7_N6thrust23THRUST_200600_302600_NS5minusIlEEEE10hipError_tPvRmT2_T3_mT4_P12ihipStream_tbEUlT_E_NS1_11comp_targetILNS1_3genE8ELNS1_11target_archE1030ELNS1_3gpuE2ELNS1_3repE0EEENS1_30default_config_static_selectorELNS0_4arch9wavefront6targetE1EEEvT1_,@function
_ZN7rocprim17ROCPRIM_400000_NS6detail17trampoline_kernelINS0_14default_configENS1_35adjacent_difference_config_selectorILb1ElEEZNS1_24adjacent_difference_implIS3_Lb1ELb0EPlS7_N6thrust23THRUST_200600_302600_NS5minusIlEEEE10hipError_tPvRmT2_T3_mT4_P12ihipStream_tbEUlT_E_NS1_11comp_targetILNS1_3genE8ELNS1_11target_archE1030ELNS1_3gpuE2ELNS1_3repE0EEENS1_30default_config_static_selectorELNS0_4arch9wavefront6targetE1EEEvT1_: ; @_ZN7rocprim17ROCPRIM_400000_NS6detail17trampoline_kernelINS0_14default_configENS1_35adjacent_difference_config_selectorILb1ElEEZNS1_24adjacent_difference_implIS3_Lb1ELb0EPlS7_N6thrust23THRUST_200600_302600_NS5minusIlEEEE10hipError_tPvRmT2_T3_mT4_P12ihipStream_tbEUlT_E_NS1_11comp_targetILNS1_3genE8ELNS1_11target_archE1030ELNS1_3gpuE2ELNS1_3repE0EEENS1_30default_config_static_selectorELNS0_4arch9wavefront6targetE1EEEvT1_
; %bb.0:
	.section	.rodata,"a",@progbits
	.p2align	6, 0x0
	.amdhsa_kernel _ZN7rocprim17ROCPRIM_400000_NS6detail17trampoline_kernelINS0_14default_configENS1_35adjacent_difference_config_selectorILb1ElEEZNS1_24adjacent_difference_implIS3_Lb1ELb0EPlS7_N6thrust23THRUST_200600_302600_NS5minusIlEEEE10hipError_tPvRmT2_T3_mT4_P12ihipStream_tbEUlT_E_NS1_11comp_targetILNS1_3genE8ELNS1_11target_archE1030ELNS1_3gpuE2ELNS1_3repE0EEENS1_30default_config_static_selectorELNS0_4arch9wavefront6targetE1EEEvT1_
		.amdhsa_group_segment_fixed_size 0
		.amdhsa_private_segment_fixed_size 0
		.amdhsa_kernarg_size 56
		.amdhsa_user_sgpr_count 2
		.amdhsa_user_sgpr_dispatch_ptr 0
		.amdhsa_user_sgpr_queue_ptr 0
		.amdhsa_user_sgpr_kernarg_segment_ptr 1
		.amdhsa_user_sgpr_dispatch_id 0
		.amdhsa_user_sgpr_kernarg_preload_length 0
		.amdhsa_user_sgpr_kernarg_preload_offset 0
		.amdhsa_user_sgpr_private_segment_size 0
		.amdhsa_uses_dynamic_stack 0
		.amdhsa_enable_private_segment 0
		.amdhsa_system_sgpr_workgroup_id_x 1
		.amdhsa_system_sgpr_workgroup_id_y 0
		.amdhsa_system_sgpr_workgroup_id_z 0
		.amdhsa_system_sgpr_workgroup_info 0
		.amdhsa_system_vgpr_workitem_id 0
		.amdhsa_next_free_vgpr 1
		.amdhsa_next_free_sgpr 0
		.amdhsa_accum_offset 4
		.amdhsa_reserve_vcc 0
		.amdhsa_float_round_mode_32 0
		.amdhsa_float_round_mode_16_64 0
		.amdhsa_float_denorm_mode_32 3
		.amdhsa_float_denorm_mode_16_64 3
		.amdhsa_dx10_clamp 1
		.amdhsa_ieee_mode 1
		.amdhsa_fp16_overflow 0
		.amdhsa_tg_split 0
		.amdhsa_exception_fp_ieee_invalid_op 0
		.amdhsa_exception_fp_denorm_src 0
		.amdhsa_exception_fp_ieee_div_zero 0
		.amdhsa_exception_fp_ieee_overflow 0
		.amdhsa_exception_fp_ieee_underflow 0
		.amdhsa_exception_fp_ieee_inexact 0
		.amdhsa_exception_int_div_zero 0
	.end_amdhsa_kernel
	.section	.text._ZN7rocprim17ROCPRIM_400000_NS6detail17trampoline_kernelINS0_14default_configENS1_35adjacent_difference_config_selectorILb1ElEEZNS1_24adjacent_difference_implIS3_Lb1ELb0EPlS7_N6thrust23THRUST_200600_302600_NS5minusIlEEEE10hipError_tPvRmT2_T3_mT4_P12ihipStream_tbEUlT_E_NS1_11comp_targetILNS1_3genE8ELNS1_11target_archE1030ELNS1_3gpuE2ELNS1_3repE0EEENS1_30default_config_static_selectorELNS0_4arch9wavefront6targetE1EEEvT1_,"axG",@progbits,_ZN7rocprim17ROCPRIM_400000_NS6detail17trampoline_kernelINS0_14default_configENS1_35adjacent_difference_config_selectorILb1ElEEZNS1_24adjacent_difference_implIS3_Lb1ELb0EPlS7_N6thrust23THRUST_200600_302600_NS5minusIlEEEE10hipError_tPvRmT2_T3_mT4_P12ihipStream_tbEUlT_E_NS1_11comp_targetILNS1_3genE8ELNS1_11target_archE1030ELNS1_3gpuE2ELNS1_3repE0EEENS1_30default_config_static_selectorELNS0_4arch9wavefront6targetE1EEEvT1_,comdat
.Lfunc_end261:
	.size	_ZN7rocprim17ROCPRIM_400000_NS6detail17trampoline_kernelINS0_14default_configENS1_35adjacent_difference_config_selectorILb1ElEEZNS1_24adjacent_difference_implIS3_Lb1ELb0EPlS7_N6thrust23THRUST_200600_302600_NS5minusIlEEEE10hipError_tPvRmT2_T3_mT4_P12ihipStream_tbEUlT_E_NS1_11comp_targetILNS1_3genE8ELNS1_11target_archE1030ELNS1_3gpuE2ELNS1_3repE0EEENS1_30default_config_static_selectorELNS0_4arch9wavefront6targetE1EEEvT1_, .Lfunc_end261-_ZN7rocprim17ROCPRIM_400000_NS6detail17trampoline_kernelINS0_14default_configENS1_35adjacent_difference_config_selectorILb1ElEEZNS1_24adjacent_difference_implIS3_Lb1ELb0EPlS7_N6thrust23THRUST_200600_302600_NS5minusIlEEEE10hipError_tPvRmT2_T3_mT4_P12ihipStream_tbEUlT_E_NS1_11comp_targetILNS1_3genE8ELNS1_11target_archE1030ELNS1_3gpuE2ELNS1_3repE0EEENS1_30default_config_static_selectorELNS0_4arch9wavefront6targetE1EEEvT1_
                                        ; -- End function
	.section	.AMDGPU.csdata,"",@progbits
; Kernel info:
; codeLenInByte = 0
; NumSgprs: 6
; NumVgprs: 0
; NumAgprs: 0
; TotalNumVgprs: 0
; ScratchSize: 0
; MemoryBound: 0
; FloatMode: 240
; IeeeMode: 1
; LDSByteSize: 0 bytes/workgroup (compile time only)
; SGPRBlocks: 0
; VGPRBlocks: 0
; NumSGPRsForWavesPerEU: 6
; NumVGPRsForWavesPerEU: 1
; AccumOffset: 4
; Occupancy: 8
; WaveLimiterHint : 0
; COMPUTE_PGM_RSRC2:SCRATCH_EN: 0
; COMPUTE_PGM_RSRC2:USER_SGPR: 2
; COMPUTE_PGM_RSRC2:TRAP_HANDLER: 0
; COMPUTE_PGM_RSRC2:TGID_X_EN: 1
; COMPUTE_PGM_RSRC2:TGID_Y_EN: 0
; COMPUTE_PGM_RSRC2:TGID_Z_EN: 0
; COMPUTE_PGM_RSRC2:TIDIG_COMP_CNT: 0
; COMPUTE_PGM_RSRC3_GFX90A:ACCUM_OFFSET: 0
; COMPUTE_PGM_RSRC3_GFX90A:TG_SPLIT: 0
	.section	.text._ZN7rocprim17ROCPRIM_400000_NS6detail17trampoline_kernelINS0_14default_configENS1_37merge_sort_block_sort_config_selectorIlNS0_10empty_typeEEEZNS1_21merge_sort_block_sortIS3_PlS8_PS5_S9_ZN2at6native12_GLOBAL__N_124unique_dim_cuda_templateIaEESt5tupleIJNSA_6TensorESF_SF_EERKSF_lbbbEUlllE_EE10hipError_tT0_T1_T2_T3_mRjT4_P12ihipStream_tbNS1_7vsmem_tEEUlT_E_NS1_11comp_targetILNS1_3genE0ELNS1_11target_archE4294967295ELNS1_3gpuE0ELNS1_3repE0EEENS1_30default_config_static_selectorELNS0_4arch9wavefront6targetE1EEEvSM_,"axG",@progbits,_ZN7rocprim17ROCPRIM_400000_NS6detail17trampoline_kernelINS0_14default_configENS1_37merge_sort_block_sort_config_selectorIlNS0_10empty_typeEEEZNS1_21merge_sort_block_sortIS3_PlS8_PS5_S9_ZN2at6native12_GLOBAL__N_124unique_dim_cuda_templateIaEESt5tupleIJNSA_6TensorESF_SF_EERKSF_lbbbEUlllE_EE10hipError_tT0_T1_T2_T3_mRjT4_P12ihipStream_tbNS1_7vsmem_tEEUlT_E_NS1_11comp_targetILNS1_3genE0ELNS1_11target_archE4294967295ELNS1_3gpuE0ELNS1_3repE0EEENS1_30default_config_static_selectorELNS0_4arch9wavefront6targetE1EEEvSM_,comdat
	.globl	_ZN7rocprim17ROCPRIM_400000_NS6detail17trampoline_kernelINS0_14default_configENS1_37merge_sort_block_sort_config_selectorIlNS0_10empty_typeEEEZNS1_21merge_sort_block_sortIS3_PlS8_PS5_S9_ZN2at6native12_GLOBAL__N_124unique_dim_cuda_templateIaEESt5tupleIJNSA_6TensorESF_SF_EERKSF_lbbbEUlllE_EE10hipError_tT0_T1_T2_T3_mRjT4_P12ihipStream_tbNS1_7vsmem_tEEUlT_E_NS1_11comp_targetILNS1_3genE0ELNS1_11target_archE4294967295ELNS1_3gpuE0ELNS1_3repE0EEENS1_30default_config_static_selectorELNS0_4arch9wavefront6targetE1EEEvSM_ ; -- Begin function _ZN7rocprim17ROCPRIM_400000_NS6detail17trampoline_kernelINS0_14default_configENS1_37merge_sort_block_sort_config_selectorIlNS0_10empty_typeEEEZNS1_21merge_sort_block_sortIS3_PlS8_PS5_S9_ZN2at6native12_GLOBAL__N_124unique_dim_cuda_templateIaEESt5tupleIJNSA_6TensorESF_SF_EERKSF_lbbbEUlllE_EE10hipError_tT0_T1_T2_T3_mRjT4_P12ihipStream_tbNS1_7vsmem_tEEUlT_E_NS1_11comp_targetILNS1_3genE0ELNS1_11target_archE4294967295ELNS1_3gpuE0ELNS1_3repE0EEENS1_30default_config_static_selectorELNS0_4arch9wavefront6targetE1EEEvSM_
	.p2align	8
	.type	_ZN7rocprim17ROCPRIM_400000_NS6detail17trampoline_kernelINS0_14default_configENS1_37merge_sort_block_sort_config_selectorIlNS0_10empty_typeEEEZNS1_21merge_sort_block_sortIS3_PlS8_PS5_S9_ZN2at6native12_GLOBAL__N_124unique_dim_cuda_templateIaEESt5tupleIJNSA_6TensorESF_SF_EERKSF_lbbbEUlllE_EE10hipError_tT0_T1_T2_T3_mRjT4_P12ihipStream_tbNS1_7vsmem_tEEUlT_E_NS1_11comp_targetILNS1_3genE0ELNS1_11target_archE4294967295ELNS1_3gpuE0ELNS1_3repE0EEENS1_30default_config_static_selectorELNS0_4arch9wavefront6targetE1EEEvSM_,@function
_ZN7rocprim17ROCPRIM_400000_NS6detail17trampoline_kernelINS0_14default_configENS1_37merge_sort_block_sort_config_selectorIlNS0_10empty_typeEEEZNS1_21merge_sort_block_sortIS3_PlS8_PS5_S9_ZN2at6native12_GLOBAL__N_124unique_dim_cuda_templateIaEESt5tupleIJNSA_6TensorESF_SF_EERKSF_lbbbEUlllE_EE10hipError_tT0_T1_T2_T3_mRjT4_P12ihipStream_tbNS1_7vsmem_tEEUlT_E_NS1_11comp_targetILNS1_3genE0ELNS1_11target_archE4294967295ELNS1_3gpuE0ELNS1_3repE0EEENS1_30default_config_static_selectorELNS0_4arch9wavefront6targetE1EEEvSM_: ; @_ZN7rocprim17ROCPRIM_400000_NS6detail17trampoline_kernelINS0_14default_configENS1_37merge_sort_block_sort_config_selectorIlNS0_10empty_typeEEEZNS1_21merge_sort_block_sortIS3_PlS8_PS5_S9_ZN2at6native12_GLOBAL__N_124unique_dim_cuda_templateIaEESt5tupleIJNSA_6TensorESF_SF_EERKSF_lbbbEUlllE_EE10hipError_tT0_T1_T2_T3_mRjT4_P12ihipStream_tbNS1_7vsmem_tEEUlT_E_NS1_11comp_targetILNS1_3genE0ELNS1_11target_archE4294967295ELNS1_3gpuE0ELNS1_3repE0EEENS1_30default_config_static_selectorELNS0_4arch9wavefront6targetE1EEEvSM_
; %bb.0:
	.section	.rodata,"a",@progbits
	.p2align	6, 0x0
	.amdhsa_kernel _ZN7rocprim17ROCPRIM_400000_NS6detail17trampoline_kernelINS0_14default_configENS1_37merge_sort_block_sort_config_selectorIlNS0_10empty_typeEEEZNS1_21merge_sort_block_sortIS3_PlS8_PS5_S9_ZN2at6native12_GLOBAL__N_124unique_dim_cuda_templateIaEESt5tupleIJNSA_6TensorESF_SF_EERKSF_lbbbEUlllE_EE10hipError_tT0_T1_T2_T3_mRjT4_P12ihipStream_tbNS1_7vsmem_tEEUlT_E_NS1_11comp_targetILNS1_3genE0ELNS1_11target_archE4294967295ELNS1_3gpuE0ELNS1_3repE0EEENS1_30default_config_static_selectorELNS0_4arch9wavefront6targetE1EEEvSM_
		.amdhsa_group_segment_fixed_size 0
		.amdhsa_private_segment_fixed_size 0
		.amdhsa_kernarg_size 72
		.amdhsa_user_sgpr_count 2
		.amdhsa_user_sgpr_dispatch_ptr 0
		.amdhsa_user_sgpr_queue_ptr 0
		.amdhsa_user_sgpr_kernarg_segment_ptr 1
		.amdhsa_user_sgpr_dispatch_id 0
		.amdhsa_user_sgpr_kernarg_preload_length 0
		.amdhsa_user_sgpr_kernarg_preload_offset 0
		.amdhsa_user_sgpr_private_segment_size 0
		.amdhsa_uses_dynamic_stack 0
		.amdhsa_enable_private_segment 0
		.amdhsa_system_sgpr_workgroup_id_x 1
		.amdhsa_system_sgpr_workgroup_id_y 0
		.amdhsa_system_sgpr_workgroup_id_z 0
		.amdhsa_system_sgpr_workgroup_info 0
		.amdhsa_system_vgpr_workitem_id 0
		.amdhsa_next_free_vgpr 1
		.amdhsa_next_free_sgpr 0
		.amdhsa_accum_offset 4
		.amdhsa_reserve_vcc 0
		.amdhsa_float_round_mode_32 0
		.amdhsa_float_round_mode_16_64 0
		.amdhsa_float_denorm_mode_32 3
		.amdhsa_float_denorm_mode_16_64 3
		.amdhsa_dx10_clamp 1
		.amdhsa_ieee_mode 1
		.amdhsa_fp16_overflow 0
		.amdhsa_tg_split 0
		.amdhsa_exception_fp_ieee_invalid_op 0
		.amdhsa_exception_fp_denorm_src 0
		.amdhsa_exception_fp_ieee_div_zero 0
		.amdhsa_exception_fp_ieee_overflow 0
		.amdhsa_exception_fp_ieee_underflow 0
		.amdhsa_exception_fp_ieee_inexact 0
		.amdhsa_exception_int_div_zero 0
	.end_amdhsa_kernel
	.section	.text._ZN7rocprim17ROCPRIM_400000_NS6detail17trampoline_kernelINS0_14default_configENS1_37merge_sort_block_sort_config_selectorIlNS0_10empty_typeEEEZNS1_21merge_sort_block_sortIS3_PlS8_PS5_S9_ZN2at6native12_GLOBAL__N_124unique_dim_cuda_templateIaEESt5tupleIJNSA_6TensorESF_SF_EERKSF_lbbbEUlllE_EE10hipError_tT0_T1_T2_T3_mRjT4_P12ihipStream_tbNS1_7vsmem_tEEUlT_E_NS1_11comp_targetILNS1_3genE0ELNS1_11target_archE4294967295ELNS1_3gpuE0ELNS1_3repE0EEENS1_30default_config_static_selectorELNS0_4arch9wavefront6targetE1EEEvSM_,"axG",@progbits,_ZN7rocprim17ROCPRIM_400000_NS6detail17trampoline_kernelINS0_14default_configENS1_37merge_sort_block_sort_config_selectorIlNS0_10empty_typeEEEZNS1_21merge_sort_block_sortIS3_PlS8_PS5_S9_ZN2at6native12_GLOBAL__N_124unique_dim_cuda_templateIaEESt5tupleIJNSA_6TensorESF_SF_EERKSF_lbbbEUlllE_EE10hipError_tT0_T1_T2_T3_mRjT4_P12ihipStream_tbNS1_7vsmem_tEEUlT_E_NS1_11comp_targetILNS1_3genE0ELNS1_11target_archE4294967295ELNS1_3gpuE0ELNS1_3repE0EEENS1_30default_config_static_selectorELNS0_4arch9wavefront6targetE1EEEvSM_,comdat
.Lfunc_end262:
	.size	_ZN7rocprim17ROCPRIM_400000_NS6detail17trampoline_kernelINS0_14default_configENS1_37merge_sort_block_sort_config_selectorIlNS0_10empty_typeEEEZNS1_21merge_sort_block_sortIS3_PlS8_PS5_S9_ZN2at6native12_GLOBAL__N_124unique_dim_cuda_templateIaEESt5tupleIJNSA_6TensorESF_SF_EERKSF_lbbbEUlllE_EE10hipError_tT0_T1_T2_T3_mRjT4_P12ihipStream_tbNS1_7vsmem_tEEUlT_E_NS1_11comp_targetILNS1_3genE0ELNS1_11target_archE4294967295ELNS1_3gpuE0ELNS1_3repE0EEENS1_30default_config_static_selectorELNS0_4arch9wavefront6targetE1EEEvSM_, .Lfunc_end262-_ZN7rocprim17ROCPRIM_400000_NS6detail17trampoline_kernelINS0_14default_configENS1_37merge_sort_block_sort_config_selectorIlNS0_10empty_typeEEEZNS1_21merge_sort_block_sortIS3_PlS8_PS5_S9_ZN2at6native12_GLOBAL__N_124unique_dim_cuda_templateIaEESt5tupleIJNSA_6TensorESF_SF_EERKSF_lbbbEUlllE_EE10hipError_tT0_T1_T2_T3_mRjT4_P12ihipStream_tbNS1_7vsmem_tEEUlT_E_NS1_11comp_targetILNS1_3genE0ELNS1_11target_archE4294967295ELNS1_3gpuE0ELNS1_3repE0EEENS1_30default_config_static_selectorELNS0_4arch9wavefront6targetE1EEEvSM_
                                        ; -- End function
	.section	.AMDGPU.csdata,"",@progbits
; Kernel info:
; codeLenInByte = 0
; NumSgprs: 6
; NumVgprs: 0
; NumAgprs: 0
; TotalNumVgprs: 0
; ScratchSize: 0
; MemoryBound: 0
; FloatMode: 240
; IeeeMode: 1
; LDSByteSize: 0 bytes/workgroup (compile time only)
; SGPRBlocks: 0
; VGPRBlocks: 0
; NumSGPRsForWavesPerEU: 6
; NumVGPRsForWavesPerEU: 1
; AccumOffset: 4
; Occupancy: 8
; WaveLimiterHint : 0
; COMPUTE_PGM_RSRC2:SCRATCH_EN: 0
; COMPUTE_PGM_RSRC2:USER_SGPR: 2
; COMPUTE_PGM_RSRC2:TRAP_HANDLER: 0
; COMPUTE_PGM_RSRC2:TGID_X_EN: 1
; COMPUTE_PGM_RSRC2:TGID_Y_EN: 0
; COMPUTE_PGM_RSRC2:TGID_Z_EN: 0
; COMPUTE_PGM_RSRC2:TIDIG_COMP_CNT: 0
; COMPUTE_PGM_RSRC3_GFX90A:ACCUM_OFFSET: 0
; COMPUTE_PGM_RSRC3_GFX90A:TG_SPLIT: 0
	.text
	.p2align	2                               ; -- Begin function _ZN7rocprim17ROCPRIM_400000_NS6detail15block_sort_implIlNS0_10empty_typeELj256ELj8ELNS0_4arch9wavefront6targetE1EvE4sortIPlS9_PS3_SA_ZN2at6native12_GLOBAL__N_124unique_dim_cuda_templateIaEESt5tupleIJNSB_6TensorESG_SG_EERKSG_lbbbEUlllE_EEvjbT_T0_T1_T2_T3_RNS7_12storage_typeE
	.type	_ZN7rocprim17ROCPRIM_400000_NS6detail15block_sort_implIlNS0_10empty_typeELj256ELj8ELNS0_4arch9wavefront6targetE1EvE4sortIPlS9_PS3_SA_ZN2at6native12_GLOBAL__N_124unique_dim_cuda_templateIaEESt5tupleIJNSB_6TensorESG_SG_EERKSG_lbbbEUlllE_EEvjbT_T0_T1_T2_T3_RNS7_12storage_typeE,@function
_ZN7rocprim17ROCPRIM_400000_NS6detail15block_sort_implIlNS0_10empty_typeELj256ELj8ELNS0_4arch9wavefront6targetE1EvE4sortIPlS9_PS3_SA_ZN2at6native12_GLOBAL__N_124unique_dim_cuda_templateIaEESt5tupleIJNSB_6TensorESG_SG_EERKSG_lbbbEUlllE_EEvjbT_T0_T1_T2_T3_RNS7_12storage_typeE: ; @_ZN7rocprim17ROCPRIM_400000_NS6detail15block_sort_implIlNS0_10empty_typeELj256ELj8ELNS0_4arch9wavefront6targetE1EvE4sortIPlS9_PS3_SA_ZN2at6native12_GLOBAL__N_124unique_dim_cuda_templateIaEESt5tupleIJNSB_6TensorESG_SG_EERKSG_lbbbEUlllE_EEvjbT_T0_T1_T2_T3_RNS7_12storage_typeE
; %bb.0:
	s_waitcnt vmcnt(0) expcnt(0) lgkmcnt(0)
	s_or_saveexec_b64 s[0:1], -1
	scratch_store_dword off, v40, s32       ; 4-byte Folded Spill
	s_mov_b64 exec, s[0:1]
	v_writelane_b32 v40, s34, 0
	v_writelane_b32 v40, s35, 1
	;; [unrolled: 1-line block ×34, first 2 shown]
	s_nop 1
	v_writelane_b32 v40, s31, 34
	v_and_b32_e32 v1, 1, v1
	v_cmp_eq_u32_e32 vcc, 1, v1
	v_and_b32_e32 v28, 0x3ff, v31
	s_xor_b64 s[0:1], vcc, -1
	s_mov_b64 s[34:35], 0
	v_bfe_u32 v64, v31, 10, 10
	v_bfe_u32 v65, v31, 20, 10
	v_lshlrev_b32_e32 v30, 3, v28
	v_lshrrev_b32_e32 v32, 5, v28
	v_lshrrev_b32_e32 v1, 2, v28
                                        ; implicit-def: $vgpr12_vgpr13
	s_and_saveexec_b64 s[2:3], s[0:1]
	s_xor_b64 s[4:5], exec, s[2:3]
	s_cbranch_execnz .LBB263_5
; %bb.1:
	s_andn2_saveexec_b64 s[36:37], s[4:5]
	s_cbranch_execnz .LBB263_705
.LBB263_2:
	s_or_b64 exec, exec, s[36:37]
	s_and_saveexec_b64 s[0:1], s[34:35]
	s_cbranch_execz .LBB263_4
.LBB263_3:
	s_waitcnt vmcnt(0) lgkmcnt(0)
	v_lshl_add_u64 v[0:1], v[28:29], 3, v[4:5]
	v_add_co_u32_e32 v0, vcc, 0x3000, v0
	s_nop 1
	v_addc_co_u32_e32 v1, vcc, 0, v1, vcc
	flat_store_dwordx2 v[0:1], v[12:13] offset:2048
.LBB263_4:
	s_or_b64 exec, exec, s[0:1]
	v_readlane_b32 s30, v40, 33
	v_readlane_b32 s31, v40, 34
	;; [unrolled: 1-line block ×35, first 2 shown]
	s_or_saveexec_b64 s[0:1], -1
	scratch_load_dword v40, off, s32        ; 4-byte Folded Reload
	s_mov_b64 exec, s[0:1]
	s_waitcnt vmcnt(0) lgkmcnt(0)
	s_setpc_b64 s[30:31]
.LBB263_5:
	v_mov_b32_e32 v29, 0
	v_mov_b32_e32 v31, v29
	v_lshl_add_u64 v[2:3], v[2:3], 0, v[30:31]
	v_add_co_u32_e32 v12, vcc, 0x1000, v2
	v_add_u32_e32 v26, 0x200, v28
	s_nop 0
	v_addc_co_u32_e32 v13, vcc, 0, v3, vcc
	flat_load_dwordx2 v[14:15], v[2:3]
	flat_load_dwordx2 v[16:17], v[2:3] offset:2048
	flat_load_dwordx2 v[18:19], v[12:13]
	flat_load_dwordx2 v[20:21], v[12:13] offset:2048
	v_add_co_u32_e32 v12, vcc, 0x2000, v2
	v_add_u32_e32 v27, 0x300, v28
	s_nop 0
	v_addc_co_u32_e32 v13, vcc, 0, v3, vcc
	v_add_co_u32_e32 v2, vcc, 0x3000, v2
	v_or_b32_e32 v31, 0x400, v28
	s_nop 0
	v_addc_co_u32_e32 v3, vcc, 0, v3, vcc
	flat_load_dwordx2 v[22:23], v[12:13]
	flat_load_dwordx2 v[54:55], v[12:13] offset:2048
	flat_load_dwordx2 v[66:67], v[2:3]
	flat_load_dwordx2 v[68:69], v[2:3] offset:2048
	v_add_u32_e32 v3, 0x100, v28
	v_add_u32_e32 v36, 0x500, v28
	;; [unrolled: 1-line block ×4, first 2 shown]
	v_add_lshl_u32 v0, v32, v28, 3
	v_add_lshl_u32 v2, v1, v30, 3
	v_mov_b32_e32 v1, v29
	v_lshrrev_b32_e32 v12, 5, v3
	v_lshrrev_b32_e32 v32, 5, v26
	;; [unrolled: 1-line block ×7, first 2 shown]
	v_mov_b32_e32 v3, v29
	v_mov_b32_e32 v13, v29
	;; [unrolled: 1-line block ×8, first 2 shown]
	v_lshl_add_u64 v[24:25], v[10:11], 0, v[0:1]
	v_add_lshl_u32 v12, v12, v28, 3
	v_add_lshl_u32 v32, v32, v26, 3
	;; [unrolled: 1-line block ×7, first 2 shown]
	v_lshl_add_u64 v[52:53], v[10:11], 0, v[2:3]
	v_lshl_add_u64 v[26:27], v[10:11], 0, v[12:13]
	;; [unrolled: 1-line block ×8, first 2 shown]
	v_cmp_lt_i64_e32 vcc, 0, v[6:7]
	s_waitcnt vmcnt(0) lgkmcnt(0)
	flat_store_dwordx2 v[24:25], v[14:15]
	flat_store_dwordx2 v[26:27], v[16:17] offset:2048
	flat_store_dwordx2 v[36:37], v[18:19]
	flat_store_dwordx2 v[32:33], v[20:21]
	;; [unrolled: 1-line block ×6, first 2 shown]
	s_waitcnt lgkmcnt(0)
	s_barrier
	flat_load_dwordx4 v[20:23], v[52:53]
	flat_load_dwordx4 v[16:19], v[52:53] offset:16
	flat_load_dwordx4 v[12:15], v[52:53] offset:32
	;; [unrolled: 1-line block ×3, first 2 shown]
	s_waitcnt lgkmcnt(0)
	s_barrier
	s_load_dwordx2 s[0:1], s[8:9], 0x0
	s_waitcnt lgkmcnt(0)
	s_cmp_lt_u32 s12, s0
	s_cselect_b32 s2, 12, 18
	s_cmp_lt_u32 s13, s1
	s_cselect_b32 s0, 14, 20
	s_add_u32 s0, s8, s0
	s_addc_u32 s1, s9, 0
	s_add_u32 s2, s8, s2
	s_addc_u32 s3, s9, 0
	global_load_ushort v31, v29, s[0:1]
	global_load_ushort v54, v29, s[2:3]
	s_movk_i32 s0, 0x800
	s_waitcnt vmcnt(0)
	v_mad_u32_u24 v31, v65, v31, v64
	v_mul_lo_u32 v31, v31, v54
	v_add_lshl_u32 v31, v31, v28, 3
	v_cmp_gt_u32_e64 s[0:1], s0, v31
	s_and_saveexec_b64 s[2:3], s[0:1]
	s_cbranch_execz .LBB263_231
; %bb.6:
	s_and_saveexec_b64 s[6:7], vcc
	s_cbranch_execnz .LBB263_34
; %bb.7:
	s_or_b64 exec, exec, s[6:7]
	s_and_saveexec_b64 s[6:7], vcc
	s_cbranch_execnz .LBB263_41
.LBB263_8:
	s_or_b64 exec, exec, s[6:7]
	s_and_saveexec_b64 s[6:7], vcc
	s_cbranch_execnz .LBB263_48
.LBB263_9:
	s_or_b64 exec, exec, s[6:7]
	s_and_saveexec_b64 s[6:7], vcc
	s_cbranch_execnz .LBB263_55
.LBB263_10:
	s_or_b64 exec, exec, s[6:7]
	s_and_saveexec_b64 s[0:1], vcc
	s_xor_b64 s[6:7], exec, s[0:1]
	s_cbranch_execnz .LBB263_62
.LBB263_11:
	s_or_b64 exec, exec, s[6:7]
	s_and_saveexec_b64 s[6:7], vcc
	s_cbranch_execnz .LBB263_69
.LBB263_12:
	s_or_b64 exec, exec, s[6:7]
	s_and_saveexec_b64 s[6:7], vcc
	s_cbranch_execnz .LBB263_76
.LBB263_13:
	s_or_b64 exec, exec, s[6:7]
	s_and_saveexec_b64 s[6:7], vcc
	s_cbranch_execnz .LBB263_83
.LBB263_14:
	s_or_b64 exec, exec, s[6:7]
	s_and_saveexec_b64 s[6:7], vcc
	s_cbranch_execnz .LBB263_90
.LBB263_15:
	s_or_b64 exec, exec, s[6:7]
	s_and_saveexec_b64 s[6:7], vcc
	s_cbranch_execnz .LBB263_97
.LBB263_16:
	s_or_b64 exec, exec, s[6:7]
	s_and_saveexec_b64 s[6:7], vcc
	s_cbranch_execnz .LBB263_104
.LBB263_17:
	s_or_b64 exec, exec, s[6:7]
	s_and_saveexec_b64 s[6:7], vcc
	s_cbranch_execnz .LBB263_111
.LBB263_18:
	s_or_b64 exec, exec, s[6:7]
	s_and_saveexec_b64 s[6:7], vcc
	s_cbranch_execnz .LBB263_118
.LBB263_19:
	s_or_b64 exec, exec, s[6:7]
	s_and_saveexec_b64 s[6:7], vcc
	s_cbranch_execnz .LBB263_125
.LBB263_20:
	s_or_b64 exec, exec, s[6:7]
	s_and_saveexec_b64 s[6:7], vcc
	s_cbranch_execnz .LBB263_132
.LBB263_21:
	s_or_b64 exec, exec, s[6:7]
	s_and_saveexec_b64 s[6:7], vcc
	s_cbranch_execnz .LBB263_139
.LBB263_22:
	s_or_b64 exec, exec, s[6:7]
	s_and_saveexec_b64 s[6:7], vcc
	s_cbranch_execnz .LBB263_146
.LBB263_23:
	s_or_b64 exec, exec, s[6:7]
	s_and_saveexec_b64 s[6:7], vcc
	s_cbranch_execnz .LBB263_153
.LBB263_24:
	s_or_b64 exec, exec, s[6:7]
	s_and_saveexec_b64 s[6:7], vcc
	s_cbranch_execnz .LBB263_160
.LBB263_25:
	s_or_b64 exec, exec, s[6:7]
	s_and_saveexec_b64 s[6:7], vcc
	s_cbranch_execnz .LBB263_167
.LBB263_26:
	s_or_b64 exec, exec, s[6:7]
	s_and_saveexec_b64 s[6:7], vcc
	s_cbranch_execnz .LBB263_174
.LBB263_27:
	s_or_b64 exec, exec, s[6:7]
	s_and_saveexec_b64 s[6:7], vcc
	s_cbranch_execnz .LBB263_181
.LBB263_28:
	s_or_b64 exec, exec, s[6:7]
	s_and_saveexec_b64 s[6:7], vcc
	s_cbranch_execnz .LBB263_188
.LBB263_29:
	s_or_b64 exec, exec, s[6:7]
	s_and_saveexec_b64 s[6:7], vcc
	s_cbranch_execnz .LBB263_195
.LBB263_30:
	s_or_b64 exec, exec, s[6:7]
	s_and_saveexec_b64 s[6:7], vcc
	s_cbranch_execnz .LBB263_202
.LBB263_31:
	s_or_b64 exec, exec, s[6:7]
	s_and_saveexec_b64 s[6:7], vcc
	s_cbranch_execnz .LBB263_209
.LBB263_32:
	s_or_b64 exec, exec, s[6:7]
	s_and_saveexec_b64 s[6:7], vcc
	s_cbranch_execnz .LBB263_216
.LBB263_33:
	s_or_b64 exec, exec, s[6:7]
	s_and_saveexec_b64 s[6:7], vcc
	s_cbranch_execnz .LBB263_223
	s_branch .LBB263_230
.LBB263_34:
	v_mad_u64_u32 v[54:55], s[0:1], v20, v6, v[8:9]
	v_mul_lo_u32 v64, v20, v7
	v_mul_lo_u32 v65, v21, v6
	v_add3_u32 v55, v65, v55, v64
	v_mad_u64_u32 v[64:65], s[0:1], v22, v6, v[8:9]
	v_mul_lo_u32 v66, v22, v7
	v_mul_lo_u32 v67, v23, v6
	v_add3_u32 v65, v67, v65, v66
	s_mov_b64 s[14:15], 0
	v_mov_b64_e32 v[66:67], v[6:7]
                                        ; implicit-def: $sgpr10_sgpr11
                                        ; implicit-def: $sgpr16_sgpr17
                                        ; implicit-def: $sgpr20_sgpr21
                                        ; implicit-def: $sgpr18_sgpr19
                                        ; implicit-def: $sgpr22_sgpr23
                                        ; implicit-def: $sgpr0_sgpr1
	s_branch .LBB263_36
.LBB263_35:                             ;   in Loop: Header=BB263_36 Depth=1
	s_or_b64 exec, exec, s[26:27]
	s_and_b64 s[26:27], exec, s[20:21]
	s_or_b64 s[14:15], s[26:27], s[14:15]
	s_andn2_b64 s[0:1], s[0:1], exec
	s_and_b64 s[26:27], s[22:23], exec
	s_or_b64 s[0:1], s[0:1], s[26:27]
	s_andn2_b64 s[16:17], s[16:17], exec
	s_and_b64 s[26:27], s[18:19], exec
	s_andn2_b64 s[10:11], s[10:11], exec
	s_and_b64 s[24:25], s[24:25], exec
	s_or_b64 s[16:17], s[16:17], s[26:27]
	s_or_b64 s[10:11], s[10:11], s[24:25]
	s_andn2_b64 exec, exec, s[14:15]
	s_cbranch_execz .LBB263_38
.LBB263_36:                             ; =>This Inner Loop Header: Depth=1
	flat_load_ubyte v68, v[64:65]
	flat_load_ubyte v69, v[54:55]
	s_andn2_b64 s[22:23], s[22:23], exec
	s_or_b64 s[18:19], s[18:19], exec
	s_or_b64 s[20:21], s[20:21], exec
	s_waitcnt vmcnt(0) lgkmcnt(0)
	v_cmp_le_i16_sdwa s[26:27], sext(v68), sext(v69) src0_sel:BYTE_0 src1_sel:BYTE_0
	v_cmp_lt_i16_sdwa s[24:25], sext(v68), sext(v69) src0_sel:BYTE_0 src1_sel:BYTE_0
	s_and_b64 s[26:27], s[26:27], s[0:1]
	v_cmp_eq_u16_sdwa s[28:29], v68, v69 src0_sel:BYTE_0 src1_sel:BYTE_0
	s_or_b64 s[24:25], s[24:25], s[26:27]
	s_and_saveexec_b64 s[26:27], s[28:29]
	s_cbranch_execz .LBB263_35
; %bb.37:                               ;   in Loop: Header=BB263_36 Depth=1
	v_lshl_add_u64 v[66:67], v[66:67], 0, -1
	v_cmp_eq_u64_e64 s[0:1], 0, v[66:67]
	s_andn2_b64 s[22:23], s[22:23], exec
	s_and_b64 s[28:29], s[24:25], exec
	s_andn2_b64 s[20:21], s[20:21], exec
	s_and_b64 s[0:1], s[0:1], exec
	v_lshl_add_u64 v[54:55], v[54:55], 0, 1
	v_lshl_add_u64 v[64:65], v[64:65], 0, 1
	s_or_b64 s[22:23], s[22:23], s[28:29]
	s_andn2_b64 s[18:19], s[18:19], exec
	s_or_b64 s[20:21], s[20:21], s[0:1]
                                        ; implicit-def: $sgpr0_sgpr1
	s_branch .LBB263_35
.LBB263_38:
	s_or_b64 exec, exec, s[14:15]
	s_and_saveexec_b64 s[0:1], s[16:17]
	s_xor_b64 s[0:1], exec, s[0:1]
; %bb.39:
	v_cndmask_b32_e64 v55, v23, v21, s[10:11]
	v_cndmask_b32_e64 v54, v22, v20, s[10:11]
	;; [unrolled: 1-line block ×4, first 2 shown]
	v_mov_b64_e32 v[22:23], v[54:55]
; %bb.40:
	s_or_b64 exec, exec, s[0:1]
	s_or_b64 exec, exec, s[6:7]
	s_and_saveexec_b64 s[6:7], vcc
	s_cbranch_execz .LBB263_8
.LBB263_41:
	v_mad_u64_u32 v[54:55], s[0:1], v16, v6, v[8:9]
	v_mul_lo_u32 v64, v16, v7
	v_mul_lo_u32 v65, v17, v6
	v_add3_u32 v55, v65, v55, v64
	v_mad_u64_u32 v[64:65], s[0:1], v18, v6, v[8:9]
	v_mul_lo_u32 v66, v18, v7
	v_mul_lo_u32 v67, v19, v6
	v_add3_u32 v65, v67, v65, v66
	s_mov_b64 s[14:15], 0
	v_mov_b64_e32 v[66:67], v[6:7]
                                        ; implicit-def: $sgpr10_sgpr11
                                        ; implicit-def: $sgpr16_sgpr17
                                        ; implicit-def: $sgpr20_sgpr21
                                        ; implicit-def: $sgpr18_sgpr19
                                        ; implicit-def: $sgpr22_sgpr23
                                        ; implicit-def: $sgpr0_sgpr1
	s_branch .LBB263_43
.LBB263_42:                             ;   in Loop: Header=BB263_43 Depth=1
	s_or_b64 exec, exec, s[26:27]
	s_and_b64 s[26:27], exec, s[20:21]
	s_or_b64 s[14:15], s[26:27], s[14:15]
	s_andn2_b64 s[0:1], s[0:1], exec
	s_and_b64 s[26:27], s[22:23], exec
	s_or_b64 s[0:1], s[0:1], s[26:27]
	s_andn2_b64 s[16:17], s[16:17], exec
	s_and_b64 s[26:27], s[18:19], exec
	s_andn2_b64 s[10:11], s[10:11], exec
	s_and_b64 s[24:25], s[24:25], exec
	s_or_b64 s[16:17], s[16:17], s[26:27]
	s_or_b64 s[10:11], s[10:11], s[24:25]
	s_andn2_b64 exec, exec, s[14:15]
	s_cbranch_execz .LBB263_45
.LBB263_43:                             ; =>This Inner Loop Header: Depth=1
	flat_load_ubyte v68, v[64:65]
	flat_load_ubyte v69, v[54:55]
	s_andn2_b64 s[22:23], s[22:23], exec
	s_or_b64 s[18:19], s[18:19], exec
	s_or_b64 s[20:21], s[20:21], exec
	s_waitcnt vmcnt(0) lgkmcnt(0)
	v_cmp_le_i16_sdwa s[26:27], sext(v68), sext(v69) src0_sel:BYTE_0 src1_sel:BYTE_0
	v_cmp_lt_i16_sdwa s[24:25], sext(v68), sext(v69) src0_sel:BYTE_0 src1_sel:BYTE_0
	s_and_b64 s[26:27], s[26:27], s[0:1]
	v_cmp_eq_u16_sdwa s[28:29], v68, v69 src0_sel:BYTE_0 src1_sel:BYTE_0
	s_or_b64 s[24:25], s[24:25], s[26:27]
	s_and_saveexec_b64 s[26:27], s[28:29]
	s_cbranch_execz .LBB263_42
; %bb.44:                               ;   in Loop: Header=BB263_43 Depth=1
	v_lshl_add_u64 v[66:67], v[66:67], 0, -1
	v_cmp_eq_u64_e64 s[0:1], 0, v[66:67]
	s_andn2_b64 s[22:23], s[22:23], exec
	s_and_b64 s[28:29], s[24:25], exec
	s_andn2_b64 s[20:21], s[20:21], exec
	s_and_b64 s[0:1], s[0:1], exec
	v_lshl_add_u64 v[54:55], v[54:55], 0, 1
	v_lshl_add_u64 v[64:65], v[64:65], 0, 1
	s_or_b64 s[22:23], s[22:23], s[28:29]
	s_andn2_b64 s[18:19], s[18:19], exec
	s_or_b64 s[20:21], s[20:21], s[0:1]
                                        ; implicit-def: $sgpr0_sgpr1
	s_branch .LBB263_42
.LBB263_45:
	s_or_b64 exec, exec, s[14:15]
	s_and_saveexec_b64 s[0:1], s[16:17]
	s_xor_b64 s[0:1], exec, s[0:1]
; %bb.46:
	v_cndmask_b32_e64 v55, v17, v19, s[10:11]
	v_cndmask_b32_e64 v54, v16, v18, s[10:11]
	;; [unrolled: 1-line block ×4, first 2 shown]
	v_mov_b64_e32 v[16:17], v[54:55]
; %bb.47:
	s_or_b64 exec, exec, s[0:1]
	s_or_b64 exec, exec, s[6:7]
	s_and_saveexec_b64 s[6:7], vcc
	s_cbranch_execz .LBB263_9
.LBB263_48:
	v_mad_u64_u32 v[54:55], s[0:1], v12, v6, v[8:9]
	v_mul_lo_u32 v64, v12, v7
	v_mul_lo_u32 v65, v13, v6
	v_add3_u32 v55, v65, v55, v64
	v_mad_u64_u32 v[64:65], s[0:1], v14, v6, v[8:9]
	v_mul_lo_u32 v66, v14, v7
	v_mul_lo_u32 v67, v15, v6
	v_add3_u32 v65, v67, v65, v66
	s_mov_b64 s[14:15], 0
	v_mov_b64_e32 v[66:67], v[6:7]
                                        ; implicit-def: $sgpr10_sgpr11
                                        ; implicit-def: $sgpr16_sgpr17
                                        ; implicit-def: $sgpr20_sgpr21
                                        ; implicit-def: $sgpr18_sgpr19
                                        ; implicit-def: $sgpr22_sgpr23
                                        ; implicit-def: $sgpr0_sgpr1
	s_branch .LBB263_50
.LBB263_49:                             ;   in Loop: Header=BB263_50 Depth=1
	s_or_b64 exec, exec, s[26:27]
	s_and_b64 s[26:27], exec, s[20:21]
	s_or_b64 s[14:15], s[26:27], s[14:15]
	s_andn2_b64 s[0:1], s[0:1], exec
	s_and_b64 s[26:27], s[22:23], exec
	s_or_b64 s[0:1], s[0:1], s[26:27]
	s_andn2_b64 s[16:17], s[16:17], exec
	s_and_b64 s[26:27], s[18:19], exec
	s_andn2_b64 s[10:11], s[10:11], exec
	s_and_b64 s[24:25], s[24:25], exec
	s_or_b64 s[16:17], s[16:17], s[26:27]
	s_or_b64 s[10:11], s[10:11], s[24:25]
	s_andn2_b64 exec, exec, s[14:15]
	s_cbranch_execz .LBB263_52
.LBB263_50:                             ; =>This Inner Loop Header: Depth=1
	flat_load_ubyte v68, v[64:65]
	flat_load_ubyte v69, v[54:55]
	s_andn2_b64 s[22:23], s[22:23], exec
	s_or_b64 s[18:19], s[18:19], exec
	s_or_b64 s[20:21], s[20:21], exec
	s_waitcnt vmcnt(0) lgkmcnt(0)
	v_cmp_le_i16_sdwa s[26:27], sext(v68), sext(v69) src0_sel:BYTE_0 src1_sel:BYTE_0
	v_cmp_lt_i16_sdwa s[24:25], sext(v68), sext(v69) src0_sel:BYTE_0 src1_sel:BYTE_0
	s_and_b64 s[26:27], s[26:27], s[0:1]
	v_cmp_eq_u16_sdwa s[28:29], v68, v69 src0_sel:BYTE_0 src1_sel:BYTE_0
	s_or_b64 s[24:25], s[24:25], s[26:27]
	s_and_saveexec_b64 s[26:27], s[28:29]
	s_cbranch_execz .LBB263_49
; %bb.51:                               ;   in Loop: Header=BB263_50 Depth=1
	v_lshl_add_u64 v[66:67], v[66:67], 0, -1
	v_cmp_eq_u64_e64 s[0:1], 0, v[66:67]
	s_andn2_b64 s[22:23], s[22:23], exec
	s_and_b64 s[28:29], s[24:25], exec
	s_andn2_b64 s[20:21], s[20:21], exec
	s_and_b64 s[0:1], s[0:1], exec
	v_lshl_add_u64 v[54:55], v[54:55], 0, 1
	v_lshl_add_u64 v[64:65], v[64:65], 0, 1
	s_or_b64 s[22:23], s[22:23], s[28:29]
	s_andn2_b64 s[18:19], s[18:19], exec
	s_or_b64 s[20:21], s[20:21], s[0:1]
                                        ; implicit-def: $sgpr0_sgpr1
	s_branch .LBB263_49
.LBB263_52:
	s_or_b64 exec, exec, s[14:15]
	s_and_saveexec_b64 s[0:1], s[16:17]
	s_xor_b64 s[0:1], exec, s[0:1]
; %bb.53:
	v_cndmask_b32_e64 v55, v13, v15, s[10:11]
	v_cndmask_b32_e64 v54, v12, v14, s[10:11]
	;; [unrolled: 1-line block ×4, first 2 shown]
	v_mov_b64_e32 v[12:13], v[54:55]
; %bb.54:
	s_or_b64 exec, exec, s[0:1]
	s_or_b64 exec, exec, s[6:7]
	s_and_saveexec_b64 s[6:7], vcc
	s_cbranch_execz .LBB263_10
.LBB263_55:
	v_mad_u64_u32 v[54:55], s[0:1], v0, v6, v[8:9]
	v_mul_lo_u32 v64, v0, v7
	v_mul_lo_u32 v65, v1, v6
	v_add3_u32 v55, v65, v55, v64
	v_mad_u64_u32 v[64:65], s[0:1], v2, v6, v[8:9]
	v_mul_lo_u32 v66, v2, v7
	v_mul_lo_u32 v67, v3, v6
	v_add3_u32 v65, v67, v65, v66
	s_mov_b64 s[14:15], 0
	v_mov_b64_e32 v[66:67], v[6:7]
                                        ; implicit-def: $sgpr10_sgpr11
                                        ; implicit-def: $sgpr16_sgpr17
                                        ; implicit-def: $sgpr20_sgpr21
                                        ; implicit-def: $sgpr18_sgpr19
                                        ; implicit-def: $sgpr22_sgpr23
                                        ; implicit-def: $sgpr0_sgpr1
	s_branch .LBB263_57
.LBB263_56:                             ;   in Loop: Header=BB263_57 Depth=1
	s_or_b64 exec, exec, s[26:27]
	s_and_b64 s[26:27], exec, s[20:21]
	s_or_b64 s[14:15], s[26:27], s[14:15]
	s_andn2_b64 s[0:1], s[0:1], exec
	s_and_b64 s[26:27], s[22:23], exec
	s_or_b64 s[0:1], s[0:1], s[26:27]
	s_andn2_b64 s[16:17], s[16:17], exec
	s_and_b64 s[26:27], s[18:19], exec
	s_andn2_b64 s[10:11], s[10:11], exec
	s_and_b64 s[24:25], s[24:25], exec
	s_or_b64 s[16:17], s[16:17], s[26:27]
	s_or_b64 s[10:11], s[10:11], s[24:25]
	s_andn2_b64 exec, exec, s[14:15]
	s_cbranch_execz .LBB263_59
.LBB263_57:                             ; =>This Inner Loop Header: Depth=1
	flat_load_ubyte v68, v[64:65]
	flat_load_ubyte v69, v[54:55]
	s_andn2_b64 s[22:23], s[22:23], exec
	s_or_b64 s[18:19], s[18:19], exec
	s_or_b64 s[20:21], s[20:21], exec
	s_waitcnt vmcnt(0) lgkmcnt(0)
	v_cmp_le_i16_sdwa s[26:27], sext(v68), sext(v69) src0_sel:BYTE_0 src1_sel:BYTE_0
	v_cmp_lt_i16_sdwa s[24:25], sext(v68), sext(v69) src0_sel:BYTE_0 src1_sel:BYTE_0
	s_and_b64 s[26:27], s[26:27], s[0:1]
	v_cmp_eq_u16_sdwa s[28:29], v68, v69 src0_sel:BYTE_0 src1_sel:BYTE_0
	s_or_b64 s[24:25], s[24:25], s[26:27]
	s_and_saveexec_b64 s[26:27], s[28:29]
	s_cbranch_execz .LBB263_56
; %bb.58:                               ;   in Loop: Header=BB263_57 Depth=1
	v_lshl_add_u64 v[66:67], v[66:67], 0, -1
	v_cmp_eq_u64_e64 s[0:1], 0, v[66:67]
	s_andn2_b64 s[22:23], s[22:23], exec
	s_and_b64 s[28:29], s[24:25], exec
	s_andn2_b64 s[20:21], s[20:21], exec
	s_and_b64 s[0:1], s[0:1], exec
	v_lshl_add_u64 v[54:55], v[54:55], 0, 1
	v_lshl_add_u64 v[64:65], v[64:65], 0, 1
	s_or_b64 s[22:23], s[22:23], s[28:29]
	s_andn2_b64 s[18:19], s[18:19], exec
	s_or_b64 s[20:21], s[20:21], s[0:1]
                                        ; implicit-def: $sgpr0_sgpr1
	s_branch .LBB263_56
.LBB263_59:
	s_or_b64 exec, exec, s[14:15]
	s_and_saveexec_b64 s[0:1], s[16:17]
	s_xor_b64 s[0:1], exec, s[0:1]
; %bb.60:
	v_cndmask_b32_e64 v55, v1, v3, s[10:11]
	v_cndmask_b32_e64 v54, v0, v2, s[10:11]
	;; [unrolled: 1-line block ×4, first 2 shown]
	v_mov_b64_e32 v[0:1], v[54:55]
; %bb.61:
	s_or_b64 exec, exec, s[0:1]
	s_or_b64 exec, exec, s[6:7]
	s_and_saveexec_b64 s[0:1], vcc
	s_xor_b64 s[6:7], exec, s[0:1]
	s_cbranch_execz .LBB263_11
.LBB263_62:
	v_mad_u64_u32 v[54:55], s[0:1], v22, v6, v[8:9]
	v_mul_lo_u32 v64, v22, v7
	v_mul_lo_u32 v65, v23, v6
	v_add3_u32 v55, v65, v55, v64
	v_mad_u64_u32 v[64:65], s[0:1], v16, v6, v[8:9]
	v_mul_lo_u32 v66, v16, v7
	v_mul_lo_u32 v67, v17, v6
	v_add3_u32 v65, v67, v65, v66
	s_mov_b64 s[14:15], 0
	v_mov_b64_e32 v[66:67], v[6:7]
                                        ; implicit-def: $sgpr10_sgpr11
                                        ; implicit-def: $sgpr16_sgpr17
                                        ; implicit-def: $sgpr20_sgpr21
                                        ; implicit-def: $sgpr18_sgpr19
                                        ; implicit-def: $sgpr22_sgpr23
                                        ; implicit-def: $sgpr0_sgpr1
	s_branch .LBB263_64
.LBB263_63:                             ;   in Loop: Header=BB263_64 Depth=1
	s_or_b64 exec, exec, s[26:27]
	s_and_b64 s[26:27], exec, s[20:21]
	s_or_b64 s[14:15], s[26:27], s[14:15]
	s_andn2_b64 s[0:1], s[0:1], exec
	s_and_b64 s[26:27], s[22:23], exec
	s_or_b64 s[0:1], s[0:1], s[26:27]
	s_andn2_b64 s[16:17], s[16:17], exec
	s_and_b64 s[26:27], s[18:19], exec
	s_andn2_b64 s[10:11], s[10:11], exec
	s_and_b64 s[24:25], s[24:25], exec
	s_or_b64 s[16:17], s[16:17], s[26:27]
	s_or_b64 s[10:11], s[10:11], s[24:25]
	s_andn2_b64 exec, exec, s[14:15]
	s_cbranch_execz .LBB263_66
.LBB263_64:                             ; =>This Inner Loop Header: Depth=1
	flat_load_ubyte v68, v[64:65]
	flat_load_ubyte v69, v[54:55]
	s_andn2_b64 s[22:23], s[22:23], exec
	s_or_b64 s[18:19], s[18:19], exec
	s_or_b64 s[20:21], s[20:21], exec
	s_waitcnt vmcnt(0) lgkmcnt(0)
	v_cmp_le_i16_sdwa s[26:27], sext(v68), sext(v69) src0_sel:BYTE_0 src1_sel:BYTE_0
	v_cmp_lt_i16_sdwa s[24:25], sext(v68), sext(v69) src0_sel:BYTE_0 src1_sel:BYTE_0
	s_and_b64 s[26:27], s[26:27], s[0:1]
	v_cmp_eq_u16_sdwa s[28:29], v68, v69 src0_sel:BYTE_0 src1_sel:BYTE_0
	s_or_b64 s[24:25], s[24:25], s[26:27]
	s_and_saveexec_b64 s[26:27], s[28:29]
	s_cbranch_execz .LBB263_63
; %bb.65:                               ;   in Loop: Header=BB263_64 Depth=1
	v_lshl_add_u64 v[66:67], v[66:67], 0, -1
	v_cmp_eq_u64_e64 s[0:1], 0, v[66:67]
	s_andn2_b64 s[22:23], s[22:23], exec
	s_and_b64 s[28:29], s[24:25], exec
	s_andn2_b64 s[20:21], s[20:21], exec
	s_and_b64 s[0:1], s[0:1], exec
	v_lshl_add_u64 v[54:55], v[54:55], 0, 1
	v_lshl_add_u64 v[64:65], v[64:65], 0, 1
	s_or_b64 s[22:23], s[22:23], s[28:29]
	s_andn2_b64 s[18:19], s[18:19], exec
	s_or_b64 s[20:21], s[20:21], s[0:1]
                                        ; implicit-def: $sgpr0_sgpr1
	s_branch .LBB263_63
.LBB263_66:
	s_or_b64 exec, exec, s[14:15]
	s_and_saveexec_b64 s[0:1], s[16:17]
	s_xor_b64 s[0:1], exec, s[0:1]
; %bb.67:
	v_cndmask_b32_e64 v55, v23, v17, s[10:11]
	v_cndmask_b32_e64 v54, v22, v16, s[10:11]
	;; [unrolled: 1-line block ×4, first 2 shown]
	v_mov_b64_e32 v[22:23], v[54:55]
; %bb.68:
	s_or_b64 exec, exec, s[0:1]
	s_or_b64 exec, exec, s[6:7]
	s_and_saveexec_b64 s[6:7], vcc
	s_cbranch_execz .LBB263_12
.LBB263_69:
	v_mad_u64_u32 v[54:55], s[0:1], v18, v6, v[8:9]
	v_mul_lo_u32 v64, v18, v7
	v_mul_lo_u32 v65, v19, v6
	v_add3_u32 v55, v65, v55, v64
	v_mad_u64_u32 v[64:65], s[0:1], v12, v6, v[8:9]
	v_mul_lo_u32 v66, v12, v7
	v_mul_lo_u32 v67, v13, v6
	v_add3_u32 v65, v67, v65, v66
	s_mov_b64 s[14:15], 0
	v_mov_b64_e32 v[66:67], v[6:7]
                                        ; implicit-def: $sgpr10_sgpr11
                                        ; implicit-def: $sgpr16_sgpr17
                                        ; implicit-def: $sgpr20_sgpr21
                                        ; implicit-def: $sgpr18_sgpr19
                                        ; implicit-def: $sgpr22_sgpr23
                                        ; implicit-def: $sgpr0_sgpr1
	s_branch .LBB263_71
.LBB263_70:                             ;   in Loop: Header=BB263_71 Depth=1
	s_or_b64 exec, exec, s[26:27]
	s_and_b64 s[26:27], exec, s[20:21]
	s_or_b64 s[14:15], s[26:27], s[14:15]
	s_andn2_b64 s[0:1], s[0:1], exec
	s_and_b64 s[26:27], s[22:23], exec
	s_or_b64 s[0:1], s[0:1], s[26:27]
	s_andn2_b64 s[16:17], s[16:17], exec
	s_and_b64 s[26:27], s[18:19], exec
	s_andn2_b64 s[10:11], s[10:11], exec
	s_and_b64 s[24:25], s[24:25], exec
	s_or_b64 s[16:17], s[16:17], s[26:27]
	s_or_b64 s[10:11], s[10:11], s[24:25]
	s_andn2_b64 exec, exec, s[14:15]
	s_cbranch_execz .LBB263_73
.LBB263_71:                             ; =>This Inner Loop Header: Depth=1
	flat_load_ubyte v68, v[64:65]
	flat_load_ubyte v69, v[54:55]
	s_andn2_b64 s[22:23], s[22:23], exec
	s_or_b64 s[18:19], s[18:19], exec
	s_or_b64 s[20:21], s[20:21], exec
	s_waitcnt vmcnt(0) lgkmcnt(0)
	v_cmp_le_i16_sdwa s[26:27], sext(v68), sext(v69) src0_sel:BYTE_0 src1_sel:BYTE_0
	v_cmp_lt_i16_sdwa s[24:25], sext(v68), sext(v69) src0_sel:BYTE_0 src1_sel:BYTE_0
	s_and_b64 s[26:27], s[26:27], s[0:1]
	v_cmp_eq_u16_sdwa s[28:29], v68, v69 src0_sel:BYTE_0 src1_sel:BYTE_0
	s_or_b64 s[24:25], s[24:25], s[26:27]
	s_and_saveexec_b64 s[26:27], s[28:29]
	s_cbranch_execz .LBB263_70
; %bb.72:                               ;   in Loop: Header=BB263_71 Depth=1
	v_lshl_add_u64 v[66:67], v[66:67], 0, -1
	v_cmp_eq_u64_e64 s[0:1], 0, v[66:67]
	s_andn2_b64 s[22:23], s[22:23], exec
	s_and_b64 s[28:29], s[24:25], exec
	s_andn2_b64 s[20:21], s[20:21], exec
	s_and_b64 s[0:1], s[0:1], exec
	v_lshl_add_u64 v[54:55], v[54:55], 0, 1
	v_lshl_add_u64 v[64:65], v[64:65], 0, 1
	s_or_b64 s[22:23], s[22:23], s[28:29]
	s_andn2_b64 s[18:19], s[18:19], exec
	s_or_b64 s[20:21], s[20:21], s[0:1]
                                        ; implicit-def: $sgpr0_sgpr1
	s_branch .LBB263_70
.LBB263_73:
	s_or_b64 exec, exec, s[14:15]
	s_and_saveexec_b64 s[0:1], s[16:17]
	s_xor_b64 s[0:1], exec, s[0:1]
; %bb.74:
	v_cndmask_b32_e64 v55, v19, v13, s[10:11]
	v_cndmask_b32_e64 v54, v18, v12, s[10:11]
	;; [unrolled: 1-line block ×4, first 2 shown]
	v_mov_b64_e32 v[18:19], v[54:55]
; %bb.75:
	s_or_b64 exec, exec, s[0:1]
	s_or_b64 exec, exec, s[6:7]
	s_and_saveexec_b64 s[6:7], vcc
	s_cbranch_execz .LBB263_13
.LBB263_76:
	v_mad_u64_u32 v[54:55], s[0:1], v14, v6, v[8:9]
	v_mul_lo_u32 v64, v14, v7
	v_mul_lo_u32 v65, v15, v6
	v_add3_u32 v55, v65, v55, v64
	v_mad_u64_u32 v[64:65], s[0:1], v0, v6, v[8:9]
	v_mul_lo_u32 v66, v0, v7
	v_mul_lo_u32 v67, v1, v6
	v_add3_u32 v65, v67, v65, v66
	s_mov_b64 s[14:15], 0
	v_mov_b64_e32 v[66:67], v[6:7]
                                        ; implicit-def: $sgpr10_sgpr11
                                        ; implicit-def: $sgpr16_sgpr17
                                        ; implicit-def: $sgpr20_sgpr21
                                        ; implicit-def: $sgpr18_sgpr19
                                        ; implicit-def: $sgpr22_sgpr23
                                        ; implicit-def: $sgpr0_sgpr1
	s_branch .LBB263_78
.LBB263_77:                             ;   in Loop: Header=BB263_78 Depth=1
	s_or_b64 exec, exec, s[26:27]
	s_and_b64 s[26:27], exec, s[20:21]
	s_or_b64 s[14:15], s[26:27], s[14:15]
	s_andn2_b64 s[0:1], s[0:1], exec
	s_and_b64 s[26:27], s[22:23], exec
	s_or_b64 s[0:1], s[0:1], s[26:27]
	s_andn2_b64 s[16:17], s[16:17], exec
	s_and_b64 s[26:27], s[18:19], exec
	s_andn2_b64 s[10:11], s[10:11], exec
	s_and_b64 s[24:25], s[24:25], exec
	s_or_b64 s[16:17], s[16:17], s[26:27]
	s_or_b64 s[10:11], s[10:11], s[24:25]
	s_andn2_b64 exec, exec, s[14:15]
	s_cbranch_execz .LBB263_80
.LBB263_78:                             ; =>This Inner Loop Header: Depth=1
	flat_load_ubyte v68, v[64:65]
	flat_load_ubyte v69, v[54:55]
	s_andn2_b64 s[22:23], s[22:23], exec
	s_or_b64 s[18:19], s[18:19], exec
	s_or_b64 s[20:21], s[20:21], exec
	s_waitcnt vmcnt(0) lgkmcnt(0)
	v_cmp_le_i16_sdwa s[26:27], sext(v68), sext(v69) src0_sel:BYTE_0 src1_sel:BYTE_0
	v_cmp_lt_i16_sdwa s[24:25], sext(v68), sext(v69) src0_sel:BYTE_0 src1_sel:BYTE_0
	s_and_b64 s[26:27], s[26:27], s[0:1]
	v_cmp_eq_u16_sdwa s[28:29], v68, v69 src0_sel:BYTE_0 src1_sel:BYTE_0
	s_or_b64 s[24:25], s[24:25], s[26:27]
	s_and_saveexec_b64 s[26:27], s[28:29]
	s_cbranch_execz .LBB263_77
; %bb.79:                               ;   in Loop: Header=BB263_78 Depth=1
	v_lshl_add_u64 v[66:67], v[66:67], 0, -1
	v_cmp_eq_u64_e64 s[0:1], 0, v[66:67]
	s_andn2_b64 s[22:23], s[22:23], exec
	s_and_b64 s[28:29], s[24:25], exec
	s_andn2_b64 s[20:21], s[20:21], exec
	s_and_b64 s[0:1], s[0:1], exec
	v_lshl_add_u64 v[54:55], v[54:55], 0, 1
	v_lshl_add_u64 v[64:65], v[64:65], 0, 1
	s_or_b64 s[22:23], s[22:23], s[28:29]
	s_andn2_b64 s[18:19], s[18:19], exec
	s_or_b64 s[20:21], s[20:21], s[0:1]
                                        ; implicit-def: $sgpr0_sgpr1
	s_branch .LBB263_77
.LBB263_80:
	s_or_b64 exec, exec, s[14:15]
	s_and_saveexec_b64 s[0:1], s[16:17]
	s_xor_b64 s[0:1], exec, s[0:1]
; %bb.81:
	v_cndmask_b32_e64 v55, v15, v1, s[10:11]
	v_cndmask_b32_e64 v54, v14, v0, s[10:11]
	;; [unrolled: 1-line block ×4, first 2 shown]
	v_mov_b64_e32 v[14:15], v[54:55]
; %bb.82:
	s_or_b64 exec, exec, s[0:1]
	s_or_b64 exec, exec, s[6:7]
	s_and_saveexec_b64 s[6:7], vcc
	s_cbranch_execz .LBB263_14
.LBB263_83:
	v_mad_u64_u32 v[54:55], s[0:1], v20, v6, v[8:9]
	v_mul_lo_u32 v64, v20, v7
	v_mul_lo_u32 v65, v21, v6
	v_add3_u32 v55, v65, v55, v64
	v_mad_u64_u32 v[64:65], s[0:1], v22, v6, v[8:9]
	v_mul_lo_u32 v66, v22, v7
	v_mul_lo_u32 v67, v23, v6
	v_add3_u32 v65, v67, v65, v66
	s_mov_b64 s[14:15], 0
	v_mov_b64_e32 v[66:67], v[6:7]
                                        ; implicit-def: $sgpr10_sgpr11
                                        ; implicit-def: $sgpr16_sgpr17
                                        ; implicit-def: $sgpr20_sgpr21
                                        ; implicit-def: $sgpr18_sgpr19
                                        ; implicit-def: $sgpr22_sgpr23
                                        ; implicit-def: $sgpr0_sgpr1
	s_branch .LBB263_85
.LBB263_84:                             ;   in Loop: Header=BB263_85 Depth=1
	s_or_b64 exec, exec, s[26:27]
	s_and_b64 s[26:27], exec, s[20:21]
	s_or_b64 s[14:15], s[26:27], s[14:15]
	s_andn2_b64 s[0:1], s[0:1], exec
	s_and_b64 s[26:27], s[22:23], exec
	s_or_b64 s[0:1], s[0:1], s[26:27]
	s_andn2_b64 s[16:17], s[16:17], exec
	s_and_b64 s[26:27], s[18:19], exec
	s_andn2_b64 s[10:11], s[10:11], exec
	s_and_b64 s[24:25], s[24:25], exec
	s_or_b64 s[16:17], s[16:17], s[26:27]
	s_or_b64 s[10:11], s[10:11], s[24:25]
	s_andn2_b64 exec, exec, s[14:15]
	s_cbranch_execz .LBB263_87
.LBB263_85:                             ; =>This Inner Loop Header: Depth=1
	flat_load_ubyte v68, v[64:65]
	flat_load_ubyte v69, v[54:55]
	s_andn2_b64 s[22:23], s[22:23], exec
	s_or_b64 s[18:19], s[18:19], exec
	s_or_b64 s[20:21], s[20:21], exec
	s_waitcnt vmcnt(0) lgkmcnt(0)
	v_cmp_le_i16_sdwa s[26:27], sext(v68), sext(v69) src0_sel:BYTE_0 src1_sel:BYTE_0
	v_cmp_lt_i16_sdwa s[24:25], sext(v68), sext(v69) src0_sel:BYTE_0 src1_sel:BYTE_0
	s_and_b64 s[26:27], s[26:27], s[0:1]
	v_cmp_eq_u16_sdwa s[28:29], v68, v69 src0_sel:BYTE_0 src1_sel:BYTE_0
	s_or_b64 s[24:25], s[24:25], s[26:27]
	s_and_saveexec_b64 s[26:27], s[28:29]
	s_cbranch_execz .LBB263_84
; %bb.86:                               ;   in Loop: Header=BB263_85 Depth=1
	v_lshl_add_u64 v[66:67], v[66:67], 0, -1
	v_cmp_eq_u64_e64 s[0:1], 0, v[66:67]
	s_andn2_b64 s[22:23], s[22:23], exec
	s_and_b64 s[28:29], s[24:25], exec
	s_andn2_b64 s[20:21], s[20:21], exec
	s_and_b64 s[0:1], s[0:1], exec
	v_lshl_add_u64 v[54:55], v[54:55], 0, 1
	v_lshl_add_u64 v[64:65], v[64:65], 0, 1
	s_or_b64 s[22:23], s[22:23], s[28:29]
	s_andn2_b64 s[18:19], s[18:19], exec
	s_or_b64 s[20:21], s[20:21], s[0:1]
                                        ; implicit-def: $sgpr0_sgpr1
	s_branch .LBB263_84
.LBB263_87:
	s_or_b64 exec, exec, s[14:15]
	s_and_saveexec_b64 s[0:1], s[16:17]
	s_xor_b64 s[0:1], exec, s[0:1]
; %bb.88:
	v_cndmask_b32_e64 v55, v23, v21, s[10:11]
	v_cndmask_b32_e64 v54, v22, v20, s[10:11]
	v_cndmask_b32_e64 v21, v21, v23, s[10:11]
	v_cndmask_b32_e64 v20, v20, v22, s[10:11]
	v_mov_b64_e32 v[22:23], v[54:55]
; %bb.89:
	s_or_b64 exec, exec, s[0:1]
	s_or_b64 exec, exec, s[6:7]
	s_and_saveexec_b64 s[6:7], vcc
	s_cbranch_execz .LBB263_15
.LBB263_90:
	v_mad_u64_u32 v[54:55], s[0:1], v16, v6, v[8:9]
	v_mul_lo_u32 v64, v16, v7
	v_mul_lo_u32 v65, v17, v6
	v_add3_u32 v55, v65, v55, v64
	v_mad_u64_u32 v[64:65], s[0:1], v18, v6, v[8:9]
	v_mul_lo_u32 v66, v18, v7
	v_mul_lo_u32 v67, v19, v6
	v_add3_u32 v65, v67, v65, v66
	s_mov_b64 s[14:15], 0
	v_mov_b64_e32 v[66:67], v[6:7]
                                        ; implicit-def: $sgpr10_sgpr11
                                        ; implicit-def: $sgpr16_sgpr17
                                        ; implicit-def: $sgpr20_sgpr21
                                        ; implicit-def: $sgpr18_sgpr19
                                        ; implicit-def: $sgpr22_sgpr23
                                        ; implicit-def: $sgpr0_sgpr1
	s_branch .LBB263_92
.LBB263_91:                             ;   in Loop: Header=BB263_92 Depth=1
	s_or_b64 exec, exec, s[26:27]
	s_and_b64 s[26:27], exec, s[20:21]
	s_or_b64 s[14:15], s[26:27], s[14:15]
	s_andn2_b64 s[0:1], s[0:1], exec
	s_and_b64 s[26:27], s[22:23], exec
	s_or_b64 s[0:1], s[0:1], s[26:27]
	s_andn2_b64 s[16:17], s[16:17], exec
	s_and_b64 s[26:27], s[18:19], exec
	s_andn2_b64 s[10:11], s[10:11], exec
	s_and_b64 s[24:25], s[24:25], exec
	s_or_b64 s[16:17], s[16:17], s[26:27]
	s_or_b64 s[10:11], s[10:11], s[24:25]
	s_andn2_b64 exec, exec, s[14:15]
	s_cbranch_execz .LBB263_94
.LBB263_92:                             ; =>This Inner Loop Header: Depth=1
	flat_load_ubyte v68, v[64:65]
	flat_load_ubyte v69, v[54:55]
	s_andn2_b64 s[22:23], s[22:23], exec
	s_or_b64 s[18:19], s[18:19], exec
	s_or_b64 s[20:21], s[20:21], exec
	s_waitcnt vmcnt(0) lgkmcnt(0)
	v_cmp_le_i16_sdwa s[26:27], sext(v68), sext(v69) src0_sel:BYTE_0 src1_sel:BYTE_0
	v_cmp_lt_i16_sdwa s[24:25], sext(v68), sext(v69) src0_sel:BYTE_0 src1_sel:BYTE_0
	s_and_b64 s[26:27], s[26:27], s[0:1]
	v_cmp_eq_u16_sdwa s[28:29], v68, v69 src0_sel:BYTE_0 src1_sel:BYTE_0
	s_or_b64 s[24:25], s[24:25], s[26:27]
	s_and_saveexec_b64 s[26:27], s[28:29]
	s_cbranch_execz .LBB263_91
; %bb.93:                               ;   in Loop: Header=BB263_92 Depth=1
	v_lshl_add_u64 v[66:67], v[66:67], 0, -1
	v_cmp_eq_u64_e64 s[0:1], 0, v[66:67]
	s_andn2_b64 s[22:23], s[22:23], exec
	s_and_b64 s[28:29], s[24:25], exec
	s_andn2_b64 s[20:21], s[20:21], exec
	s_and_b64 s[0:1], s[0:1], exec
	v_lshl_add_u64 v[54:55], v[54:55], 0, 1
	v_lshl_add_u64 v[64:65], v[64:65], 0, 1
	s_or_b64 s[22:23], s[22:23], s[28:29]
	s_andn2_b64 s[18:19], s[18:19], exec
	s_or_b64 s[20:21], s[20:21], s[0:1]
                                        ; implicit-def: $sgpr0_sgpr1
	s_branch .LBB263_91
.LBB263_94:
	s_or_b64 exec, exec, s[14:15]
	s_and_saveexec_b64 s[0:1], s[16:17]
	s_xor_b64 s[0:1], exec, s[0:1]
; %bb.95:
	v_cndmask_b32_e64 v55, v17, v19, s[10:11]
	v_cndmask_b32_e64 v54, v16, v18, s[10:11]
	;; [unrolled: 1-line block ×4, first 2 shown]
	v_mov_b64_e32 v[16:17], v[54:55]
; %bb.96:
	s_or_b64 exec, exec, s[0:1]
	s_or_b64 exec, exec, s[6:7]
	s_and_saveexec_b64 s[6:7], vcc
	s_cbranch_execz .LBB263_16
.LBB263_97:
	v_mad_u64_u32 v[54:55], s[0:1], v12, v6, v[8:9]
	v_mul_lo_u32 v64, v12, v7
	v_mul_lo_u32 v65, v13, v6
	v_add3_u32 v55, v65, v55, v64
	v_mad_u64_u32 v[64:65], s[0:1], v14, v6, v[8:9]
	v_mul_lo_u32 v66, v14, v7
	v_mul_lo_u32 v67, v15, v6
	v_add3_u32 v65, v67, v65, v66
	s_mov_b64 s[14:15], 0
	v_mov_b64_e32 v[66:67], v[6:7]
                                        ; implicit-def: $sgpr10_sgpr11
                                        ; implicit-def: $sgpr16_sgpr17
                                        ; implicit-def: $sgpr20_sgpr21
                                        ; implicit-def: $sgpr18_sgpr19
                                        ; implicit-def: $sgpr22_sgpr23
                                        ; implicit-def: $sgpr0_sgpr1
	s_branch .LBB263_99
.LBB263_98:                             ;   in Loop: Header=BB263_99 Depth=1
	s_or_b64 exec, exec, s[26:27]
	s_and_b64 s[26:27], exec, s[20:21]
	s_or_b64 s[14:15], s[26:27], s[14:15]
	s_andn2_b64 s[0:1], s[0:1], exec
	s_and_b64 s[26:27], s[22:23], exec
	s_or_b64 s[0:1], s[0:1], s[26:27]
	s_andn2_b64 s[16:17], s[16:17], exec
	s_and_b64 s[26:27], s[18:19], exec
	s_andn2_b64 s[10:11], s[10:11], exec
	s_and_b64 s[24:25], s[24:25], exec
	s_or_b64 s[16:17], s[16:17], s[26:27]
	s_or_b64 s[10:11], s[10:11], s[24:25]
	s_andn2_b64 exec, exec, s[14:15]
	s_cbranch_execz .LBB263_101
.LBB263_99:                             ; =>This Inner Loop Header: Depth=1
	flat_load_ubyte v68, v[64:65]
	flat_load_ubyte v69, v[54:55]
	s_andn2_b64 s[22:23], s[22:23], exec
	s_or_b64 s[18:19], s[18:19], exec
	s_or_b64 s[20:21], s[20:21], exec
	s_waitcnt vmcnt(0) lgkmcnt(0)
	v_cmp_le_i16_sdwa s[26:27], sext(v68), sext(v69) src0_sel:BYTE_0 src1_sel:BYTE_0
	v_cmp_lt_i16_sdwa s[24:25], sext(v68), sext(v69) src0_sel:BYTE_0 src1_sel:BYTE_0
	s_and_b64 s[26:27], s[26:27], s[0:1]
	v_cmp_eq_u16_sdwa s[28:29], v68, v69 src0_sel:BYTE_0 src1_sel:BYTE_0
	s_or_b64 s[24:25], s[24:25], s[26:27]
	s_and_saveexec_b64 s[26:27], s[28:29]
	s_cbranch_execz .LBB263_98
; %bb.100:                              ;   in Loop: Header=BB263_99 Depth=1
	v_lshl_add_u64 v[66:67], v[66:67], 0, -1
	v_cmp_eq_u64_e64 s[0:1], 0, v[66:67]
	s_andn2_b64 s[22:23], s[22:23], exec
	s_and_b64 s[28:29], s[24:25], exec
	s_andn2_b64 s[20:21], s[20:21], exec
	s_and_b64 s[0:1], s[0:1], exec
	v_lshl_add_u64 v[54:55], v[54:55], 0, 1
	v_lshl_add_u64 v[64:65], v[64:65], 0, 1
	s_or_b64 s[22:23], s[22:23], s[28:29]
	s_andn2_b64 s[18:19], s[18:19], exec
	s_or_b64 s[20:21], s[20:21], s[0:1]
                                        ; implicit-def: $sgpr0_sgpr1
	s_branch .LBB263_98
.LBB263_101:
	s_or_b64 exec, exec, s[14:15]
	s_and_saveexec_b64 s[0:1], s[16:17]
	s_xor_b64 s[0:1], exec, s[0:1]
; %bb.102:
	v_cndmask_b32_e64 v55, v13, v15, s[10:11]
	v_cndmask_b32_e64 v54, v12, v14, s[10:11]
	v_cndmask_b32_e64 v15, v15, v13, s[10:11]
	v_cndmask_b32_e64 v14, v14, v12, s[10:11]
	v_mov_b64_e32 v[12:13], v[54:55]
; %bb.103:
	s_or_b64 exec, exec, s[0:1]
	s_or_b64 exec, exec, s[6:7]
	s_and_saveexec_b64 s[6:7], vcc
	s_cbranch_execz .LBB263_17
.LBB263_104:
	v_mad_u64_u32 v[54:55], s[0:1], v0, v6, v[8:9]
	v_mul_lo_u32 v64, v0, v7
	v_mul_lo_u32 v65, v1, v6
	v_add3_u32 v55, v65, v55, v64
	v_mad_u64_u32 v[64:65], s[0:1], v2, v6, v[8:9]
	v_mul_lo_u32 v66, v2, v7
	v_mul_lo_u32 v67, v3, v6
	v_add3_u32 v65, v67, v65, v66
	s_mov_b64 s[14:15], 0
	v_mov_b64_e32 v[66:67], v[6:7]
                                        ; implicit-def: $sgpr10_sgpr11
                                        ; implicit-def: $sgpr16_sgpr17
                                        ; implicit-def: $sgpr20_sgpr21
                                        ; implicit-def: $sgpr18_sgpr19
                                        ; implicit-def: $sgpr22_sgpr23
                                        ; implicit-def: $sgpr0_sgpr1
	s_branch .LBB263_106
.LBB263_105:                            ;   in Loop: Header=BB263_106 Depth=1
	s_or_b64 exec, exec, s[26:27]
	s_and_b64 s[26:27], exec, s[20:21]
	s_or_b64 s[14:15], s[26:27], s[14:15]
	s_andn2_b64 s[0:1], s[0:1], exec
	s_and_b64 s[26:27], s[22:23], exec
	s_or_b64 s[0:1], s[0:1], s[26:27]
	s_andn2_b64 s[16:17], s[16:17], exec
	s_and_b64 s[26:27], s[18:19], exec
	s_andn2_b64 s[10:11], s[10:11], exec
	s_and_b64 s[24:25], s[24:25], exec
	s_or_b64 s[16:17], s[16:17], s[26:27]
	s_or_b64 s[10:11], s[10:11], s[24:25]
	s_andn2_b64 exec, exec, s[14:15]
	s_cbranch_execz .LBB263_108
.LBB263_106:                            ; =>This Inner Loop Header: Depth=1
	flat_load_ubyte v68, v[64:65]
	flat_load_ubyte v69, v[54:55]
	s_andn2_b64 s[22:23], s[22:23], exec
	s_or_b64 s[18:19], s[18:19], exec
	s_or_b64 s[20:21], s[20:21], exec
	s_waitcnt vmcnt(0) lgkmcnt(0)
	v_cmp_le_i16_sdwa s[26:27], sext(v68), sext(v69) src0_sel:BYTE_0 src1_sel:BYTE_0
	v_cmp_lt_i16_sdwa s[24:25], sext(v68), sext(v69) src0_sel:BYTE_0 src1_sel:BYTE_0
	s_and_b64 s[26:27], s[26:27], s[0:1]
	v_cmp_eq_u16_sdwa s[28:29], v68, v69 src0_sel:BYTE_0 src1_sel:BYTE_0
	s_or_b64 s[24:25], s[24:25], s[26:27]
	s_and_saveexec_b64 s[26:27], s[28:29]
	s_cbranch_execz .LBB263_105
; %bb.107:                              ;   in Loop: Header=BB263_106 Depth=1
	v_lshl_add_u64 v[66:67], v[66:67], 0, -1
	v_cmp_eq_u64_e64 s[0:1], 0, v[66:67]
	s_andn2_b64 s[22:23], s[22:23], exec
	s_and_b64 s[28:29], s[24:25], exec
	s_andn2_b64 s[20:21], s[20:21], exec
	s_and_b64 s[0:1], s[0:1], exec
	v_lshl_add_u64 v[54:55], v[54:55], 0, 1
	v_lshl_add_u64 v[64:65], v[64:65], 0, 1
	s_or_b64 s[22:23], s[22:23], s[28:29]
	s_andn2_b64 s[18:19], s[18:19], exec
	s_or_b64 s[20:21], s[20:21], s[0:1]
                                        ; implicit-def: $sgpr0_sgpr1
	s_branch .LBB263_105
.LBB263_108:
	s_or_b64 exec, exec, s[14:15]
	s_and_saveexec_b64 s[0:1], s[16:17]
	s_xor_b64 s[0:1], exec, s[0:1]
; %bb.109:
	v_cndmask_b32_e64 v55, v1, v3, s[10:11]
	v_cndmask_b32_e64 v54, v0, v2, s[10:11]
	;; [unrolled: 1-line block ×4, first 2 shown]
	v_mov_b64_e32 v[0:1], v[54:55]
; %bb.110:
	s_or_b64 exec, exec, s[0:1]
	s_or_b64 exec, exec, s[6:7]
	s_and_saveexec_b64 s[6:7], vcc
	s_cbranch_execz .LBB263_18
.LBB263_111:
	v_mad_u64_u32 v[54:55], s[0:1], v22, v6, v[8:9]
	v_mul_lo_u32 v64, v22, v7
	v_mul_lo_u32 v65, v23, v6
	v_add3_u32 v55, v65, v55, v64
	v_mad_u64_u32 v[64:65], s[0:1], v16, v6, v[8:9]
	v_mul_lo_u32 v66, v16, v7
	v_mul_lo_u32 v67, v17, v6
	v_add3_u32 v65, v67, v65, v66
	s_mov_b64 s[14:15], 0
	v_mov_b64_e32 v[66:67], v[6:7]
                                        ; implicit-def: $sgpr10_sgpr11
                                        ; implicit-def: $sgpr16_sgpr17
                                        ; implicit-def: $sgpr20_sgpr21
                                        ; implicit-def: $sgpr18_sgpr19
                                        ; implicit-def: $sgpr22_sgpr23
                                        ; implicit-def: $sgpr0_sgpr1
	s_branch .LBB263_113
.LBB263_112:                            ;   in Loop: Header=BB263_113 Depth=1
	s_or_b64 exec, exec, s[26:27]
	s_and_b64 s[26:27], exec, s[20:21]
	s_or_b64 s[14:15], s[26:27], s[14:15]
	s_andn2_b64 s[0:1], s[0:1], exec
	s_and_b64 s[26:27], s[22:23], exec
	s_or_b64 s[0:1], s[0:1], s[26:27]
	s_andn2_b64 s[16:17], s[16:17], exec
	s_and_b64 s[26:27], s[18:19], exec
	s_andn2_b64 s[10:11], s[10:11], exec
	s_and_b64 s[24:25], s[24:25], exec
	s_or_b64 s[16:17], s[16:17], s[26:27]
	s_or_b64 s[10:11], s[10:11], s[24:25]
	s_andn2_b64 exec, exec, s[14:15]
	s_cbranch_execz .LBB263_115
.LBB263_113:                            ; =>This Inner Loop Header: Depth=1
	flat_load_ubyte v68, v[64:65]
	flat_load_ubyte v69, v[54:55]
	s_andn2_b64 s[22:23], s[22:23], exec
	s_or_b64 s[18:19], s[18:19], exec
	s_or_b64 s[20:21], s[20:21], exec
	s_waitcnt vmcnt(0) lgkmcnt(0)
	v_cmp_le_i16_sdwa s[26:27], sext(v68), sext(v69) src0_sel:BYTE_0 src1_sel:BYTE_0
	v_cmp_lt_i16_sdwa s[24:25], sext(v68), sext(v69) src0_sel:BYTE_0 src1_sel:BYTE_0
	s_and_b64 s[26:27], s[26:27], s[0:1]
	v_cmp_eq_u16_sdwa s[28:29], v68, v69 src0_sel:BYTE_0 src1_sel:BYTE_0
	s_or_b64 s[24:25], s[24:25], s[26:27]
	s_and_saveexec_b64 s[26:27], s[28:29]
	s_cbranch_execz .LBB263_112
; %bb.114:                              ;   in Loop: Header=BB263_113 Depth=1
	v_lshl_add_u64 v[66:67], v[66:67], 0, -1
	v_cmp_eq_u64_e64 s[0:1], 0, v[66:67]
	s_andn2_b64 s[22:23], s[22:23], exec
	s_and_b64 s[28:29], s[24:25], exec
	s_andn2_b64 s[20:21], s[20:21], exec
	s_and_b64 s[0:1], s[0:1], exec
	v_lshl_add_u64 v[54:55], v[54:55], 0, 1
	v_lshl_add_u64 v[64:65], v[64:65], 0, 1
	s_or_b64 s[22:23], s[22:23], s[28:29]
	s_andn2_b64 s[18:19], s[18:19], exec
	s_or_b64 s[20:21], s[20:21], s[0:1]
                                        ; implicit-def: $sgpr0_sgpr1
	s_branch .LBB263_112
.LBB263_115:
	s_or_b64 exec, exec, s[14:15]
	s_and_saveexec_b64 s[0:1], s[16:17]
	s_xor_b64 s[0:1], exec, s[0:1]
; %bb.116:
	v_cndmask_b32_e64 v55, v23, v17, s[10:11]
	v_cndmask_b32_e64 v54, v22, v16, s[10:11]
	;; [unrolled: 1-line block ×4, first 2 shown]
	v_mov_b64_e32 v[22:23], v[54:55]
; %bb.117:
	s_or_b64 exec, exec, s[0:1]
	s_or_b64 exec, exec, s[6:7]
	s_and_saveexec_b64 s[6:7], vcc
	s_cbranch_execz .LBB263_19
.LBB263_118:
	v_mad_u64_u32 v[54:55], s[0:1], v18, v6, v[8:9]
	v_mul_lo_u32 v64, v18, v7
	v_mul_lo_u32 v65, v19, v6
	v_add3_u32 v55, v65, v55, v64
	v_mad_u64_u32 v[64:65], s[0:1], v12, v6, v[8:9]
	v_mul_lo_u32 v66, v12, v7
	v_mul_lo_u32 v67, v13, v6
	v_add3_u32 v65, v67, v65, v66
	s_mov_b64 s[14:15], 0
	v_mov_b64_e32 v[66:67], v[6:7]
                                        ; implicit-def: $sgpr10_sgpr11
                                        ; implicit-def: $sgpr16_sgpr17
                                        ; implicit-def: $sgpr20_sgpr21
                                        ; implicit-def: $sgpr18_sgpr19
                                        ; implicit-def: $sgpr22_sgpr23
                                        ; implicit-def: $sgpr0_sgpr1
	s_branch .LBB263_120
.LBB263_119:                            ;   in Loop: Header=BB263_120 Depth=1
	s_or_b64 exec, exec, s[26:27]
	s_and_b64 s[26:27], exec, s[20:21]
	s_or_b64 s[14:15], s[26:27], s[14:15]
	s_andn2_b64 s[0:1], s[0:1], exec
	s_and_b64 s[26:27], s[22:23], exec
	s_or_b64 s[0:1], s[0:1], s[26:27]
	s_andn2_b64 s[16:17], s[16:17], exec
	s_and_b64 s[26:27], s[18:19], exec
	s_andn2_b64 s[10:11], s[10:11], exec
	s_and_b64 s[24:25], s[24:25], exec
	s_or_b64 s[16:17], s[16:17], s[26:27]
	s_or_b64 s[10:11], s[10:11], s[24:25]
	s_andn2_b64 exec, exec, s[14:15]
	s_cbranch_execz .LBB263_122
.LBB263_120:                            ; =>This Inner Loop Header: Depth=1
	flat_load_ubyte v68, v[64:65]
	flat_load_ubyte v69, v[54:55]
	s_andn2_b64 s[22:23], s[22:23], exec
	s_or_b64 s[18:19], s[18:19], exec
	s_or_b64 s[20:21], s[20:21], exec
	s_waitcnt vmcnt(0) lgkmcnt(0)
	v_cmp_le_i16_sdwa s[26:27], sext(v68), sext(v69) src0_sel:BYTE_0 src1_sel:BYTE_0
	v_cmp_lt_i16_sdwa s[24:25], sext(v68), sext(v69) src0_sel:BYTE_0 src1_sel:BYTE_0
	s_and_b64 s[26:27], s[26:27], s[0:1]
	v_cmp_eq_u16_sdwa s[28:29], v68, v69 src0_sel:BYTE_0 src1_sel:BYTE_0
	s_or_b64 s[24:25], s[24:25], s[26:27]
	s_and_saveexec_b64 s[26:27], s[28:29]
	s_cbranch_execz .LBB263_119
; %bb.121:                              ;   in Loop: Header=BB263_120 Depth=1
	v_lshl_add_u64 v[66:67], v[66:67], 0, -1
	v_cmp_eq_u64_e64 s[0:1], 0, v[66:67]
	s_andn2_b64 s[22:23], s[22:23], exec
	s_and_b64 s[28:29], s[24:25], exec
	s_andn2_b64 s[20:21], s[20:21], exec
	s_and_b64 s[0:1], s[0:1], exec
	v_lshl_add_u64 v[54:55], v[54:55], 0, 1
	v_lshl_add_u64 v[64:65], v[64:65], 0, 1
	s_or_b64 s[22:23], s[22:23], s[28:29]
	s_andn2_b64 s[18:19], s[18:19], exec
	s_or_b64 s[20:21], s[20:21], s[0:1]
                                        ; implicit-def: $sgpr0_sgpr1
	s_branch .LBB263_119
.LBB263_122:
	s_or_b64 exec, exec, s[14:15]
	s_and_saveexec_b64 s[0:1], s[16:17]
	s_xor_b64 s[0:1], exec, s[0:1]
; %bb.123:
	v_cndmask_b32_e64 v55, v19, v13, s[10:11]
	v_cndmask_b32_e64 v54, v18, v12, s[10:11]
	;; [unrolled: 1-line block ×4, first 2 shown]
	v_mov_b64_e32 v[18:19], v[54:55]
; %bb.124:
	s_or_b64 exec, exec, s[0:1]
	s_or_b64 exec, exec, s[6:7]
	s_and_saveexec_b64 s[6:7], vcc
	s_cbranch_execz .LBB263_20
.LBB263_125:
	v_mad_u64_u32 v[54:55], s[0:1], v14, v6, v[8:9]
	v_mul_lo_u32 v64, v14, v7
	v_mul_lo_u32 v65, v15, v6
	v_add3_u32 v55, v65, v55, v64
	v_mad_u64_u32 v[64:65], s[0:1], v0, v6, v[8:9]
	v_mul_lo_u32 v66, v0, v7
	v_mul_lo_u32 v67, v1, v6
	v_add3_u32 v65, v67, v65, v66
	s_mov_b64 s[14:15], 0
	v_mov_b64_e32 v[66:67], v[6:7]
                                        ; implicit-def: $sgpr10_sgpr11
                                        ; implicit-def: $sgpr16_sgpr17
                                        ; implicit-def: $sgpr20_sgpr21
                                        ; implicit-def: $sgpr18_sgpr19
                                        ; implicit-def: $sgpr22_sgpr23
                                        ; implicit-def: $sgpr0_sgpr1
	s_branch .LBB263_127
.LBB263_126:                            ;   in Loop: Header=BB263_127 Depth=1
	s_or_b64 exec, exec, s[26:27]
	s_and_b64 s[26:27], exec, s[20:21]
	s_or_b64 s[14:15], s[26:27], s[14:15]
	s_andn2_b64 s[0:1], s[0:1], exec
	s_and_b64 s[26:27], s[22:23], exec
	s_or_b64 s[0:1], s[0:1], s[26:27]
	s_andn2_b64 s[16:17], s[16:17], exec
	s_and_b64 s[26:27], s[18:19], exec
	s_andn2_b64 s[10:11], s[10:11], exec
	s_and_b64 s[24:25], s[24:25], exec
	s_or_b64 s[16:17], s[16:17], s[26:27]
	s_or_b64 s[10:11], s[10:11], s[24:25]
	s_andn2_b64 exec, exec, s[14:15]
	s_cbranch_execz .LBB263_129
.LBB263_127:                            ; =>This Inner Loop Header: Depth=1
	flat_load_ubyte v68, v[64:65]
	flat_load_ubyte v69, v[54:55]
	s_andn2_b64 s[22:23], s[22:23], exec
	s_or_b64 s[18:19], s[18:19], exec
	s_or_b64 s[20:21], s[20:21], exec
	s_waitcnt vmcnt(0) lgkmcnt(0)
	v_cmp_le_i16_sdwa s[26:27], sext(v68), sext(v69) src0_sel:BYTE_0 src1_sel:BYTE_0
	v_cmp_lt_i16_sdwa s[24:25], sext(v68), sext(v69) src0_sel:BYTE_0 src1_sel:BYTE_0
	s_and_b64 s[26:27], s[26:27], s[0:1]
	v_cmp_eq_u16_sdwa s[28:29], v68, v69 src0_sel:BYTE_0 src1_sel:BYTE_0
	s_or_b64 s[24:25], s[24:25], s[26:27]
	s_and_saveexec_b64 s[26:27], s[28:29]
	s_cbranch_execz .LBB263_126
; %bb.128:                              ;   in Loop: Header=BB263_127 Depth=1
	v_lshl_add_u64 v[66:67], v[66:67], 0, -1
	v_cmp_eq_u64_e64 s[0:1], 0, v[66:67]
	s_andn2_b64 s[22:23], s[22:23], exec
	s_and_b64 s[28:29], s[24:25], exec
	s_andn2_b64 s[20:21], s[20:21], exec
	s_and_b64 s[0:1], s[0:1], exec
	v_lshl_add_u64 v[54:55], v[54:55], 0, 1
	v_lshl_add_u64 v[64:65], v[64:65], 0, 1
	s_or_b64 s[22:23], s[22:23], s[28:29]
	s_andn2_b64 s[18:19], s[18:19], exec
	s_or_b64 s[20:21], s[20:21], s[0:1]
                                        ; implicit-def: $sgpr0_sgpr1
	s_branch .LBB263_126
.LBB263_129:
	s_or_b64 exec, exec, s[14:15]
	s_and_saveexec_b64 s[0:1], s[16:17]
	s_xor_b64 s[0:1], exec, s[0:1]
; %bb.130:
	v_cndmask_b32_e64 v55, v15, v1, s[10:11]
	v_cndmask_b32_e64 v54, v14, v0, s[10:11]
	;; [unrolled: 1-line block ×4, first 2 shown]
	v_mov_b64_e32 v[14:15], v[54:55]
; %bb.131:
	s_or_b64 exec, exec, s[0:1]
	s_or_b64 exec, exec, s[6:7]
	s_and_saveexec_b64 s[6:7], vcc
	s_cbranch_execz .LBB263_21
.LBB263_132:
	v_mad_u64_u32 v[54:55], s[0:1], v20, v6, v[8:9]
	v_mul_lo_u32 v64, v20, v7
	v_mul_lo_u32 v65, v21, v6
	v_add3_u32 v55, v65, v55, v64
	v_mad_u64_u32 v[64:65], s[0:1], v22, v6, v[8:9]
	v_mul_lo_u32 v66, v22, v7
	v_mul_lo_u32 v67, v23, v6
	v_add3_u32 v65, v67, v65, v66
	s_mov_b64 s[14:15], 0
	v_mov_b64_e32 v[66:67], v[6:7]
                                        ; implicit-def: $sgpr10_sgpr11
                                        ; implicit-def: $sgpr16_sgpr17
                                        ; implicit-def: $sgpr20_sgpr21
                                        ; implicit-def: $sgpr18_sgpr19
                                        ; implicit-def: $sgpr22_sgpr23
                                        ; implicit-def: $sgpr0_sgpr1
	s_branch .LBB263_134
.LBB263_133:                            ;   in Loop: Header=BB263_134 Depth=1
	s_or_b64 exec, exec, s[26:27]
	s_and_b64 s[26:27], exec, s[20:21]
	s_or_b64 s[14:15], s[26:27], s[14:15]
	s_andn2_b64 s[0:1], s[0:1], exec
	s_and_b64 s[26:27], s[22:23], exec
	s_or_b64 s[0:1], s[0:1], s[26:27]
	s_andn2_b64 s[16:17], s[16:17], exec
	s_and_b64 s[26:27], s[18:19], exec
	s_andn2_b64 s[10:11], s[10:11], exec
	s_and_b64 s[24:25], s[24:25], exec
	s_or_b64 s[16:17], s[16:17], s[26:27]
	s_or_b64 s[10:11], s[10:11], s[24:25]
	s_andn2_b64 exec, exec, s[14:15]
	s_cbranch_execz .LBB263_136
.LBB263_134:                            ; =>This Inner Loop Header: Depth=1
	flat_load_ubyte v68, v[64:65]
	flat_load_ubyte v69, v[54:55]
	s_andn2_b64 s[22:23], s[22:23], exec
	s_or_b64 s[18:19], s[18:19], exec
	s_or_b64 s[20:21], s[20:21], exec
	s_waitcnt vmcnt(0) lgkmcnt(0)
	v_cmp_le_i16_sdwa s[26:27], sext(v68), sext(v69) src0_sel:BYTE_0 src1_sel:BYTE_0
	v_cmp_lt_i16_sdwa s[24:25], sext(v68), sext(v69) src0_sel:BYTE_0 src1_sel:BYTE_0
	s_and_b64 s[26:27], s[26:27], s[0:1]
	v_cmp_eq_u16_sdwa s[28:29], v68, v69 src0_sel:BYTE_0 src1_sel:BYTE_0
	s_or_b64 s[24:25], s[24:25], s[26:27]
	s_and_saveexec_b64 s[26:27], s[28:29]
	s_cbranch_execz .LBB263_133
; %bb.135:                              ;   in Loop: Header=BB263_134 Depth=1
	v_lshl_add_u64 v[66:67], v[66:67], 0, -1
	v_cmp_eq_u64_e64 s[0:1], 0, v[66:67]
	s_andn2_b64 s[22:23], s[22:23], exec
	s_and_b64 s[28:29], s[24:25], exec
	s_andn2_b64 s[20:21], s[20:21], exec
	s_and_b64 s[0:1], s[0:1], exec
	v_lshl_add_u64 v[54:55], v[54:55], 0, 1
	v_lshl_add_u64 v[64:65], v[64:65], 0, 1
	s_or_b64 s[22:23], s[22:23], s[28:29]
	s_andn2_b64 s[18:19], s[18:19], exec
	s_or_b64 s[20:21], s[20:21], s[0:1]
                                        ; implicit-def: $sgpr0_sgpr1
	s_branch .LBB263_133
.LBB263_136:
	s_or_b64 exec, exec, s[14:15]
	s_and_saveexec_b64 s[0:1], s[16:17]
	s_xor_b64 s[0:1], exec, s[0:1]
; %bb.137:
	v_cndmask_b32_e64 v55, v23, v21, s[10:11]
	v_cndmask_b32_e64 v54, v22, v20, s[10:11]
	;; [unrolled: 1-line block ×4, first 2 shown]
	v_mov_b64_e32 v[22:23], v[54:55]
; %bb.138:
	s_or_b64 exec, exec, s[0:1]
	s_or_b64 exec, exec, s[6:7]
	s_and_saveexec_b64 s[6:7], vcc
	s_cbranch_execz .LBB263_22
.LBB263_139:
	v_mad_u64_u32 v[54:55], s[0:1], v16, v6, v[8:9]
	v_mul_lo_u32 v64, v16, v7
	v_mul_lo_u32 v65, v17, v6
	v_add3_u32 v55, v65, v55, v64
	v_mad_u64_u32 v[64:65], s[0:1], v18, v6, v[8:9]
	v_mul_lo_u32 v66, v18, v7
	v_mul_lo_u32 v67, v19, v6
	v_add3_u32 v65, v67, v65, v66
	s_mov_b64 s[14:15], 0
	v_mov_b64_e32 v[66:67], v[6:7]
                                        ; implicit-def: $sgpr10_sgpr11
                                        ; implicit-def: $sgpr16_sgpr17
                                        ; implicit-def: $sgpr20_sgpr21
                                        ; implicit-def: $sgpr18_sgpr19
                                        ; implicit-def: $sgpr22_sgpr23
                                        ; implicit-def: $sgpr0_sgpr1
	s_branch .LBB263_141
.LBB263_140:                            ;   in Loop: Header=BB263_141 Depth=1
	s_or_b64 exec, exec, s[26:27]
	s_and_b64 s[26:27], exec, s[20:21]
	s_or_b64 s[14:15], s[26:27], s[14:15]
	s_andn2_b64 s[0:1], s[0:1], exec
	s_and_b64 s[26:27], s[22:23], exec
	s_or_b64 s[0:1], s[0:1], s[26:27]
	s_andn2_b64 s[16:17], s[16:17], exec
	s_and_b64 s[26:27], s[18:19], exec
	s_andn2_b64 s[10:11], s[10:11], exec
	s_and_b64 s[24:25], s[24:25], exec
	s_or_b64 s[16:17], s[16:17], s[26:27]
	s_or_b64 s[10:11], s[10:11], s[24:25]
	s_andn2_b64 exec, exec, s[14:15]
	s_cbranch_execz .LBB263_143
.LBB263_141:                            ; =>This Inner Loop Header: Depth=1
	flat_load_ubyte v68, v[64:65]
	flat_load_ubyte v69, v[54:55]
	s_andn2_b64 s[22:23], s[22:23], exec
	s_or_b64 s[18:19], s[18:19], exec
	s_or_b64 s[20:21], s[20:21], exec
	s_waitcnt vmcnt(0) lgkmcnt(0)
	v_cmp_le_i16_sdwa s[26:27], sext(v68), sext(v69) src0_sel:BYTE_0 src1_sel:BYTE_0
	v_cmp_lt_i16_sdwa s[24:25], sext(v68), sext(v69) src0_sel:BYTE_0 src1_sel:BYTE_0
	s_and_b64 s[26:27], s[26:27], s[0:1]
	v_cmp_eq_u16_sdwa s[28:29], v68, v69 src0_sel:BYTE_0 src1_sel:BYTE_0
	s_or_b64 s[24:25], s[24:25], s[26:27]
	s_and_saveexec_b64 s[26:27], s[28:29]
	s_cbranch_execz .LBB263_140
; %bb.142:                              ;   in Loop: Header=BB263_141 Depth=1
	v_lshl_add_u64 v[66:67], v[66:67], 0, -1
	v_cmp_eq_u64_e64 s[0:1], 0, v[66:67]
	s_andn2_b64 s[22:23], s[22:23], exec
	s_and_b64 s[28:29], s[24:25], exec
	s_andn2_b64 s[20:21], s[20:21], exec
	s_and_b64 s[0:1], s[0:1], exec
	v_lshl_add_u64 v[54:55], v[54:55], 0, 1
	v_lshl_add_u64 v[64:65], v[64:65], 0, 1
	s_or_b64 s[22:23], s[22:23], s[28:29]
	s_andn2_b64 s[18:19], s[18:19], exec
	s_or_b64 s[20:21], s[20:21], s[0:1]
                                        ; implicit-def: $sgpr0_sgpr1
	s_branch .LBB263_140
.LBB263_143:
	s_or_b64 exec, exec, s[14:15]
	s_and_saveexec_b64 s[0:1], s[16:17]
	s_xor_b64 s[0:1], exec, s[0:1]
; %bb.144:
	v_cndmask_b32_e64 v55, v17, v19, s[10:11]
	v_cndmask_b32_e64 v54, v16, v18, s[10:11]
	;; [unrolled: 1-line block ×4, first 2 shown]
	v_mov_b64_e32 v[16:17], v[54:55]
; %bb.145:
	s_or_b64 exec, exec, s[0:1]
	s_or_b64 exec, exec, s[6:7]
	s_and_saveexec_b64 s[6:7], vcc
	s_cbranch_execz .LBB263_23
.LBB263_146:
	v_mad_u64_u32 v[54:55], s[0:1], v12, v6, v[8:9]
	v_mul_lo_u32 v64, v12, v7
	v_mul_lo_u32 v65, v13, v6
	v_add3_u32 v55, v65, v55, v64
	v_mad_u64_u32 v[64:65], s[0:1], v14, v6, v[8:9]
	v_mul_lo_u32 v66, v14, v7
	v_mul_lo_u32 v67, v15, v6
	v_add3_u32 v65, v67, v65, v66
	s_mov_b64 s[14:15], 0
	v_mov_b64_e32 v[66:67], v[6:7]
                                        ; implicit-def: $sgpr10_sgpr11
                                        ; implicit-def: $sgpr16_sgpr17
                                        ; implicit-def: $sgpr20_sgpr21
                                        ; implicit-def: $sgpr18_sgpr19
                                        ; implicit-def: $sgpr22_sgpr23
                                        ; implicit-def: $sgpr0_sgpr1
	s_branch .LBB263_148
.LBB263_147:                            ;   in Loop: Header=BB263_148 Depth=1
	s_or_b64 exec, exec, s[26:27]
	s_and_b64 s[26:27], exec, s[20:21]
	s_or_b64 s[14:15], s[26:27], s[14:15]
	s_andn2_b64 s[0:1], s[0:1], exec
	s_and_b64 s[26:27], s[22:23], exec
	s_or_b64 s[0:1], s[0:1], s[26:27]
	s_andn2_b64 s[16:17], s[16:17], exec
	s_and_b64 s[26:27], s[18:19], exec
	s_andn2_b64 s[10:11], s[10:11], exec
	s_and_b64 s[24:25], s[24:25], exec
	s_or_b64 s[16:17], s[16:17], s[26:27]
	s_or_b64 s[10:11], s[10:11], s[24:25]
	s_andn2_b64 exec, exec, s[14:15]
	s_cbranch_execz .LBB263_150
.LBB263_148:                            ; =>This Inner Loop Header: Depth=1
	flat_load_ubyte v68, v[64:65]
	flat_load_ubyte v69, v[54:55]
	s_andn2_b64 s[22:23], s[22:23], exec
	s_or_b64 s[18:19], s[18:19], exec
	s_or_b64 s[20:21], s[20:21], exec
	s_waitcnt vmcnt(0) lgkmcnt(0)
	v_cmp_le_i16_sdwa s[26:27], sext(v68), sext(v69) src0_sel:BYTE_0 src1_sel:BYTE_0
	v_cmp_lt_i16_sdwa s[24:25], sext(v68), sext(v69) src0_sel:BYTE_0 src1_sel:BYTE_0
	s_and_b64 s[26:27], s[26:27], s[0:1]
	v_cmp_eq_u16_sdwa s[28:29], v68, v69 src0_sel:BYTE_0 src1_sel:BYTE_0
	s_or_b64 s[24:25], s[24:25], s[26:27]
	s_and_saveexec_b64 s[26:27], s[28:29]
	s_cbranch_execz .LBB263_147
; %bb.149:                              ;   in Loop: Header=BB263_148 Depth=1
	v_lshl_add_u64 v[66:67], v[66:67], 0, -1
	v_cmp_eq_u64_e64 s[0:1], 0, v[66:67]
	s_andn2_b64 s[22:23], s[22:23], exec
	s_and_b64 s[28:29], s[24:25], exec
	s_andn2_b64 s[20:21], s[20:21], exec
	s_and_b64 s[0:1], s[0:1], exec
	v_lshl_add_u64 v[54:55], v[54:55], 0, 1
	v_lshl_add_u64 v[64:65], v[64:65], 0, 1
	s_or_b64 s[22:23], s[22:23], s[28:29]
	s_andn2_b64 s[18:19], s[18:19], exec
	s_or_b64 s[20:21], s[20:21], s[0:1]
                                        ; implicit-def: $sgpr0_sgpr1
	s_branch .LBB263_147
.LBB263_150:
	s_or_b64 exec, exec, s[14:15]
	s_and_saveexec_b64 s[0:1], s[16:17]
	s_xor_b64 s[0:1], exec, s[0:1]
; %bb.151:
	v_cndmask_b32_e64 v55, v13, v15, s[10:11]
	v_cndmask_b32_e64 v54, v12, v14, s[10:11]
	;; [unrolled: 1-line block ×4, first 2 shown]
	v_mov_b64_e32 v[12:13], v[54:55]
; %bb.152:
	s_or_b64 exec, exec, s[0:1]
	s_or_b64 exec, exec, s[6:7]
	s_and_saveexec_b64 s[6:7], vcc
	s_cbranch_execz .LBB263_24
.LBB263_153:
	v_mad_u64_u32 v[54:55], s[0:1], v0, v6, v[8:9]
	v_mul_lo_u32 v64, v0, v7
	v_mul_lo_u32 v65, v1, v6
	v_add3_u32 v55, v65, v55, v64
	v_mad_u64_u32 v[64:65], s[0:1], v2, v6, v[8:9]
	v_mul_lo_u32 v66, v2, v7
	v_mul_lo_u32 v67, v3, v6
	v_add3_u32 v65, v67, v65, v66
	s_mov_b64 s[14:15], 0
	v_mov_b64_e32 v[66:67], v[6:7]
                                        ; implicit-def: $sgpr10_sgpr11
                                        ; implicit-def: $sgpr16_sgpr17
                                        ; implicit-def: $sgpr20_sgpr21
                                        ; implicit-def: $sgpr18_sgpr19
                                        ; implicit-def: $sgpr22_sgpr23
                                        ; implicit-def: $sgpr0_sgpr1
	s_branch .LBB263_155
.LBB263_154:                            ;   in Loop: Header=BB263_155 Depth=1
	s_or_b64 exec, exec, s[26:27]
	s_and_b64 s[26:27], exec, s[20:21]
	s_or_b64 s[14:15], s[26:27], s[14:15]
	s_andn2_b64 s[0:1], s[0:1], exec
	s_and_b64 s[26:27], s[22:23], exec
	s_or_b64 s[0:1], s[0:1], s[26:27]
	s_andn2_b64 s[16:17], s[16:17], exec
	s_and_b64 s[26:27], s[18:19], exec
	s_andn2_b64 s[10:11], s[10:11], exec
	s_and_b64 s[24:25], s[24:25], exec
	s_or_b64 s[16:17], s[16:17], s[26:27]
	s_or_b64 s[10:11], s[10:11], s[24:25]
	s_andn2_b64 exec, exec, s[14:15]
	s_cbranch_execz .LBB263_157
.LBB263_155:                            ; =>This Inner Loop Header: Depth=1
	flat_load_ubyte v68, v[64:65]
	flat_load_ubyte v69, v[54:55]
	s_andn2_b64 s[22:23], s[22:23], exec
	s_or_b64 s[18:19], s[18:19], exec
	s_or_b64 s[20:21], s[20:21], exec
	s_waitcnt vmcnt(0) lgkmcnt(0)
	v_cmp_le_i16_sdwa s[26:27], sext(v68), sext(v69) src0_sel:BYTE_0 src1_sel:BYTE_0
	v_cmp_lt_i16_sdwa s[24:25], sext(v68), sext(v69) src0_sel:BYTE_0 src1_sel:BYTE_0
	s_and_b64 s[26:27], s[26:27], s[0:1]
	v_cmp_eq_u16_sdwa s[28:29], v68, v69 src0_sel:BYTE_0 src1_sel:BYTE_0
	s_or_b64 s[24:25], s[24:25], s[26:27]
	s_and_saveexec_b64 s[26:27], s[28:29]
	s_cbranch_execz .LBB263_154
; %bb.156:                              ;   in Loop: Header=BB263_155 Depth=1
	v_lshl_add_u64 v[66:67], v[66:67], 0, -1
	v_cmp_eq_u64_e64 s[0:1], 0, v[66:67]
	s_andn2_b64 s[22:23], s[22:23], exec
	s_and_b64 s[28:29], s[24:25], exec
	s_andn2_b64 s[20:21], s[20:21], exec
	s_and_b64 s[0:1], s[0:1], exec
	v_lshl_add_u64 v[54:55], v[54:55], 0, 1
	v_lshl_add_u64 v[64:65], v[64:65], 0, 1
	s_or_b64 s[22:23], s[22:23], s[28:29]
	s_andn2_b64 s[18:19], s[18:19], exec
	s_or_b64 s[20:21], s[20:21], s[0:1]
                                        ; implicit-def: $sgpr0_sgpr1
	s_branch .LBB263_154
.LBB263_157:
	s_or_b64 exec, exec, s[14:15]
	s_and_saveexec_b64 s[0:1], s[16:17]
	s_xor_b64 s[0:1], exec, s[0:1]
; %bb.158:
	v_cndmask_b32_e64 v55, v1, v3, s[10:11]
	v_cndmask_b32_e64 v54, v0, v2, s[10:11]
	;; [unrolled: 1-line block ×4, first 2 shown]
	v_mov_b64_e32 v[0:1], v[54:55]
; %bb.159:
	s_or_b64 exec, exec, s[0:1]
	s_or_b64 exec, exec, s[6:7]
	s_and_saveexec_b64 s[6:7], vcc
	s_cbranch_execz .LBB263_25
.LBB263_160:
	v_mad_u64_u32 v[54:55], s[0:1], v22, v6, v[8:9]
	v_mul_lo_u32 v64, v22, v7
	v_mul_lo_u32 v65, v23, v6
	v_add3_u32 v55, v65, v55, v64
	v_mad_u64_u32 v[64:65], s[0:1], v16, v6, v[8:9]
	v_mul_lo_u32 v66, v16, v7
	v_mul_lo_u32 v67, v17, v6
	v_add3_u32 v65, v67, v65, v66
	s_mov_b64 s[14:15], 0
	v_mov_b64_e32 v[66:67], v[6:7]
                                        ; implicit-def: $sgpr10_sgpr11
                                        ; implicit-def: $sgpr16_sgpr17
                                        ; implicit-def: $sgpr20_sgpr21
                                        ; implicit-def: $sgpr18_sgpr19
                                        ; implicit-def: $sgpr22_sgpr23
                                        ; implicit-def: $sgpr0_sgpr1
	s_branch .LBB263_162
.LBB263_161:                            ;   in Loop: Header=BB263_162 Depth=1
	s_or_b64 exec, exec, s[26:27]
	s_and_b64 s[26:27], exec, s[20:21]
	s_or_b64 s[14:15], s[26:27], s[14:15]
	s_andn2_b64 s[0:1], s[0:1], exec
	s_and_b64 s[26:27], s[22:23], exec
	s_or_b64 s[0:1], s[0:1], s[26:27]
	s_andn2_b64 s[16:17], s[16:17], exec
	s_and_b64 s[26:27], s[18:19], exec
	s_andn2_b64 s[10:11], s[10:11], exec
	s_and_b64 s[24:25], s[24:25], exec
	s_or_b64 s[16:17], s[16:17], s[26:27]
	s_or_b64 s[10:11], s[10:11], s[24:25]
	s_andn2_b64 exec, exec, s[14:15]
	s_cbranch_execz .LBB263_164
.LBB263_162:                            ; =>This Inner Loop Header: Depth=1
	flat_load_ubyte v68, v[64:65]
	flat_load_ubyte v69, v[54:55]
	s_andn2_b64 s[22:23], s[22:23], exec
	s_or_b64 s[18:19], s[18:19], exec
	s_or_b64 s[20:21], s[20:21], exec
	s_waitcnt vmcnt(0) lgkmcnt(0)
	v_cmp_le_i16_sdwa s[26:27], sext(v68), sext(v69) src0_sel:BYTE_0 src1_sel:BYTE_0
	v_cmp_lt_i16_sdwa s[24:25], sext(v68), sext(v69) src0_sel:BYTE_0 src1_sel:BYTE_0
	s_and_b64 s[26:27], s[26:27], s[0:1]
	v_cmp_eq_u16_sdwa s[28:29], v68, v69 src0_sel:BYTE_0 src1_sel:BYTE_0
	s_or_b64 s[24:25], s[24:25], s[26:27]
	s_and_saveexec_b64 s[26:27], s[28:29]
	s_cbranch_execz .LBB263_161
; %bb.163:                              ;   in Loop: Header=BB263_162 Depth=1
	v_lshl_add_u64 v[66:67], v[66:67], 0, -1
	v_cmp_eq_u64_e64 s[0:1], 0, v[66:67]
	s_andn2_b64 s[22:23], s[22:23], exec
	s_and_b64 s[28:29], s[24:25], exec
	s_andn2_b64 s[20:21], s[20:21], exec
	s_and_b64 s[0:1], s[0:1], exec
	v_lshl_add_u64 v[54:55], v[54:55], 0, 1
	v_lshl_add_u64 v[64:65], v[64:65], 0, 1
	s_or_b64 s[22:23], s[22:23], s[28:29]
	s_andn2_b64 s[18:19], s[18:19], exec
	s_or_b64 s[20:21], s[20:21], s[0:1]
                                        ; implicit-def: $sgpr0_sgpr1
	s_branch .LBB263_161
.LBB263_164:
	s_or_b64 exec, exec, s[14:15]
	s_and_saveexec_b64 s[0:1], s[16:17]
	s_xor_b64 s[0:1], exec, s[0:1]
; %bb.165:
	v_cndmask_b32_e64 v55, v23, v17, s[10:11]
	v_cndmask_b32_e64 v54, v22, v16, s[10:11]
	;; [unrolled: 1-line block ×4, first 2 shown]
	v_mov_b64_e32 v[22:23], v[54:55]
; %bb.166:
	s_or_b64 exec, exec, s[0:1]
	s_or_b64 exec, exec, s[6:7]
	s_and_saveexec_b64 s[6:7], vcc
	s_cbranch_execz .LBB263_26
.LBB263_167:
	v_mad_u64_u32 v[54:55], s[0:1], v18, v6, v[8:9]
	v_mul_lo_u32 v64, v18, v7
	v_mul_lo_u32 v65, v19, v6
	v_add3_u32 v55, v65, v55, v64
	v_mad_u64_u32 v[64:65], s[0:1], v12, v6, v[8:9]
	v_mul_lo_u32 v66, v12, v7
	v_mul_lo_u32 v67, v13, v6
	v_add3_u32 v65, v67, v65, v66
	s_mov_b64 s[14:15], 0
	v_mov_b64_e32 v[66:67], v[6:7]
                                        ; implicit-def: $sgpr10_sgpr11
                                        ; implicit-def: $sgpr16_sgpr17
                                        ; implicit-def: $sgpr20_sgpr21
                                        ; implicit-def: $sgpr18_sgpr19
                                        ; implicit-def: $sgpr22_sgpr23
                                        ; implicit-def: $sgpr0_sgpr1
	s_branch .LBB263_169
.LBB263_168:                            ;   in Loop: Header=BB263_169 Depth=1
	s_or_b64 exec, exec, s[26:27]
	s_and_b64 s[26:27], exec, s[20:21]
	s_or_b64 s[14:15], s[26:27], s[14:15]
	s_andn2_b64 s[0:1], s[0:1], exec
	s_and_b64 s[26:27], s[22:23], exec
	s_or_b64 s[0:1], s[0:1], s[26:27]
	s_andn2_b64 s[16:17], s[16:17], exec
	s_and_b64 s[26:27], s[18:19], exec
	s_andn2_b64 s[10:11], s[10:11], exec
	s_and_b64 s[24:25], s[24:25], exec
	s_or_b64 s[16:17], s[16:17], s[26:27]
	s_or_b64 s[10:11], s[10:11], s[24:25]
	s_andn2_b64 exec, exec, s[14:15]
	s_cbranch_execz .LBB263_171
.LBB263_169:                            ; =>This Inner Loop Header: Depth=1
	flat_load_ubyte v68, v[64:65]
	flat_load_ubyte v69, v[54:55]
	s_andn2_b64 s[22:23], s[22:23], exec
	s_or_b64 s[18:19], s[18:19], exec
	s_or_b64 s[20:21], s[20:21], exec
	s_waitcnt vmcnt(0) lgkmcnt(0)
	v_cmp_le_i16_sdwa s[26:27], sext(v68), sext(v69) src0_sel:BYTE_0 src1_sel:BYTE_0
	v_cmp_lt_i16_sdwa s[24:25], sext(v68), sext(v69) src0_sel:BYTE_0 src1_sel:BYTE_0
	s_and_b64 s[26:27], s[26:27], s[0:1]
	v_cmp_eq_u16_sdwa s[28:29], v68, v69 src0_sel:BYTE_0 src1_sel:BYTE_0
	s_or_b64 s[24:25], s[24:25], s[26:27]
	s_and_saveexec_b64 s[26:27], s[28:29]
	s_cbranch_execz .LBB263_168
; %bb.170:                              ;   in Loop: Header=BB263_169 Depth=1
	v_lshl_add_u64 v[66:67], v[66:67], 0, -1
	v_cmp_eq_u64_e64 s[0:1], 0, v[66:67]
	s_andn2_b64 s[22:23], s[22:23], exec
	s_and_b64 s[28:29], s[24:25], exec
	s_andn2_b64 s[20:21], s[20:21], exec
	s_and_b64 s[0:1], s[0:1], exec
	v_lshl_add_u64 v[54:55], v[54:55], 0, 1
	v_lshl_add_u64 v[64:65], v[64:65], 0, 1
	s_or_b64 s[22:23], s[22:23], s[28:29]
	s_andn2_b64 s[18:19], s[18:19], exec
	s_or_b64 s[20:21], s[20:21], s[0:1]
                                        ; implicit-def: $sgpr0_sgpr1
	s_branch .LBB263_168
.LBB263_171:
	s_or_b64 exec, exec, s[14:15]
	s_and_saveexec_b64 s[0:1], s[16:17]
	s_xor_b64 s[0:1], exec, s[0:1]
; %bb.172:
	v_cndmask_b32_e64 v55, v19, v13, s[10:11]
	v_cndmask_b32_e64 v54, v18, v12, s[10:11]
	;; [unrolled: 1-line block ×4, first 2 shown]
	v_mov_b64_e32 v[18:19], v[54:55]
; %bb.173:
	s_or_b64 exec, exec, s[0:1]
	s_or_b64 exec, exec, s[6:7]
	s_and_saveexec_b64 s[6:7], vcc
	s_cbranch_execz .LBB263_27
.LBB263_174:
	v_mad_u64_u32 v[54:55], s[0:1], v14, v6, v[8:9]
	v_mul_lo_u32 v64, v14, v7
	v_mul_lo_u32 v65, v15, v6
	v_add3_u32 v55, v65, v55, v64
	v_mad_u64_u32 v[64:65], s[0:1], v0, v6, v[8:9]
	v_mul_lo_u32 v66, v0, v7
	v_mul_lo_u32 v67, v1, v6
	v_add3_u32 v65, v67, v65, v66
	s_mov_b64 s[14:15], 0
	v_mov_b64_e32 v[66:67], v[6:7]
                                        ; implicit-def: $sgpr10_sgpr11
                                        ; implicit-def: $sgpr16_sgpr17
                                        ; implicit-def: $sgpr20_sgpr21
                                        ; implicit-def: $sgpr18_sgpr19
                                        ; implicit-def: $sgpr22_sgpr23
                                        ; implicit-def: $sgpr0_sgpr1
	s_branch .LBB263_176
.LBB263_175:                            ;   in Loop: Header=BB263_176 Depth=1
	s_or_b64 exec, exec, s[26:27]
	s_and_b64 s[26:27], exec, s[20:21]
	s_or_b64 s[14:15], s[26:27], s[14:15]
	s_andn2_b64 s[0:1], s[0:1], exec
	s_and_b64 s[26:27], s[22:23], exec
	s_or_b64 s[0:1], s[0:1], s[26:27]
	s_andn2_b64 s[16:17], s[16:17], exec
	s_and_b64 s[26:27], s[18:19], exec
	s_andn2_b64 s[10:11], s[10:11], exec
	s_and_b64 s[24:25], s[24:25], exec
	s_or_b64 s[16:17], s[16:17], s[26:27]
	s_or_b64 s[10:11], s[10:11], s[24:25]
	s_andn2_b64 exec, exec, s[14:15]
	s_cbranch_execz .LBB263_178
.LBB263_176:                            ; =>This Inner Loop Header: Depth=1
	flat_load_ubyte v68, v[64:65]
	flat_load_ubyte v69, v[54:55]
	s_andn2_b64 s[22:23], s[22:23], exec
	s_or_b64 s[18:19], s[18:19], exec
	s_or_b64 s[20:21], s[20:21], exec
	s_waitcnt vmcnt(0) lgkmcnt(0)
	v_cmp_le_i16_sdwa s[26:27], sext(v68), sext(v69) src0_sel:BYTE_0 src1_sel:BYTE_0
	v_cmp_lt_i16_sdwa s[24:25], sext(v68), sext(v69) src0_sel:BYTE_0 src1_sel:BYTE_0
	s_and_b64 s[26:27], s[26:27], s[0:1]
	v_cmp_eq_u16_sdwa s[28:29], v68, v69 src0_sel:BYTE_0 src1_sel:BYTE_0
	s_or_b64 s[24:25], s[24:25], s[26:27]
	s_and_saveexec_b64 s[26:27], s[28:29]
	s_cbranch_execz .LBB263_175
; %bb.177:                              ;   in Loop: Header=BB263_176 Depth=1
	v_lshl_add_u64 v[66:67], v[66:67], 0, -1
	v_cmp_eq_u64_e64 s[0:1], 0, v[66:67]
	s_andn2_b64 s[22:23], s[22:23], exec
	s_and_b64 s[28:29], s[24:25], exec
	s_andn2_b64 s[20:21], s[20:21], exec
	s_and_b64 s[0:1], s[0:1], exec
	v_lshl_add_u64 v[54:55], v[54:55], 0, 1
	v_lshl_add_u64 v[64:65], v[64:65], 0, 1
	s_or_b64 s[22:23], s[22:23], s[28:29]
	s_andn2_b64 s[18:19], s[18:19], exec
	s_or_b64 s[20:21], s[20:21], s[0:1]
                                        ; implicit-def: $sgpr0_sgpr1
	s_branch .LBB263_175
.LBB263_178:
	s_or_b64 exec, exec, s[14:15]
	s_and_saveexec_b64 s[0:1], s[16:17]
	s_xor_b64 s[0:1], exec, s[0:1]
; %bb.179:
	v_cndmask_b32_e64 v55, v15, v1, s[10:11]
	v_cndmask_b32_e64 v54, v14, v0, s[10:11]
	;; [unrolled: 1-line block ×4, first 2 shown]
	v_mov_b64_e32 v[14:15], v[54:55]
; %bb.180:
	s_or_b64 exec, exec, s[0:1]
	s_or_b64 exec, exec, s[6:7]
	s_and_saveexec_b64 s[6:7], vcc
	s_cbranch_execz .LBB263_28
.LBB263_181:
	v_mad_u64_u32 v[54:55], s[0:1], v20, v6, v[8:9]
	v_mul_lo_u32 v64, v20, v7
	v_mul_lo_u32 v65, v21, v6
	v_add3_u32 v55, v65, v55, v64
	v_mad_u64_u32 v[64:65], s[0:1], v22, v6, v[8:9]
	v_mul_lo_u32 v66, v22, v7
	v_mul_lo_u32 v67, v23, v6
	v_add3_u32 v65, v67, v65, v66
	s_mov_b64 s[14:15], 0
	v_mov_b64_e32 v[66:67], v[6:7]
                                        ; implicit-def: $sgpr10_sgpr11
                                        ; implicit-def: $sgpr16_sgpr17
                                        ; implicit-def: $sgpr20_sgpr21
                                        ; implicit-def: $sgpr18_sgpr19
                                        ; implicit-def: $sgpr22_sgpr23
                                        ; implicit-def: $sgpr0_sgpr1
	s_branch .LBB263_183
.LBB263_182:                            ;   in Loop: Header=BB263_183 Depth=1
	s_or_b64 exec, exec, s[26:27]
	s_and_b64 s[26:27], exec, s[20:21]
	s_or_b64 s[14:15], s[26:27], s[14:15]
	s_andn2_b64 s[0:1], s[0:1], exec
	s_and_b64 s[26:27], s[22:23], exec
	s_or_b64 s[0:1], s[0:1], s[26:27]
	s_andn2_b64 s[16:17], s[16:17], exec
	s_and_b64 s[26:27], s[18:19], exec
	s_andn2_b64 s[10:11], s[10:11], exec
	s_and_b64 s[24:25], s[24:25], exec
	s_or_b64 s[16:17], s[16:17], s[26:27]
	s_or_b64 s[10:11], s[10:11], s[24:25]
	s_andn2_b64 exec, exec, s[14:15]
	s_cbranch_execz .LBB263_185
.LBB263_183:                            ; =>This Inner Loop Header: Depth=1
	flat_load_ubyte v68, v[64:65]
	flat_load_ubyte v69, v[54:55]
	s_andn2_b64 s[22:23], s[22:23], exec
	s_or_b64 s[18:19], s[18:19], exec
	s_or_b64 s[20:21], s[20:21], exec
	s_waitcnt vmcnt(0) lgkmcnt(0)
	v_cmp_le_i16_sdwa s[26:27], sext(v68), sext(v69) src0_sel:BYTE_0 src1_sel:BYTE_0
	v_cmp_lt_i16_sdwa s[24:25], sext(v68), sext(v69) src0_sel:BYTE_0 src1_sel:BYTE_0
	s_and_b64 s[26:27], s[26:27], s[0:1]
	v_cmp_eq_u16_sdwa s[28:29], v68, v69 src0_sel:BYTE_0 src1_sel:BYTE_0
	s_or_b64 s[24:25], s[24:25], s[26:27]
	s_and_saveexec_b64 s[26:27], s[28:29]
	s_cbranch_execz .LBB263_182
; %bb.184:                              ;   in Loop: Header=BB263_183 Depth=1
	v_lshl_add_u64 v[66:67], v[66:67], 0, -1
	v_cmp_eq_u64_e64 s[0:1], 0, v[66:67]
	s_andn2_b64 s[22:23], s[22:23], exec
	s_and_b64 s[28:29], s[24:25], exec
	s_andn2_b64 s[20:21], s[20:21], exec
	s_and_b64 s[0:1], s[0:1], exec
	v_lshl_add_u64 v[54:55], v[54:55], 0, 1
	v_lshl_add_u64 v[64:65], v[64:65], 0, 1
	s_or_b64 s[22:23], s[22:23], s[28:29]
	s_andn2_b64 s[18:19], s[18:19], exec
	s_or_b64 s[20:21], s[20:21], s[0:1]
                                        ; implicit-def: $sgpr0_sgpr1
	s_branch .LBB263_182
.LBB263_185:
	s_or_b64 exec, exec, s[14:15]
	s_and_saveexec_b64 s[0:1], s[16:17]
	s_xor_b64 s[0:1], exec, s[0:1]
; %bb.186:
	v_cndmask_b32_e64 v55, v23, v21, s[10:11]
	v_cndmask_b32_e64 v54, v22, v20, s[10:11]
	v_cndmask_b32_e64 v21, v21, v23, s[10:11]
	v_cndmask_b32_e64 v20, v20, v22, s[10:11]
	v_mov_b64_e32 v[22:23], v[54:55]
; %bb.187:
	s_or_b64 exec, exec, s[0:1]
	s_or_b64 exec, exec, s[6:7]
	s_and_saveexec_b64 s[6:7], vcc
	s_cbranch_execz .LBB263_29
.LBB263_188:
	v_mad_u64_u32 v[54:55], s[0:1], v16, v6, v[8:9]
	v_mul_lo_u32 v64, v16, v7
	v_mul_lo_u32 v65, v17, v6
	v_add3_u32 v55, v65, v55, v64
	v_mad_u64_u32 v[64:65], s[0:1], v18, v6, v[8:9]
	v_mul_lo_u32 v66, v18, v7
	v_mul_lo_u32 v67, v19, v6
	v_add3_u32 v65, v67, v65, v66
	s_mov_b64 s[14:15], 0
	v_mov_b64_e32 v[66:67], v[6:7]
                                        ; implicit-def: $sgpr10_sgpr11
                                        ; implicit-def: $sgpr16_sgpr17
                                        ; implicit-def: $sgpr20_sgpr21
                                        ; implicit-def: $sgpr18_sgpr19
                                        ; implicit-def: $sgpr22_sgpr23
                                        ; implicit-def: $sgpr0_sgpr1
	s_branch .LBB263_190
.LBB263_189:                            ;   in Loop: Header=BB263_190 Depth=1
	s_or_b64 exec, exec, s[26:27]
	s_and_b64 s[26:27], exec, s[20:21]
	s_or_b64 s[14:15], s[26:27], s[14:15]
	s_andn2_b64 s[0:1], s[0:1], exec
	s_and_b64 s[26:27], s[22:23], exec
	s_or_b64 s[0:1], s[0:1], s[26:27]
	s_andn2_b64 s[16:17], s[16:17], exec
	s_and_b64 s[26:27], s[18:19], exec
	s_andn2_b64 s[10:11], s[10:11], exec
	s_and_b64 s[24:25], s[24:25], exec
	s_or_b64 s[16:17], s[16:17], s[26:27]
	s_or_b64 s[10:11], s[10:11], s[24:25]
	s_andn2_b64 exec, exec, s[14:15]
	s_cbranch_execz .LBB263_192
.LBB263_190:                            ; =>This Inner Loop Header: Depth=1
	flat_load_ubyte v68, v[64:65]
	flat_load_ubyte v69, v[54:55]
	s_andn2_b64 s[22:23], s[22:23], exec
	s_or_b64 s[18:19], s[18:19], exec
	s_or_b64 s[20:21], s[20:21], exec
	s_waitcnt vmcnt(0) lgkmcnt(0)
	v_cmp_le_i16_sdwa s[26:27], sext(v68), sext(v69) src0_sel:BYTE_0 src1_sel:BYTE_0
	v_cmp_lt_i16_sdwa s[24:25], sext(v68), sext(v69) src0_sel:BYTE_0 src1_sel:BYTE_0
	s_and_b64 s[26:27], s[26:27], s[0:1]
	v_cmp_eq_u16_sdwa s[28:29], v68, v69 src0_sel:BYTE_0 src1_sel:BYTE_0
	s_or_b64 s[24:25], s[24:25], s[26:27]
	s_and_saveexec_b64 s[26:27], s[28:29]
	s_cbranch_execz .LBB263_189
; %bb.191:                              ;   in Loop: Header=BB263_190 Depth=1
	v_lshl_add_u64 v[66:67], v[66:67], 0, -1
	v_cmp_eq_u64_e64 s[0:1], 0, v[66:67]
	s_andn2_b64 s[22:23], s[22:23], exec
	s_and_b64 s[28:29], s[24:25], exec
	s_andn2_b64 s[20:21], s[20:21], exec
	s_and_b64 s[0:1], s[0:1], exec
	v_lshl_add_u64 v[54:55], v[54:55], 0, 1
	v_lshl_add_u64 v[64:65], v[64:65], 0, 1
	s_or_b64 s[22:23], s[22:23], s[28:29]
	s_andn2_b64 s[18:19], s[18:19], exec
	s_or_b64 s[20:21], s[20:21], s[0:1]
                                        ; implicit-def: $sgpr0_sgpr1
	s_branch .LBB263_189
.LBB263_192:
	s_or_b64 exec, exec, s[14:15]
	s_and_saveexec_b64 s[0:1], s[16:17]
	s_xor_b64 s[0:1], exec, s[0:1]
; %bb.193:
	v_cndmask_b32_e64 v55, v17, v19, s[10:11]
	v_cndmask_b32_e64 v54, v16, v18, s[10:11]
	;; [unrolled: 1-line block ×4, first 2 shown]
	v_mov_b64_e32 v[16:17], v[54:55]
; %bb.194:
	s_or_b64 exec, exec, s[0:1]
	s_or_b64 exec, exec, s[6:7]
	s_and_saveexec_b64 s[6:7], vcc
	s_cbranch_execz .LBB263_30
.LBB263_195:
	v_mad_u64_u32 v[54:55], s[0:1], v12, v6, v[8:9]
	v_mul_lo_u32 v64, v12, v7
	v_mul_lo_u32 v65, v13, v6
	v_add3_u32 v55, v65, v55, v64
	v_mad_u64_u32 v[64:65], s[0:1], v14, v6, v[8:9]
	v_mul_lo_u32 v66, v14, v7
	v_mul_lo_u32 v67, v15, v6
	v_add3_u32 v65, v67, v65, v66
	s_mov_b64 s[14:15], 0
	v_mov_b64_e32 v[66:67], v[6:7]
                                        ; implicit-def: $sgpr10_sgpr11
                                        ; implicit-def: $sgpr16_sgpr17
                                        ; implicit-def: $sgpr20_sgpr21
                                        ; implicit-def: $sgpr18_sgpr19
                                        ; implicit-def: $sgpr22_sgpr23
                                        ; implicit-def: $sgpr0_sgpr1
	s_branch .LBB263_197
.LBB263_196:                            ;   in Loop: Header=BB263_197 Depth=1
	s_or_b64 exec, exec, s[26:27]
	s_and_b64 s[26:27], exec, s[20:21]
	s_or_b64 s[14:15], s[26:27], s[14:15]
	s_andn2_b64 s[0:1], s[0:1], exec
	s_and_b64 s[26:27], s[22:23], exec
	s_or_b64 s[0:1], s[0:1], s[26:27]
	s_andn2_b64 s[16:17], s[16:17], exec
	s_and_b64 s[26:27], s[18:19], exec
	s_andn2_b64 s[10:11], s[10:11], exec
	s_and_b64 s[24:25], s[24:25], exec
	s_or_b64 s[16:17], s[16:17], s[26:27]
	s_or_b64 s[10:11], s[10:11], s[24:25]
	s_andn2_b64 exec, exec, s[14:15]
	s_cbranch_execz .LBB263_199
.LBB263_197:                            ; =>This Inner Loop Header: Depth=1
	flat_load_ubyte v68, v[64:65]
	flat_load_ubyte v69, v[54:55]
	s_andn2_b64 s[22:23], s[22:23], exec
	s_or_b64 s[18:19], s[18:19], exec
	s_or_b64 s[20:21], s[20:21], exec
	s_waitcnt vmcnt(0) lgkmcnt(0)
	v_cmp_le_i16_sdwa s[26:27], sext(v68), sext(v69) src0_sel:BYTE_0 src1_sel:BYTE_0
	v_cmp_lt_i16_sdwa s[24:25], sext(v68), sext(v69) src0_sel:BYTE_0 src1_sel:BYTE_0
	s_and_b64 s[26:27], s[26:27], s[0:1]
	v_cmp_eq_u16_sdwa s[28:29], v68, v69 src0_sel:BYTE_0 src1_sel:BYTE_0
	s_or_b64 s[24:25], s[24:25], s[26:27]
	s_and_saveexec_b64 s[26:27], s[28:29]
	s_cbranch_execz .LBB263_196
; %bb.198:                              ;   in Loop: Header=BB263_197 Depth=1
	v_lshl_add_u64 v[66:67], v[66:67], 0, -1
	v_cmp_eq_u64_e64 s[0:1], 0, v[66:67]
	s_andn2_b64 s[22:23], s[22:23], exec
	s_and_b64 s[28:29], s[24:25], exec
	s_andn2_b64 s[20:21], s[20:21], exec
	s_and_b64 s[0:1], s[0:1], exec
	v_lshl_add_u64 v[54:55], v[54:55], 0, 1
	v_lshl_add_u64 v[64:65], v[64:65], 0, 1
	s_or_b64 s[22:23], s[22:23], s[28:29]
	s_andn2_b64 s[18:19], s[18:19], exec
	s_or_b64 s[20:21], s[20:21], s[0:1]
                                        ; implicit-def: $sgpr0_sgpr1
	s_branch .LBB263_196
.LBB263_199:
	s_or_b64 exec, exec, s[14:15]
	s_and_saveexec_b64 s[0:1], s[16:17]
	s_xor_b64 s[0:1], exec, s[0:1]
; %bb.200:
	v_cndmask_b32_e64 v55, v13, v15, s[10:11]
	v_cndmask_b32_e64 v54, v12, v14, s[10:11]
	;; [unrolled: 1-line block ×4, first 2 shown]
	v_mov_b64_e32 v[12:13], v[54:55]
; %bb.201:
	s_or_b64 exec, exec, s[0:1]
	s_or_b64 exec, exec, s[6:7]
	s_and_saveexec_b64 s[6:7], vcc
	s_cbranch_execz .LBB263_31
.LBB263_202:
	v_mad_u64_u32 v[54:55], s[0:1], v0, v6, v[8:9]
	v_mul_lo_u32 v64, v0, v7
	v_mul_lo_u32 v65, v1, v6
	v_add3_u32 v55, v65, v55, v64
	v_mad_u64_u32 v[64:65], s[0:1], v2, v6, v[8:9]
	v_mul_lo_u32 v66, v2, v7
	v_mul_lo_u32 v67, v3, v6
	v_add3_u32 v65, v67, v65, v66
	s_mov_b64 s[14:15], 0
	v_mov_b64_e32 v[66:67], v[6:7]
                                        ; implicit-def: $sgpr10_sgpr11
                                        ; implicit-def: $sgpr16_sgpr17
                                        ; implicit-def: $sgpr20_sgpr21
                                        ; implicit-def: $sgpr18_sgpr19
                                        ; implicit-def: $sgpr22_sgpr23
                                        ; implicit-def: $sgpr0_sgpr1
	s_branch .LBB263_204
.LBB263_203:                            ;   in Loop: Header=BB263_204 Depth=1
	s_or_b64 exec, exec, s[26:27]
	s_and_b64 s[26:27], exec, s[20:21]
	s_or_b64 s[14:15], s[26:27], s[14:15]
	s_andn2_b64 s[0:1], s[0:1], exec
	s_and_b64 s[26:27], s[22:23], exec
	s_or_b64 s[0:1], s[0:1], s[26:27]
	s_andn2_b64 s[16:17], s[16:17], exec
	s_and_b64 s[26:27], s[18:19], exec
	s_andn2_b64 s[10:11], s[10:11], exec
	s_and_b64 s[24:25], s[24:25], exec
	s_or_b64 s[16:17], s[16:17], s[26:27]
	s_or_b64 s[10:11], s[10:11], s[24:25]
	s_andn2_b64 exec, exec, s[14:15]
	s_cbranch_execz .LBB263_206
.LBB263_204:                            ; =>This Inner Loop Header: Depth=1
	flat_load_ubyte v68, v[64:65]
	flat_load_ubyte v69, v[54:55]
	s_andn2_b64 s[22:23], s[22:23], exec
	s_or_b64 s[18:19], s[18:19], exec
	s_or_b64 s[20:21], s[20:21], exec
	s_waitcnt vmcnt(0) lgkmcnt(0)
	v_cmp_le_i16_sdwa s[26:27], sext(v68), sext(v69) src0_sel:BYTE_0 src1_sel:BYTE_0
	v_cmp_lt_i16_sdwa s[24:25], sext(v68), sext(v69) src0_sel:BYTE_0 src1_sel:BYTE_0
	s_and_b64 s[26:27], s[26:27], s[0:1]
	v_cmp_eq_u16_sdwa s[28:29], v68, v69 src0_sel:BYTE_0 src1_sel:BYTE_0
	s_or_b64 s[24:25], s[24:25], s[26:27]
	s_and_saveexec_b64 s[26:27], s[28:29]
	s_cbranch_execz .LBB263_203
; %bb.205:                              ;   in Loop: Header=BB263_204 Depth=1
	v_lshl_add_u64 v[66:67], v[66:67], 0, -1
	v_cmp_eq_u64_e64 s[0:1], 0, v[66:67]
	s_andn2_b64 s[22:23], s[22:23], exec
	s_and_b64 s[28:29], s[24:25], exec
	s_andn2_b64 s[20:21], s[20:21], exec
	s_and_b64 s[0:1], s[0:1], exec
	v_lshl_add_u64 v[54:55], v[54:55], 0, 1
	v_lshl_add_u64 v[64:65], v[64:65], 0, 1
	s_or_b64 s[22:23], s[22:23], s[28:29]
	s_andn2_b64 s[18:19], s[18:19], exec
	s_or_b64 s[20:21], s[20:21], s[0:1]
                                        ; implicit-def: $sgpr0_sgpr1
	s_branch .LBB263_203
.LBB263_206:
	s_or_b64 exec, exec, s[14:15]
	s_and_saveexec_b64 s[0:1], s[16:17]
	s_xor_b64 s[0:1], exec, s[0:1]
; %bb.207:
	v_cndmask_b32_e64 v55, v1, v3, s[10:11]
	v_cndmask_b32_e64 v54, v0, v2, s[10:11]
	;; [unrolled: 1-line block ×4, first 2 shown]
	v_mov_b64_e32 v[0:1], v[54:55]
; %bb.208:
	s_or_b64 exec, exec, s[0:1]
	s_or_b64 exec, exec, s[6:7]
	s_and_saveexec_b64 s[6:7], vcc
	s_cbranch_execz .LBB263_32
.LBB263_209:
	v_mad_u64_u32 v[54:55], s[0:1], v22, v6, v[8:9]
	v_mul_lo_u32 v64, v22, v7
	v_mul_lo_u32 v65, v23, v6
	v_add3_u32 v55, v65, v55, v64
	v_mad_u64_u32 v[64:65], s[0:1], v16, v6, v[8:9]
	v_mul_lo_u32 v66, v16, v7
	v_mul_lo_u32 v67, v17, v6
	v_add3_u32 v65, v67, v65, v66
	s_mov_b64 s[14:15], 0
	v_mov_b64_e32 v[66:67], v[6:7]
                                        ; implicit-def: $sgpr10_sgpr11
                                        ; implicit-def: $sgpr16_sgpr17
                                        ; implicit-def: $sgpr20_sgpr21
                                        ; implicit-def: $sgpr18_sgpr19
                                        ; implicit-def: $sgpr22_sgpr23
                                        ; implicit-def: $sgpr0_sgpr1
	s_branch .LBB263_211
.LBB263_210:                            ;   in Loop: Header=BB263_211 Depth=1
	s_or_b64 exec, exec, s[26:27]
	s_and_b64 s[26:27], exec, s[20:21]
	s_or_b64 s[14:15], s[26:27], s[14:15]
	s_andn2_b64 s[0:1], s[0:1], exec
	s_and_b64 s[26:27], s[22:23], exec
	s_or_b64 s[0:1], s[0:1], s[26:27]
	s_andn2_b64 s[16:17], s[16:17], exec
	s_and_b64 s[26:27], s[18:19], exec
	s_andn2_b64 s[10:11], s[10:11], exec
	s_and_b64 s[24:25], s[24:25], exec
	s_or_b64 s[16:17], s[16:17], s[26:27]
	s_or_b64 s[10:11], s[10:11], s[24:25]
	s_andn2_b64 exec, exec, s[14:15]
	s_cbranch_execz .LBB263_213
.LBB263_211:                            ; =>This Inner Loop Header: Depth=1
	flat_load_ubyte v68, v[64:65]
	flat_load_ubyte v69, v[54:55]
	s_andn2_b64 s[22:23], s[22:23], exec
	s_or_b64 s[18:19], s[18:19], exec
	s_or_b64 s[20:21], s[20:21], exec
	s_waitcnt vmcnt(0) lgkmcnt(0)
	v_cmp_le_i16_sdwa s[26:27], sext(v68), sext(v69) src0_sel:BYTE_0 src1_sel:BYTE_0
	v_cmp_lt_i16_sdwa s[24:25], sext(v68), sext(v69) src0_sel:BYTE_0 src1_sel:BYTE_0
	s_and_b64 s[26:27], s[26:27], s[0:1]
	v_cmp_eq_u16_sdwa s[28:29], v68, v69 src0_sel:BYTE_0 src1_sel:BYTE_0
	s_or_b64 s[24:25], s[24:25], s[26:27]
	s_and_saveexec_b64 s[26:27], s[28:29]
	s_cbranch_execz .LBB263_210
; %bb.212:                              ;   in Loop: Header=BB263_211 Depth=1
	v_lshl_add_u64 v[66:67], v[66:67], 0, -1
	v_cmp_eq_u64_e64 s[0:1], 0, v[66:67]
	s_andn2_b64 s[22:23], s[22:23], exec
	s_and_b64 s[28:29], s[24:25], exec
	s_andn2_b64 s[20:21], s[20:21], exec
	s_and_b64 s[0:1], s[0:1], exec
	v_lshl_add_u64 v[54:55], v[54:55], 0, 1
	v_lshl_add_u64 v[64:65], v[64:65], 0, 1
	s_or_b64 s[22:23], s[22:23], s[28:29]
	s_andn2_b64 s[18:19], s[18:19], exec
	s_or_b64 s[20:21], s[20:21], s[0:1]
                                        ; implicit-def: $sgpr0_sgpr1
	s_branch .LBB263_210
.LBB263_213:
	s_or_b64 exec, exec, s[14:15]
	s_and_saveexec_b64 s[0:1], s[16:17]
	s_xor_b64 s[0:1], exec, s[0:1]
; %bb.214:
	v_cndmask_b32_e64 v55, v23, v17, s[10:11]
	v_cndmask_b32_e64 v54, v22, v16, s[10:11]
	;; [unrolled: 1-line block ×4, first 2 shown]
	v_mov_b64_e32 v[22:23], v[54:55]
; %bb.215:
	s_or_b64 exec, exec, s[0:1]
	s_or_b64 exec, exec, s[6:7]
	s_and_saveexec_b64 s[6:7], vcc
	s_cbranch_execz .LBB263_33
.LBB263_216:
	v_mad_u64_u32 v[54:55], s[0:1], v18, v6, v[8:9]
	v_mul_lo_u32 v64, v18, v7
	v_mul_lo_u32 v65, v19, v6
	v_add3_u32 v55, v65, v55, v64
	v_mad_u64_u32 v[64:65], s[0:1], v12, v6, v[8:9]
	v_mul_lo_u32 v66, v12, v7
	v_mul_lo_u32 v67, v13, v6
	v_add3_u32 v65, v67, v65, v66
	s_mov_b64 s[14:15], 0
	v_mov_b64_e32 v[66:67], v[6:7]
                                        ; implicit-def: $sgpr10_sgpr11
                                        ; implicit-def: $sgpr16_sgpr17
                                        ; implicit-def: $sgpr20_sgpr21
                                        ; implicit-def: $sgpr18_sgpr19
                                        ; implicit-def: $sgpr22_sgpr23
                                        ; implicit-def: $sgpr0_sgpr1
	s_branch .LBB263_218
.LBB263_217:                            ;   in Loop: Header=BB263_218 Depth=1
	s_or_b64 exec, exec, s[26:27]
	s_and_b64 s[26:27], exec, s[20:21]
	s_or_b64 s[14:15], s[26:27], s[14:15]
	s_andn2_b64 s[0:1], s[0:1], exec
	s_and_b64 s[26:27], s[22:23], exec
	s_or_b64 s[0:1], s[0:1], s[26:27]
	s_andn2_b64 s[16:17], s[16:17], exec
	s_and_b64 s[26:27], s[18:19], exec
	s_andn2_b64 s[10:11], s[10:11], exec
	s_and_b64 s[24:25], s[24:25], exec
	s_or_b64 s[16:17], s[16:17], s[26:27]
	s_or_b64 s[10:11], s[10:11], s[24:25]
	s_andn2_b64 exec, exec, s[14:15]
	s_cbranch_execz .LBB263_220
.LBB263_218:                            ; =>This Inner Loop Header: Depth=1
	flat_load_ubyte v68, v[64:65]
	flat_load_ubyte v69, v[54:55]
	s_andn2_b64 s[22:23], s[22:23], exec
	s_or_b64 s[18:19], s[18:19], exec
	s_or_b64 s[20:21], s[20:21], exec
	s_waitcnt vmcnt(0) lgkmcnt(0)
	v_cmp_le_i16_sdwa s[26:27], sext(v68), sext(v69) src0_sel:BYTE_0 src1_sel:BYTE_0
	v_cmp_lt_i16_sdwa s[24:25], sext(v68), sext(v69) src0_sel:BYTE_0 src1_sel:BYTE_0
	s_and_b64 s[26:27], s[26:27], s[0:1]
	v_cmp_eq_u16_sdwa s[28:29], v68, v69 src0_sel:BYTE_0 src1_sel:BYTE_0
	s_or_b64 s[24:25], s[24:25], s[26:27]
	s_and_saveexec_b64 s[26:27], s[28:29]
	s_cbranch_execz .LBB263_217
; %bb.219:                              ;   in Loop: Header=BB263_218 Depth=1
	v_lshl_add_u64 v[66:67], v[66:67], 0, -1
	v_cmp_eq_u64_e64 s[0:1], 0, v[66:67]
	s_andn2_b64 s[22:23], s[22:23], exec
	s_and_b64 s[28:29], s[24:25], exec
	s_andn2_b64 s[20:21], s[20:21], exec
	s_and_b64 s[0:1], s[0:1], exec
	v_lshl_add_u64 v[54:55], v[54:55], 0, 1
	v_lshl_add_u64 v[64:65], v[64:65], 0, 1
	s_or_b64 s[22:23], s[22:23], s[28:29]
	s_andn2_b64 s[18:19], s[18:19], exec
	s_or_b64 s[20:21], s[20:21], s[0:1]
                                        ; implicit-def: $sgpr0_sgpr1
	s_branch .LBB263_217
.LBB263_220:
	s_or_b64 exec, exec, s[14:15]
	s_and_saveexec_b64 s[0:1], s[16:17]
	s_xor_b64 s[0:1], exec, s[0:1]
; %bb.221:
	v_cndmask_b32_e64 v55, v19, v13, s[10:11]
	v_cndmask_b32_e64 v54, v18, v12, s[10:11]
	;; [unrolled: 1-line block ×4, first 2 shown]
	v_mov_b64_e32 v[18:19], v[54:55]
; %bb.222:
	s_or_b64 exec, exec, s[0:1]
	s_or_b64 exec, exec, s[6:7]
	s_and_saveexec_b64 s[6:7], vcc
	s_cbranch_execz .LBB263_230
.LBB263_223:
	v_mad_u64_u32 v[54:55], s[0:1], v14, v6, v[8:9]
	v_mul_lo_u32 v64, v14, v7
	v_mul_lo_u32 v65, v15, v6
	v_add3_u32 v55, v65, v55, v64
	v_mad_u64_u32 v[64:65], s[0:1], v0, v6, v[8:9]
	v_mul_lo_u32 v66, v0, v7
	v_mul_lo_u32 v67, v1, v6
	v_add3_u32 v65, v67, v65, v66
	s_mov_b64 s[16:17], 0
	v_mov_b64_e32 v[66:67], v[6:7]
                                        ; implicit-def: $sgpr10_sgpr11
                                        ; implicit-def: $sgpr14_sgpr15
                                        ; implicit-def: $sgpr20_sgpr21
                                        ; implicit-def: $sgpr18_sgpr19
                                        ; implicit-def: $sgpr22_sgpr23
                                        ; implicit-def: $sgpr0_sgpr1
	s_branch .LBB263_225
.LBB263_224:                            ;   in Loop: Header=BB263_225 Depth=1
	s_or_b64 exec, exec, s[26:27]
	s_and_b64 s[26:27], exec, s[20:21]
	s_or_b64 s[16:17], s[26:27], s[16:17]
	s_andn2_b64 s[0:1], s[0:1], exec
	s_and_b64 s[26:27], s[22:23], exec
	s_or_b64 s[0:1], s[0:1], s[26:27]
	s_andn2_b64 s[14:15], s[14:15], exec
	s_and_b64 s[26:27], s[18:19], exec
	s_andn2_b64 s[10:11], s[10:11], exec
	s_and_b64 s[24:25], s[24:25], exec
	s_or_b64 s[14:15], s[14:15], s[26:27]
	s_or_b64 s[10:11], s[10:11], s[24:25]
	s_andn2_b64 exec, exec, s[16:17]
	s_cbranch_execz .LBB263_227
.LBB263_225:                            ; =>This Inner Loop Header: Depth=1
	flat_load_ubyte v68, v[64:65]
	flat_load_ubyte v69, v[54:55]
	s_andn2_b64 s[22:23], s[22:23], exec
	s_or_b64 s[18:19], s[18:19], exec
	s_or_b64 s[20:21], s[20:21], exec
	s_waitcnt vmcnt(0) lgkmcnt(0)
	v_cmp_le_i16_sdwa s[26:27], sext(v68), sext(v69) src0_sel:BYTE_0 src1_sel:BYTE_0
	v_cmp_lt_i16_sdwa s[24:25], sext(v68), sext(v69) src0_sel:BYTE_0 src1_sel:BYTE_0
	s_and_b64 s[26:27], s[26:27], s[0:1]
	v_cmp_eq_u16_sdwa s[28:29], v68, v69 src0_sel:BYTE_0 src1_sel:BYTE_0
	s_or_b64 s[24:25], s[24:25], s[26:27]
	s_and_saveexec_b64 s[26:27], s[28:29]
	s_cbranch_execz .LBB263_224
; %bb.226:                              ;   in Loop: Header=BB263_225 Depth=1
	v_lshl_add_u64 v[66:67], v[66:67], 0, -1
	v_cmp_eq_u64_e64 s[0:1], 0, v[66:67]
	s_andn2_b64 s[22:23], s[22:23], exec
	s_and_b64 s[28:29], s[24:25], exec
	s_andn2_b64 s[20:21], s[20:21], exec
	s_and_b64 s[0:1], s[0:1], exec
	v_lshl_add_u64 v[54:55], v[54:55], 0, 1
	v_lshl_add_u64 v[64:65], v[64:65], 0, 1
	s_or_b64 s[22:23], s[22:23], s[28:29]
	s_andn2_b64 s[18:19], s[18:19], exec
	s_or_b64 s[20:21], s[20:21], s[0:1]
                                        ; implicit-def: $sgpr0_sgpr1
	s_branch .LBB263_224
.LBB263_227:
	s_or_b64 exec, exec, s[16:17]
	s_and_saveexec_b64 s[0:1], s[14:15]
	s_xor_b64 s[0:1], exec, s[0:1]
; %bb.228:
	v_cndmask_b32_e64 v55, v15, v1, s[10:11]
	v_cndmask_b32_e64 v54, v14, v0, s[10:11]
	;; [unrolled: 1-line block ×4, first 2 shown]
	v_mov_b64_e32 v[14:15], v[54:55]
; %bb.229:
	s_or_b64 exec, exec, s[0:1]
.LBB263_230:
	s_or_b64 exec, exec, s[6:7]
.LBB263_231:
	s_or_b64 exec, exec, s[2:3]
	v_mbcnt_lo_u32_b32 v54, -1, 0
	v_mbcnt_hi_u32_b32 v64, -1, v54
	v_and_b32_e32 v66, 0xfffffe00, v31
	s_movk_i32 s0, 0x800
	v_mov_b32_e32 v67, 0
	v_sub_u32_e64 v31, s0, v66 clamp
	v_lshl_add_u64 v[54:55], v[66:67], 3, v[10:11]
	v_lshlrev_b32_e32 v96, 3, v64
	v_lshlrev_b32_e32 v66, 6, v64
	v_lshl_add_u64 v[64:65], v[54:55], 0, v[66:67]
	v_or_b32_e32 v66, 8, v96
	v_min_u32_e32 v97, v31, v66
	v_add_u32_e32 v66, 8, v97
	v_and_b32_e32 v99, 0x3f0, v96
	v_min_u32_e32 v98, v31, v66
	v_and_b32_e32 v66, 8, v96
	v_min_u32_e32 v100, v31, v66
	v_sub_u32_e32 v66, v97, v99
	v_sub_u32_e32 v68, v98, v97
	v_sub_u32_e64 v101, v100, v68 clamp
	v_min_u32_e32 v102, v100, v66
	v_cmp_lt_u32_e64 s[0:1], v101, v102
	flat_store_dwordx4 v[64:65], v[20:23]
	flat_store_dwordx4 v[64:65], v[16:19] offset:16
	flat_store_dwordx4 v[64:65], v[12:15] offset:32
	flat_store_dwordx4 v[64:65], v[0:3] offset:48
	; wave barrier
	s_and_saveexec_b64 s[2:3], s[0:1]
	s_cbranch_execz .LBB263_241
; %bb.232:
	v_lshlrev_b32_e32 v66, 3, v99
	v_lshl_add_u64 v[68:69], v[54:55], 0, v[66:67]
	v_lshlrev_b32_e32 v66, 3, v97
	v_lshl_add_u64 v[70:71], v[54:55], 0, v[66:67]
	s_mov_b64 s[6:7], 0
	s_branch .LBB263_235
.LBB263_233:                            ;   in Loop: Header=BB263_235 Depth=1
	s_or_b64 exec, exec, s[14:15]
	s_and_b64 s[0:1], s[16:17], exec
.LBB263_234:                            ;   in Loop: Header=BB263_235 Depth=1
	s_or_b64 exec, exec, s[10:11]
	v_add_u32_e32 v66, 1, v80
	v_cndmask_b32_e64 v102, v102, v80, s[0:1]
	v_cndmask_b32_e64 v101, v66, v101, s[0:1]
	v_cmp_ge_u32_e64 s[0:1], v101, v102
	s_or_b64 s[6:7], s[0:1], s[6:7]
	s_andn2_b64 exec, exec, s[6:7]
	s_cbranch_execz .LBB263_240
.LBB263_235:                            ; =>This Loop Header: Depth=1
                                        ;     Child Loop BB263_238 Depth 2
	v_add_u32_e32 v66, v102, v101
	v_lshrrev_b32_e32 v80, 1, v66
	s_mov_b64 s[0:1], 0
	s_and_saveexec_b64 s[10:11], vcc
	s_cbranch_execz .LBB263_234
; %bb.236:                              ;   in Loop: Header=BB263_235 Depth=1
	v_mov_b32_e32 v81, v67
	v_xad_u32 v66, v80, -1, v100
	v_lshl_add_u64 v[82:83], v[80:81], 3, v[68:69]
	v_lshl_add_u64 v[84:85], v[66:67], 3, v[70:71]
	flat_load_dwordx2 v[82:83], v[82:83]
	s_mov_b64 s[14:15], 0
	flat_load_dwordx2 v[84:85], v[84:85]
                                        ; implicit-def: $sgpr16_sgpr17
                                        ; implicit-def: $sgpr18_sgpr19
                                        ; implicit-def: $sgpr20_sgpr21
                                        ; implicit-def: $sgpr22_sgpr23
                                        ; implicit-def: $sgpr0_sgpr1
	s_waitcnt vmcnt(0) lgkmcnt(0)
	v_mul_lo_u32 v66, v82, v7
	v_mul_lo_u32 v81, v83, v6
	v_mad_u64_u32 v[82:83], s[24:25], v82, v6, v[8:9]
	v_mul_lo_u32 v86, v84, v7
	v_mul_lo_u32 v87, v85, v6
	v_mad_u64_u32 v[84:85], s[24:25], v84, v6, v[8:9]
	v_add3_u32 v83, v81, v83, v66
	v_add3_u32 v85, v87, v85, v86
	v_mov_b64_e32 v[86:87], v[6:7]
	s_branch .LBB263_238
.LBB263_237:                            ;   in Loop: Header=BB263_238 Depth=2
	s_or_b64 exec, exec, s[24:25]
	s_and_b64 s[24:25], exec, s[18:19]
	s_or_b64 s[14:15], s[24:25], s[14:15]
	s_andn2_b64 s[0:1], s[0:1], exec
	s_and_b64 s[24:25], s[20:21], exec
	s_or_b64 s[0:1], s[0:1], s[24:25]
	s_andn2_b64 s[16:17], s[16:17], exec
	s_and_b64 s[24:25], s[22:23], exec
	s_or_b64 s[16:17], s[16:17], s[24:25]
	s_andn2_b64 exec, exec, s[14:15]
	s_cbranch_execz .LBB263_233
.LBB263_238:                            ;   Parent Loop BB263_235 Depth=1
                                        ; =>  This Inner Loop Header: Depth=2
	flat_load_ubyte v66, v[84:85]
	flat_load_ubyte v81, v[82:83]
	s_andn2_b64 s[22:23], s[22:23], exec
	s_andn2_b64 s[20:21], s[20:21], exec
	s_or_b64 s[18:19], s[18:19], exec
	s_waitcnt vmcnt(0) lgkmcnt(0)
	v_cmp_le_i16_sdwa s[26:27], sext(v66), sext(v81) src0_sel:BYTE_0 src1_sel:BYTE_0
	v_cmp_lt_i16_sdwa s[24:25], sext(v66), sext(v81) src0_sel:BYTE_0 src1_sel:BYTE_0
	s_and_b64 s[26:27], s[26:27], s[0:1]
	s_or_b64 s[26:27], s[24:25], s[26:27]
	s_and_b64 s[24:25], s[26:27], exec
	v_cmp_eq_u16_sdwa s[28:29], v66, v81 src0_sel:BYTE_0 src1_sel:BYTE_0
	s_or_b64 s[22:23], s[22:23], s[24:25]
	s_and_saveexec_b64 s[24:25], s[28:29]
	s_cbranch_execz .LBB263_237
; %bb.239:                              ;   in Loop: Header=BB263_238 Depth=2
	v_lshl_add_u64 v[86:87], v[86:87], 0, -1
	v_cmp_eq_u64_e64 s[0:1], 0, v[86:87]
	s_andn2_b64 s[20:21], s[20:21], exec
	s_and_b64 s[26:27], s[26:27], exec
	s_andn2_b64 s[18:19], s[18:19], exec
	s_and_b64 s[0:1], s[0:1], exec
	v_lshl_add_u64 v[82:83], v[82:83], 0, 1
	v_lshl_add_u64 v[84:85], v[84:85], 0, 1
	s_andn2_b64 s[22:23], s[22:23], exec
	s_or_b64 s[20:21], s[20:21], s[26:27]
	s_or_b64 s[18:19], s[18:19], s[0:1]
                                        ; implicit-def: $sgpr0_sgpr1
	s_branch .LBB263_237
.LBB263_240:
	s_or_b64 exec, exec, s[6:7]
.LBB263_241:
	s_or_b64 exec, exec, s[2:3]
	v_add_u32_e32 v67, v97, v100
	v_add_u32_e32 v66, v101, v99
	v_sub_u32_e32 v68, v67, v101
	v_cmp_le_u32_e64 s[0:1], v66, v97
	v_cmp_le_u32_e64 s[2:3], v68, v98
	s_or_b64 s[0:1], s[0:1], s[2:3]
	s_and_saveexec_b64 s[6:7], s[0:1]
	s_cbranch_execz .LBB263_325
; %bb.242:
	v_cmp_ge_u32_e64 s[0:1], v66, v97
	v_cmp_lt_u32_e64 s[2:3], v66, v97
                                        ; implicit-def: $vgpr0_vgpr1
	s_and_saveexec_b64 s[10:11], s[2:3]
	s_cbranch_execz .LBB263_244
; %bb.243:
	v_mov_b32_e32 v67, 0
	v_lshl_add_u64 v[0:1], v[66:67], 3, v[54:55]
	flat_load_dwordx2 v[0:1], v[0:1]
.LBB263_244:
	s_or_b64 exec, exec, s[10:11]
	v_cmp_ge_u32_e64 s[10:11], v68, v98
	v_cmp_lt_u32_e64 s[2:3], v68, v98
                                        ; implicit-def: $vgpr2_vgpr3
	s_and_saveexec_b64 s[14:15], s[2:3]
	s_cbranch_execz .LBB263_246
; %bb.245:
	v_mov_b32_e32 v69, 0
	v_lshl_add_u64 v[2:3], v[68:69], 3, v[54:55]
	flat_load_dwordx2 v[2:3], v[2:3]
.LBB263_246:
	s_or_b64 exec, exec, s[14:15]
	s_or_b64 s[0:1], s[0:1], s[10:11]
	s_xor_b64 s[0:1], s[0:1], -1
	s_and_saveexec_b64 s[2:3], s[0:1]
	s_cbranch_execz .LBB263_254
; %bb.247:
	s_mov_b64 s[0:1], 0
	s_and_saveexec_b64 s[14:15], vcc
	s_cbranch_execz .LBB263_253
; %bb.248:
	s_waitcnt vmcnt(0) lgkmcnt(0)
	v_mad_u64_u32 v[12:13], s[0:1], v0, v6, v[8:9]
	v_mul_lo_u32 v14, v0, v7
	v_mul_lo_u32 v15, v1, v6
	v_add3_u32 v13, v15, v13, v14
	v_mad_u64_u32 v[14:15], s[0:1], v2, v6, v[8:9]
	v_mul_lo_u32 v16, v2, v7
	v_mul_lo_u32 v17, v3, v6
	v_add3_u32 v15, v17, v15, v16
	s_mov_b64 s[16:17], 0
	v_mov_b64_e32 v[16:17], v[6:7]
                                        ; implicit-def: $sgpr18_sgpr19
                                        ; implicit-def: $sgpr20_sgpr21
                                        ; implicit-def: $sgpr22_sgpr23
                                        ; implicit-def: $sgpr24_sgpr25
                                        ; implicit-def: $sgpr0_sgpr1
	s_branch .LBB263_250
.LBB263_249:                            ;   in Loop: Header=BB263_250 Depth=1
	s_or_b64 exec, exec, s[26:27]
	s_and_b64 s[26:27], exec, s[20:21]
	s_or_b64 s[16:17], s[26:27], s[16:17]
	s_andn2_b64 s[0:1], s[0:1], exec
	s_and_b64 s[26:27], s[22:23], exec
	s_or_b64 s[0:1], s[0:1], s[26:27]
	s_andn2_b64 s[18:19], s[18:19], exec
	s_and_b64 s[26:27], s[24:25], exec
	s_or_b64 s[18:19], s[18:19], s[26:27]
	s_andn2_b64 exec, exec, s[16:17]
	s_cbranch_execz .LBB263_252
.LBB263_250:                            ; =>This Inner Loop Header: Depth=1
	flat_load_ubyte v18, v[14:15]
	flat_load_ubyte v19, v[12:13]
	s_andn2_b64 s[24:25], s[24:25], exec
	s_andn2_b64 s[22:23], s[22:23], exec
	s_or_b64 s[20:21], s[20:21], exec
	s_waitcnt vmcnt(0) lgkmcnt(0)
	v_cmp_le_i16_sdwa s[28:29], sext(v18), sext(v19) src0_sel:BYTE_0 src1_sel:BYTE_0
	v_cmp_lt_i16_sdwa s[26:27], sext(v18), sext(v19) src0_sel:BYTE_0 src1_sel:BYTE_0
	s_and_b64 s[28:29], s[28:29], s[0:1]
	s_or_b64 s[28:29], s[26:27], s[28:29]
	s_and_b64 s[26:27], s[28:29], exec
	v_cmp_eq_u16_sdwa s[30:31], v18, v19 src0_sel:BYTE_0 src1_sel:BYTE_0
	s_or_b64 s[24:25], s[24:25], s[26:27]
	s_and_saveexec_b64 s[26:27], s[30:31]
	s_cbranch_execz .LBB263_249
; %bb.251:                              ;   in Loop: Header=BB263_250 Depth=1
	v_lshl_add_u64 v[16:17], v[16:17], 0, -1
	v_cmp_eq_u64_e64 s[0:1], 0, v[16:17]
	s_andn2_b64 s[22:23], s[22:23], exec
	s_and_b64 s[28:29], s[28:29], exec
	s_andn2_b64 s[20:21], s[20:21], exec
	s_and_b64 s[0:1], s[0:1], exec
	v_lshl_add_u64 v[12:13], v[12:13], 0, 1
	v_lshl_add_u64 v[14:15], v[14:15], 0, 1
	s_andn2_b64 s[24:25], s[24:25], exec
	s_or_b64 s[22:23], s[22:23], s[28:29]
	s_or_b64 s[20:21], s[20:21], s[0:1]
                                        ; implicit-def: $sgpr0_sgpr1
	s_branch .LBB263_249
.LBB263_252:
	s_or_b64 exec, exec, s[16:17]
	s_and_b64 s[0:1], s[18:19], exec
.LBB263_253:
	s_or_b64 exec, exec, s[14:15]
	s_xor_b64 s[0:1], s[0:1], -1
	s_andn2_b64 s[10:11], s[10:11], exec
	s_and_b64 s[0:1], s[0:1], exec
	s_or_b64 s[10:11], s[10:11], s[0:1]
.LBB263_254:
	s_or_b64 exec, exec, s[2:3]
	v_cndmask_b32_e64 v12, v68, v66, s[10:11]
	v_cndmask_b32_e64 v13, v98, v97, s[10:11]
	v_add_u32_e32 v16, 1, v12
	v_add_u32_e32 v12, -1, v13
	v_min_u32_e32 v12, v16, v12
	v_mov_b32_e32 v13, 0
	v_lshl_add_u64 v[14:15], v[12:13], 3, v[54:55]
	flat_load_dwordx2 v[14:15], v[14:15]
	v_cndmask_b32_e64 v23, v16, v68, s[10:11]
	s_mov_b64 s[2:3], -1
	v_cndmask_b32_e64 v66, v66, v16, s[10:11]
	v_cmp_lt_u32_e64 s[0:1], v23, v98
	s_mov_b64 s[14:15], -1
	s_waitcnt vmcnt(0) lgkmcnt(0)
	v_cndmask_b32_e64 v20, v15, v3, s[10:11]
	v_cndmask_b32_e64 v21, v14, v2, s[10:11]
	;; [unrolled: 1-line block ×4, first 2 shown]
	s_and_saveexec_b64 s[16:17], s[0:1]
	s_cbranch_execz .LBB263_264
; %bb.255:
	v_cmp_lt_u32_e64 s[0:1], v66, v97
	s_mov_b64 s[18:19], 0
	s_and_saveexec_b64 s[14:15], s[0:1]
	s_cbranch_execz .LBB263_263
; %bb.256:
	s_mov_b64 s[0:1], 0
	s_and_saveexec_b64 s[18:19], vcc
	s_cbranch_execz .LBB263_262
; %bb.257:
	v_mad_u64_u32 v[14:15], s[0:1], v68, v6, v[8:9]
	v_mul_lo_u32 v12, v68, v7
	v_mul_lo_u32 v16, v22, v6
	v_add3_u32 v15, v16, v15, v12
	v_mad_u64_u32 v[16:17], s[0:1], v21, v6, v[8:9]
	v_mul_lo_u32 v12, v21, v7
	v_mul_lo_u32 v18, v20, v6
	v_add3_u32 v17, v18, v17, v12
	s_mov_b64 s[20:21], 0
	v_mov_b64_e32 v[18:19], v[6:7]
                                        ; implicit-def: $sgpr22_sgpr23
                                        ; implicit-def: $sgpr24_sgpr25
                                        ; implicit-def: $sgpr26_sgpr27
                                        ; implicit-def: $sgpr28_sgpr29
                                        ; implicit-def: $sgpr0_sgpr1
	s_branch .LBB263_259
.LBB263_258:                            ;   in Loop: Header=BB263_259 Depth=1
	s_or_b64 exec, exec, s[30:31]
	s_and_b64 s[30:31], exec, s[24:25]
	s_or_b64 s[20:21], s[30:31], s[20:21]
	s_andn2_b64 s[0:1], s[0:1], exec
	s_and_b64 s[30:31], s[26:27], exec
	s_or_b64 s[0:1], s[0:1], s[30:31]
	s_andn2_b64 s[22:23], s[22:23], exec
	s_and_b64 s[30:31], s[28:29], exec
	s_or_b64 s[22:23], s[22:23], s[30:31]
	s_andn2_b64 exec, exec, s[20:21]
	s_cbranch_execz .LBB263_261
.LBB263_259:                            ; =>This Inner Loop Header: Depth=1
	flat_load_ubyte v12, v[16:17]
	flat_load_ubyte v67, v[14:15]
	s_andn2_b64 s[28:29], s[28:29], exec
	s_andn2_b64 s[26:27], s[26:27], exec
	s_or_b64 s[24:25], s[24:25], exec
	s_waitcnt vmcnt(0) lgkmcnt(0)
	v_cmp_le_i16_sdwa s[34:35], sext(v12), sext(v67) src0_sel:BYTE_0 src1_sel:BYTE_0
	v_cmp_lt_i16_sdwa s[30:31], sext(v12), sext(v67) src0_sel:BYTE_0 src1_sel:BYTE_0
	s_and_b64 s[34:35], s[34:35], s[0:1]
	s_or_b64 s[34:35], s[30:31], s[34:35]
	s_and_b64 s[30:31], s[34:35], exec
	v_cmp_eq_u16_sdwa s[36:37], v12, v67 src0_sel:BYTE_0 src1_sel:BYTE_0
	s_or_b64 s[28:29], s[28:29], s[30:31]
	s_and_saveexec_b64 s[30:31], s[36:37]
	s_cbranch_execz .LBB263_258
; %bb.260:                              ;   in Loop: Header=BB263_259 Depth=1
	v_lshl_add_u64 v[18:19], v[18:19], 0, -1
	v_cmp_eq_u64_e64 s[0:1], 0, v[18:19]
	s_andn2_b64 s[26:27], s[26:27], exec
	s_and_b64 s[34:35], s[34:35], exec
	s_andn2_b64 s[24:25], s[24:25], exec
	s_and_b64 s[0:1], s[0:1], exec
	v_lshl_add_u64 v[14:15], v[14:15], 0, 1
	v_lshl_add_u64 v[16:17], v[16:17], 0, 1
	s_andn2_b64 s[28:29], s[28:29], exec
	s_or_b64 s[26:27], s[26:27], s[34:35]
	s_or_b64 s[24:25], s[24:25], s[0:1]
                                        ; implicit-def: $sgpr0_sgpr1
	s_branch .LBB263_258
.LBB263_261:
	s_or_b64 exec, exec, s[20:21]
	s_and_b64 s[0:1], s[22:23], exec
.LBB263_262:
	s_or_b64 exec, exec, s[18:19]
	s_xor_b64 s[0:1], s[0:1], -1
	s_and_b64 s[18:19], s[0:1], exec
.LBB263_263:
	s_or_b64 exec, exec, s[14:15]
	s_orn2_b64 s[14:15], s[18:19], exec
.LBB263_264:
	s_or_b64 exec, exec, s[16:17]
	v_cndmask_b32_e64 v12, v23, v66, s[14:15]
	v_cndmask_b32_e64 v14, v98, v97, s[14:15]
	v_add_u32_e32 v15, 1, v12
	v_add_u32_e32 v12, -1, v14
	v_min_u32_e32 v12, v15, v12
	v_lshl_add_u64 v[12:13], v[12:13], 3, v[54:55]
	flat_load_dwordx2 v[12:13], v[12:13]
	v_cndmask_b32_e64 v18, v15, v23, s[14:15]
	v_cndmask_b32_e64 v19, v66, v15, s[14:15]
	v_cmp_lt_u32_e64 s[0:1], v18, v98
	s_waitcnt vmcnt(0) lgkmcnt(0)
	v_cndmask_b32_e64 v23, v13, v20, s[14:15]
	v_cndmask_b32_e64 v69, v12, v21, s[14:15]
	;; [unrolled: 1-line block ×4, first 2 shown]
	s_and_saveexec_b64 s[16:17], s[0:1]
	s_cbranch_execz .LBB263_274
; %bb.265:
	v_cmp_lt_u32_e64 s[0:1], v19, v97
	s_mov_b64 s[18:19], 0
	s_and_saveexec_b64 s[2:3], s[0:1]
	s_cbranch_execz .LBB263_273
; %bb.266:
	s_mov_b64 s[0:1], 0
	s_and_saveexec_b64 s[18:19], vcc
	s_cbranch_execz .LBB263_272
; %bb.267:
	v_mad_u64_u32 v[12:13], s[0:1], v71, v6, v[8:9]
	v_mul_lo_u32 v14, v71, v7
	v_mul_lo_u32 v15, v70, v6
	v_add3_u32 v13, v15, v13, v14
	v_mad_u64_u32 v[14:15], s[0:1], v69, v6, v[8:9]
	v_mul_lo_u32 v16, v69, v7
	v_mul_lo_u32 v17, v23, v6
	v_add3_u32 v15, v17, v15, v16
	s_mov_b64 s[20:21], 0
	v_mov_b64_e32 v[16:17], v[6:7]
                                        ; implicit-def: $sgpr22_sgpr23
                                        ; implicit-def: $sgpr24_sgpr25
                                        ; implicit-def: $sgpr26_sgpr27
                                        ; implicit-def: $sgpr28_sgpr29
                                        ; implicit-def: $sgpr0_sgpr1
	s_branch .LBB263_269
.LBB263_268:                            ;   in Loop: Header=BB263_269 Depth=1
	s_or_b64 exec, exec, s[30:31]
	s_and_b64 s[30:31], exec, s[24:25]
	s_or_b64 s[20:21], s[30:31], s[20:21]
	s_andn2_b64 s[0:1], s[0:1], exec
	s_and_b64 s[30:31], s[26:27], exec
	s_or_b64 s[0:1], s[0:1], s[30:31]
	s_andn2_b64 s[22:23], s[22:23], exec
	s_and_b64 s[30:31], s[28:29], exec
	s_or_b64 s[22:23], s[22:23], s[30:31]
	s_andn2_b64 exec, exec, s[20:21]
	s_cbranch_execz .LBB263_271
.LBB263_269:                            ; =>This Inner Loop Header: Depth=1
	flat_load_ubyte v66, v[14:15]
	flat_load_ubyte v67, v[12:13]
	s_andn2_b64 s[28:29], s[28:29], exec
	s_andn2_b64 s[26:27], s[26:27], exec
	s_or_b64 s[24:25], s[24:25], exec
	s_waitcnt vmcnt(0) lgkmcnt(0)
	v_cmp_le_i16_sdwa s[34:35], sext(v66), sext(v67) src0_sel:BYTE_0 src1_sel:BYTE_0
	v_cmp_lt_i16_sdwa s[30:31], sext(v66), sext(v67) src0_sel:BYTE_0 src1_sel:BYTE_0
	s_and_b64 s[34:35], s[34:35], s[0:1]
	s_or_b64 s[34:35], s[30:31], s[34:35]
	s_and_b64 s[30:31], s[34:35], exec
	v_cmp_eq_u16_sdwa s[36:37], v66, v67 src0_sel:BYTE_0 src1_sel:BYTE_0
	s_or_b64 s[28:29], s[28:29], s[30:31]
	s_and_saveexec_b64 s[30:31], s[36:37]
	s_cbranch_execz .LBB263_268
; %bb.270:                              ;   in Loop: Header=BB263_269 Depth=1
	v_lshl_add_u64 v[16:17], v[16:17], 0, -1
	v_cmp_eq_u64_e64 s[0:1], 0, v[16:17]
	s_andn2_b64 s[26:27], s[26:27], exec
	s_and_b64 s[34:35], s[34:35], exec
	s_andn2_b64 s[24:25], s[24:25], exec
	s_and_b64 s[0:1], s[0:1], exec
	v_lshl_add_u64 v[12:13], v[12:13], 0, 1
	v_lshl_add_u64 v[14:15], v[14:15], 0, 1
	s_andn2_b64 s[28:29], s[28:29], exec
	s_or_b64 s[26:27], s[26:27], s[34:35]
	s_or_b64 s[24:25], s[24:25], s[0:1]
                                        ; implicit-def: $sgpr0_sgpr1
	s_branch .LBB263_268
.LBB263_271:
	s_or_b64 exec, exec, s[20:21]
	s_and_b64 s[0:1], s[22:23], exec
.LBB263_272:
	s_or_b64 exec, exec, s[18:19]
	s_xor_b64 s[0:1], s[0:1], -1
	s_and_b64 s[18:19], s[0:1], exec
.LBB263_273:
	s_or_b64 exec, exec, s[2:3]
	s_orn2_b64 s[2:3], s[18:19], exec
.LBB263_274:
	s_or_b64 exec, exec, s[16:17]
	v_cndmask_b32_e64 v12, v18, v19, s[2:3]
	v_cndmask_b32_e64 v13, v98, v97, s[2:3]
	v_add_u32_e32 v16, 1, v12
	v_add_u32_e32 v12, -1, v13
	v_min_u32_e32 v12, v16, v12
	v_mov_b32_e32 v13, 0
	v_lshl_add_u64 v[14:15], v[12:13], 3, v[54:55]
	flat_load_dwordx2 v[14:15], v[14:15]
	v_cndmask_b32_e64 v66, v16, v18, s[2:3]
	s_mov_b64 s[16:17], -1
	v_cndmask_b32_e64 v67, v19, v16, s[2:3]
	v_cmp_lt_u32_e64 s[0:1], v66, v98
	s_mov_b64 s[18:19], -1
	s_waitcnt vmcnt(0) lgkmcnt(0)
	v_cndmask_b32_e64 v80, v15, v23, s[2:3]
	v_cndmask_b32_e64 v81, v14, v69, s[2:3]
	;; [unrolled: 1-line block ×4, first 2 shown]
	s_and_saveexec_b64 s[20:21], s[0:1]
	s_cbranch_execz .LBB263_284
; %bb.275:
	v_cmp_lt_u32_e64 s[0:1], v67, v97
	s_mov_b64 s[22:23], 0
	s_and_saveexec_b64 s[18:19], s[0:1]
	s_cbranch_execz .LBB263_283
; %bb.276:
	s_mov_b64 s[0:1], -1
	s_and_saveexec_b64 s[22:23], vcc
	s_cbranch_execz .LBB263_282
; %bb.277:
	v_mad_u64_u32 v[14:15], s[0:1], v83, v6, v[8:9]
	v_mul_lo_u32 v12, v83, v7
	v_mul_lo_u32 v16, v82, v6
	v_add3_u32 v15, v16, v15, v12
	v_mad_u64_u32 v[16:17], s[0:1], v81, v6, v[8:9]
	v_mul_lo_u32 v12, v81, v7
	v_mul_lo_u32 v18, v80, v6
	v_add3_u32 v17, v18, v17, v12
	s_mov_b64 s[24:25], 0
	v_mov_b64_e32 v[18:19], v[6:7]
                                        ; implicit-def: $sgpr26_sgpr27
                                        ; implicit-def: $sgpr28_sgpr29
                                        ; implicit-def: $sgpr34_sgpr35
                                        ; implicit-def: $sgpr30_sgpr31
                                        ; implicit-def: $sgpr0_sgpr1
	s_branch .LBB263_279
.LBB263_278:                            ;   in Loop: Header=BB263_279 Depth=1
	s_or_b64 exec, exec, s[36:37]
	s_and_b64 s[36:37], exec, s[28:29]
	s_or_b64 s[24:25], s[36:37], s[24:25]
	s_andn2_b64 s[0:1], s[0:1], exec
	s_and_b64 s[36:37], s[30:31], exec
	s_or_b64 s[0:1], s[0:1], s[36:37]
	s_andn2_b64 s[26:27], s[26:27], exec
	s_and_b64 s[36:37], s[34:35], exec
	s_or_b64 s[26:27], s[26:27], s[36:37]
	s_andn2_b64 exec, exec, s[24:25]
	s_cbranch_execz .LBB263_281
.LBB263_279:                            ; =>This Inner Loop Header: Depth=1
	flat_load_ubyte v12, v[16:17]
	flat_load_ubyte v84, v[14:15]
	s_andn2_b64 s[34:35], s[34:35], exec
	s_andn2_b64 s[30:31], s[30:31], exec
	s_or_b64 s[28:29], s[28:29], exec
	s_waitcnt vmcnt(0) lgkmcnt(0)
	v_cmp_le_i16_sdwa s[38:39], sext(v12), sext(v84) src0_sel:BYTE_0 src1_sel:BYTE_0
	v_cmp_lt_i16_sdwa s[36:37], sext(v12), sext(v84) src0_sel:BYTE_0 src1_sel:BYTE_0
	s_and_b64 s[38:39], s[38:39], s[0:1]
	s_or_b64 s[38:39], s[36:37], s[38:39]
	s_and_b64 s[36:37], s[38:39], exec
	v_cmp_eq_u16_sdwa s[40:41], v12, v84 src0_sel:BYTE_0 src1_sel:BYTE_0
	s_or_b64 s[34:35], s[34:35], s[36:37]
	s_and_saveexec_b64 s[36:37], s[40:41]
	s_cbranch_execz .LBB263_278
; %bb.280:                              ;   in Loop: Header=BB263_279 Depth=1
	v_lshl_add_u64 v[18:19], v[18:19], 0, -1
	v_cmp_eq_u64_e64 s[0:1], 0, v[18:19]
	s_andn2_b64 s[30:31], s[30:31], exec
	s_and_b64 s[38:39], s[38:39], exec
	s_andn2_b64 s[28:29], s[28:29], exec
	s_and_b64 s[0:1], s[0:1], exec
	v_lshl_add_u64 v[14:15], v[14:15], 0, 1
	v_lshl_add_u64 v[16:17], v[16:17], 0, 1
	s_or_b64 s[30:31], s[30:31], s[38:39]
	s_andn2_b64 s[34:35], s[34:35], exec
	s_or_b64 s[28:29], s[28:29], s[0:1]
                                        ; implicit-def: $sgpr0_sgpr1
	s_branch .LBB263_278
.LBB263_281:
	s_or_b64 exec, exec, s[24:25]
	s_xor_b64 s[0:1], s[26:27], -1
	s_orn2_b64 s[0:1], s[0:1], exec
.LBB263_282:
	s_or_b64 exec, exec, s[22:23]
	s_and_b64 s[22:23], s[0:1], exec
.LBB263_283:
	s_or_b64 exec, exec, s[18:19]
	s_orn2_b64 s[18:19], s[22:23], exec
.LBB263_284:
	s_or_b64 exec, exec, s[20:21]
	v_cndmask_b32_e64 v12, v66, v67, s[18:19]
	v_cndmask_b32_e64 v14, v98, v97, s[18:19]
	v_add_u32_e32 v15, 1, v12
	v_add_u32_e32 v12, -1, v14
	v_min_u32_e32 v12, v15, v12
	v_lshl_add_u64 v[12:13], v[12:13], 3, v[54:55]
	flat_load_dwordx2 v[12:13], v[12:13]
	v_cndmask_b32_e64 v18, v15, v66, s[18:19]
	v_cndmask_b32_e64 v19, v67, v15, s[18:19]
	v_cmp_lt_u32_e64 s[0:1], v18, v98
	s_waitcnt vmcnt(0) lgkmcnt(0)
	v_cndmask_b32_e64 v84, v13, v80, s[18:19]
	v_cndmask_b32_e64 v85, v12, v81, s[18:19]
	v_cndmask_b32_e64 v86, v82, v13, s[18:19]
	v_cndmask_b32_e64 v87, v83, v12, s[18:19]
	s_and_saveexec_b64 s[20:21], s[0:1]
	s_cbranch_execz .LBB263_294
; %bb.285:
	v_cmp_lt_u32_e64 s[0:1], v19, v97
	s_mov_b64 s[22:23], 0
	s_and_saveexec_b64 s[16:17], s[0:1]
	s_cbranch_execz .LBB263_293
; %bb.286:
	s_mov_b64 s[0:1], -1
	s_and_saveexec_b64 s[22:23], vcc
	s_cbranch_execz .LBB263_292
; %bb.287:
	v_mad_u64_u32 v[12:13], s[0:1], v87, v6, v[8:9]
	v_mul_lo_u32 v14, v87, v7
	v_mul_lo_u32 v15, v86, v6
	v_add3_u32 v13, v15, v13, v14
	v_mad_u64_u32 v[14:15], s[0:1], v85, v6, v[8:9]
	v_mul_lo_u32 v16, v85, v7
	v_mul_lo_u32 v17, v84, v6
	v_add3_u32 v15, v17, v15, v16
	s_mov_b64 s[24:25], 0
	v_mov_b64_e32 v[16:17], v[6:7]
                                        ; implicit-def: $sgpr26_sgpr27
                                        ; implicit-def: $sgpr28_sgpr29
                                        ; implicit-def: $sgpr34_sgpr35
                                        ; implicit-def: $sgpr30_sgpr31
                                        ; implicit-def: $sgpr0_sgpr1
	s_branch .LBB263_289
.LBB263_288:                            ;   in Loop: Header=BB263_289 Depth=1
	s_or_b64 exec, exec, s[36:37]
	s_and_b64 s[36:37], exec, s[28:29]
	s_or_b64 s[24:25], s[36:37], s[24:25]
	s_andn2_b64 s[0:1], s[0:1], exec
	s_and_b64 s[36:37], s[30:31], exec
	s_or_b64 s[0:1], s[0:1], s[36:37]
	s_andn2_b64 s[26:27], s[26:27], exec
	s_and_b64 s[36:37], s[34:35], exec
	s_or_b64 s[26:27], s[26:27], s[36:37]
	s_andn2_b64 exec, exec, s[24:25]
	s_cbranch_execz .LBB263_291
.LBB263_289:                            ; =>This Inner Loop Header: Depth=1
	flat_load_ubyte v66, v[14:15]
	flat_load_ubyte v67, v[12:13]
	s_andn2_b64 s[34:35], s[34:35], exec
	s_andn2_b64 s[30:31], s[30:31], exec
	s_or_b64 s[28:29], s[28:29], exec
	s_waitcnt vmcnt(0) lgkmcnt(0)
	v_cmp_le_i16_sdwa s[38:39], sext(v66), sext(v67) src0_sel:BYTE_0 src1_sel:BYTE_0
	v_cmp_lt_i16_sdwa s[36:37], sext(v66), sext(v67) src0_sel:BYTE_0 src1_sel:BYTE_0
	s_and_b64 s[38:39], s[38:39], s[0:1]
	s_or_b64 s[38:39], s[36:37], s[38:39]
	s_and_b64 s[36:37], s[38:39], exec
	v_cmp_eq_u16_sdwa s[40:41], v66, v67 src0_sel:BYTE_0 src1_sel:BYTE_0
	s_or_b64 s[34:35], s[34:35], s[36:37]
	s_and_saveexec_b64 s[36:37], s[40:41]
	s_cbranch_execz .LBB263_288
; %bb.290:                              ;   in Loop: Header=BB263_289 Depth=1
	v_lshl_add_u64 v[16:17], v[16:17], 0, -1
	v_cmp_eq_u64_e64 s[0:1], 0, v[16:17]
	s_andn2_b64 s[30:31], s[30:31], exec
	s_and_b64 s[38:39], s[38:39], exec
	s_andn2_b64 s[28:29], s[28:29], exec
	s_and_b64 s[0:1], s[0:1], exec
	v_lshl_add_u64 v[12:13], v[12:13], 0, 1
	v_lshl_add_u64 v[14:15], v[14:15], 0, 1
	s_or_b64 s[30:31], s[30:31], s[38:39]
	s_andn2_b64 s[34:35], s[34:35], exec
	s_or_b64 s[28:29], s[28:29], s[0:1]
                                        ; implicit-def: $sgpr0_sgpr1
	s_branch .LBB263_288
.LBB263_291:
	s_or_b64 exec, exec, s[24:25]
	s_xor_b64 s[0:1], s[26:27], -1
	s_orn2_b64 s[0:1], s[0:1], exec
.LBB263_292:
	s_or_b64 exec, exec, s[22:23]
	s_and_b64 s[22:23], s[0:1], exec
.LBB263_293:
	s_or_b64 exec, exec, s[16:17]
	s_orn2_b64 s[16:17], s[22:23], exec
.LBB263_294:
	s_or_b64 exec, exec, s[20:21]
	v_cndmask_b32_e64 v12, v18, v19, s[16:17]
	v_cndmask_b32_e64 v13, v98, v97, s[16:17]
	v_add_u32_e32 v16, 1, v12
	v_add_u32_e32 v12, -1, v13
	v_min_u32_e32 v12, v16, v12
	v_mov_b32_e32 v13, 0
	v_lshl_add_u64 v[14:15], v[12:13], 3, v[54:55]
	flat_load_dwordx2 v[14:15], v[14:15]
	v_cndmask_b32_e64 v66, v16, v18, s[16:17]
	s_mov_b64 s[20:21], -1
	v_cndmask_b32_e64 v67, v19, v16, s[16:17]
	v_cmp_lt_u32_e64 s[0:1], v66, v98
	s_mov_b64 s[22:23], -1
	s_waitcnt vmcnt(0) lgkmcnt(0)
	v_cndmask_b32_e64 v99, v15, v84, s[16:17]
	v_cndmask_b32_e64 v100, v14, v85, s[16:17]
	;; [unrolled: 1-line block ×4, first 2 shown]
	s_and_saveexec_b64 s[24:25], s[0:1]
	s_cbranch_execz .LBB263_304
; %bb.295:
	v_cmp_lt_u32_e64 s[0:1], v67, v97
	s_mov_b64 s[26:27], 0
	s_and_saveexec_b64 s[22:23], s[0:1]
	s_cbranch_execz .LBB263_303
; %bb.296:
	s_mov_b64 s[0:1], -1
	s_and_saveexec_b64 s[26:27], vcc
	s_cbranch_execz .LBB263_302
; %bb.297:
	v_mad_u64_u32 v[14:15], s[0:1], v102, v6, v[8:9]
	v_mul_lo_u32 v12, v102, v7
	v_mul_lo_u32 v16, v101, v6
	v_add3_u32 v15, v16, v15, v12
	v_mad_u64_u32 v[16:17], s[0:1], v100, v6, v[8:9]
	v_mul_lo_u32 v12, v100, v7
	v_mul_lo_u32 v18, v99, v6
	v_add3_u32 v17, v18, v17, v12
	s_mov_b64 s[28:29], 0
	v_mov_b64_e32 v[18:19], v[6:7]
                                        ; implicit-def: $sgpr30_sgpr31
                                        ; implicit-def: $sgpr34_sgpr35
                                        ; implicit-def: $sgpr38_sgpr39
                                        ; implicit-def: $sgpr36_sgpr37
                                        ; implicit-def: $sgpr0_sgpr1
	s_branch .LBB263_299
.LBB263_298:                            ;   in Loop: Header=BB263_299 Depth=1
	s_or_b64 exec, exec, s[40:41]
	s_and_b64 s[40:41], exec, s[34:35]
	s_or_b64 s[28:29], s[40:41], s[28:29]
	s_andn2_b64 s[0:1], s[0:1], exec
	s_and_b64 s[40:41], s[36:37], exec
	s_or_b64 s[0:1], s[0:1], s[40:41]
	s_andn2_b64 s[30:31], s[30:31], exec
	s_and_b64 s[40:41], s[38:39], exec
	s_or_b64 s[30:31], s[30:31], s[40:41]
	s_andn2_b64 exec, exec, s[28:29]
	s_cbranch_execz .LBB263_301
.LBB263_299:                            ; =>This Inner Loop Header: Depth=1
	flat_load_ubyte v12, v[16:17]
	flat_load_ubyte v103, v[14:15]
	s_andn2_b64 s[38:39], s[38:39], exec
	s_andn2_b64 s[36:37], s[36:37], exec
	s_or_b64 s[34:35], s[34:35], exec
	s_waitcnt vmcnt(0) lgkmcnt(0)
	v_cmp_le_i16_sdwa s[42:43], sext(v12), sext(v103) src0_sel:BYTE_0 src1_sel:BYTE_0
	v_cmp_lt_i16_sdwa s[40:41], sext(v12), sext(v103) src0_sel:BYTE_0 src1_sel:BYTE_0
	s_and_b64 s[42:43], s[42:43], s[0:1]
	s_or_b64 s[42:43], s[40:41], s[42:43]
	s_and_b64 s[40:41], s[42:43], exec
	v_cmp_eq_u16_sdwa s[44:45], v12, v103 src0_sel:BYTE_0 src1_sel:BYTE_0
	s_or_b64 s[38:39], s[38:39], s[40:41]
	s_and_saveexec_b64 s[40:41], s[44:45]
	s_cbranch_execz .LBB263_298
; %bb.300:                              ;   in Loop: Header=BB263_299 Depth=1
	v_lshl_add_u64 v[18:19], v[18:19], 0, -1
	v_cmp_eq_u64_e64 s[0:1], 0, v[18:19]
	s_andn2_b64 s[36:37], s[36:37], exec
	s_and_b64 s[42:43], s[42:43], exec
	s_andn2_b64 s[34:35], s[34:35], exec
	s_and_b64 s[0:1], s[0:1], exec
	v_lshl_add_u64 v[14:15], v[14:15], 0, 1
	v_lshl_add_u64 v[16:17], v[16:17], 0, 1
	s_or_b64 s[36:37], s[36:37], s[42:43]
	s_andn2_b64 s[38:39], s[38:39], exec
	s_or_b64 s[34:35], s[34:35], s[0:1]
                                        ; implicit-def: $sgpr0_sgpr1
	s_branch .LBB263_298
.LBB263_301:
	s_or_b64 exec, exec, s[28:29]
	s_xor_b64 s[0:1], s[30:31], -1
	s_orn2_b64 s[0:1], s[0:1], exec
.LBB263_302:
	s_or_b64 exec, exec, s[26:27]
	s_and_b64 s[26:27], s[0:1], exec
.LBB263_303:
	s_or_b64 exec, exec, s[22:23]
	s_orn2_b64 s[22:23], s[26:27], exec
.LBB263_304:
	s_or_b64 exec, exec, s[24:25]
	v_cndmask_b32_e64 v12, v66, v67, s[22:23]
	v_cndmask_b32_e64 v14, v98, v97, s[22:23]
	v_add_u32_e32 v15, 1, v12
	v_add_u32_e32 v12, -1, v14
	v_min_u32_e32 v12, v15, v12
	v_lshl_add_u64 v[12:13], v[12:13], 3, v[54:55]
	flat_load_dwordx2 v[12:13], v[12:13]
	v_cndmask_b32_e64 v114, v15, v66, s[22:23]
	v_cndmask_b32_e64 v103, v67, v15, s[22:23]
	v_cmp_lt_u32_e64 s[0:1], v114, v98
	s_waitcnt vmcnt(0) lgkmcnt(0)
	v_cndmask_b32_e64 v112, v13, v99, s[22:23]
	v_cndmask_b32_e64 v113, v12, v100, s[22:23]
	;; [unrolled: 1-line block ×4, first 2 shown]
	s_and_saveexec_b64 s[24:25], s[0:1]
	s_cbranch_execz .LBB263_314
; %bb.305:
	v_cmp_lt_u32_e64 s[0:1], v103, v97
	s_mov_b64 s[26:27], 0
	s_and_saveexec_b64 s[20:21], s[0:1]
	s_cbranch_execz .LBB263_313
; %bb.306:
	s_mov_b64 s[0:1], -1
	s_and_saveexec_b64 s[26:27], vcc
	s_cbranch_execz .LBB263_312
; %bb.307:
	v_mad_u64_u32 v[12:13], s[0:1], v116, v6, v[8:9]
	v_mul_lo_u32 v14, v116, v7
	v_mul_lo_u32 v15, v115, v6
	v_add3_u32 v13, v15, v13, v14
	v_mad_u64_u32 v[14:15], s[0:1], v113, v6, v[8:9]
	v_mul_lo_u32 v16, v113, v7
	v_mul_lo_u32 v17, v112, v6
	v_add3_u32 v15, v17, v15, v16
	s_mov_b64 s[28:29], 0
	v_mov_b64_e32 v[16:17], v[6:7]
                                        ; implicit-def: $sgpr30_sgpr31
                                        ; implicit-def: $sgpr34_sgpr35
                                        ; implicit-def: $sgpr38_sgpr39
                                        ; implicit-def: $sgpr36_sgpr37
                                        ; implicit-def: $sgpr0_sgpr1
	s_branch .LBB263_309
.LBB263_308:                            ;   in Loop: Header=BB263_309 Depth=1
	s_or_b64 exec, exec, s[40:41]
	s_and_b64 s[40:41], exec, s[34:35]
	s_or_b64 s[28:29], s[40:41], s[28:29]
	s_andn2_b64 s[0:1], s[0:1], exec
	s_and_b64 s[40:41], s[36:37], exec
	s_or_b64 s[0:1], s[0:1], s[40:41]
	s_andn2_b64 s[30:31], s[30:31], exec
	s_and_b64 s[40:41], s[38:39], exec
	s_or_b64 s[30:31], s[30:31], s[40:41]
	s_andn2_b64 exec, exec, s[28:29]
	s_cbranch_execz .LBB263_311
.LBB263_309:                            ; =>This Inner Loop Header: Depth=1
	flat_load_ubyte v18, v[14:15]
	flat_load_ubyte v19, v[12:13]
	s_andn2_b64 s[38:39], s[38:39], exec
	s_andn2_b64 s[36:37], s[36:37], exec
	s_or_b64 s[34:35], s[34:35], exec
	s_waitcnt vmcnt(0) lgkmcnt(0)
	v_cmp_le_i16_sdwa s[42:43], sext(v18), sext(v19) src0_sel:BYTE_0 src1_sel:BYTE_0
	v_cmp_lt_i16_sdwa s[40:41], sext(v18), sext(v19) src0_sel:BYTE_0 src1_sel:BYTE_0
	s_and_b64 s[42:43], s[42:43], s[0:1]
	s_or_b64 s[42:43], s[40:41], s[42:43]
	s_and_b64 s[40:41], s[42:43], exec
	v_cmp_eq_u16_sdwa s[44:45], v18, v19 src0_sel:BYTE_0 src1_sel:BYTE_0
	s_or_b64 s[38:39], s[38:39], s[40:41]
	s_and_saveexec_b64 s[40:41], s[44:45]
	s_cbranch_execz .LBB263_308
; %bb.310:                              ;   in Loop: Header=BB263_309 Depth=1
	v_lshl_add_u64 v[16:17], v[16:17], 0, -1
	v_cmp_eq_u64_e64 s[0:1], 0, v[16:17]
	s_andn2_b64 s[36:37], s[36:37], exec
	s_and_b64 s[42:43], s[42:43], exec
	s_andn2_b64 s[34:35], s[34:35], exec
	s_and_b64 s[0:1], s[0:1], exec
	v_lshl_add_u64 v[12:13], v[12:13], 0, 1
	v_lshl_add_u64 v[14:15], v[14:15], 0, 1
	s_or_b64 s[36:37], s[36:37], s[42:43]
	s_andn2_b64 s[38:39], s[38:39], exec
	s_or_b64 s[34:35], s[34:35], s[0:1]
                                        ; implicit-def: $sgpr0_sgpr1
	s_branch .LBB263_308
.LBB263_311:
	s_or_b64 exec, exec, s[28:29]
	s_xor_b64 s[0:1], s[30:31], -1
	s_orn2_b64 s[0:1], s[0:1], exec
.LBB263_312:
	s_or_b64 exec, exec, s[26:27]
	s_and_b64 s[26:27], s[0:1], exec
.LBB263_313:
	s_or_b64 exec, exec, s[20:21]
	s_orn2_b64 s[20:21], s[26:27], exec
.LBB263_314:
	s_or_b64 exec, exec, s[24:25]
	v_cndmask_b32_e64 v12, v114, v103, s[20:21]
	v_cndmask_b32_e64 v13, v98, v97, s[20:21]
	v_add_u32_e32 v117, 1, v12
	v_add_u32_e32 v12, -1, v13
	v_min_u32_e32 v12, v117, v12
	v_mov_b32_e32 v13, 0
	v_lshl_add_u64 v[12:13], v[12:13], 3, v[54:55]
	flat_load_dwordx2 v[66:67], v[12:13]
	v_cndmask_b32_e64 v17, v23, v70, s[2:3]
	v_cndmask_b32_e64 v23, v20, v22, s[14:15]
	;; [unrolled: 1-line block ×15, first 2 shown]
	v_cmp_lt_u32_e64 s[0:1], v68, v98
	s_waitcnt vmcnt(0) lgkmcnt(0)
	v_cndmask_b32_e64 v3, v115, v67, s[20:21]
	v_cndmask_b32_e64 v2, v116, v66, s[20:21]
	s_and_saveexec_b64 s[2:3], s[0:1]
	s_cbranch_execz .LBB263_324
; %bb.315:
	v_cndmask_b32_e64 v68, v103, v117, s[20:21]
	v_cndmask_b32_e64 v67, v67, v112, s[20:21]
	;; [unrolled: 1-line block ×3, first 2 shown]
	v_cmp_lt_u32_e64 s[0:1], v68, v97
	s_and_saveexec_b64 s[10:11], s[0:1]
	s_cbranch_execz .LBB263_323
; %bb.316:
	s_and_saveexec_b64 s[14:15], vcc
	s_cbranch_execz .LBB263_322
; %bb.317:
	v_mad_u64_u32 v[68:69], s[0:1], v2, v6, v[8:9]
	v_mul_lo_u32 v70, v2, v7
	v_mul_lo_u32 v71, v3, v6
	v_add3_u32 v69, v71, v69, v70
	v_mad_u64_u32 v[70:71], s[0:1], v66, v6, v[8:9]
	v_mul_lo_u32 v80, v66, v7
	v_mul_lo_u32 v81, v67, v6
	v_add3_u32 v71, v81, v71, v80
	s_mov_b64 s[16:17], 0
	v_mov_b64_e32 v[80:81], v[6:7]
                                        ; implicit-def: $sgpr18_sgpr19
                                        ; implicit-def: $sgpr20_sgpr21
                                        ; implicit-def: $sgpr24_sgpr25
                                        ; implicit-def: $sgpr22_sgpr23
                                        ; implicit-def: $sgpr0_sgpr1
	s_branch .LBB263_319
.LBB263_318:                            ;   in Loop: Header=BB263_319 Depth=1
	s_or_b64 exec, exec, s[26:27]
	s_and_b64 s[26:27], exec, s[20:21]
	s_or_b64 s[16:17], s[26:27], s[16:17]
	s_andn2_b64 s[0:1], s[0:1], exec
	s_and_b64 s[26:27], s[22:23], exec
	s_or_b64 s[0:1], s[0:1], s[26:27]
	s_andn2_b64 s[18:19], s[18:19], exec
	s_and_b64 s[26:27], s[24:25], exec
	s_or_b64 s[18:19], s[18:19], s[26:27]
	s_andn2_b64 exec, exec, s[16:17]
	s_cbranch_execz .LBB263_321
.LBB263_319:                            ; =>This Inner Loop Header: Depth=1
	flat_load_ubyte v82, v[70:71]
	flat_load_ubyte v83, v[68:69]
	s_andn2_b64 s[24:25], s[24:25], exec
	s_andn2_b64 s[22:23], s[22:23], exec
	s_or_b64 s[20:21], s[20:21], exec
	s_waitcnt vmcnt(0) lgkmcnt(0)
	v_cmp_le_i16_sdwa s[28:29], sext(v82), sext(v83) src0_sel:BYTE_0 src1_sel:BYTE_0
	v_cmp_lt_i16_sdwa s[26:27], sext(v82), sext(v83) src0_sel:BYTE_0 src1_sel:BYTE_0
	s_and_b64 s[28:29], s[28:29], s[0:1]
	s_or_b64 s[28:29], s[26:27], s[28:29]
	s_and_b64 s[26:27], s[28:29], exec
	v_cmp_eq_u16_sdwa s[30:31], v82, v83 src0_sel:BYTE_0 src1_sel:BYTE_0
	s_or_b64 s[24:25], s[24:25], s[26:27]
	s_and_saveexec_b64 s[26:27], s[30:31]
	s_cbranch_execz .LBB263_318
; %bb.320:                              ;   in Loop: Header=BB263_319 Depth=1
	v_lshl_add_u64 v[80:81], v[80:81], 0, -1
	v_cmp_eq_u64_e64 s[0:1], 0, v[80:81]
	s_andn2_b64 s[22:23], s[22:23], exec
	s_and_b64 s[28:29], s[28:29], exec
	s_andn2_b64 s[20:21], s[20:21], exec
	s_and_b64 s[0:1], s[0:1], exec
	v_lshl_add_u64 v[68:69], v[68:69], 0, 1
	v_lshl_add_u64 v[70:71], v[70:71], 0, 1
	s_or_b64 s[22:23], s[22:23], s[28:29]
	s_andn2_b64 s[24:25], s[24:25], exec
	s_or_b64 s[20:21], s[20:21], s[0:1]
                                        ; implicit-def: $sgpr0_sgpr1
	s_branch .LBB263_318
.LBB263_321:
	s_or_b64 exec, exec, s[16:17]
	v_cndmask_b32_e64 v3, v3, v67, s[18:19]
	v_cndmask_b32_e64 v2, v2, v66, s[18:19]
.LBB263_322:
	s_or_b64 exec, exec, s[14:15]
	v_mov_b64_e32 v[66:67], v[2:3]
.LBB263_323:
	s_or_b64 exec, exec, s[10:11]
	v_mov_b64_e32 v[2:3], v[66:67]
.LBB263_324:
	s_or_b64 exec, exec, s[2:3]
.LBB263_325:
	s_or_b64 exec, exec, s[6:7]
	v_and_b32_e32 v99, 0x3e0, v96
	v_or_b32_e32 v66, 16, v99
	v_min_u32_e32 v97, v31, v66
	v_add_u32_e32 v66, 16, v97
	v_min_u32_e32 v98, v31, v66
	v_and_b32_e32 v66, 24, v96
	v_min_u32_e32 v100, v31, v66
	v_sub_u32_e32 v66, v97, v99
	v_sub_u32_e32 v67, v98, v97
	v_sub_u32_e64 v101, v100, v67 clamp
	v_min_u32_e32 v102, v100, v66
	v_cmp_lt_u32_e64 s[0:1], v101, v102
	; wave barrier
	flat_store_dwordx4 v[64:65], v[20:23]
	flat_store_dwordx4 v[64:65], v[16:19] offset:16
	flat_store_dwordx4 v[64:65], v[12:15] offset:32
	flat_store_dwordx4 v[64:65], v[0:3] offset:48
	; wave barrier
	s_and_saveexec_b64 s[2:3], s[0:1]
	s_cbranch_execz .LBB263_335
; %bb.326:
	v_lshlrev_b32_e32 v66, 3, v99
	v_mov_b32_e32 v67, 0
	v_lshl_add_u64 v[68:69], v[54:55], 0, v[66:67]
	v_lshlrev_b32_e32 v66, 3, v97
	v_lshl_add_u64 v[70:71], v[54:55], 0, v[66:67]
	s_mov_b64 s[6:7], 0
	s_branch .LBB263_329
.LBB263_327:                            ;   in Loop: Header=BB263_329 Depth=1
	s_or_b64 exec, exec, s[14:15]
	s_and_b64 s[0:1], s[16:17], exec
.LBB263_328:                            ;   in Loop: Header=BB263_329 Depth=1
	s_or_b64 exec, exec, s[10:11]
	v_add_u32_e32 v66, 1, v80
	v_cndmask_b32_e64 v102, v102, v80, s[0:1]
	v_cndmask_b32_e64 v101, v66, v101, s[0:1]
	v_cmp_ge_u32_e64 s[0:1], v101, v102
	s_or_b64 s[6:7], s[0:1], s[6:7]
	s_andn2_b64 exec, exec, s[6:7]
	s_cbranch_execz .LBB263_334
.LBB263_329:                            ; =>This Loop Header: Depth=1
                                        ;     Child Loop BB263_332 Depth 2
	v_add_u32_e32 v66, v102, v101
	v_lshrrev_b32_e32 v80, 1, v66
	s_mov_b64 s[0:1], 0
	s_and_saveexec_b64 s[10:11], vcc
	s_cbranch_execz .LBB263_328
; %bb.330:                              ;   in Loop: Header=BB263_329 Depth=1
	v_mov_b32_e32 v81, v67
	v_xad_u32 v66, v80, -1, v100
	v_lshl_add_u64 v[82:83], v[80:81], 3, v[68:69]
	v_lshl_add_u64 v[84:85], v[66:67], 3, v[70:71]
	flat_load_dwordx2 v[82:83], v[82:83]
	s_mov_b64 s[14:15], 0
	flat_load_dwordx2 v[84:85], v[84:85]
                                        ; implicit-def: $sgpr16_sgpr17
                                        ; implicit-def: $sgpr18_sgpr19
                                        ; implicit-def: $sgpr20_sgpr21
                                        ; implicit-def: $sgpr22_sgpr23
                                        ; implicit-def: $sgpr0_sgpr1
	s_waitcnt vmcnt(0) lgkmcnt(0)
	v_mul_lo_u32 v66, v82, v7
	v_mul_lo_u32 v81, v83, v6
	v_mad_u64_u32 v[82:83], s[24:25], v82, v6, v[8:9]
	v_mul_lo_u32 v86, v84, v7
	v_mul_lo_u32 v87, v85, v6
	v_mad_u64_u32 v[84:85], s[24:25], v84, v6, v[8:9]
	v_add3_u32 v83, v81, v83, v66
	v_add3_u32 v85, v87, v85, v86
	v_mov_b64_e32 v[86:87], v[6:7]
	s_branch .LBB263_332
.LBB263_331:                            ;   in Loop: Header=BB263_332 Depth=2
	s_or_b64 exec, exec, s[24:25]
	s_and_b64 s[24:25], exec, s[18:19]
	s_or_b64 s[14:15], s[24:25], s[14:15]
	s_andn2_b64 s[0:1], s[0:1], exec
	s_and_b64 s[24:25], s[20:21], exec
	s_or_b64 s[0:1], s[0:1], s[24:25]
	s_andn2_b64 s[16:17], s[16:17], exec
	s_and_b64 s[24:25], s[22:23], exec
	s_or_b64 s[16:17], s[16:17], s[24:25]
	s_andn2_b64 exec, exec, s[14:15]
	s_cbranch_execz .LBB263_327
.LBB263_332:                            ;   Parent Loop BB263_329 Depth=1
                                        ; =>  This Inner Loop Header: Depth=2
	flat_load_ubyte v66, v[84:85]
	flat_load_ubyte v81, v[82:83]
	s_andn2_b64 s[22:23], s[22:23], exec
	s_andn2_b64 s[20:21], s[20:21], exec
	s_or_b64 s[18:19], s[18:19], exec
	s_waitcnt vmcnt(0) lgkmcnt(0)
	v_cmp_le_i16_sdwa s[26:27], sext(v66), sext(v81) src0_sel:BYTE_0 src1_sel:BYTE_0
	v_cmp_lt_i16_sdwa s[24:25], sext(v66), sext(v81) src0_sel:BYTE_0 src1_sel:BYTE_0
	s_and_b64 s[26:27], s[26:27], s[0:1]
	s_or_b64 s[26:27], s[24:25], s[26:27]
	s_and_b64 s[24:25], s[26:27], exec
	v_cmp_eq_u16_sdwa s[28:29], v66, v81 src0_sel:BYTE_0 src1_sel:BYTE_0
	s_or_b64 s[22:23], s[22:23], s[24:25]
	s_and_saveexec_b64 s[24:25], s[28:29]
	s_cbranch_execz .LBB263_331
; %bb.333:                              ;   in Loop: Header=BB263_332 Depth=2
	v_lshl_add_u64 v[86:87], v[86:87], 0, -1
	v_cmp_eq_u64_e64 s[0:1], 0, v[86:87]
	s_andn2_b64 s[20:21], s[20:21], exec
	s_and_b64 s[26:27], s[26:27], exec
	s_andn2_b64 s[18:19], s[18:19], exec
	s_and_b64 s[0:1], s[0:1], exec
	v_lshl_add_u64 v[82:83], v[82:83], 0, 1
	v_lshl_add_u64 v[84:85], v[84:85], 0, 1
	s_andn2_b64 s[22:23], s[22:23], exec
	s_or_b64 s[20:21], s[20:21], s[26:27]
	s_or_b64 s[18:19], s[18:19], s[0:1]
                                        ; implicit-def: $sgpr0_sgpr1
	s_branch .LBB263_331
.LBB263_334:
	s_or_b64 exec, exec, s[6:7]
.LBB263_335:
	s_or_b64 exec, exec, s[2:3]
	v_add_u32_e32 v67, v97, v100
	v_add_u32_e32 v66, v101, v99
	v_sub_u32_e32 v68, v67, v101
	v_cmp_le_u32_e64 s[0:1], v66, v97
	v_cmp_le_u32_e64 s[2:3], v68, v98
	s_or_b64 s[0:1], s[0:1], s[2:3]
	s_and_saveexec_b64 s[6:7], s[0:1]
	s_cbranch_execz .LBB263_419
; %bb.336:
	v_cmp_ge_u32_e64 s[0:1], v66, v97
	v_cmp_lt_u32_e64 s[2:3], v66, v97
                                        ; implicit-def: $vgpr0_vgpr1
	s_and_saveexec_b64 s[10:11], s[2:3]
	s_cbranch_execz .LBB263_338
; %bb.337:
	v_mov_b32_e32 v67, 0
	v_lshl_add_u64 v[0:1], v[66:67], 3, v[54:55]
	flat_load_dwordx2 v[0:1], v[0:1]
.LBB263_338:
	s_or_b64 exec, exec, s[10:11]
	v_cmp_ge_u32_e64 s[10:11], v68, v98
	v_cmp_lt_u32_e64 s[2:3], v68, v98
                                        ; implicit-def: $vgpr2_vgpr3
	s_and_saveexec_b64 s[14:15], s[2:3]
	s_cbranch_execz .LBB263_340
; %bb.339:
	v_mov_b32_e32 v69, 0
	v_lshl_add_u64 v[2:3], v[68:69], 3, v[54:55]
	flat_load_dwordx2 v[2:3], v[2:3]
.LBB263_340:
	s_or_b64 exec, exec, s[14:15]
	s_or_b64 s[0:1], s[0:1], s[10:11]
	s_xor_b64 s[0:1], s[0:1], -1
	s_and_saveexec_b64 s[2:3], s[0:1]
	s_cbranch_execz .LBB263_348
; %bb.341:
	s_mov_b64 s[0:1], 0
	s_and_saveexec_b64 s[14:15], vcc
	s_cbranch_execz .LBB263_347
; %bb.342:
	s_waitcnt vmcnt(0) lgkmcnt(0)
	v_mad_u64_u32 v[12:13], s[0:1], v0, v6, v[8:9]
	v_mul_lo_u32 v14, v0, v7
	v_mul_lo_u32 v15, v1, v6
	v_add3_u32 v13, v15, v13, v14
	v_mad_u64_u32 v[14:15], s[0:1], v2, v6, v[8:9]
	v_mul_lo_u32 v16, v2, v7
	v_mul_lo_u32 v17, v3, v6
	v_add3_u32 v15, v17, v15, v16
	s_mov_b64 s[16:17], 0
	v_mov_b64_e32 v[16:17], v[6:7]
                                        ; implicit-def: $sgpr18_sgpr19
                                        ; implicit-def: $sgpr20_sgpr21
                                        ; implicit-def: $sgpr22_sgpr23
                                        ; implicit-def: $sgpr24_sgpr25
                                        ; implicit-def: $sgpr0_sgpr1
	s_branch .LBB263_344
.LBB263_343:                            ;   in Loop: Header=BB263_344 Depth=1
	s_or_b64 exec, exec, s[26:27]
	s_and_b64 s[26:27], exec, s[20:21]
	s_or_b64 s[16:17], s[26:27], s[16:17]
	s_andn2_b64 s[0:1], s[0:1], exec
	s_and_b64 s[26:27], s[22:23], exec
	s_or_b64 s[0:1], s[0:1], s[26:27]
	s_andn2_b64 s[18:19], s[18:19], exec
	s_and_b64 s[26:27], s[24:25], exec
	s_or_b64 s[18:19], s[18:19], s[26:27]
	s_andn2_b64 exec, exec, s[16:17]
	s_cbranch_execz .LBB263_346
.LBB263_344:                            ; =>This Inner Loop Header: Depth=1
	flat_load_ubyte v18, v[14:15]
	flat_load_ubyte v19, v[12:13]
	s_andn2_b64 s[24:25], s[24:25], exec
	s_andn2_b64 s[22:23], s[22:23], exec
	s_or_b64 s[20:21], s[20:21], exec
	s_waitcnt vmcnt(0) lgkmcnt(0)
	v_cmp_le_i16_sdwa s[28:29], sext(v18), sext(v19) src0_sel:BYTE_0 src1_sel:BYTE_0
	v_cmp_lt_i16_sdwa s[26:27], sext(v18), sext(v19) src0_sel:BYTE_0 src1_sel:BYTE_0
	s_and_b64 s[28:29], s[28:29], s[0:1]
	s_or_b64 s[28:29], s[26:27], s[28:29]
	s_and_b64 s[26:27], s[28:29], exec
	v_cmp_eq_u16_sdwa s[30:31], v18, v19 src0_sel:BYTE_0 src1_sel:BYTE_0
	s_or_b64 s[24:25], s[24:25], s[26:27]
	s_and_saveexec_b64 s[26:27], s[30:31]
	s_cbranch_execz .LBB263_343
; %bb.345:                              ;   in Loop: Header=BB263_344 Depth=1
	v_lshl_add_u64 v[16:17], v[16:17], 0, -1
	v_cmp_eq_u64_e64 s[0:1], 0, v[16:17]
	s_andn2_b64 s[22:23], s[22:23], exec
	s_and_b64 s[28:29], s[28:29], exec
	s_andn2_b64 s[20:21], s[20:21], exec
	s_and_b64 s[0:1], s[0:1], exec
	v_lshl_add_u64 v[12:13], v[12:13], 0, 1
	v_lshl_add_u64 v[14:15], v[14:15], 0, 1
	s_andn2_b64 s[24:25], s[24:25], exec
	s_or_b64 s[22:23], s[22:23], s[28:29]
	s_or_b64 s[20:21], s[20:21], s[0:1]
                                        ; implicit-def: $sgpr0_sgpr1
	s_branch .LBB263_343
.LBB263_346:
	s_or_b64 exec, exec, s[16:17]
	s_and_b64 s[0:1], s[18:19], exec
.LBB263_347:
	s_or_b64 exec, exec, s[14:15]
	s_xor_b64 s[0:1], s[0:1], -1
	s_andn2_b64 s[10:11], s[10:11], exec
	s_and_b64 s[0:1], s[0:1], exec
	s_or_b64 s[10:11], s[10:11], s[0:1]
.LBB263_348:
	s_or_b64 exec, exec, s[2:3]
	v_cndmask_b32_e64 v12, v68, v66, s[10:11]
	v_cndmask_b32_e64 v13, v98, v97, s[10:11]
	v_add_u32_e32 v16, 1, v12
	v_add_u32_e32 v12, -1, v13
	v_min_u32_e32 v12, v16, v12
	v_mov_b32_e32 v13, 0
	v_lshl_add_u64 v[14:15], v[12:13], 3, v[54:55]
	flat_load_dwordx2 v[14:15], v[14:15]
	v_cndmask_b32_e64 v23, v16, v68, s[10:11]
	s_mov_b64 s[2:3], -1
	v_cndmask_b32_e64 v66, v66, v16, s[10:11]
	v_cmp_lt_u32_e64 s[0:1], v23, v98
	s_mov_b64 s[14:15], -1
	s_waitcnt vmcnt(0) lgkmcnt(0)
	v_cndmask_b32_e64 v20, v15, v3, s[10:11]
	v_cndmask_b32_e64 v21, v14, v2, s[10:11]
	;; [unrolled: 1-line block ×4, first 2 shown]
	s_and_saveexec_b64 s[16:17], s[0:1]
	s_cbranch_execz .LBB263_358
; %bb.349:
	v_cmp_lt_u32_e64 s[0:1], v66, v97
	s_mov_b64 s[18:19], 0
	s_and_saveexec_b64 s[14:15], s[0:1]
	s_cbranch_execz .LBB263_357
; %bb.350:
	s_mov_b64 s[0:1], 0
	s_and_saveexec_b64 s[18:19], vcc
	s_cbranch_execz .LBB263_356
; %bb.351:
	v_mad_u64_u32 v[14:15], s[0:1], v68, v6, v[8:9]
	v_mul_lo_u32 v12, v68, v7
	v_mul_lo_u32 v16, v22, v6
	v_add3_u32 v15, v16, v15, v12
	v_mad_u64_u32 v[16:17], s[0:1], v21, v6, v[8:9]
	v_mul_lo_u32 v12, v21, v7
	v_mul_lo_u32 v18, v20, v6
	v_add3_u32 v17, v18, v17, v12
	s_mov_b64 s[20:21], 0
	v_mov_b64_e32 v[18:19], v[6:7]
                                        ; implicit-def: $sgpr22_sgpr23
                                        ; implicit-def: $sgpr24_sgpr25
                                        ; implicit-def: $sgpr26_sgpr27
                                        ; implicit-def: $sgpr28_sgpr29
                                        ; implicit-def: $sgpr0_sgpr1
	s_branch .LBB263_353
.LBB263_352:                            ;   in Loop: Header=BB263_353 Depth=1
	s_or_b64 exec, exec, s[30:31]
	s_and_b64 s[30:31], exec, s[24:25]
	s_or_b64 s[20:21], s[30:31], s[20:21]
	s_andn2_b64 s[0:1], s[0:1], exec
	s_and_b64 s[30:31], s[26:27], exec
	s_or_b64 s[0:1], s[0:1], s[30:31]
	s_andn2_b64 s[22:23], s[22:23], exec
	s_and_b64 s[30:31], s[28:29], exec
	s_or_b64 s[22:23], s[22:23], s[30:31]
	s_andn2_b64 exec, exec, s[20:21]
	s_cbranch_execz .LBB263_355
.LBB263_353:                            ; =>This Inner Loop Header: Depth=1
	flat_load_ubyte v12, v[16:17]
	flat_load_ubyte v67, v[14:15]
	s_andn2_b64 s[28:29], s[28:29], exec
	s_andn2_b64 s[26:27], s[26:27], exec
	s_or_b64 s[24:25], s[24:25], exec
	s_waitcnt vmcnt(0) lgkmcnt(0)
	v_cmp_le_i16_sdwa s[34:35], sext(v12), sext(v67) src0_sel:BYTE_0 src1_sel:BYTE_0
	v_cmp_lt_i16_sdwa s[30:31], sext(v12), sext(v67) src0_sel:BYTE_0 src1_sel:BYTE_0
	s_and_b64 s[34:35], s[34:35], s[0:1]
	s_or_b64 s[34:35], s[30:31], s[34:35]
	s_and_b64 s[30:31], s[34:35], exec
	v_cmp_eq_u16_sdwa s[36:37], v12, v67 src0_sel:BYTE_0 src1_sel:BYTE_0
	s_or_b64 s[28:29], s[28:29], s[30:31]
	s_and_saveexec_b64 s[30:31], s[36:37]
	s_cbranch_execz .LBB263_352
; %bb.354:                              ;   in Loop: Header=BB263_353 Depth=1
	v_lshl_add_u64 v[18:19], v[18:19], 0, -1
	v_cmp_eq_u64_e64 s[0:1], 0, v[18:19]
	s_andn2_b64 s[26:27], s[26:27], exec
	s_and_b64 s[34:35], s[34:35], exec
	s_andn2_b64 s[24:25], s[24:25], exec
	s_and_b64 s[0:1], s[0:1], exec
	v_lshl_add_u64 v[14:15], v[14:15], 0, 1
	v_lshl_add_u64 v[16:17], v[16:17], 0, 1
	s_andn2_b64 s[28:29], s[28:29], exec
	s_or_b64 s[26:27], s[26:27], s[34:35]
	s_or_b64 s[24:25], s[24:25], s[0:1]
                                        ; implicit-def: $sgpr0_sgpr1
	s_branch .LBB263_352
.LBB263_355:
	s_or_b64 exec, exec, s[20:21]
	s_and_b64 s[0:1], s[22:23], exec
.LBB263_356:
	s_or_b64 exec, exec, s[18:19]
	s_xor_b64 s[0:1], s[0:1], -1
	s_and_b64 s[18:19], s[0:1], exec
.LBB263_357:
	s_or_b64 exec, exec, s[14:15]
	s_orn2_b64 s[14:15], s[18:19], exec
.LBB263_358:
	s_or_b64 exec, exec, s[16:17]
	v_cndmask_b32_e64 v12, v23, v66, s[14:15]
	v_cndmask_b32_e64 v14, v98, v97, s[14:15]
	v_add_u32_e32 v15, 1, v12
	v_add_u32_e32 v12, -1, v14
	v_min_u32_e32 v12, v15, v12
	v_lshl_add_u64 v[12:13], v[12:13], 3, v[54:55]
	flat_load_dwordx2 v[12:13], v[12:13]
	v_cndmask_b32_e64 v18, v15, v23, s[14:15]
	v_cndmask_b32_e64 v19, v66, v15, s[14:15]
	v_cmp_lt_u32_e64 s[0:1], v18, v98
	s_waitcnt vmcnt(0) lgkmcnt(0)
	v_cndmask_b32_e64 v23, v13, v20, s[14:15]
	v_cndmask_b32_e64 v69, v12, v21, s[14:15]
	;; [unrolled: 1-line block ×4, first 2 shown]
	s_and_saveexec_b64 s[16:17], s[0:1]
	s_cbranch_execz .LBB263_368
; %bb.359:
	v_cmp_lt_u32_e64 s[0:1], v19, v97
	s_mov_b64 s[18:19], 0
	s_and_saveexec_b64 s[2:3], s[0:1]
	s_cbranch_execz .LBB263_367
; %bb.360:
	s_mov_b64 s[0:1], 0
	s_and_saveexec_b64 s[18:19], vcc
	s_cbranch_execz .LBB263_366
; %bb.361:
	v_mad_u64_u32 v[12:13], s[0:1], v71, v6, v[8:9]
	v_mul_lo_u32 v14, v71, v7
	v_mul_lo_u32 v15, v70, v6
	v_add3_u32 v13, v15, v13, v14
	v_mad_u64_u32 v[14:15], s[0:1], v69, v6, v[8:9]
	v_mul_lo_u32 v16, v69, v7
	v_mul_lo_u32 v17, v23, v6
	v_add3_u32 v15, v17, v15, v16
	s_mov_b64 s[20:21], 0
	v_mov_b64_e32 v[16:17], v[6:7]
                                        ; implicit-def: $sgpr22_sgpr23
                                        ; implicit-def: $sgpr24_sgpr25
                                        ; implicit-def: $sgpr26_sgpr27
                                        ; implicit-def: $sgpr28_sgpr29
                                        ; implicit-def: $sgpr0_sgpr1
	s_branch .LBB263_363
.LBB263_362:                            ;   in Loop: Header=BB263_363 Depth=1
	s_or_b64 exec, exec, s[30:31]
	s_and_b64 s[30:31], exec, s[24:25]
	s_or_b64 s[20:21], s[30:31], s[20:21]
	s_andn2_b64 s[0:1], s[0:1], exec
	s_and_b64 s[30:31], s[26:27], exec
	s_or_b64 s[0:1], s[0:1], s[30:31]
	s_andn2_b64 s[22:23], s[22:23], exec
	s_and_b64 s[30:31], s[28:29], exec
	s_or_b64 s[22:23], s[22:23], s[30:31]
	s_andn2_b64 exec, exec, s[20:21]
	s_cbranch_execz .LBB263_365
.LBB263_363:                            ; =>This Inner Loop Header: Depth=1
	flat_load_ubyte v66, v[14:15]
	flat_load_ubyte v67, v[12:13]
	s_andn2_b64 s[28:29], s[28:29], exec
	s_andn2_b64 s[26:27], s[26:27], exec
	s_or_b64 s[24:25], s[24:25], exec
	s_waitcnt vmcnt(0) lgkmcnt(0)
	v_cmp_le_i16_sdwa s[34:35], sext(v66), sext(v67) src0_sel:BYTE_0 src1_sel:BYTE_0
	v_cmp_lt_i16_sdwa s[30:31], sext(v66), sext(v67) src0_sel:BYTE_0 src1_sel:BYTE_0
	s_and_b64 s[34:35], s[34:35], s[0:1]
	s_or_b64 s[34:35], s[30:31], s[34:35]
	s_and_b64 s[30:31], s[34:35], exec
	v_cmp_eq_u16_sdwa s[36:37], v66, v67 src0_sel:BYTE_0 src1_sel:BYTE_0
	s_or_b64 s[28:29], s[28:29], s[30:31]
	s_and_saveexec_b64 s[30:31], s[36:37]
	s_cbranch_execz .LBB263_362
; %bb.364:                              ;   in Loop: Header=BB263_363 Depth=1
	v_lshl_add_u64 v[16:17], v[16:17], 0, -1
	v_cmp_eq_u64_e64 s[0:1], 0, v[16:17]
	s_andn2_b64 s[26:27], s[26:27], exec
	s_and_b64 s[34:35], s[34:35], exec
	s_andn2_b64 s[24:25], s[24:25], exec
	s_and_b64 s[0:1], s[0:1], exec
	v_lshl_add_u64 v[12:13], v[12:13], 0, 1
	v_lshl_add_u64 v[14:15], v[14:15], 0, 1
	s_andn2_b64 s[28:29], s[28:29], exec
	s_or_b64 s[26:27], s[26:27], s[34:35]
	s_or_b64 s[24:25], s[24:25], s[0:1]
                                        ; implicit-def: $sgpr0_sgpr1
	s_branch .LBB263_362
.LBB263_365:
	s_or_b64 exec, exec, s[20:21]
	s_and_b64 s[0:1], s[22:23], exec
.LBB263_366:
	s_or_b64 exec, exec, s[18:19]
	s_xor_b64 s[0:1], s[0:1], -1
	s_and_b64 s[18:19], s[0:1], exec
.LBB263_367:
	s_or_b64 exec, exec, s[2:3]
	s_orn2_b64 s[2:3], s[18:19], exec
.LBB263_368:
	s_or_b64 exec, exec, s[16:17]
	v_cndmask_b32_e64 v12, v18, v19, s[2:3]
	v_cndmask_b32_e64 v13, v98, v97, s[2:3]
	v_add_u32_e32 v16, 1, v12
	v_add_u32_e32 v12, -1, v13
	v_min_u32_e32 v12, v16, v12
	v_mov_b32_e32 v13, 0
	v_lshl_add_u64 v[14:15], v[12:13], 3, v[54:55]
	flat_load_dwordx2 v[14:15], v[14:15]
	v_cndmask_b32_e64 v66, v16, v18, s[2:3]
	s_mov_b64 s[16:17], -1
	v_cndmask_b32_e64 v67, v19, v16, s[2:3]
	v_cmp_lt_u32_e64 s[0:1], v66, v98
	s_mov_b64 s[18:19], -1
	s_waitcnt vmcnt(0) lgkmcnt(0)
	v_cndmask_b32_e64 v80, v15, v23, s[2:3]
	v_cndmask_b32_e64 v81, v14, v69, s[2:3]
	;; [unrolled: 1-line block ×4, first 2 shown]
	s_and_saveexec_b64 s[20:21], s[0:1]
	s_cbranch_execz .LBB263_378
; %bb.369:
	v_cmp_lt_u32_e64 s[0:1], v67, v97
	s_mov_b64 s[22:23], 0
	s_and_saveexec_b64 s[18:19], s[0:1]
	s_cbranch_execz .LBB263_377
; %bb.370:
	s_mov_b64 s[0:1], -1
	s_and_saveexec_b64 s[22:23], vcc
	s_cbranch_execz .LBB263_376
; %bb.371:
	v_mad_u64_u32 v[14:15], s[0:1], v83, v6, v[8:9]
	v_mul_lo_u32 v12, v83, v7
	v_mul_lo_u32 v16, v82, v6
	v_add3_u32 v15, v16, v15, v12
	v_mad_u64_u32 v[16:17], s[0:1], v81, v6, v[8:9]
	v_mul_lo_u32 v12, v81, v7
	v_mul_lo_u32 v18, v80, v6
	v_add3_u32 v17, v18, v17, v12
	s_mov_b64 s[24:25], 0
	v_mov_b64_e32 v[18:19], v[6:7]
                                        ; implicit-def: $sgpr26_sgpr27
                                        ; implicit-def: $sgpr28_sgpr29
                                        ; implicit-def: $sgpr34_sgpr35
                                        ; implicit-def: $sgpr30_sgpr31
                                        ; implicit-def: $sgpr0_sgpr1
	s_branch .LBB263_373
.LBB263_372:                            ;   in Loop: Header=BB263_373 Depth=1
	s_or_b64 exec, exec, s[36:37]
	s_and_b64 s[36:37], exec, s[28:29]
	s_or_b64 s[24:25], s[36:37], s[24:25]
	s_andn2_b64 s[0:1], s[0:1], exec
	s_and_b64 s[36:37], s[30:31], exec
	s_or_b64 s[0:1], s[0:1], s[36:37]
	s_andn2_b64 s[26:27], s[26:27], exec
	s_and_b64 s[36:37], s[34:35], exec
	s_or_b64 s[26:27], s[26:27], s[36:37]
	s_andn2_b64 exec, exec, s[24:25]
	s_cbranch_execz .LBB263_375
.LBB263_373:                            ; =>This Inner Loop Header: Depth=1
	flat_load_ubyte v12, v[16:17]
	flat_load_ubyte v84, v[14:15]
	s_andn2_b64 s[34:35], s[34:35], exec
	s_andn2_b64 s[30:31], s[30:31], exec
	s_or_b64 s[28:29], s[28:29], exec
	s_waitcnt vmcnt(0) lgkmcnt(0)
	v_cmp_le_i16_sdwa s[38:39], sext(v12), sext(v84) src0_sel:BYTE_0 src1_sel:BYTE_0
	v_cmp_lt_i16_sdwa s[36:37], sext(v12), sext(v84) src0_sel:BYTE_0 src1_sel:BYTE_0
	s_and_b64 s[38:39], s[38:39], s[0:1]
	s_or_b64 s[38:39], s[36:37], s[38:39]
	s_and_b64 s[36:37], s[38:39], exec
	v_cmp_eq_u16_sdwa s[40:41], v12, v84 src0_sel:BYTE_0 src1_sel:BYTE_0
	s_or_b64 s[34:35], s[34:35], s[36:37]
	s_and_saveexec_b64 s[36:37], s[40:41]
	s_cbranch_execz .LBB263_372
; %bb.374:                              ;   in Loop: Header=BB263_373 Depth=1
	v_lshl_add_u64 v[18:19], v[18:19], 0, -1
	v_cmp_eq_u64_e64 s[0:1], 0, v[18:19]
	s_andn2_b64 s[30:31], s[30:31], exec
	s_and_b64 s[38:39], s[38:39], exec
	s_andn2_b64 s[28:29], s[28:29], exec
	s_and_b64 s[0:1], s[0:1], exec
	v_lshl_add_u64 v[14:15], v[14:15], 0, 1
	v_lshl_add_u64 v[16:17], v[16:17], 0, 1
	s_or_b64 s[30:31], s[30:31], s[38:39]
	s_andn2_b64 s[34:35], s[34:35], exec
	s_or_b64 s[28:29], s[28:29], s[0:1]
                                        ; implicit-def: $sgpr0_sgpr1
	s_branch .LBB263_372
.LBB263_375:
	s_or_b64 exec, exec, s[24:25]
	s_xor_b64 s[0:1], s[26:27], -1
	s_orn2_b64 s[0:1], s[0:1], exec
.LBB263_376:
	s_or_b64 exec, exec, s[22:23]
	s_and_b64 s[22:23], s[0:1], exec
.LBB263_377:
	s_or_b64 exec, exec, s[18:19]
	s_orn2_b64 s[18:19], s[22:23], exec
.LBB263_378:
	s_or_b64 exec, exec, s[20:21]
	v_cndmask_b32_e64 v12, v66, v67, s[18:19]
	v_cndmask_b32_e64 v14, v98, v97, s[18:19]
	v_add_u32_e32 v15, 1, v12
	v_add_u32_e32 v12, -1, v14
	v_min_u32_e32 v12, v15, v12
	v_lshl_add_u64 v[12:13], v[12:13], 3, v[54:55]
	flat_load_dwordx2 v[12:13], v[12:13]
	v_cndmask_b32_e64 v18, v15, v66, s[18:19]
	v_cndmask_b32_e64 v19, v67, v15, s[18:19]
	v_cmp_lt_u32_e64 s[0:1], v18, v98
	s_waitcnt vmcnt(0) lgkmcnt(0)
	v_cndmask_b32_e64 v84, v13, v80, s[18:19]
	v_cndmask_b32_e64 v85, v12, v81, s[18:19]
	;; [unrolled: 1-line block ×4, first 2 shown]
	s_and_saveexec_b64 s[20:21], s[0:1]
	s_cbranch_execz .LBB263_388
; %bb.379:
	v_cmp_lt_u32_e64 s[0:1], v19, v97
	s_mov_b64 s[22:23], 0
	s_and_saveexec_b64 s[16:17], s[0:1]
	s_cbranch_execz .LBB263_387
; %bb.380:
	s_mov_b64 s[0:1], -1
	s_and_saveexec_b64 s[22:23], vcc
	s_cbranch_execz .LBB263_386
; %bb.381:
	v_mad_u64_u32 v[12:13], s[0:1], v87, v6, v[8:9]
	v_mul_lo_u32 v14, v87, v7
	v_mul_lo_u32 v15, v86, v6
	v_add3_u32 v13, v15, v13, v14
	v_mad_u64_u32 v[14:15], s[0:1], v85, v6, v[8:9]
	v_mul_lo_u32 v16, v85, v7
	v_mul_lo_u32 v17, v84, v6
	v_add3_u32 v15, v17, v15, v16
	s_mov_b64 s[24:25], 0
	v_mov_b64_e32 v[16:17], v[6:7]
                                        ; implicit-def: $sgpr26_sgpr27
                                        ; implicit-def: $sgpr28_sgpr29
                                        ; implicit-def: $sgpr34_sgpr35
                                        ; implicit-def: $sgpr30_sgpr31
                                        ; implicit-def: $sgpr0_sgpr1
	s_branch .LBB263_383
.LBB263_382:                            ;   in Loop: Header=BB263_383 Depth=1
	s_or_b64 exec, exec, s[36:37]
	s_and_b64 s[36:37], exec, s[28:29]
	s_or_b64 s[24:25], s[36:37], s[24:25]
	s_andn2_b64 s[0:1], s[0:1], exec
	s_and_b64 s[36:37], s[30:31], exec
	s_or_b64 s[0:1], s[0:1], s[36:37]
	s_andn2_b64 s[26:27], s[26:27], exec
	s_and_b64 s[36:37], s[34:35], exec
	s_or_b64 s[26:27], s[26:27], s[36:37]
	s_andn2_b64 exec, exec, s[24:25]
	s_cbranch_execz .LBB263_385
.LBB263_383:                            ; =>This Inner Loop Header: Depth=1
	flat_load_ubyte v66, v[14:15]
	flat_load_ubyte v67, v[12:13]
	s_andn2_b64 s[34:35], s[34:35], exec
	s_andn2_b64 s[30:31], s[30:31], exec
	s_or_b64 s[28:29], s[28:29], exec
	s_waitcnt vmcnt(0) lgkmcnt(0)
	v_cmp_le_i16_sdwa s[38:39], sext(v66), sext(v67) src0_sel:BYTE_0 src1_sel:BYTE_0
	v_cmp_lt_i16_sdwa s[36:37], sext(v66), sext(v67) src0_sel:BYTE_0 src1_sel:BYTE_0
	s_and_b64 s[38:39], s[38:39], s[0:1]
	s_or_b64 s[38:39], s[36:37], s[38:39]
	s_and_b64 s[36:37], s[38:39], exec
	v_cmp_eq_u16_sdwa s[40:41], v66, v67 src0_sel:BYTE_0 src1_sel:BYTE_0
	s_or_b64 s[34:35], s[34:35], s[36:37]
	s_and_saveexec_b64 s[36:37], s[40:41]
	s_cbranch_execz .LBB263_382
; %bb.384:                              ;   in Loop: Header=BB263_383 Depth=1
	v_lshl_add_u64 v[16:17], v[16:17], 0, -1
	v_cmp_eq_u64_e64 s[0:1], 0, v[16:17]
	s_andn2_b64 s[30:31], s[30:31], exec
	s_and_b64 s[38:39], s[38:39], exec
	s_andn2_b64 s[28:29], s[28:29], exec
	s_and_b64 s[0:1], s[0:1], exec
	v_lshl_add_u64 v[12:13], v[12:13], 0, 1
	v_lshl_add_u64 v[14:15], v[14:15], 0, 1
	s_or_b64 s[30:31], s[30:31], s[38:39]
	s_andn2_b64 s[34:35], s[34:35], exec
	s_or_b64 s[28:29], s[28:29], s[0:1]
                                        ; implicit-def: $sgpr0_sgpr1
	s_branch .LBB263_382
.LBB263_385:
	s_or_b64 exec, exec, s[24:25]
	s_xor_b64 s[0:1], s[26:27], -1
	s_orn2_b64 s[0:1], s[0:1], exec
.LBB263_386:
	s_or_b64 exec, exec, s[22:23]
	s_and_b64 s[22:23], s[0:1], exec
.LBB263_387:
	s_or_b64 exec, exec, s[16:17]
	s_orn2_b64 s[16:17], s[22:23], exec
.LBB263_388:
	s_or_b64 exec, exec, s[20:21]
	v_cndmask_b32_e64 v12, v18, v19, s[16:17]
	v_cndmask_b32_e64 v13, v98, v97, s[16:17]
	v_add_u32_e32 v16, 1, v12
	v_add_u32_e32 v12, -1, v13
	v_min_u32_e32 v12, v16, v12
	v_mov_b32_e32 v13, 0
	v_lshl_add_u64 v[14:15], v[12:13], 3, v[54:55]
	flat_load_dwordx2 v[14:15], v[14:15]
	v_cndmask_b32_e64 v66, v16, v18, s[16:17]
	s_mov_b64 s[20:21], -1
	v_cndmask_b32_e64 v67, v19, v16, s[16:17]
	v_cmp_lt_u32_e64 s[0:1], v66, v98
	s_mov_b64 s[22:23], -1
	s_waitcnt vmcnt(0) lgkmcnt(0)
	v_cndmask_b32_e64 v99, v15, v84, s[16:17]
	v_cndmask_b32_e64 v100, v14, v85, s[16:17]
	;; [unrolled: 1-line block ×4, first 2 shown]
	s_and_saveexec_b64 s[24:25], s[0:1]
	s_cbranch_execz .LBB263_398
; %bb.389:
	v_cmp_lt_u32_e64 s[0:1], v67, v97
	s_mov_b64 s[26:27], 0
	s_and_saveexec_b64 s[22:23], s[0:1]
	s_cbranch_execz .LBB263_397
; %bb.390:
	s_mov_b64 s[0:1], -1
	s_and_saveexec_b64 s[26:27], vcc
	s_cbranch_execz .LBB263_396
; %bb.391:
	v_mad_u64_u32 v[14:15], s[0:1], v102, v6, v[8:9]
	v_mul_lo_u32 v12, v102, v7
	v_mul_lo_u32 v16, v101, v6
	v_add3_u32 v15, v16, v15, v12
	v_mad_u64_u32 v[16:17], s[0:1], v100, v6, v[8:9]
	v_mul_lo_u32 v12, v100, v7
	v_mul_lo_u32 v18, v99, v6
	v_add3_u32 v17, v18, v17, v12
	s_mov_b64 s[28:29], 0
	v_mov_b64_e32 v[18:19], v[6:7]
                                        ; implicit-def: $sgpr30_sgpr31
                                        ; implicit-def: $sgpr34_sgpr35
                                        ; implicit-def: $sgpr38_sgpr39
                                        ; implicit-def: $sgpr36_sgpr37
                                        ; implicit-def: $sgpr0_sgpr1
	s_branch .LBB263_393
.LBB263_392:                            ;   in Loop: Header=BB263_393 Depth=1
	s_or_b64 exec, exec, s[40:41]
	s_and_b64 s[40:41], exec, s[34:35]
	s_or_b64 s[28:29], s[40:41], s[28:29]
	s_andn2_b64 s[0:1], s[0:1], exec
	s_and_b64 s[40:41], s[36:37], exec
	s_or_b64 s[0:1], s[0:1], s[40:41]
	s_andn2_b64 s[30:31], s[30:31], exec
	s_and_b64 s[40:41], s[38:39], exec
	s_or_b64 s[30:31], s[30:31], s[40:41]
	s_andn2_b64 exec, exec, s[28:29]
	s_cbranch_execz .LBB263_395
.LBB263_393:                            ; =>This Inner Loop Header: Depth=1
	flat_load_ubyte v12, v[16:17]
	flat_load_ubyte v103, v[14:15]
	s_andn2_b64 s[38:39], s[38:39], exec
	s_andn2_b64 s[36:37], s[36:37], exec
	s_or_b64 s[34:35], s[34:35], exec
	s_waitcnt vmcnt(0) lgkmcnt(0)
	v_cmp_le_i16_sdwa s[42:43], sext(v12), sext(v103) src0_sel:BYTE_0 src1_sel:BYTE_0
	v_cmp_lt_i16_sdwa s[40:41], sext(v12), sext(v103) src0_sel:BYTE_0 src1_sel:BYTE_0
	s_and_b64 s[42:43], s[42:43], s[0:1]
	s_or_b64 s[42:43], s[40:41], s[42:43]
	s_and_b64 s[40:41], s[42:43], exec
	v_cmp_eq_u16_sdwa s[44:45], v12, v103 src0_sel:BYTE_0 src1_sel:BYTE_0
	s_or_b64 s[38:39], s[38:39], s[40:41]
	s_and_saveexec_b64 s[40:41], s[44:45]
	s_cbranch_execz .LBB263_392
; %bb.394:                              ;   in Loop: Header=BB263_393 Depth=1
	v_lshl_add_u64 v[18:19], v[18:19], 0, -1
	v_cmp_eq_u64_e64 s[0:1], 0, v[18:19]
	s_andn2_b64 s[36:37], s[36:37], exec
	s_and_b64 s[42:43], s[42:43], exec
	s_andn2_b64 s[34:35], s[34:35], exec
	s_and_b64 s[0:1], s[0:1], exec
	v_lshl_add_u64 v[14:15], v[14:15], 0, 1
	v_lshl_add_u64 v[16:17], v[16:17], 0, 1
	s_or_b64 s[36:37], s[36:37], s[42:43]
	s_andn2_b64 s[38:39], s[38:39], exec
	s_or_b64 s[34:35], s[34:35], s[0:1]
                                        ; implicit-def: $sgpr0_sgpr1
	s_branch .LBB263_392
.LBB263_395:
	s_or_b64 exec, exec, s[28:29]
	s_xor_b64 s[0:1], s[30:31], -1
	s_orn2_b64 s[0:1], s[0:1], exec
.LBB263_396:
	s_or_b64 exec, exec, s[26:27]
	s_and_b64 s[26:27], s[0:1], exec
.LBB263_397:
	s_or_b64 exec, exec, s[22:23]
	s_orn2_b64 s[22:23], s[26:27], exec
.LBB263_398:
	s_or_b64 exec, exec, s[24:25]
	v_cndmask_b32_e64 v12, v66, v67, s[22:23]
	v_cndmask_b32_e64 v14, v98, v97, s[22:23]
	v_add_u32_e32 v15, 1, v12
	v_add_u32_e32 v12, -1, v14
	v_min_u32_e32 v12, v15, v12
	v_lshl_add_u64 v[12:13], v[12:13], 3, v[54:55]
	flat_load_dwordx2 v[12:13], v[12:13]
	v_cndmask_b32_e64 v114, v15, v66, s[22:23]
	v_cndmask_b32_e64 v103, v67, v15, s[22:23]
	v_cmp_lt_u32_e64 s[0:1], v114, v98
	s_waitcnt vmcnt(0) lgkmcnt(0)
	v_cndmask_b32_e64 v112, v13, v99, s[22:23]
	v_cndmask_b32_e64 v113, v12, v100, s[22:23]
	;; [unrolled: 1-line block ×4, first 2 shown]
	s_and_saveexec_b64 s[24:25], s[0:1]
	s_cbranch_execz .LBB263_408
; %bb.399:
	v_cmp_lt_u32_e64 s[0:1], v103, v97
	s_mov_b64 s[26:27], 0
	s_and_saveexec_b64 s[20:21], s[0:1]
	s_cbranch_execz .LBB263_407
; %bb.400:
	s_mov_b64 s[0:1], -1
	s_and_saveexec_b64 s[26:27], vcc
	s_cbranch_execz .LBB263_406
; %bb.401:
	v_mad_u64_u32 v[12:13], s[0:1], v116, v6, v[8:9]
	v_mul_lo_u32 v14, v116, v7
	v_mul_lo_u32 v15, v115, v6
	v_add3_u32 v13, v15, v13, v14
	v_mad_u64_u32 v[14:15], s[0:1], v113, v6, v[8:9]
	v_mul_lo_u32 v16, v113, v7
	v_mul_lo_u32 v17, v112, v6
	v_add3_u32 v15, v17, v15, v16
	s_mov_b64 s[28:29], 0
	v_mov_b64_e32 v[16:17], v[6:7]
                                        ; implicit-def: $sgpr30_sgpr31
                                        ; implicit-def: $sgpr34_sgpr35
                                        ; implicit-def: $sgpr38_sgpr39
                                        ; implicit-def: $sgpr36_sgpr37
                                        ; implicit-def: $sgpr0_sgpr1
	s_branch .LBB263_403
.LBB263_402:                            ;   in Loop: Header=BB263_403 Depth=1
	s_or_b64 exec, exec, s[40:41]
	s_and_b64 s[40:41], exec, s[34:35]
	s_or_b64 s[28:29], s[40:41], s[28:29]
	s_andn2_b64 s[0:1], s[0:1], exec
	s_and_b64 s[40:41], s[36:37], exec
	s_or_b64 s[0:1], s[0:1], s[40:41]
	s_andn2_b64 s[30:31], s[30:31], exec
	s_and_b64 s[40:41], s[38:39], exec
	s_or_b64 s[30:31], s[30:31], s[40:41]
	s_andn2_b64 exec, exec, s[28:29]
	s_cbranch_execz .LBB263_405
.LBB263_403:                            ; =>This Inner Loop Header: Depth=1
	flat_load_ubyte v18, v[14:15]
	flat_load_ubyte v19, v[12:13]
	s_andn2_b64 s[38:39], s[38:39], exec
	s_andn2_b64 s[36:37], s[36:37], exec
	s_or_b64 s[34:35], s[34:35], exec
	s_waitcnt vmcnt(0) lgkmcnt(0)
	v_cmp_le_i16_sdwa s[42:43], sext(v18), sext(v19) src0_sel:BYTE_0 src1_sel:BYTE_0
	v_cmp_lt_i16_sdwa s[40:41], sext(v18), sext(v19) src0_sel:BYTE_0 src1_sel:BYTE_0
	s_and_b64 s[42:43], s[42:43], s[0:1]
	s_or_b64 s[42:43], s[40:41], s[42:43]
	s_and_b64 s[40:41], s[42:43], exec
	v_cmp_eq_u16_sdwa s[44:45], v18, v19 src0_sel:BYTE_0 src1_sel:BYTE_0
	s_or_b64 s[38:39], s[38:39], s[40:41]
	s_and_saveexec_b64 s[40:41], s[44:45]
	s_cbranch_execz .LBB263_402
; %bb.404:                              ;   in Loop: Header=BB263_403 Depth=1
	v_lshl_add_u64 v[16:17], v[16:17], 0, -1
	v_cmp_eq_u64_e64 s[0:1], 0, v[16:17]
	s_andn2_b64 s[36:37], s[36:37], exec
	s_and_b64 s[42:43], s[42:43], exec
	s_andn2_b64 s[34:35], s[34:35], exec
	s_and_b64 s[0:1], s[0:1], exec
	v_lshl_add_u64 v[12:13], v[12:13], 0, 1
	v_lshl_add_u64 v[14:15], v[14:15], 0, 1
	s_or_b64 s[36:37], s[36:37], s[42:43]
	s_andn2_b64 s[38:39], s[38:39], exec
	s_or_b64 s[34:35], s[34:35], s[0:1]
                                        ; implicit-def: $sgpr0_sgpr1
	s_branch .LBB263_402
.LBB263_405:
	s_or_b64 exec, exec, s[28:29]
	s_xor_b64 s[0:1], s[30:31], -1
	s_orn2_b64 s[0:1], s[0:1], exec
.LBB263_406:
	s_or_b64 exec, exec, s[26:27]
	s_and_b64 s[26:27], s[0:1], exec
.LBB263_407:
	s_or_b64 exec, exec, s[20:21]
	s_orn2_b64 s[20:21], s[26:27], exec
.LBB263_408:
	s_or_b64 exec, exec, s[24:25]
	v_cndmask_b32_e64 v12, v114, v103, s[20:21]
	v_cndmask_b32_e64 v13, v98, v97, s[20:21]
	v_add_u32_e32 v117, 1, v12
	v_add_u32_e32 v12, -1, v13
	v_min_u32_e32 v12, v117, v12
	v_mov_b32_e32 v13, 0
	v_lshl_add_u64 v[12:13], v[12:13], 3, v[54:55]
	flat_load_dwordx2 v[66:67], v[12:13]
	v_cndmask_b32_e64 v17, v23, v70, s[2:3]
	v_cndmask_b32_e64 v23, v20, v22, s[14:15]
	;; [unrolled: 1-line block ×15, first 2 shown]
	v_cmp_lt_u32_e64 s[0:1], v68, v98
	s_waitcnt vmcnt(0) lgkmcnt(0)
	v_cndmask_b32_e64 v3, v115, v67, s[20:21]
	v_cndmask_b32_e64 v2, v116, v66, s[20:21]
	s_and_saveexec_b64 s[2:3], s[0:1]
	s_cbranch_execz .LBB263_418
; %bb.409:
	v_cndmask_b32_e64 v68, v103, v117, s[20:21]
	v_cndmask_b32_e64 v67, v67, v112, s[20:21]
	;; [unrolled: 1-line block ×3, first 2 shown]
	v_cmp_lt_u32_e64 s[0:1], v68, v97
	s_and_saveexec_b64 s[10:11], s[0:1]
	s_cbranch_execz .LBB263_417
; %bb.410:
	s_and_saveexec_b64 s[14:15], vcc
	s_cbranch_execz .LBB263_416
; %bb.411:
	v_mad_u64_u32 v[68:69], s[0:1], v2, v6, v[8:9]
	v_mul_lo_u32 v70, v2, v7
	v_mul_lo_u32 v71, v3, v6
	v_add3_u32 v69, v71, v69, v70
	v_mad_u64_u32 v[70:71], s[0:1], v66, v6, v[8:9]
	v_mul_lo_u32 v80, v66, v7
	v_mul_lo_u32 v81, v67, v6
	v_add3_u32 v71, v81, v71, v80
	s_mov_b64 s[16:17], 0
	v_mov_b64_e32 v[80:81], v[6:7]
                                        ; implicit-def: $sgpr18_sgpr19
                                        ; implicit-def: $sgpr20_sgpr21
                                        ; implicit-def: $sgpr24_sgpr25
                                        ; implicit-def: $sgpr22_sgpr23
                                        ; implicit-def: $sgpr0_sgpr1
	s_branch .LBB263_413
.LBB263_412:                            ;   in Loop: Header=BB263_413 Depth=1
	s_or_b64 exec, exec, s[26:27]
	s_and_b64 s[26:27], exec, s[20:21]
	s_or_b64 s[16:17], s[26:27], s[16:17]
	s_andn2_b64 s[0:1], s[0:1], exec
	s_and_b64 s[26:27], s[22:23], exec
	s_or_b64 s[0:1], s[0:1], s[26:27]
	s_andn2_b64 s[18:19], s[18:19], exec
	s_and_b64 s[26:27], s[24:25], exec
	s_or_b64 s[18:19], s[18:19], s[26:27]
	s_andn2_b64 exec, exec, s[16:17]
	s_cbranch_execz .LBB263_415
.LBB263_413:                            ; =>This Inner Loop Header: Depth=1
	flat_load_ubyte v82, v[70:71]
	flat_load_ubyte v83, v[68:69]
	s_andn2_b64 s[24:25], s[24:25], exec
	s_andn2_b64 s[22:23], s[22:23], exec
	s_or_b64 s[20:21], s[20:21], exec
	s_waitcnt vmcnt(0) lgkmcnt(0)
	v_cmp_le_i16_sdwa s[28:29], sext(v82), sext(v83) src0_sel:BYTE_0 src1_sel:BYTE_0
	v_cmp_lt_i16_sdwa s[26:27], sext(v82), sext(v83) src0_sel:BYTE_0 src1_sel:BYTE_0
	s_and_b64 s[28:29], s[28:29], s[0:1]
	s_or_b64 s[28:29], s[26:27], s[28:29]
	s_and_b64 s[26:27], s[28:29], exec
	v_cmp_eq_u16_sdwa s[30:31], v82, v83 src0_sel:BYTE_0 src1_sel:BYTE_0
	s_or_b64 s[24:25], s[24:25], s[26:27]
	s_and_saveexec_b64 s[26:27], s[30:31]
	s_cbranch_execz .LBB263_412
; %bb.414:                              ;   in Loop: Header=BB263_413 Depth=1
	v_lshl_add_u64 v[80:81], v[80:81], 0, -1
	v_cmp_eq_u64_e64 s[0:1], 0, v[80:81]
	s_andn2_b64 s[22:23], s[22:23], exec
	s_and_b64 s[28:29], s[28:29], exec
	s_andn2_b64 s[20:21], s[20:21], exec
	s_and_b64 s[0:1], s[0:1], exec
	v_lshl_add_u64 v[68:69], v[68:69], 0, 1
	v_lshl_add_u64 v[70:71], v[70:71], 0, 1
	s_or_b64 s[22:23], s[22:23], s[28:29]
	s_andn2_b64 s[24:25], s[24:25], exec
	s_or_b64 s[20:21], s[20:21], s[0:1]
                                        ; implicit-def: $sgpr0_sgpr1
	s_branch .LBB263_412
.LBB263_415:
	s_or_b64 exec, exec, s[16:17]
	v_cndmask_b32_e64 v3, v3, v67, s[18:19]
	v_cndmask_b32_e64 v2, v2, v66, s[18:19]
.LBB263_416:
	s_or_b64 exec, exec, s[14:15]
	v_mov_b64_e32 v[66:67], v[2:3]
.LBB263_417:
	s_or_b64 exec, exec, s[10:11]
	v_mov_b64_e32 v[2:3], v[66:67]
.LBB263_418:
	s_or_b64 exec, exec, s[2:3]
.LBB263_419:
	s_or_b64 exec, exec, s[6:7]
	v_and_b32_e32 v99, 0x3c0, v96
	v_or_b32_e32 v66, 32, v99
	v_min_u32_e32 v97, v31, v66
	v_add_u32_e32 v66, 32, v97
	v_min_u32_e32 v98, v31, v66
	v_and_b32_e32 v66, 56, v96
	v_min_u32_e32 v100, v31, v66
	v_sub_u32_e32 v66, v97, v99
	v_sub_u32_e32 v67, v98, v97
	v_sub_u32_e64 v101, v100, v67 clamp
	v_min_u32_e32 v102, v100, v66
	v_cmp_lt_u32_e64 s[0:1], v101, v102
	; wave barrier
	flat_store_dwordx4 v[64:65], v[20:23]
	flat_store_dwordx4 v[64:65], v[16:19] offset:16
	flat_store_dwordx4 v[64:65], v[12:15] offset:32
	;; [unrolled: 1-line block ×3, first 2 shown]
	; wave barrier
	s_and_saveexec_b64 s[2:3], s[0:1]
	s_cbranch_execz .LBB263_429
; %bb.420:
	v_lshlrev_b32_e32 v66, 3, v99
	v_mov_b32_e32 v67, 0
	v_lshl_add_u64 v[68:69], v[54:55], 0, v[66:67]
	v_lshlrev_b32_e32 v66, 3, v97
	v_lshl_add_u64 v[70:71], v[54:55], 0, v[66:67]
	s_mov_b64 s[6:7], 0
	s_branch .LBB263_423
.LBB263_421:                            ;   in Loop: Header=BB263_423 Depth=1
	s_or_b64 exec, exec, s[14:15]
	s_and_b64 s[0:1], s[16:17], exec
.LBB263_422:                            ;   in Loop: Header=BB263_423 Depth=1
	s_or_b64 exec, exec, s[10:11]
	v_add_u32_e32 v66, 1, v80
	v_cndmask_b32_e64 v102, v102, v80, s[0:1]
	v_cndmask_b32_e64 v101, v66, v101, s[0:1]
	v_cmp_ge_u32_e64 s[0:1], v101, v102
	s_or_b64 s[6:7], s[0:1], s[6:7]
	s_andn2_b64 exec, exec, s[6:7]
	s_cbranch_execz .LBB263_428
.LBB263_423:                            ; =>This Loop Header: Depth=1
                                        ;     Child Loop BB263_426 Depth 2
	v_add_u32_e32 v66, v102, v101
	v_lshrrev_b32_e32 v80, 1, v66
	s_mov_b64 s[0:1], 0
	s_and_saveexec_b64 s[10:11], vcc
	s_cbranch_execz .LBB263_422
; %bb.424:                              ;   in Loop: Header=BB263_423 Depth=1
	v_mov_b32_e32 v81, v67
	v_xad_u32 v66, v80, -1, v100
	v_lshl_add_u64 v[82:83], v[80:81], 3, v[68:69]
	v_lshl_add_u64 v[84:85], v[66:67], 3, v[70:71]
	flat_load_dwordx2 v[82:83], v[82:83]
	s_mov_b64 s[14:15], 0
	flat_load_dwordx2 v[84:85], v[84:85]
                                        ; implicit-def: $sgpr16_sgpr17
                                        ; implicit-def: $sgpr18_sgpr19
                                        ; implicit-def: $sgpr20_sgpr21
                                        ; implicit-def: $sgpr22_sgpr23
                                        ; implicit-def: $sgpr0_sgpr1
	s_waitcnt vmcnt(0) lgkmcnt(0)
	v_mul_lo_u32 v66, v82, v7
	v_mul_lo_u32 v81, v83, v6
	v_mad_u64_u32 v[82:83], s[24:25], v82, v6, v[8:9]
	v_mul_lo_u32 v86, v84, v7
	v_mul_lo_u32 v87, v85, v6
	v_mad_u64_u32 v[84:85], s[24:25], v84, v6, v[8:9]
	v_add3_u32 v83, v81, v83, v66
	v_add3_u32 v85, v87, v85, v86
	v_mov_b64_e32 v[86:87], v[6:7]
	s_branch .LBB263_426
.LBB263_425:                            ;   in Loop: Header=BB263_426 Depth=2
	s_or_b64 exec, exec, s[24:25]
	s_and_b64 s[24:25], exec, s[18:19]
	s_or_b64 s[14:15], s[24:25], s[14:15]
	s_andn2_b64 s[0:1], s[0:1], exec
	s_and_b64 s[24:25], s[20:21], exec
	s_or_b64 s[0:1], s[0:1], s[24:25]
	s_andn2_b64 s[16:17], s[16:17], exec
	s_and_b64 s[24:25], s[22:23], exec
	s_or_b64 s[16:17], s[16:17], s[24:25]
	s_andn2_b64 exec, exec, s[14:15]
	s_cbranch_execz .LBB263_421
.LBB263_426:                            ;   Parent Loop BB263_423 Depth=1
                                        ; =>  This Inner Loop Header: Depth=2
	flat_load_ubyte v66, v[84:85]
	flat_load_ubyte v81, v[82:83]
	s_andn2_b64 s[22:23], s[22:23], exec
	s_andn2_b64 s[20:21], s[20:21], exec
	s_or_b64 s[18:19], s[18:19], exec
	s_waitcnt vmcnt(0) lgkmcnt(0)
	v_cmp_le_i16_sdwa s[26:27], sext(v66), sext(v81) src0_sel:BYTE_0 src1_sel:BYTE_0
	v_cmp_lt_i16_sdwa s[24:25], sext(v66), sext(v81) src0_sel:BYTE_0 src1_sel:BYTE_0
	s_and_b64 s[26:27], s[26:27], s[0:1]
	s_or_b64 s[26:27], s[24:25], s[26:27]
	s_and_b64 s[24:25], s[26:27], exec
	v_cmp_eq_u16_sdwa s[28:29], v66, v81 src0_sel:BYTE_0 src1_sel:BYTE_0
	s_or_b64 s[22:23], s[22:23], s[24:25]
	s_and_saveexec_b64 s[24:25], s[28:29]
	s_cbranch_execz .LBB263_425
; %bb.427:                              ;   in Loop: Header=BB263_426 Depth=2
	v_lshl_add_u64 v[86:87], v[86:87], 0, -1
	v_cmp_eq_u64_e64 s[0:1], 0, v[86:87]
	s_andn2_b64 s[20:21], s[20:21], exec
	s_and_b64 s[26:27], s[26:27], exec
	s_andn2_b64 s[18:19], s[18:19], exec
	s_and_b64 s[0:1], s[0:1], exec
	v_lshl_add_u64 v[82:83], v[82:83], 0, 1
	v_lshl_add_u64 v[84:85], v[84:85], 0, 1
	s_andn2_b64 s[22:23], s[22:23], exec
	s_or_b64 s[20:21], s[20:21], s[26:27]
	s_or_b64 s[18:19], s[18:19], s[0:1]
                                        ; implicit-def: $sgpr0_sgpr1
	s_branch .LBB263_425
.LBB263_428:
	s_or_b64 exec, exec, s[6:7]
.LBB263_429:
	s_or_b64 exec, exec, s[2:3]
	v_add_u32_e32 v67, v97, v100
	v_add_u32_e32 v66, v101, v99
	v_sub_u32_e32 v68, v67, v101
	v_cmp_le_u32_e64 s[0:1], v66, v97
	v_cmp_le_u32_e64 s[2:3], v68, v98
	s_or_b64 s[0:1], s[0:1], s[2:3]
	s_and_saveexec_b64 s[6:7], s[0:1]
	s_cbranch_execz .LBB263_513
; %bb.430:
	v_cmp_ge_u32_e64 s[0:1], v66, v97
	v_cmp_lt_u32_e64 s[2:3], v66, v97
                                        ; implicit-def: $vgpr0_vgpr1
	s_and_saveexec_b64 s[10:11], s[2:3]
	s_cbranch_execz .LBB263_432
; %bb.431:
	v_mov_b32_e32 v67, 0
	v_lshl_add_u64 v[0:1], v[66:67], 3, v[54:55]
	flat_load_dwordx2 v[0:1], v[0:1]
.LBB263_432:
	s_or_b64 exec, exec, s[10:11]
	v_cmp_ge_u32_e64 s[10:11], v68, v98
	v_cmp_lt_u32_e64 s[2:3], v68, v98
                                        ; implicit-def: $vgpr2_vgpr3
	s_and_saveexec_b64 s[14:15], s[2:3]
	s_cbranch_execz .LBB263_434
; %bb.433:
	v_mov_b32_e32 v69, 0
	v_lshl_add_u64 v[2:3], v[68:69], 3, v[54:55]
	flat_load_dwordx2 v[2:3], v[2:3]
.LBB263_434:
	s_or_b64 exec, exec, s[14:15]
	s_or_b64 s[0:1], s[0:1], s[10:11]
	s_xor_b64 s[0:1], s[0:1], -1
	s_and_saveexec_b64 s[2:3], s[0:1]
	s_cbranch_execz .LBB263_442
; %bb.435:
	s_mov_b64 s[0:1], 0
	s_and_saveexec_b64 s[14:15], vcc
	s_cbranch_execz .LBB263_441
; %bb.436:
	s_waitcnt vmcnt(0) lgkmcnt(0)
	v_mad_u64_u32 v[12:13], s[0:1], v0, v6, v[8:9]
	v_mul_lo_u32 v14, v0, v7
	v_mul_lo_u32 v15, v1, v6
	v_add3_u32 v13, v15, v13, v14
	v_mad_u64_u32 v[14:15], s[0:1], v2, v6, v[8:9]
	v_mul_lo_u32 v16, v2, v7
	v_mul_lo_u32 v17, v3, v6
	v_add3_u32 v15, v17, v15, v16
	s_mov_b64 s[16:17], 0
	v_mov_b64_e32 v[16:17], v[6:7]
                                        ; implicit-def: $sgpr18_sgpr19
                                        ; implicit-def: $sgpr20_sgpr21
                                        ; implicit-def: $sgpr22_sgpr23
                                        ; implicit-def: $sgpr24_sgpr25
                                        ; implicit-def: $sgpr0_sgpr1
	s_branch .LBB263_438
.LBB263_437:                            ;   in Loop: Header=BB263_438 Depth=1
	s_or_b64 exec, exec, s[26:27]
	s_and_b64 s[26:27], exec, s[20:21]
	s_or_b64 s[16:17], s[26:27], s[16:17]
	s_andn2_b64 s[0:1], s[0:1], exec
	s_and_b64 s[26:27], s[22:23], exec
	s_or_b64 s[0:1], s[0:1], s[26:27]
	s_andn2_b64 s[18:19], s[18:19], exec
	s_and_b64 s[26:27], s[24:25], exec
	s_or_b64 s[18:19], s[18:19], s[26:27]
	s_andn2_b64 exec, exec, s[16:17]
	s_cbranch_execz .LBB263_440
.LBB263_438:                            ; =>This Inner Loop Header: Depth=1
	flat_load_ubyte v18, v[14:15]
	flat_load_ubyte v19, v[12:13]
	s_andn2_b64 s[24:25], s[24:25], exec
	s_andn2_b64 s[22:23], s[22:23], exec
	s_or_b64 s[20:21], s[20:21], exec
	s_waitcnt vmcnt(0) lgkmcnt(0)
	v_cmp_le_i16_sdwa s[28:29], sext(v18), sext(v19) src0_sel:BYTE_0 src1_sel:BYTE_0
	v_cmp_lt_i16_sdwa s[26:27], sext(v18), sext(v19) src0_sel:BYTE_0 src1_sel:BYTE_0
	s_and_b64 s[28:29], s[28:29], s[0:1]
	s_or_b64 s[28:29], s[26:27], s[28:29]
	s_and_b64 s[26:27], s[28:29], exec
	v_cmp_eq_u16_sdwa s[30:31], v18, v19 src0_sel:BYTE_0 src1_sel:BYTE_0
	s_or_b64 s[24:25], s[24:25], s[26:27]
	s_and_saveexec_b64 s[26:27], s[30:31]
	s_cbranch_execz .LBB263_437
; %bb.439:                              ;   in Loop: Header=BB263_438 Depth=1
	v_lshl_add_u64 v[16:17], v[16:17], 0, -1
	v_cmp_eq_u64_e64 s[0:1], 0, v[16:17]
	s_andn2_b64 s[22:23], s[22:23], exec
	s_and_b64 s[28:29], s[28:29], exec
	s_andn2_b64 s[20:21], s[20:21], exec
	s_and_b64 s[0:1], s[0:1], exec
	v_lshl_add_u64 v[12:13], v[12:13], 0, 1
	v_lshl_add_u64 v[14:15], v[14:15], 0, 1
	s_andn2_b64 s[24:25], s[24:25], exec
	s_or_b64 s[22:23], s[22:23], s[28:29]
	s_or_b64 s[20:21], s[20:21], s[0:1]
                                        ; implicit-def: $sgpr0_sgpr1
	s_branch .LBB263_437
.LBB263_440:
	s_or_b64 exec, exec, s[16:17]
	s_and_b64 s[0:1], s[18:19], exec
.LBB263_441:
	s_or_b64 exec, exec, s[14:15]
	s_xor_b64 s[0:1], s[0:1], -1
	s_andn2_b64 s[10:11], s[10:11], exec
	s_and_b64 s[0:1], s[0:1], exec
	s_or_b64 s[10:11], s[10:11], s[0:1]
.LBB263_442:
	s_or_b64 exec, exec, s[2:3]
	v_cndmask_b32_e64 v12, v68, v66, s[10:11]
	v_cndmask_b32_e64 v13, v98, v97, s[10:11]
	v_add_u32_e32 v16, 1, v12
	v_add_u32_e32 v12, -1, v13
	v_min_u32_e32 v12, v16, v12
	v_mov_b32_e32 v13, 0
	v_lshl_add_u64 v[14:15], v[12:13], 3, v[54:55]
	flat_load_dwordx2 v[14:15], v[14:15]
	v_cndmask_b32_e64 v23, v16, v68, s[10:11]
	s_mov_b64 s[2:3], -1
	v_cndmask_b32_e64 v66, v66, v16, s[10:11]
	v_cmp_lt_u32_e64 s[0:1], v23, v98
	s_mov_b64 s[14:15], -1
	s_waitcnt vmcnt(0) lgkmcnt(0)
	v_cndmask_b32_e64 v20, v15, v3, s[10:11]
	v_cndmask_b32_e64 v21, v14, v2, s[10:11]
	;; [unrolled: 1-line block ×4, first 2 shown]
	s_and_saveexec_b64 s[16:17], s[0:1]
	s_cbranch_execz .LBB263_452
; %bb.443:
	v_cmp_lt_u32_e64 s[0:1], v66, v97
	s_mov_b64 s[18:19], 0
	s_and_saveexec_b64 s[14:15], s[0:1]
	s_cbranch_execz .LBB263_451
; %bb.444:
	s_mov_b64 s[0:1], 0
	s_and_saveexec_b64 s[18:19], vcc
	s_cbranch_execz .LBB263_450
; %bb.445:
	v_mad_u64_u32 v[14:15], s[0:1], v68, v6, v[8:9]
	v_mul_lo_u32 v12, v68, v7
	v_mul_lo_u32 v16, v22, v6
	v_add3_u32 v15, v16, v15, v12
	v_mad_u64_u32 v[16:17], s[0:1], v21, v6, v[8:9]
	v_mul_lo_u32 v12, v21, v7
	v_mul_lo_u32 v18, v20, v6
	v_add3_u32 v17, v18, v17, v12
	s_mov_b64 s[20:21], 0
	v_mov_b64_e32 v[18:19], v[6:7]
                                        ; implicit-def: $sgpr22_sgpr23
                                        ; implicit-def: $sgpr24_sgpr25
                                        ; implicit-def: $sgpr26_sgpr27
                                        ; implicit-def: $sgpr28_sgpr29
                                        ; implicit-def: $sgpr0_sgpr1
	s_branch .LBB263_447
.LBB263_446:                            ;   in Loop: Header=BB263_447 Depth=1
	s_or_b64 exec, exec, s[30:31]
	s_and_b64 s[30:31], exec, s[24:25]
	s_or_b64 s[20:21], s[30:31], s[20:21]
	s_andn2_b64 s[0:1], s[0:1], exec
	s_and_b64 s[30:31], s[26:27], exec
	s_or_b64 s[0:1], s[0:1], s[30:31]
	s_andn2_b64 s[22:23], s[22:23], exec
	s_and_b64 s[30:31], s[28:29], exec
	s_or_b64 s[22:23], s[22:23], s[30:31]
	s_andn2_b64 exec, exec, s[20:21]
	s_cbranch_execz .LBB263_449
.LBB263_447:                            ; =>This Inner Loop Header: Depth=1
	flat_load_ubyte v12, v[16:17]
	flat_load_ubyte v67, v[14:15]
	s_andn2_b64 s[28:29], s[28:29], exec
	s_andn2_b64 s[26:27], s[26:27], exec
	s_or_b64 s[24:25], s[24:25], exec
	s_waitcnt vmcnt(0) lgkmcnt(0)
	v_cmp_le_i16_sdwa s[34:35], sext(v12), sext(v67) src0_sel:BYTE_0 src1_sel:BYTE_0
	v_cmp_lt_i16_sdwa s[30:31], sext(v12), sext(v67) src0_sel:BYTE_0 src1_sel:BYTE_0
	s_and_b64 s[34:35], s[34:35], s[0:1]
	s_or_b64 s[34:35], s[30:31], s[34:35]
	s_and_b64 s[30:31], s[34:35], exec
	v_cmp_eq_u16_sdwa s[36:37], v12, v67 src0_sel:BYTE_0 src1_sel:BYTE_0
	s_or_b64 s[28:29], s[28:29], s[30:31]
	s_and_saveexec_b64 s[30:31], s[36:37]
	s_cbranch_execz .LBB263_446
; %bb.448:                              ;   in Loop: Header=BB263_447 Depth=1
	v_lshl_add_u64 v[18:19], v[18:19], 0, -1
	v_cmp_eq_u64_e64 s[0:1], 0, v[18:19]
	s_andn2_b64 s[26:27], s[26:27], exec
	s_and_b64 s[34:35], s[34:35], exec
	s_andn2_b64 s[24:25], s[24:25], exec
	s_and_b64 s[0:1], s[0:1], exec
	v_lshl_add_u64 v[14:15], v[14:15], 0, 1
	v_lshl_add_u64 v[16:17], v[16:17], 0, 1
	s_andn2_b64 s[28:29], s[28:29], exec
	s_or_b64 s[26:27], s[26:27], s[34:35]
	s_or_b64 s[24:25], s[24:25], s[0:1]
                                        ; implicit-def: $sgpr0_sgpr1
	s_branch .LBB263_446
.LBB263_449:
	s_or_b64 exec, exec, s[20:21]
	s_and_b64 s[0:1], s[22:23], exec
.LBB263_450:
	s_or_b64 exec, exec, s[18:19]
	s_xor_b64 s[0:1], s[0:1], -1
	s_and_b64 s[18:19], s[0:1], exec
.LBB263_451:
	s_or_b64 exec, exec, s[14:15]
	s_orn2_b64 s[14:15], s[18:19], exec
.LBB263_452:
	s_or_b64 exec, exec, s[16:17]
	v_cndmask_b32_e64 v12, v23, v66, s[14:15]
	v_cndmask_b32_e64 v14, v98, v97, s[14:15]
	v_add_u32_e32 v15, 1, v12
	v_add_u32_e32 v12, -1, v14
	v_min_u32_e32 v12, v15, v12
	v_lshl_add_u64 v[12:13], v[12:13], 3, v[54:55]
	flat_load_dwordx2 v[12:13], v[12:13]
	v_cndmask_b32_e64 v18, v15, v23, s[14:15]
	v_cndmask_b32_e64 v19, v66, v15, s[14:15]
	v_cmp_lt_u32_e64 s[0:1], v18, v98
	s_waitcnt vmcnt(0) lgkmcnt(0)
	v_cndmask_b32_e64 v23, v13, v20, s[14:15]
	v_cndmask_b32_e64 v69, v12, v21, s[14:15]
	;; [unrolled: 1-line block ×4, first 2 shown]
	s_and_saveexec_b64 s[16:17], s[0:1]
	s_cbranch_execz .LBB263_462
; %bb.453:
	v_cmp_lt_u32_e64 s[0:1], v19, v97
	s_mov_b64 s[18:19], 0
	s_and_saveexec_b64 s[2:3], s[0:1]
	s_cbranch_execz .LBB263_461
; %bb.454:
	s_mov_b64 s[0:1], 0
	s_and_saveexec_b64 s[18:19], vcc
	s_cbranch_execz .LBB263_460
; %bb.455:
	v_mad_u64_u32 v[12:13], s[0:1], v71, v6, v[8:9]
	v_mul_lo_u32 v14, v71, v7
	v_mul_lo_u32 v15, v70, v6
	v_add3_u32 v13, v15, v13, v14
	v_mad_u64_u32 v[14:15], s[0:1], v69, v6, v[8:9]
	v_mul_lo_u32 v16, v69, v7
	v_mul_lo_u32 v17, v23, v6
	v_add3_u32 v15, v17, v15, v16
	s_mov_b64 s[20:21], 0
	v_mov_b64_e32 v[16:17], v[6:7]
                                        ; implicit-def: $sgpr22_sgpr23
                                        ; implicit-def: $sgpr24_sgpr25
                                        ; implicit-def: $sgpr26_sgpr27
                                        ; implicit-def: $sgpr28_sgpr29
                                        ; implicit-def: $sgpr0_sgpr1
	s_branch .LBB263_457
.LBB263_456:                            ;   in Loop: Header=BB263_457 Depth=1
	s_or_b64 exec, exec, s[30:31]
	s_and_b64 s[30:31], exec, s[24:25]
	s_or_b64 s[20:21], s[30:31], s[20:21]
	s_andn2_b64 s[0:1], s[0:1], exec
	s_and_b64 s[30:31], s[26:27], exec
	s_or_b64 s[0:1], s[0:1], s[30:31]
	s_andn2_b64 s[22:23], s[22:23], exec
	s_and_b64 s[30:31], s[28:29], exec
	s_or_b64 s[22:23], s[22:23], s[30:31]
	s_andn2_b64 exec, exec, s[20:21]
	s_cbranch_execz .LBB263_459
.LBB263_457:                            ; =>This Inner Loop Header: Depth=1
	flat_load_ubyte v66, v[14:15]
	flat_load_ubyte v67, v[12:13]
	s_andn2_b64 s[28:29], s[28:29], exec
	s_andn2_b64 s[26:27], s[26:27], exec
	s_or_b64 s[24:25], s[24:25], exec
	s_waitcnt vmcnt(0) lgkmcnt(0)
	v_cmp_le_i16_sdwa s[34:35], sext(v66), sext(v67) src0_sel:BYTE_0 src1_sel:BYTE_0
	v_cmp_lt_i16_sdwa s[30:31], sext(v66), sext(v67) src0_sel:BYTE_0 src1_sel:BYTE_0
	s_and_b64 s[34:35], s[34:35], s[0:1]
	s_or_b64 s[34:35], s[30:31], s[34:35]
	s_and_b64 s[30:31], s[34:35], exec
	v_cmp_eq_u16_sdwa s[36:37], v66, v67 src0_sel:BYTE_0 src1_sel:BYTE_0
	s_or_b64 s[28:29], s[28:29], s[30:31]
	s_and_saveexec_b64 s[30:31], s[36:37]
	s_cbranch_execz .LBB263_456
; %bb.458:                              ;   in Loop: Header=BB263_457 Depth=1
	v_lshl_add_u64 v[16:17], v[16:17], 0, -1
	v_cmp_eq_u64_e64 s[0:1], 0, v[16:17]
	s_andn2_b64 s[26:27], s[26:27], exec
	s_and_b64 s[34:35], s[34:35], exec
	s_andn2_b64 s[24:25], s[24:25], exec
	s_and_b64 s[0:1], s[0:1], exec
	v_lshl_add_u64 v[12:13], v[12:13], 0, 1
	v_lshl_add_u64 v[14:15], v[14:15], 0, 1
	s_andn2_b64 s[28:29], s[28:29], exec
	s_or_b64 s[26:27], s[26:27], s[34:35]
	s_or_b64 s[24:25], s[24:25], s[0:1]
                                        ; implicit-def: $sgpr0_sgpr1
	s_branch .LBB263_456
.LBB263_459:
	s_or_b64 exec, exec, s[20:21]
	s_and_b64 s[0:1], s[22:23], exec
.LBB263_460:
	s_or_b64 exec, exec, s[18:19]
	s_xor_b64 s[0:1], s[0:1], -1
	s_and_b64 s[18:19], s[0:1], exec
.LBB263_461:
	s_or_b64 exec, exec, s[2:3]
	s_orn2_b64 s[2:3], s[18:19], exec
.LBB263_462:
	s_or_b64 exec, exec, s[16:17]
	v_cndmask_b32_e64 v12, v18, v19, s[2:3]
	v_cndmask_b32_e64 v13, v98, v97, s[2:3]
	v_add_u32_e32 v16, 1, v12
	v_add_u32_e32 v12, -1, v13
	v_min_u32_e32 v12, v16, v12
	v_mov_b32_e32 v13, 0
	v_lshl_add_u64 v[14:15], v[12:13], 3, v[54:55]
	flat_load_dwordx2 v[14:15], v[14:15]
	v_cndmask_b32_e64 v66, v16, v18, s[2:3]
	s_mov_b64 s[16:17], -1
	v_cndmask_b32_e64 v67, v19, v16, s[2:3]
	v_cmp_lt_u32_e64 s[0:1], v66, v98
	s_mov_b64 s[18:19], -1
	s_waitcnt vmcnt(0) lgkmcnt(0)
	v_cndmask_b32_e64 v80, v15, v23, s[2:3]
	v_cndmask_b32_e64 v81, v14, v69, s[2:3]
	;; [unrolled: 1-line block ×4, first 2 shown]
	s_and_saveexec_b64 s[20:21], s[0:1]
	s_cbranch_execz .LBB263_472
; %bb.463:
	v_cmp_lt_u32_e64 s[0:1], v67, v97
	s_mov_b64 s[22:23], 0
	s_and_saveexec_b64 s[18:19], s[0:1]
	s_cbranch_execz .LBB263_471
; %bb.464:
	s_mov_b64 s[0:1], -1
	s_and_saveexec_b64 s[22:23], vcc
	s_cbranch_execz .LBB263_470
; %bb.465:
	v_mad_u64_u32 v[14:15], s[0:1], v83, v6, v[8:9]
	v_mul_lo_u32 v12, v83, v7
	v_mul_lo_u32 v16, v82, v6
	v_add3_u32 v15, v16, v15, v12
	v_mad_u64_u32 v[16:17], s[0:1], v81, v6, v[8:9]
	v_mul_lo_u32 v12, v81, v7
	v_mul_lo_u32 v18, v80, v6
	v_add3_u32 v17, v18, v17, v12
	s_mov_b64 s[24:25], 0
	v_mov_b64_e32 v[18:19], v[6:7]
                                        ; implicit-def: $sgpr26_sgpr27
                                        ; implicit-def: $sgpr28_sgpr29
                                        ; implicit-def: $sgpr34_sgpr35
                                        ; implicit-def: $sgpr30_sgpr31
                                        ; implicit-def: $sgpr0_sgpr1
	s_branch .LBB263_467
.LBB263_466:                            ;   in Loop: Header=BB263_467 Depth=1
	s_or_b64 exec, exec, s[36:37]
	s_and_b64 s[36:37], exec, s[28:29]
	s_or_b64 s[24:25], s[36:37], s[24:25]
	s_andn2_b64 s[0:1], s[0:1], exec
	s_and_b64 s[36:37], s[30:31], exec
	s_or_b64 s[0:1], s[0:1], s[36:37]
	s_andn2_b64 s[26:27], s[26:27], exec
	s_and_b64 s[36:37], s[34:35], exec
	s_or_b64 s[26:27], s[26:27], s[36:37]
	s_andn2_b64 exec, exec, s[24:25]
	s_cbranch_execz .LBB263_469
.LBB263_467:                            ; =>This Inner Loop Header: Depth=1
	flat_load_ubyte v12, v[16:17]
	flat_load_ubyte v84, v[14:15]
	s_andn2_b64 s[34:35], s[34:35], exec
	s_andn2_b64 s[30:31], s[30:31], exec
	s_or_b64 s[28:29], s[28:29], exec
	s_waitcnt vmcnt(0) lgkmcnt(0)
	v_cmp_le_i16_sdwa s[38:39], sext(v12), sext(v84) src0_sel:BYTE_0 src1_sel:BYTE_0
	v_cmp_lt_i16_sdwa s[36:37], sext(v12), sext(v84) src0_sel:BYTE_0 src1_sel:BYTE_0
	s_and_b64 s[38:39], s[38:39], s[0:1]
	s_or_b64 s[38:39], s[36:37], s[38:39]
	s_and_b64 s[36:37], s[38:39], exec
	v_cmp_eq_u16_sdwa s[40:41], v12, v84 src0_sel:BYTE_0 src1_sel:BYTE_0
	s_or_b64 s[34:35], s[34:35], s[36:37]
	s_and_saveexec_b64 s[36:37], s[40:41]
	s_cbranch_execz .LBB263_466
; %bb.468:                              ;   in Loop: Header=BB263_467 Depth=1
	v_lshl_add_u64 v[18:19], v[18:19], 0, -1
	v_cmp_eq_u64_e64 s[0:1], 0, v[18:19]
	s_andn2_b64 s[30:31], s[30:31], exec
	s_and_b64 s[38:39], s[38:39], exec
	s_andn2_b64 s[28:29], s[28:29], exec
	s_and_b64 s[0:1], s[0:1], exec
	v_lshl_add_u64 v[14:15], v[14:15], 0, 1
	v_lshl_add_u64 v[16:17], v[16:17], 0, 1
	s_or_b64 s[30:31], s[30:31], s[38:39]
	s_andn2_b64 s[34:35], s[34:35], exec
	s_or_b64 s[28:29], s[28:29], s[0:1]
                                        ; implicit-def: $sgpr0_sgpr1
	s_branch .LBB263_466
.LBB263_469:
	s_or_b64 exec, exec, s[24:25]
	s_xor_b64 s[0:1], s[26:27], -1
	s_orn2_b64 s[0:1], s[0:1], exec
.LBB263_470:
	s_or_b64 exec, exec, s[22:23]
	s_and_b64 s[22:23], s[0:1], exec
.LBB263_471:
	s_or_b64 exec, exec, s[18:19]
	s_orn2_b64 s[18:19], s[22:23], exec
.LBB263_472:
	s_or_b64 exec, exec, s[20:21]
	v_cndmask_b32_e64 v12, v66, v67, s[18:19]
	v_cndmask_b32_e64 v14, v98, v97, s[18:19]
	v_add_u32_e32 v15, 1, v12
	v_add_u32_e32 v12, -1, v14
	v_min_u32_e32 v12, v15, v12
	v_lshl_add_u64 v[12:13], v[12:13], 3, v[54:55]
	flat_load_dwordx2 v[12:13], v[12:13]
	v_cndmask_b32_e64 v18, v15, v66, s[18:19]
	v_cndmask_b32_e64 v19, v67, v15, s[18:19]
	v_cmp_lt_u32_e64 s[0:1], v18, v98
	s_waitcnt vmcnt(0) lgkmcnt(0)
	v_cndmask_b32_e64 v84, v13, v80, s[18:19]
	v_cndmask_b32_e64 v85, v12, v81, s[18:19]
	;; [unrolled: 1-line block ×4, first 2 shown]
	s_and_saveexec_b64 s[20:21], s[0:1]
	s_cbranch_execz .LBB263_482
; %bb.473:
	v_cmp_lt_u32_e64 s[0:1], v19, v97
	s_mov_b64 s[22:23], 0
	s_and_saveexec_b64 s[16:17], s[0:1]
	s_cbranch_execz .LBB263_481
; %bb.474:
	s_mov_b64 s[0:1], -1
	s_and_saveexec_b64 s[22:23], vcc
	s_cbranch_execz .LBB263_480
; %bb.475:
	v_mad_u64_u32 v[12:13], s[0:1], v87, v6, v[8:9]
	v_mul_lo_u32 v14, v87, v7
	v_mul_lo_u32 v15, v86, v6
	v_add3_u32 v13, v15, v13, v14
	v_mad_u64_u32 v[14:15], s[0:1], v85, v6, v[8:9]
	v_mul_lo_u32 v16, v85, v7
	v_mul_lo_u32 v17, v84, v6
	v_add3_u32 v15, v17, v15, v16
	s_mov_b64 s[24:25], 0
	v_mov_b64_e32 v[16:17], v[6:7]
                                        ; implicit-def: $sgpr26_sgpr27
                                        ; implicit-def: $sgpr28_sgpr29
                                        ; implicit-def: $sgpr34_sgpr35
                                        ; implicit-def: $sgpr30_sgpr31
                                        ; implicit-def: $sgpr0_sgpr1
	s_branch .LBB263_477
.LBB263_476:                            ;   in Loop: Header=BB263_477 Depth=1
	s_or_b64 exec, exec, s[36:37]
	s_and_b64 s[36:37], exec, s[28:29]
	s_or_b64 s[24:25], s[36:37], s[24:25]
	s_andn2_b64 s[0:1], s[0:1], exec
	s_and_b64 s[36:37], s[30:31], exec
	s_or_b64 s[0:1], s[0:1], s[36:37]
	s_andn2_b64 s[26:27], s[26:27], exec
	s_and_b64 s[36:37], s[34:35], exec
	s_or_b64 s[26:27], s[26:27], s[36:37]
	s_andn2_b64 exec, exec, s[24:25]
	s_cbranch_execz .LBB263_479
.LBB263_477:                            ; =>This Inner Loop Header: Depth=1
	flat_load_ubyte v66, v[14:15]
	flat_load_ubyte v67, v[12:13]
	s_andn2_b64 s[34:35], s[34:35], exec
	s_andn2_b64 s[30:31], s[30:31], exec
	s_or_b64 s[28:29], s[28:29], exec
	s_waitcnt vmcnt(0) lgkmcnt(0)
	v_cmp_le_i16_sdwa s[38:39], sext(v66), sext(v67) src0_sel:BYTE_0 src1_sel:BYTE_0
	v_cmp_lt_i16_sdwa s[36:37], sext(v66), sext(v67) src0_sel:BYTE_0 src1_sel:BYTE_0
	s_and_b64 s[38:39], s[38:39], s[0:1]
	s_or_b64 s[38:39], s[36:37], s[38:39]
	s_and_b64 s[36:37], s[38:39], exec
	v_cmp_eq_u16_sdwa s[40:41], v66, v67 src0_sel:BYTE_0 src1_sel:BYTE_0
	s_or_b64 s[34:35], s[34:35], s[36:37]
	s_and_saveexec_b64 s[36:37], s[40:41]
	s_cbranch_execz .LBB263_476
; %bb.478:                              ;   in Loop: Header=BB263_477 Depth=1
	v_lshl_add_u64 v[16:17], v[16:17], 0, -1
	v_cmp_eq_u64_e64 s[0:1], 0, v[16:17]
	s_andn2_b64 s[30:31], s[30:31], exec
	s_and_b64 s[38:39], s[38:39], exec
	s_andn2_b64 s[28:29], s[28:29], exec
	s_and_b64 s[0:1], s[0:1], exec
	v_lshl_add_u64 v[12:13], v[12:13], 0, 1
	v_lshl_add_u64 v[14:15], v[14:15], 0, 1
	s_or_b64 s[30:31], s[30:31], s[38:39]
	s_andn2_b64 s[34:35], s[34:35], exec
	s_or_b64 s[28:29], s[28:29], s[0:1]
                                        ; implicit-def: $sgpr0_sgpr1
	s_branch .LBB263_476
.LBB263_479:
	s_or_b64 exec, exec, s[24:25]
	s_xor_b64 s[0:1], s[26:27], -1
	s_orn2_b64 s[0:1], s[0:1], exec
.LBB263_480:
	s_or_b64 exec, exec, s[22:23]
	s_and_b64 s[22:23], s[0:1], exec
.LBB263_481:
	s_or_b64 exec, exec, s[16:17]
	s_orn2_b64 s[16:17], s[22:23], exec
.LBB263_482:
	s_or_b64 exec, exec, s[20:21]
	v_cndmask_b32_e64 v12, v18, v19, s[16:17]
	v_cndmask_b32_e64 v13, v98, v97, s[16:17]
	v_add_u32_e32 v16, 1, v12
	v_add_u32_e32 v12, -1, v13
	v_min_u32_e32 v12, v16, v12
	v_mov_b32_e32 v13, 0
	v_lshl_add_u64 v[14:15], v[12:13], 3, v[54:55]
	flat_load_dwordx2 v[14:15], v[14:15]
	v_cndmask_b32_e64 v66, v16, v18, s[16:17]
	s_mov_b64 s[20:21], -1
	v_cndmask_b32_e64 v67, v19, v16, s[16:17]
	v_cmp_lt_u32_e64 s[0:1], v66, v98
	s_mov_b64 s[22:23], -1
	s_waitcnt vmcnt(0) lgkmcnt(0)
	v_cndmask_b32_e64 v99, v15, v84, s[16:17]
	v_cndmask_b32_e64 v100, v14, v85, s[16:17]
	;; [unrolled: 1-line block ×4, first 2 shown]
	s_and_saveexec_b64 s[24:25], s[0:1]
	s_cbranch_execz .LBB263_492
; %bb.483:
	v_cmp_lt_u32_e64 s[0:1], v67, v97
	s_mov_b64 s[26:27], 0
	s_and_saveexec_b64 s[22:23], s[0:1]
	s_cbranch_execz .LBB263_491
; %bb.484:
	s_mov_b64 s[0:1], -1
	s_and_saveexec_b64 s[26:27], vcc
	s_cbranch_execz .LBB263_490
; %bb.485:
	v_mad_u64_u32 v[14:15], s[0:1], v102, v6, v[8:9]
	v_mul_lo_u32 v12, v102, v7
	v_mul_lo_u32 v16, v101, v6
	v_add3_u32 v15, v16, v15, v12
	v_mad_u64_u32 v[16:17], s[0:1], v100, v6, v[8:9]
	v_mul_lo_u32 v12, v100, v7
	v_mul_lo_u32 v18, v99, v6
	v_add3_u32 v17, v18, v17, v12
	s_mov_b64 s[28:29], 0
	v_mov_b64_e32 v[18:19], v[6:7]
                                        ; implicit-def: $sgpr30_sgpr31
                                        ; implicit-def: $sgpr34_sgpr35
                                        ; implicit-def: $sgpr38_sgpr39
                                        ; implicit-def: $sgpr36_sgpr37
                                        ; implicit-def: $sgpr0_sgpr1
	s_branch .LBB263_487
.LBB263_486:                            ;   in Loop: Header=BB263_487 Depth=1
	s_or_b64 exec, exec, s[40:41]
	s_and_b64 s[40:41], exec, s[34:35]
	s_or_b64 s[28:29], s[40:41], s[28:29]
	s_andn2_b64 s[0:1], s[0:1], exec
	s_and_b64 s[40:41], s[36:37], exec
	s_or_b64 s[0:1], s[0:1], s[40:41]
	s_andn2_b64 s[30:31], s[30:31], exec
	s_and_b64 s[40:41], s[38:39], exec
	s_or_b64 s[30:31], s[30:31], s[40:41]
	s_andn2_b64 exec, exec, s[28:29]
	s_cbranch_execz .LBB263_489
.LBB263_487:                            ; =>This Inner Loop Header: Depth=1
	flat_load_ubyte v12, v[16:17]
	flat_load_ubyte v103, v[14:15]
	s_andn2_b64 s[38:39], s[38:39], exec
	s_andn2_b64 s[36:37], s[36:37], exec
	s_or_b64 s[34:35], s[34:35], exec
	s_waitcnt vmcnt(0) lgkmcnt(0)
	v_cmp_le_i16_sdwa s[42:43], sext(v12), sext(v103) src0_sel:BYTE_0 src1_sel:BYTE_0
	v_cmp_lt_i16_sdwa s[40:41], sext(v12), sext(v103) src0_sel:BYTE_0 src1_sel:BYTE_0
	s_and_b64 s[42:43], s[42:43], s[0:1]
	s_or_b64 s[42:43], s[40:41], s[42:43]
	s_and_b64 s[40:41], s[42:43], exec
	v_cmp_eq_u16_sdwa s[44:45], v12, v103 src0_sel:BYTE_0 src1_sel:BYTE_0
	s_or_b64 s[38:39], s[38:39], s[40:41]
	s_and_saveexec_b64 s[40:41], s[44:45]
	s_cbranch_execz .LBB263_486
; %bb.488:                              ;   in Loop: Header=BB263_487 Depth=1
	v_lshl_add_u64 v[18:19], v[18:19], 0, -1
	v_cmp_eq_u64_e64 s[0:1], 0, v[18:19]
	s_andn2_b64 s[36:37], s[36:37], exec
	s_and_b64 s[42:43], s[42:43], exec
	s_andn2_b64 s[34:35], s[34:35], exec
	s_and_b64 s[0:1], s[0:1], exec
	v_lshl_add_u64 v[14:15], v[14:15], 0, 1
	v_lshl_add_u64 v[16:17], v[16:17], 0, 1
	s_or_b64 s[36:37], s[36:37], s[42:43]
	s_andn2_b64 s[38:39], s[38:39], exec
	s_or_b64 s[34:35], s[34:35], s[0:1]
                                        ; implicit-def: $sgpr0_sgpr1
	s_branch .LBB263_486
.LBB263_489:
	s_or_b64 exec, exec, s[28:29]
	s_xor_b64 s[0:1], s[30:31], -1
	s_orn2_b64 s[0:1], s[0:1], exec
.LBB263_490:
	s_or_b64 exec, exec, s[26:27]
	s_and_b64 s[26:27], s[0:1], exec
.LBB263_491:
	s_or_b64 exec, exec, s[22:23]
	s_orn2_b64 s[22:23], s[26:27], exec
.LBB263_492:
	s_or_b64 exec, exec, s[24:25]
	v_cndmask_b32_e64 v12, v66, v67, s[22:23]
	v_cndmask_b32_e64 v14, v98, v97, s[22:23]
	v_add_u32_e32 v15, 1, v12
	v_add_u32_e32 v12, -1, v14
	v_min_u32_e32 v12, v15, v12
	v_lshl_add_u64 v[12:13], v[12:13], 3, v[54:55]
	flat_load_dwordx2 v[12:13], v[12:13]
	v_cndmask_b32_e64 v114, v15, v66, s[22:23]
	v_cndmask_b32_e64 v103, v67, v15, s[22:23]
	v_cmp_lt_u32_e64 s[0:1], v114, v98
	s_waitcnt vmcnt(0) lgkmcnt(0)
	v_cndmask_b32_e64 v112, v13, v99, s[22:23]
	v_cndmask_b32_e64 v113, v12, v100, s[22:23]
	;; [unrolled: 1-line block ×4, first 2 shown]
	s_and_saveexec_b64 s[24:25], s[0:1]
	s_cbranch_execz .LBB263_502
; %bb.493:
	v_cmp_lt_u32_e64 s[0:1], v103, v97
	s_mov_b64 s[26:27], 0
	s_and_saveexec_b64 s[20:21], s[0:1]
	s_cbranch_execz .LBB263_501
; %bb.494:
	s_mov_b64 s[0:1], -1
	s_and_saveexec_b64 s[26:27], vcc
	s_cbranch_execz .LBB263_500
; %bb.495:
	v_mad_u64_u32 v[12:13], s[0:1], v116, v6, v[8:9]
	v_mul_lo_u32 v14, v116, v7
	v_mul_lo_u32 v15, v115, v6
	v_add3_u32 v13, v15, v13, v14
	v_mad_u64_u32 v[14:15], s[0:1], v113, v6, v[8:9]
	v_mul_lo_u32 v16, v113, v7
	v_mul_lo_u32 v17, v112, v6
	v_add3_u32 v15, v17, v15, v16
	s_mov_b64 s[28:29], 0
	v_mov_b64_e32 v[16:17], v[6:7]
                                        ; implicit-def: $sgpr30_sgpr31
                                        ; implicit-def: $sgpr34_sgpr35
                                        ; implicit-def: $sgpr38_sgpr39
                                        ; implicit-def: $sgpr36_sgpr37
                                        ; implicit-def: $sgpr0_sgpr1
	s_branch .LBB263_497
.LBB263_496:                            ;   in Loop: Header=BB263_497 Depth=1
	s_or_b64 exec, exec, s[40:41]
	s_and_b64 s[40:41], exec, s[34:35]
	s_or_b64 s[28:29], s[40:41], s[28:29]
	s_andn2_b64 s[0:1], s[0:1], exec
	s_and_b64 s[40:41], s[36:37], exec
	s_or_b64 s[0:1], s[0:1], s[40:41]
	s_andn2_b64 s[30:31], s[30:31], exec
	s_and_b64 s[40:41], s[38:39], exec
	s_or_b64 s[30:31], s[30:31], s[40:41]
	s_andn2_b64 exec, exec, s[28:29]
	s_cbranch_execz .LBB263_499
.LBB263_497:                            ; =>This Inner Loop Header: Depth=1
	flat_load_ubyte v18, v[14:15]
	flat_load_ubyte v19, v[12:13]
	s_andn2_b64 s[38:39], s[38:39], exec
	s_andn2_b64 s[36:37], s[36:37], exec
	s_or_b64 s[34:35], s[34:35], exec
	s_waitcnt vmcnt(0) lgkmcnt(0)
	v_cmp_le_i16_sdwa s[42:43], sext(v18), sext(v19) src0_sel:BYTE_0 src1_sel:BYTE_0
	v_cmp_lt_i16_sdwa s[40:41], sext(v18), sext(v19) src0_sel:BYTE_0 src1_sel:BYTE_0
	s_and_b64 s[42:43], s[42:43], s[0:1]
	s_or_b64 s[42:43], s[40:41], s[42:43]
	s_and_b64 s[40:41], s[42:43], exec
	v_cmp_eq_u16_sdwa s[44:45], v18, v19 src0_sel:BYTE_0 src1_sel:BYTE_0
	s_or_b64 s[38:39], s[38:39], s[40:41]
	s_and_saveexec_b64 s[40:41], s[44:45]
	s_cbranch_execz .LBB263_496
; %bb.498:                              ;   in Loop: Header=BB263_497 Depth=1
	v_lshl_add_u64 v[16:17], v[16:17], 0, -1
	v_cmp_eq_u64_e64 s[0:1], 0, v[16:17]
	s_andn2_b64 s[36:37], s[36:37], exec
	s_and_b64 s[42:43], s[42:43], exec
	s_andn2_b64 s[34:35], s[34:35], exec
	s_and_b64 s[0:1], s[0:1], exec
	v_lshl_add_u64 v[12:13], v[12:13], 0, 1
	v_lshl_add_u64 v[14:15], v[14:15], 0, 1
	s_or_b64 s[36:37], s[36:37], s[42:43]
	s_andn2_b64 s[38:39], s[38:39], exec
	s_or_b64 s[34:35], s[34:35], s[0:1]
                                        ; implicit-def: $sgpr0_sgpr1
	s_branch .LBB263_496
.LBB263_499:
	s_or_b64 exec, exec, s[28:29]
	s_xor_b64 s[0:1], s[30:31], -1
	s_orn2_b64 s[0:1], s[0:1], exec
.LBB263_500:
	s_or_b64 exec, exec, s[26:27]
	s_and_b64 s[26:27], s[0:1], exec
.LBB263_501:
	s_or_b64 exec, exec, s[20:21]
	s_orn2_b64 s[20:21], s[26:27], exec
.LBB263_502:
	s_or_b64 exec, exec, s[24:25]
	v_cndmask_b32_e64 v12, v114, v103, s[20:21]
	v_cndmask_b32_e64 v13, v98, v97, s[20:21]
	v_add_u32_e32 v117, 1, v12
	v_add_u32_e32 v12, -1, v13
	v_min_u32_e32 v12, v117, v12
	v_mov_b32_e32 v13, 0
	v_lshl_add_u64 v[12:13], v[12:13], 3, v[54:55]
	flat_load_dwordx2 v[66:67], v[12:13]
	v_cndmask_b32_e64 v17, v23, v70, s[2:3]
	v_cndmask_b32_e64 v23, v20, v22, s[14:15]
	;; [unrolled: 1-line block ×15, first 2 shown]
	v_cmp_lt_u32_e64 s[0:1], v68, v98
	s_waitcnt vmcnt(0) lgkmcnt(0)
	v_cndmask_b32_e64 v3, v115, v67, s[20:21]
	v_cndmask_b32_e64 v2, v116, v66, s[20:21]
	s_and_saveexec_b64 s[2:3], s[0:1]
	s_cbranch_execz .LBB263_512
; %bb.503:
	v_cndmask_b32_e64 v68, v103, v117, s[20:21]
	v_cndmask_b32_e64 v67, v67, v112, s[20:21]
	;; [unrolled: 1-line block ×3, first 2 shown]
	v_cmp_lt_u32_e64 s[0:1], v68, v97
	s_and_saveexec_b64 s[10:11], s[0:1]
	s_cbranch_execz .LBB263_511
; %bb.504:
	s_and_saveexec_b64 s[14:15], vcc
	s_cbranch_execz .LBB263_510
; %bb.505:
	v_mad_u64_u32 v[68:69], s[0:1], v2, v6, v[8:9]
	v_mul_lo_u32 v70, v2, v7
	v_mul_lo_u32 v71, v3, v6
	v_add3_u32 v69, v71, v69, v70
	v_mad_u64_u32 v[70:71], s[0:1], v66, v6, v[8:9]
	v_mul_lo_u32 v80, v66, v7
	v_mul_lo_u32 v81, v67, v6
	v_add3_u32 v71, v81, v71, v80
	s_mov_b64 s[16:17], 0
	v_mov_b64_e32 v[80:81], v[6:7]
                                        ; implicit-def: $sgpr18_sgpr19
                                        ; implicit-def: $sgpr20_sgpr21
                                        ; implicit-def: $sgpr24_sgpr25
                                        ; implicit-def: $sgpr22_sgpr23
                                        ; implicit-def: $sgpr0_sgpr1
	s_branch .LBB263_507
.LBB263_506:                            ;   in Loop: Header=BB263_507 Depth=1
	s_or_b64 exec, exec, s[26:27]
	s_and_b64 s[26:27], exec, s[20:21]
	s_or_b64 s[16:17], s[26:27], s[16:17]
	s_andn2_b64 s[0:1], s[0:1], exec
	s_and_b64 s[26:27], s[22:23], exec
	s_or_b64 s[0:1], s[0:1], s[26:27]
	s_andn2_b64 s[18:19], s[18:19], exec
	s_and_b64 s[26:27], s[24:25], exec
	s_or_b64 s[18:19], s[18:19], s[26:27]
	s_andn2_b64 exec, exec, s[16:17]
	s_cbranch_execz .LBB263_509
.LBB263_507:                            ; =>This Inner Loop Header: Depth=1
	flat_load_ubyte v82, v[70:71]
	flat_load_ubyte v83, v[68:69]
	s_andn2_b64 s[24:25], s[24:25], exec
	s_andn2_b64 s[22:23], s[22:23], exec
	s_or_b64 s[20:21], s[20:21], exec
	s_waitcnt vmcnt(0) lgkmcnt(0)
	v_cmp_le_i16_sdwa s[28:29], sext(v82), sext(v83) src0_sel:BYTE_0 src1_sel:BYTE_0
	v_cmp_lt_i16_sdwa s[26:27], sext(v82), sext(v83) src0_sel:BYTE_0 src1_sel:BYTE_0
	s_and_b64 s[28:29], s[28:29], s[0:1]
	s_or_b64 s[28:29], s[26:27], s[28:29]
	s_and_b64 s[26:27], s[28:29], exec
	v_cmp_eq_u16_sdwa s[30:31], v82, v83 src0_sel:BYTE_0 src1_sel:BYTE_0
	s_or_b64 s[24:25], s[24:25], s[26:27]
	s_and_saveexec_b64 s[26:27], s[30:31]
	s_cbranch_execz .LBB263_506
; %bb.508:                              ;   in Loop: Header=BB263_507 Depth=1
	v_lshl_add_u64 v[80:81], v[80:81], 0, -1
	v_cmp_eq_u64_e64 s[0:1], 0, v[80:81]
	s_andn2_b64 s[22:23], s[22:23], exec
	s_and_b64 s[28:29], s[28:29], exec
	s_andn2_b64 s[20:21], s[20:21], exec
	s_and_b64 s[0:1], s[0:1], exec
	v_lshl_add_u64 v[68:69], v[68:69], 0, 1
	v_lshl_add_u64 v[70:71], v[70:71], 0, 1
	s_or_b64 s[22:23], s[22:23], s[28:29]
	s_andn2_b64 s[24:25], s[24:25], exec
	s_or_b64 s[20:21], s[20:21], s[0:1]
                                        ; implicit-def: $sgpr0_sgpr1
	s_branch .LBB263_506
.LBB263_509:
	s_or_b64 exec, exec, s[16:17]
	v_cndmask_b32_e64 v3, v3, v67, s[18:19]
	v_cndmask_b32_e64 v2, v2, v66, s[18:19]
.LBB263_510:
	s_or_b64 exec, exec, s[14:15]
	v_mov_b64_e32 v[66:67], v[2:3]
.LBB263_511:
	s_or_b64 exec, exec, s[10:11]
	v_mov_b64_e32 v[2:3], v[66:67]
.LBB263_512:
	s_or_b64 exec, exec, s[2:3]
.LBB263_513:
	s_or_b64 exec, exec, s[6:7]
	v_and_b32_e32 v97, 0x380, v96
	; wave barrier
	flat_store_dwordx4 v[64:65], v[20:23]
	flat_store_dwordx4 v[64:65], v[16:19] offset:16
	flat_store_dwordx4 v[64:65], v[12:15] offset:32
	;; [unrolled: 1-line block ×3, first 2 shown]
	v_or_b32_e32 v64, 64, v97
	v_min_u32_e32 v86, v31, v64
	v_add_u32_e32 v64, 64, v86
	v_min_u32_e32 v87, v31, v64
	v_and_b32_e32 v64, 0x78, v96
	v_min_u32_e32 v31, v31, v64
	v_sub_u32_e32 v64, v86, v97
	v_sub_u32_e32 v65, v87, v86
	v_sub_u32_e64 v96, v31, v65 clamp
	v_min_u32_e32 v98, v31, v64
	v_cmp_lt_u32_e64 s[0:1], v96, v98
	; wave barrier
	s_and_saveexec_b64 s[2:3], s[0:1]
	s_cbranch_execz .LBB263_523
; %bb.514:
	v_lshlrev_b32_e32 v64, 3, v97
	v_mov_b32_e32 v65, 0
	v_lshl_add_u64 v[66:67], v[54:55], 0, v[64:65]
	v_lshlrev_b32_e32 v64, 3, v86
	v_lshl_add_u64 v[68:69], v[54:55], 0, v[64:65]
	s_mov_b64 s[6:7], 0
	s_branch .LBB263_517
.LBB263_515:                            ;   in Loop: Header=BB263_517 Depth=1
	s_or_b64 exec, exec, s[14:15]
	s_and_b64 s[0:1], s[16:17], exec
.LBB263_516:                            ;   in Loop: Header=BB263_517 Depth=1
	s_or_b64 exec, exec, s[10:11]
	v_add_u32_e32 v64, 1, v70
	v_cndmask_b32_e64 v98, v98, v70, s[0:1]
	v_cndmask_b32_e64 v96, v64, v96, s[0:1]
	v_cmp_ge_u32_e64 s[0:1], v96, v98
	s_or_b64 s[6:7], s[0:1], s[6:7]
	s_andn2_b64 exec, exec, s[6:7]
	s_cbranch_execz .LBB263_522
.LBB263_517:                            ; =>This Loop Header: Depth=1
                                        ;     Child Loop BB263_520 Depth 2
	v_add_u32_e32 v64, v98, v96
	v_lshrrev_b32_e32 v70, 1, v64
	s_mov_b64 s[0:1], 0
	s_and_saveexec_b64 s[10:11], vcc
	s_cbranch_execz .LBB263_516
; %bb.518:                              ;   in Loop: Header=BB263_517 Depth=1
	v_mov_b32_e32 v71, v65
	v_xad_u32 v64, v70, -1, v31
	v_lshl_add_u64 v[80:81], v[70:71], 3, v[66:67]
	v_lshl_add_u64 v[82:83], v[64:65], 3, v[68:69]
	flat_load_dwordx2 v[80:81], v[80:81]
	s_mov_b64 s[14:15], 0
	flat_load_dwordx2 v[82:83], v[82:83]
                                        ; implicit-def: $sgpr16_sgpr17
                                        ; implicit-def: $sgpr18_sgpr19
                                        ; implicit-def: $sgpr20_sgpr21
                                        ; implicit-def: $sgpr22_sgpr23
                                        ; implicit-def: $sgpr0_sgpr1
	s_waitcnt vmcnt(0) lgkmcnt(0)
	v_mul_lo_u32 v64, v80, v7
	v_mul_lo_u32 v71, v81, v6
	v_mad_u64_u32 v[80:81], s[24:25], v80, v6, v[8:9]
	v_mul_lo_u32 v84, v82, v7
	v_mul_lo_u32 v85, v83, v6
	v_mad_u64_u32 v[82:83], s[24:25], v82, v6, v[8:9]
	v_add3_u32 v81, v71, v81, v64
	v_add3_u32 v83, v85, v83, v84
	v_mov_b64_e32 v[84:85], v[6:7]
	s_branch .LBB263_520
.LBB263_519:                            ;   in Loop: Header=BB263_520 Depth=2
	s_or_b64 exec, exec, s[24:25]
	s_and_b64 s[24:25], exec, s[18:19]
	s_or_b64 s[14:15], s[24:25], s[14:15]
	s_andn2_b64 s[0:1], s[0:1], exec
	s_and_b64 s[24:25], s[20:21], exec
	s_or_b64 s[0:1], s[0:1], s[24:25]
	s_andn2_b64 s[16:17], s[16:17], exec
	s_and_b64 s[24:25], s[22:23], exec
	s_or_b64 s[16:17], s[16:17], s[24:25]
	s_andn2_b64 exec, exec, s[14:15]
	s_cbranch_execz .LBB263_515
.LBB263_520:                            ;   Parent Loop BB263_517 Depth=1
                                        ; =>  This Inner Loop Header: Depth=2
	flat_load_ubyte v64, v[82:83]
	flat_load_ubyte v71, v[80:81]
	s_andn2_b64 s[22:23], s[22:23], exec
	s_andn2_b64 s[20:21], s[20:21], exec
	s_or_b64 s[18:19], s[18:19], exec
	s_waitcnt vmcnt(0) lgkmcnt(0)
	v_cmp_le_i16_sdwa s[26:27], sext(v64), sext(v71) src0_sel:BYTE_0 src1_sel:BYTE_0
	v_cmp_lt_i16_sdwa s[24:25], sext(v64), sext(v71) src0_sel:BYTE_0 src1_sel:BYTE_0
	s_and_b64 s[26:27], s[26:27], s[0:1]
	s_or_b64 s[26:27], s[24:25], s[26:27]
	s_and_b64 s[24:25], s[26:27], exec
	v_cmp_eq_u16_sdwa s[28:29], v64, v71 src0_sel:BYTE_0 src1_sel:BYTE_0
	s_or_b64 s[22:23], s[22:23], s[24:25]
	s_and_saveexec_b64 s[24:25], s[28:29]
	s_cbranch_execz .LBB263_519
; %bb.521:                              ;   in Loop: Header=BB263_520 Depth=2
	v_lshl_add_u64 v[84:85], v[84:85], 0, -1
	v_cmp_eq_u64_e64 s[0:1], 0, v[84:85]
	s_andn2_b64 s[20:21], s[20:21], exec
	s_and_b64 s[26:27], s[26:27], exec
	s_andn2_b64 s[18:19], s[18:19], exec
	s_and_b64 s[0:1], s[0:1], exec
	v_lshl_add_u64 v[80:81], v[80:81], 0, 1
	v_lshl_add_u64 v[82:83], v[82:83], 0, 1
	s_andn2_b64 s[22:23], s[22:23], exec
	s_or_b64 s[20:21], s[20:21], s[26:27]
	s_or_b64 s[18:19], s[18:19], s[0:1]
                                        ; implicit-def: $sgpr0_sgpr1
	s_branch .LBB263_519
.LBB263_522:
	s_or_b64 exec, exec, s[6:7]
.LBB263_523:
	s_or_b64 exec, exec, s[2:3]
	v_add_u32_e32 v31, v86, v31
	v_add_u32_e32 v64, v96, v97
	v_sub_u32_e32 v66, v31, v96
	v_cmp_le_u32_e64 s[0:1], v64, v86
	v_cmp_le_u32_e64 s[2:3], v66, v87
	s_or_b64 s[0:1], s[0:1], s[2:3]
	s_and_saveexec_b64 s[6:7], s[0:1]
	s_cbranch_execz .LBB263_607
; %bb.524:
	v_cmp_ge_u32_e64 s[0:1], v64, v86
	v_cmp_lt_u32_e64 s[2:3], v64, v86
                                        ; implicit-def: $vgpr0_vgpr1
	s_and_saveexec_b64 s[10:11], s[2:3]
	s_cbranch_execz .LBB263_526
; %bb.525:
	v_mov_b32_e32 v65, 0
	v_lshl_add_u64 v[0:1], v[64:65], 3, v[54:55]
	flat_load_dwordx2 v[0:1], v[0:1]
.LBB263_526:
	s_or_b64 exec, exec, s[10:11]
	v_cmp_ge_u32_e64 s[10:11], v66, v87
	v_cmp_lt_u32_e64 s[2:3], v66, v87
                                        ; implicit-def: $vgpr2_vgpr3
	s_and_saveexec_b64 s[14:15], s[2:3]
	s_cbranch_execz .LBB263_528
; %bb.527:
	v_mov_b32_e32 v67, 0
	v_lshl_add_u64 v[2:3], v[66:67], 3, v[54:55]
	flat_load_dwordx2 v[2:3], v[2:3]
.LBB263_528:
	s_or_b64 exec, exec, s[14:15]
	s_or_b64 s[0:1], s[0:1], s[10:11]
	s_xor_b64 s[0:1], s[0:1], -1
	s_and_saveexec_b64 s[2:3], s[0:1]
	s_cbranch_execz .LBB263_536
; %bb.529:
	s_mov_b64 s[0:1], 0
	s_and_saveexec_b64 s[14:15], vcc
	s_cbranch_execz .LBB263_535
; %bb.530:
	s_waitcnt vmcnt(0) lgkmcnt(0)
	v_mad_u64_u32 v[12:13], s[0:1], v0, v6, v[8:9]
	v_mul_lo_u32 v14, v0, v7
	v_mul_lo_u32 v15, v1, v6
	v_add3_u32 v13, v15, v13, v14
	v_mad_u64_u32 v[14:15], s[0:1], v2, v6, v[8:9]
	v_mul_lo_u32 v16, v2, v7
	v_mul_lo_u32 v17, v3, v6
	v_add3_u32 v15, v17, v15, v16
	s_mov_b64 s[16:17], 0
	v_mov_b64_e32 v[16:17], v[6:7]
                                        ; implicit-def: $sgpr18_sgpr19
                                        ; implicit-def: $sgpr20_sgpr21
                                        ; implicit-def: $sgpr22_sgpr23
                                        ; implicit-def: $sgpr24_sgpr25
                                        ; implicit-def: $sgpr0_sgpr1
	s_branch .LBB263_532
.LBB263_531:                            ;   in Loop: Header=BB263_532 Depth=1
	s_or_b64 exec, exec, s[26:27]
	s_and_b64 s[26:27], exec, s[20:21]
	s_or_b64 s[16:17], s[26:27], s[16:17]
	s_andn2_b64 s[0:1], s[0:1], exec
	s_and_b64 s[26:27], s[22:23], exec
	s_or_b64 s[0:1], s[0:1], s[26:27]
	s_andn2_b64 s[18:19], s[18:19], exec
	s_and_b64 s[26:27], s[24:25], exec
	s_or_b64 s[18:19], s[18:19], s[26:27]
	s_andn2_b64 exec, exec, s[16:17]
	s_cbranch_execz .LBB263_534
.LBB263_532:                            ; =>This Inner Loop Header: Depth=1
	flat_load_ubyte v18, v[14:15]
	flat_load_ubyte v19, v[12:13]
	s_andn2_b64 s[24:25], s[24:25], exec
	s_andn2_b64 s[22:23], s[22:23], exec
	s_or_b64 s[20:21], s[20:21], exec
	s_waitcnt vmcnt(0) lgkmcnt(0)
	v_cmp_le_i16_sdwa s[28:29], sext(v18), sext(v19) src0_sel:BYTE_0 src1_sel:BYTE_0
	v_cmp_lt_i16_sdwa s[26:27], sext(v18), sext(v19) src0_sel:BYTE_0 src1_sel:BYTE_0
	s_and_b64 s[28:29], s[28:29], s[0:1]
	s_or_b64 s[28:29], s[26:27], s[28:29]
	s_and_b64 s[26:27], s[28:29], exec
	v_cmp_eq_u16_sdwa s[30:31], v18, v19 src0_sel:BYTE_0 src1_sel:BYTE_0
	s_or_b64 s[24:25], s[24:25], s[26:27]
	s_and_saveexec_b64 s[26:27], s[30:31]
	s_cbranch_execz .LBB263_531
; %bb.533:                              ;   in Loop: Header=BB263_532 Depth=1
	v_lshl_add_u64 v[16:17], v[16:17], 0, -1
	v_cmp_eq_u64_e64 s[0:1], 0, v[16:17]
	s_andn2_b64 s[22:23], s[22:23], exec
	s_and_b64 s[28:29], s[28:29], exec
	s_andn2_b64 s[20:21], s[20:21], exec
	s_and_b64 s[0:1], s[0:1], exec
	v_lshl_add_u64 v[12:13], v[12:13], 0, 1
	v_lshl_add_u64 v[14:15], v[14:15], 0, 1
	s_andn2_b64 s[24:25], s[24:25], exec
	s_or_b64 s[22:23], s[22:23], s[28:29]
	s_or_b64 s[20:21], s[20:21], s[0:1]
                                        ; implicit-def: $sgpr0_sgpr1
	s_branch .LBB263_531
.LBB263_534:
	s_or_b64 exec, exec, s[16:17]
	s_and_b64 s[0:1], s[18:19], exec
.LBB263_535:
	s_or_b64 exec, exec, s[14:15]
	s_xor_b64 s[0:1], s[0:1], -1
	s_andn2_b64 s[10:11], s[10:11], exec
	s_and_b64 s[0:1], s[0:1], exec
	s_or_b64 s[10:11], s[10:11], s[0:1]
.LBB263_536:
	s_or_b64 exec, exec, s[2:3]
	v_cndmask_b32_e64 v12, v66, v64, s[10:11]
	v_cndmask_b32_e64 v13, v87, v86, s[10:11]
	v_add_u32_e32 v16, 1, v12
	v_add_u32_e32 v12, -1, v13
	v_min_u32_e32 v12, v16, v12
	v_mov_b32_e32 v13, 0
	v_lshl_add_u64 v[14:15], v[12:13], 3, v[54:55]
	flat_load_dwordx2 v[14:15], v[14:15]
	v_cndmask_b32_e64 v23, v16, v66, s[10:11]
	s_mov_b64 s[2:3], -1
	v_cndmask_b32_e64 v64, v64, v16, s[10:11]
	v_cmp_lt_u32_e64 s[0:1], v23, v87
	s_mov_b64 s[14:15], -1
	s_waitcnt vmcnt(0) lgkmcnt(0)
	v_cndmask_b32_e64 v20, v15, v3, s[10:11]
	v_cndmask_b32_e64 v21, v14, v2, s[10:11]
	v_cndmask_b32_e64 v22, v1, v15, s[10:11]
	v_cndmask_b32_e64 v31, v0, v14, s[10:11]
	s_and_saveexec_b64 s[16:17], s[0:1]
	s_cbranch_execz .LBB263_546
; %bb.537:
	v_cmp_lt_u32_e64 s[0:1], v64, v86
	s_mov_b64 s[18:19], 0
	s_and_saveexec_b64 s[14:15], s[0:1]
	s_cbranch_execz .LBB263_545
; %bb.538:
	s_mov_b64 s[0:1], 0
	s_and_saveexec_b64 s[18:19], vcc
	s_cbranch_execz .LBB263_544
; %bb.539:
	v_mad_u64_u32 v[14:15], s[0:1], v31, v6, v[8:9]
	v_mul_lo_u32 v12, v31, v7
	v_mul_lo_u32 v16, v22, v6
	v_add3_u32 v15, v16, v15, v12
	v_mad_u64_u32 v[16:17], s[0:1], v21, v6, v[8:9]
	v_mul_lo_u32 v12, v21, v7
	v_mul_lo_u32 v18, v20, v6
	v_add3_u32 v17, v18, v17, v12
	s_mov_b64 s[20:21], 0
	v_mov_b64_e32 v[18:19], v[6:7]
                                        ; implicit-def: $sgpr22_sgpr23
                                        ; implicit-def: $sgpr24_sgpr25
                                        ; implicit-def: $sgpr26_sgpr27
                                        ; implicit-def: $sgpr28_sgpr29
                                        ; implicit-def: $sgpr0_sgpr1
	s_branch .LBB263_541
.LBB263_540:                            ;   in Loop: Header=BB263_541 Depth=1
	s_or_b64 exec, exec, s[30:31]
	s_and_b64 s[30:31], exec, s[24:25]
	s_or_b64 s[20:21], s[30:31], s[20:21]
	s_andn2_b64 s[0:1], s[0:1], exec
	s_and_b64 s[30:31], s[26:27], exec
	s_or_b64 s[0:1], s[0:1], s[30:31]
	s_andn2_b64 s[22:23], s[22:23], exec
	s_and_b64 s[30:31], s[28:29], exec
	s_or_b64 s[22:23], s[22:23], s[30:31]
	s_andn2_b64 exec, exec, s[20:21]
	s_cbranch_execz .LBB263_543
.LBB263_541:                            ; =>This Inner Loop Header: Depth=1
	flat_load_ubyte v12, v[16:17]
	flat_load_ubyte v65, v[14:15]
	s_andn2_b64 s[28:29], s[28:29], exec
	s_andn2_b64 s[26:27], s[26:27], exec
	s_or_b64 s[24:25], s[24:25], exec
	s_waitcnt vmcnt(0) lgkmcnt(0)
	v_cmp_le_i16_sdwa s[34:35], sext(v12), sext(v65) src0_sel:BYTE_0 src1_sel:BYTE_0
	v_cmp_lt_i16_sdwa s[30:31], sext(v12), sext(v65) src0_sel:BYTE_0 src1_sel:BYTE_0
	s_and_b64 s[34:35], s[34:35], s[0:1]
	s_or_b64 s[34:35], s[30:31], s[34:35]
	s_and_b64 s[30:31], s[34:35], exec
	v_cmp_eq_u16_sdwa s[36:37], v12, v65 src0_sel:BYTE_0 src1_sel:BYTE_0
	s_or_b64 s[28:29], s[28:29], s[30:31]
	s_and_saveexec_b64 s[30:31], s[36:37]
	s_cbranch_execz .LBB263_540
; %bb.542:                              ;   in Loop: Header=BB263_541 Depth=1
	v_lshl_add_u64 v[18:19], v[18:19], 0, -1
	v_cmp_eq_u64_e64 s[0:1], 0, v[18:19]
	s_andn2_b64 s[26:27], s[26:27], exec
	s_and_b64 s[34:35], s[34:35], exec
	s_andn2_b64 s[24:25], s[24:25], exec
	s_and_b64 s[0:1], s[0:1], exec
	v_lshl_add_u64 v[14:15], v[14:15], 0, 1
	v_lshl_add_u64 v[16:17], v[16:17], 0, 1
	s_andn2_b64 s[28:29], s[28:29], exec
	s_or_b64 s[26:27], s[26:27], s[34:35]
	s_or_b64 s[24:25], s[24:25], s[0:1]
                                        ; implicit-def: $sgpr0_sgpr1
	s_branch .LBB263_540
.LBB263_543:
	s_or_b64 exec, exec, s[20:21]
	s_and_b64 s[0:1], s[22:23], exec
.LBB263_544:
	s_or_b64 exec, exec, s[18:19]
	s_xor_b64 s[0:1], s[0:1], -1
	s_and_b64 s[18:19], s[0:1], exec
.LBB263_545:
	s_or_b64 exec, exec, s[14:15]
	s_orn2_b64 s[14:15], s[18:19], exec
.LBB263_546:
	s_or_b64 exec, exec, s[16:17]
	v_cndmask_b32_e64 v12, v23, v64, s[14:15]
	v_cndmask_b32_e64 v14, v87, v86, s[14:15]
	v_add_u32_e32 v15, 1, v12
	v_add_u32_e32 v12, -1, v14
	v_min_u32_e32 v12, v15, v12
	v_lshl_add_u64 v[12:13], v[12:13], 3, v[54:55]
	flat_load_dwordx2 v[12:13], v[12:13]
	v_cndmask_b32_e64 v18, v15, v23, s[14:15]
	v_cndmask_b32_e64 v19, v64, v15, s[14:15]
	v_cmp_lt_u32_e64 s[0:1], v18, v87
	s_waitcnt vmcnt(0) lgkmcnt(0)
	v_cndmask_b32_e64 v23, v13, v20, s[14:15]
	v_cndmask_b32_e64 v64, v12, v21, s[14:15]
	;; [unrolled: 1-line block ×4, first 2 shown]
	s_and_saveexec_b64 s[16:17], s[0:1]
	s_cbranch_execz .LBB263_556
; %bb.547:
	v_cmp_lt_u32_e64 s[0:1], v19, v86
	s_mov_b64 s[18:19], 0
	s_and_saveexec_b64 s[2:3], s[0:1]
	s_cbranch_execz .LBB263_555
; %bb.548:
	s_mov_b64 s[0:1], 0
	s_and_saveexec_b64 s[18:19], vcc
	s_cbranch_execz .LBB263_554
; %bb.549:
	v_mad_u64_u32 v[12:13], s[0:1], v66, v6, v[8:9]
	v_mul_lo_u32 v14, v66, v7
	v_mul_lo_u32 v15, v65, v6
	v_add3_u32 v13, v15, v13, v14
	v_mad_u64_u32 v[14:15], s[0:1], v64, v6, v[8:9]
	v_mul_lo_u32 v16, v64, v7
	v_mul_lo_u32 v17, v23, v6
	v_add3_u32 v15, v17, v15, v16
	s_mov_b64 s[20:21], 0
	v_mov_b64_e32 v[16:17], v[6:7]
                                        ; implicit-def: $sgpr22_sgpr23
                                        ; implicit-def: $sgpr24_sgpr25
                                        ; implicit-def: $sgpr26_sgpr27
                                        ; implicit-def: $sgpr28_sgpr29
                                        ; implicit-def: $sgpr0_sgpr1
	s_branch .LBB263_551
.LBB263_550:                            ;   in Loop: Header=BB263_551 Depth=1
	s_or_b64 exec, exec, s[30:31]
	s_and_b64 s[30:31], exec, s[24:25]
	s_or_b64 s[20:21], s[30:31], s[20:21]
	s_andn2_b64 s[0:1], s[0:1], exec
	s_and_b64 s[30:31], s[26:27], exec
	s_or_b64 s[0:1], s[0:1], s[30:31]
	s_andn2_b64 s[22:23], s[22:23], exec
	s_and_b64 s[30:31], s[28:29], exec
	s_or_b64 s[22:23], s[22:23], s[30:31]
	s_andn2_b64 exec, exec, s[20:21]
	s_cbranch_execz .LBB263_553
.LBB263_551:                            ; =>This Inner Loop Header: Depth=1
	flat_load_ubyte v67, v[14:15]
	flat_load_ubyte v68, v[12:13]
	s_andn2_b64 s[28:29], s[28:29], exec
	s_andn2_b64 s[26:27], s[26:27], exec
	s_or_b64 s[24:25], s[24:25], exec
	s_waitcnt vmcnt(0) lgkmcnt(0)
	v_cmp_le_i16_sdwa s[34:35], sext(v67), sext(v68) src0_sel:BYTE_0 src1_sel:BYTE_0
	v_cmp_lt_i16_sdwa s[30:31], sext(v67), sext(v68) src0_sel:BYTE_0 src1_sel:BYTE_0
	s_and_b64 s[34:35], s[34:35], s[0:1]
	s_or_b64 s[34:35], s[30:31], s[34:35]
	s_and_b64 s[30:31], s[34:35], exec
	v_cmp_eq_u16_sdwa s[36:37], v67, v68 src0_sel:BYTE_0 src1_sel:BYTE_0
	s_or_b64 s[28:29], s[28:29], s[30:31]
	s_and_saveexec_b64 s[30:31], s[36:37]
	s_cbranch_execz .LBB263_550
; %bb.552:                              ;   in Loop: Header=BB263_551 Depth=1
	v_lshl_add_u64 v[16:17], v[16:17], 0, -1
	v_cmp_eq_u64_e64 s[0:1], 0, v[16:17]
	s_andn2_b64 s[26:27], s[26:27], exec
	s_and_b64 s[34:35], s[34:35], exec
	s_andn2_b64 s[24:25], s[24:25], exec
	s_and_b64 s[0:1], s[0:1], exec
	v_lshl_add_u64 v[12:13], v[12:13], 0, 1
	v_lshl_add_u64 v[14:15], v[14:15], 0, 1
	s_andn2_b64 s[28:29], s[28:29], exec
	s_or_b64 s[26:27], s[26:27], s[34:35]
	s_or_b64 s[24:25], s[24:25], s[0:1]
                                        ; implicit-def: $sgpr0_sgpr1
	s_branch .LBB263_550
.LBB263_553:
	s_or_b64 exec, exec, s[20:21]
	s_and_b64 s[0:1], s[22:23], exec
.LBB263_554:
	s_or_b64 exec, exec, s[18:19]
	s_xor_b64 s[0:1], s[0:1], -1
	s_and_b64 s[18:19], s[0:1], exec
.LBB263_555:
	s_or_b64 exec, exec, s[2:3]
	s_orn2_b64 s[2:3], s[18:19], exec
.LBB263_556:
	s_or_b64 exec, exec, s[16:17]
	v_cndmask_b32_e64 v12, v18, v19, s[2:3]
	v_cndmask_b32_e64 v13, v87, v86, s[2:3]
	v_add_u32_e32 v16, 1, v12
	v_add_u32_e32 v12, -1, v13
	v_min_u32_e32 v12, v16, v12
	v_mov_b32_e32 v13, 0
	v_lshl_add_u64 v[14:15], v[12:13], 3, v[54:55]
	flat_load_dwordx2 v[14:15], v[14:15]
	v_cndmask_b32_e64 v71, v16, v18, s[2:3]
	s_mov_b64 s[16:17], -1
	v_cndmask_b32_e64 v80, v19, v16, s[2:3]
	v_cmp_lt_u32_e64 s[0:1], v71, v87
	s_mov_b64 s[18:19], -1
	s_waitcnt vmcnt(0) lgkmcnt(0)
	v_cndmask_b32_e64 v67, v15, v23, s[2:3]
	v_cndmask_b32_e64 v68, v14, v64, s[2:3]
	;; [unrolled: 1-line block ×4, first 2 shown]
	s_and_saveexec_b64 s[20:21], s[0:1]
	s_cbranch_execz .LBB263_566
; %bb.557:
	v_cmp_lt_u32_e64 s[0:1], v80, v86
	s_mov_b64 s[22:23], 0
	s_and_saveexec_b64 s[18:19], s[0:1]
	s_cbranch_execz .LBB263_565
; %bb.558:
	s_mov_b64 s[0:1], -1
	s_and_saveexec_b64 s[22:23], vcc
	s_cbranch_execz .LBB263_564
; %bb.559:
	v_mad_u64_u32 v[14:15], s[0:1], v70, v6, v[8:9]
	v_mul_lo_u32 v12, v70, v7
	v_mul_lo_u32 v16, v69, v6
	v_add3_u32 v15, v16, v15, v12
	v_mad_u64_u32 v[16:17], s[0:1], v68, v6, v[8:9]
	v_mul_lo_u32 v12, v68, v7
	v_mul_lo_u32 v18, v67, v6
	v_add3_u32 v17, v18, v17, v12
	s_mov_b64 s[24:25], 0
	v_mov_b64_e32 v[18:19], v[6:7]
                                        ; implicit-def: $sgpr26_sgpr27
                                        ; implicit-def: $sgpr28_sgpr29
                                        ; implicit-def: $sgpr34_sgpr35
                                        ; implicit-def: $sgpr30_sgpr31
                                        ; implicit-def: $sgpr0_sgpr1
	s_branch .LBB263_561
.LBB263_560:                            ;   in Loop: Header=BB263_561 Depth=1
	s_or_b64 exec, exec, s[36:37]
	s_and_b64 s[36:37], exec, s[28:29]
	s_or_b64 s[24:25], s[36:37], s[24:25]
	s_andn2_b64 s[0:1], s[0:1], exec
	s_and_b64 s[36:37], s[30:31], exec
	s_or_b64 s[0:1], s[0:1], s[36:37]
	s_andn2_b64 s[26:27], s[26:27], exec
	s_and_b64 s[36:37], s[34:35], exec
	s_or_b64 s[26:27], s[26:27], s[36:37]
	s_andn2_b64 exec, exec, s[24:25]
	s_cbranch_execz .LBB263_563
.LBB263_561:                            ; =>This Inner Loop Header: Depth=1
	flat_load_ubyte v12, v[16:17]
	flat_load_ubyte v81, v[14:15]
	s_andn2_b64 s[34:35], s[34:35], exec
	s_andn2_b64 s[30:31], s[30:31], exec
	s_or_b64 s[28:29], s[28:29], exec
	s_waitcnt vmcnt(0) lgkmcnt(0)
	v_cmp_le_i16_sdwa s[38:39], sext(v12), sext(v81) src0_sel:BYTE_0 src1_sel:BYTE_0
	v_cmp_lt_i16_sdwa s[36:37], sext(v12), sext(v81) src0_sel:BYTE_0 src1_sel:BYTE_0
	s_and_b64 s[38:39], s[38:39], s[0:1]
	s_or_b64 s[38:39], s[36:37], s[38:39]
	s_and_b64 s[36:37], s[38:39], exec
	v_cmp_eq_u16_sdwa s[40:41], v12, v81 src0_sel:BYTE_0 src1_sel:BYTE_0
	s_or_b64 s[34:35], s[34:35], s[36:37]
	s_and_saveexec_b64 s[36:37], s[40:41]
	s_cbranch_execz .LBB263_560
; %bb.562:                              ;   in Loop: Header=BB263_561 Depth=1
	v_lshl_add_u64 v[18:19], v[18:19], 0, -1
	v_cmp_eq_u64_e64 s[0:1], 0, v[18:19]
	s_andn2_b64 s[30:31], s[30:31], exec
	s_and_b64 s[38:39], s[38:39], exec
	s_andn2_b64 s[28:29], s[28:29], exec
	s_and_b64 s[0:1], s[0:1], exec
	v_lshl_add_u64 v[14:15], v[14:15], 0, 1
	v_lshl_add_u64 v[16:17], v[16:17], 0, 1
	s_or_b64 s[30:31], s[30:31], s[38:39]
	s_andn2_b64 s[34:35], s[34:35], exec
	s_or_b64 s[28:29], s[28:29], s[0:1]
                                        ; implicit-def: $sgpr0_sgpr1
	s_branch .LBB263_560
.LBB263_563:
	s_or_b64 exec, exec, s[24:25]
	s_xor_b64 s[0:1], s[26:27], -1
	s_orn2_b64 s[0:1], s[0:1], exec
.LBB263_564:
	s_or_b64 exec, exec, s[22:23]
	s_and_b64 s[22:23], s[0:1], exec
.LBB263_565:
	s_or_b64 exec, exec, s[18:19]
	s_orn2_b64 s[18:19], s[22:23], exec
.LBB263_566:
	s_or_b64 exec, exec, s[20:21]
	v_cndmask_b32_e64 v12, v71, v80, s[18:19]
	v_cndmask_b32_e64 v14, v87, v86, s[18:19]
	v_add_u32_e32 v15, 1, v12
	v_add_u32_e32 v12, -1, v14
	v_min_u32_e32 v12, v15, v12
	v_lshl_add_u64 v[12:13], v[12:13], 3, v[54:55]
	flat_load_dwordx2 v[12:13], v[12:13]
	v_cndmask_b32_e64 v18, v15, v71, s[18:19]
	v_cndmask_b32_e64 v19, v80, v15, s[18:19]
	v_cmp_lt_u32_e64 s[0:1], v18, v87
	s_waitcnt vmcnt(0) lgkmcnt(0)
	v_cndmask_b32_e64 v71, v13, v67, s[18:19]
	v_cndmask_b32_e64 v80, v12, v68, s[18:19]
	;; [unrolled: 1-line block ×4, first 2 shown]
	s_and_saveexec_b64 s[20:21], s[0:1]
	s_cbranch_execz .LBB263_576
; %bb.567:
	v_cmp_lt_u32_e64 s[0:1], v19, v86
	s_mov_b64 s[22:23], 0
	s_and_saveexec_b64 s[16:17], s[0:1]
	s_cbranch_execz .LBB263_575
; %bb.568:
	s_mov_b64 s[0:1], -1
	s_and_saveexec_b64 s[22:23], vcc
	s_cbranch_execz .LBB263_574
; %bb.569:
	v_mad_u64_u32 v[12:13], s[0:1], v82, v6, v[8:9]
	v_mul_lo_u32 v14, v82, v7
	v_mul_lo_u32 v15, v81, v6
	v_add3_u32 v13, v15, v13, v14
	v_mad_u64_u32 v[14:15], s[0:1], v80, v6, v[8:9]
	v_mul_lo_u32 v16, v80, v7
	v_mul_lo_u32 v17, v71, v6
	v_add3_u32 v15, v17, v15, v16
	s_mov_b64 s[24:25], 0
	v_mov_b64_e32 v[16:17], v[6:7]
                                        ; implicit-def: $sgpr26_sgpr27
                                        ; implicit-def: $sgpr28_sgpr29
                                        ; implicit-def: $sgpr34_sgpr35
                                        ; implicit-def: $sgpr30_sgpr31
                                        ; implicit-def: $sgpr0_sgpr1
	s_branch .LBB263_571
.LBB263_570:                            ;   in Loop: Header=BB263_571 Depth=1
	s_or_b64 exec, exec, s[36:37]
	s_and_b64 s[36:37], exec, s[28:29]
	s_or_b64 s[24:25], s[36:37], s[24:25]
	s_andn2_b64 s[0:1], s[0:1], exec
	s_and_b64 s[36:37], s[30:31], exec
	s_or_b64 s[0:1], s[0:1], s[36:37]
	s_andn2_b64 s[26:27], s[26:27], exec
	s_and_b64 s[36:37], s[34:35], exec
	s_or_b64 s[26:27], s[26:27], s[36:37]
	s_andn2_b64 exec, exec, s[24:25]
	s_cbranch_execz .LBB263_573
.LBB263_571:                            ; =>This Inner Loop Header: Depth=1
	flat_load_ubyte v83, v[14:15]
	flat_load_ubyte v84, v[12:13]
	s_andn2_b64 s[34:35], s[34:35], exec
	s_andn2_b64 s[30:31], s[30:31], exec
	s_or_b64 s[28:29], s[28:29], exec
	s_waitcnt vmcnt(0) lgkmcnt(0)
	v_cmp_le_i16_sdwa s[38:39], sext(v83), sext(v84) src0_sel:BYTE_0 src1_sel:BYTE_0
	v_cmp_lt_i16_sdwa s[36:37], sext(v83), sext(v84) src0_sel:BYTE_0 src1_sel:BYTE_0
	s_and_b64 s[38:39], s[38:39], s[0:1]
	s_or_b64 s[38:39], s[36:37], s[38:39]
	s_and_b64 s[36:37], s[38:39], exec
	v_cmp_eq_u16_sdwa s[40:41], v83, v84 src0_sel:BYTE_0 src1_sel:BYTE_0
	s_or_b64 s[34:35], s[34:35], s[36:37]
	s_and_saveexec_b64 s[36:37], s[40:41]
	s_cbranch_execz .LBB263_570
; %bb.572:                              ;   in Loop: Header=BB263_571 Depth=1
	v_lshl_add_u64 v[16:17], v[16:17], 0, -1
	v_cmp_eq_u64_e64 s[0:1], 0, v[16:17]
	s_andn2_b64 s[30:31], s[30:31], exec
	s_and_b64 s[38:39], s[38:39], exec
	s_andn2_b64 s[28:29], s[28:29], exec
	s_and_b64 s[0:1], s[0:1], exec
	v_lshl_add_u64 v[12:13], v[12:13], 0, 1
	v_lshl_add_u64 v[14:15], v[14:15], 0, 1
	s_or_b64 s[30:31], s[30:31], s[38:39]
	s_andn2_b64 s[34:35], s[34:35], exec
	s_or_b64 s[28:29], s[28:29], s[0:1]
                                        ; implicit-def: $sgpr0_sgpr1
	s_branch .LBB263_570
.LBB263_573:
	s_or_b64 exec, exec, s[24:25]
	s_xor_b64 s[0:1], s[26:27], -1
	s_orn2_b64 s[0:1], s[0:1], exec
.LBB263_574:
	s_or_b64 exec, exec, s[22:23]
	s_and_b64 s[22:23], s[0:1], exec
.LBB263_575:
	s_or_b64 exec, exec, s[16:17]
	s_orn2_b64 s[16:17], s[22:23], exec
.LBB263_576:
	s_or_b64 exec, exec, s[20:21]
	v_cndmask_b32_e64 v12, v18, v19, s[16:17]
	v_cndmask_b32_e64 v13, v87, v86, s[16:17]
	v_add_u32_e32 v16, 1, v12
	v_add_u32_e32 v12, -1, v13
	v_min_u32_e32 v12, v16, v12
	v_mov_b32_e32 v13, 0
	v_lshl_add_u64 v[14:15], v[12:13], 3, v[54:55]
	flat_load_dwordx2 v[14:15], v[14:15]
	v_cndmask_b32_e64 v97, v16, v18, s[16:17]
	s_mov_b64 s[20:21], -1
	v_cndmask_b32_e64 v98, v19, v16, s[16:17]
	v_cmp_lt_u32_e64 s[0:1], v97, v87
	s_mov_b64 s[22:23], -1
	s_waitcnt vmcnt(0) lgkmcnt(0)
	v_cndmask_b32_e64 v83, v15, v71, s[16:17]
	v_cndmask_b32_e64 v84, v14, v80, s[16:17]
	;; [unrolled: 1-line block ×4, first 2 shown]
	s_and_saveexec_b64 s[24:25], s[0:1]
	s_cbranch_execz .LBB263_586
; %bb.577:
	v_cmp_lt_u32_e64 s[0:1], v98, v86
	s_mov_b64 s[26:27], 0
	s_and_saveexec_b64 s[22:23], s[0:1]
	s_cbranch_execz .LBB263_585
; %bb.578:
	s_mov_b64 s[0:1], -1
	s_and_saveexec_b64 s[26:27], vcc
	s_cbranch_execz .LBB263_584
; %bb.579:
	v_mad_u64_u32 v[14:15], s[0:1], v96, v6, v[8:9]
	v_mul_lo_u32 v12, v96, v7
	v_mul_lo_u32 v16, v85, v6
	v_add3_u32 v15, v16, v15, v12
	v_mad_u64_u32 v[16:17], s[0:1], v84, v6, v[8:9]
	v_mul_lo_u32 v12, v84, v7
	v_mul_lo_u32 v18, v83, v6
	v_add3_u32 v17, v18, v17, v12
	s_mov_b64 s[28:29], 0
	v_mov_b64_e32 v[18:19], v[6:7]
                                        ; implicit-def: $sgpr30_sgpr31
                                        ; implicit-def: $sgpr34_sgpr35
                                        ; implicit-def: $sgpr38_sgpr39
                                        ; implicit-def: $sgpr36_sgpr37
                                        ; implicit-def: $sgpr0_sgpr1
	s_branch .LBB263_581
.LBB263_580:                            ;   in Loop: Header=BB263_581 Depth=1
	s_or_b64 exec, exec, s[40:41]
	s_and_b64 s[40:41], exec, s[34:35]
	s_or_b64 s[28:29], s[40:41], s[28:29]
	s_andn2_b64 s[0:1], s[0:1], exec
	s_and_b64 s[40:41], s[36:37], exec
	s_or_b64 s[0:1], s[0:1], s[40:41]
	s_andn2_b64 s[30:31], s[30:31], exec
	s_and_b64 s[40:41], s[38:39], exec
	s_or_b64 s[30:31], s[30:31], s[40:41]
	s_andn2_b64 exec, exec, s[28:29]
	s_cbranch_execz .LBB263_583
.LBB263_581:                            ; =>This Inner Loop Header: Depth=1
	flat_load_ubyte v12, v[16:17]
	flat_load_ubyte v99, v[14:15]
	s_andn2_b64 s[38:39], s[38:39], exec
	s_andn2_b64 s[36:37], s[36:37], exec
	s_or_b64 s[34:35], s[34:35], exec
	s_waitcnt vmcnt(0) lgkmcnt(0)
	v_cmp_le_i16_sdwa s[42:43], sext(v12), sext(v99) src0_sel:BYTE_0 src1_sel:BYTE_0
	v_cmp_lt_i16_sdwa s[40:41], sext(v12), sext(v99) src0_sel:BYTE_0 src1_sel:BYTE_0
	s_and_b64 s[42:43], s[42:43], s[0:1]
	s_or_b64 s[42:43], s[40:41], s[42:43]
	s_and_b64 s[40:41], s[42:43], exec
	v_cmp_eq_u16_sdwa s[44:45], v12, v99 src0_sel:BYTE_0 src1_sel:BYTE_0
	s_or_b64 s[38:39], s[38:39], s[40:41]
	s_and_saveexec_b64 s[40:41], s[44:45]
	s_cbranch_execz .LBB263_580
; %bb.582:                              ;   in Loop: Header=BB263_581 Depth=1
	v_lshl_add_u64 v[18:19], v[18:19], 0, -1
	v_cmp_eq_u64_e64 s[0:1], 0, v[18:19]
	s_andn2_b64 s[36:37], s[36:37], exec
	s_and_b64 s[42:43], s[42:43], exec
	s_andn2_b64 s[34:35], s[34:35], exec
	s_and_b64 s[0:1], s[0:1], exec
	v_lshl_add_u64 v[14:15], v[14:15], 0, 1
	v_lshl_add_u64 v[16:17], v[16:17], 0, 1
	s_or_b64 s[36:37], s[36:37], s[42:43]
	s_andn2_b64 s[38:39], s[38:39], exec
	s_or_b64 s[34:35], s[34:35], s[0:1]
                                        ; implicit-def: $sgpr0_sgpr1
	s_branch .LBB263_580
.LBB263_583:
	s_or_b64 exec, exec, s[28:29]
	s_xor_b64 s[0:1], s[30:31], -1
	s_orn2_b64 s[0:1], s[0:1], exec
.LBB263_584:
	s_or_b64 exec, exec, s[26:27]
	s_and_b64 s[26:27], s[0:1], exec
.LBB263_585:
	s_or_b64 exec, exec, s[22:23]
	s_orn2_b64 s[22:23], s[26:27], exec
.LBB263_586:
	s_or_b64 exec, exec, s[24:25]
	v_cndmask_b32_e64 v12, v97, v98, s[22:23]
	v_cndmask_b32_e64 v14, v87, v86, s[22:23]
	v_add_u32_e32 v15, 1, v12
	v_add_u32_e32 v12, -1, v14
	v_min_u32_e32 v12, v15, v12
	v_lshl_add_u64 v[12:13], v[12:13], 3, v[54:55]
	flat_load_dwordx2 v[12:13], v[12:13]
	v_cndmask_b32_e64 v100, v15, v97, s[22:23]
	v_cndmask_b32_e64 v97, v98, v15, s[22:23]
	v_cmp_lt_u32_e64 s[0:1], v100, v87
	s_waitcnt vmcnt(0) lgkmcnt(0)
	v_cndmask_b32_e64 v98, v13, v83, s[22:23]
	v_cndmask_b32_e64 v99, v12, v84, s[22:23]
	;; [unrolled: 1-line block ×4, first 2 shown]
	s_and_saveexec_b64 s[24:25], s[0:1]
	s_cbranch_execz .LBB263_596
; %bb.587:
	v_cmp_lt_u32_e64 s[0:1], v97, v86
	s_mov_b64 s[26:27], 0
	s_and_saveexec_b64 s[20:21], s[0:1]
	s_cbranch_execz .LBB263_595
; %bb.588:
	s_mov_b64 s[0:1], -1
	s_and_saveexec_b64 s[26:27], vcc
	s_cbranch_execz .LBB263_594
; %bb.589:
	v_mad_u64_u32 v[12:13], s[0:1], v102, v6, v[8:9]
	v_mul_lo_u32 v14, v102, v7
	v_mul_lo_u32 v15, v101, v6
	v_add3_u32 v13, v15, v13, v14
	v_mad_u64_u32 v[14:15], s[0:1], v99, v6, v[8:9]
	v_mul_lo_u32 v16, v99, v7
	v_mul_lo_u32 v17, v98, v6
	v_add3_u32 v15, v17, v15, v16
	s_mov_b64 s[28:29], 0
	v_mov_b64_e32 v[16:17], v[6:7]
                                        ; implicit-def: $sgpr30_sgpr31
                                        ; implicit-def: $sgpr34_sgpr35
                                        ; implicit-def: $sgpr38_sgpr39
                                        ; implicit-def: $sgpr36_sgpr37
                                        ; implicit-def: $sgpr0_sgpr1
	s_branch .LBB263_591
.LBB263_590:                            ;   in Loop: Header=BB263_591 Depth=1
	s_or_b64 exec, exec, s[40:41]
	s_and_b64 s[40:41], exec, s[34:35]
	s_or_b64 s[28:29], s[40:41], s[28:29]
	s_andn2_b64 s[0:1], s[0:1], exec
	s_and_b64 s[40:41], s[36:37], exec
	s_or_b64 s[0:1], s[0:1], s[40:41]
	s_andn2_b64 s[30:31], s[30:31], exec
	s_and_b64 s[40:41], s[38:39], exec
	s_or_b64 s[30:31], s[30:31], s[40:41]
	s_andn2_b64 exec, exec, s[28:29]
	s_cbranch_execz .LBB263_593
.LBB263_591:                            ; =>This Inner Loop Header: Depth=1
	flat_load_ubyte v18, v[14:15]
	flat_load_ubyte v19, v[12:13]
	s_andn2_b64 s[38:39], s[38:39], exec
	s_andn2_b64 s[36:37], s[36:37], exec
	s_or_b64 s[34:35], s[34:35], exec
	s_waitcnt vmcnt(0) lgkmcnt(0)
	v_cmp_le_i16_sdwa s[42:43], sext(v18), sext(v19) src0_sel:BYTE_0 src1_sel:BYTE_0
	v_cmp_lt_i16_sdwa s[40:41], sext(v18), sext(v19) src0_sel:BYTE_0 src1_sel:BYTE_0
	s_and_b64 s[42:43], s[42:43], s[0:1]
	s_or_b64 s[42:43], s[40:41], s[42:43]
	s_and_b64 s[40:41], s[42:43], exec
	v_cmp_eq_u16_sdwa s[44:45], v18, v19 src0_sel:BYTE_0 src1_sel:BYTE_0
	s_or_b64 s[38:39], s[38:39], s[40:41]
	s_and_saveexec_b64 s[40:41], s[44:45]
	s_cbranch_execz .LBB263_590
; %bb.592:                              ;   in Loop: Header=BB263_591 Depth=1
	v_lshl_add_u64 v[16:17], v[16:17], 0, -1
	v_cmp_eq_u64_e64 s[0:1], 0, v[16:17]
	s_andn2_b64 s[36:37], s[36:37], exec
	s_and_b64 s[42:43], s[42:43], exec
	s_andn2_b64 s[34:35], s[34:35], exec
	s_and_b64 s[0:1], s[0:1], exec
	v_lshl_add_u64 v[12:13], v[12:13], 0, 1
	v_lshl_add_u64 v[14:15], v[14:15], 0, 1
	s_or_b64 s[36:37], s[36:37], s[42:43]
	s_andn2_b64 s[38:39], s[38:39], exec
	s_or_b64 s[34:35], s[34:35], s[0:1]
                                        ; implicit-def: $sgpr0_sgpr1
	s_branch .LBB263_590
.LBB263_593:
	s_or_b64 exec, exec, s[28:29]
	s_xor_b64 s[0:1], s[30:31], -1
	s_orn2_b64 s[0:1], s[0:1], exec
.LBB263_594:
	s_or_b64 exec, exec, s[26:27]
	s_and_b64 s[26:27], s[0:1], exec
.LBB263_595:
	s_or_b64 exec, exec, s[20:21]
	s_orn2_b64 s[20:21], s[26:27], exec
.LBB263_596:
	s_or_b64 exec, exec, s[24:25]
	v_cndmask_b32_e64 v12, v100, v97, s[20:21]
	v_cndmask_b32_e64 v13, v87, v86, s[20:21]
	v_add_u32_e32 v103, 1, v12
	v_add_u32_e32 v12, -1, v13
	v_min_u32_e32 v12, v103, v12
	v_mov_b32_e32 v13, 0
	v_lshl_add_u64 v[12:13], v[12:13], 3, v[54:55]
	flat_load_dwordx2 v[54:55], v[12:13]
	v_cndmask_b32_e64 v17, v23, v65, s[2:3]
	v_cndmask_b32_e64 v23, v20, v22, s[14:15]
	v_cndmask_b32_e64 v22, v21, v31, s[14:15]
	v_cndmask_b32_e64 v31, v103, v100, s[20:21]
	v_cndmask_b32_e64 v15, v83, v85, s[22:23]
	v_cndmask_b32_e64 v14, v84, v96, s[22:23]
	v_cndmask_b32_e64 v13, v71, v81, s[16:17]
	v_cndmask_b32_e64 v12, v80, v82, s[16:17]
	v_cndmask_b32_e64 v19, v67, v69, s[18:19]
	v_cndmask_b32_e64 v18, v68, v70, s[18:19]
	v_cndmask_b32_e64 v16, v64, v66, s[2:3]
	v_cndmask_b32_e64 v21, v3, v1, s[10:11]
	v_cndmask_b32_e64 v20, v2, v0, s[10:11]
	v_cndmask_b32_e64 v1, v98, v101, s[20:21]
	v_cndmask_b32_e64 v0, v99, v102, s[20:21]
	v_cmp_lt_u32_e64 s[0:1], v31, v87
	s_waitcnt vmcnt(0) lgkmcnt(0)
	v_cndmask_b32_e64 v3, v101, v55, s[20:21]
	v_cndmask_b32_e64 v2, v102, v54, s[20:21]
	s_and_saveexec_b64 s[2:3], s[0:1]
	s_cbranch_execz .LBB263_606
; %bb.597:
	v_cndmask_b32_e64 v31, v97, v103, s[20:21]
	v_cndmask_b32_e64 v55, v55, v98, s[20:21]
	;; [unrolled: 1-line block ×3, first 2 shown]
	v_cmp_lt_u32_e64 s[0:1], v31, v86
	s_and_saveexec_b64 s[10:11], s[0:1]
	s_cbranch_execz .LBB263_605
; %bb.598:
	s_and_saveexec_b64 s[14:15], vcc
	s_cbranch_execz .LBB263_604
; %bb.599:
	v_mad_u64_u32 v[64:65], s[0:1], v2, v6, v[8:9]
	v_mul_lo_u32 v31, v2, v7
	v_mul_lo_u32 v66, v3, v6
	v_add3_u32 v65, v66, v65, v31
	v_mad_u64_u32 v[66:67], s[0:1], v54, v6, v[8:9]
	v_mul_lo_u32 v31, v54, v7
	v_mul_lo_u32 v68, v55, v6
	v_add3_u32 v67, v68, v67, v31
	s_mov_b64 s[16:17], 0
	v_mov_b64_e32 v[68:69], v[6:7]
                                        ; implicit-def: $sgpr18_sgpr19
                                        ; implicit-def: $sgpr20_sgpr21
                                        ; implicit-def: $sgpr24_sgpr25
                                        ; implicit-def: $sgpr22_sgpr23
                                        ; implicit-def: $sgpr0_sgpr1
	s_branch .LBB263_601
.LBB263_600:                            ;   in Loop: Header=BB263_601 Depth=1
	s_or_b64 exec, exec, s[26:27]
	s_and_b64 s[26:27], exec, s[20:21]
	s_or_b64 s[16:17], s[26:27], s[16:17]
	s_andn2_b64 s[0:1], s[0:1], exec
	s_and_b64 s[26:27], s[22:23], exec
	s_or_b64 s[0:1], s[0:1], s[26:27]
	s_andn2_b64 s[18:19], s[18:19], exec
	s_and_b64 s[26:27], s[24:25], exec
	s_or_b64 s[18:19], s[18:19], s[26:27]
	s_andn2_b64 exec, exec, s[16:17]
	s_cbranch_execz .LBB263_603
.LBB263_601:                            ; =>This Inner Loop Header: Depth=1
	flat_load_ubyte v31, v[66:67]
	flat_load_ubyte v70, v[64:65]
	s_andn2_b64 s[24:25], s[24:25], exec
	s_andn2_b64 s[22:23], s[22:23], exec
	s_or_b64 s[20:21], s[20:21], exec
	s_waitcnt vmcnt(0) lgkmcnt(0)
	v_cmp_le_i16_sdwa s[28:29], sext(v31), sext(v70) src0_sel:BYTE_0 src1_sel:BYTE_0
	v_cmp_lt_i16_sdwa s[26:27], sext(v31), sext(v70) src0_sel:BYTE_0 src1_sel:BYTE_0
	s_and_b64 s[28:29], s[28:29], s[0:1]
	s_or_b64 s[28:29], s[26:27], s[28:29]
	s_and_b64 s[26:27], s[28:29], exec
	v_cmp_eq_u16_sdwa s[30:31], v31, v70 src0_sel:BYTE_0 src1_sel:BYTE_0
	s_or_b64 s[24:25], s[24:25], s[26:27]
	s_and_saveexec_b64 s[26:27], s[30:31]
	s_cbranch_execz .LBB263_600
; %bb.602:                              ;   in Loop: Header=BB263_601 Depth=1
	v_lshl_add_u64 v[68:69], v[68:69], 0, -1
	v_cmp_eq_u64_e64 s[0:1], 0, v[68:69]
	s_andn2_b64 s[22:23], s[22:23], exec
	s_and_b64 s[28:29], s[28:29], exec
	s_andn2_b64 s[20:21], s[20:21], exec
	s_and_b64 s[0:1], s[0:1], exec
	v_lshl_add_u64 v[64:65], v[64:65], 0, 1
	v_lshl_add_u64 v[66:67], v[66:67], 0, 1
	s_or_b64 s[22:23], s[22:23], s[28:29]
	s_andn2_b64 s[24:25], s[24:25], exec
	s_or_b64 s[20:21], s[20:21], s[0:1]
                                        ; implicit-def: $sgpr0_sgpr1
	s_branch .LBB263_600
.LBB263_603:
	s_or_b64 exec, exec, s[16:17]
	v_cndmask_b32_e64 v3, v3, v55, s[18:19]
	v_cndmask_b32_e64 v2, v2, v54, s[18:19]
.LBB263_604:
	s_or_b64 exec, exec, s[14:15]
	v_mov_b64_e32 v[54:55], v[2:3]
.LBB263_605:
	s_or_b64 exec, exec, s[10:11]
	v_mov_b64_e32 v[2:3], v[54:55]
.LBB263_606:
	s_or_b64 exec, exec, s[2:3]
.LBB263_607:
	s_or_b64 exec, exec, s[6:7]
	v_lshlrev_b32_e32 v54, 3, v30
	v_mov_b32_e32 v55, 0
	v_lshl_add_u64 v[64:65], v[10:11], 0, v[54:55]
	s_movk_i32 s46, 0x80
	; wave barrier
	s_waitcnt lgkmcnt(0)
	s_barrier
.LBB263_608:                            ; =>This Loop Header: Depth=1
                                        ;     Child Loop BB263_612 Depth 2
                                        ;       Child Loop BB263_615 Depth 3
                                        ;     Child Loop BB263_627 Depth 2
                                        ;     Child Loop BB263_636 Depth 2
                                        ;     Child Loop BB263_646 Depth 2
                                        ;     Child Loop BB263_656 Depth 2
                                        ;     Child Loop BB263_666 Depth 2
                                        ;     Child Loop BB263_676 Depth 2
                                        ;     Child Loop BB263_686 Depth 2
                                        ;     Child Loop BB263_696 Depth 2
	s_lshl_b32 s47, s46, 1
	s_sub_i32 s1, 0, s47
	v_and_b32_e32 v87, s1, v30
	v_add_u32_e32 v31, s46, v87
	v_min_u32_e32 v31, 0x800, v31
	s_add_i32 s0, s47, -1
	v_add_u32_e32 v54, s46, v31
	v_min_u32_e32 v86, 0x800, v54
	v_and_b32_e32 v54, s0, v30
	v_min_u32_e32 v96, 0x800, v54
	v_sub_u32_e32 v54, v31, v87
	v_sub_u32_e32 v66, v86, v31
	v_sub_u32_e64 v97, v96, v66 clamp
	v_min_u32_e32 v98, v96, v54
	v_cmp_lt_u32_e64 s[0:1], v97, v98
	flat_store_dwordx4 v[64:65], v[20:23]
	flat_store_dwordx4 v[64:65], v[16:19] offset:16
	flat_store_dwordx4 v[64:65], v[12:15] offset:32
	;; [unrolled: 1-line block ×3, first 2 shown]
	s_waitcnt lgkmcnt(0)
	s_barrier
	s_and_saveexec_b64 s[2:3], s[0:1]
	s_cbranch_execz .LBB263_618
; %bb.609:                              ;   in Loop: Header=BB263_608 Depth=1
	v_lshlrev_b32_e32 v54, 3, v87
	v_lshl_add_u64 v[66:67], v[10:11], 0, v[54:55]
	v_lshlrev_b32_e32 v54, 3, v31
	v_lshl_add_u64 v[68:69], v[10:11], 0, v[54:55]
	s_mov_b64 s[6:7], 0
	s_branch .LBB263_612
.LBB263_610:                            ;   in Loop: Header=BB263_612 Depth=2
	s_or_b64 exec, exec, s[14:15]
	s_and_b64 s[0:1], s[16:17], exec
.LBB263_611:                            ;   in Loop: Header=BB263_612 Depth=2
	s_or_b64 exec, exec, s[10:11]
	v_add_u32_e32 v54, 1, v70
	v_cndmask_b32_e64 v98, v98, v70, s[0:1]
	v_cndmask_b32_e64 v97, v54, v97, s[0:1]
	v_cmp_ge_u32_e64 s[0:1], v97, v98
	s_or_b64 s[6:7], s[0:1], s[6:7]
	s_andn2_b64 exec, exec, s[6:7]
	s_cbranch_execz .LBB263_617
.LBB263_612:                            ;   Parent Loop BB263_608 Depth=1
                                        ; =>  This Loop Header: Depth=2
                                        ;       Child Loop BB263_615 Depth 3
	v_add_u32_e32 v54, v98, v97
	v_lshrrev_b32_e32 v70, 1, v54
	s_mov_b64 s[0:1], 0
	s_and_saveexec_b64 s[10:11], vcc
	s_cbranch_execz .LBB263_611
; %bb.613:                              ;   in Loop: Header=BB263_612 Depth=2
	v_mov_b32_e32 v71, v55
	v_xad_u32 v54, v70, -1, v96
	v_lshl_add_u64 v[80:81], v[70:71], 3, v[66:67]
	v_lshl_add_u64 v[82:83], v[54:55], 3, v[68:69]
	flat_load_dwordx2 v[80:81], v[80:81]
	s_mov_b64 s[14:15], 0
	flat_load_dwordx2 v[82:83], v[82:83]
                                        ; implicit-def: $sgpr16_sgpr17
                                        ; implicit-def: $sgpr18_sgpr19
                                        ; implicit-def: $sgpr20_sgpr21
                                        ; implicit-def: $sgpr22_sgpr23
                                        ; implicit-def: $sgpr0_sgpr1
	s_waitcnt vmcnt(0) lgkmcnt(0)
	v_mul_lo_u32 v54, v80, v7
	v_mul_lo_u32 v71, v81, v6
	v_mad_u64_u32 v[80:81], s[24:25], v80, v6, v[8:9]
	v_mul_lo_u32 v84, v82, v7
	v_mul_lo_u32 v85, v83, v6
	v_mad_u64_u32 v[82:83], s[24:25], v82, v6, v[8:9]
	v_add3_u32 v81, v71, v81, v54
	v_add3_u32 v83, v85, v83, v84
	v_mov_b64_e32 v[84:85], v[6:7]
	s_branch .LBB263_615
.LBB263_614:                            ;   in Loop: Header=BB263_615 Depth=3
	s_or_b64 exec, exec, s[24:25]
	s_and_b64 s[24:25], exec, s[18:19]
	s_or_b64 s[14:15], s[24:25], s[14:15]
	s_andn2_b64 s[0:1], s[0:1], exec
	s_and_b64 s[24:25], s[20:21], exec
	s_or_b64 s[0:1], s[0:1], s[24:25]
	s_andn2_b64 s[16:17], s[16:17], exec
	s_and_b64 s[24:25], s[22:23], exec
	s_or_b64 s[16:17], s[16:17], s[24:25]
	s_andn2_b64 exec, exec, s[14:15]
	s_cbranch_execz .LBB263_610
.LBB263_615:                            ;   Parent Loop BB263_608 Depth=1
                                        ;     Parent Loop BB263_612 Depth=2
                                        ; =>    This Inner Loop Header: Depth=3
	flat_load_ubyte v54, v[82:83]
	flat_load_ubyte v71, v[80:81]
	s_andn2_b64 s[22:23], s[22:23], exec
	s_andn2_b64 s[20:21], s[20:21], exec
	s_or_b64 s[18:19], s[18:19], exec
	s_waitcnt vmcnt(0) lgkmcnt(0)
	v_cmp_le_i16_sdwa s[26:27], sext(v54), sext(v71) src0_sel:BYTE_0 src1_sel:BYTE_0
	v_cmp_lt_i16_sdwa s[24:25], sext(v54), sext(v71) src0_sel:BYTE_0 src1_sel:BYTE_0
	s_and_b64 s[26:27], s[26:27], s[0:1]
	s_or_b64 s[26:27], s[24:25], s[26:27]
	s_and_b64 s[24:25], s[26:27], exec
	v_cmp_eq_u16_sdwa s[28:29], v54, v71 src0_sel:BYTE_0 src1_sel:BYTE_0
	s_or_b64 s[22:23], s[22:23], s[24:25]
	s_and_saveexec_b64 s[24:25], s[28:29]
	s_cbranch_execz .LBB263_614
; %bb.616:                              ;   in Loop: Header=BB263_615 Depth=3
	v_lshl_add_u64 v[84:85], v[84:85], 0, -1
	v_cmp_eq_u64_e64 s[0:1], 0, v[84:85]
	s_andn2_b64 s[20:21], s[20:21], exec
	s_and_b64 s[26:27], s[26:27], exec
	s_andn2_b64 s[18:19], s[18:19], exec
	s_and_b64 s[0:1], s[0:1], exec
	v_lshl_add_u64 v[80:81], v[80:81], 0, 1
	v_lshl_add_u64 v[82:83], v[82:83], 0, 1
	s_andn2_b64 s[22:23], s[22:23], exec
	s_or_b64 s[20:21], s[20:21], s[26:27]
	s_or_b64 s[18:19], s[18:19], s[0:1]
                                        ; implicit-def: $sgpr0_sgpr1
	s_branch .LBB263_614
.LBB263_617:                            ;   in Loop: Header=BB263_608 Depth=1
	s_or_b64 exec, exec, s[6:7]
.LBB263_618:                            ;   in Loop: Header=BB263_608 Depth=1
	s_or_b64 exec, exec, s[2:3]
	v_sub_u32_e32 v54, v96, v97
	v_add_u32_e32 v66, v97, v87
	v_add_u32_e32 v68, v54, v31
	v_cmp_le_u32_e64 s[0:1], v66, v31
	v_cmp_le_u32_e64 s[2:3], v68, v86
	s_or_b64 s[0:1], s[0:1], s[2:3]
	s_and_saveexec_b64 s[6:7], s[0:1]
	s_cbranch_execz .LBB263_702
; %bb.619:                              ;   in Loop: Header=BB263_608 Depth=1
	v_cmp_ge_u32_e64 s[0:1], v66, v31
	v_cmp_lt_u32_e64 s[2:3], v66, v31
                                        ; implicit-def: $vgpr0_vgpr1
	s_and_saveexec_b64 s[10:11], s[2:3]
	s_cbranch_execz .LBB263_621
; %bb.620:                              ;   in Loop: Header=BB263_608 Depth=1
	v_mov_b32_e32 v67, v55
	v_lshl_add_u64 v[0:1], v[66:67], 3, v[10:11]
	flat_load_dwordx2 v[0:1], v[0:1]
.LBB263_621:                            ;   in Loop: Header=BB263_608 Depth=1
	s_or_b64 exec, exec, s[10:11]
	v_cmp_ge_u32_e64 s[10:11], v68, v86
	v_cmp_lt_u32_e64 s[2:3], v68, v86
                                        ; implicit-def: $vgpr20_vgpr21
	s_and_saveexec_b64 s[14:15], s[2:3]
	s_cbranch_execz .LBB263_623
; %bb.622:                              ;   in Loop: Header=BB263_608 Depth=1
	v_mov_b32_e32 v69, v55
	v_lshl_add_u64 v[2:3], v[68:69], 3, v[10:11]
	flat_load_dwordx2 v[20:21], v[2:3]
.LBB263_623:                            ;   in Loop: Header=BB263_608 Depth=1
	s_or_b64 exec, exec, s[14:15]
	s_or_b64 s[0:1], s[0:1], s[10:11]
	s_xor_b64 s[0:1], s[0:1], -1
	s_and_saveexec_b64 s[2:3], s[0:1]
	s_cbranch_execz .LBB263_631
; %bb.624:                              ;   in Loop: Header=BB263_608 Depth=1
	s_mov_b64 s[0:1], 0
	s_and_saveexec_b64 s[14:15], vcc
	s_cbranch_execz .LBB263_630
; %bb.625:                              ;   in Loop: Header=BB263_608 Depth=1
	s_waitcnt vmcnt(0) lgkmcnt(0)
	v_mad_u64_u32 v[2:3], s[0:1], v0, v6, v[8:9]
	v_mul_lo_u32 v12, v0, v7
	v_mul_lo_u32 v13, v1, v6
	v_add3_u32 v3, v13, v3, v12
	v_mad_u64_u32 v[12:13], s[0:1], v20, v6, v[8:9]
	v_mul_lo_u32 v14, v20, v7
	v_mul_lo_u32 v15, v21, v6
	v_add3_u32 v13, v15, v13, v14
	s_mov_b64 s[16:17], 0
	v_mov_b64_e32 v[14:15], v[6:7]
                                        ; implicit-def: $sgpr18_sgpr19
                                        ; implicit-def: $sgpr20_sgpr21
                                        ; implicit-def: $sgpr22_sgpr23
                                        ; implicit-def: $sgpr24_sgpr25
                                        ; implicit-def: $sgpr0_sgpr1
	s_branch .LBB263_627
.LBB263_626:                            ;   in Loop: Header=BB263_627 Depth=2
	s_or_b64 exec, exec, s[26:27]
	s_and_b64 s[26:27], exec, s[20:21]
	s_or_b64 s[16:17], s[26:27], s[16:17]
	s_andn2_b64 s[0:1], s[0:1], exec
	s_and_b64 s[26:27], s[22:23], exec
	s_or_b64 s[0:1], s[0:1], s[26:27]
	s_andn2_b64 s[18:19], s[18:19], exec
	s_and_b64 s[26:27], s[24:25], exec
	s_or_b64 s[18:19], s[18:19], s[26:27]
	s_andn2_b64 exec, exec, s[16:17]
	s_cbranch_execz .LBB263_629
.LBB263_627:                            ;   Parent Loop BB263_608 Depth=1
                                        ; =>  This Inner Loop Header: Depth=2
	flat_load_ubyte v16, v[12:13]
	flat_load_ubyte v17, v[2:3]
	s_andn2_b64 s[24:25], s[24:25], exec
	s_andn2_b64 s[22:23], s[22:23], exec
	s_or_b64 s[20:21], s[20:21], exec
	s_waitcnt vmcnt(0) lgkmcnt(0)
	v_cmp_le_i16_sdwa s[28:29], sext(v16), sext(v17) src0_sel:BYTE_0 src1_sel:BYTE_0
	v_cmp_lt_i16_sdwa s[26:27], sext(v16), sext(v17) src0_sel:BYTE_0 src1_sel:BYTE_0
	s_and_b64 s[28:29], s[28:29], s[0:1]
	s_or_b64 s[28:29], s[26:27], s[28:29]
	s_and_b64 s[26:27], s[28:29], exec
	v_cmp_eq_u16_sdwa s[30:31], v16, v17 src0_sel:BYTE_0 src1_sel:BYTE_0
	s_or_b64 s[24:25], s[24:25], s[26:27]
	s_and_saveexec_b64 s[26:27], s[30:31]
	s_cbranch_execz .LBB263_626
; %bb.628:                              ;   in Loop: Header=BB263_627 Depth=2
	v_lshl_add_u64 v[14:15], v[14:15], 0, -1
	v_cmp_eq_u64_e64 s[0:1], 0, v[14:15]
	s_andn2_b64 s[22:23], s[22:23], exec
	s_and_b64 s[28:29], s[28:29], exec
	s_andn2_b64 s[20:21], s[20:21], exec
	s_and_b64 s[0:1], s[0:1], exec
	v_lshl_add_u64 v[2:3], v[2:3], 0, 1
	v_lshl_add_u64 v[12:13], v[12:13], 0, 1
	s_andn2_b64 s[24:25], s[24:25], exec
	s_or_b64 s[22:23], s[22:23], s[28:29]
	s_or_b64 s[20:21], s[20:21], s[0:1]
                                        ; implicit-def: $sgpr0_sgpr1
	s_branch .LBB263_626
.LBB263_629:                            ;   in Loop: Header=BB263_608 Depth=1
	s_or_b64 exec, exec, s[16:17]
	s_and_b64 s[0:1], s[18:19], exec
.LBB263_630:                            ;   in Loop: Header=BB263_608 Depth=1
	s_or_b64 exec, exec, s[14:15]
	s_xor_b64 s[0:1], s[0:1], -1
	s_andn2_b64 s[10:11], s[10:11], exec
	s_and_b64 s[0:1], s[0:1], exec
	s_or_b64 s[10:11], s[10:11], s[0:1]
.LBB263_631:                            ;   in Loop: Header=BB263_608 Depth=1
	s_or_b64 exec, exec, s[2:3]
	v_cndmask_b32_e64 v2, v68, v66, s[10:11]
	v_cndmask_b32_e64 v3, v86, v31, s[10:11]
	v_add_u32_e32 v12, 1, v2
	v_add_u32_e32 v2, -1, v3
	v_min_u32_e32 v54, v12, v2
	v_lshl_add_u64 v[2:3], v[54:55], 3, v[10:11]
	flat_load_dwordx2 v[2:3], v[2:3]
	v_cndmask_b32_e64 v16, v12, v68, s[10:11]
	s_mov_b64 s[2:3], -1
	v_cndmask_b32_e64 v17, v66, v12, s[10:11]
	v_cmp_lt_u32_e64 s[0:1], v16, v86
	s_mov_b64 s[14:15], -1
	s_waitcnt vmcnt(0) lgkmcnt(0)
	v_cndmask_b32_e64 v22, v3, v21, s[10:11]
	v_cndmask_b32_e64 v66, v2, v20, s[10:11]
	;; [unrolled: 1-line block ×4, first 2 shown]
	s_and_saveexec_b64 s[16:17], s[0:1]
	s_cbranch_execz .LBB263_641
; %bb.632:                              ;   in Loop: Header=BB263_608 Depth=1
	v_cmp_lt_u32_e64 s[0:1], v17, v31
	s_mov_b64 s[18:19], 0
	s_and_saveexec_b64 s[14:15], s[0:1]
	s_cbranch_execz .LBB263_640
; %bb.633:                              ;   in Loop: Header=BB263_608 Depth=1
	s_mov_b64 s[0:1], 0
	s_and_saveexec_b64 s[18:19], vcc
	s_cbranch_execz .LBB263_639
; %bb.634:                              ;   in Loop: Header=BB263_608 Depth=1
	v_mad_u64_u32 v[2:3], s[0:1], v67, v6, v[8:9]
	v_mul_lo_u32 v12, v67, v7
	v_mul_lo_u32 v13, v23, v6
	v_add3_u32 v3, v13, v3, v12
	v_mad_u64_u32 v[12:13], s[0:1], v66, v6, v[8:9]
	v_mul_lo_u32 v14, v66, v7
	v_mul_lo_u32 v15, v22, v6
	v_add3_u32 v13, v15, v13, v14
	s_mov_b64 s[20:21], 0
	v_mov_b64_e32 v[14:15], v[6:7]
                                        ; implicit-def: $sgpr22_sgpr23
                                        ; implicit-def: $sgpr24_sgpr25
                                        ; implicit-def: $sgpr26_sgpr27
                                        ; implicit-def: $sgpr28_sgpr29
                                        ; implicit-def: $sgpr0_sgpr1
	s_branch .LBB263_636
.LBB263_635:                            ;   in Loop: Header=BB263_636 Depth=2
	s_or_b64 exec, exec, s[30:31]
	s_and_b64 s[30:31], exec, s[24:25]
	s_or_b64 s[20:21], s[30:31], s[20:21]
	s_andn2_b64 s[0:1], s[0:1], exec
	s_and_b64 s[30:31], s[26:27], exec
	s_or_b64 s[0:1], s[0:1], s[30:31]
	s_andn2_b64 s[22:23], s[22:23], exec
	s_and_b64 s[30:31], s[28:29], exec
	s_or_b64 s[22:23], s[22:23], s[30:31]
	s_andn2_b64 exec, exec, s[20:21]
	s_cbranch_execz .LBB263_638
.LBB263_636:                            ;   Parent Loop BB263_608 Depth=1
                                        ; =>  This Inner Loop Header: Depth=2
	flat_load_ubyte v18, v[12:13]
	flat_load_ubyte v19, v[2:3]
	s_andn2_b64 s[28:29], s[28:29], exec
	s_andn2_b64 s[26:27], s[26:27], exec
	s_or_b64 s[24:25], s[24:25], exec
	s_waitcnt vmcnt(0) lgkmcnt(0)
	v_cmp_le_i16_sdwa s[34:35], sext(v18), sext(v19) src0_sel:BYTE_0 src1_sel:BYTE_0
	v_cmp_lt_i16_sdwa s[30:31], sext(v18), sext(v19) src0_sel:BYTE_0 src1_sel:BYTE_0
	s_and_b64 s[34:35], s[34:35], s[0:1]
	s_or_b64 s[34:35], s[30:31], s[34:35]
	s_and_b64 s[30:31], s[34:35], exec
	v_cmp_eq_u16_sdwa s[36:37], v18, v19 src0_sel:BYTE_0 src1_sel:BYTE_0
	s_or_b64 s[28:29], s[28:29], s[30:31]
	s_and_saveexec_b64 s[30:31], s[36:37]
	s_cbranch_execz .LBB263_635
; %bb.637:                              ;   in Loop: Header=BB263_636 Depth=2
	v_lshl_add_u64 v[14:15], v[14:15], 0, -1
	v_cmp_eq_u64_e64 s[0:1], 0, v[14:15]
	s_andn2_b64 s[26:27], s[26:27], exec
	s_and_b64 s[34:35], s[34:35], exec
	s_andn2_b64 s[24:25], s[24:25], exec
	s_and_b64 s[0:1], s[0:1], exec
	v_lshl_add_u64 v[2:3], v[2:3], 0, 1
	v_lshl_add_u64 v[12:13], v[12:13], 0, 1
	s_andn2_b64 s[28:29], s[28:29], exec
	s_or_b64 s[26:27], s[26:27], s[34:35]
	s_or_b64 s[24:25], s[24:25], s[0:1]
                                        ; implicit-def: $sgpr0_sgpr1
	s_branch .LBB263_635
.LBB263_638:                            ;   in Loop: Header=BB263_608 Depth=1
	s_or_b64 exec, exec, s[20:21]
	s_and_b64 s[0:1], s[22:23], exec
.LBB263_639:                            ;   in Loop: Header=BB263_608 Depth=1
	s_or_b64 exec, exec, s[18:19]
	s_xor_b64 s[0:1], s[0:1], -1
	s_and_b64 s[18:19], s[0:1], exec
.LBB263_640:                            ;   in Loop: Header=BB263_608 Depth=1
	s_or_b64 exec, exec, s[14:15]
	s_orn2_b64 s[14:15], s[18:19], exec
.LBB263_641:                            ;   in Loop: Header=BB263_608 Depth=1
	s_or_b64 exec, exec, s[16:17]
	v_cndmask_b32_e64 v2, v16, v17, s[14:15]
	v_cndmask_b32_e64 v3, v86, v31, s[14:15]
	v_add_u32_e32 v12, 1, v2
	v_add_u32_e32 v2, -1, v3
	v_min_u32_e32 v54, v12, v2
	v_lshl_add_u64 v[2:3], v[54:55], 3, v[10:11]
	flat_load_dwordx2 v[2:3], v[2:3]
	v_cndmask_b32_e64 v16, v12, v16, s[14:15]
	v_cndmask_b32_e64 v17, v17, v12, s[14:15]
	v_cmp_lt_u32_e64 s[0:1], v16, v86
	s_waitcnt vmcnt(0) lgkmcnt(0)
	v_cndmask_b32_e64 v68, v3, v22, s[14:15]
	v_cndmask_b32_e64 v69, v2, v66, s[14:15]
	;; [unrolled: 1-line block ×4, first 2 shown]
	s_and_saveexec_b64 s[16:17], s[0:1]
	s_cbranch_execz .LBB263_651
; %bb.642:                              ;   in Loop: Header=BB263_608 Depth=1
	v_cmp_lt_u32_e64 s[0:1], v17, v31
	s_mov_b64 s[18:19], 0
	s_and_saveexec_b64 s[2:3], s[0:1]
	s_cbranch_execz .LBB263_650
; %bb.643:                              ;   in Loop: Header=BB263_608 Depth=1
	s_mov_b64 s[0:1], 0
	s_and_saveexec_b64 s[18:19], vcc
	s_cbranch_execz .LBB263_649
; %bb.644:                              ;   in Loop: Header=BB263_608 Depth=1
	v_mad_u64_u32 v[2:3], s[0:1], v71, v6, v[8:9]
	v_mul_lo_u32 v12, v71, v7
	v_mul_lo_u32 v13, v70, v6
	v_add3_u32 v3, v13, v3, v12
	v_mad_u64_u32 v[12:13], s[0:1], v69, v6, v[8:9]
	v_mul_lo_u32 v14, v69, v7
	v_mul_lo_u32 v15, v68, v6
	v_add3_u32 v13, v15, v13, v14
	s_mov_b64 s[20:21], 0
	v_mov_b64_e32 v[14:15], v[6:7]
                                        ; implicit-def: $sgpr22_sgpr23
                                        ; implicit-def: $sgpr24_sgpr25
                                        ; implicit-def: $sgpr26_sgpr27
                                        ; implicit-def: $sgpr28_sgpr29
                                        ; implicit-def: $sgpr0_sgpr1
	s_branch .LBB263_646
.LBB263_645:                            ;   in Loop: Header=BB263_646 Depth=2
	s_or_b64 exec, exec, s[30:31]
	s_and_b64 s[30:31], exec, s[24:25]
	s_or_b64 s[20:21], s[30:31], s[20:21]
	s_andn2_b64 s[0:1], s[0:1], exec
	s_and_b64 s[30:31], s[26:27], exec
	s_or_b64 s[0:1], s[0:1], s[30:31]
	s_andn2_b64 s[22:23], s[22:23], exec
	s_and_b64 s[30:31], s[28:29], exec
	s_or_b64 s[22:23], s[22:23], s[30:31]
	s_andn2_b64 exec, exec, s[20:21]
	s_cbranch_execz .LBB263_648
.LBB263_646:                            ;   Parent Loop BB263_608 Depth=1
                                        ; =>  This Inner Loop Header: Depth=2
	flat_load_ubyte v18, v[12:13]
	flat_load_ubyte v19, v[2:3]
	s_andn2_b64 s[28:29], s[28:29], exec
	s_andn2_b64 s[26:27], s[26:27], exec
	s_or_b64 s[24:25], s[24:25], exec
	s_waitcnt vmcnt(0) lgkmcnt(0)
	v_cmp_le_i16_sdwa s[34:35], sext(v18), sext(v19) src0_sel:BYTE_0 src1_sel:BYTE_0
	v_cmp_lt_i16_sdwa s[30:31], sext(v18), sext(v19) src0_sel:BYTE_0 src1_sel:BYTE_0
	s_and_b64 s[34:35], s[34:35], s[0:1]
	s_or_b64 s[34:35], s[30:31], s[34:35]
	s_and_b64 s[30:31], s[34:35], exec
	v_cmp_eq_u16_sdwa s[36:37], v18, v19 src0_sel:BYTE_0 src1_sel:BYTE_0
	s_or_b64 s[28:29], s[28:29], s[30:31]
	s_and_saveexec_b64 s[30:31], s[36:37]
	s_cbranch_execz .LBB263_645
; %bb.647:                              ;   in Loop: Header=BB263_646 Depth=2
	v_lshl_add_u64 v[14:15], v[14:15], 0, -1
	v_cmp_eq_u64_e64 s[0:1], 0, v[14:15]
	s_andn2_b64 s[26:27], s[26:27], exec
	s_and_b64 s[34:35], s[34:35], exec
	s_andn2_b64 s[24:25], s[24:25], exec
	s_and_b64 s[0:1], s[0:1], exec
	v_lshl_add_u64 v[2:3], v[2:3], 0, 1
	v_lshl_add_u64 v[12:13], v[12:13], 0, 1
	s_andn2_b64 s[28:29], s[28:29], exec
	s_or_b64 s[26:27], s[26:27], s[34:35]
	s_or_b64 s[24:25], s[24:25], s[0:1]
                                        ; implicit-def: $sgpr0_sgpr1
	s_branch .LBB263_645
.LBB263_648:                            ;   in Loop: Header=BB263_608 Depth=1
	s_or_b64 exec, exec, s[20:21]
	s_and_b64 s[0:1], s[22:23], exec
.LBB263_649:                            ;   in Loop: Header=BB263_608 Depth=1
	s_or_b64 exec, exec, s[18:19]
	s_xor_b64 s[0:1], s[0:1], -1
	s_and_b64 s[18:19], s[0:1], exec
.LBB263_650:                            ;   in Loop: Header=BB263_608 Depth=1
	s_or_b64 exec, exec, s[2:3]
	s_orn2_b64 s[2:3], s[18:19], exec
.LBB263_651:                            ;   in Loop: Header=BB263_608 Depth=1
	s_or_b64 exec, exec, s[16:17]
	v_cndmask_b32_e64 v2, v16, v17, s[2:3]
	v_cndmask_b32_e64 v3, v86, v31, s[2:3]
	v_add_u32_e32 v12, 1, v2
	v_add_u32_e32 v2, -1, v3
	v_min_u32_e32 v54, v12, v2
	v_lshl_add_u64 v[2:3], v[54:55], 3, v[10:11]
	flat_load_dwordx2 v[2:3], v[2:3]
	v_cndmask_b32_e64 v16, v12, v16, s[2:3]
	s_mov_b64 s[16:17], -1
	v_cndmask_b32_e64 v17, v17, v12, s[2:3]
	v_cmp_lt_u32_e64 s[0:1], v16, v86
	s_mov_b64 s[18:19], -1
	s_waitcnt vmcnt(0) lgkmcnt(0)
	v_cndmask_b32_e64 v80, v3, v68, s[2:3]
	v_cndmask_b32_e64 v81, v2, v69, s[2:3]
	v_cndmask_b32_e64 v82, v70, v3, s[2:3]
	v_cndmask_b32_e64 v83, v71, v2, s[2:3]
	s_and_saveexec_b64 s[20:21], s[0:1]
	s_cbranch_execz .LBB263_661
; %bb.652:                              ;   in Loop: Header=BB263_608 Depth=1
	v_cmp_lt_u32_e64 s[0:1], v17, v31
	s_mov_b64 s[22:23], 0
	s_and_saveexec_b64 s[18:19], s[0:1]
	s_cbranch_execz .LBB263_660
; %bb.653:                              ;   in Loop: Header=BB263_608 Depth=1
	s_mov_b64 s[0:1], -1
	s_and_saveexec_b64 s[22:23], vcc
	s_cbranch_execz .LBB263_659
; %bb.654:                              ;   in Loop: Header=BB263_608 Depth=1
	v_mad_u64_u32 v[2:3], s[0:1], v83, v6, v[8:9]
	v_mul_lo_u32 v12, v83, v7
	v_mul_lo_u32 v13, v82, v6
	v_add3_u32 v3, v13, v3, v12
	v_mad_u64_u32 v[12:13], s[0:1], v81, v6, v[8:9]
	v_mul_lo_u32 v14, v81, v7
	v_mul_lo_u32 v15, v80, v6
	v_add3_u32 v13, v15, v13, v14
	s_mov_b64 s[24:25], 0
	v_mov_b64_e32 v[14:15], v[6:7]
                                        ; implicit-def: $sgpr26_sgpr27
                                        ; implicit-def: $sgpr28_sgpr29
                                        ; implicit-def: $sgpr34_sgpr35
                                        ; implicit-def: $sgpr30_sgpr31
                                        ; implicit-def: $sgpr0_sgpr1
	s_branch .LBB263_656
.LBB263_655:                            ;   in Loop: Header=BB263_656 Depth=2
	s_or_b64 exec, exec, s[36:37]
	s_and_b64 s[36:37], exec, s[28:29]
	s_or_b64 s[24:25], s[36:37], s[24:25]
	s_andn2_b64 s[0:1], s[0:1], exec
	s_and_b64 s[36:37], s[30:31], exec
	s_or_b64 s[0:1], s[0:1], s[36:37]
	s_andn2_b64 s[26:27], s[26:27], exec
	s_and_b64 s[36:37], s[34:35], exec
	s_or_b64 s[26:27], s[26:27], s[36:37]
	s_andn2_b64 exec, exec, s[24:25]
	s_cbranch_execz .LBB263_658
.LBB263_656:                            ;   Parent Loop BB263_608 Depth=1
                                        ; =>  This Inner Loop Header: Depth=2
	flat_load_ubyte v18, v[12:13]
	flat_load_ubyte v19, v[2:3]
	s_andn2_b64 s[34:35], s[34:35], exec
	s_andn2_b64 s[30:31], s[30:31], exec
	s_or_b64 s[28:29], s[28:29], exec
	s_waitcnt vmcnt(0) lgkmcnt(0)
	v_cmp_le_i16_sdwa s[38:39], sext(v18), sext(v19) src0_sel:BYTE_0 src1_sel:BYTE_0
	v_cmp_lt_i16_sdwa s[36:37], sext(v18), sext(v19) src0_sel:BYTE_0 src1_sel:BYTE_0
	s_and_b64 s[38:39], s[38:39], s[0:1]
	s_or_b64 s[38:39], s[36:37], s[38:39]
	s_and_b64 s[36:37], s[38:39], exec
	v_cmp_eq_u16_sdwa s[40:41], v18, v19 src0_sel:BYTE_0 src1_sel:BYTE_0
	s_or_b64 s[34:35], s[34:35], s[36:37]
	s_and_saveexec_b64 s[36:37], s[40:41]
	s_cbranch_execz .LBB263_655
; %bb.657:                              ;   in Loop: Header=BB263_656 Depth=2
	v_lshl_add_u64 v[14:15], v[14:15], 0, -1
	v_cmp_eq_u64_e64 s[0:1], 0, v[14:15]
	s_andn2_b64 s[30:31], s[30:31], exec
	s_and_b64 s[38:39], s[38:39], exec
	s_andn2_b64 s[28:29], s[28:29], exec
	s_and_b64 s[0:1], s[0:1], exec
	v_lshl_add_u64 v[2:3], v[2:3], 0, 1
	v_lshl_add_u64 v[12:13], v[12:13], 0, 1
	s_or_b64 s[30:31], s[30:31], s[38:39]
	s_andn2_b64 s[34:35], s[34:35], exec
	s_or_b64 s[28:29], s[28:29], s[0:1]
                                        ; implicit-def: $sgpr0_sgpr1
	s_branch .LBB263_655
.LBB263_658:                            ;   in Loop: Header=BB263_608 Depth=1
	s_or_b64 exec, exec, s[24:25]
	s_xor_b64 s[0:1], s[26:27], -1
	s_orn2_b64 s[0:1], s[0:1], exec
.LBB263_659:                            ;   in Loop: Header=BB263_608 Depth=1
	s_or_b64 exec, exec, s[22:23]
	s_and_b64 s[22:23], s[0:1], exec
.LBB263_660:                            ;   in Loop: Header=BB263_608 Depth=1
	s_or_b64 exec, exec, s[18:19]
	s_orn2_b64 s[18:19], s[22:23], exec
.LBB263_661:                            ;   in Loop: Header=BB263_608 Depth=1
	s_or_b64 exec, exec, s[20:21]
	v_cndmask_b32_e64 v2, v16, v17, s[18:19]
	v_cndmask_b32_e64 v3, v86, v31, s[18:19]
	v_add_u32_e32 v12, 1, v2
	v_add_u32_e32 v2, -1, v3
	v_min_u32_e32 v54, v12, v2
	v_lshl_add_u64 v[2:3], v[54:55], 3, v[10:11]
	flat_load_dwordx2 v[2:3], v[2:3]
	v_cndmask_b32_e64 v16, v12, v16, s[18:19]
	v_cndmask_b32_e64 v17, v17, v12, s[18:19]
	v_cmp_lt_u32_e64 s[0:1], v16, v86
	s_waitcnt vmcnt(0) lgkmcnt(0)
	v_cndmask_b32_e64 v84, v3, v80, s[18:19]
	v_cndmask_b32_e64 v85, v2, v81, s[18:19]
	;; [unrolled: 1-line block ×4, first 2 shown]
	s_and_saveexec_b64 s[20:21], s[0:1]
	s_cbranch_execz .LBB263_671
; %bb.662:                              ;   in Loop: Header=BB263_608 Depth=1
	v_cmp_lt_u32_e64 s[0:1], v17, v31
	s_mov_b64 s[22:23], 0
	s_and_saveexec_b64 s[16:17], s[0:1]
	s_cbranch_execz .LBB263_670
; %bb.663:                              ;   in Loop: Header=BB263_608 Depth=1
	s_mov_b64 s[0:1], -1
	s_and_saveexec_b64 s[22:23], vcc
	s_cbranch_execz .LBB263_669
; %bb.664:                              ;   in Loop: Header=BB263_608 Depth=1
	v_mad_u64_u32 v[2:3], s[0:1], v96, v6, v[8:9]
	v_mul_lo_u32 v12, v96, v7
	v_mul_lo_u32 v13, v87, v6
	v_add3_u32 v3, v13, v3, v12
	v_mad_u64_u32 v[12:13], s[0:1], v85, v6, v[8:9]
	v_mul_lo_u32 v14, v85, v7
	v_mul_lo_u32 v15, v84, v6
	v_add3_u32 v13, v15, v13, v14
	s_mov_b64 s[24:25], 0
	v_mov_b64_e32 v[14:15], v[6:7]
                                        ; implicit-def: $sgpr26_sgpr27
                                        ; implicit-def: $sgpr28_sgpr29
                                        ; implicit-def: $sgpr34_sgpr35
                                        ; implicit-def: $sgpr30_sgpr31
                                        ; implicit-def: $sgpr0_sgpr1
	s_branch .LBB263_666
.LBB263_665:                            ;   in Loop: Header=BB263_666 Depth=2
	s_or_b64 exec, exec, s[36:37]
	s_and_b64 s[36:37], exec, s[28:29]
	s_or_b64 s[24:25], s[36:37], s[24:25]
	s_andn2_b64 s[0:1], s[0:1], exec
	s_and_b64 s[36:37], s[30:31], exec
	s_or_b64 s[0:1], s[0:1], s[36:37]
	s_andn2_b64 s[26:27], s[26:27], exec
	s_and_b64 s[36:37], s[34:35], exec
	s_or_b64 s[26:27], s[26:27], s[36:37]
	s_andn2_b64 exec, exec, s[24:25]
	s_cbranch_execz .LBB263_668
.LBB263_666:                            ;   Parent Loop BB263_608 Depth=1
                                        ; =>  This Inner Loop Header: Depth=2
	flat_load_ubyte v18, v[12:13]
	flat_load_ubyte v19, v[2:3]
	s_andn2_b64 s[34:35], s[34:35], exec
	s_andn2_b64 s[30:31], s[30:31], exec
	s_or_b64 s[28:29], s[28:29], exec
	s_waitcnt vmcnt(0) lgkmcnt(0)
	v_cmp_le_i16_sdwa s[38:39], sext(v18), sext(v19) src0_sel:BYTE_0 src1_sel:BYTE_0
	v_cmp_lt_i16_sdwa s[36:37], sext(v18), sext(v19) src0_sel:BYTE_0 src1_sel:BYTE_0
	s_and_b64 s[38:39], s[38:39], s[0:1]
	s_or_b64 s[38:39], s[36:37], s[38:39]
	s_and_b64 s[36:37], s[38:39], exec
	v_cmp_eq_u16_sdwa s[40:41], v18, v19 src0_sel:BYTE_0 src1_sel:BYTE_0
	s_or_b64 s[34:35], s[34:35], s[36:37]
	s_and_saveexec_b64 s[36:37], s[40:41]
	s_cbranch_execz .LBB263_665
; %bb.667:                              ;   in Loop: Header=BB263_666 Depth=2
	v_lshl_add_u64 v[14:15], v[14:15], 0, -1
	v_cmp_eq_u64_e64 s[0:1], 0, v[14:15]
	s_andn2_b64 s[30:31], s[30:31], exec
	s_and_b64 s[38:39], s[38:39], exec
	s_andn2_b64 s[28:29], s[28:29], exec
	s_and_b64 s[0:1], s[0:1], exec
	v_lshl_add_u64 v[2:3], v[2:3], 0, 1
	v_lshl_add_u64 v[12:13], v[12:13], 0, 1
	s_or_b64 s[30:31], s[30:31], s[38:39]
	s_andn2_b64 s[34:35], s[34:35], exec
	s_or_b64 s[28:29], s[28:29], s[0:1]
                                        ; implicit-def: $sgpr0_sgpr1
	s_branch .LBB263_665
.LBB263_668:                            ;   in Loop: Header=BB263_608 Depth=1
	s_or_b64 exec, exec, s[24:25]
	s_xor_b64 s[0:1], s[26:27], -1
	s_orn2_b64 s[0:1], s[0:1], exec
.LBB263_669:                            ;   in Loop: Header=BB263_608 Depth=1
	s_or_b64 exec, exec, s[22:23]
	s_and_b64 s[22:23], s[0:1], exec
.LBB263_670:                            ;   in Loop: Header=BB263_608 Depth=1
	s_or_b64 exec, exec, s[16:17]
	s_orn2_b64 s[16:17], s[22:23], exec
.LBB263_671:                            ;   in Loop: Header=BB263_608 Depth=1
	s_or_b64 exec, exec, s[20:21]
	v_cndmask_b32_e64 v2, v16, v17, s[16:17]
	v_cndmask_b32_e64 v3, v86, v31, s[16:17]
	v_add_u32_e32 v12, 1, v2
	v_add_u32_e32 v2, -1, v3
	v_min_u32_e32 v54, v12, v2
	v_lshl_add_u64 v[2:3], v[54:55], 3, v[10:11]
	flat_load_dwordx2 v[2:3], v[2:3]
	v_cndmask_b32_e64 v16, v12, v16, s[16:17]
	s_mov_b64 s[20:21], -1
	v_cndmask_b32_e64 v17, v17, v12, s[16:17]
	v_cmp_lt_u32_e64 s[0:1], v16, v86
	s_mov_b64 s[22:23], -1
	s_waitcnt vmcnt(0) lgkmcnt(0)
	v_cndmask_b32_e64 v97, v3, v84, s[16:17]
	v_cndmask_b32_e64 v98, v2, v85, s[16:17]
	;; [unrolled: 1-line block ×4, first 2 shown]
	s_and_saveexec_b64 s[24:25], s[0:1]
	s_cbranch_execz .LBB263_681
; %bb.672:                              ;   in Loop: Header=BB263_608 Depth=1
	v_cmp_lt_u32_e64 s[0:1], v17, v31
	s_mov_b64 s[26:27], 0
	s_and_saveexec_b64 s[22:23], s[0:1]
	s_cbranch_execz .LBB263_680
; %bb.673:                              ;   in Loop: Header=BB263_608 Depth=1
	s_mov_b64 s[0:1], -1
	s_and_saveexec_b64 s[26:27], vcc
	s_cbranch_execz .LBB263_679
; %bb.674:                              ;   in Loop: Header=BB263_608 Depth=1
	v_mad_u64_u32 v[2:3], s[0:1], v100, v6, v[8:9]
	v_mul_lo_u32 v12, v100, v7
	v_mul_lo_u32 v13, v99, v6
	v_add3_u32 v3, v13, v3, v12
	v_mad_u64_u32 v[12:13], s[0:1], v98, v6, v[8:9]
	v_mul_lo_u32 v14, v98, v7
	v_mul_lo_u32 v15, v97, v6
	v_add3_u32 v13, v15, v13, v14
	s_mov_b64 s[28:29], 0
	v_mov_b64_e32 v[14:15], v[6:7]
                                        ; implicit-def: $sgpr30_sgpr31
                                        ; implicit-def: $sgpr34_sgpr35
                                        ; implicit-def: $sgpr38_sgpr39
                                        ; implicit-def: $sgpr36_sgpr37
                                        ; implicit-def: $sgpr0_sgpr1
	s_branch .LBB263_676
.LBB263_675:                            ;   in Loop: Header=BB263_676 Depth=2
	s_or_b64 exec, exec, s[40:41]
	s_and_b64 s[40:41], exec, s[34:35]
	s_or_b64 s[28:29], s[40:41], s[28:29]
	s_andn2_b64 s[0:1], s[0:1], exec
	s_and_b64 s[40:41], s[36:37], exec
	s_or_b64 s[0:1], s[0:1], s[40:41]
	s_andn2_b64 s[30:31], s[30:31], exec
	s_and_b64 s[40:41], s[38:39], exec
	s_or_b64 s[30:31], s[30:31], s[40:41]
	s_andn2_b64 exec, exec, s[28:29]
	s_cbranch_execz .LBB263_678
.LBB263_676:                            ;   Parent Loop BB263_608 Depth=1
                                        ; =>  This Inner Loop Header: Depth=2
	flat_load_ubyte v18, v[12:13]
	flat_load_ubyte v19, v[2:3]
	s_andn2_b64 s[38:39], s[38:39], exec
	s_andn2_b64 s[36:37], s[36:37], exec
	s_or_b64 s[34:35], s[34:35], exec
	s_waitcnt vmcnt(0) lgkmcnt(0)
	v_cmp_le_i16_sdwa s[42:43], sext(v18), sext(v19) src0_sel:BYTE_0 src1_sel:BYTE_0
	v_cmp_lt_i16_sdwa s[40:41], sext(v18), sext(v19) src0_sel:BYTE_0 src1_sel:BYTE_0
	s_and_b64 s[42:43], s[42:43], s[0:1]
	s_or_b64 s[42:43], s[40:41], s[42:43]
	s_and_b64 s[40:41], s[42:43], exec
	v_cmp_eq_u16_sdwa s[44:45], v18, v19 src0_sel:BYTE_0 src1_sel:BYTE_0
	s_or_b64 s[38:39], s[38:39], s[40:41]
	s_and_saveexec_b64 s[40:41], s[44:45]
	s_cbranch_execz .LBB263_675
; %bb.677:                              ;   in Loop: Header=BB263_676 Depth=2
	v_lshl_add_u64 v[14:15], v[14:15], 0, -1
	v_cmp_eq_u64_e64 s[0:1], 0, v[14:15]
	s_andn2_b64 s[36:37], s[36:37], exec
	s_and_b64 s[42:43], s[42:43], exec
	s_andn2_b64 s[34:35], s[34:35], exec
	s_and_b64 s[0:1], s[0:1], exec
	v_lshl_add_u64 v[2:3], v[2:3], 0, 1
	v_lshl_add_u64 v[12:13], v[12:13], 0, 1
	s_or_b64 s[36:37], s[36:37], s[42:43]
	s_andn2_b64 s[38:39], s[38:39], exec
	s_or_b64 s[34:35], s[34:35], s[0:1]
                                        ; implicit-def: $sgpr0_sgpr1
	s_branch .LBB263_675
.LBB263_678:                            ;   in Loop: Header=BB263_608 Depth=1
	s_or_b64 exec, exec, s[28:29]
	s_xor_b64 s[0:1], s[30:31], -1
	s_orn2_b64 s[0:1], s[0:1], exec
.LBB263_679:                            ;   in Loop: Header=BB263_608 Depth=1
	s_or_b64 exec, exec, s[26:27]
	s_and_b64 s[26:27], s[0:1], exec
.LBB263_680:                            ;   in Loop: Header=BB263_608 Depth=1
	s_or_b64 exec, exec, s[22:23]
	s_orn2_b64 s[22:23], s[26:27], exec
.LBB263_681:                            ;   in Loop: Header=BB263_608 Depth=1
	s_or_b64 exec, exec, s[24:25]
	v_cndmask_b32_e64 v2, v16, v17, s[22:23]
	v_cndmask_b32_e64 v3, v86, v31, s[22:23]
	v_add_u32_e32 v12, 1, v2
	v_add_u32_e32 v2, -1, v3
	v_min_u32_e32 v54, v12, v2
	v_lshl_add_u64 v[2:3], v[54:55], 3, v[10:11]
	flat_load_dwordx2 v[2:3], v[2:3]
	v_cndmask_b32_e64 v18, v12, v16, s[22:23]
	v_cndmask_b32_e64 v16, v17, v12, s[22:23]
	v_cmp_lt_u32_e64 s[0:1], v18, v86
	s_waitcnt vmcnt(0) lgkmcnt(0)
	v_cndmask_b32_e64 v101, v3, v97, s[22:23]
	v_cndmask_b32_e64 v102, v2, v98, s[22:23]
	v_cndmask_b32_e64 v103, v99, v3, s[22:23]
	v_cndmask_b32_e64 v112, v100, v2, s[22:23]
	s_and_saveexec_b64 s[24:25], s[0:1]
	s_cbranch_execz .LBB263_691
; %bb.682:                              ;   in Loop: Header=BB263_608 Depth=1
	v_cmp_lt_u32_e64 s[0:1], v16, v31
	s_mov_b64 s[26:27], 0
	s_and_saveexec_b64 s[20:21], s[0:1]
	s_cbranch_execz .LBB263_690
; %bb.683:                              ;   in Loop: Header=BB263_608 Depth=1
	s_mov_b64 s[0:1], -1
	s_and_saveexec_b64 s[26:27], vcc
	s_cbranch_execz .LBB263_689
; %bb.684:                              ;   in Loop: Header=BB263_608 Depth=1
	v_mad_u64_u32 v[2:3], s[0:1], v112, v6, v[8:9]
	v_mul_lo_u32 v12, v112, v7
	v_mul_lo_u32 v13, v103, v6
	v_add3_u32 v3, v13, v3, v12
	v_mad_u64_u32 v[12:13], s[0:1], v102, v6, v[8:9]
	v_mul_lo_u32 v14, v102, v7
	v_mul_lo_u32 v15, v101, v6
	v_add3_u32 v13, v15, v13, v14
	s_mov_b64 s[28:29], 0
	v_mov_b64_e32 v[14:15], v[6:7]
                                        ; implicit-def: $sgpr30_sgpr31
                                        ; implicit-def: $sgpr34_sgpr35
                                        ; implicit-def: $sgpr38_sgpr39
                                        ; implicit-def: $sgpr36_sgpr37
                                        ; implicit-def: $sgpr0_sgpr1
	s_branch .LBB263_686
.LBB263_685:                            ;   in Loop: Header=BB263_686 Depth=2
	s_or_b64 exec, exec, s[40:41]
	s_and_b64 s[40:41], exec, s[34:35]
	s_or_b64 s[28:29], s[40:41], s[28:29]
	s_andn2_b64 s[0:1], s[0:1], exec
	s_and_b64 s[40:41], s[36:37], exec
	s_or_b64 s[0:1], s[0:1], s[40:41]
	s_andn2_b64 s[30:31], s[30:31], exec
	s_and_b64 s[40:41], s[38:39], exec
	s_or_b64 s[30:31], s[30:31], s[40:41]
	s_andn2_b64 exec, exec, s[28:29]
	s_cbranch_execz .LBB263_688
.LBB263_686:                            ;   Parent Loop BB263_608 Depth=1
                                        ; =>  This Inner Loop Header: Depth=2
	flat_load_ubyte v17, v[12:13]
	flat_load_ubyte v19, v[2:3]
	s_andn2_b64 s[38:39], s[38:39], exec
	s_andn2_b64 s[36:37], s[36:37], exec
	s_or_b64 s[34:35], s[34:35], exec
	s_waitcnt vmcnt(0) lgkmcnt(0)
	v_cmp_le_i16_sdwa s[42:43], sext(v17), sext(v19) src0_sel:BYTE_0 src1_sel:BYTE_0
	v_cmp_lt_i16_sdwa s[40:41], sext(v17), sext(v19) src0_sel:BYTE_0 src1_sel:BYTE_0
	s_and_b64 s[42:43], s[42:43], s[0:1]
	s_or_b64 s[42:43], s[40:41], s[42:43]
	s_and_b64 s[40:41], s[42:43], exec
	v_cmp_eq_u16_sdwa s[44:45], v17, v19 src0_sel:BYTE_0 src1_sel:BYTE_0
	s_or_b64 s[38:39], s[38:39], s[40:41]
	s_and_saveexec_b64 s[40:41], s[44:45]
	s_cbranch_execz .LBB263_685
; %bb.687:                              ;   in Loop: Header=BB263_686 Depth=2
	v_lshl_add_u64 v[14:15], v[14:15], 0, -1
	v_cmp_eq_u64_e64 s[0:1], 0, v[14:15]
	s_andn2_b64 s[36:37], s[36:37], exec
	s_and_b64 s[42:43], s[42:43], exec
	s_andn2_b64 s[34:35], s[34:35], exec
	s_and_b64 s[0:1], s[0:1], exec
	v_lshl_add_u64 v[2:3], v[2:3], 0, 1
	v_lshl_add_u64 v[12:13], v[12:13], 0, 1
	s_or_b64 s[36:37], s[36:37], s[42:43]
	s_andn2_b64 s[38:39], s[38:39], exec
	s_or_b64 s[34:35], s[34:35], s[0:1]
                                        ; implicit-def: $sgpr0_sgpr1
	s_branch .LBB263_685
.LBB263_688:                            ;   in Loop: Header=BB263_608 Depth=1
	s_or_b64 exec, exec, s[28:29]
	s_xor_b64 s[0:1], s[30:31], -1
	s_orn2_b64 s[0:1], s[0:1], exec
.LBB263_689:                            ;   in Loop: Header=BB263_608 Depth=1
	s_or_b64 exec, exec, s[26:27]
	s_and_b64 s[26:27], s[0:1], exec
.LBB263_690:                            ;   in Loop: Header=BB263_608 Depth=1
	s_or_b64 exec, exec, s[20:21]
	s_orn2_b64 s[20:21], s[26:27], exec
.LBB263_691:                            ;   in Loop: Header=BB263_608 Depth=1
	s_or_b64 exec, exec, s[24:25]
	v_cndmask_b32_e64 v2, v18, v16, s[20:21]
	v_cndmask_b32_e64 v3, v86, v31, s[20:21]
	v_add_u32_e32 v14, 1, v2
	v_add_u32_e32 v2, -1, v3
	v_min_u32_e32 v54, v14, v2
	v_lshl_add_u64 v[2:3], v[54:55], 3, v[10:11]
	flat_load_dwordx2 v[12:13], v[2:3]
	v_cndmask_b32_e64 v15, v14, v18, s[20:21]
	v_cmp_lt_u32_e64 s[0:1], v15, v86
	s_waitcnt vmcnt(0) lgkmcnt(0)
	v_cndmask_b32_e64 v3, v103, v13, s[20:21]
	v_cndmask_b32_e64 v2, v112, v12, s[20:21]
	s_and_saveexec_b64 s[24:25], s[0:1]
	s_cbranch_execz .LBB263_701
; %bb.692:                              ;   in Loop: Header=BB263_608 Depth=1
	v_cndmask_b32_e64 v14, v16, v14, s[20:21]
	v_cndmask_b32_e64 v13, v13, v101, s[20:21]
	;; [unrolled: 1-line block ×3, first 2 shown]
	v_cmp_lt_u32_e64 s[0:1], v14, v31
	s_and_saveexec_b64 s[26:27], s[0:1]
	s_cbranch_execz .LBB263_700
; %bb.693:                              ;   in Loop: Header=BB263_608 Depth=1
	s_and_saveexec_b64 s[28:29], vcc
	s_cbranch_execz .LBB263_699
; %bb.694:                              ;   in Loop: Header=BB263_608 Depth=1
	v_mad_u64_u32 v[14:15], s[0:1], v2, v6, v[8:9]
	v_mul_lo_u32 v16, v2, v7
	v_mul_lo_u32 v17, v3, v6
	v_add3_u32 v15, v17, v15, v16
	v_mad_u64_u32 v[16:17], s[0:1], v12, v6, v[8:9]
	v_mul_lo_u32 v18, v12, v7
	v_mul_lo_u32 v19, v13, v6
	v_add3_u32 v17, v19, v17, v18
	s_mov_b64 s[30:31], 0
	v_mov_b64_e32 v[18:19], v[6:7]
                                        ; implicit-def: $sgpr34_sgpr35
                                        ; implicit-def: $sgpr36_sgpr37
                                        ; implicit-def: $sgpr40_sgpr41
                                        ; implicit-def: $sgpr38_sgpr39
                                        ; implicit-def: $sgpr0_sgpr1
	s_branch .LBB263_696
.LBB263_695:                            ;   in Loop: Header=BB263_696 Depth=2
	s_or_b64 exec, exec, s[42:43]
	s_and_b64 s[42:43], exec, s[36:37]
	s_or_b64 s[30:31], s[42:43], s[30:31]
	s_andn2_b64 s[0:1], s[0:1], exec
	s_and_b64 s[42:43], s[38:39], exec
	s_or_b64 s[0:1], s[0:1], s[42:43]
	s_andn2_b64 s[34:35], s[34:35], exec
	s_and_b64 s[42:43], s[40:41], exec
	s_or_b64 s[34:35], s[34:35], s[42:43]
	s_andn2_b64 exec, exec, s[30:31]
	s_cbranch_execz .LBB263_698
.LBB263_696:                            ;   Parent Loop BB263_608 Depth=1
                                        ; =>  This Inner Loop Header: Depth=2
	flat_load_ubyte v31, v[16:17]
	flat_load_ubyte v54, v[14:15]
	s_andn2_b64 s[40:41], s[40:41], exec
	s_andn2_b64 s[38:39], s[38:39], exec
	s_or_b64 s[36:37], s[36:37], exec
	s_waitcnt vmcnt(0) lgkmcnt(0)
	v_cmp_le_i16_sdwa s[44:45], sext(v31), sext(v54) src0_sel:BYTE_0 src1_sel:BYTE_0
	v_cmp_lt_i16_sdwa s[42:43], sext(v31), sext(v54) src0_sel:BYTE_0 src1_sel:BYTE_0
	s_and_b64 s[44:45], s[44:45], s[0:1]
	s_or_b64 s[44:45], s[42:43], s[44:45]
	s_and_b64 s[42:43], s[44:45], exec
	v_cmp_eq_u16_sdwa s[48:49], v31, v54 src0_sel:BYTE_0 src1_sel:BYTE_0
	s_or_b64 s[40:41], s[40:41], s[42:43]
	s_and_saveexec_b64 s[42:43], s[48:49]
	s_cbranch_execz .LBB263_695
; %bb.697:                              ;   in Loop: Header=BB263_696 Depth=2
	v_lshl_add_u64 v[18:19], v[18:19], 0, -1
	v_cmp_eq_u64_e64 s[0:1], 0, v[18:19]
	s_andn2_b64 s[38:39], s[38:39], exec
	s_and_b64 s[44:45], s[44:45], exec
	s_andn2_b64 s[36:37], s[36:37], exec
	s_and_b64 s[0:1], s[0:1], exec
	v_lshl_add_u64 v[14:15], v[14:15], 0, 1
	v_lshl_add_u64 v[16:17], v[16:17], 0, 1
	s_or_b64 s[38:39], s[38:39], s[44:45]
	s_andn2_b64 s[40:41], s[40:41], exec
	s_or_b64 s[36:37], s[36:37], s[0:1]
                                        ; implicit-def: $sgpr0_sgpr1
	s_branch .LBB263_695
.LBB263_698:                            ;   in Loop: Header=BB263_608 Depth=1
	s_or_b64 exec, exec, s[30:31]
	v_cndmask_b32_e64 v3, v3, v13, s[34:35]
	v_cndmask_b32_e64 v2, v2, v12, s[34:35]
.LBB263_699:                            ;   in Loop: Header=BB263_608 Depth=1
	s_or_b64 exec, exec, s[28:29]
	v_mov_b64_e32 v[12:13], v[2:3]
.LBB263_700:                            ;   in Loop: Header=BB263_608 Depth=1
	s_or_b64 exec, exec, s[26:27]
	v_mov_b64_e32 v[2:3], v[12:13]
.LBB263_701:                            ;   in Loop: Header=BB263_608 Depth=1
	s_or_b64 exec, exec, s[24:25]
	v_cndmask_b32_e64 v15, v97, v99, s[22:23]
	v_cndmask_b32_e64 v14, v98, v100, s[22:23]
	v_cndmask_b32_e64 v13, v84, v87, s[16:17]
	v_cndmask_b32_e64 v12, v85, v96, s[16:17]
	v_cndmask_b32_e64 v19, v80, v82, s[18:19]
	v_cndmask_b32_e64 v18, v81, v83, s[18:19]
	v_cndmask_b32_e64 v17, v68, v70, s[2:3]
	v_cndmask_b32_e64 v16, v69, v71, s[2:3]
	v_cndmask_b32_e64 v23, v22, v23, s[14:15]
	v_cndmask_b32_e64 v22, v66, v67, s[14:15]
	v_cndmask_b32_e64 v21, v21, v1, s[10:11]
	v_cndmask_b32_e64 v20, v20, v0, s[10:11]
	v_cndmask_b32_e64 v1, v101, v103, s[20:21]
	v_cndmask_b32_e64 v0, v102, v112, s[20:21]
.LBB263_702:                            ;   in Loop: Header=BB263_608 Depth=1
	s_or_b64 exec, exec, s[6:7]
	s_cmpk_lt_u32 s46, 0x400
	s_barrier
	s_cbranch_scc0 .LBB263_704
; %bb.703:                              ;   in Loop: Header=BB263_608 Depth=1
	s_mov_b32 s46, s47
	s_branch .LBB263_608
.LBB263_704:
	s_barrier
	flat_store_dwordx4 v[52:53], v[20:23]
	flat_store_dwordx4 v[52:53], v[16:19] offset:16
	flat_store_dwordx4 v[52:53], v[12:15] offset:32
	;; [unrolled: 1-line block ×3, first 2 shown]
	s_waitcnt lgkmcnt(0)
	s_barrier
	flat_load_dwordx2 v[0:1], v[24:25]
	flat_load_dwordx2 v[2:3], v[26:27] offset:2048
	flat_load_dwordx2 v[6:7], v[36:37]
	flat_load_dwordx2 v[8:9], v[32:33]
	;; [unrolled: 1-line block ×6, first 2 shown]
	v_mov_b32_e32 v31, 0
	s_movk_i32 s0, 0x1000
	v_lshl_add_u64 v[18:19], v[4:5], 0, v[30:31]
	v_add_co_u32_e32 v20, vcc, s0, v18
	s_mov_b64 s[34:35], exec
	s_nop 0
	v_addc_co_u32_e32 v21, vcc, 0, v19, vcc
	v_add_co_u32_e32 v22, vcc, 0x2000, v18
                                        ; implicit-def: $vgpr64
                                        ; implicit-def: $vgpr65
                                        ; implicit-def: $vgpr30
                                        ; implicit-def: $vgpr32
	s_nop 1
	v_addc_co_u32_e32 v23, vcc, 0, v19, vcc
	v_add_co_u32_e32 v24, vcc, 0x3000, v18
	s_nop 1
	v_addc_co_u32_e32 v25, vcc, 0, v19, vcc
	s_waitcnt vmcnt(0) lgkmcnt(0)
	flat_store_dwordx2 v[18:19], v[0:1]
	flat_store_dwordx2 v[18:19], v[2:3] offset:2048
	flat_store_dwordx2 v[20:21], v[6:7]
	flat_store_dwordx2 v[20:21], v[8:9] offset:2048
	;; [unrolled: 2-line block ×3, first 2 shown]
	flat_store_dwordx2 v[24:25], v[16:17]
                                        ; implicit-def: $vgpr0
                                        ; implicit-def: $vgpr6_vgpr7
                                        ; implicit-def: $vgpr2_vgpr3
                                        ; implicit-def: $vgpr8_vgpr9
                                        ; implicit-def: $vgpr10_vgpr11
                                        ; implicit-def: $vgpr1
	s_andn2_saveexec_b64 s[36:37], s[4:5]
	s_cbranch_execz .LBB263_2
.LBB263_705:
	v_cmp_lt_u32_e32 vcc, v28, v0
                                        ; implicit-def: $vgpr12_vgpr13
	s_and_saveexec_b64 s[0:1], vcc
	s_cbranch_execz .LBB263_707
; %bb.706:
	v_mov_b32_e32 v31, 0
	v_lshl_add_u64 v[12:13], v[2:3], 0, v[30:31]
	flat_load_dwordx2 v[12:13], v[12:13]
.LBB263_707:
	s_or_b64 exec, exec, s[0:1]
	v_add_u32_e32 v33, 0x100, v28
	v_cmp_lt_u32_e64 s[0:1], v33, v0
                                        ; implicit-def: $vgpr14_vgpr15
	s_and_saveexec_b64 s[2:3], s[0:1]
	s_cbranch_execz .LBB263_709
; %bb.708:
	v_mov_b32_e32 v31, 0
	v_lshl_add_u64 v[14:15], v[2:3], 0, v[30:31]
	flat_load_dwordx2 v[14:15], v[14:15] offset:2048
.LBB263_709:
	s_or_b64 exec, exec, s[2:3]
	v_add_u32_e32 v31, 0x200, v28
	v_cmp_lt_u32_e64 s[2:3], v31, v0
                                        ; implicit-def: $vgpr16_vgpr17
	s_and_saveexec_b64 s[4:5], s[2:3]
	s_cbranch_execz .LBB263_711
; %bb.710:
	v_lshlrev_b32_e32 v16, 3, v31
	v_mov_b32_e32 v17, 0
	v_lshl_add_u64 v[16:17], v[2:3], 0, v[16:17]
	flat_load_dwordx2 v[16:17], v[16:17]
.LBB263_711:
	s_or_b64 exec, exec, s[4:5]
	v_add_u32_e32 v36, 0x300, v28
	v_cmp_lt_u32_e64 s[4:5], v36, v0
                                        ; implicit-def: $vgpr18_vgpr19
	s_and_saveexec_b64 s[6:7], s[4:5]
	s_cbranch_execz .LBB263_713
; %bb.712:
	v_lshlrev_b32_e32 v18, 3, v36
	v_mov_b32_e32 v19, 0
	v_lshl_add_u64 v[18:19], v[2:3], 0, v[18:19]
	flat_load_dwordx2 v[18:19], v[18:19]
.LBB263_713:
	s_or_b64 exec, exec, s[6:7]
	v_or_b32_e32 v38, 0x400, v28
	v_cmp_lt_u32_e64 s[6:7], v38, v0
                                        ; implicit-def: $vgpr20_vgpr21
	s_and_saveexec_b64 s[10:11], s[6:7]
	s_cbranch_execz .LBB263_715
; %bb.714:
	v_lshlrev_b32_e32 v20, 3, v38
	v_mov_b32_e32 v21, 0
	v_lshl_add_u64 v[20:21], v[2:3], 0, v[20:21]
	flat_load_dwordx2 v[20:21], v[20:21]
.LBB263_715:
	s_or_b64 exec, exec, s[10:11]
	v_add_u32_e32 v48, 0x500, v28
	v_cmp_lt_u32_e64 s[14:15], v48, v0
                                        ; implicit-def: $vgpr22_vgpr23
	s_and_saveexec_b64 s[10:11], s[14:15]
	s_cbranch_execz .LBB263_717
; %bb.716:
	v_lshlrev_b32_e32 v22, 3, v48
	v_mov_b32_e32 v23, 0
	v_lshl_add_u64 v[22:23], v[2:3], 0, v[22:23]
	flat_load_dwordx2 v[22:23], v[22:23]
.LBB263_717:
	s_or_b64 exec, exec, s[10:11]
	v_add_u32_e32 v50, 0x600, v28
	v_cmp_lt_u32_e64 s[10:11], v50, v0
                                        ; implicit-def: $vgpr24_vgpr25
	s_and_saveexec_b64 s[16:17], s[10:11]
	s_cbranch_execz .LBB263_719
; %bb.718:
	v_lshlrev_b32_e32 v24, 3, v50
	v_mov_b32_e32 v25, 0
	v_lshl_add_u64 v[24:25], v[2:3], 0, v[24:25]
	flat_load_dwordx2 v[24:25], v[24:25]
.LBB263_719:
	s_or_b64 exec, exec, s[16:17]
	v_add_u32_e32 v52, 0x700, v28
	v_cmp_lt_u32_e64 s[30:31], v52, v0
                                        ; implicit-def: $vgpr26_vgpr27
	s_and_saveexec_b64 s[16:17], s[30:31]
	s_cbranch_execz .LBB263_721
; %bb.720:
	v_lshlrev_b32_e32 v26, 3, v52
	v_mov_b32_e32 v27, 0
	v_lshl_add_u64 v[2:3], v[2:3], 0, v[26:27]
	flat_load_dwordx2 v[26:27], v[2:3]
.LBB263_721:
	s_or_b64 exec, exec, s[16:17]
	v_mov_b32_e32 v29, 0
	v_add_lshl_u32 v2, v32, v28, 3
	v_mov_b32_e32 v3, v29
	v_lshl_add_u64 v[2:3], v[10:11], 0, v[2:3]
	s_waitcnt vmcnt(0) lgkmcnt(0)
	flat_store_dwordx2 v[2:3], v[12:13]
	v_lshrrev_b32_e32 v12, 5, v33
	v_add_lshl_u32 v12, v12, v28, 3
	v_mov_b32_e32 v13, v29
	v_lshl_add_u64 v[32:33], v[10:11], 0, v[12:13]
	v_lshrrev_b32_e32 v12, 5, v31
	v_add_lshl_u32 v12, v12, v31, 3
	v_lshl_add_u64 v[34:35], v[10:11], 0, v[12:13]
	v_lshrrev_b32_e32 v12, 5, v36
	v_add_lshl_u32 v12, v12, v36, 3
	;; [unrolled: 3-line block ×6, first 2 shown]
	v_lshl_add_u64 v[52:53], v[10:11], 0, v[12:13]
	v_add_lshl_u32 v12, v1, v30, 3
	v_lshl_add_u64 v[54:55], v[10:11], 0, v[12:13]
	flat_store_dwordx2 v[32:33], v[14:15] offset:2048
	flat_store_dwordx2 v[34:35], v[16:17]
	flat_store_dwordx2 v[36:37], v[18:19]
	flat_store_dwordx2 v[38:39], v[20:21]
	flat_store_dwordx2 v[48:49], v[22:23]
	flat_store_dwordx2 v[50:51], v[24:25]
	flat_store_dwordx2 v[52:53], v[26:27]
	s_waitcnt lgkmcnt(0)
	s_barrier
	flat_load_dwordx4 v[24:27], v[54:55]
	flat_load_dwordx4 v[20:23], v[54:55] offset:16
	flat_load_dwordx4 v[16:19], v[54:55] offset:32
	;; [unrolled: 1-line block ×3, first 2 shown]
	s_waitcnt lgkmcnt(0)
	s_barrier
	s_load_dwordx2 s[16:17], s[8:9], 0x0
	s_waitcnt lgkmcnt(0)
	s_cmp_lt_u32 s12, s16
	s_cselect_b32 s16, 12, 18
	s_cmp_lt_u32 s13, s17
	s_cselect_b32 s12, 14, 20
	s_add_u32 s12, s8, s12
	s_addc_u32 s13, s9, 0
	s_add_u32 s8, s8, s16
	s_addc_u32 s9, s9, 0
	global_load_ushort v1, v29, s[12:13]
	global_load_ushort v31, v29, s[8:9]
	v_cmp_lt_i64_e64 s[8:9], 0, v[6:7]
	s_waitcnt vmcnt(0)
	v_mad_u32_u24 v1, v65, v1, v64
	v_mul_lo_u32 v1, v1, v31
	v_add_lshl_u32 v1, v1, v28, 3
	v_sub_u32_e64 v31, v0, v1 clamp
	v_cmp_lt_u32_e64 s[16:17], 1, v31
	s_and_saveexec_b64 s[18:19], s[16:17]
	s_cbranch_execnz .LBB263_725
; %bb.722:
	s_or_b64 exec, exec, s[18:19]
	v_cmp_lt_u32_e64 s[18:19], 3, v31
	s_and_saveexec_b64 s[20:21], s[18:19]
	s_cbranch_execnz .LBB263_734
.LBB263_723:
	s_or_b64 exec, exec, s[20:21]
	v_cmp_lt_u32_e64 s[20:21], 5, v31
	s_and_saveexec_b64 s[22:23], s[20:21]
	s_cbranch_execnz .LBB263_743
.LBB263_724:
	s_or_b64 exec, exec, s[22:23]
	v_cmp_lt_u32_e64 s[22:23], 7, v31
	s_and_saveexec_b64 s[24:25], s[22:23]
	s_cbranch_execnz .LBB263_752
	s_branch .LBB263_761
.LBB263_725:
	s_and_saveexec_b64 s[20:21], s[8:9]
	s_cbranch_execz .LBB263_733
; %bb.726:
	v_mad_u64_u32 v[64:65], s[12:13], v24, v6, v[8:9]
	v_mul_lo_u32 v66, v24, v7
	v_mul_lo_u32 v67, v25, v6
	v_add3_u32 v65, v67, v65, v66
	v_mad_u64_u32 v[66:67], s[12:13], v26, v6, v[8:9]
	v_mul_lo_u32 v68, v26, v7
	v_mul_lo_u32 v69, v27, v6
	v_add3_u32 v67, v69, v67, v68
	s_mov_b64 s[24:25], 0
	v_mov_b64_e32 v[68:69], v[6:7]
                                        ; implicit-def: $sgpr22_sgpr23
                                        ; implicit-def: $sgpr26_sgpr27
                                        ; implicit-def: $sgpr38_sgpr39
                                        ; implicit-def: $sgpr28_sgpr29
                                        ; implicit-def: $sgpr40_sgpr41
                                        ; implicit-def: $sgpr12_sgpr13
	s_branch .LBB263_728
.LBB263_727:                            ;   in Loop: Header=BB263_728 Depth=1
	s_or_b64 exec, exec, s[44:45]
	s_and_b64 s[44:45], exec, s[38:39]
	s_or_b64 s[24:25], s[44:45], s[24:25]
	s_andn2_b64 s[12:13], s[12:13], exec
	s_and_b64 s[44:45], s[40:41], exec
	s_or_b64 s[12:13], s[12:13], s[44:45]
	s_andn2_b64 s[26:27], s[26:27], exec
	s_and_b64 s[44:45], s[28:29], exec
	s_andn2_b64 s[22:23], s[22:23], exec
	s_and_b64 s[42:43], s[42:43], exec
	s_or_b64 s[26:27], s[26:27], s[44:45]
	s_or_b64 s[22:23], s[22:23], s[42:43]
	s_andn2_b64 exec, exec, s[24:25]
	s_cbranch_execz .LBB263_730
.LBB263_728:                            ; =>This Inner Loop Header: Depth=1
	flat_load_ubyte v70, v[66:67]
	flat_load_ubyte v71, v[64:65]
	s_andn2_b64 s[40:41], s[40:41], exec
	s_or_b64 s[28:29], s[28:29], exec
	s_or_b64 s[38:39], s[38:39], exec
	s_waitcnt vmcnt(0) lgkmcnt(0)
	v_cmp_le_i16_sdwa s[44:45], sext(v70), sext(v71) src0_sel:BYTE_0 src1_sel:BYTE_0
	v_cmp_lt_i16_sdwa s[42:43], sext(v70), sext(v71) src0_sel:BYTE_0 src1_sel:BYTE_0
	s_and_b64 s[44:45], s[44:45], s[12:13]
	v_cmp_eq_u16_sdwa s[46:47], v70, v71 src0_sel:BYTE_0 src1_sel:BYTE_0
	s_or_b64 s[42:43], s[42:43], s[44:45]
	s_and_saveexec_b64 s[44:45], s[46:47]
	s_cbranch_execz .LBB263_727
; %bb.729:                              ;   in Loop: Header=BB263_728 Depth=1
	v_lshl_add_u64 v[68:69], v[68:69], 0, -1
	v_cmp_eq_u64_e64 s[12:13], 0, v[68:69]
	s_andn2_b64 s[40:41], s[40:41], exec
	s_and_b64 s[46:47], s[42:43], exec
	s_andn2_b64 s[38:39], s[38:39], exec
	s_and_b64 s[12:13], s[12:13], exec
	v_lshl_add_u64 v[64:65], v[64:65], 0, 1
	v_lshl_add_u64 v[66:67], v[66:67], 0, 1
	s_or_b64 s[40:41], s[40:41], s[46:47]
	s_andn2_b64 s[28:29], s[28:29], exec
	s_or_b64 s[38:39], s[38:39], s[12:13]
                                        ; implicit-def: $sgpr12_sgpr13
	s_branch .LBB263_727
.LBB263_730:
	s_or_b64 exec, exec, s[24:25]
	s_and_saveexec_b64 s[12:13], s[26:27]
	s_xor_b64 s[12:13], exec, s[12:13]
; %bb.731:
	v_cndmask_b32_e64 v65, v27, v25, s[22:23]
	v_cndmask_b32_e64 v64, v26, v24, s[22:23]
	;; [unrolled: 1-line block ×4, first 2 shown]
	v_mov_b64_e32 v[26:27], v[64:65]
; %bb.732:
	s_or_b64 exec, exec, s[12:13]
.LBB263_733:
	s_or_b64 exec, exec, s[20:21]
	s_or_b64 exec, exec, s[18:19]
	v_cmp_lt_u32_e64 s[18:19], 3, v31
	s_and_saveexec_b64 s[20:21], s[18:19]
	s_cbranch_execz .LBB263_723
.LBB263_734:
	s_and_saveexec_b64 s[22:23], s[8:9]
	s_cbranch_execz .LBB263_742
; %bb.735:
	v_mad_u64_u32 v[64:65], s[12:13], v20, v6, v[8:9]
	v_mul_lo_u32 v66, v20, v7
	v_mul_lo_u32 v67, v21, v6
	v_add3_u32 v65, v67, v65, v66
	v_mad_u64_u32 v[66:67], s[12:13], v22, v6, v[8:9]
	v_mul_lo_u32 v68, v22, v7
	v_mul_lo_u32 v69, v23, v6
	v_add3_u32 v67, v69, v67, v68
	s_mov_b64 s[26:27], 0
	v_mov_b64_e32 v[68:69], v[6:7]
                                        ; implicit-def: $sgpr24_sgpr25
                                        ; implicit-def: $sgpr28_sgpr29
                                        ; implicit-def: $sgpr40_sgpr41
                                        ; implicit-def: $sgpr38_sgpr39
                                        ; implicit-def: $sgpr42_sgpr43
                                        ; implicit-def: $sgpr12_sgpr13
	s_branch .LBB263_737
.LBB263_736:                            ;   in Loop: Header=BB263_737 Depth=1
	s_or_b64 exec, exec, s[46:47]
	s_and_b64 s[46:47], exec, s[40:41]
	s_or_b64 s[26:27], s[46:47], s[26:27]
	s_andn2_b64 s[12:13], s[12:13], exec
	s_and_b64 s[46:47], s[42:43], exec
	s_or_b64 s[12:13], s[12:13], s[46:47]
	s_andn2_b64 s[28:29], s[28:29], exec
	s_and_b64 s[46:47], s[38:39], exec
	s_andn2_b64 s[24:25], s[24:25], exec
	s_and_b64 s[44:45], s[44:45], exec
	s_or_b64 s[28:29], s[28:29], s[46:47]
	s_or_b64 s[24:25], s[24:25], s[44:45]
	s_andn2_b64 exec, exec, s[26:27]
	s_cbranch_execz .LBB263_739
.LBB263_737:                            ; =>This Inner Loop Header: Depth=1
	flat_load_ubyte v70, v[66:67]
	flat_load_ubyte v71, v[64:65]
	s_andn2_b64 s[42:43], s[42:43], exec
	s_or_b64 s[38:39], s[38:39], exec
	s_or_b64 s[40:41], s[40:41], exec
	s_waitcnt vmcnt(0) lgkmcnt(0)
	v_cmp_le_i16_sdwa s[46:47], sext(v70), sext(v71) src0_sel:BYTE_0 src1_sel:BYTE_0
	v_cmp_lt_i16_sdwa s[44:45], sext(v70), sext(v71) src0_sel:BYTE_0 src1_sel:BYTE_0
	s_and_b64 s[46:47], s[46:47], s[12:13]
	v_cmp_eq_u16_sdwa s[48:49], v70, v71 src0_sel:BYTE_0 src1_sel:BYTE_0
	s_or_b64 s[44:45], s[44:45], s[46:47]
	s_and_saveexec_b64 s[46:47], s[48:49]
	s_cbranch_execz .LBB263_736
; %bb.738:                              ;   in Loop: Header=BB263_737 Depth=1
	v_lshl_add_u64 v[68:69], v[68:69], 0, -1
	v_cmp_eq_u64_e64 s[12:13], 0, v[68:69]
	s_andn2_b64 s[42:43], s[42:43], exec
	s_and_b64 s[48:49], s[44:45], exec
	s_andn2_b64 s[40:41], s[40:41], exec
	s_and_b64 s[12:13], s[12:13], exec
	v_lshl_add_u64 v[64:65], v[64:65], 0, 1
	v_lshl_add_u64 v[66:67], v[66:67], 0, 1
	s_or_b64 s[42:43], s[42:43], s[48:49]
	s_andn2_b64 s[38:39], s[38:39], exec
	s_or_b64 s[40:41], s[40:41], s[12:13]
                                        ; implicit-def: $sgpr12_sgpr13
	s_branch .LBB263_736
.LBB263_739:
	s_or_b64 exec, exec, s[26:27]
	s_and_saveexec_b64 s[12:13], s[28:29]
	s_xor_b64 s[12:13], exec, s[12:13]
; %bb.740:
	v_cndmask_b32_e64 v65, v21, v23, s[24:25]
	v_cndmask_b32_e64 v64, v20, v22, s[24:25]
	;; [unrolled: 1-line block ×4, first 2 shown]
	v_mov_b64_e32 v[20:21], v[64:65]
; %bb.741:
	s_or_b64 exec, exec, s[12:13]
.LBB263_742:
	s_or_b64 exec, exec, s[22:23]
	s_or_b64 exec, exec, s[20:21]
	v_cmp_lt_u32_e64 s[20:21], 5, v31
	s_and_saveexec_b64 s[22:23], s[20:21]
	s_cbranch_execz .LBB263_724
.LBB263_743:
	s_and_saveexec_b64 s[24:25], s[8:9]
	s_cbranch_execz .LBB263_751
; %bb.744:
	v_mad_u64_u32 v[64:65], s[12:13], v16, v6, v[8:9]
	v_mul_lo_u32 v66, v16, v7
	v_mul_lo_u32 v67, v17, v6
	v_add3_u32 v65, v67, v65, v66
	v_mad_u64_u32 v[66:67], s[12:13], v18, v6, v[8:9]
	v_mul_lo_u32 v68, v18, v7
	v_mul_lo_u32 v69, v19, v6
	v_add3_u32 v67, v69, v67, v68
	s_mov_b64 s[28:29], 0
	v_mov_b64_e32 v[68:69], v[6:7]
                                        ; implicit-def: $sgpr26_sgpr27
                                        ; implicit-def: $sgpr38_sgpr39
                                        ; implicit-def: $sgpr42_sgpr43
                                        ; implicit-def: $sgpr40_sgpr41
                                        ; implicit-def: $sgpr44_sgpr45
                                        ; implicit-def: $sgpr12_sgpr13
	s_branch .LBB263_746
.LBB263_745:                            ;   in Loop: Header=BB263_746 Depth=1
	s_or_b64 exec, exec, s[48:49]
	s_and_b64 s[48:49], exec, s[42:43]
	s_or_b64 s[28:29], s[48:49], s[28:29]
	s_andn2_b64 s[12:13], s[12:13], exec
	s_and_b64 s[48:49], s[44:45], exec
	s_or_b64 s[12:13], s[12:13], s[48:49]
	s_andn2_b64 s[38:39], s[38:39], exec
	s_and_b64 s[48:49], s[40:41], exec
	s_andn2_b64 s[26:27], s[26:27], exec
	s_and_b64 s[46:47], s[46:47], exec
	s_or_b64 s[38:39], s[38:39], s[48:49]
	s_or_b64 s[26:27], s[26:27], s[46:47]
	s_andn2_b64 exec, exec, s[28:29]
	s_cbranch_execz .LBB263_748
.LBB263_746:                            ; =>This Inner Loop Header: Depth=1
	flat_load_ubyte v70, v[66:67]
	flat_load_ubyte v71, v[64:65]
	s_andn2_b64 s[44:45], s[44:45], exec
	s_or_b64 s[40:41], s[40:41], exec
	s_or_b64 s[42:43], s[42:43], exec
	s_waitcnt vmcnt(0) lgkmcnt(0)
	v_cmp_le_i16_sdwa s[48:49], sext(v70), sext(v71) src0_sel:BYTE_0 src1_sel:BYTE_0
	v_cmp_lt_i16_sdwa s[46:47], sext(v70), sext(v71) src0_sel:BYTE_0 src1_sel:BYTE_0
	s_and_b64 s[48:49], s[48:49], s[12:13]
	v_cmp_eq_u16_sdwa s[50:51], v70, v71 src0_sel:BYTE_0 src1_sel:BYTE_0
	s_or_b64 s[46:47], s[46:47], s[48:49]
	s_and_saveexec_b64 s[48:49], s[50:51]
	s_cbranch_execz .LBB263_745
; %bb.747:                              ;   in Loop: Header=BB263_746 Depth=1
	v_lshl_add_u64 v[68:69], v[68:69], 0, -1
	v_cmp_eq_u64_e64 s[12:13], 0, v[68:69]
	s_andn2_b64 s[44:45], s[44:45], exec
	s_and_b64 s[50:51], s[46:47], exec
	s_andn2_b64 s[42:43], s[42:43], exec
	s_and_b64 s[12:13], s[12:13], exec
	v_lshl_add_u64 v[64:65], v[64:65], 0, 1
	v_lshl_add_u64 v[66:67], v[66:67], 0, 1
	s_or_b64 s[44:45], s[44:45], s[50:51]
	s_andn2_b64 s[40:41], s[40:41], exec
	s_or_b64 s[42:43], s[42:43], s[12:13]
                                        ; implicit-def: $sgpr12_sgpr13
	s_branch .LBB263_745
.LBB263_748:
	s_or_b64 exec, exec, s[28:29]
	s_and_saveexec_b64 s[12:13], s[38:39]
	s_xor_b64 s[12:13], exec, s[12:13]
; %bb.749:
	v_cndmask_b32_e64 v65, v17, v19, s[26:27]
	v_cndmask_b32_e64 v64, v16, v18, s[26:27]
	;; [unrolled: 1-line block ×4, first 2 shown]
	v_mov_b64_e32 v[16:17], v[64:65]
; %bb.750:
	s_or_b64 exec, exec, s[12:13]
.LBB263_751:
	s_or_b64 exec, exec, s[24:25]
	s_or_b64 exec, exec, s[22:23]
	v_cmp_lt_u32_e64 s[22:23], 7, v31
	s_and_saveexec_b64 s[24:25], s[22:23]
	s_cbranch_execz .LBB263_761
.LBB263_752:
	s_and_saveexec_b64 s[26:27], s[8:9]
	s_cbranch_execz .LBB263_760
; %bb.753:
	v_mad_u64_u32 v[64:65], s[12:13], v12, v6, v[8:9]
	v_mul_lo_u32 v66, v12, v7
	v_mul_lo_u32 v67, v13, v6
	v_add3_u32 v65, v67, v65, v66
	v_mad_u64_u32 v[66:67], s[12:13], v14, v6, v[8:9]
	v_mul_lo_u32 v68, v14, v7
	v_mul_lo_u32 v69, v15, v6
	v_add3_u32 v67, v69, v67, v68
	s_mov_b64 s[38:39], 0
	v_mov_b64_e32 v[68:69], v[6:7]
                                        ; implicit-def: $sgpr28_sgpr29
                                        ; implicit-def: $sgpr40_sgpr41
                                        ; implicit-def: $sgpr44_sgpr45
                                        ; implicit-def: $sgpr42_sgpr43
                                        ; implicit-def: $sgpr46_sgpr47
                                        ; implicit-def: $sgpr12_sgpr13
	s_branch .LBB263_755
.LBB263_754:                            ;   in Loop: Header=BB263_755 Depth=1
	s_or_b64 exec, exec, s[50:51]
	s_and_b64 s[50:51], exec, s[44:45]
	s_or_b64 s[38:39], s[50:51], s[38:39]
	s_andn2_b64 s[12:13], s[12:13], exec
	s_and_b64 s[50:51], s[46:47], exec
	s_or_b64 s[12:13], s[12:13], s[50:51]
	s_andn2_b64 s[40:41], s[40:41], exec
	s_and_b64 s[50:51], s[42:43], exec
	s_andn2_b64 s[28:29], s[28:29], exec
	s_and_b64 s[48:49], s[48:49], exec
	s_or_b64 s[40:41], s[40:41], s[50:51]
	s_or_b64 s[28:29], s[28:29], s[48:49]
	s_andn2_b64 exec, exec, s[38:39]
	s_cbranch_execz .LBB263_757
.LBB263_755:                            ; =>This Inner Loop Header: Depth=1
	flat_load_ubyte v70, v[66:67]
	flat_load_ubyte v71, v[64:65]
	s_andn2_b64 s[46:47], s[46:47], exec
	s_or_b64 s[42:43], s[42:43], exec
	s_or_b64 s[44:45], s[44:45], exec
	s_waitcnt vmcnt(0) lgkmcnt(0)
	v_cmp_le_i16_sdwa s[50:51], sext(v70), sext(v71) src0_sel:BYTE_0 src1_sel:BYTE_0
	v_cmp_lt_i16_sdwa s[48:49], sext(v70), sext(v71) src0_sel:BYTE_0 src1_sel:BYTE_0
	s_and_b64 s[50:51], s[50:51], s[12:13]
	v_cmp_eq_u16_sdwa s[52:53], v70, v71 src0_sel:BYTE_0 src1_sel:BYTE_0
	s_or_b64 s[48:49], s[48:49], s[50:51]
	s_and_saveexec_b64 s[50:51], s[52:53]
	s_cbranch_execz .LBB263_754
; %bb.756:                              ;   in Loop: Header=BB263_755 Depth=1
	v_lshl_add_u64 v[68:69], v[68:69], 0, -1
	v_cmp_eq_u64_e64 s[12:13], 0, v[68:69]
	s_andn2_b64 s[46:47], s[46:47], exec
	s_and_b64 s[52:53], s[48:49], exec
	s_andn2_b64 s[44:45], s[44:45], exec
	s_and_b64 s[12:13], s[12:13], exec
	v_lshl_add_u64 v[64:65], v[64:65], 0, 1
	v_lshl_add_u64 v[66:67], v[66:67], 0, 1
	s_or_b64 s[46:47], s[46:47], s[52:53]
	s_andn2_b64 s[42:43], s[42:43], exec
	s_or_b64 s[44:45], s[44:45], s[12:13]
                                        ; implicit-def: $sgpr12_sgpr13
	s_branch .LBB263_754
.LBB263_757:
	s_or_b64 exec, exec, s[38:39]
	s_and_saveexec_b64 s[12:13], s[40:41]
	s_xor_b64 s[12:13], exec, s[12:13]
; %bb.758:
	v_cndmask_b32_e64 v65, v13, v15, s[28:29]
	v_cndmask_b32_e64 v64, v12, v14, s[28:29]
	;; [unrolled: 1-line block ×4, first 2 shown]
	v_mov_b64_e32 v[12:13], v[64:65]
; %bb.759:
	s_or_b64 exec, exec, s[12:13]
.LBB263_760:
	s_or_b64 exec, exec, s[26:27]
.LBB263_761:
	s_or_b64 exec, exec, s[24:25]
	v_cmp_lt_u32_e64 s[24:25], 2, v31
	s_and_saveexec_b64 s[12:13], s[24:25]
	s_xor_b64 s[26:27], exec, s[12:13]
	s_cbranch_execnz .LBB263_785
; %bb.762:
	s_or_b64 exec, exec, s[26:27]
	v_cmp_lt_u32_e64 s[26:27], 4, v31
	s_and_saveexec_b64 s[28:29], s[26:27]
	s_cbranch_execnz .LBB263_794
.LBB263_763:
	s_or_b64 exec, exec, s[28:29]
	v_cmp_lt_u32_e64 s[28:29], 6, v31
	s_and_saveexec_b64 s[38:39], s[28:29]
	s_cbranch_execnz .LBB263_803
.LBB263_764:
	s_or_b64 exec, exec, s[38:39]
	s_and_saveexec_b64 s[38:39], s[16:17]
	s_cbranch_execnz .LBB263_812
.LBB263_765:
	s_or_b64 exec, exec, s[38:39]
	s_and_saveexec_b64 s[38:39], s[18:19]
	s_cbranch_execnz .LBB263_821
.LBB263_766:
	s_or_b64 exec, exec, s[38:39]
	s_and_saveexec_b64 s[38:39], s[20:21]
	s_cbranch_execnz .LBB263_830
.LBB263_767:
	s_or_b64 exec, exec, s[38:39]
	s_and_saveexec_b64 s[38:39], s[22:23]
	s_cbranch_execnz .LBB263_839
.LBB263_768:
	s_or_b64 exec, exec, s[38:39]
	s_and_saveexec_b64 s[38:39], s[24:25]
	s_cbranch_execnz .LBB263_848
.LBB263_769:
	s_or_b64 exec, exec, s[38:39]
	s_and_saveexec_b64 s[38:39], s[26:27]
	s_cbranch_execnz .LBB263_857
.LBB263_770:
	s_or_b64 exec, exec, s[38:39]
	s_and_saveexec_b64 s[38:39], s[28:29]
	s_cbranch_execnz .LBB263_866
.LBB263_771:
	s_or_b64 exec, exec, s[38:39]
	s_and_saveexec_b64 s[38:39], s[16:17]
	s_cbranch_execnz .LBB263_875
.LBB263_772:
	s_or_b64 exec, exec, s[38:39]
	s_and_saveexec_b64 s[38:39], s[18:19]
	s_cbranch_execnz .LBB263_884
.LBB263_773:
	s_or_b64 exec, exec, s[38:39]
	s_and_saveexec_b64 s[38:39], s[20:21]
	s_cbranch_execnz .LBB263_893
.LBB263_774:
	s_or_b64 exec, exec, s[38:39]
	s_and_saveexec_b64 s[38:39], s[22:23]
	s_cbranch_execnz .LBB263_902
.LBB263_775:
	s_or_b64 exec, exec, s[38:39]
	s_and_saveexec_b64 s[38:39], s[24:25]
	s_cbranch_execnz .LBB263_911
.LBB263_776:
	s_or_b64 exec, exec, s[38:39]
	s_and_saveexec_b64 s[38:39], s[26:27]
	s_cbranch_execnz .LBB263_920
.LBB263_777:
	s_or_b64 exec, exec, s[38:39]
	s_and_saveexec_b64 s[38:39], s[28:29]
	s_cbranch_execnz .LBB263_929
.LBB263_778:
	s_or_b64 exec, exec, s[38:39]
	s_and_saveexec_b64 s[38:39], s[16:17]
	s_cbranch_execnz .LBB263_938
.LBB263_779:
	s_or_b64 exec, exec, s[38:39]
	s_and_saveexec_b64 s[16:17], s[18:19]
	s_cbranch_execnz .LBB263_947
.LBB263_780:
	s_or_b64 exec, exec, s[16:17]
	s_and_saveexec_b64 s[16:17], s[20:21]
	s_cbranch_execnz .LBB263_956
.LBB263_781:
	s_or_b64 exec, exec, s[16:17]
	s_and_saveexec_b64 s[16:17], s[22:23]
	s_cbranch_execnz .LBB263_965
.LBB263_782:
	s_or_b64 exec, exec, s[16:17]
	s_and_saveexec_b64 s[16:17], s[24:25]
	s_cbranch_execnz .LBB263_974
.LBB263_783:
	s_or_b64 exec, exec, s[16:17]
	s_and_saveexec_b64 s[16:17], s[26:27]
	s_cbranch_execnz .LBB263_983
.LBB263_784:
	s_or_b64 exec, exec, s[16:17]
	s_and_saveexec_b64 s[16:17], s[28:29]
	s_cbranch_execnz .LBB263_992
	s_branch .LBB263_1001
.LBB263_785:
	s_and_saveexec_b64 s[28:29], s[8:9]
	s_cbranch_execz .LBB263_793
; %bb.786:
	v_mad_u64_u32 v[64:65], s[12:13], v26, v6, v[8:9]
	v_mul_lo_u32 v66, v26, v7
	v_mul_lo_u32 v67, v27, v6
	v_add3_u32 v65, v67, v65, v66
	v_mad_u64_u32 v[66:67], s[12:13], v20, v6, v[8:9]
	v_mul_lo_u32 v68, v20, v7
	v_mul_lo_u32 v69, v21, v6
	v_add3_u32 v67, v69, v67, v68
	s_mov_b64 s[40:41], 0
	v_mov_b64_e32 v[68:69], v[6:7]
                                        ; implicit-def: $sgpr38_sgpr39
                                        ; implicit-def: $sgpr42_sgpr43
                                        ; implicit-def: $sgpr46_sgpr47
                                        ; implicit-def: $sgpr44_sgpr45
                                        ; implicit-def: $sgpr48_sgpr49
                                        ; implicit-def: $sgpr12_sgpr13
	s_branch .LBB263_788
.LBB263_787:                            ;   in Loop: Header=BB263_788 Depth=1
	s_or_b64 exec, exec, s[52:53]
	s_and_b64 s[52:53], exec, s[46:47]
	s_or_b64 s[40:41], s[52:53], s[40:41]
	s_andn2_b64 s[12:13], s[12:13], exec
	s_and_b64 s[52:53], s[48:49], exec
	s_or_b64 s[12:13], s[12:13], s[52:53]
	s_andn2_b64 s[42:43], s[42:43], exec
	s_and_b64 s[52:53], s[44:45], exec
	s_andn2_b64 s[38:39], s[38:39], exec
	s_and_b64 s[50:51], s[50:51], exec
	s_or_b64 s[42:43], s[42:43], s[52:53]
	s_or_b64 s[38:39], s[38:39], s[50:51]
	s_andn2_b64 exec, exec, s[40:41]
	s_cbranch_execz .LBB263_790
.LBB263_788:                            ; =>This Inner Loop Header: Depth=1
	flat_load_ubyte v70, v[66:67]
	flat_load_ubyte v71, v[64:65]
	s_andn2_b64 s[48:49], s[48:49], exec
	s_or_b64 s[44:45], s[44:45], exec
	s_or_b64 s[46:47], s[46:47], exec
	s_waitcnt vmcnt(0) lgkmcnt(0)
	v_cmp_le_i16_sdwa s[52:53], sext(v70), sext(v71) src0_sel:BYTE_0 src1_sel:BYTE_0
	v_cmp_lt_i16_sdwa s[50:51], sext(v70), sext(v71) src0_sel:BYTE_0 src1_sel:BYTE_0
	s_and_b64 s[52:53], s[52:53], s[12:13]
	v_cmp_eq_u16_sdwa s[54:55], v70, v71 src0_sel:BYTE_0 src1_sel:BYTE_0
	s_or_b64 s[50:51], s[50:51], s[52:53]
	s_and_saveexec_b64 s[52:53], s[54:55]
	s_cbranch_execz .LBB263_787
; %bb.789:                              ;   in Loop: Header=BB263_788 Depth=1
	v_lshl_add_u64 v[68:69], v[68:69], 0, -1
	v_cmp_eq_u64_e64 s[12:13], 0, v[68:69]
	s_andn2_b64 s[48:49], s[48:49], exec
	s_and_b64 s[54:55], s[50:51], exec
	s_andn2_b64 s[46:47], s[46:47], exec
	s_and_b64 s[12:13], s[12:13], exec
	v_lshl_add_u64 v[64:65], v[64:65], 0, 1
	v_lshl_add_u64 v[66:67], v[66:67], 0, 1
	s_or_b64 s[48:49], s[48:49], s[54:55]
	s_andn2_b64 s[44:45], s[44:45], exec
	s_or_b64 s[46:47], s[46:47], s[12:13]
                                        ; implicit-def: $sgpr12_sgpr13
	s_branch .LBB263_787
.LBB263_790:
	s_or_b64 exec, exec, s[40:41]
	s_and_saveexec_b64 s[12:13], s[42:43]
	s_xor_b64 s[12:13], exec, s[12:13]
; %bb.791:
	v_cndmask_b32_e64 v65, v27, v21, s[38:39]
	v_cndmask_b32_e64 v64, v26, v20, s[38:39]
	;; [unrolled: 1-line block ×4, first 2 shown]
	v_mov_b64_e32 v[26:27], v[64:65]
; %bb.792:
	s_or_b64 exec, exec, s[12:13]
.LBB263_793:
	s_or_b64 exec, exec, s[28:29]
	s_or_b64 exec, exec, s[26:27]
	v_cmp_lt_u32_e64 s[26:27], 4, v31
	s_and_saveexec_b64 s[28:29], s[26:27]
	s_cbranch_execz .LBB263_763
.LBB263_794:
	s_and_saveexec_b64 s[38:39], s[8:9]
	s_cbranch_execz .LBB263_802
; %bb.795:
	v_mad_u64_u32 v[64:65], s[12:13], v22, v6, v[8:9]
	v_mul_lo_u32 v66, v22, v7
	v_mul_lo_u32 v67, v23, v6
	v_add3_u32 v65, v67, v65, v66
	v_mad_u64_u32 v[66:67], s[12:13], v16, v6, v[8:9]
	v_mul_lo_u32 v68, v16, v7
	v_mul_lo_u32 v69, v17, v6
	v_add3_u32 v67, v69, v67, v68
	s_mov_b64 s[42:43], 0
	v_mov_b64_e32 v[68:69], v[6:7]
                                        ; implicit-def: $sgpr40_sgpr41
                                        ; implicit-def: $sgpr44_sgpr45
                                        ; implicit-def: $sgpr48_sgpr49
                                        ; implicit-def: $sgpr46_sgpr47
                                        ; implicit-def: $sgpr50_sgpr51
                                        ; implicit-def: $sgpr12_sgpr13
	s_branch .LBB263_797
.LBB263_796:                            ;   in Loop: Header=BB263_797 Depth=1
	s_or_b64 exec, exec, s[54:55]
	s_and_b64 s[54:55], exec, s[48:49]
	s_or_b64 s[42:43], s[54:55], s[42:43]
	s_andn2_b64 s[12:13], s[12:13], exec
	s_and_b64 s[54:55], s[50:51], exec
	s_or_b64 s[12:13], s[12:13], s[54:55]
	s_andn2_b64 s[44:45], s[44:45], exec
	s_and_b64 s[54:55], s[46:47], exec
	s_andn2_b64 s[40:41], s[40:41], exec
	s_and_b64 s[52:53], s[52:53], exec
	s_or_b64 s[44:45], s[44:45], s[54:55]
	s_or_b64 s[40:41], s[40:41], s[52:53]
	s_andn2_b64 exec, exec, s[42:43]
	s_cbranch_execz .LBB263_799
.LBB263_797:                            ; =>This Inner Loop Header: Depth=1
	flat_load_ubyte v70, v[66:67]
	flat_load_ubyte v71, v[64:65]
	s_andn2_b64 s[50:51], s[50:51], exec
	s_or_b64 s[46:47], s[46:47], exec
	s_or_b64 s[48:49], s[48:49], exec
	s_waitcnt vmcnt(0) lgkmcnt(0)
	v_cmp_le_i16_sdwa s[54:55], sext(v70), sext(v71) src0_sel:BYTE_0 src1_sel:BYTE_0
	v_cmp_lt_i16_sdwa s[52:53], sext(v70), sext(v71) src0_sel:BYTE_0 src1_sel:BYTE_0
	s_and_b64 s[54:55], s[54:55], s[12:13]
	v_cmp_eq_u16_sdwa s[56:57], v70, v71 src0_sel:BYTE_0 src1_sel:BYTE_0
	s_or_b64 s[52:53], s[52:53], s[54:55]
	s_and_saveexec_b64 s[54:55], s[56:57]
	s_cbranch_execz .LBB263_796
; %bb.798:                              ;   in Loop: Header=BB263_797 Depth=1
	v_lshl_add_u64 v[68:69], v[68:69], 0, -1
	v_cmp_eq_u64_e64 s[12:13], 0, v[68:69]
	s_andn2_b64 s[50:51], s[50:51], exec
	s_and_b64 s[56:57], s[52:53], exec
	s_andn2_b64 s[48:49], s[48:49], exec
	s_and_b64 s[12:13], s[12:13], exec
	v_lshl_add_u64 v[64:65], v[64:65], 0, 1
	v_lshl_add_u64 v[66:67], v[66:67], 0, 1
	s_or_b64 s[50:51], s[50:51], s[56:57]
	s_andn2_b64 s[46:47], s[46:47], exec
	s_or_b64 s[48:49], s[48:49], s[12:13]
                                        ; implicit-def: $sgpr12_sgpr13
	s_branch .LBB263_796
.LBB263_799:
	s_or_b64 exec, exec, s[42:43]
	s_and_saveexec_b64 s[12:13], s[44:45]
	s_xor_b64 s[12:13], exec, s[12:13]
; %bb.800:
	v_cndmask_b32_e64 v65, v23, v17, s[40:41]
	v_cndmask_b32_e64 v64, v22, v16, s[40:41]
	;; [unrolled: 1-line block ×4, first 2 shown]
	v_mov_b64_e32 v[22:23], v[64:65]
; %bb.801:
	s_or_b64 exec, exec, s[12:13]
.LBB263_802:
	s_or_b64 exec, exec, s[38:39]
	s_or_b64 exec, exec, s[28:29]
	v_cmp_lt_u32_e64 s[28:29], 6, v31
	s_and_saveexec_b64 s[38:39], s[28:29]
	s_cbranch_execz .LBB263_764
.LBB263_803:
	s_and_saveexec_b64 s[40:41], s[8:9]
	s_cbranch_execz .LBB263_811
; %bb.804:
	v_mad_u64_u32 v[64:65], s[12:13], v18, v6, v[8:9]
	v_mul_lo_u32 v31, v18, v7
	v_mul_lo_u32 v66, v19, v6
	v_add3_u32 v65, v66, v65, v31
	v_mad_u64_u32 v[66:67], s[12:13], v12, v6, v[8:9]
	v_mul_lo_u32 v31, v12, v7
	v_mul_lo_u32 v68, v13, v6
	v_add3_u32 v67, v68, v67, v31
	s_mov_b64 s[44:45], 0
	v_mov_b64_e32 v[68:69], v[6:7]
                                        ; implicit-def: $sgpr42_sgpr43
                                        ; implicit-def: $sgpr46_sgpr47
                                        ; implicit-def: $sgpr50_sgpr51
                                        ; implicit-def: $sgpr48_sgpr49
                                        ; implicit-def: $sgpr52_sgpr53
                                        ; implicit-def: $sgpr12_sgpr13
	s_branch .LBB263_806
.LBB263_805:                            ;   in Loop: Header=BB263_806 Depth=1
	s_or_b64 exec, exec, s[56:57]
	s_and_b64 s[56:57], exec, s[50:51]
	s_or_b64 s[44:45], s[56:57], s[44:45]
	s_andn2_b64 s[12:13], s[12:13], exec
	s_and_b64 s[56:57], s[52:53], exec
	s_or_b64 s[12:13], s[12:13], s[56:57]
	s_andn2_b64 s[46:47], s[46:47], exec
	s_and_b64 s[56:57], s[48:49], exec
	s_andn2_b64 s[42:43], s[42:43], exec
	s_and_b64 s[54:55], s[54:55], exec
	s_or_b64 s[46:47], s[46:47], s[56:57]
	s_or_b64 s[42:43], s[42:43], s[54:55]
	s_andn2_b64 exec, exec, s[44:45]
	s_cbranch_execz .LBB263_808
.LBB263_806:                            ; =>This Inner Loop Header: Depth=1
	flat_load_ubyte v31, v[66:67]
	flat_load_ubyte v70, v[64:65]
	s_andn2_b64 s[52:53], s[52:53], exec
	s_or_b64 s[48:49], s[48:49], exec
	s_or_b64 s[50:51], s[50:51], exec
	s_waitcnt vmcnt(0) lgkmcnt(0)
	v_cmp_le_i16_sdwa s[56:57], sext(v31), sext(v70) src0_sel:BYTE_0 src1_sel:BYTE_0
	v_cmp_lt_i16_sdwa s[54:55], sext(v31), sext(v70) src0_sel:BYTE_0 src1_sel:BYTE_0
	s_and_b64 s[56:57], s[56:57], s[12:13]
	v_cmp_eq_u16_sdwa s[58:59], v31, v70 src0_sel:BYTE_0 src1_sel:BYTE_0
	s_or_b64 s[54:55], s[54:55], s[56:57]
	s_and_saveexec_b64 s[56:57], s[58:59]
	s_cbranch_execz .LBB263_805
; %bb.807:                              ;   in Loop: Header=BB263_806 Depth=1
	v_lshl_add_u64 v[68:69], v[68:69], 0, -1
	v_cmp_eq_u64_e64 s[12:13], 0, v[68:69]
	s_andn2_b64 s[52:53], s[52:53], exec
	s_and_b64 s[58:59], s[54:55], exec
	s_andn2_b64 s[50:51], s[50:51], exec
	s_and_b64 s[12:13], s[12:13], exec
	v_lshl_add_u64 v[64:65], v[64:65], 0, 1
	v_lshl_add_u64 v[66:67], v[66:67], 0, 1
	s_or_b64 s[52:53], s[52:53], s[58:59]
	s_andn2_b64 s[48:49], s[48:49], exec
	s_or_b64 s[50:51], s[50:51], s[12:13]
                                        ; implicit-def: $sgpr12_sgpr13
	s_branch .LBB263_805
.LBB263_808:
	s_or_b64 exec, exec, s[44:45]
	s_and_saveexec_b64 s[12:13], s[46:47]
	s_xor_b64 s[12:13], exec, s[12:13]
; %bb.809:
	v_cndmask_b32_e64 v65, v19, v13, s[42:43]
	v_cndmask_b32_e64 v64, v18, v12, s[42:43]
	;; [unrolled: 1-line block ×4, first 2 shown]
	v_mov_b64_e32 v[18:19], v[64:65]
; %bb.810:
	s_or_b64 exec, exec, s[12:13]
.LBB263_811:
	s_or_b64 exec, exec, s[40:41]
	s_or_b64 exec, exec, s[38:39]
	s_and_saveexec_b64 s[38:39], s[16:17]
	s_cbranch_execz .LBB263_765
.LBB263_812:
	s_and_saveexec_b64 s[40:41], s[8:9]
	s_cbranch_execz .LBB263_820
; %bb.813:
	v_mad_u64_u32 v[64:65], s[12:13], v24, v6, v[8:9]
	v_mul_lo_u32 v31, v24, v7
	v_mul_lo_u32 v66, v25, v6
	v_add3_u32 v65, v66, v65, v31
	v_mad_u64_u32 v[66:67], s[12:13], v26, v6, v[8:9]
	v_mul_lo_u32 v31, v26, v7
	v_mul_lo_u32 v68, v27, v6
	v_add3_u32 v67, v68, v67, v31
	s_mov_b64 s[44:45], 0
	v_mov_b64_e32 v[68:69], v[6:7]
                                        ; implicit-def: $sgpr42_sgpr43
                                        ; implicit-def: $sgpr46_sgpr47
                                        ; implicit-def: $sgpr50_sgpr51
                                        ; implicit-def: $sgpr48_sgpr49
                                        ; implicit-def: $sgpr52_sgpr53
                                        ; implicit-def: $sgpr12_sgpr13
	s_branch .LBB263_815
.LBB263_814:                            ;   in Loop: Header=BB263_815 Depth=1
	s_or_b64 exec, exec, s[56:57]
	s_and_b64 s[56:57], exec, s[50:51]
	s_or_b64 s[44:45], s[56:57], s[44:45]
	s_andn2_b64 s[12:13], s[12:13], exec
	s_and_b64 s[56:57], s[52:53], exec
	s_or_b64 s[12:13], s[12:13], s[56:57]
	s_andn2_b64 s[46:47], s[46:47], exec
	s_and_b64 s[56:57], s[48:49], exec
	s_andn2_b64 s[42:43], s[42:43], exec
	s_and_b64 s[54:55], s[54:55], exec
	s_or_b64 s[46:47], s[46:47], s[56:57]
	s_or_b64 s[42:43], s[42:43], s[54:55]
	s_andn2_b64 exec, exec, s[44:45]
	s_cbranch_execz .LBB263_817
.LBB263_815:                            ; =>This Inner Loop Header: Depth=1
	flat_load_ubyte v31, v[66:67]
	flat_load_ubyte v70, v[64:65]
	s_andn2_b64 s[52:53], s[52:53], exec
	s_or_b64 s[48:49], s[48:49], exec
	s_or_b64 s[50:51], s[50:51], exec
	s_waitcnt vmcnt(0) lgkmcnt(0)
	v_cmp_le_i16_sdwa s[56:57], sext(v31), sext(v70) src0_sel:BYTE_0 src1_sel:BYTE_0
	v_cmp_lt_i16_sdwa s[54:55], sext(v31), sext(v70) src0_sel:BYTE_0 src1_sel:BYTE_0
	s_and_b64 s[56:57], s[56:57], s[12:13]
	v_cmp_eq_u16_sdwa s[58:59], v31, v70 src0_sel:BYTE_0 src1_sel:BYTE_0
	s_or_b64 s[54:55], s[54:55], s[56:57]
	s_and_saveexec_b64 s[56:57], s[58:59]
	s_cbranch_execz .LBB263_814
; %bb.816:                              ;   in Loop: Header=BB263_815 Depth=1
	v_lshl_add_u64 v[68:69], v[68:69], 0, -1
	v_cmp_eq_u64_e64 s[12:13], 0, v[68:69]
	s_andn2_b64 s[52:53], s[52:53], exec
	s_and_b64 s[58:59], s[54:55], exec
	s_andn2_b64 s[50:51], s[50:51], exec
	s_and_b64 s[12:13], s[12:13], exec
	v_lshl_add_u64 v[64:65], v[64:65], 0, 1
	v_lshl_add_u64 v[66:67], v[66:67], 0, 1
	s_or_b64 s[52:53], s[52:53], s[58:59]
	s_andn2_b64 s[48:49], s[48:49], exec
	s_or_b64 s[50:51], s[50:51], s[12:13]
                                        ; implicit-def: $sgpr12_sgpr13
	s_branch .LBB263_814
.LBB263_817:
	s_or_b64 exec, exec, s[44:45]
	s_and_saveexec_b64 s[12:13], s[46:47]
	s_xor_b64 s[12:13], exec, s[12:13]
; %bb.818:
	v_cndmask_b32_e64 v65, v27, v25, s[42:43]
	v_cndmask_b32_e64 v64, v26, v24, s[42:43]
	v_cndmask_b32_e64 v25, v25, v27, s[42:43]
	v_cndmask_b32_e64 v24, v24, v26, s[42:43]
	v_mov_b64_e32 v[26:27], v[64:65]
; %bb.819:
	s_or_b64 exec, exec, s[12:13]
.LBB263_820:
	s_or_b64 exec, exec, s[40:41]
	s_or_b64 exec, exec, s[38:39]
	s_and_saveexec_b64 s[38:39], s[18:19]
	s_cbranch_execz .LBB263_766
.LBB263_821:
	s_and_saveexec_b64 s[40:41], s[8:9]
	s_cbranch_execz .LBB263_829
; %bb.822:
	v_mad_u64_u32 v[64:65], s[12:13], v20, v6, v[8:9]
	v_mul_lo_u32 v31, v20, v7
	v_mul_lo_u32 v66, v21, v6
	v_add3_u32 v65, v66, v65, v31
	v_mad_u64_u32 v[66:67], s[12:13], v22, v6, v[8:9]
	v_mul_lo_u32 v31, v22, v7
	v_mul_lo_u32 v68, v23, v6
	v_add3_u32 v67, v68, v67, v31
	s_mov_b64 s[44:45], 0
	v_mov_b64_e32 v[68:69], v[6:7]
                                        ; implicit-def: $sgpr42_sgpr43
                                        ; implicit-def: $sgpr46_sgpr47
                                        ; implicit-def: $sgpr50_sgpr51
                                        ; implicit-def: $sgpr48_sgpr49
                                        ; implicit-def: $sgpr52_sgpr53
                                        ; implicit-def: $sgpr12_sgpr13
	s_branch .LBB263_824
.LBB263_823:                            ;   in Loop: Header=BB263_824 Depth=1
	s_or_b64 exec, exec, s[56:57]
	s_and_b64 s[56:57], exec, s[50:51]
	s_or_b64 s[44:45], s[56:57], s[44:45]
	s_andn2_b64 s[12:13], s[12:13], exec
	s_and_b64 s[56:57], s[52:53], exec
	s_or_b64 s[12:13], s[12:13], s[56:57]
	s_andn2_b64 s[46:47], s[46:47], exec
	s_and_b64 s[56:57], s[48:49], exec
	s_andn2_b64 s[42:43], s[42:43], exec
	s_and_b64 s[54:55], s[54:55], exec
	s_or_b64 s[46:47], s[46:47], s[56:57]
	s_or_b64 s[42:43], s[42:43], s[54:55]
	s_andn2_b64 exec, exec, s[44:45]
	s_cbranch_execz .LBB263_826
.LBB263_824:                            ; =>This Inner Loop Header: Depth=1
	flat_load_ubyte v31, v[66:67]
	flat_load_ubyte v70, v[64:65]
	s_andn2_b64 s[52:53], s[52:53], exec
	s_or_b64 s[48:49], s[48:49], exec
	s_or_b64 s[50:51], s[50:51], exec
	s_waitcnt vmcnt(0) lgkmcnt(0)
	v_cmp_le_i16_sdwa s[56:57], sext(v31), sext(v70) src0_sel:BYTE_0 src1_sel:BYTE_0
	v_cmp_lt_i16_sdwa s[54:55], sext(v31), sext(v70) src0_sel:BYTE_0 src1_sel:BYTE_0
	s_and_b64 s[56:57], s[56:57], s[12:13]
	v_cmp_eq_u16_sdwa s[58:59], v31, v70 src0_sel:BYTE_0 src1_sel:BYTE_0
	s_or_b64 s[54:55], s[54:55], s[56:57]
	s_and_saveexec_b64 s[56:57], s[58:59]
	s_cbranch_execz .LBB263_823
; %bb.825:                              ;   in Loop: Header=BB263_824 Depth=1
	v_lshl_add_u64 v[68:69], v[68:69], 0, -1
	v_cmp_eq_u64_e64 s[12:13], 0, v[68:69]
	s_andn2_b64 s[52:53], s[52:53], exec
	s_and_b64 s[58:59], s[54:55], exec
	s_andn2_b64 s[50:51], s[50:51], exec
	s_and_b64 s[12:13], s[12:13], exec
	v_lshl_add_u64 v[64:65], v[64:65], 0, 1
	v_lshl_add_u64 v[66:67], v[66:67], 0, 1
	s_or_b64 s[52:53], s[52:53], s[58:59]
	s_andn2_b64 s[48:49], s[48:49], exec
	s_or_b64 s[50:51], s[50:51], s[12:13]
                                        ; implicit-def: $sgpr12_sgpr13
	s_branch .LBB263_823
.LBB263_826:
	s_or_b64 exec, exec, s[44:45]
	s_and_saveexec_b64 s[12:13], s[46:47]
	s_xor_b64 s[12:13], exec, s[12:13]
; %bb.827:
	v_cndmask_b32_e64 v65, v21, v23, s[42:43]
	v_cndmask_b32_e64 v64, v20, v22, s[42:43]
	;; [unrolled: 1-line block ×4, first 2 shown]
	v_mov_b64_e32 v[20:21], v[64:65]
; %bb.828:
	s_or_b64 exec, exec, s[12:13]
.LBB263_829:
	s_or_b64 exec, exec, s[40:41]
	s_or_b64 exec, exec, s[38:39]
	s_and_saveexec_b64 s[38:39], s[20:21]
	s_cbranch_execz .LBB263_767
.LBB263_830:
	s_and_saveexec_b64 s[40:41], s[8:9]
	s_cbranch_execz .LBB263_838
; %bb.831:
	v_mad_u64_u32 v[64:65], s[12:13], v16, v6, v[8:9]
	v_mul_lo_u32 v31, v16, v7
	v_mul_lo_u32 v66, v17, v6
	v_add3_u32 v65, v66, v65, v31
	v_mad_u64_u32 v[66:67], s[12:13], v18, v6, v[8:9]
	v_mul_lo_u32 v31, v18, v7
	v_mul_lo_u32 v68, v19, v6
	v_add3_u32 v67, v68, v67, v31
	s_mov_b64 s[44:45], 0
	v_mov_b64_e32 v[68:69], v[6:7]
                                        ; implicit-def: $sgpr42_sgpr43
                                        ; implicit-def: $sgpr46_sgpr47
                                        ; implicit-def: $sgpr50_sgpr51
                                        ; implicit-def: $sgpr48_sgpr49
                                        ; implicit-def: $sgpr52_sgpr53
                                        ; implicit-def: $sgpr12_sgpr13
	s_branch .LBB263_833
.LBB263_832:                            ;   in Loop: Header=BB263_833 Depth=1
	s_or_b64 exec, exec, s[56:57]
	s_and_b64 s[56:57], exec, s[50:51]
	s_or_b64 s[44:45], s[56:57], s[44:45]
	s_andn2_b64 s[12:13], s[12:13], exec
	s_and_b64 s[56:57], s[52:53], exec
	s_or_b64 s[12:13], s[12:13], s[56:57]
	s_andn2_b64 s[46:47], s[46:47], exec
	s_and_b64 s[56:57], s[48:49], exec
	s_andn2_b64 s[42:43], s[42:43], exec
	s_and_b64 s[54:55], s[54:55], exec
	s_or_b64 s[46:47], s[46:47], s[56:57]
	s_or_b64 s[42:43], s[42:43], s[54:55]
	s_andn2_b64 exec, exec, s[44:45]
	s_cbranch_execz .LBB263_835
.LBB263_833:                            ; =>This Inner Loop Header: Depth=1
	flat_load_ubyte v31, v[66:67]
	flat_load_ubyte v70, v[64:65]
	s_andn2_b64 s[52:53], s[52:53], exec
	s_or_b64 s[48:49], s[48:49], exec
	s_or_b64 s[50:51], s[50:51], exec
	s_waitcnt vmcnt(0) lgkmcnt(0)
	v_cmp_le_i16_sdwa s[56:57], sext(v31), sext(v70) src0_sel:BYTE_0 src1_sel:BYTE_0
	v_cmp_lt_i16_sdwa s[54:55], sext(v31), sext(v70) src0_sel:BYTE_0 src1_sel:BYTE_0
	s_and_b64 s[56:57], s[56:57], s[12:13]
	v_cmp_eq_u16_sdwa s[58:59], v31, v70 src0_sel:BYTE_0 src1_sel:BYTE_0
	s_or_b64 s[54:55], s[54:55], s[56:57]
	s_and_saveexec_b64 s[56:57], s[58:59]
	s_cbranch_execz .LBB263_832
; %bb.834:                              ;   in Loop: Header=BB263_833 Depth=1
	v_lshl_add_u64 v[68:69], v[68:69], 0, -1
	v_cmp_eq_u64_e64 s[12:13], 0, v[68:69]
	s_andn2_b64 s[52:53], s[52:53], exec
	s_and_b64 s[58:59], s[54:55], exec
	s_andn2_b64 s[50:51], s[50:51], exec
	s_and_b64 s[12:13], s[12:13], exec
	v_lshl_add_u64 v[64:65], v[64:65], 0, 1
	v_lshl_add_u64 v[66:67], v[66:67], 0, 1
	s_or_b64 s[52:53], s[52:53], s[58:59]
	s_andn2_b64 s[48:49], s[48:49], exec
	s_or_b64 s[50:51], s[50:51], s[12:13]
                                        ; implicit-def: $sgpr12_sgpr13
	s_branch .LBB263_832
.LBB263_835:
	s_or_b64 exec, exec, s[44:45]
	s_and_saveexec_b64 s[12:13], s[46:47]
	s_xor_b64 s[12:13], exec, s[12:13]
; %bb.836:
	v_cndmask_b32_e64 v65, v17, v19, s[42:43]
	v_cndmask_b32_e64 v64, v16, v18, s[42:43]
	v_cndmask_b32_e64 v19, v19, v17, s[42:43]
	v_cndmask_b32_e64 v18, v18, v16, s[42:43]
	v_mov_b64_e32 v[16:17], v[64:65]
; %bb.837:
	s_or_b64 exec, exec, s[12:13]
.LBB263_838:
	s_or_b64 exec, exec, s[40:41]
	s_or_b64 exec, exec, s[38:39]
	s_and_saveexec_b64 s[38:39], s[22:23]
	s_cbranch_execz .LBB263_768
.LBB263_839:
	s_and_saveexec_b64 s[40:41], s[8:9]
	s_cbranch_execz .LBB263_847
; %bb.840:
	v_mad_u64_u32 v[64:65], s[12:13], v12, v6, v[8:9]
	v_mul_lo_u32 v31, v12, v7
	v_mul_lo_u32 v66, v13, v6
	v_add3_u32 v65, v66, v65, v31
	v_mad_u64_u32 v[66:67], s[12:13], v14, v6, v[8:9]
	v_mul_lo_u32 v31, v14, v7
	v_mul_lo_u32 v68, v15, v6
	v_add3_u32 v67, v68, v67, v31
	s_mov_b64 s[44:45], 0
	v_mov_b64_e32 v[68:69], v[6:7]
                                        ; implicit-def: $sgpr42_sgpr43
                                        ; implicit-def: $sgpr46_sgpr47
                                        ; implicit-def: $sgpr50_sgpr51
                                        ; implicit-def: $sgpr48_sgpr49
                                        ; implicit-def: $sgpr52_sgpr53
                                        ; implicit-def: $sgpr12_sgpr13
	s_branch .LBB263_842
.LBB263_841:                            ;   in Loop: Header=BB263_842 Depth=1
	s_or_b64 exec, exec, s[56:57]
	s_and_b64 s[56:57], exec, s[50:51]
	s_or_b64 s[44:45], s[56:57], s[44:45]
	s_andn2_b64 s[12:13], s[12:13], exec
	s_and_b64 s[56:57], s[52:53], exec
	s_or_b64 s[12:13], s[12:13], s[56:57]
	s_andn2_b64 s[46:47], s[46:47], exec
	s_and_b64 s[56:57], s[48:49], exec
	s_andn2_b64 s[42:43], s[42:43], exec
	s_and_b64 s[54:55], s[54:55], exec
	s_or_b64 s[46:47], s[46:47], s[56:57]
	s_or_b64 s[42:43], s[42:43], s[54:55]
	s_andn2_b64 exec, exec, s[44:45]
	s_cbranch_execz .LBB263_844
.LBB263_842:                            ; =>This Inner Loop Header: Depth=1
	flat_load_ubyte v31, v[66:67]
	flat_load_ubyte v70, v[64:65]
	s_andn2_b64 s[52:53], s[52:53], exec
	s_or_b64 s[48:49], s[48:49], exec
	s_or_b64 s[50:51], s[50:51], exec
	s_waitcnt vmcnt(0) lgkmcnt(0)
	v_cmp_le_i16_sdwa s[56:57], sext(v31), sext(v70) src0_sel:BYTE_0 src1_sel:BYTE_0
	v_cmp_lt_i16_sdwa s[54:55], sext(v31), sext(v70) src0_sel:BYTE_0 src1_sel:BYTE_0
	s_and_b64 s[56:57], s[56:57], s[12:13]
	v_cmp_eq_u16_sdwa s[58:59], v31, v70 src0_sel:BYTE_0 src1_sel:BYTE_0
	s_or_b64 s[54:55], s[54:55], s[56:57]
	s_and_saveexec_b64 s[56:57], s[58:59]
	s_cbranch_execz .LBB263_841
; %bb.843:                              ;   in Loop: Header=BB263_842 Depth=1
	v_lshl_add_u64 v[68:69], v[68:69], 0, -1
	v_cmp_eq_u64_e64 s[12:13], 0, v[68:69]
	s_andn2_b64 s[52:53], s[52:53], exec
	s_and_b64 s[58:59], s[54:55], exec
	s_andn2_b64 s[50:51], s[50:51], exec
	s_and_b64 s[12:13], s[12:13], exec
	v_lshl_add_u64 v[64:65], v[64:65], 0, 1
	v_lshl_add_u64 v[66:67], v[66:67], 0, 1
	s_or_b64 s[52:53], s[52:53], s[58:59]
	s_andn2_b64 s[48:49], s[48:49], exec
	s_or_b64 s[50:51], s[50:51], s[12:13]
                                        ; implicit-def: $sgpr12_sgpr13
	s_branch .LBB263_841
.LBB263_844:
	s_or_b64 exec, exec, s[44:45]
	s_and_saveexec_b64 s[12:13], s[46:47]
	s_xor_b64 s[12:13], exec, s[12:13]
; %bb.845:
	v_cndmask_b32_e64 v65, v13, v15, s[42:43]
	v_cndmask_b32_e64 v64, v12, v14, s[42:43]
	;; [unrolled: 1-line block ×4, first 2 shown]
	v_mov_b64_e32 v[12:13], v[64:65]
; %bb.846:
	s_or_b64 exec, exec, s[12:13]
.LBB263_847:
	s_or_b64 exec, exec, s[40:41]
	s_or_b64 exec, exec, s[38:39]
	s_and_saveexec_b64 s[38:39], s[24:25]
	s_cbranch_execz .LBB263_769
.LBB263_848:
	s_and_saveexec_b64 s[40:41], s[8:9]
	s_cbranch_execz .LBB263_856
; %bb.849:
	v_mad_u64_u32 v[64:65], s[12:13], v26, v6, v[8:9]
	v_mul_lo_u32 v31, v26, v7
	v_mul_lo_u32 v66, v27, v6
	v_add3_u32 v65, v66, v65, v31
	v_mad_u64_u32 v[66:67], s[12:13], v20, v6, v[8:9]
	v_mul_lo_u32 v31, v20, v7
	v_mul_lo_u32 v68, v21, v6
	v_add3_u32 v67, v68, v67, v31
	s_mov_b64 s[44:45], 0
	v_mov_b64_e32 v[68:69], v[6:7]
                                        ; implicit-def: $sgpr42_sgpr43
                                        ; implicit-def: $sgpr46_sgpr47
                                        ; implicit-def: $sgpr50_sgpr51
                                        ; implicit-def: $sgpr48_sgpr49
                                        ; implicit-def: $sgpr52_sgpr53
                                        ; implicit-def: $sgpr12_sgpr13
	s_branch .LBB263_851
.LBB263_850:                            ;   in Loop: Header=BB263_851 Depth=1
	s_or_b64 exec, exec, s[56:57]
	s_and_b64 s[56:57], exec, s[50:51]
	s_or_b64 s[44:45], s[56:57], s[44:45]
	s_andn2_b64 s[12:13], s[12:13], exec
	s_and_b64 s[56:57], s[52:53], exec
	s_or_b64 s[12:13], s[12:13], s[56:57]
	s_andn2_b64 s[46:47], s[46:47], exec
	s_and_b64 s[56:57], s[48:49], exec
	s_andn2_b64 s[42:43], s[42:43], exec
	s_and_b64 s[54:55], s[54:55], exec
	s_or_b64 s[46:47], s[46:47], s[56:57]
	s_or_b64 s[42:43], s[42:43], s[54:55]
	s_andn2_b64 exec, exec, s[44:45]
	s_cbranch_execz .LBB263_853
.LBB263_851:                            ; =>This Inner Loop Header: Depth=1
	flat_load_ubyte v31, v[66:67]
	flat_load_ubyte v70, v[64:65]
	s_andn2_b64 s[52:53], s[52:53], exec
	s_or_b64 s[48:49], s[48:49], exec
	s_or_b64 s[50:51], s[50:51], exec
	s_waitcnt vmcnt(0) lgkmcnt(0)
	v_cmp_le_i16_sdwa s[56:57], sext(v31), sext(v70) src0_sel:BYTE_0 src1_sel:BYTE_0
	v_cmp_lt_i16_sdwa s[54:55], sext(v31), sext(v70) src0_sel:BYTE_0 src1_sel:BYTE_0
	s_and_b64 s[56:57], s[56:57], s[12:13]
	v_cmp_eq_u16_sdwa s[58:59], v31, v70 src0_sel:BYTE_0 src1_sel:BYTE_0
	s_or_b64 s[54:55], s[54:55], s[56:57]
	s_and_saveexec_b64 s[56:57], s[58:59]
	s_cbranch_execz .LBB263_850
; %bb.852:                              ;   in Loop: Header=BB263_851 Depth=1
	v_lshl_add_u64 v[68:69], v[68:69], 0, -1
	v_cmp_eq_u64_e64 s[12:13], 0, v[68:69]
	s_andn2_b64 s[52:53], s[52:53], exec
	s_and_b64 s[58:59], s[54:55], exec
	s_andn2_b64 s[50:51], s[50:51], exec
	s_and_b64 s[12:13], s[12:13], exec
	v_lshl_add_u64 v[64:65], v[64:65], 0, 1
	v_lshl_add_u64 v[66:67], v[66:67], 0, 1
	s_or_b64 s[52:53], s[52:53], s[58:59]
	s_andn2_b64 s[48:49], s[48:49], exec
	s_or_b64 s[50:51], s[50:51], s[12:13]
                                        ; implicit-def: $sgpr12_sgpr13
	s_branch .LBB263_850
.LBB263_853:
	s_or_b64 exec, exec, s[44:45]
	s_and_saveexec_b64 s[12:13], s[46:47]
	s_xor_b64 s[12:13], exec, s[12:13]
; %bb.854:
	v_cndmask_b32_e64 v65, v27, v21, s[42:43]
	v_cndmask_b32_e64 v64, v26, v20, s[42:43]
	;; [unrolled: 1-line block ×4, first 2 shown]
	v_mov_b64_e32 v[26:27], v[64:65]
; %bb.855:
	s_or_b64 exec, exec, s[12:13]
.LBB263_856:
	s_or_b64 exec, exec, s[40:41]
	s_or_b64 exec, exec, s[38:39]
	s_and_saveexec_b64 s[38:39], s[26:27]
	s_cbranch_execz .LBB263_770
.LBB263_857:
	s_and_saveexec_b64 s[40:41], s[8:9]
	s_cbranch_execz .LBB263_865
; %bb.858:
	v_mad_u64_u32 v[64:65], s[12:13], v22, v6, v[8:9]
	v_mul_lo_u32 v31, v22, v7
	v_mul_lo_u32 v66, v23, v6
	v_add3_u32 v65, v66, v65, v31
	v_mad_u64_u32 v[66:67], s[12:13], v16, v6, v[8:9]
	v_mul_lo_u32 v31, v16, v7
	v_mul_lo_u32 v68, v17, v6
	v_add3_u32 v67, v68, v67, v31
	s_mov_b64 s[44:45], 0
	v_mov_b64_e32 v[68:69], v[6:7]
                                        ; implicit-def: $sgpr42_sgpr43
                                        ; implicit-def: $sgpr46_sgpr47
                                        ; implicit-def: $sgpr50_sgpr51
                                        ; implicit-def: $sgpr48_sgpr49
                                        ; implicit-def: $sgpr52_sgpr53
                                        ; implicit-def: $sgpr12_sgpr13
	s_branch .LBB263_860
.LBB263_859:                            ;   in Loop: Header=BB263_860 Depth=1
	s_or_b64 exec, exec, s[56:57]
	s_and_b64 s[56:57], exec, s[50:51]
	s_or_b64 s[44:45], s[56:57], s[44:45]
	s_andn2_b64 s[12:13], s[12:13], exec
	s_and_b64 s[56:57], s[52:53], exec
	s_or_b64 s[12:13], s[12:13], s[56:57]
	s_andn2_b64 s[46:47], s[46:47], exec
	s_and_b64 s[56:57], s[48:49], exec
	s_andn2_b64 s[42:43], s[42:43], exec
	s_and_b64 s[54:55], s[54:55], exec
	s_or_b64 s[46:47], s[46:47], s[56:57]
	s_or_b64 s[42:43], s[42:43], s[54:55]
	s_andn2_b64 exec, exec, s[44:45]
	s_cbranch_execz .LBB263_862
.LBB263_860:                            ; =>This Inner Loop Header: Depth=1
	flat_load_ubyte v31, v[66:67]
	flat_load_ubyte v70, v[64:65]
	s_andn2_b64 s[52:53], s[52:53], exec
	s_or_b64 s[48:49], s[48:49], exec
	s_or_b64 s[50:51], s[50:51], exec
	s_waitcnt vmcnt(0) lgkmcnt(0)
	v_cmp_le_i16_sdwa s[56:57], sext(v31), sext(v70) src0_sel:BYTE_0 src1_sel:BYTE_0
	v_cmp_lt_i16_sdwa s[54:55], sext(v31), sext(v70) src0_sel:BYTE_0 src1_sel:BYTE_0
	s_and_b64 s[56:57], s[56:57], s[12:13]
	v_cmp_eq_u16_sdwa s[58:59], v31, v70 src0_sel:BYTE_0 src1_sel:BYTE_0
	s_or_b64 s[54:55], s[54:55], s[56:57]
	s_and_saveexec_b64 s[56:57], s[58:59]
	s_cbranch_execz .LBB263_859
; %bb.861:                              ;   in Loop: Header=BB263_860 Depth=1
	v_lshl_add_u64 v[68:69], v[68:69], 0, -1
	v_cmp_eq_u64_e64 s[12:13], 0, v[68:69]
	s_andn2_b64 s[52:53], s[52:53], exec
	s_and_b64 s[58:59], s[54:55], exec
	s_andn2_b64 s[50:51], s[50:51], exec
	s_and_b64 s[12:13], s[12:13], exec
	v_lshl_add_u64 v[64:65], v[64:65], 0, 1
	v_lshl_add_u64 v[66:67], v[66:67], 0, 1
	s_or_b64 s[52:53], s[52:53], s[58:59]
	s_andn2_b64 s[48:49], s[48:49], exec
	s_or_b64 s[50:51], s[50:51], s[12:13]
                                        ; implicit-def: $sgpr12_sgpr13
	s_branch .LBB263_859
.LBB263_862:
	s_or_b64 exec, exec, s[44:45]
	s_and_saveexec_b64 s[12:13], s[46:47]
	s_xor_b64 s[12:13], exec, s[12:13]
; %bb.863:
	v_cndmask_b32_e64 v65, v23, v17, s[42:43]
	v_cndmask_b32_e64 v64, v22, v16, s[42:43]
	;; [unrolled: 1-line block ×4, first 2 shown]
	v_mov_b64_e32 v[22:23], v[64:65]
; %bb.864:
	s_or_b64 exec, exec, s[12:13]
.LBB263_865:
	s_or_b64 exec, exec, s[40:41]
	s_or_b64 exec, exec, s[38:39]
	s_and_saveexec_b64 s[38:39], s[28:29]
	s_cbranch_execz .LBB263_771
.LBB263_866:
	s_and_saveexec_b64 s[40:41], s[8:9]
	s_cbranch_execz .LBB263_874
; %bb.867:
	v_mad_u64_u32 v[64:65], s[12:13], v18, v6, v[8:9]
	v_mul_lo_u32 v31, v18, v7
	v_mul_lo_u32 v66, v19, v6
	v_add3_u32 v65, v66, v65, v31
	v_mad_u64_u32 v[66:67], s[12:13], v12, v6, v[8:9]
	v_mul_lo_u32 v31, v12, v7
	v_mul_lo_u32 v68, v13, v6
	v_add3_u32 v67, v68, v67, v31
	s_mov_b64 s[44:45], 0
	v_mov_b64_e32 v[68:69], v[6:7]
                                        ; implicit-def: $sgpr42_sgpr43
                                        ; implicit-def: $sgpr46_sgpr47
                                        ; implicit-def: $sgpr50_sgpr51
                                        ; implicit-def: $sgpr48_sgpr49
                                        ; implicit-def: $sgpr52_sgpr53
                                        ; implicit-def: $sgpr12_sgpr13
	s_branch .LBB263_869
.LBB263_868:                            ;   in Loop: Header=BB263_869 Depth=1
	s_or_b64 exec, exec, s[56:57]
	s_and_b64 s[56:57], exec, s[50:51]
	s_or_b64 s[44:45], s[56:57], s[44:45]
	s_andn2_b64 s[12:13], s[12:13], exec
	s_and_b64 s[56:57], s[52:53], exec
	s_or_b64 s[12:13], s[12:13], s[56:57]
	s_andn2_b64 s[46:47], s[46:47], exec
	s_and_b64 s[56:57], s[48:49], exec
	s_andn2_b64 s[42:43], s[42:43], exec
	s_and_b64 s[54:55], s[54:55], exec
	s_or_b64 s[46:47], s[46:47], s[56:57]
	s_or_b64 s[42:43], s[42:43], s[54:55]
	s_andn2_b64 exec, exec, s[44:45]
	s_cbranch_execz .LBB263_871
.LBB263_869:                            ; =>This Inner Loop Header: Depth=1
	flat_load_ubyte v31, v[66:67]
	flat_load_ubyte v70, v[64:65]
	s_andn2_b64 s[52:53], s[52:53], exec
	s_or_b64 s[48:49], s[48:49], exec
	s_or_b64 s[50:51], s[50:51], exec
	s_waitcnt vmcnt(0) lgkmcnt(0)
	v_cmp_le_i16_sdwa s[56:57], sext(v31), sext(v70) src0_sel:BYTE_0 src1_sel:BYTE_0
	v_cmp_lt_i16_sdwa s[54:55], sext(v31), sext(v70) src0_sel:BYTE_0 src1_sel:BYTE_0
	s_and_b64 s[56:57], s[56:57], s[12:13]
	v_cmp_eq_u16_sdwa s[58:59], v31, v70 src0_sel:BYTE_0 src1_sel:BYTE_0
	s_or_b64 s[54:55], s[54:55], s[56:57]
	s_and_saveexec_b64 s[56:57], s[58:59]
	s_cbranch_execz .LBB263_868
; %bb.870:                              ;   in Loop: Header=BB263_869 Depth=1
	v_lshl_add_u64 v[68:69], v[68:69], 0, -1
	v_cmp_eq_u64_e64 s[12:13], 0, v[68:69]
	s_andn2_b64 s[52:53], s[52:53], exec
	s_and_b64 s[58:59], s[54:55], exec
	s_andn2_b64 s[50:51], s[50:51], exec
	s_and_b64 s[12:13], s[12:13], exec
	v_lshl_add_u64 v[64:65], v[64:65], 0, 1
	v_lshl_add_u64 v[66:67], v[66:67], 0, 1
	s_or_b64 s[52:53], s[52:53], s[58:59]
	s_andn2_b64 s[48:49], s[48:49], exec
	s_or_b64 s[50:51], s[50:51], s[12:13]
                                        ; implicit-def: $sgpr12_sgpr13
	s_branch .LBB263_868
.LBB263_871:
	s_or_b64 exec, exec, s[44:45]
	s_and_saveexec_b64 s[12:13], s[46:47]
	s_xor_b64 s[12:13], exec, s[12:13]
; %bb.872:
	v_cndmask_b32_e64 v65, v19, v13, s[42:43]
	v_cndmask_b32_e64 v64, v18, v12, s[42:43]
	;; [unrolled: 1-line block ×4, first 2 shown]
	v_mov_b64_e32 v[18:19], v[64:65]
; %bb.873:
	s_or_b64 exec, exec, s[12:13]
.LBB263_874:
	s_or_b64 exec, exec, s[40:41]
	s_or_b64 exec, exec, s[38:39]
	s_and_saveexec_b64 s[38:39], s[16:17]
	s_cbranch_execz .LBB263_772
.LBB263_875:
	s_and_saveexec_b64 s[40:41], s[8:9]
	s_cbranch_execz .LBB263_883
; %bb.876:
	v_mad_u64_u32 v[64:65], s[12:13], v24, v6, v[8:9]
	v_mul_lo_u32 v31, v24, v7
	v_mul_lo_u32 v66, v25, v6
	v_add3_u32 v65, v66, v65, v31
	v_mad_u64_u32 v[66:67], s[12:13], v26, v6, v[8:9]
	v_mul_lo_u32 v31, v26, v7
	v_mul_lo_u32 v68, v27, v6
	v_add3_u32 v67, v68, v67, v31
	s_mov_b64 s[44:45], 0
	v_mov_b64_e32 v[68:69], v[6:7]
                                        ; implicit-def: $sgpr42_sgpr43
                                        ; implicit-def: $sgpr46_sgpr47
                                        ; implicit-def: $sgpr50_sgpr51
                                        ; implicit-def: $sgpr48_sgpr49
                                        ; implicit-def: $sgpr52_sgpr53
                                        ; implicit-def: $sgpr12_sgpr13
	s_branch .LBB263_878
.LBB263_877:                            ;   in Loop: Header=BB263_878 Depth=1
	s_or_b64 exec, exec, s[56:57]
	s_and_b64 s[56:57], exec, s[50:51]
	s_or_b64 s[44:45], s[56:57], s[44:45]
	s_andn2_b64 s[12:13], s[12:13], exec
	s_and_b64 s[56:57], s[52:53], exec
	s_or_b64 s[12:13], s[12:13], s[56:57]
	s_andn2_b64 s[46:47], s[46:47], exec
	s_and_b64 s[56:57], s[48:49], exec
	s_andn2_b64 s[42:43], s[42:43], exec
	s_and_b64 s[54:55], s[54:55], exec
	s_or_b64 s[46:47], s[46:47], s[56:57]
	s_or_b64 s[42:43], s[42:43], s[54:55]
	s_andn2_b64 exec, exec, s[44:45]
	s_cbranch_execz .LBB263_880
.LBB263_878:                            ; =>This Inner Loop Header: Depth=1
	flat_load_ubyte v31, v[66:67]
	flat_load_ubyte v70, v[64:65]
	s_andn2_b64 s[52:53], s[52:53], exec
	s_or_b64 s[48:49], s[48:49], exec
	s_or_b64 s[50:51], s[50:51], exec
	s_waitcnt vmcnt(0) lgkmcnt(0)
	v_cmp_le_i16_sdwa s[56:57], sext(v31), sext(v70) src0_sel:BYTE_0 src1_sel:BYTE_0
	v_cmp_lt_i16_sdwa s[54:55], sext(v31), sext(v70) src0_sel:BYTE_0 src1_sel:BYTE_0
	s_and_b64 s[56:57], s[56:57], s[12:13]
	v_cmp_eq_u16_sdwa s[58:59], v31, v70 src0_sel:BYTE_0 src1_sel:BYTE_0
	s_or_b64 s[54:55], s[54:55], s[56:57]
	s_and_saveexec_b64 s[56:57], s[58:59]
	s_cbranch_execz .LBB263_877
; %bb.879:                              ;   in Loop: Header=BB263_878 Depth=1
	v_lshl_add_u64 v[68:69], v[68:69], 0, -1
	v_cmp_eq_u64_e64 s[12:13], 0, v[68:69]
	s_andn2_b64 s[52:53], s[52:53], exec
	s_and_b64 s[58:59], s[54:55], exec
	s_andn2_b64 s[50:51], s[50:51], exec
	s_and_b64 s[12:13], s[12:13], exec
	v_lshl_add_u64 v[64:65], v[64:65], 0, 1
	v_lshl_add_u64 v[66:67], v[66:67], 0, 1
	s_or_b64 s[52:53], s[52:53], s[58:59]
	s_andn2_b64 s[48:49], s[48:49], exec
	s_or_b64 s[50:51], s[50:51], s[12:13]
                                        ; implicit-def: $sgpr12_sgpr13
	s_branch .LBB263_877
.LBB263_880:
	s_or_b64 exec, exec, s[44:45]
	s_and_saveexec_b64 s[12:13], s[46:47]
	s_xor_b64 s[12:13], exec, s[12:13]
; %bb.881:
	v_cndmask_b32_e64 v65, v27, v25, s[42:43]
	v_cndmask_b32_e64 v64, v26, v24, s[42:43]
	;; [unrolled: 1-line block ×4, first 2 shown]
	v_mov_b64_e32 v[26:27], v[64:65]
; %bb.882:
	s_or_b64 exec, exec, s[12:13]
.LBB263_883:
	s_or_b64 exec, exec, s[40:41]
	s_or_b64 exec, exec, s[38:39]
	s_and_saveexec_b64 s[38:39], s[18:19]
	s_cbranch_execz .LBB263_773
.LBB263_884:
	s_and_saveexec_b64 s[40:41], s[8:9]
	s_cbranch_execz .LBB263_892
; %bb.885:
	v_mad_u64_u32 v[64:65], s[12:13], v20, v6, v[8:9]
	v_mul_lo_u32 v31, v20, v7
	v_mul_lo_u32 v66, v21, v6
	v_add3_u32 v65, v66, v65, v31
	v_mad_u64_u32 v[66:67], s[12:13], v22, v6, v[8:9]
	v_mul_lo_u32 v31, v22, v7
	v_mul_lo_u32 v68, v23, v6
	v_add3_u32 v67, v68, v67, v31
	s_mov_b64 s[44:45], 0
	v_mov_b64_e32 v[68:69], v[6:7]
                                        ; implicit-def: $sgpr42_sgpr43
                                        ; implicit-def: $sgpr46_sgpr47
                                        ; implicit-def: $sgpr50_sgpr51
                                        ; implicit-def: $sgpr48_sgpr49
                                        ; implicit-def: $sgpr52_sgpr53
                                        ; implicit-def: $sgpr12_sgpr13
	s_branch .LBB263_887
.LBB263_886:                            ;   in Loop: Header=BB263_887 Depth=1
	s_or_b64 exec, exec, s[56:57]
	s_and_b64 s[56:57], exec, s[50:51]
	s_or_b64 s[44:45], s[56:57], s[44:45]
	s_andn2_b64 s[12:13], s[12:13], exec
	s_and_b64 s[56:57], s[52:53], exec
	s_or_b64 s[12:13], s[12:13], s[56:57]
	s_andn2_b64 s[46:47], s[46:47], exec
	s_and_b64 s[56:57], s[48:49], exec
	s_andn2_b64 s[42:43], s[42:43], exec
	s_and_b64 s[54:55], s[54:55], exec
	s_or_b64 s[46:47], s[46:47], s[56:57]
	s_or_b64 s[42:43], s[42:43], s[54:55]
	s_andn2_b64 exec, exec, s[44:45]
	s_cbranch_execz .LBB263_889
.LBB263_887:                            ; =>This Inner Loop Header: Depth=1
	flat_load_ubyte v31, v[66:67]
	flat_load_ubyte v70, v[64:65]
	s_andn2_b64 s[52:53], s[52:53], exec
	s_or_b64 s[48:49], s[48:49], exec
	s_or_b64 s[50:51], s[50:51], exec
	s_waitcnt vmcnt(0) lgkmcnt(0)
	v_cmp_le_i16_sdwa s[56:57], sext(v31), sext(v70) src0_sel:BYTE_0 src1_sel:BYTE_0
	v_cmp_lt_i16_sdwa s[54:55], sext(v31), sext(v70) src0_sel:BYTE_0 src1_sel:BYTE_0
	s_and_b64 s[56:57], s[56:57], s[12:13]
	v_cmp_eq_u16_sdwa s[58:59], v31, v70 src0_sel:BYTE_0 src1_sel:BYTE_0
	s_or_b64 s[54:55], s[54:55], s[56:57]
	s_and_saveexec_b64 s[56:57], s[58:59]
	s_cbranch_execz .LBB263_886
; %bb.888:                              ;   in Loop: Header=BB263_887 Depth=1
	v_lshl_add_u64 v[68:69], v[68:69], 0, -1
	v_cmp_eq_u64_e64 s[12:13], 0, v[68:69]
	s_andn2_b64 s[52:53], s[52:53], exec
	s_and_b64 s[58:59], s[54:55], exec
	s_andn2_b64 s[50:51], s[50:51], exec
	s_and_b64 s[12:13], s[12:13], exec
	v_lshl_add_u64 v[64:65], v[64:65], 0, 1
	v_lshl_add_u64 v[66:67], v[66:67], 0, 1
	s_or_b64 s[52:53], s[52:53], s[58:59]
	s_andn2_b64 s[48:49], s[48:49], exec
	s_or_b64 s[50:51], s[50:51], s[12:13]
                                        ; implicit-def: $sgpr12_sgpr13
	s_branch .LBB263_886
.LBB263_889:
	s_or_b64 exec, exec, s[44:45]
	s_and_saveexec_b64 s[12:13], s[46:47]
	s_xor_b64 s[12:13], exec, s[12:13]
; %bb.890:
	v_cndmask_b32_e64 v65, v21, v23, s[42:43]
	v_cndmask_b32_e64 v64, v20, v22, s[42:43]
	;; [unrolled: 1-line block ×4, first 2 shown]
	v_mov_b64_e32 v[20:21], v[64:65]
; %bb.891:
	s_or_b64 exec, exec, s[12:13]
.LBB263_892:
	s_or_b64 exec, exec, s[40:41]
	s_or_b64 exec, exec, s[38:39]
	s_and_saveexec_b64 s[38:39], s[20:21]
	s_cbranch_execz .LBB263_774
.LBB263_893:
	s_and_saveexec_b64 s[40:41], s[8:9]
	s_cbranch_execz .LBB263_901
; %bb.894:
	v_mad_u64_u32 v[64:65], s[12:13], v16, v6, v[8:9]
	v_mul_lo_u32 v31, v16, v7
	v_mul_lo_u32 v66, v17, v6
	v_add3_u32 v65, v66, v65, v31
	v_mad_u64_u32 v[66:67], s[12:13], v18, v6, v[8:9]
	v_mul_lo_u32 v31, v18, v7
	v_mul_lo_u32 v68, v19, v6
	v_add3_u32 v67, v68, v67, v31
	s_mov_b64 s[44:45], 0
	v_mov_b64_e32 v[68:69], v[6:7]
                                        ; implicit-def: $sgpr42_sgpr43
                                        ; implicit-def: $sgpr46_sgpr47
                                        ; implicit-def: $sgpr50_sgpr51
                                        ; implicit-def: $sgpr48_sgpr49
                                        ; implicit-def: $sgpr52_sgpr53
                                        ; implicit-def: $sgpr12_sgpr13
	s_branch .LBB263_896
.LBB263_895:                            ;   in Loop: Header=BB263_896 Depth=1
	s_or_b64 exec, exec, s[56:57]
	s_and_b64 s[56:57], exec, s[50:51]
	s_or_b64 s[44:45], s[56:57], s[44:45]
	s_andn2_b64 s[12:13], s[12:13], exec
	s_and_b64 s[56:57], s[52:53], exec
	s_or_b64 s[12:13], s[12:13], s[56:57]
	s_andn2_b64 s[46:47], s[46:47], exec
	s_and_b64 s[56:57], s[48:49], exec
	s_andn2_b64 s[42:43], s[42:43], exec
	s_and_b64 s[54:55], s[54:55], exec
	s_or_b64 s[46:47], s[46:47], s[56:57]
	s_or_b64 s[42:43], s[42:43], s[54:55]
	s_andn2_b64 exec, exec, s[44:45]
	s_cbranch_execz .LBB263_898
.LBB263_896:                            ; =>This Inner Loop Header: Depth=1
	flat_load_ubyte v31, v[66:67]
	flat_load_ubyte v70, v[64:65]
	s_andn2_b64 s[52:53], s[52:53], exec
	s_or_b64 s[48:49], s[48:49], exec
	s_or_b64 s[50:51], s[50:51], exec
	s_waitcnt vmcnt(0) lgkmcnt(0)
	v_cmp_le_i16_sdwa s[56:57], sext(v31), sext(v70) src0_sel:BYTE_0 src1_sel:BYTE_0
	v_cmp_lt_i16_sdwa s[54:55], sext(v31), sext(v70) src0_sel:BYTE_0 src1_sel:BYTE_0
	s_and_b64 s[56:57], s[56:57], s[12:13]
	v_cmp_eq_u16_sdwa s[58:59], v31, v70 src0_sel:BYTE_0 src1_sel:BYTE_0
	s_or_b64 s[54:55], s[54:55], s[56:57]
	s_and_saveexec_b64 s[56:57], s[58:59]
	s_cbranch_execz .LBB263_895
; %bb.897:                              ;   in Loop: Header=BB263_896 Depth=1
	v_lshl_add_u64 v[68:69], v[68:69], 0, -1
	v_cmp_eq_u64_e64 s[12:13], 0, v[68:69]
	s_andn2_b64 s[52:53], s[52:53], exec
	s_and_b64 s[58:59], s[54:55], exec
	s_andn2_b64 s[50:51], s[50:51], exec
	s_and_b64 s[12:13], s[12:13], exec
	v_lshl_add_u64 v[64:65], v[64:65], 0, 1
	v_lshl_add_u64 v[66:67], v[66:67], 0, 1
	s_or_b64 s[52:53], s[52:53], s[58:59]
	s_andn2_b64 s[48:49], s[48:49], exec
	s_or_b64 s[50:51], s[50:51], s[12:13]
                                        ; implicit-def: $sgpr12_sgpr13
	s_branch .LBB263_895
.LBB263_898:
	s_or_b64 exec, exec, s[44:45]
	s_and_saveexec_b64 s[12:13], s[46:47]
	s_xor_b64 s[12:13], exec, s[12:13]
; %bb.899:
	v_cndmask_b32_e64 v65, v17, v19, s[42:43]
	v_cndmask_b32_e64 v64, v16, v18, s[42:43]
	;; [unrolled: 1-line block ×4, first 2 shown]
	v_mov_b64_e32 v[16:17], v[64:65]
; %bb.900:
	s_or_b64 exec, exec, s[12:13]
.LBB263_901:
	s_or_b64 exec, exec, s[40:41]
	s_or_b64 exec, exec, s[38:39]
	s_and_saveexec_b64 s[38:39], s[22:23]
	s_cbranch_execz .LBB263_775
.LBB263_902:
	s_and_saveexec_b64 s[40:41], s[8:9]
	s_cbranch_execz .LBB263_910
; %bb.903:
	v_mad_u64_u32 v[64:65], s[12:13], v12, v6, v[8:9]
	v_mul_lo_u32 v31, v12, v7
	v_mul_lo_u32 v66, v13, v6
	v_add3_u32 v65, v66, v65, v31
	v_mad_u64_u32 v[66:67], s[12:13], v14, v6, v[8:9]
	v_mul_lo_u32 v31, v14, v7
	v_mul_lo_u32 v68, v15, v6
	v_add3_u32 v67, v68, v67, v31
	s_mov_b64 s[44:45], 0
	v_mov_b64_e32 v[68:69], v[6:7]
                                        ; implicit-def: $sgpr42_sgpr43
                                        ; implicit-def: $sgpr46_sgpr47
                                        ; implicit-def: $sgpr50_sgpr51
                                        ; implicit-def: $sgpr48_sgpr49
                                        ; implicit-def: $sgpr52_sgpr53
                                        ; implicit-def: $sgpr12_sgpr13
	s_branch .LBB263_905
.LBB263_904:                            ;   in Loop: Header=BB263_905 Depth=1
	s_or_b64 exec, exec, s[56:57]
	s_and_b64 s[56:57], exec, s[50:51]
	s_or_b64 s[44:45], s[56:57], s[44:45]
	s_andn2_b64 s[12:13], s[12:13], exec
	s_and_b64 s[56:57], s[52:53], exec
	s_or_b64 s[12:13], s[12:13], s[56:57]
	s_andn2_b64 s[46:47], s[46:47], exec
	s_and_b64 s[56:57], s[48:49], exec
	s_andn2_b64 s[42:43], s[42:43], exec
	s_and_b64 s[54:55], s[54:55], exec
	s_or_b64 s[46:47], s[46:47], s[56:57]
	s_or_b64 s[42:43], s[42:43], s[54:55]
	s_andn2_b64 exec, exec, s[44:45]
	s_cbranch_execz .LBB263_907
.LBB263_905:                            ; =>This Inner Loop Header: Depth=1
	flat_load_ubyte v31, v[66:67]
	flat_load_ubyte v70, v[64:65]
	s_andn2_b64 s[52:53], s[52:53], exec
	s_or_b64 s[48:49], s[48:49], exec
	s_or_b64 s[50:51], s[50:51], exec
	s_waitcnt vmcnt(0) lgkmcnt(0)
	v_cmp_le_i16_sdwa s[56:57], sext(v31), sext(v70) src0_sel:BYTE_0 src1_sel:BYTE_0
	v_cmp_lt_i16_sdwa s[54:55], sext(v31), sext(v70) src0_sel:BYTE_0 src1_sel:BYTE_0
	s_and_b64 s[56:57], s[56:57], s[12:13]
	v_cmp_eq_u16_sdwa s[58:59], v31, v70 src0_sel:BYTE_0 src1_sel:BYTE_0
	s_or_b64 s[54:55], s[54:55], s[56:57]
	s_and_saveexec_b64 s[56:57], s[58:59]
	s_cbranch_execz .LBB263_904
; %bb.906:                              ;   in Loop: Header=BB263_905 Depth=1
	v_lshl_add_u64 v[68:69], v[68:69], 0, -1
	v_cmp_eq_u64_e64 s[12:13], 0, v[68:69]
	s_andn2_b64 s[52:53], s[52:53], exec
	s_and_b64 s[58:59], s[54:55], exec
	s_andn2_b64 s[50:51], s[50:51], exec
	s_and_b64 s[12:13], s[12:13], exec
	v_lshl_add_u64 v[64:65], v[64:65], 0, 1
	v_lshl_add_u64 v[66:67], v[66:67], 0, 1
	s_or_b64 s[52:53], s[52:53], s[58:59]
	s_andn2_b64 s[48:49], s[48:49], exec
	s_or_b64 s[50:51], s[50:51], s[12:13]
                                        ; implicit-def: $sgpr12_sgpr13
	s_branch .LBB263_904
.LBB263_907:
	s_or_b64 exec, exec, s[44:45]
	s_and_saveexec_b64 s[12:13], s[46:47]
	s_xor_b64 s[12:13], exec, s[12:13]
; %bb.908:
	v_cndmask_b32_e64 v65, v13, v15, s[42:43]
	v_cndmask_b32_e64 v64, v12, v14, s[42:43]
	;; [unrolled: 1-line block ×4, first 2 shown]
	v_mov_b64_e32 v[12:13], v[64:65]
; %bb.909:
	s_or_b64 exec, exec, s[12:13]
.LBB263_910:
	s_or_b64 exec, exec, s[40:41]
	s_or_b64 exec, exec, s[38:39]
	s_and_saveexec_b64 s[38:39], s[24:25]
	s_cbranch_execz .LBB263_776
.LBB263_911:
	s_and_saveexec_b64 s[40:41], s[8:9]
	s_cbranch_execz .LBB263_919
; %bb.912:
	v_mad_u64_u32 v[64:65], s[12:13], v26, v6, v[8:9]
	v_mul_lo_u32 v31, v26, v7
	v_mul_lo_u32 v66, v27, v6
	v_add3_u32 v65, v66, v65, v31
	v_mad_u64_u32 v[66:67], s[12:13], v20, v6, v[8:9]
	v_mul_lo_u32 v31, v20, v7
	v_mul_lo_u32 v68, v21, v6
	v_add3_u32 v67, v68, v67, v31
	s_mov_b64 s[44:45], 0
	v_mov_b64_e32 v[68:69], v[6:7]
                                        ; implicit-def: $sgpr42_sgpr43
                                        ; implicit-def: $sgpr46_sgpr47
                                        ; implicit-def: $sgpr50_sgpr51
                                        ; implicit-def: $sgpr48_sgpr49
                                        ; implicit-def: $sgpr52_sgpr53
                                        ; implicit-def: $sgpr12_sgpr13
	s_branch .LBB263_914
.LBB263_913:                            ;   in Loop: Header=BB263_914 Depth=1
	s_or_b64 exec, exec, s[56:57]
	s_and_b64 s[56:57], exec, s[50:51]
	s_or_b64 s[44:45], s[56:57], s[44:45]
	s_andn2_b64 s[12:13], s[12:13], exec
	s_and_b64 s[56:57], s[52:53], exec
	s_or_b64 s[12:13], s[12:13], s[56:57]
	s_andn2_b64 s[46:47], s[46:47], exec
	s_and_b64 s[56:57], s[48:49], exec
	s_andn2_b64 s[42:43], s[42:43], exec
	s_and_b64 s[54:55], s[54:55], exec
	s_or_b64 s[46:47], s[46:47], s[56:57]
	s_or_b64 s[42:43], s[42:43], s[54:55]
	s_andn2_b64 exec, exec, s[44:45]
	s_cbranch_execz .LBB263_916
.LBB263_914:                            ; =>This Inner Loop Header: Depth=1
	flat_load_ubyte v31, v[66:67]
	flat_load_ubyte v70, v[64:65]
	s_andn2_b64 s[52:53], s[52:53], exec
	s_or_b64 s[48:49], s[48:49], exec
	s_or_b64 s[50:51], s[50:51], exec
	s_waitcnt vmcnt(0) lgkmcnt(0)
	v_cmp_le_i16_sdwa s[56:57], sext(v31), sext(v70) src0_sel:BYTE_0 src1_sel:BYTE_0
	v_cmp_lt_i16_sdwa s[54:55], sext(v31), sext(v70) src0_sel:BYTE_0 src1_sel:BYTE_0
	s_and_b64 s[56:57], s[56:57], s[12:13]
	v_cmp_eq_u16_sdwa s[58:59], v31, v70 src0_sel:BYTE_0 src1_sel:BYTE_0
	s_or_b64 s[54:55], s[54:55], s[56:57]
	s_and_saveexec_b64 s[56:57], s[58:59]
	s_cbranch_execz .LBB263_913
; %bb.915:                              ;   in Loop: Header=BB263_914 Depth=1
	v_lshl_add_u64 v[68:69], v[68:69], 0, -1
	v_cmp_eq_u64_e64 s[12:13], 0, v[68:69]
	s_andn2_b64 s[52:53], s[52:53], exec
	s_and_b64 s[58:59], s[54:55], exec
	s_andn2_b64 s[50:51], s[50:51], exec
	s_and_b64 s[12:13], s[12:13], exec
	v_lshl_add_u64 v[64:65], v[64:65], 0, 1
	v_lshl_add_u64 v[66:67], v[66:67], 0, 1
	s_or_b64 s[52:53], s[52:53], s[58:59]
	s_andn2_b64 s[48:49], s[48:49], exec
	s_or_b64 s[50:51], s[50:51], s[12:13]
                                        ; implicit-def: $sgpr12_sgpr13
	s_branch .LBB263_913
.LBB263_916:
	s_or_b64 exec, exec, s[44:45]
	s_and_saveexec_b64 s[12:13], s[46:47]
	s_xor_b64 s[12:13], exec, s[12:13]
; %bb.917:
	v_cndmask_b32_e64 v65, v27, v21, s[42:43]
	v_cndmask_b32_e64 v64, v26, v20, s[42:43]
	;; [unrolled: 1-line block ×4, first 2 shown]
	v_mov_b64_e32 v[26:27], v[64:65]
; %bb.918:
	s_or_b64 exec, exec, s[12:13]
.LBB263_919:
	s_or_b64 exec, exec, s[40:41]
	s_or_b64 exec, exec, s[38:39]
	s_and_saveexec_b64 s[38:39], s[26:27]
	s_cbranch_execz .LBB263_777
.LBB263_920:
	s_and_saveexec_b64 s[40:41], s[8:9]
	s_cbranch_execz .LBB263_928
; %bb.921:
	v_mad_u64_u32 v[64:65], s[12:13], v22, v6, v[8:9]
	v_mul_lo_u32 v31, v22, v7
	v_mul_lo_u32 v66, v23, v6
	v_add3_u32 v65, v66, v65, v31
	v_mad_u64_u32 v[66:67], s[12:13], v16, v6, v[8:9]
	v_mul_lo_u32 v31, v16, v7
	v_mul_lo_u32 v68, v17, v6
	v_add3_u32 v67, v68, v67, v31
	s_mov_b64 s[44:45], 0
	v_mov_b64_e32 v[68:69], v[6:7]
                                        ; implicit-def: $sgpr42_sgpr43
                                        ; implicit-def: $sgpr46_sgpr47
                                        ; implicit-def: $sgpr50_sgpr51
                                        ; implicit-def: $sgpr48_sgpr49
                                        ; implicit-def: $sgpr52_sgpr53
                                        ; implicit-def: $sgpr12_sgpr13
	s_branch .LBB263_923
.LBB263_922:                            ;   in Loop: Header=BB263_923 Depth=1
	s_or_b64 exec, exec, s[56:57]
	s_and_b64 s[56:57], exec, s[50:51]
	s_or_b64 s[44:45], s[56:57], s[44:45]
	s_andn2_b64 s[12:13], s[12:13], exec
	s_and_b64 s[56:57], s[52:53], exec
	s_or_b64 s[12:13], s[12:13], s[56:57]
	s_andn2_b64 s[46:47], s[46:47], exec
	s_and_b64 s[56:57], s[48:49], exec
	s_andn2_b64 s[42:43], s[42:43], exec
	s_and_b64 s[54:55], s[54:55], exec
	s_or_b64 s[46:47], s[46:47], s[56:57]
	s_or_b64 s[42:43], s[42:43], s[54:55]
	s_andn2_b64 exec, exec, s[44:45]
	s_cbranch_execz .LBB263_925
.LBB263_923:                            ; =>This Inner Loop Header: Depth=1
	flat_load_ubyte v31, v[66:67]
	flat_load_ubyte v70, v[64:65]
	s_andn2_b64 s[52:53], s[52:53], exec
	s_or_b64 s[48:49], s[48:49], exec
	s_or_b64 s[50:51], s[50:51], exec
	s_waitcnt vmcnt(0) lgkmcnt(0)
	v_cmp_le_i16_sdwa s[56:57], sext(v31), sext(v70) src0_sel:BYTE_0 src1_sel:BYTE_0
	v_cmp_lt_i16_sdwa s[54:55], sext(v31), sext(v70) src0_sel:BYTE_0 src1_sel:BYTE_0
	s_and_b64 s[56:57], s[56:57], s[12:13]
	v_cmp_eq_u16_sdwa s[58:59], v31, v70 src0_sel:BYTE_0 src1_sel:BYTE_0
	s_or_b64 s[54:55], s[54:55], s[56:57]
	s_and_saveexec_b64 s[56:57], s[58:59]
	s_cbranch_execz .LBB263_922
; %bb.924:                              ;   in Loop: Header=BB263_923 Depth=1
	v_lshl_add_u64 v[68:69], v[68:69], 0, -1
	v_cmp_eq_u64_e64 s[12:13], 0, v[68:69]
	s_andn2_b64 s[52:53], s[52:53], exec
	s_and_b64 s[58:59], s[54:55], exec
	s_andn2_b64 s[50:51], s[50:51], exec
	s_and_b64 s[12:13], s[12:13], exec
	v_lshl_add_u64 v[64:65], v[64:65], 0, 1
	v_lshl_add_u64 v[66:67], v[66:67], 0, 1
	s_or_b64 s[52:53], s[52:53], s[58:59]
	s_andn2_b64 s[48:49], s[48:49], exec
	s_or_b64 s[50:51], s[50:51], s[12:13]
                                        ; implicit-def: $sgpr12_sgpr13
	s_branch .LBB263_922
.LBB263_925:
	s_or_b64 exec, exec, s[44:45]
	s_and_saveexec_b64 s[12:13], s[46:47]
	s_xor_b64 s[12:13], exec, s[12:13]
; %bb.926:
	v_cndmask_b32_e64 v65, v23, v17, s[42:43]
	v_cndmask_b32_e64 v64, v22, v16, s[42:43]
	;; [unrolled: 1-line block ×4, first 2 shown]
	v_mov_b64_e32 v[22:23], v[64:65]
; %bb.927:
	s_or_b64 exec, exec, s[12:13]
.LBB263_928:
	s_or_b64 exec, exec, s[40:41]
	s_or_b64 exec, exec, s[38:39]
	s_and_saveexec_b64 s[38:39], s[28:29]
	s_cbranch_execz .LBB263_778
.LBB263_929:
	s_and_saveexec_b64 s[40:41], s[8:9]
	s_cbranch_execz .LBB263_937
; %bb.930:
	v_mad_u64_u32 v[64:65], s[12:13], v18, v6, v[8:9]
	v_mul_lo_u32 v31, v18, v7
	v_mul_lo_u32 v66, v19, v6
	v_add3_u32 v65, v66, v65, v31
	v_mad_u64_u32 v[66:67], s[12:13], v12, v6, v[8:9]
	v_mul_lo_u32 v31, v12, v7
	v_mul_lo_u32 v68, v13, v6
	v_add3_u32 v67, v68, v67, v31
	s_mov_b64 s[44:45], 0
	v_mov_b64_e32 v[68:69], v[6:7]
                                        ; implicit-def: $sgpr42_sgpr43
                                        ; implicit-def: $sgpr46_sgpr47
                                        ; implicit-def: $sgpr50_sgpr51
                                        ; implicit-def: $sgpr48_sgpr49
                                        ; implicit-def: $sgpr52_sgpr53
                                        ; implicit-def: $sgpr12_sgpr13
	s_branch .LBB263_932
.LBB263_931:                            ;   in Loop: Header=BB263_932 Depth=1
	s_or_b64 exec, exec, s[56:57]
	s_and_b64 s[56:57], exec, s[50:51]
	s_or_b64 s[44:45], s[56:57], s[44:45]
	s_andn2_b64 s[12:13], s[12:13], exec
	s_and_b64 s[56:57], s[52:53], exec
	s_or_b64 s[12:13], s[12:13], s[56:57]
	s_andn2_b64 s[46:47], s[46:47], exec
	s_and_b64 s[56:57], s[48:49], exec
	s_andn2_b64 s[42:43], s[42:43], exec
	s_and_b64 s[54:55], s[54:55], exec
	s_or_b64 s[46:47], s[46:47], s[56:57]
	s_or_b64 s[42:43], s[42:43], s[54:55]
	s_andn2_b64 exec, exec, s[44:45]
	s_cbranch_execz .LBB263_934
.LBB263_932:                            ; =>This Inner Loop Header: Depth=1
	flat_load_ubyte v31, v[66:67]
	flat_load_ubyte v70, v[64:65]
	s_andn2_b64 s[52:53], s[52:53], exec
	s_or_b64 s[48:49], s[48:49], exec
	s_or_b64 s[50:51], s[50:51], exec
	s_waitcnt vmcnt(0) lgkmcnt(0)
	v_cmp_le_i16_sdwa s[56:57], sext(v31), sext(v70) src0_sel:BYTE_0 src1_sel:BYTE_0
	v_cmp_lt_i16_sdwa s[54:55], sext(v31), sext(v70) src0_sel:BYTE_0 src1_sel:BYTE_0
	s_and_b64 s[56:57], s[56:57], s[12:13]
	v_cmp_eq_u16_sdwa s[58:59], v31, v70 src0_sel:BYTE_0 src1_sel:BYTE_0
	s_or_b64 s[54:55], s[54:55], s[56:57]
	s_and_saveexec_b64 s[56:57], s[58:59]
	s_cbranch_execz .LBB263_931
; %bb.933:                              ;   in Loop: Header=BB263_932 Depth=1
	v_lshl_add_u64 v[68:69], v[68:69], 0, -1
	v_cmp_eq_u64_e64 s[12:13], 0, v[68:69]
	s_andn2_b64 s[52:53], s[52:53], exec
	s_and_b64 s[58:59], s[54:55], exec
	s_andn2_b64 s[50:51], s[50:51], exec
	s_and_b64 s[12:13], s[12:13], exec
	v_lshl_add_u64 v[64:65], v[64:65], 0, 1
	v_lshl_add_u64 v[66:67], v[66:67], 0, 1
	s_or_b64 s[52:53], s[52:53], s[58:59]
	s_andn2_b64 s[48:49], s[48:49], exec
	s_or_b64 s[50:51], s[50:51], s[12:13]
                                        ; implicit-def: $sgpr12_sgpr13
	s_branch .LBB263_931
.LBB263_934:
	s_or_b64 exec, exec, s[44:45]
	s_and_saveexec_b64 s[12:13], s[46:47]
	s_xor_b64 s[12:13], exec, s[12:13]
; %bb.935:
	v_cndmask_b32_e64 v65, v19, v13, s[42:43]
	v_cndmask_b32_e64 v64, v18, v12, s[42:43]
	;; [unrolled: 1-line block ×4, first 2 shown]
	v_mov_b64_e32 v[18:19], v[64:65]
; %bb.936:
	s_or_b64 exec, exec, s[12:13]
.LBB263_937:
	s_or_b64 exec, exec, s[40:41]
	s_or_b64 exec, exec, s[38:39]
	s_and_saveexec_b64 s[38:39], s[16:17]
	s_cbranch_execz .LBB263_779
.LBB263_938:
	s_and_saveexec_b64 s[16:17], s[8:9]
	s_cbranch_execz .LBB263_946
; %bb.939:
	v_mad_u64_u32 v[64:65], s[12:13], v24, v6, v[8:9]
	v_mul_lo_u32 v31, v24, v7
	v_mul_lo_u32 v66, v25, v6
	v_add3_u32 v65, v66, v65, v31
	v_mad_u64_u32 v[66:67], s[12:13], v26, v6, v[8:9]
	v_mul_lo_u32 v31, v26, v7
	v_mul_lo_u32 v68, v27, v6
	v_add3_u32 v67, v68, v67, v31
	s_mov_b64 s[42:43], 0
	v_mov_b64_e32 v[68:69], v[6:7]
                                        ; implicit-def: $sgpr40_sgpr41
                                        ; implicit-def: $sgpr44_sgpr45
                                        ; implicit-def: $sgpr48_sgpr49
                                        ; implicit-def: $sgpr46_sgpr47
                                        ; implicit-def: $sgpr50_sgpr51
                                        ; implicit-def: $sgpr12_sgpr13
	s_branch .LBB263_941
.LBB263_940:                            ;   in Loop: Header=BB263_941 Depth=1
	s_or_b64 exec, exec, s[54:55]
	s_and_b64 s[54:55], exec, s[48:49]
	s_or_b64 s[42:43], s[54:55], s[42:43]
	s_andn2_b64 s[12:13], s[12:13], exec
	s_and_b64 s[54:55], s[50:51], exec
	s_or_b64 s[12:13], s[12:13], s[54:55]
	s_andn2_b64 s[44:45], s[44:45], exec
	s_and_b64 s[54:55], s[46:47], exec
	s_andn2_b64 s[40:41], s[40:41], exec
	s_and_b64 s[52:53], s[52:53], exec
	s_or_b64 s[44:45], s[44:45], s[54:55]
	s_or_b64 s[40:41], s[40:41], s[52:53]
	s_andn2_b64 exec, exec, s[42:43]
	s_cbranch_execz .LBB263_943
.LBB263_941:                            ; =>This Inner Loop Header: Depth=1
	flat_load_ubyte v31, v[66:67]
	flat_load_ubyte v70, v[64:65]
	s_andn2_b64 s[50:51], s[50:51], exec
	s_or_b64 s[46:47], s[46:47], exec
	s_or_b64 s[48:49], s[48:49], exec
	s_waitcnt vmcnt(0) lgkmcnt(0)
	v_cmp_le_i16_sdwa s[54:55], sext(v31), sext(v70) src0_sel:BYTE_0 src1_sel:BYTE_0
	v_cmp_lt_i16_sdwa s[52:53], sext(v31), sext(v70) src0_sel:BYTE_0 src1_sel:BYTE_0
	s_and_b64 s[54:55], s[54:55], s[12:13]
	v_cmp_eq_u16_sdwa s[56:57], v31, v70 src0_sel:BYTE_0 src1_sel:BYTE_0
	s_or_b64 s[52:53], s[52:53], s[54:55]
	s_and_saveexec_b64 s[54:55], s[56:57]
	s_cbranch_execz .LBB263_940
; %bb.942:                              ;   in Loop: Header=BB263_941 Depth=1
	v_lshl_add_u64 v[68:69], v[68:69], 0, -1
	v_cmp_eq_u64_e64 s[12:13], 0, v[68:69]
	s_andn2_b64 s[50:51], s[50:51], exec
	s_and_b64 s[56:57], s[52:53], exec
	s_andn2_b64 s[48:49], s[48:49], exec
	s_and_b64 s[12:13], s[12:13], exec
	v_lshl_add_u64 v[64:65], v[64:65], 0, 1
	v_lshl_add_u64 v[66:67], v[66:67], 0, 1
	s_or_b64 s[50:51], s[50:51], s[56:57]
	s_andn2_b64 s[46:47], s[46:47], exec
	s_or_b64 s[48:49], s[48:49], s[12:13]
                                        ; implicit-def: $sgpr12_sgpr13
	s_branch .LBB263_940
.LBB263_943:
	s_or_b64 exec, exec, s[42:43]
	s_and_saveexec_b64 s[12:13], s[44:45]
	s_xor_b64 s[12:13], exec, s[12:13]
; %bb.944:
	v_cndmask_b32_e64 v65, v27, v25, s[40:41]
	v_cndmask_b32_e64 v64, v26, v24, s[40:41]
	v_cndmask_b32_e64 v25, v25, v27, s[40:41]
	v_cndmask_b32_e64 v24, v24, v26, s[40:41]
	v_mov_b64_e32 v[26:27], v[64:65]
; %bb.945:
	s_or_b64 exec, exec, s[12:13]
.LBB263_946:
	s_or_b64 exec, exec, s[16:17]
	s_or_b64 exec, exec, s[38:39]
	s_and_saveexec_b64 s[16:17], s[18:19]
	s_cbranch_execz .LBB263_780
.LBB263_947:
	s_and_saveexec_b64 s[18:19], s[8:9]
	s_cbranch_execz .LBB263_955
; %bb.948:
	v_mad_u64_u32 v[64:65], s[12:13], v20, v6, v[8:9]
	v_mul_lo_u32 v31, v20, v7
	v_mul_lo_u32 v66, v21, v6
	v_add3_u32 v65, v66, v65, v31
	v_mad_u64_u32 v[66:67], s[12:13], v22, v6, v[8:9]
	v_mul_lo_u32 v31, v22, v7
	v_mul_lo_u32 v68, v23, v6
	v_add3_u32 v67, v68, v67, v31
	s_mov_b64 s[40:41], 0
	v_mov_b64_e32 v[68:69], v[6:7]
                                        ; implicit-def: $sgpr38_sgpr39
                                        ; implicit-def: $sgpr42_sgpr43
                                        ; implicit-def: $sgpr46_sgpr47
                                        ; implicit-def: $sgpr44_sgpr45
                                        ; implicit-def: $sgpr48_sgpr49
                                        ; implicit-def: $sgpr12_sgpr13
	s_branch .LBB263_950
.LBB263_949:                            ;   in Loop: Header=BB263_950 Depth=1
	s_or_b64 exec, exec, s[52:53]
	s_and_b64 s[52:53], exec, s[46:47]
	s_or_b64 s[40:41], s[52:53], s[40:41]
	s_andn2_b64 s[12:13], s[12:13], exec
	s_and_b64 s[52:53], s[48:49], exec
	s_or_b64 s[12:13], s[12:13], s[52:53]
	s_andn2_b64 s[42:43], s[42:43], exec
	s_and_b64 s[52:53], s[44:45], exec
	s_andn2_b64 s[38:39], s[38:39], exec
	s_and_b64 s[50:51], s[50:51], exec
	s_or_b64 s[42:43], s[42:43], s[52:53]
	s_or_b64 s[38:39], s[38:39], s[50:51]
	s_andn2_b64 exec, exec, s[40:41]
	s_cbranch_execz .LBB263_952
.LBB263_950:                            ; =>This Inner Loop Header: Depth=1
	flat_load_ubyte v31, v[66:67]
	flat_load_ubyte v70, v[64:65]
	s_andn2_b64 s[48:49], s[48:49], exec
	s_or_b64 s[44:45], s[44:45], exec
	s_or_b64 s[46:47], s[46:47], exec
	s_waitcnt vmcnt(0) lgkmcnt(0)
	v_cmp_le_i16_sdwa s[52:53], sext(v31), sext(v70) src0_sel:BYTE_0 src1_sel:BYTE_0
	v_cmp_lt_i16_sdwa s[50:51], sext(v31), sext(v70) src0_sel:BYTE_0 src1_sel:BYTE_0
	s_and_b64 s[52:53], s[52:53], s[12:13]
	v_cmp_eq_u16_sdwa s[54:55], v31, v70 src0_sel:BYTE_0 src1_sel:BYTE_0
	s_or_b64 s[50:51], s[50:51], s[52:53]
	s_and_saveexec_b64 s[52:53], s[54:55]
	s_cbranch_execz .LBB263_949
; %bb.951:                              ;   in Loop: Header=BB263_950 Depth=1
	v_lshl_add_u64 v[68:69], v[68:69], 0, -1
	v_cmp_eq_u64_e64 s[12:13], 0, v[68:69]
	s_andn2_b64 s[48:49], s[48:49], exec
	s_and_b64 s[54:55], s[50:51], exec
	s_andn2_b64 s[46:47], s[46:47], exec
	s_and_b64 s[12:13], s[12:13], exec
	v_lshl_add_u64 v[64:65], v[64:65], 0, 1
	v_lshl_add_u64 v[66:67], v[66:67], 0, 1
	s_or_b64 s[48:49], s[48:49], s[54:55]
	s_andn2_b64 s[44:45], s[44:45], exec
	s_or_b64 s[46:47], s[46:47], s[12:13]
                                        ; implicit-def: $sgpr12_sgpr13
	s_branch .LBB263_949
.LBB263_952:
	s_or_b64 exec, exec, s[40:41]
	s_and_saveexec_b64 s[12:13], s[42:43]
	s_xor_b64 s[12:13], exec, s[12:13]
; %bb.953:
	v_cndmask_b32_e64 v65, v21, v23, s[38:39]
	v_cndmask_b32_e64 v64, v20, v22, s[38:39]
	;; [unrolled: 1-line block ×4, first 2 shown]
	v_mov_b64_e32 v[20:21], v[64:65]
; %bb.954:
	s_or_b64 exec, exec, s[12:13]
.LBB263_955:
	s_or_b64 exec, exec, s[18:19]
	s_or_b64 exec, exec, s[16:17]
	s_and_saveexec_b64 s[16:17], s[20:21]
	s_cbranch_execz .LBB263_781
.LBB263_956:
	s_and_saveexec_b64 s[18:19], s[8:9]
	s_cbranch_execz .LBB263_964
; %bb.957:
	v_mad_u64_u32 v[64:65], s[12:13], v16, v6, v[8:9]
	v_mul_lo_u32 v31, v16, v7
	v_mul_lo_u32 v66, v17, v6
	v_add3_u32 v65, v66, v65, v31
	v_mad_u64_u32 v[66:67], s[12:13], v18, v6, v[8:9]
	v_mul_lo_u32 v31, v18, v7
	v_mul_lo_u32 v68, v19, v6
	v_add3_u32 v67, v68, v67, v31
	s_mov_b64 s[38:39], 0
	v_mov_b64_e32 v[68:69], v[6:7]
                                        ; implicit-def: $sgpr20_sgpr21
                                        ; implicit-def: $sgpr40_sgpr41
                                        ; implicit-def: $sgpr44_sgpr45
                                        ; implicit-def: $sgpr42_sgpr43
                                        ; implicit-def: $sgpr46_sgpr47
                                        ; implicit-def: $sgpr12_sgpr13
	s_branch .LBB263_959
.LBB263_958:                            ;   in Loop: Header=BB263_959 Depth=1
	s_or_b64 exec, exec, s[50:51]
	s_and_b64 s[50:51], exec, s[44:45]
	s_or_b64 s[38:39], s[50:51], s[38:39]
	s_andn2_b64 s[12:13], s[12:13], exec
	s_and_b64 s[50:51], s[46:47], exec
	s_or_b64 s[12:13], s[12:13], s[50:51]
	s_andn2_b64 s[40:41], s[40:41], exec
	s_and_b64 s[50:51], s[42:43], exec
	s_andn2_b64 s[20:21], s[20:21], exec
	s_and_b64 s[48:49], s[48:49], exec
	s_or_b64 s[40:41], s[40:41], s[50:51]
	s_or_b64 s[20:21], s[20:21], s[48:49]
	s_andn2_b64 exec, exec, s[38:39]
	s_cbranch_execz .LBB263_961
.LBB263_959:                            ; =>This Inner Loop Header: Depth=1
	flat_load_ubyte v31, v[66:67]
	flat_load_ubyte v70, v[64:65]
	s_andn2_b64 s[46:47], s[46:47], exec
	s_or_b64 s[42:43], s[42:43], exec
	s_or_b64 s[44:45], s[44:45], exec
	s_waitcnt vmcnt(0) lgkmcnt(0)
	v_cmp_le_i16_sdwa s[50:51], sext(v31), sext(v70) src0_sel:BYTE_0 src1_sel:BYTE_0
	v_cmp_lt_i16_sdwa s[48:49], sext(v31), sext(v70) src0_sel:BYTE_0 src1_sel:BYTE_0
	s_and_b64 s[50:51], s[50:51], s[12:13]
	v_cmp_eq_u16_sdwa s[52:53], v31, v70 src0_sel:BYTE_0 src1_sel:BYTE_0
	s_or_b64 s[48:49], s[48:49], s[50:51]
	s_and_saveexec_b64 s[50:51], s[52:53]
	s_cbranch_execz .LBB263_958
; %bb.960:                              ;   in Loop: Header=BB263_959 Depth=1
	v_lshl_add_u64 v[68:69], v[68:69], 0, -1
	v_cmp_eq_u64_e64 s[12:13], 0, v[68:69]
	s_andn2_b64 s[46:47], s[46:47], exec
	s_and_b64 s[52:53], s[48:49], exec
	s_andn2_b64 s[44:45], s[44:45], exec
	s_and_b64 s[12:13], s[12:13], exec
	v_lshl_add_u64 v[64:65], v[64:65], 0, 1
	v_lshl_add_u64 v[66:67], v[66:67], 0, 1
	s_or_b64 s[46:47], s[46:47], s[52:53]
	s_andn2_b64 s[42:43], s[42:43], exec
	s_or_b64 s[44:45], s[44:45], s[12:13]
                                        ; implicit-def: $sgpr12_sgpr13
	s_branch .LBB263_958
.LBB263_961:
	s_or_b64 exec, exec, s[38:39]
	s_and_saveexec_b64 s[12:13], s[40:41]
	s_xor_b64 s[12:13], exec, s[12:13]
; %bb.962:
	v_cndmask_b32_e64 v65, v17, v19, s[20:21]
	v_cndmask_b32_e64 v64, v16, v18, s[20:21]
	;; [unrolled: 1-line block ×4, first 2 shown]
	v_mov_b64_e32 v[16:17], v[64:65]
; %bb.963:
	s_or_b64 exec, exec, s[12:13]
.LBB263_964:
	s_or_b64 exec, exec, s[18:19]
	s_or_b64 exec, exec, s[16:17]
	s_and_saveexec_b64 s[16:17], s[22:23]
	s_cbranch_execz .LBB263_782
.LBB263_965:
	s_and_saveexec_b64 s[18:19], s[8:9]
	s_cbranch_execz .LBB263_973
; %bb.966:
	v_mad_u64_u32 v[64:65], s[12:13], v12, v6, v[8:9]
	v_mul_lo_u32 v31, v12, v7
	v_mul_lo_u32 v66, v13, v6
	v_add3_u32 v65, v66, v65, v31
	v_mad_u64_u32 v[66:67], s[12:13], v14, v6, v[8:9]
	v_mul_lo_u32 v31, v14, v7
	v_mul_lo_u32 v68, v15, v6
	v_add3_u32 v67, v68, v67, v31
	s_mov_b64 s[22:23], 0
	v_mov_b64_e32 v[68:69], v[6:7]
                                        ; implicit-def: $sgpr20_sgpr21
                                        ; implicit-def: $sgpr38_sgpr39
                                        ; implicit-def: $sgpr42_sgpr43
                                        ; implicit-def: $sgpr40_sgpr41
                                        ; implicit-def: $sgpr44_sgpr45
                                        ; implicit-def: $sgpr12_sgpr13
	s_branch .LBB263_968
.LBB263_967:                            ;   in Loop: Header=BB263_968 Depth=1
	s_or_b64 exec, exec, s[48:49]
	s_and_b64 s[48:49], exec, s[42:43]
	s_or_b64 s[22:23], s[48:49], s[22:23]
	s_andn2_b64 s[12:13], s[12:13], exec
	s_and_b64 s[48:49], s[44:45], exec
	s_or_b64 s[12:13], s[12:13], s[48:49]
	s_andn2_b64 s[38:39], s[38:39], exec
	s_and_b64 s[48:49], s[40:41], exec
	s_andn2_b64 s[20:21], s[20:21], exec
	s_and_b64 s[46:47], s[46:47], exec
	s_or_b64 s[38:39], s[38:39], s[48:49]
	s_or_b64 s[20:21], s[20:21], s[46:47]
	s_andn2_b64 exec, exec, s[22:23]
	s_cbranch_execz .LBB263_970
.LBB263_968:                            ; =>This Inner Loop Header: Depth=1
	flat_load_ubyte v31, v[66:67]
	flat_load_ubyte v70, v[64:65]
	s_andn2_b64 s[44:45], s[44:45], exec
	s_or_b64 s[40:41], s[40:41], exec
	s_or_b64 s[42:43], s[42:43], exec
	s_waitcnt vmcnt(0) lgkmcnt(0)
	v_cmp_le_i16_sdwa s[48:49], sext(v31), sext(v70) src0_sel:BYTE_0 src1_sel:BYTE_0
	v_cmp_lt_i16_sdwa s[46:47], sext(v31), sext(v70) src0_sel:BYTE_0 src1_sel:BYTE_0
	s_and_b64 s[48:49], s[48:49], s[12:13]
	v_cmp_eq_u16_sdwa s[50:51], v31, v70 src0_sel:BYTE_0 src1_sel:BYTE_0
	s_or_b64 s[46:47], s[46:47], s[48:49]
	s_and_saveexec_b64 s[48:49], s[50:51]
	s_cbranch_execz .LBB263_967
; %bb.969:                              ;   in Loop: Header=BB263_968 Depth=1
	v_lshl_add_u64 v[68:69], v[68:69], 0, -1
	v_cmp_eq_u64_e64 s[12:13], 0, v[68:69]
	s_andn2_b64 s[44:45], s[44:45], exec
	s_and_b64 s[50:51], s[46:47], exec
	s_andn2_b64 s[42:43], s[42:43], exec
	s_and_b64 s[12:13], s[12:13], exec
	v_lshl_add_u64 v[64:65], v[64:65], 0, 1
	v_lshl_add_u64 v[66:67], v[66:67], 0, 1
	s_or_b64 s[44:45], s[44:45], s[50:51]
	s_andn2_b64 s[40:41], s[40:41], exec
	s_or_b64 s[42:43], s[42:43], s[12:13]
                                        ; implicit-def: $sgpr12_sgpr13
	s_branch .LBB263_967
.LBB263_970:
	s_or_b64 exec, exec, s[22:23]
	s_and_saveexec_b64 s[12:13], s[38:39]
	s_xor_b64 s[12:13], exec, s[12:13]
; %bb.971:
	v_cndmask_b32_e64 v65, v13, v15, s[20:21]
	v_cndmask_b32_e64 v64, v12, v14, s[20:21]
	;; [unrolled: 1-line block ×4, first 2 shown]
	v_mov_b64_e32 v[12:13], v[64:65]
; %bb.972:
	s_or_b64 exec, exec, s[12:13]
.LBB263_973:
	s_or_b64 exec, exec, s[18:19]
	s_or_b64 exec, exec, s[16:17]
	s_and_saveexec_b64 s[16:17], s[24:25]
	s_cbranch_execz .LBB263_783
.LBB263_974:
	s_and_saveexec_b64 s[18:19], s[8:9]
	s_cbranch_execz .LBB263_982
; %bb.975:
	v_mad_u64_u32 v[64:65], s[12:13], v26, v6, v[8:9]
	v_mul_lo_u32 v31, v26, v7
	v_mul_lo_u32 v66, v27, v6
	v_add3_u32 v65, v66, v65, v31
	v_mad_u64_u32 v[66:67], s[12:13], v20, v6, v[8:9]
	v_mul_lo_u32 v31, v20, v7
	v_mul_lo_u32 v68, v21, v6
	v_add3_u32 v67, v68, v67, v31
	s_mov_b64 s[22:23], 0
	v_mov_b64_e32 v[68:69], v[6:7]
                                        ; implicit-def: $sgpr20_sgpr21
                                        ; implicit-def: $sgpr24_sgpr25
                                        ; implicit-def: $sgpr40_sgpr41
                                        ; implicit-def: $sgpr38_sgpr39
                                        ; implicit-def: $sgpr42_sgpr43
                                        ; implicit-def: $sgpr12_sgpr13
	s_branch .LBB263_977
.LBB263_976:                            ;   in Loop: Header=BB263_977 Depth=1
	s_or_b64 exec, exec, s[46:47]
	s_and_b64 s[46:47], exec, s[40:41]
	s_or_b64 s[22:23], s[46:47], s[22:23]
	s_andn2_b64 s[12:13], s[12:13], exec
	s_and_b64 s[46:47], s[42:43], exec
	s_or_b64 s[12:13], s[12:13], s[46:47]
	s_andn2_b64 s[24:25], s[24:25], exec
	s_and_b64 s[46:47], s[38:39], exec
	s_andn2_b64 s[20:21], s[20:21], exec
	s_and_b64 s[44:45], s[44:45], exec
	s_or_b64 s[24:25], s[24:25], s[46:47]
	s_or_b64 s[20:21], s[20:21], s[44:45]
	s_andn2_b64 exec, exec, s[22:23]
	s_cbranch_execz .LBB263_979
.LBB263_977:                            ; =>This Inner Loop Header: Depth=1
	flat_load_ubyte v31, v[66:67]
	flat_load_ubyte v70, v[64:65]
	s_andn2_b64 s[42:43], s[42:43], exec
	s_or_b64 s[38:39], s[38:39], exec
	s_or_b64 s[40:41], s[40:41], exec
	s_waitcnt vmcnt(0) lgkmcnt(0)
	v_cmp_le_i16_sdwa s[46:47], sext(v31), sext(v70) src0_sel:BYTE_0 src1_sel:BYTE_0
	v_cmp_lt_i16_sdwa s[44:45], sext(v31), sext(v70) src0_sel:BYTE_0 src1_sel:BYTE_0
	s_and_b64 s[46:47], s[46:47], s[12:13]
	v_cmp_eq_u16_sdwa s[48:49], v31, v70 src0_sel:BYTE_0 src1_sel:BYTE_0
	s_or_b64 s[44:45], s[44:45], s[46:47]
	s_and_saveexec_b64 s[46:47], s[48:49]
	s_cbranch_execz .LBB263_976
; %bb.978:                              ;   in Loop: Header=BB263_977 Depth=1
	v_lshl_add_u64 v[68:69], v[68:69], 0, -1
	v_cmp_eq_u64_e64 s[12:13], 0, v[68:69]
	s_andn2_b64 s[42:43], s[42:43], exec
	s_and_b64 s[48:49], s[44:45], exec
	s_andn2_b64 s[40:41], s[40:41], exec
	s_and_b64 s[12:13], s[12:13], exec
	v_lshl_add_u64 v[64:65], v[64:65], 0, 1
	v_lshl_add_u64 v[66:67], v[66:67], 0, 1
	s_or_b64 s[42:43], s[42:43], s[48:49]
	s_andn2_b64 s[38:39], s[38:39], exec
	s_or_b64 s[40:41], s[40:41], s[12:13]
                                        ; implicit-def: $sgpr12_sgpr13
	s_branch .LBB263_976
.LBB263_979:
	s_or_b64 exec, exec, s[22:23]
	s_and_saveexec_b64 s[12:13], s[24:25]
	s_xor_b64 s[12:13], exec, s[12:13]
; %bb.980:
	v_cndmask_b32_e64 v65, v27, v21, s[20:21]
	v_cndmask_b32_e64 v64, v26, v20, s[20:21]
	;; [unrolled: 1-line block ×4, first 2 shown]
	v_mov_b64_e32 v[26:27], v[64:65]
; %bb.981:
	s_or_b64 exec, exec, s[12:13]
.LBB263_982:
	s_or_b64 exec, exec, s[18:19]
	s_or_b64 exec, exec, s[16:17]
	s_and_saveexec_b64 s[16:17], s[26:27]
	s_cbranch_execz .LBB263_784
.LBB263_983:
	s_and_saveexec_b64 s[18:19], s[8:9]
	s_cbranch_execz .LBB263_991
; %bb.984:
	v_mad_u64_u32 v[64:65], s[12:13], v22, v6, v[8:9]
	v_mul_lo_u32 v31, v22, v7
	v_mul_lo_u32 v66, v23, v6
	v_add3_u32 v65, v66, v65, v31
	v_mad_u64_u32 v[66:67], s[12:13], v16, v6, v[8:9]
	v_mul_lo_u32 v31, v16, v7
	v_mul_lo_u32 v68, v17, v6
	v_add3_u32 v67, v68, v67, v31
	s_mov_b64 s[22:23], 0
	v_mov_b64_e32 v[68:69], v[6:7]
                                        ; implicit-def: $sgpr20_sgpr21
                                        ; implicit-def: $sgpr24_sgpr25
                                        ; implicit-def: $sgpr38_sgpr39
                                        ; implicit-def: $sgpr26_sgpr27
                                        ; implicit-def: $sgpr40_sgpr41
                                        ; implicit-def: $sgpr12_sgpr13
	s_branch .LBB263_986
.LBB263_985:                            ;   in Loop: Header=BB263_986 Depth=1
	s_or_b64 exec, exec, s[44:45]
	s_and_b64 s[44:45], exec, s[38:39]
	s_or_b64 s[22:23], s[44:45], s[22:23]
	s_andn2_b64 s[12:13], s[12:13], exec
	s_and_b64 s[44:45], s[40:41], exec
	s_or_b64 s[12:13], s[12:13], s[44:45]
	s_andn2_b64 s[24:25], s[24:25], exec
	s_and_b64 s[44:45], s[26:27], exec
	s_andn2_b64 s[20:21], s[20:21], exec
	s_and_b64 s[42:43], s[42:43], exec
	s_or_b64 s[24:25], s[24:25], s[44:45]
	s_or_b64 s[20:21], s[20:21], s[42:43]
	s_andn2_b64 exec, exec, s[22:23]
	s_cbranch_execz .LBB263_988
.LBB263_986:                            ; =>This Inner Loop Header: Depth=1
	flat_load_ubyte v31, v[66:67]
	flat_load_ubyte v70, v[64:65]
	s_andn2_b64 s[40:41], s[40:41], exec
	s_or_b64 s[26:27], s[26:27], exec
	s_or_b64 s[38:39], s[38:39], exec
	s_waitcnt vmcnt(0) lgkmcnt(0)
	v_cmp_le_i16_sdwa s[44:45], sext(v31), sext(v70) src0_sel:BYTE_0 src1_sel:BYTE_0
	v_cmp_lt_i16_sdwa s[42:43], sext(v31), sext(v70) src0_sel:BYTE_0 src1_sel:BYTE_0
	s_and_b64 s[44:45], s[44:45], s[12:13]
	v_cmp_eq_u16_sdwa s[46:47], v31, v70 src0_sel:BYTE_0 src1_sel:BYTE_0
	s_or_b64 s[42:43], s[42:43], s[44:45]
	s_and_saveexec_b64 s[44:45], s[46:47]
	s_cbranch_execz .LBB263_985
; %bb.987:                              ;   in Loop: Header=BB263_986 Depth=1
	v_lshl_add_u64 v[68:69], v[68:69], 0, -1
	v_cmp_eq_u64_e64 s[12:13], 0, v[68:69]
	s_andn2_b64 s[40:41], s[40:41], exec
	s_and_b64 s[46:47], s[42:43], exec
	s_andn2_b64 s[38:39], s[38:39], exec
	s_and_b64 s[12:13], s[12:13], exec
	v_lshl_add_u64 v[64:65], v[64:65], 0, 1
	v_lshl_add_u64 v[66:67], v[66:67], 0, 1
	s_or_b64 s[40:41], s[40:41], s[46:47]
	s_andn2_b64 s[26:27], s[26:27], exec
	s_or_b64 s[38:39], s[38:39], s[12:13]
                                        ; implicit-def: $sgpr12_sgpr13
	s_branch .LBB263_985
.LBB263_988:
	s_or_b64 exec, exec, s[22:23]
	s_and_saveexec_b64 s[12:13], s[24:25]
	s_xor_b64 s[12:13], exec, s[12:13]
; %bb.989:
	v_cndmask_b32_e64 v65, v23, v17, s[20:21]
	v_cndmask_b32_e64 v64, v22, v16, s[20:21]
	;; [unrolled: 1-line block ×4, first 2 shown]
	v_mov_b64_e32 v[22:23], v[64:65]
; %bb.990:
	s_or_b64 exec, exec, s[12:13]
.LBB263_991:
	s_or_b64 exec, exec, s[18:19]
	s_or_b64 exec, exec, s[16:17]
	s_and_saveexec_b64 s[16:17], s[28:29]
	s_cbranch_execz .LBB263_1001
.LBB263_992:
	s_and_saveexec_b64 s[18:19], s[8:9]
	s_cbranch_execz .LBB263_1000
; %bb.993:
	v_mad_u64_u32 v[64:65], s[12:13], v18, v6, v[8:9]
	v_mul_lo_u32 v31, v18, v7
	v_mul_lo_u32 v66, v19, v6
	v_add3_u32 v65, v66, v65, v31
	v_mad_u64_u32 v[66:67], s[12:13], v12, v6, v[8:9]
	v_mul_lo_u32 v31, v12, v7
	v_mul_lo_u32 v68, v13, v6
	v_add3_u32 v67, v68, v67, v31
	s_mov_b64 s[22:23], 0
	v_mov_b64_e32 v[68:69], v[6:7]
                                        ; implicit-def: $sgpr20_sgpr21
                                        ; implicit-def: $sgpr24_sgpr25
                                        ; implicit-def: $sgpr28_sgpr29
                                        ; implicit-def: $sgpr26_sgpr27
                                        ; implicit-def: $sgpr38_sgpr39
                                        ; implicit-def: $sgpr12_sgpr13
	s_branch .LBB263_995
.LBB263_994:                            ;   in Loop: Header=BB263_995 Depth=1
	s_or_b64 exec, exec, s[42:43]
	s_and_b64 s[42:43], exec, s[28:29]
	s_or_b64 s[22:23], s[42:43], s[22:23]
	s_andn2_b64 s[12:13], s[12:13], exec
	s_and_b64 s[42:43], s[38:39], exec
	s_or_b64 s[12:13], s[12:13], s[42:43]
	s_andn2_b64 s[24:25], s[24:25], exec
	s_and_b64 s[42:43], s[26:27], exec
	s_andn2_b64 s[20:21], s[20:21], exec
	s_and_b64 s[40:41], s[40:41], exec
	s_or_b64 s[24:25], s[24:25], s[42:43]
	s_or_b64 s[20:21], s[20:21], s[40:41]
	s_andn2_b64 exec, exec, s[22:23]
	s_cbranch_execz .LBB263_997
.LBB263_995:                            ; =>This Inner Loop Header: Depth=1
	flat_load_ubyte v31, v[66:67]
	flat_load_ubyte v70, v[64:65]
	s_andn2_b64 s[38:39], s[38:39], exec
	s_or_b64 s[26:27], s[26:27], exec
	s_or_b64 s[28:29], s[28:29], exec
	s_waitcnt vmcnt(0) lgkmcnt(0)
	v_cmp_le_i16_sdwa s[42:43], sext(v31), sext(v70) src0_sel:BYTE_0 src1_sel:BYTE_0
	v_cmp_lt_i16_sdwa s[40:41], sext(v31), sext(v70) src0_sel:BYTE_0 src1_sel:BYTE_0
	s_and_b64 s[42:43], s[42:43], s[12:13]
	v_cmp_eq_u16_sdwa s[44:45], v31, v70 src0_sel:BYTE_0 src1_sel:BYTE_0
	s_or_b64 s[40:41], s[40:41], s[42:43]
	s_and_saveexec_b64 s[42:43], s[44:45]
	s_cbranch_execz .LBB263_994
; %bb.996:                              ;   in Loop: Header=BB263_995 Depth=1
	v_lshl_add_u64 v[68:69], v[68:69], 0, -1
	v_cmp_eq_u64_e64 s[12:13], 0, v[68:69]
	s_andn2_b64 s[38:39], s[38:39], exec
	s_and_b64 s[44:45], s[40:41], exec
	s_andn2_b64 s[28:29], s[28:29], exec
	s_and_b64 s[12:13], s[12:13], exec
	v_lshl_add_u64 v[64:65], v[64:65], 0, 1
	v_lshl_add_u64 v[66:67], v[66:67], 0, 1
	s_or_b64 s[38:39], s[38:39], s[44:45]
	s_andn2_b64 s[26:27], s[26:27], exec
	s_or_b64 s[28:29], s[28:29], s[12:13]
                                        ; implicit-def: $sgpr12_sgpr13
	s_branch .LBB263_994
.LBB263_997:
	s_or_b64 exec, exec, s[22:23]
	s_and_saveexec_b64 s[12:13], s[24:25]
	s_xor_b64 s[12:13], exec, s[12:13]
; %bb.998:
	v_cndmask_b32_e64 v65, v19, v13, s[20:21]
	v_cndmask_b32_e64 v64, v18, v12, s[20:21]
	;; [unrolled: 1-line block ×4, first 2 shown]
	v_mov_b64_e32 v[18:19], v[64:65]
; %bb.999:
	s_or_b64 exec, exec, s[12:13]
.LBB263_1000:
	s_or_b64 exec, exec, s[18:19]
.LBB263_1001:
	s_or_b64 exec, exec, s[16:17]
	v_mbcnt_lo_u32_b32 v31, -1, 0
	v_mbcnt_hi_u32_b32 v66, -1, v31
	v_and_b32_e32 v68, 0xfffffe00, v1
	v_mov_b32_e32 v69, 0
	v_sub_u32_e64 v1, v0, v68 clamp
	v_lshl_add_u64 v[64:65], v[68:69], 3, v[10:11]
	v_lshlrev_b32_e32 v31, 3, v66
	v_lshlrev_b32_e32 v68, 6, v66
	v_lshl_add_u64 v[66:67], v[64:65], 0, v[68:69]
	v_or_b32_e32 v68, 8, v31
	v_min_u32_e32 v98, v1, v68
	v_add_u32_e32 v68, 8, v98
	v_and_b32_e32 v100, 0x3f0, v31
	v_min_u32_e32 v99, v1, v68
	v_and_b32_e32 v68, 8, v31
	v_min_u32_e32 v101, v1, v68
	v_sub_u32_e32 v68, v98, v100
	v_sub_u32_e32 v70, v99, v98
	v_sub_u32_e64 v102, v101, v70 clamp
	v_min_u32_e32 v103, v101, v68
	v_cmp_lt_u32_e64 s[12:13], v102, v103
	flat_store_dwordx4 v[66:67], v[24:27]
	flat_store_dwordx4 v[66:67], v[20:23] offset:16
	flat_store_dwordx4 v[66:67], v[16:19] offset:32
	flat_store_dwordx4 v[66:67], v[12:15] offset:48
	; wave barrier
	s_and_saveexec_b64 s[16:17], s[12:13]
	s_cbranch_execz .LBB263_1011
; %bb.1002:
	v_lshlrev_b32_e32 v68, 3, v100
	v_lshl_add_u64 v[70:71], v[64:65], 0, v[68:69]
	v_lshlrev_b32_e32 v68, 3, v98
	v_lshl_add_u64 v[80:81], v[64:65], 0, v[68:69]
	s_mov_b64 s[18:19], 0
	s_branch .LBB263_1005
.LBB263_1003:                           ;   in Loop: Header=BB263_1005 Depth=1
	s_or_b64 exec, exec, s[22:23]
	s_and_b64 s[12:13], s[24:25], exec
.LBB263_1004:                           ;   in Loop: Header=BB263_1005 Depth=1
	s_or_b64 exec, exec, s[20:21]
	v_add_u32_e32 v68, 1, v82
	v_cndmask_b32_e64 v103, v103, v82, s[12:13]
	v_cndmask_b32_e64 v102, v68, v102, s[12:13]
	v_cmp_ge_u32_e64 s[12:13], v102, v103
	s_or_b64 s[18:19], s[12:13], s[18:19]
	s_andn2_b64 exec, exec, s[18:19]
	s_cbranch_execz .LBB263_1010
.LBB263_1005:                           ; =>This Loop Header: Depth=1
                                        ;     Child Loop BB263_1008 Depth 2
	v_add_u32_e32 v68, v103, v102
	v_lshrrev_b32_e32 v82, 1, v68
	s_mov_b64 s[12:13], 0
	s_and_saveexec_b64 s[20:21], s[8:9]
	s_cbranch_execz .LBB263_1004
; %bb.1006:                             ;   in Loop: Header=BB263_1005 Depth=1
	v_mov_b32_e32 v83, v69
	v_xad_u32 v68, v82, -1, v101
	v_lshl_add_u64 v[84:85], v[82:83], 3, v[70:71]
	v_lshl_add_u64 v[86:87], v[68:69], 3, v[80:81]
	flat_load_dwordx2 v[84:85], v[84:85]
	s_mov_b64 s[22:23], 0
	flat_load_dwordx2 v[86:87], v[86:87]
                                        ; implicit-def: $sgpr24_sgpr25
                                        ; implicit-def: $sgpr26_sgpr27
                                        ; implicit-def: $sgpr28_sgpr29
                                        ; implicit-def: $sgpr38_sgpr39
                                        ; implicit-def: $sgpr12_sgpr13
	s_waitcnt vmcnt(0) lgkmcnt(0)
	v_mul_lo_u32 v68, v84, v7
	v_mul_lo_u32 v83, v85, v6
	v_mad_u64_u32 v[84:85], s[40:41], v84, v6, v[8:9]
	v_mul_lo_u32 v96, v86, v7
	v_mul_lo_u32 v97, v87, v6
	v_mad_u64_u32 v[86:87], s[40:41], v86, v6, v[8:9]
	v_add3_u32 v85, v83, v85, v68
	v_add3_u32 v87, v97, v87, v96
	v_mov_b64_e32 v[96:97], v[6:7]
	s_branch .LBB263_1008
.LBB263_1007:                           ;   in Loop: Header=BB263_1008 Depth=2
	s_or_b64 exec, exec, s[40:41]
	s_and_b64 s[40:41], exec, s[26:27]
	s_or_b64 s[22:23], s[40:41], s[22:23]
	s_andn2_b64 s[12:13], s[12:13], exec
	s_and_b64 s[40:41], s[28:29], exec
	s_or_b64 s[12:13], s[12:13], s[40:41]
	s_andn2_b64 s[24:25], s[24:25], exec
	s_and_b64 s[40:41], s[38:39], exec
	s_or_b64 s[24:25], s[24:25], s[40:41]
	s_andn2_b64 exec, exec, s[22:23]
	s_cbranch_execz .LBB263_1003
.LBB263_1008:                           ;   Parent Loop BB263_1005 Depth=1
                                        ; =>  This Inner Loop Header: Depth=2
	flat_load_ubyte v68, v[86:87]
	flat_load_ubyte v83, v[84:85]
	s_andn2_b64 s[38:39], s[38:39], exec
	s_andn2_b64 s[28:29], s[28:29], exec
	s_or_b64 s[26:27], s[26:27], exec
	s_waitcnt vmcnt(0) lgkmcnt(0)
	v_cmp_le_i16_sdwa s[42:43], sext(v68), sext(v83) src0_sel:BYTE_0 src1_sel:BYTE_0
	v_cmp_lt_i16_sdwa s[40:41], sext(v68), sext(v83) src0_sel:BYTE_0 src1_sel:BYTE_0
	s_and_b64 s[42:43], s[42:43], s[12:13]
	s_or_b64 s[42:43], s[40:41], s[42:43]
	s_and_b64 s[40:41], s[42:43], exec
	v_cmp_eq_u16_sdwa s[44:45], v68, v83 src0_sel:BYTE_0 src1_sel:BYTE_0
	s_or_b64 s[38:39], s[38:39], s[40:41]
	s_and_saveexec_b64 s[40:41], s[44:45]
	s_cbranch_execz .LBB263_1007
; %bb.1009:                             ;   in Loop: Header=BB263_1008 Depth=2
	v_lshl_add_u64 v[96:97], v[96:97], 0, -1
	v_cmp_eq_u64_e64 s[12:13], 0, v[96:97]
	s_andn2_b64 s[28:29], s[28:29], exec
	s_and_b64 s[42:43], s[42:43], exec
	s_andn2_b64 s[26:27], s[26:27], exec
	s_and_b64 s[12:13], s[12:13], exec
	v_lshl_add_u64 v[84:85], v[84:85], 0, 1
	v_lshl_add_u64 v[86:87], v[86:87], 0, 1
	s_andn2_b64 s[38:39], s[38:39], exec
	s_or_b64 s[28:29], s[28:29], s[42:43]
	s_or_b64 s[26:27], s[26:27], s[12:13]
                                        ; implicit-def: $sgpr12_sgpr13
	s_branch .LBB263_1007
.LBB263_1010:
	s_or_b64 exec, exec, s[18:19]
.LBB263_1011:
	s_or_b64 exec, exec, s[16:17]
	v_add_u32_e32 v69, v98, v101
	v_add_u32_e32 v68, v102, v100
	v_sub_u32_e32 v70, v69, v102
	v_cmp_le_u32_e64 s[12:13], v68, v98
	v_cmp_le_u32_e64 s[16:17], v70, v99
	s_or_b64 s[12:13], s[12:13], s[16:17]
	s_and_saveexec_b64 s[18:19], s[12:13]
	s_cbranch_execz .LBB263_1095
; %bb.1012:
	v_cmp_ge_u32_e64 s[16:17], v68, v98
	v_cmp_lt_u32_e64 s[12:13], v68, v98
                                        ; implicit-def: $vgpr12_vgpr13
	s_and_saveexec_b64 s[20:21], s[12:13]
	s_cbranch_execz .LBB263_1014
; %bb.1013:
	v_mov_b32_e32 v69, 0
	v_lshl_add_u64 v[12:13], v[68:69], 3, v[64:65]
	flat_load_dwordx2 v[12:13], v[12:13]
.LBB263_1014:
	s_or_b64 exec, exec, s[20:21]
	v_cmp_ge_u32_e64 s[20:21], v70, v99
	v_cmp_lt_u32_e64 s[12:13], v70, v99
                                        ; implicit-def: $vgpr14_vgpr15
	s_and_saveexec_b64 s[22:23], s[12:13]
	s_cbranch_execz .LBB263_1016
; %bb.1015:
	v_mov_b32_e32 v71, 0
	v_lshl_add_u64 v[14:15], v[70:71], 3, v[64:65]
	flat_load_dwordx2 v[14:15], v[14:15]
.LBB263_1016:
	s_or_b64 exec, exec, s[22:23]
	s_or_b64 s[12:13], s[16:17], s[20:21]
	s_xor_b64 s[12:13], s[12:13], -1
	s_and_saveexec_b64 s[16:17], s[12:13]
	s_cbranch_execz .LBB263_1024
; %bb.1017:
	s_mov_b64 s[12:13], 0
	s_and_saveexec_b64 s[22:23], s[8:9]
	s_cbranch_execz .LBB263_1023
; %bb.1018:
	s_waitcnt vmcnt(0) lgkmcnt(0)
	v_mad_u64_u32 v[16:17], s[12:13], v12, v6, v[8:9]
	v_mul_lo_u32 v18, v12, v7
	v_mul_lo_u32 v19, v13, v6
	v_add3_u32 v17, v19, v17, v18
	v_mad_u64_u32 v[18:19], s[12:13], v14, v6, v[8:9]
	v_mul_lo_u32 v20, v14, v7
	v_mul_lo_u32 v21, v15, v6
	v_add3_u32 v19, v21, v19, v20
	s_mov_b64 s[24:25], 0
	v_mov_b64_e32 v[20:21], v[6:7]
                                        ; implicit-def: $sgpr26_sgpr27
                                        ; implicit-def: $sgpr28_sgpr29
                                        ; implicit-def: $sgpr38_sgpr39
                                        ; implicit-def: $sgpr40_sgpr41
                                        ; implicit-def: $sgpr12_sgpr13
	s_branch .LBB263_1020
.LBB263_1019:                           ;   in Loop: Header=BB263_1020 Depth=1
	s_or_b64 exec, exec, s[42:43]
	s_and_b64 s[42:43], exec, s[28:29]
	s_or_b64 s[24:25], s[42:43], s[24:25]
	s_andn2_b64 s[12:13], s[12:13], exec
	s_and_b64 s[42:43], s[38:39], exec
	s_or_b64 s[12:13], s[12:13], s[42:43]
	s_andn2_b64 s[26:27], s[26:27], exec
	s_and_b64 s[42:43], s[40:41], exec
	s_or_b64 s[26:27], s[26:27], s[42:43]
	s_andn2_b64 exec, exec, s[24:25]
	s_cbranch_execz .LBB263_1022
.LBB263_1020:                           ; =>This Inner Loop Header: Depth=1
	flat_load_ubyte v22, v[18:19]
	flat_load_ubyte v23, v[16:17]
	s_andn2_b64 s[40:41], s[40:41], exec
	s_andn2_b64 s[38:39], s[38:39], exec
	s_or_b64 s[28:29], s[28:29], exec
	s_waitcnt vmcnt(0) lgkmcnt(0)
	v_cmp_le_i16_sdwa s[44:45], sext(v22), sext(v23) src0_sel:BYTE_0 src1_sel:BYTE_0
	v_cmp_lt_i16_sdwa s[42:43], sext(v22), sext(v23) src0_sel:BYTE_0 src1_sel:BYTE_0
	s_and_b64 s[44:45], s[44:45], s[12:13]
	s_or_b64 s[44:45], s[42:43], s[44:45]
	s_and_b64 s[42:43], s[44:45], exec
	v_cmp_eq_u16_sdwa s[46:47], v22, v23 src0_sel:BYTE_0 src1_sel:BYTE_0
	s_or_b64 s[40:41], s[40:41], s[42:43]
	s_and_saveexec_b64 s[42:43], s[46:47]
	s_cbranch_execz .LBB263_1019
; %bb.1021:                             ;   in Loop: Header=BB263_1020 Depth=1
	v_lshl_add_u64 v[20:21], v[20:21], 0, -1
	v_cmp_eq_u64_e64 s[12:13], 0, v[20:21]
	s_andn2_b64 s[38:39], s[38:39], exec
	s_and_b64 s[44:45], s[44:45], exec
	s_andn2_b64 s[28:29], s[28:29], exec
	s_and_b64 s[12:13], s[12:13], exec
	v_lshl_add_u64 v[16:17], v[16:17], 0, 1
	v_lshl_add_u64 v[18:19], v[18:19], 0, 1
	s_andn2_b64 s[40:41], s[40:41], exec
	s_or_b64 s[38:39], s[38:39], s[44:45]
	s_or_b64 s[28:29], s[28:29], s[12:13]
                                        ; implicit-def: $sgpr12_sgpr13
	s_branch .LBB263_1019
.LBB263_1022:
	s_or_b64 exec, exec, s[24:25]
	s_and_b64 s[12:13], s[26:27], exec
.LBB263_1023:
	s_or_b64 exec, exec, s[22:23]
	s_xor_b64 s[12:13], s[12:13], -1
	s_andn2_b64 s[20:21], s[20:21], exec
	s_and_b64 s[12:13], s[12:13], exec
	s_or_b64 s[20:21], s[20:21], s[12:13]
.LBB263_1024:
	s_or_b64 exec, exec, s[16:17]
	v_cndmask_b32_e64 v16, v70, v68, s[20:21]
	v_cndmask_b32_e64 v17, v99, v98, s[20:21]
	v_add_u32_e32 v20, 1, v16
	v_add_u32_e32 v16, -1, v17
	v_min_u32_e32 v16, v20, v16
	v_mov_b32_e32 v17, 0
	v_lshl_add_u64 v[18:19], v[16:17], 3, v[64:65]
	flat_load_dwordx2 v[18:19], v[18:19]
	v_cndmask_b32_e64 v27, v20, v70, s[20:21]
	s_mov_b64 s[16:17], -1
	v_cndmask_b32_e64 v68, v68, v20, s[20:21]
	v_cmp_lt_u32_e64 s[12:13], v27, v99
	s_mov_b64 s[22:23], -1
	s_waitcnt vmcnt(0) lgkmcnt(0)
	v_cndmask_b32_e64 v24, v19, v15, s[20:21]
	v_cndmask_b32_e64 v25, v18, v14, s[20:21]
	;; [unrolled: 1-line block ×4, first 2 shown]
	s_and_saveexec_b64 s[24:25], s[12:13]
	s_cbranch_execz .LBB263_1034
; %bb.1025:
	v_cmp_lt_u32_e64 s[12:13], v68, v98
	s_mov_b64 s[26:27], 0
	s_and_saveexec_b64 s[22:23], s[12:13]
	s_cbranch_execz .LBB263_1033
; %bb.1026:
	s_mov_b64 s[12:13], 0
	s_and_saveexec_b64 s[26:27], s[8:9]
	s_cbranch_execz .LBB263_1032
; %bb.1027:
	v_mad_u64_u32 v[18:19], s[12:13], v70, v6, v[8:9]
	v_mul_lo_u32 v16, v70, v7
	v_mul_lo_u32 v20, v26, v6
	v_add3_u32 v19, v20, v19, v16
	v_mad_u64_u32 v[20:21], s[12:13], v25, v6, v[8:9]
	v_mul_lo_u32 v16, v25, v7
	v_mul_lo_u32 v22, v24, v6
	v_add3_u32 v21, v22, v21, v16
	s_mov_b64 s[28:29], 0
	v_mov_b64_e32 v[22:23], v[6:7]
                                        ; implicit-def: $sgpr38_sgpr39
                                        ; implicit-def: $sgpr40_sgpr41
                                        ; implicit-def: $sgpr42_sgpr43
                                        ; implicit-def: $sgpr44_sgpr45
                                        ; implicit-def: $sgpr12_sgpr13
	s_branch .LBB263_1029
.LBB263_1028:                           ;   in Loop: Header=BB263_1029 Depth=1
	s_or_b64 exec, exec, s[46:47]
	s_and_b64 s[46:47], exec, s[40:41]
	s_or_b64 s[28:29], s[46:47], s[28:29]
	s_andn2_b64 s[12:13], s[12:13], exec
	s_and_b64 s[46:47], s[42:43], exec
	s_or_b64 s[12:13], s[12:13], s[46:47]
	s_andn2_b64 s[38:39], s[38:39], exec
	s_and_b64 s[46:47], s[44:45], exec
	s_or_b64 s[38:39], s[38:39], s[46:47]
	s_andn2_b64 exec, exec, s[28:29]
	s_cbranch_execz .LBB263_1031
.LBB263_1029:                           ; =>This Inner Loop Header: Depth=1
	flat_load_ubyte v16, v[20:21]
	flat_load_ubyte v69, v[18:19]
	s_andn2_b64 s[44:45], s[44:45], exec
	s_andn2_b64 s[42:43], s[42:43], exec
	s_or_b64 s[40:41], s[40:41], exec
	s_waitcnt vmcnt(0) lgkmcnt(0)
	v_cmp_le_i16_sdwa s[48:49], sext(v16), sext(v69) src0_sel:BYTE_0 src1_sel:BYTE_0
	v_cmp_lt_i16_sdwa s[46:47], sext(v16), sext(v69) src0_sel:BYTE_0 src1_sel:BYTE_0
	s_and_b64 s[48:49], s[48:49], s[12:13]
	s_or_b64 s[48:49], s[46:47], s[48:49]
	s_and_b64 s[46:47], s[48:49], exec
	v_cmp_eq_u16_sdwa s[50:51], v16, v69 src0_sel:BYTE_0 src1_sel:BYTE_0
	s_or_b64 s[44:45], s[44:45], s[46:47]
	s_and_saveexec_b64 s[46:47], s[50:51]
	s_cbranch_execz .LBB263_1028
; %bb.1030:                             ;   in Loop: Header=BB263_1029 Depth=1
	v_lshl_add_u64 v[22:23], v[22:23], 0, -1
	v_cmp_eq_u64_e64 s[12:13], 0, v[22:23]
	s_andn2_b64 s[42:43], s[42:43], exec
	s_and_b64 s[48:49], s[48:49], exec
	s_andn2_b64 s[40:41], s[40:41], exec
	s_and_b64 s[12:13], s[12:13], exec
	v_lshl_add_u64 v[18:19], v[18:19], 0, 1
	v_lshl_add_u64 v[20:21], v[20:21], 0, 1
	s_andn2_b64 s[44:45], s[44:45], exec
	s_or_b64 s[42:43], s[42:43], s[48:49]
	s_or_b64 s[40:41], s[40:41], s[12:13]
                                        ; implicit-def: $sgpr12_sgpr13
	s_branch .LBB263_1028
.LBB263_1031:
	s_or_b64 exec, exec, s[28:29]
	s_and_b64 s[12:13], s[38:39], exec
.LBB263_1032:
	s_or_b64 exec, exec, s[26:27]
	s_xor_b64 s[12:13], s[12:13], -1
	s_and_b64 s[26:27], s[12:13], exec
.LBB263_1033:
	s_or_b64 exec, exec, s[22:23]
	s_orn2_b64 s[22:23], s[26:27], exec
.LBB263_1034:
	s_or_b64 exec, exec, s[24:25]
	v_cndmask_b32_e64 v16, v27, v68, s[22:23]
	v_cndmask_b32_e64 v18, v99, v98, s[22:23]
	v_add_u32_e32 v19, 1, v16
	v_add_u32_e32 v16, -1, v18
	v_min_u32_e32 v16, v19, v16
	v_lshl_add_u64 v[16:17], v[16:17], 3, v[64:65]
	flat_load_dwordx2 v[16:17], v[16:17]
	v_cndmask_b32_e64 v22, v19, v27, s[22:23]
	v_cndmask_b32_e64 v23, v68, v19, s[22:23]
	v_cmp_lt_u32_e64 s[12:13], v22, v99
	s_waitcnt vmcnt(0) lgkmcnt(0)
	v_cndmask_b32_e64 v27, v17, v24, s[22:23]
	v_cndmask_b32_e64 v71, v16, v25, s[22:23]
	;; [unrolled: 1-line block ×4, first 2 shown]
	s_and_saveexec_b64 s[24:25], s[12:13]
	s_cbranch_execz .LBB263_1044
; %bb.1035:
	v_cmp_lt_u32_e64 s[12:13], v23, v98
	s_mov_b64 s[26:27], 0
	s_and_saveexec_b64 s[16:17], s[12:13]
	s_cbranch_execz .LBB263_1043
; %bb.1036:
	s_mov_b64 s[12:13], 0
	s_and_saveexec_b64 s[26:27], s[8:9]
	s_cbranch_execz .LBB263_1042
; %bb.1037:
	v_mad_u64_u32 v[16:17], s[12:13], v81, v6, v[8:9]
	v_mul_lo_u32 v18, v81, v7
	v_mul_lo_u32 v19, v80, v6
	v_add3_u32 v17, v19, v17, v18
	v_mad_u64_u32 v[18:19], s[12:13], v71, v6, v[8:9]
	v_mul_lo_u32 v20, v71, v7
	v_mul_lo_u32 v21, v27, v6
	v_add3_u32 v19, v21, v19, v20
	s_mov_b64 s[28:29], 0
	v_mov_b64_e32 v[20:21], v[6:7]
                                        ; implicit-def: $sgpr38_sgpr39
                                        ; implicit-def: $sgpr40_sgpr41
                                        ; implicit-def: $sgpr42_sgpr43
                                        ; implicit-def: $sgpr44_sgpr45
                                        ; implicit-def: $sgpr12_sgpr13
	s_branch .LBB263_1039
.LBB263_1038:                           ;   in Loop: Header=BB263_1039 Depth=1
	s_or_b64 exec, exec, s[46:47]
	s_and_b64 s[46:47], exec, s[40:41]
	s_or_b64 s[28:29], s[46:47], s[28:29]
	s_andn2_b64 s[12:13], s[12:13], exec
	s_and_b64 s[46:47], s[42:43], exec
	s_or_b64 s[12:13], s[12:13], s[46:47]
	s_andn2_b64 s[38:39], s[38:39], exec
	s_and_b64 s[46:47], s[44:45], exec
	s_or_b64 s[38:39], s[38:39], s[46:47]
	s_andn2_b64 exec, exec, s[28:29]
	s_cbranch_execz .LBB263_1041
.LBB263_1039:                           ; =>This Inner Loop Header: Depth=1
	flat_load_ubyte v68, v[18:19]
	flat_load_ubyte v69, v[16:17]
	s_andn2_b64 s[44:45], s[44:45], exec
	s_andn2_b64 s[42:43], s[42:43], exec
	s_or_b64 s[40:41], s[40:41], exec
	s_waitcnt vmcnt(0) lgkmcnt(0)
	v_cmp_le_i16_sdwa s[48:49], sext(v68), sext(v69) src0_sel:BYTE_0 src1_sel:BYTE_0
	v_cmp_lt_i16_sdwa s[46:47], sext(v68), sext(v69) src0_sel:BYTE_0 src1_sel:BYTE_0
	s_and_b64 s[48:49], s[48:49], s[12:13]
	s_or_b64 s[48:49], s[46:47], s[48:49]
	s_and_b64 s[46:47], s[48:49], exec
	v_cmp_eq_u16_sdwa s[50:51], v68, v69 src0_sel:BYTE_0 src1_sel:BYTE_0
	s_or_b64 s[44:45], s[44:45], s[46:47]
	s_and_saveexec_b64 s[46:47], s[50:51]
	s_cbranch_execz .LBB263_1038
; %bb.1040:                             ;   in Loop: Header=BB263_1039 Depth=1
	v_lshl_add_u64 v[20:21], v[20:21], 0, -1
	v_cmp_eq_u64_e64 s[12:13], 0, v[20:21]
	s_andn2_b64 s[42:43], s[42:43], exec
	s_and_b64 s[48:49], s[48:49], exec
	s_andn2_b64 s[40:41], s[40:41], exec
	s_and_b64 s[12:13], s[12:13], exec
	v_lshl_add_u64 v[16:17], v[16:17], 0, 1
	v_lshl_add_u64 v[18:19], v[18:19], 0, 1
	s_andn2_b64 s[44:45], s[44:45], exec
	s_or_b64 s[42:43], s[42:43], s[48:49]
	s_or_b64 s[40:41], s[40:41], s[12:13]
                                        ; implicit-def: $sgpr12_sgpr13
	s_branch .LBB263_1038
.LBB263_1041:
	s_or_b64 exec, exec, s[28:29]
	s_and_b64 s[12:13], s[38:39], exec
.LBB263_1042:
	s_or_b64 exec, exec, s[26:27]
	s_xor_b64 s[12:13], s[12:13], -1
	s_and_b64 s[26:27], s[12:13], exec
.LBB263_1043:
	s_or_b64 exec, exec, s[16:17]
	s_orn2_b64 s[16:17], s[26:27], exec
.LBB263_1044:
	s_or_b64 exec, exec, s[24:25]
	v_cndmask_b32_e64 v16, v22, v23, s[16:17]
	v_cndmask_b32_e64 v17, v99, v98, s[16:17]
	v_add_u32_e32 v20, 1, v16
	v_add_u32_e32 v16, -1, v17
	v_min_u32_e32 v16, v20, v16
	v_mov_b32_e32 v17, 0
	v_lshl_add_u64 v[18:19], v[16:17], 3, v[64:65]
	flat_load_dwordx2 v[18:19], v[18:19]
	v_cndmask_b32_e64 v68, v20, v22, s[16:17]
	s_mov_b64 s[24:25], -1
	v_cndmask_b32_e64 v69, v23, v20, s[16:17]
	v_cmp_lt_u32_e64 s[12:13], v68, v99
	s_mov_b64 s[26:27], -1
	s_waitcnt vmcnt(0) lgkmcnt(0)
	v_cndmask_b32_e64 v82, v19, v27, s[16:17]
	v_cndmask_b32_e64 v83, v18, v71, s[16:17]
	v_cndmask_b32_e64 v84, v80, v19, s[16:17]
	v_cndmask_b32_e64 v85, v81, v18, s[16:17]
	s_and_saveexec_b64 s[28:29], s[12:13]
	s_cbranch_execz .LBB263_1054
; %bb.1045:
	v_cmp_lt_u32_e64 s[12:13], v69, v98
	s_mov_b64 s[38:39], 0
	s_and_saveexec_b64 s[26:27], s[12:13]
	s_cbranch_execz .LBB263_1053
; %bb.1046:
	s_mov_b64 s[12:13], -1
	s_and_saveexec_b64 s[38:39], s[8:9]
	s_cbranch_execz .LBB263_1052
; %bb.1047:
	v_mad_u64_u32 v[18:19], s[12:13], v85, v6, v[8:9]
	v_mul_lo_u32 v16, v85, v7
	v_mul_lo_u32 v20, v84, v6
	v_add3_u32 v19, v20, v19, v16
	v_mad_u64_u32 v[20:21], s[12:13], v83, v6, v[8:9]
	v_mul_lo_u32 v16, v83, v7
	v_mul_lo_u32 v22, v82, v6
	v_add3_u32 v21, v22, v21, v16
	s_mov_b64 s[40:41], 0
	v_mov_b64_e32 v[22:23], v[6:7]
                                        ; implicit-def: $sgpr42_sgpr43
                                        ; implicit-def: $sgpr44_sgpr45
                                        ; implicit-def: $sgpr48_sgpr49
                                        ; implicit-def: $sgpr46_sgpr47
                                        ; implicit-def: $sgpr12_sgpr13
	s_branch .LBB263_1049
.LBB263_1048:                           ;   in Loop: Header=BB263_1049 Depth=1
	s_or_b64 exec, exec, s[50:51]
	s_and_b64 s[50:51], exec, s[44:45]
	s_or_b64 s[40:41], s[50:51], s[40:41]
	s_andn2_b64 s[12:13], s[12:13], exec
	s_and_b64 s[50:51], s[46:47], exec
	s_or_b64 s[12:13], s[12:13], s[50:51]
	s_andn2_b64 s[42:43], s[42:43], exec
	s_and_b64 s[50:51], s[48:49], exec
	s_or_b64 s[42:43], s[42:43], s[50:51]
	s_andn2_b64 exec, exec, s[40:41]
	s_cbranch_execz .LBB263_1051
.LBB263_1049:                           ; =>This Inner Loop Header: Depth=1
	flat_load_ubyte v16, v[20:21]
	flat_load_ubyte v86, v[18:19]
	s_andn2_b64 s[48:49], s[48:49], exec
	s_andn2_b64 s[46:47], s[46:47], exec
	s_or_b64 s[44:45], s[44:45], exec
	s_waitcnt vmcnt(0) lgkmcnt(0)
	v_cmp_le_i16_sdwa s[52:53], sext(v16), sext(v86) src0_sel:BYTE_0 src1_sel:BYTE_0
	v_cmp_lt_i16_sdwa s[50:51], sext(v16), sext(v86) src0_sel:BYTE_0 src1_sel:BYTE_0
	s_and_b64 s[52:53], s[52:53], s[12:13]
	s_or_b64 s[52:53], s[50:51], s[52:53]
	s_and_b64 s[50:51], s[52:53], exec
	v_cmp_eq_u16_sdwa s[54:55], v16, v86 src0_sel:BYTE_0 src1_sel:BYTE_0
	s_or_b64 s[48:49], s[48:49], s[50:51]
	s_and_saveexec_b64 s[50:51], s[54:55]
	s_cbranch_execz .LBB263_1048
; %bb.1050:                             ;   in Loop: Header=BB263_1049 Depth=1
	v_lshl_add_u64 v[22:23], v[22:23], 0, -1
	v_cmp_eq_u64_e64 s[12:13], 0, v[22:23]
	s_andn2_b64 s[46:47], s[46:47], exec
	s_and_b64 s[52:53], s[52:53], exec
	s_andn2_b64 s[44:45], s[44:45], exec
	s_and_b64 s[12:13], s[12:13], exec
	v_lshl_add_u64 v[18:19], v[18:19], 0, 1
	v_lshl_add_u64 v[20:21], v[20:21], 0, 1
	s_or_b64 s[46:47], s[46:47], s[52:53]
	s_andn2_b64 s[48:49], s[48:49], exec
	s_or_b64 s[44:45], s[44:45], s[12:13]
                                        ; implicit-def: $sgpr12_sgpr13
	s_branch .LBB263_1048
.LBB263_1051:
	s_or_b64 exec, exec, s[40:41]
	s_xor_b64 s[12:13], s[42:43], -1
	s_orn2_b64 s[12:13], s[12:13], exec
.LBB263_1052:
	s_or_b64 exec, exec, s[38:39]
	s_and_b64 s[38:39], s[12:13], exec
.LBB263_1053:
	s_or_b64 exec, exec, s[26:27]
	s_orn2_b64 s[26:27], s[38:39], exec
.LBB263_1054:
	s_or_b64 exec, exec, s[28:29]
	v_cndmask_b32_e64 v16, v68, v69, s[26:27]
	v_cndmask_b32_e64 v18, v99, v98, s[26:27]
	v_add_u32_e32 v19, 1, v16
	v_add_u32_e32 v16, -1, v18
	v_min_u32_e32 v16, v19, v16
	v_lshl_add_u64 v[16:17], v[16:17], 3, v[64:65]
	flat_load_dwordx2 v[16:17], v[16:17]
	v_cndmask_b32_e64 v22, v19, v68, s[26:27]
	v_cndmask_b32_e64 v23, v69, v19, s[26:27]
	v_cmp_lt_u32_e64 s[12:13], v22, v99
	s_waitcnt vmcnt(0) lgkmcnt(0)
	v_cndmask_b32_e64 v86, v17, v82, s[26:27]
	v_cndmask_b32_e64 v87, v16, v83, s[26:27]
	;; [unrolled: 1-line block ×4, first 2 shown]
	s_and_saveexec_b64 s[28:29], s[12:13]
	s_cbranch_execz .LBB263_1064
; %bb.1055:
	v_cmp_lt_u32_e64 s[12:13], v23, v98
	s_mov_b64 s[38:39], 0
	s_and_saveexec_b64 s[24:25], s[12:13]
	s_cbranch_execz .LBB263_1063
; %bb.1056:
	s_mov_b64 s[12:13], -1
	s_and_saveexec_b64 s[38:39], s[8:9]
	s_cbranch_execz .LBB263_1062
; %bb.1057:
	v_mad_u64_u32 v[16:17], s[12:13], v97, v6, v[8:9]
	v_mul_lo_u32 v18, v97, v7
	v_mul_lo_u32 v19, v96, v6
	v_add3_u32 v17, v19, v17, v18
	v_mad_u64_u32 v[18:19], s[12:13], v87, v6, v[8:9]
	v_mul_lo_u32 v20, v87, v7
	v_mul_lo_u32 v21, v86, v6
	v_add3_u32 v19, v21, v19, v20
	s_mov_b64 s[40:41], 0
	v_mov_b64_e32 v[20:21], v[6:7]
                                        ; implicit-def: $sgpr42_sgpr43
                                        ; implicit-def: $sgpr44_sgpr45
                                        ; implicit-def: $sgpr48_sgpr49
                                        ; implicit-def: $sgpr46_sgpr47
                                        ; implicit-def: $sgpr12_sgpr13
	s_branch .LBB263_1059
.LBB263_1058:                           ;   in Loop: Header=BB263_1059 Depth=1
	s_or_b64 exec, exec, s[50:51]
	s_and_b64 s[50:51], exec, s[44:45]
	s_or_b64 s[40:41], s[50:51], s[40:41]
	s_andn2_b64 s[12:13], s[12:13], exec
	s_and_b64 s[50:51], s[46:47], exec
	s_or_b64 s[12:13], s[12:13], s[50:51]
	s_andn2_b64 s[42:43], s[42:43], exec
	s_and_b64 s[50:51], s[48:49], exec
	s_or_b64 s[42:43], s[42:43], s[50:51]
	s_andn2_b64 exec, exec, s[40:41]
	s_cbranch_execz .LBB263_1061
.LBB263_1059:                           ; =>This Inner Loop Header: Depth=1
	flat_load_ubyte v68, v[18:19]
	flat_load_ubyte v69, v[16:17]
	s_andn2_b64 s[48:49], s[48:49], exec
	s_andn2_b64 s[46:47], s[46:47], exec
	s_or_b64 s[44:45], s[44:45], exec
	s_waitcnt vmcnt(0) lgkmcnt(0)
	v_cmp_le_i16_sdwa s[52:53], sext(v68), sext(v69) src0_sel:BYTE_0 src1_sel:BYTE_0
	v_cmp_lt_i16_sdwa s[50:51], sext(v68), sext(v69) src0_sel:BYTE_0 src1_sel:BYTE_0
	s_and_b64 s[52:53], s[52:53], s[12:13]
	s_or_b64 s[52:53], s[50:51], s[52:53]
	s_and_b64 s[50:51], s[52:53], exec
	v_cmp_eq_u16_sdwa s[54:55], v68, v69 src0_sel:BYTE_0 src1_sel:BYTE_0
	s_or_b64 s[48:49], s[48:49], s[50:51]
	s_and_saveexec_b64 s[50:51], s[54:55]
	s_cbranch_execz .LBB263_1058
; %bb.1060:                             ;   in Loop: Header=BB263_1059 Depth=1
	v_lshl_add_u64 v[20:21], v[20:21], 0, -1
	v_cmp_eq_u64_e64 s[12:13], 0, v[20:21]
	s_andn2_b64 s[46:47], s[46:47], exec
	s_and_b64 s[52:53], s[52:53], exec
	s_andn2_b64 s[44:45], s[44:45], exec
	s_and_b64 s[12:13], s[12:13], exec
	v_lshl_add_u64 v[16:17], v[16:17], 0, 1
	v_lshl_add_u64 v[18:19], v[18:19], 0, 1
	s_or_b64 s[46:47], s[46:47], s[52:53]
	s_andn2_b64 s[48:49], s[48:49], exec
	s_or_b64 s[44:45], s[44:45], s[12:13]
                                        ; implicit-def: $sgpr12_sgpr13
	s_branch .LBB263_1058
.LBB263_1061:
	s_or_b64 exec, exec, s[40:41]
	s_xor_b64 s[12:13], s[42:43], -1
	s_orn2_b64 s[12:13], s[12:13], exec
.LBB263_1062:
	s_or_b64 exec, exec, s[38:39]
	s_and_b64 s[38:39], s[12:13], exec
.LBB263_1063:
	s_or_b64 exec, exec, s[24:25]
	s_orn2_b64 s[24:25], s[38:39], exec
.LBB263_1064:
	s_or_b64 exec, exec, s[28:29]
	v_cndmask_b32_e64 v16, v22, v23, s[24:25]
	v_cndmask_b32_e64 v17, v99, v98, s[24:25]
	v_add_u32_e32 v20, 1, v16
	v_add_u32_e32 v16, -1, v17
	v_min_u32_e32 v16, v20, v16
	v_mov_b32_e32 v17, 0
	v_lshl_add_u64 v[18:19], v[16:17], 3, v[64:65]
	flat_load_dwordx2 v[18:19], v[18:19]
	v_cndmask_b32_e64 v68, v20, v22, s[24:25]
	s_mov_b64 s[28:29], -1
	v_cndmask_b32_e64 v69, v23, v20, s[24:25]
	v_cmp_lt_u32_e64 s[12:13], v68, v99
	s_mov_b64 s[38:39], -1
	s_waitcnt vmcnt(0) lgkmcnt(0)
	v_cndmask_b32_e64 v100, v19, v86, s[24:25]
	v_cndmask_b32_e64 v101, v18, v87, s[24:25]
	;; [unrolled: 1-line block ×4, first 2 shown]
	s_and_saveexec_b64 s[40:41], s[12:13]
	s_cbranch_execz .LBB263_1074
; %bb.1065:
	v_cmp_lt_u32_e64 s[12:13], v69, v98
	s_mov_b64 s[42:43], 0
	s_and_saveexec_b64 s[38:39], s[12:13]
	s_cbranch_execz .LBB263_1073
; %bb.1066:
	s_mov_b64 s[12:13], -1
	s_and_saveexec_b64 s[42:43], s[8:9]
	s_cbranch_execz .LBB263_1072
; %bb.1067:
	v_mad_u64_u32 v[18:19], s[12:13], v103, v6, v[8:9]
	v_mul_lo_u32 v16, v103, v7
	v_mul_lo_u32 v20, v102, v6
	v_add3_u32 v19, v20, v19, v16
	v_mad_u64_u32 v[20:21], s[12:13], v101, v6, v[8:9]
	v_mul_lo_u32 v16, v101, v7
	v_mul_lo_u32 v22, v100, v6
	v_add3_u32 v21, v22, v21, v16
	s_mov_b64 s[44:45], 0
	v_mov_b64_e32 v[22:23], v[6:7]
                                        ; implicit-def: $sgpr46_sgpr47
                                        ; implicit-def: $sgpr48_sgpr49
                                        ; implicit-def: $sgpr52_sgpr53
                                        ; implicit-def: $sgpr50_sgpr51
                                        ; implicit-def: $sgpr12_sgpr13
	s_branch .LBB263_1069
.LBB263_1068:                           ;   in Loop: Header=BB263_1069 Depth=1
	s_or_b64 exec, exec, s[54:55]
	s_and_b64 s[54:55], exec, s[48:49]
	s_or_b64 s[44:45], s[54:55], s[44:45]
	s_andn2_b64 s[12:13], s[12:13], exec
	s_and_b64 s[54:55], s[50:51], exec
	s_or_b64 s[12:13], s[12:13], s[54:55]
	s_andn2_b64 s[46:47], s[46:47], exec
	s_and_b64 s[54:55], s[52:53], exec
	s_or_b64 s[46:47], s[46:47], s[54:55]
	s_andn2_b64 exec, exec, s[44:45]
	s_cbranch_execz .LBB263_1071
.LBB263_1069:                           ; =>This Inner Loop Header: Depth=1
	flat_load_ubyte v16, v[20:21]
	flat_load_ubyte v112, v[18:19]
	s_andn2_b64 s[52:53], s[52:53], exec
	s_andn2_b64 s[50:51], s[50:51], exec
	s_or_b64 s[48:49], s[48:49], exec
	s_waitcnt vmcnt(0) lgkmcnt(0)
	v_cmp_le_i16_sdwa s[56:57], sext(v16), sext(v112) src0_sel:BYTE_0 src1_sel:BYTE_0
	v_cmp_lt_i16_sdwa s[54:55], sext(v16), sext(v112) src0_sel:BYTE_0 src1_sel:BYTE_0
	s_and_b64 s[56:57], s[56:57], s[12:13]
	s_or_b64 s[56:57], s[54:55], s[56:57]
	s_and_b64 s[54:55], s[56:57], exec
	v_cmp_eq_u16_sdwa s[58:59], v16, v112 src0_sel:BYTE_0 src1_sel:BYTE_0
	s_or_b64 s[52:53], s[52:53], s[54:55]
	s_and_saveexec_b64 s[54:55], s[58:59]
	s_cbranch_execz .LBB263_1068
; %bb.1070:                             ;   in Loop: Header=BB263_1069 Depth=1
	v_lshl_add_u64 v[22:23], v[22:23], 0, -1
	v_cmp_eq_u64_e64 s[12:13], 0, v[22:23]
	s_andn2_b64 s[50:51], s[50:51], exec
	s_and_b64 s[56:57], s[56:57], exec
	s_andn2_b64 s[48:49], s[48:49], exec
	s_and_b64 s[12:13], s[12:13], exec
	v_lshl_add_u64 v[18:19], v[18:19], 0, 1
	v_lshl_add_u64 v[20:21], v[20:21], 0, 1
	s_or_b64 s[50:51], s[50:51], s[56:57]
	s_andn2_b64 s[52:53], s[52:53], exec
	s_or_b64 s[48:49], s[48:49], s[12:13]
                                        ; implicit-def: $sgpr12_sgpr13
	s_branch .LBB263_1068
.LBB263_1071:
	s_or_b64 exec, exec, s[44:45]
	s_xor_b64 s[12:13], s[46:47], -1
	s_orn2_b64 s[12:13], s[12:13], exec
.LBB263_1072:
	s_or_b64 exec, exec, s[42:43]
	s_and_b64 s[42:43], s[12:13], exec
.LBB263_1073:
	s_or_b64 exec, exec, s[38:39]
	s_orn2_b64 s[38:39], s[42:43], exec
.LBB263_1074:
	s_or_b64 exec, exec, s[40:41]
	v_cndmask_b32_e64 v16, v68, v69, s[38:39]
	v_cndmask_b32_e64 v18, v99, v98, s[38:39]
	v_add_u32_e32 v19, 1, v16
	v_add_u32_e32 v16, -1, v18
	v_min_u32_e32 v16, v19, v16
	v_lshl_add_u64 v[16:17], v[16:17], 3, v[64:65]
	flat_load_dwordx2 v[16:17], v[16:17]
	v_cndmask_b32_e64 v115, v19, v68, s[38:39]
	v_cndmask_b32_e64 v112, v69, v19, s[38:39]
	v_cmp_lt_u32_e64 s[12:13], v115, v99
	s_waitcnt vmcnt(0) lgkmcnt(0)
	v_cndmask_b32_e64 v113, v17, v100, s[38:39]
	v_cndmask_b32_e64 v114, v16, v101, s[38:39]
	;; [unrolled: 1-line block ×4, first 2 shown]
	s_and_saveexec_b64 s[40:41], s[12:13]
	s_cbranch_execz .LBB263_1084
; %bb.1075:
	v_cmp_lt_u32_e64 s[12:13], v112, v98
	s_mov_b64 s[42:43], 0
	s_and_saveexec_b64 s[28:29], s[12:13]
	s_cbranch_execz .LBB263_1083
; %bb.1076:
	s_mov_b64 s[12:13], -1
	s_and_saveexec_b64 s[42:43], s[8:9]
	s_cbranch_execz .LBB263_1082
; %bb.1077:
	v_mad_u64_u32 v[16:17], s[12:13], v117, v6, v[8:9]
	v_mul_lo_u32 v18, v117, v7
	v_mul_lo_u32 v19, v116, v6
	v_add3_u32 v17, v19, v17, v18
	v_mad_u64_u32 v[18:19], s[12:13], v114, v6, v[8:9]
	v_mul_lo_u32 v20, v114, v7
	v_mul_lo_u32 v21, v113, v6
	v_add3_u32 v19, v21, v19, v20
	s_mov_b64 s[44:45], 0
	v_mov_b64_e32 v[20:21], v[6:7]
                                        ; implicit-def: $sgpr46_sgpr47
                                        ; implicit-def: $sgpr48_sgpr49
                                        ; implicit-def: $sgpr52_sgpr53
                                        ; implicit-def: $sgpr50_sgpr51
                                        ; implicit-def: $sgpr12_sgpr13
	s_branch .LBB263_1079
.LBB263_1078:                           ;   in Loop: Header=BB263_1079 Depth=1
	s_or_b64 exec, exec, s[54:55]
	s_and_b64 s[54:55], exec, s[48:49]
	s_or_b64 s[44:45], s[54:55], s[44:45]
	s_andn2_b64 s[12:13], s[12:13], exec
	s_and_b64 s[54:55], s[50:51], exec
	s_or_b64 s[12:13], s[12:13], s[54:55]
	s_andn2_b64 s[46:47], s[46:47], exec
	s_and_b64 s[54:55], s[52:53], exec
	s_or_b64 s[46:47], s[46:47], s[54:55]
	s_andn2_b64 exec, exec, s[44:45]
	s_cbranch_execz .LBB263_1081
.LBB263_1079:                           ; =>This Inner Loop Header: Depth=1
	flat_load_ubyte v22, v[18:19]
	flat_load_ubyte v23, v[16:17]
	s_andn2_b64 s[52:53], s[52:53], exec
	s_andn2_b64 s[50:51], s[50:51], exec
	s_or_b64 s[48:49], s[48:49], exec
	s_waitcnt vmcnt(0) lgkmcnt(0)
	v_cmp_le_i16_sdwa s[56:57], sext(v22), sext(v23) src0_sel:BYTE_0 src1_sel:BYTE_0
	v_cmp_lt_i16_sdwa s[54:55], sext(v22), sext(v23) src0_sel:BYTE_0 src1_sel:BYTE_0
	s_and_b64 s[56:57], s[56:57], s[12:13]
	s_or_b64 s[56:57], s[54:55], s[56:57]
	s_and_b64 s[54:55], s[56:57], exec
	v_cmp_eq_u16_sdwa s[58:59], v22, v23 src0_sel:BYTE_0 src1_sel:BYTE_0
	s_or_b64 s[52:53], s[52:53], s[54:55]
	s_and_saveexec_b64 s[54:55], s[58:59]
	s_cbranch_execz .LBB263_1078
; %bb.1080:                             ;   in Loop: Header=BB263_1079 Depth=1
	v_lshl_add_u64 v[20:21], v[20:21], 0, -1
	v_cmp_eq_u64_e64 s[12:13], 0, v[20:21]
	s_andn2_b64 s[50:51], s[50:51], exec
	s_and_b64 s[56:57], s[56:57], exec
	s_andn2_b64 s[48:49], s[48:49], exec
	s_and_b64 s[12:13], s[12:13], exec
	v_lshl_add_u64 v[16:17], v[16:17], 0, 1
	v_lshl_add_u64 v[18:19], v[18:19], 0, 1
	s_or_b64 s[50:51], s[50:51], s[56:57]
	s_andn2_b64 s[52:53], s[52:53], exec
	s_or_b64 s[48:49], s[48:49], s[12:13]
                                        ; implicit-def: $sgpr12_sgpr13
	s_branch .LBB263_1078
.LBB263_1081:
	s_or_b64 exec, exec, s[44:45]
	s_xor_b64 s[12:13], s[46:47], -1
	s_orn2_b64 s[12:13], s[12:13], exec
.LBB263_1082:
	s_or_b64 exec, exec, s[42:43]
	s_and_b64 s[42:43], s[12:13], exec
.LBB263_1083:
	s_or_b64 exec, exec, s[28:29]
	s_orn2_b64 s[28:29], s[42:43], exec
.LBB263_1084:
	s_or_b64 exec, exec, s[40:41]
	v_cndmask_b32_e64 v16, v115, v112, s[28:29]
	v_cndmask_b32_e64 v17, v99, v98, s[28:29]
	v_add_u32_e32 v118, 1, v16
	v_add_u32_e32 v16, -1, v17
	v_min_u32_e32 v16, v118, v16
	v_mov_b32_e32 v17, 0
	v_lshl_add_u64 v[16:17], v[16:17], 3, v[64:65]
	flat_load_dwordx2 v[68:69], v[16:17]
	v_cndmask_b32_e64 v21, v27, v80, s[16:17]
	v_cndmask_b32_e64 v27, v24, v26, s[22:23]
	;; [unrolled: 1-line block ×15, first 2 shown]
	v_cmp_lt_u32_e64 s[12:13], v70, v99
	s_waitcnt vmcnt(0) lgkmcnt(0)
	v_cndmask_b32_e64 v15, v116, v69, s[28:29]
	v_cndmask_b32_e64 v14, v117, v68, s[28:29]
	s_and_saveexec_b64 s[16:17], s[12:13]
	s_cbranch_execz .LBB263_1094
; %bb.1085:
	v_cndmask_b32_e64 v70, v112, v118, s[28:29]
	v_cndmask_b32_e64 v69, v69, v113, s[28:29]
	;; [unrolled: 1-line block ×3, first 2 shown]
	v_cmp_lt_u32_e64 s[12:13], v70, v98
	s_and_saveexec_b64 s[20:21], s[12:13]
	s_cbranch_execz .LBB263_1093
; %bb.1086:
	s_and_saveexec_b64 s[22:23], s[8:9]
	s_cbranch_execz .LBB263_1092
; %bb.1087:
	v_mad_u64_u32 v[70:71], s[12:13], v14, v6, v[8:9]
	v_mul_lo_u32 v80, v14, v7
	v_mul_lo_u32 v81, v15, v6
	v_add3_u32 v71, v81, v71, v80
	v_mad_u64_u32 v[80:81], s[12:13], v68, v6, v[8:9]
	v_mul_lo_u32 v82, v68, v7
	v_mul_lo_u32 v83, v69, v6
	v_add3_u32 v81, v83, v81, v82
	s_mov_b64 s[24:25], 0
	v_mov_b64_e32 v[82:83], v[6:7]
                                        ; implicit-def: $sgpr26_sgpr27
                                        ; implicit-def: $sgpr28_sgpr29
                                        ; implicit-def: $sgpr40_sgpr41
                                        ; implicit-def: $sgpr38_sgpr39
                                        ; implicit-def: $sgpr12_sgpr13
	s_branch .LBB263_1089
.LBB263_1088:                           ;   in Loop: Header=BB263_1089 Depth=1
	s_or_b64 exec, exec, s[42:43]
	s_and_b64 s[42:43], exec, s[28:29]
	s_or_b64 s[24:25], s[42:43], s[24:25]
	s_andn2_b64 s[12:13], s[12:13], exec
	s_and_b64 s[42:43], s[38:39], exec
	s_or_b64 s[12:13], s[12:13], s[42:43]
	s_andn2_b64 s[26:27], s[26:27], exec
	s_and_b64 s[42:43], s[40:41], exec
	s_or_b64 s[26:27], s[26:27], s[42:43]
	s_andn2_b64 exec, exec, s[24:25]
	s_cbranch_execz .LBB263_1091
.LBB263_1089:                           ; =>This Inner Loop Header: Depth=1
	flat_load_ubyte v84, v[80:81]
	flat_load_ubyte v85, v[70:71]
	s_andn2_b64 s[40:41], s[40:41], exec
	s_andn2_b64 s[38:39], s[38:39], exec
	s_or_b64 s[28:29], s[28:29], exec
	s_waitcnt vmcnt(0) lgkmcnt(0)
	v_cmp_le_i16_sdwa s[44:45], sext(v84), sext(v85) src0_sel:BYTE_0 src1_sel:BYTE_0
	v_cmp_lt_i16_sdwa s[42:43], sext(v84), sext(v85) src0_sel:BYTE_0 src1_sel:BYTE_0
	s_and_b64 s[44:45], s[44:45], s[12:13]
	s_or_b64 s[44:45], s[42:43], s[44:45]
	s_and_b64 s[42:43], s[44:45], exec
	v_cmp_eq_u16_sdwa s[46:47], v84, v85 src0_sel:BYTE_0 src1_sel:BYTE_0
	s_or_b64 s[40:41], s[40:41], s[42:43]
	s_and_saveexec_b64 s[42:43], s[46:47]
	s_cbranch_execz .LBB263_1088
; %bb.1090:                             ;   in Loop: Header=BB263_1089 Depth=1
	v_lshl_add_u64 v[82:83], v[82:83], 0, -1
	v_cmp_eq_u64_e64 s[12:13], 0, v[82:83]
	s_andn2_b64 s[38:39], s[38:39], exec
	s_and_b64 s[44:45], s[44:45], exec
	s_andn2_b64 s[28:29], s[28:29], exec
	s_and_b64 s[12:13], s[12:13], exec
	v_lshl_add_u64 v[70:71], v[70:71], 0, 1
	v_lshl_add_u64 v[80:81], v[80:81], 0, 1
	s_or_b64 s[38:39], s[38:39], s[44:45]
	s_andn2_b64 s[40:41], s[40:41], exec
	s_or_b64 s[28:29], s[28:29], s[12:13]
                                        ; implicit-def: $sgpr12_sgpr13
	s_branch .LBB263_1088
.LBB263_1091:
	s_or_b64 exec, exec, s[24:25]
	v_cndmask_b32_e64 v15, v15, v69, s[26:27]
	v_cndmask_b32_e64 v14, v14, v68, s[26:27]
.LBB263_1092:
	s_or_b64 exec, exec, s[22:23]
	v_mov_b64_e32 v[68:69], v[14:15]
.LBB263_1093:
	s_or_b64 exec, exec, s[20:21]
	v_mov_b64_e32 v[14:15], v[68:69]
.LBB263_1094:
	s_or_b64 exec, exec, s[16:17]
.LBB263_1095:
	s_or_b64 exec, exec, s[18:19]
	v_and_b32_e32 v100, 0x3e0, v31
	v_or_b32_e32 v68, 16, v100
	v_min_u32_e32 v98, v1, v68
	v_add_u32_e32 v68, 16, v98
	v_min_u32_e32 v99, v1, v68
	v_and_b32_e32 v68, 24, v31
	v_min_u32_e32 v101, v1, v68
	v_sub_u32_e32 v68, v98, v100
	v_sub_u32_e32 v69, v99, v98
	v_sub_u32_e64 v102, v101, v69 clamp
	v_min_u32_e32 v103, v101, v68
	v_cmp_lt_u32_e64 s[12:13], v102, v103
	; wave barrier
	flat_store_dwordx4 v[66:67], v[24:27]
	flat_store_dwordx4 v[66:67], v[20:23] offset:16
	flat_store_dwordx4 v[66:67], v[16:19] offset:32
	;; [unrolled: 1-line block ×3, first 2 shown]
	; wave barrier
	s_and_saveexec_b64 s[16:17], s[12:13]
	s_cbranch_execz .LBB263_1105
; %bb.1096:
	v_lshlrev_b32_e32 v68, 3, v100
	v_mov_b32_e32 v69, 0
	v_lshl_add_u64 v[70:71], v[64:65], 0, v[68:69]
	v_lshlrev_b32_e32 v68, 3, v98
	v_lshl_add_u64 v[80:81], v[64:65], 0, v[68:69]
	s_mov_b64 s[18:19], 0
	s_branch .LBB263_1099
.LBB263_1097:                           ;   in Loop: Header=BB263_1099 Depth=1
	s_or_b64 exec, exec, s[22:23]
	s_and_b64 s[12:13], s[24:25], exec
.LBB263_1098:                           ;   in Loop: Header=BB263_1099 Depth=1
	s_or_b64 exec, exec, s[20:21]
	v_add_u32_e32 v68, 1, v82
	v_cndmask_b32_e64 v103, v103, v82, s[12:13]
	v_cndmask_b32_e64 v102, v68, v102, s[12:13]
	v_cmp_ge_u32_e64 s[12:13], v102, v103
	s_or_b64 s[18:19], s[12:13], s[18:19]
	s_andn2_b64 exec, exec, s[18:19]
	s_cbranch_execz .LBB263_1104
.LBB263_1099:                           ; =>This Loop Header: Depth=1
                                        ;     Child Loop BB263_1102 Depth 2
	v_add_u32_e32 v68, v103, v102
	v_lshrrev_b32_e32 v82, 1, v68
	s_mov_b64 s[12:13], 0
	s_and_saveexec_b64 s[20:21], s[8:9]
	s_cbranch_execz .LBB263_1098
; %bb.1100:                             ;   in Loop: Header=BB263_1099 Depth=1
	v_mov_b32_e32 v83, v69
	v_xad_u32 v68, v82, -1, v101
	v_lshl_add_u64 v[84:85], v[82:83], 3, v[70:71]
	v_lshl_add_u64 v[86:87], v[68:69], 3, v[80:81]
	flat_load_dwordx2 v[84:85], v[84:85]
	s_mov_b64 s[22:23], 0
	flat_load_dwordx2 v[86:87], v[86:87]
                                        ; implicit-def: $sgpr24_sgpr25
                                        ; implicit-def: $sgpr26_sgpr27
                                        ; implicit-def: $sgpr28_sgpr29
                                        ; implicit-def: $sgpr38_sgpr39
                                        ; implicit-def: $sgpr12_sgpr13
	s_waitcnt vmcnt(0) lgkmcnt(0)
	v_mul_lo_u32 v68, v84, v7
	v_mul_lo_u32 v83, v85, v6
	v_mad_u64_u32 v[84:85], s[40:41], v84, v6, v[8:9]
	v_mul_lo_u32 v96, v86, v7
	v_mul_lo_u32 v97, v87, v6
	v_mad_u64_u32 v[86:87], s[40:41], v86, v6, v[8:9]
	v_add3_u32 v85, v83, v85, v68
	v_add3_u32 v87, v97, v87, v96
	v_mov_b64_e32 v[96:97], v[6:7]
	s_branch .LBB263_1102
.LBB263_1101:                           ;   in Loop: Header=BB263_1102 Depth=2
	s_or_b64 exec, exec, s[40:41]
	s_and_b64 s[40:41], exec, s[26:27]
	s_or_b64 s[22:23], s[40:41], s[22:23]
	s_andn2_b64 s[12:13], s[12:13], exec
	s_and_b64 s[40:41], s[28:29], exec
	s_or_b64 s[12:13], s[12:13], s[40:41]
	s_andn2_b64 s[24:25], s[24:25], exec
	s_and_b64 s[40:41], s[38:39], exec
	s_or_b64 s[24:25], s[24:25], s[40:41]
	s_andn2_b64 exec, exec, s[22:23]
	s_cbranch_execz .LBB263_1097
.LBB263_1102:                           ;   Parent Loop BB263_1099 Depth=1
                                        ; =>  This Inner Loop Header: Depth=2
	flat_load_ubyte v68, v[86:87]
	flat_load_ubyte v83, v[84:85]
	s_andn2_b64 s[38:39], s[38:39], exec
	s_andn2_b64 s[28:29], s[28:29], exec
	s_or_b64 s[26:27], s[26:27], exec
	s_waitcnt vmcnt(0) lgkmcnt(0)
	v_cmp_le_i16_sdwa s[42:43], sext(v68), sext(v83) src0_sel:BYTE_0 src1_sel:BYTE_0
	v_cmp_lt_i16_sdwa s[40:41], sext(v68), sext(v83) src0_sel:BYTE_0 src1_sel:BYTE_0
	s_and_b64 s[42:43], s[42:43], s[12:13]
	s_or_b64 s[42:43], s[40:41], s[42:43]
	s_and_b64 s[40:41], s[42:43], exec
	v_cmp_eq_u16_sdwa s[44:45], v68, v83 src0_sel:BYTE_0 src1_sel:BYTE_0
	s_or_b64 s[38:39], s[38:39], s[40:41]
	s_and_saveexec_b64 s[40:41], s[44:45]
	s_cbranch_execz .LBB263_1101
; %bb.1103:                             ;   in Loop: Header=BB263_1102 Depth=2
	v_lshl_add_u64 v[96:97], v[96:97], 0, -1
	v_cmp_eq_u64_e64 s[12:13], 0, v[96:97]
	s_andn2_b64 s[28:29], s[28:29], exec
	s_and_b64 s[42:43], s[42:43], exec
	s_andn2_b64 s[26:27], s[26:27], exec
	s_and_b64 s[12:13], s[12:13], exec
	v_lshl_add_u64 v[84:85], v[84:85], 0, 1
	v_lshl_add_u64 v[86:87], v[86:87], 0, 1
	s_andn2_b64 s[38:39], s[38:39], exec
	s_or_b64 s[28:29], s[28:29], s[42:43]
	s_or_b64 s[26:27], s[26:27], s[12:13]
                                        ; implicit-def: $sgpr12_sgpr13
	s_branch .LBB263_1101
.LBB263_1104:
	s_or_b64 exec, exec, s[18:19]
.LBB263_1105:
	s_or_b64 exec, exec, s[16:17]
	v_add_u32_e32 v69, v98, v101
	v_add_u32_e32 v68, v102, v100
	v_sub_u32_e32 v70, v69, v102
	v_cmp_le_u32_e64 s[12:13], v68, v98
	v_cmp_le_u32_e64 s[16:17], v70, v99
	s_or_b64 s[12:13], s[12:13], s[16:17]
	s_and_saveexec_b64 s[18:19], s[12:13]
	s_cbranch_execz .LBB263_1189
; %bb.1106:
	v_cmp_ge_u32_e64 s[16:17], v68, v98
	v_cmp_lt_u32_e64 s[12:13], v68, v98
                                        ; implicit-def: $vgpr12_vgpr13
	s_and_saveexec_b64 s[20:21], s[12:13]
	s_cbranch_execz .LBB263_1108
; %bb.1107:
	v_mov_b32_e32 v69, 0
	v_lshl_add_u64 v[12:13], v[68:69], 3, v[64:65]
	flat_load_dwordx2 v[12:13], v[12:13]
.LBB263_1108:
	s_or_b64 exec, exec, s[20:21]
	v_cmp_ge_u32_e64 s[20:21], v70, v99
	v_cmp_lt_u32_e64 s[12:13], v70, v99
                                        ; implicit-def: $vgpr14_vgpr15
	s_and_saveexec_b64 s[22:23], s[12:13]
	s_cbranch_execz .LBB263_1110
; %bb.1109:
	v_mov_b32_e32 v71, 0
	v_lshl_add_u64 v[14:15], v[70:71], 3, v[64:65]
	flat_load_dwordx2 v[14:15], v[14:15]
.LBB263_1110:
	s_or_b64 exec, exec, s[22:23]
	s_or_b64 s[12:13], s[16:17], s[20:21]
	s_xor_b64 s[12:13], s[12:13], -1
	s_and_saveexec_b64 s[16:17], s[12:13]
	s_cbranch_execz .LBB263_1118
; %bb.1111:
	s_mov_b64 s[12:13], 0
	s_and_saveexec_b64 s[22:23], s[8:9]
	s_cbranch_execz .LBB263_1117
; %bb.1112:
	s_waitcnt vmcnt(0) lgkmcnt(0)
	v_mad_u64_u32 v[16:17], s[12:13], v12, v6, v[8:9]
	v_mul_lo_u32 v18, v12, v7
	v_mul_lo_u32 v19, v13, v6
	v_add3_u32 v17, v19, v17, v18
	v_mad_u64_u32 v[18:19], s[12:13], v14, v6, v[8:9]
	v_mul_lo_u32 v20, v14, v7
	v_mul_lo_u32 v21, v15, v6
	v_add3_u32 v19, v21, v19, v20
	s_mov_b64 s[24:25], 0
	v_mov_b64_e32 v[20:21], v[6:7]
                                        ; implicit-def: $sgpr26_sgpr27
                                        ; implicit-def: $sgpr28_sgpr29
                                        ; implicit-def: $sgpr38_sgpr39
                                        ; implicit-def: $sgpr40_sgpr41
                                        ; implicit-def: $sgpr12_sgpr13
	s_branch .LBB263_1114
.LBB263_1113:                           ;   in Loop: Header=BB263_1114 Depth=1
	s_or_b64 exec, exec, s[42:43]
	s_and_b64 s[42:43], exec, s[28:29]
	s_or_b64 s[24:25], s[42:43], s[24:25]
	s_andn2_b64 s[12:13], s[12:13], exec
	s_and_b64 s[42:43], s[38:39], exec
	s_or_b64 s[12:13], s[12:13], s[42:43]
	s_andn2_b64 s[26:27], s[26:27], exec
	s_and_b64 s[42:43], s[40:41], exec
	s_or_b64 s[26:27], s[26:27], s[42:43]
	s_andn2_b64 exec, exec, s[24:25]
	s_cbranch_execz .LBB263_1116
.LBB263_1114:                           ; =>This Inner Loop Header: Depth=1
	flat_load_ubyte v22, v[18:19]
	flat_load_ubyte v23, v[16:17]
	s_andn2_b64 s[40:41], s[40:41], exec
	s_andn2_b64 s[38:39], s[38:39], exec
	s_or_b64 s[28:29], s[28:29], exec
	s_waitcnt vmcnt(0) lgkmcnt(0)
	v_cmp_le_i16_sdwa s[44:45], sext(v22), sext(v23) src0_sel:BYTE_0 src1_sel:BYTE_0
	v_cmp_lt_i16_sdwa s[42:43], sext(v22), sext(v23) src0_sel:BYTE_0 src1_sel:BYTE_0
	s_and_b64 s[44:45], s[44:45], s[12:13]
	s_or_b64 s[44:45], s[42:43], s[44:45]
	s_and_b64 s[42:43], s[44:45], exec
	v_cmp_eq_u16_sdwa s[46:47], v22, v23 src0_sel:BYTE_0 src1_sel:BYTE_0
	s_or_b64 s[40:41], s[40:41], s[42:43]
	s_and_saveexec_b64 s[42:43], s[46:47]
	s_cbranch_execz .LBB263_1113
; %bb.1115:                             ;   in Loop: Header=BB263_1114 Depth=1
	v_lshl_add_u64 v[20:21], v[20:21], 0, -1
	v_cmp_eq_u64_e64 s[12:13], 0, v[20:21]
	s_andn2_b64 s[38:39], s[38:39], exec
	s_and_b64 s[44:45], s[44:45], exec
	s_andn2_b64 s[28:29], s[28:29], exec
	s_and_b64 s[12:13], s[12:13], exec
	v_lshl_add_u64 v[16:17], v[16:17], 0, 1
	v_lshl_add_u64 v[18:19], v[18:19], 0, 1
	s_andn2_b64 s[40:41], s[40:41], exec
	s_or_b64 s[38:39], s[38:39], s[44:45]
	s_or_b64 s[28:29], s[28:29], s[12:13]
                                        ; implicit-def: $sgpr12_sgpr13
	s_branch .LBB263_1113
.LBB263_1116:
	s_or_b64 exec, exec, s[24:25]
	s_and_b64 s[12:13], s[26:27], exec
.LBB263_1117:
	s_or_b64 exec, exec, s[22:23]
	s_xor_b64 s[12:13], s[12:13], -1
	s_andn2_b64 s[20:21], s[20:21], exec
	s_and_b64 s[12:13], s[12:13], exec
	s_or_b64 s[20:21], s[20:21], s[12:13]
.LBB263_1118:
	s_or_b64 exec, exec, s[16:17]
	v_cndmask_b32_e64 v16, v70, v68, s[20:21]
	v_cndmask_b32_e64 v17, v99, v98, s[20:21]
	v_add_u32_e32 v20, 1, v16
	v_add_u32_e32 v16, -1, v17
	v_min_u32_e32 v16, v20, v16
	v_mov_b32_e32 v17, 0
	v_lshl_add_u64 v[18:19], v[16:17], 3, v[64:65]
	flat_load_dwordx2 v[18:19], v[18:19]
	v_cndmask_b32_e64 v27, v20, v70, s[20:21]
	s_mov_b64 s[16:17], -1
	v_cndmask_b32_e64 v68, v68, v20, s[20:21]
	v_cmp_lt_u32_e64 s[12:13], v27, v99
	s_mov_b64 s[22:23], -1
	s_waitcnt vmcnt(0) lgkmcnt(0)
	v_cndmask_b32_e64 v24, v19, v15, s[20:21]
	v_cndmask_b32_e64 v25, v18, v14, s[20:21]
	;; [unrolled: 1-line block ×4, first 2 shown]
	s_and_saveexec_b64 s[24:25], s[12:13]
	s_cbranch_execz .LBB263_1128
; %bb.1119:
	v_cmp_lt_u32_e64 s[12:13], v68, v98
	s_mov_b64 s[26:27], 0
	s_and_saveexec_b64 s[22:23], s[12:13]
	s_cbranch_execz .LBB263_1127
; %bb.1120:
	s_mov_b64 s[12:13], 0
	s_and_saveexec_b64 s[26:27], s[8:9]
	s_cbranch_execz .LBB263_1126
; %bb.1121:
	v_mad_u64_u32 v[18:19], s[12:13], v70, v6, v[8:9]
	v_mul_lo_u32 v16, v70, v7
	v_mul_lo_u32 v20, v26, v6
	v_add3_u32 v19, v20, v19, v16
	v_mad_u64_u32 v[20:21], s[12:13], v25, v6, v[8:9]
	v_mul_lo_u32 v16, v25, v7
	v_mul_lo_u32 v22, v24, v6
	v_add3_u32 v21, v22, v21, v16
	s_mov_b64 s[28:29], 0
	v_mov_b64_e32 v[22:23], v[6:7]
                                        ; implicit-def: $sgpr38_sgpr39
                                        ; implicit-def: $sgpr40_sgpr41
                                        ; implicit-def: $sgpr42_sgpr43
                                        ; implicit-def: $sgpr44_sgpr45
                                        ; implicit-def: $sgpr12_sgpr13
	s_branch .LBB263_1123
.LBB263_1122:                           ;   in Loop: Header=BB263_1123 Depth=1
	s_or_b64 exec, exec, s[46:47]
	s_and_b64 s[46:47], exec, s[40:41]
	s_or_b64 s[28:29], s[46:47], s[28:29]
	s_andn2_b64 s[12:13], s[12:13], exec
	s_and_b64 s[46:47], s[42:43], exec
	s_or_b64 s[12:13], s[12:13], s[46:47]
	s_andn2_b64 s[38:39], s[38:39], exec
	s_and_b64 s[46:47], s[44:45], exec
	s_or_b64 s[38:39], s[38:39], s[46:47]
	s_andn2_b64 exec, exec, s[28:29]
	s_cbranch_execz .LBB263_1125
.LBB263_1123:                           ; =>This Inner Loop Header: Depth=1
	flat_load_ubyte v16, v[20:21]
	flat_load_ubyte v69, v[18:19]
	s_andn2_b64 s[44:45], s[44:45], exec
	s_andn2_b64 s[42:43], s[42:43], exec
	s_or_b64 s[40:41], s[40:41], exec
	s_waitcnt vmcnt(0) lgkmcnt(0)
	v_cmp_le_i16_sdwa s[48:49], sext(v16), sext(v69) src0_sel:BYTE_0 src1_sel:BYTE_0
	v_cmp_lt_i16_sdwa s[46:47], sext(v16), sext(v69) src0_sel:BYTE_0 src1_sel:BYTE_0
	s_and_b64 s[48:49], s[48:49], s[12:13]
	s_or_b64 s[48:49], s[46:47], s[48:49]
	s_and_b64 s[46:47], s[48:49], exec
	v_cmp_eq_u16_sdwa s[50:51], v16, v69 src0_sel:BYTE_0 src1_sel:BYTE_0
	s_or_b64 s[44:45], s[44:45], s[46:47]
	s_and_saveexec_b64 s[46:47], s[50:51]
	s_cbranch_execz .LBB263_1122
; %bb.1124:                             ;   in Loop: Header=BB263_1123 Depth=1
	v_lshl_add_u64 v[22:23], v[22:23], 0, -1
	v_cmp_eq_u64_e64 s[12:13], 0, v[22:23]
	s_andn2_b64 s[42:43], s[42:43], exec
	s_and_b64 s[48:49], s[48:49], exec
	s_andn2_b64 s[40:41], s[40:41], exec
	s_and_b64 s[12:13], s[12:13], exec
	v_lshl_add_u64 v[18:19], v[18:19], 0, 1
	v_lshl_add_u64 v[20:21], v[20:21], 0, 1
	s_andn2_b64 s[44:45], s[44:45], exec
	s_or_b64 s[42:43], s[42:43], s[48:49]
	s_or_b64 s[40:41], s[40:41], s[12:13]
                                        ; implicit-def: $sgpr12_sgpr13
	s_branch .LBB263_1122
.LBB263_1125:
	s_or_b64 exec, exec, s[28:29]
	s_and_b64 s[12:13], s[38:39], exec
.LBB263_1126:
	s_or_b64 exec, exec, s[26:27]
	s_xor_b64 s[12:13], s[12:13], -1
	s_and_b64 s[26:27], s[12:13], exec
.LBB263_1127:
	s_or_b64 exec, exec, s[22:23]
	s_orn2_b64 s[22:23], s[26:27], exec
.LBB263_1128:
	s_or_b64 exec, exec, s[24:25]
	v_cndmask_b32_e64 v16, v27, v68, s[22:23]
	v_cndmask_b32_e64 v18, v99, v98, s[22:23]
	v_add_u32_e32 v19, 1, v16
	v_add_u32_e32 v16, -1, v18
	v_min_u32_e32 v16, v19, v16
	v_lshl_add_u64 v[16:17], v[16:17], 3, v[64:65]
	flat_load_dwordx2 v[16:17], v[16:17]
	v_cndmask_b32_e64 v22, v19, v27, s[22:23]
	v_cndmask_b32_e64 v23, v68, v19, s[22:23]
	v_cmp_lt_u32_e64 s[12:13], v22, v99
	s_waitcnt vmcnt(0) lgkmcnt(0)
	v_cndmask_b32_e64 v27, v17, v24, s[22:23]
	v_cndmask_b32_e64 v71, v16, v25, s[22:23]
	;; [unrolled: 1-line block ×4, first 2 shown]
	s_and_saveexec_b64 s[24:25], s[12:13]
	s_cbranch_execz .LBB263_1138
; %bb.1129:
	v_cmp_lt_u32_e64 s[12:13], v23, v98
	s_mov_b64 s[26:27], 0
	s_and_saveexec_b64 s[16:17], s[12:13]
	s_cbranch_execz .LBB263_1137
; %bb.1130:
	s_mov_b64 s[12:13], 0
	s_and_saveexec_b64 s[26:27], s[8:9]
	s_cbranch_execz .LBB263_1136
; %bb.1131:
	v_mad_u64_u32 v[16:17], s[12:13], v81, v6, v[8:9]
	v_mul_lo_u32 v18, v81, v7
	v_mul_lo_u32 v19, v80, v6
	v_add3_u32 v17, v19, v17, v18
	v_mad_u64_u32 v[18:19], s[12:13], v71, v6, v[8:9]
	v_mul_lo_u32 v20, v71, v7
	v_mul_lo_u32 v21, v27, v6
	v_add3_u32 v19, v21, v19, v20
	s_mov_b64 s[28:29], 0
	v_mov_b64_e32 v[20:21], v[6:7]
                                        ; implicit-def: $sgpr38_sgpr39
                                        ; implicit-def: $sgpr40_sgpr41
                                        ; implicit-def: $sgpr42_sgpr43
                                        ; implicit-def: $sgpr44_sgpr45
                                        ; implicit-def: $sgpr12_sgpr13
	s_branch .LBB263_1133
.LBB263_1132:                           ;   in Loop: Header=BB263_1133 Depth=1
	s_or_b64 exec, exec, s[46:47]
	s_and_b64 s[46:47], exec, s[40:41]
	s_or_b64 s[28:29], s[46:47], s[28:29]
	s_andn2_b64 s[12:13], s[12:13], exec
	s_and_b64 s[46:47], s[42:43], exec
	s_or_b64 s[12:13], s[12:13], s[46:47]
	s_andn2_b64 s[38:39], s[38:39], exec
	s_and_b64 s[46:47], s[44:45], exec
	s_or_b64 s[38:39], s[38:39], s[46:47]
	s_andn2_b64 exec, exec, s[28:29]
	s_cbranch_execz .LBB263_1135
.LBB263_1133:                           ; =>This Inner Loop Header: Depth=1
	flat_load_ubyte v68, v[18:19]
	flat_load_ubyte v69, v[16:17]
	s_andn2_b64 s[44:45], s[44:45], exec
	s_andn2_b64 s[42:43], s[42:43], exec
	s_or_b64 s[40:41], s[40:41], exec
	s_waitcnt vmcnt(0) lgkmcnt(0)
	v_cmp_le_i16_sdwa s[48:49], sext(v68), sext(v69) src0_sel:BYTE_0 src1_sel:BYTE_0
	v_cmp_lt_i16_sdwa s[46:47], sext(v68), sext(v69) src0_sel:BYTE_0 src1_sel:BYTE_0
	s_and_b64 s[48:49], s[48:49], s[12:13]
	s_or_b64 s[48:49], s[46:47], s[48:49]
	s_and_b64 s[46:47], s[48:49], exec
	v_cmp_eq_u16_sdwa s[50:51], v68, v69 src0_sel:BYTE_0 src1_sel:BYTE_0
	s_or_b64 s[44:45], s[44:45], s[46:47]
	s_and_saveexec_b64 s[46:47], s[50:51]
	s_cbranch_execz .LBB263_1132
; %bb.1134:                             ;   in Loop: Header=BB263_1133 Depth=1
	v_lshl_add_u64 v[20:21], v[20:21], 0, -1
	v_cmp_eq_u64_e64 s[12:13], 0, v[20:21]
	s_andn2_b64 s[42:43], s[42:43], exec
	s_and_b64 s[48:49], s[48:49], exec
	s_andn2_b64 s[40:41], s[40:41], exec
	s_and_b64 s[12:13], s[12:13], exec
	v_lshl_add_u64 v[16:17], v[16:17], 0, 1
	v_lshl_add_u64 v[18:19], v[18:19], 0, 1
	s_andn2_b64 s[44:45], s[44:45], exec
	s_or_b64 s[42:43], s[42:43], s[48:49]
	s_or_b64 s[40:41], s[40:41], s[12:13]
                                        ; implicit-def: $sgpr12_sgpr13
	s_branch .LBB263_1132
.LBB263_1135:
	s_or_b64 exec, exec, s[28:29]
	s_and_b64 s[12:13], s[38:39], exec
.LBB263_1136:
	s_or_b64 exec, exec, s[26:27]
	s_xor_b64 s[12:13], s[12:13], -1
	s_and_b64 s[26:27], s[12:13], exec
.LBB263_1137:
	s_or_b64 exec, exec, s[16:17]
	s_orn2_b64 s[16:17], s[26:27], exec
.LBB263_1138:
	s_or_b64 exec, exec, s[24:25]
	v_cndmask_b32_e64 v16, v22, v23, s[16:17]
	v_cndmask_b32_e64 v17, v99, v98, s[16:17]
	v_add_u32_e32 v20, 1, v16
	v_add_u32_e32 v16, -1, v17
	v_min_u32_e32 v16, v20, v16
	v_mov_b32_e32 v17, 0
	v_lshl_add_u64 v[18:19], v[16:17], 3, v[64:65]
	flat_load_dwordx2 v[18:19], v[18:19]
	v_cndmask_b32_e64 v68, v20, v22, s[16:17]
	s_mov_b64 s[24:25], -1
	v_cndmask_b32_e64 v69, v23, v20, s[16:17]
	v_cmp_lt_u32_e64 s[12:13], v68, v99
	s_mov_b64 s[26:27], -1
	s_waitcnt vmcnt(0) lgkmcnt(0)
	v_cndmask_b32_e64 v82, v19, v27, s[16:17]
	v_cndmask_b32_e64 v83, v18, v71, s[16:17]
	;; [unrolled: 1-line block ×4, first 2 shown]
	s_and_saveexec_b64 s[28:29], s[12:13]
	s_cbranch_execz .LBB263_1148
; %bb.1139:
	v_cmp_lt_u32_e64 s[12:13], v69, v98
	s_mov_b64 s[38:39], 0
	s_and_saveexec_b64 s[26:27], s[12:13]
	s_cbranch_execz .LBB263_1147
; %bb.1140:
	s_mov_b64 s[12:13], -1
	s_and_saveexec_b64 s[38:39], s[8:9]
	s_cbranch_execz .LBB263_1146
; %bb.1141:
	v_mad_u64_u32 v[18:19], s[12:13], v85, v6, v[8:9]
	v_mul_lo_u32 v16, v85, v7
	v_mul_lo_u32 v20, v84, v6
	v_add3_u32 v19, v20, v19, v16
	v_mad_u64_u32 v[20:21], s[12:13], v83, v6, v[8:9]
	v_mul_lo_u32 v16, v83, v7
	v_mul_lo_u32 v22, v82, v6
	v_add3_u32 v21, v22, v21, v16
	s_mov_b64 s[40:41], 0
	v_mov_b64_e32 v[22:23], v[6:7]
                                        ; implicit-def: $sgpr42_sgpr43
                                        ; implicit-def: $sgpr44_sgpr45
                                        ; implicit-def: $sgpr48_sgpr49
                                        ; implicit-def: $sgpr46_sgpr47
                                        ; implicit-def: $sgpr12_sgpr13
	s_branch .LBB263_1143
.LBB263_1142:                           ;   in Loop: Header=BB263_1143 Depth=1
	s_or_b64 exec, exec, s[50:51]
	s_and_b64 s[50:51], exec, s[44:45]
	s_or_b64 s[40:41], s[50:51], s[40:41]
	s_andn2_b64 s[12:13], s[12:13], exec
	s_and_b64 s[50:51], s[46:47], exec
	s_or_b64 s[12:13], s[12:13], s[50:51]
	s_andn2_b64 s[42:43], s[42:43], exec
	s_and_b64 s[50:51], s[48:49], exec
	s_or_b64 s[42:43], s[42:43], s[50:51]
	s_andn2_b64 exec, exec, s[40:41]
	s_cbranch_execz .LBB263_1145
.LBB263_1143:                           ; =>This Inner Loop Header: Depth=1
	flat_load_ubyte v16, v[20:21]
	flat_load_ubyte v86, v[18:19]
	s_andn2_b64 s[48:49], s[48:49], exec
	s_andn2_b64 s[46:47], s[46:47], exec
	s_or_b64 s[44:45], s[44:45], exec
	s_waitcnt vmcnt(0) lgkmcnt(0)
	v_cmp_le_i16_sdwa s[52:53], sext(v16), sext(v86) src0_sel:BYTE_0 src1_sel:BYTE_0
	v_cmp_lt_i16_sdwa s[50:51], sext(v16), sext(v86) src0_sel:BYTE_0 src1_sel:BYTE_0
	s_and_b64 s[52:53], s[52:53], s[12:13]
	s_or_b64 s[52:53], s[50:51], s[52:53]
	s_and_b64 s[50:51], s[52:53], exec
	v_cmp_eq_u16_sdwa s[54:55], v16, v86 src0_sel:BYTE_0 src1_sel:BYTE_0
	s_or_b64 s[48:49], s[48:49], s[50:51]
	s_and_saveexec_b64 s[50:51], s[54:55]
	s_cbranch_execz .LBB263_1142
; %bb.1144:                             ;   in Loop: Header=BB263_1143 Depth=1
	v_lshl_add_u64 v[22:23], v[22:23], 0, -1
	v_cmp_eq_u64_e64 s[12:13], 0, v[22:23]
	s_andn2_b64 s[46:47], s[46:47], exec
	s_and_b64 s[52:53], s[52:53], exec
	s_andn2_b64 s[44:45], s[44:45], exec
	s_and_b64 s[12:13], s[12:13], exec
	v_lshl_add_u64 v[18:19], v[18:19], 0, 1
	v_lshl_add_u64 v[20:21], v[20:21], 0, 1
	s_or_b64 s[46:47], s[46:47], s[52:53]
	s_andn2_b64 s[48:49], s[48:49], exec
	s_or_b64 s[44:45], s[44:45], s[12:13]
                                        ; implicit-def: $sgpr12_sgpr13
	s_branch .LBB263_1142
.LBB263_1145:
	s_or_b64 exec, exec, s[40:41]
	s_xor_b64 s[12:13], s[42:43], -1
	s_orn2_b64 s[12:13], s[12:13], exec
.LBB263_1146:
	s_or_b64 exec, exec, s[38:39]
	s_and_b64 s[38:39], s[12:13], exec
.LBB263_1147:
	s_or_b64 exec, exec, s[26:27]
	s_orn2_b64 s[26:27], s[38:39], exec
.LBB263_1148:
	s_or_b64 exec, exec, s[28:29]
	v_cndmask_b32_e64 v16, v68, v69, s[26:27]
	v_cndmask_b32_e64 v18, v99, v98, s[26:27]
	v_add_u32_e32 v19, 1, v16
	v_add_u32_e32 v16, -1, v18
	v_min_u32_e32 v16, v19, v16
	v_lshl_add_u64 v[16:17], v[16:17], 3, v[64:65]
	flat_load_dwordx2 v[16:17], v[16:17]
	v_cndmask_b32_e64 v22, v19, v68, s[26:27]
	v_cndmask_b32_e64 v23, v69, v19, s[26:27]
	v_cmp_lt_u32_e64 s[12:13], v22, v99
	s_waitcnt vmcnt(0) lgkmcnt(0)
	v_cndmask_b32_e64 v86, v17, v82, s[26:27]
	v_cndmask_b32_e64 v87, v16, v83, s[26:27]
	;; [unrolled: 1-line block ×4, first 2 shown]
	s_and_saveexec_b64 s[28:29], s[12:13]
	s_cbranch_execz .LBB263_1158
; %bb.1149:
	v_cmp_lt_u32_e64 s[12:13], v23, v98
	s_mov_b64 s[38:39], 0
	s_and_saveexec_b64 s[24:25], s[12:13]
	s_cbranch_execz .LBB263_1157
; %bb.1150:
	s_mov_b64 s[12:13], -1
	s_and_saveexec_b64 s[38:39], s[8:9]
	s_cbranch_execz .LBB263_1156
; %bb.1151:
	v_mad_u64_u32 v[16:17], s[12:13], v97, v6, v[8:9]
	v_mul_lo_u32 v18, v97, v7
	v_mul_lo_u32 v19, v96, v6
	v_add3_u32 v17, v19, v17, v18
	v_mad_u64_u32 v[18:19], s[12:13], v87, v6, v[8:9]
	v_mul_lo_u32 v20, v87, v7
	v_mul_lo_u32 v21, v86, v6
	v_add3_u32 v19, v21, v19, v20
	s_mov_b64 s[40:41], 0
	v_mov_b64_e32 v[20:21], v[6:7]
                                        ; implicit-def: $sgpr42_sgpr43
                                        ; implicit-def: $sgpr44_sgpr45
                                        ; implicit-def: $sgpr48_sgpr49
                                        ; implicit-def: $sgpr46_sgpr47
                                        ; implicit-def: $sgpr12_sgpr13
	s_branch .LBB263_1153
.LBB263_1152:                           ;   in Loop: Header=BB263_1153 Depth=1
	s_or_b64 exec, exec, s[50:51]
	s_and_b64 s[50:51], exec, s[44:45]
	s_or_b64 s[40:41], s[50:51], s[40:41]
	s_andn2_b64 s[12:13], s[12:13], exec
	s_and_b64 s[50:51], s[46:47], exec
	s_or_b64 s[12:13], s[12:13], s[50:51]
	s_andn2_b64 s[42:43], s[42:43], exec
	s_and_b64 s[50:51], s[48:49], exec
	s_or_b64 s[42:43], s[42:43], s[50:51]
	s_andn2_b64 exec, exec, s[40:41]
	s_cbranch_execz .LBB263_1155
.LBB263_1153:                           ; =>This Inner Loop Header: Depth=1
	flat_load_ubyte v68, v[18:19]
	flat_load_ubyte v69, v[16:17]
	s_andn2_b64 s[48:49], s[48:49], exec
	s_andn2_b64 s[46:47], s[46:47], exec
	s_or_b64 s[44:45], s[44:45], exec
	s_waitcnt vmcnt(0) lgkmcnt(0)
	v_cmp_le_i16_sdwa s[52:53], sext(v68), sext(v69) src0_sel:BYTE_0 src1_sel:BYTE_0
	v_cmp_lt_i16_sdwa s[50:51], sext(v68), sext(v69) src0_sel:BYTE_0 src1_sel:BYTE_0
	s_and_b64 s[52:53], s[52:53], s[12:13]
	s_or_b64 s[52:53], s[50:51], s[52:53]
	s_and_b64 s[50:51], s[52:53], exec
	v_cmp_eq_u16_sdwa s[54:55], v68, v69 src0_sel:BYTE_0 src1_sel:BYTE_0
	s_or_b64 s[48:49], s[48:49], s[50:51]
	s_and_saveexec_b64 s[50:51], s[54:55]
	s_cbranch_execz .LBB263_1152
; %bb.1154:                             ;   in Loop: Header=BB263_1153 Depth=1
	v_lshl_add_u64 v[20:21], v[20:21], 0, -1
	v_cmp_eq_u64_e64 s[12:13], 0, v[20:21]
	s_andn2_b64 s[46:47], s[46:47], exec
	s_and_b64 s[52:53], s[52:53], exec
	s_andn2_b64 s[44:45], s[44:45], exec
	s_and_b64 s[12:13], s[12:13], exec
	v_lshl_add_u64 v[16:17], v[16:17], 0, 1
	v_lshl_add_u64 v[18:19], v[18:19], 0, 1
	s_or_b64 s[46:47], s[46:47], s[52:53]
	s_andn2_b64 s[48:49], s[48:49], exec
	s_or_b64 s[44:45], s[44:45], s[12:13]
                                        ; implicit-def: $sgpr12_sgpr13
	s_branch .LBB263_1152
.LBB263_1155:
	s_or_b64 exec, exec, s[40:41]
	s_xor_b64 s[12:13], s[42:43], -1
	s_orn2_b64 s[12:13], s[12:13], exec
.LBB263_1156:
	s_or_b64 exec, exec, s[38:39]
	s_and_b64 s[38:39], s[12:13], exec
.LBB263_1157:
	s_or_b64 exec, exec, s[24:25]
	s_orn2_b64 s[24:25], s[38:39], exec
.LBB263_1158:
	s_or_b64 exec, exec, s[28:29]
	v_cndmask_b32_e64 v16, v22, v23, s[24:25]
	v_cndmask_b32_e64 v17, v99, v98, s[24:25]
	v_add_u32_e32 v20, 1, v16
	v_add_u32_e32 v16, -1, v17
	v_min_u32_e32 v16, v20, v16
	v_mov_b32_e32 v17, 0
	v_lshl_add_u64 v[18:19], v[16:17], 3, v[64:65]
	flat_load_dwordx2 v[18:19], v[18:19]
	v_cndmask_b32_e64 v68, v20, v22, s[24:25]
	s_mov_b64 s[28:29], -1
	v_cndmask_b32_e64 v69, v23, v20, s[24:25]
	v_cmp_lt_u32_e64 s[12:13], v68, v99
	s_mov_b64 s[38:39], -1
	s_waitcnt vmcnt(0) lgkmcnt(0)
	v_cndmask_b32_e64 v100, v19, v86, s[24:25]
	v_cndmask_b32_e64 v101, v18, v87, s[24:25]
	;; [unrolled: 1-line block ×4, first 2 shown]
	s_and_saveexec_b64 s[40:41], s[12:13]
	s_cbranch_execz .LBB263_1168
; %bb.1159:
	v_cmp_lt_u32_e64 s[12:13], v69, v98
	s_mov_b64 s[42:43], 0
	s_and_saveexec_b64 s[38:39], s[12:13]
	s_cbranch_execz .LBB263_1167
; %bb.1160:
	s_mov_b64 s[12:13], -1
	s_and_saveexec_b64 s[42:43], s[8:9]
	s_cbranch_execz .LBB263_1166
; %bb.1161:
	v_mad_u64_u32 v[18:19], s[12:13], v103, v6, v[8:9]
	v_mul_lo_u32 v16, v103, v7
	v_mul_lo_u32 v20, v102, v6
	v_add3_u32 v19, v20, v19, v16
	v_mad_u64_u32 v[20:21], s[12:13], v101, v6, v[8:9]
	v_mul_lo_u32 v16, v101, v7
	v_mul_lo_u32 v22, v100, v6
	v_add3_u32 v21, v22, v21, v16
	s_mov_b64 s[44:45], 0
	v_mov_b64_e32 v[22:23], v[6:7]
                                        ; implicit-def: $sgpr46_sgpr47
                                        ; implicit-def: $sgpr48_sgpr49
                                        ; implicit-def: $sgpr52_sgpr53
                                        ; implicit-def: $sgpr50_sgpr51
                                        ; implicit-def: $sgpr12_sgpr13
	s_branch .LBB263_1163
.LBB263_1162:                           ;   in Loop: Header=BB263_1163 Depth=1
	s_or_b64 exec, exec, s[54:55]
	s_and_b64 s[54:55], exec, s[48:49]
	s_or_b64 s[44:45], s[54:55], s[44:45]
	s_andn2_b64 s[12:13], s[12:13], exec
	s_and_b64 s[54:55], s[50:51], exec
	s_or_b64 s[12:13], s[12:13], s[54:55]
	s_andn2_b64 s[46:47], s[46:47], exec
	s_and_b64 s[54:55], s[52:53], exec
	s_or_b64 s[46:47], s[46:47], s[54:55]
	s_andn2_b64 exec, exec, s[44:45]
	s_cbranch_execz .LBB263_1165
.LBB263_1163:                           ; =>This Inner Loop Header: Depth=1
	flat_load_ubyte v16, v[20:21]
	flat_load_ubyte v112, v[18:19]
	s_andn2_b64 s[52:53], s[52:53], exec
	s_andn2_b64 s[50:51], s[50:51], exec
	s_or_b64 s[48:49], s[48:49], exec
	s_waitcnt vmcnt(0) lgkmcnt(0)
	v_cmp_le_i16_sdwa s[56:57], sext(v16), sext(v112) src0_sel:BYTE_0 src1_sel:BYTE_0
	v_cmp_lt_i16_sdwa s[54:55], sext(v16), sext(v112) src0_sel:BYTE_0 src1_sel:BYTE_0
	s_and_b64 s[56:57], s[56:57], s[12:13]
	s_or_b64 s[56:57], s[54:55], s[56:57]
	s_and_b64 s[54:55], s[56:57], exec
	v_cmp_eq_u16_sdwa s[58:59], v16, v112 src0_sel:BYTE_0 src1_sel:BYTE_0
	s_or_b64 s[52:53], s[52:53], s[54:55]
	s_and_saveexec_b64 s[54:55], s[58:59]
	s_cbranch_execz .LBB263_1162
; %bb.1164:                             ;   in Loop: Header=BB263_1163 Depth=1
	v_lshl_add_u64 v[22:23], v[22:23], 0, -1
	v_cmp_eq_u64_e64 s[12:13], 0, v[22:23]
	s_andn2_b64 s[50:51], s[50:51], exec
	s_and_b64 s[56:57], s[56:57], exec
	s_andn2_b64 s[48:49], s[48:49], exec
	s_and_b64 s[12:13], s[12:13], exec
	v_lshl_add_u64 v[18:19], v[18:19], 0, 1
	v_lshl_add_u64 v[20:21], v[20:21], 0, 1
	s_or_b64 s[50:51], s[50:51], s[56:57]
	s_andn2_b64 s[52:53], s[52:53], exec
	s_or_b64 s[48:49], s[48:49], s[12:13]
                                        ; implicit-def: $sgpr12_sgpr13
	s_branch .LBB263_1162
.LBB263_1165:
	s_or_b64 exec, exec, s[44:45]
	s_xor_b64 s[12:13], s[46:47], -1
	s_orn2_b64 s[12:13], s[12:13], exec
.LBB263_1166:
	s_or_b64 exec, exec, s[42:43]
	s_and_b64 s[42:43], s[12:13], exec
.LBB263_1167:
	s_or_b64 exec, exec, s[38:39]
	s_orn2_b64 s[38:39], s[42:43], exec
.LBB263_1168:
	s_or_b64 exec, exec, s[40:41]
	v_cndmask_b32_e64 v16, v68, v69, s[38:39]
	v_cndmask_b32_e64 v18, v99, v98, s[38:39]
	v_add_u32_e32 v19, 1, v16
	v_add_u32_e32 v16, -1, v18
	v_min_u32_e32 v16, v19, v16
	v_lshl_add_u64 v[16:17], v[16:17], 3, v[64:65]
	flat_load_dwordx2 v[16:17], v[16:17]
	v_cndmask_b32_e64 v115, v19, v68, s[38:39]
	v_cndmask_b32_e64 v112, v69, v19, s[38:39]
	v_cmp_lt_u32_e64 s[12:13], v115, v99
	s_waitcnt vmcnt(0) lgkmcnt(0)
	v_cndmask_b32_e64 v113, v17, v100, s[38:39]
	v_cndmask_b32_e64 v114, v16, v101, s[38:39]
	;; [unrolled: 1-line block ×4, first 2 shown]
	s_and_saveexec_b64 s[40:41], s[12:13]
	s_cbranch_execz .LBB263_1178
; %bb.1169:
	v_cmp_lt_u32_e64 s[12:13], v112, v98
	s_mov_b64 s[42:43], 0
	s_and_saveexec_b64 s[28:29], s[12:13]
	s_cbranch_execz .LBB263_1177
; %bb.1170:
	s_mov_b64 s[12:13], -1
	s_and_saveexec_b64 s[42:43], s[8:9]
	s_cbranch_execz .LBB263_1176
; %bb.1171:
	v_mad_u64_u32 v[16:17], s[12:13], v117, v6, v[8:9]
	v_mul_lo_u32 v18, v117, v7
	v_mul_lo_u32 v19, v116, v6
	v_add3_u32 v17, v19, v17, v18
	v_mad_u64_u32 v[18:19], s[12:13], v114, v6, v[8:9]
	v_mul_lo_u32 v20, v114, v7
	v_mul_lo_u32 v21, v113, v6
	v_add3_u32 v19, v21, v19, v20
	s_mov_b64 s[44:45], 0
	v_mov_b64_e32 v[20:21], v[6:7]
                                        ; implicit-def: $sgpr46_sgpr47
                                        ; implicit-def: $sgpr48_sgpr49
                                        ; implicit-def: $sgpr52_sgpr53
                                        ; implicit-def: $sgpr50_sgpr51
                                        ; implicit-def: $sgpr12_sgpr13
	s_branch .LBB263_1173
.LBB263_1172:                           ;   in Loop: Header=BB263_1173 Depth=1
	s_or_b64 exec, exec, s[54:55]
	s_and_b64 s[54:55], exec, s[48:49]
	s_or_b64 s[44:45], s[54:55], s[44:45]
	s_andn2_b64 s[12:13], s[12:13], exec
	s_and_b64 s[54:55], s[50:51], exec
	s_or_b64 s[12:13], s[12:13], s[54:55]
	s_andn2_b64 s[46:47], s[46:47], exec
	s_and_b64 s[54:55], s[52:53], exec
	s_or_b64 s[46:47], s[46:47], s[54:55]
	s_andn2_b64 exec, exec, s[44:45]
	s_cbranch_execz .LBB263_1175
.LBB263_1173:                           ; =>This Inner Loop Header: Depth=1
	flat_load_ubyte v22, v[18:19]
	flat_load_ubyte v23, v[16:17]
	s_andn2_b64 s[52:53], s[52:53], exec
	s_andn2_b64 s[50:51], s[50:51], exec
	s_or_b64 s[48:49], s[48:49], exec
	s_waitcnt vmcnt(0) lgkmcnt(0)
	v_cmp_le_i16_sdwa s[56:57], sext(v22), sext(v23) src0_sel:BYTE_0 src1_sel:BYTE_0
	v_cmp_lt_i16_sdwa s[54:55], sext(v22), sext(v23) src0_sel:BYTE_0 src1_sel:BYTE_0
	s_and_b64 s[56:57], s[56:57], s[12:13]
	s_or_b64 s[56:57], s[54:55], s[56:57]
	s_and_b64 s[54:55], s[56:57], exec
	v_cmp_eq_u16_sdwa s[58:59], v22, v23 src0_sel:BYTE_0 src1_sel:BYTE_0
	s_or_b64 s[52:53], s[52:53], s[54:55]
	s_and_saveexec_b64 s[54:55], s[58:59]
	s_cbranch_execz .LBB263_1172
; %bb.1174:                             ;   in Loop: Header=BB263_1173 Depth=1
	v_lshl_add_u64 v[20:21], v[20:21], 0, -1
	v_cmp_eq_u64_e64 s[12:13], 0, v[20:21]
	s_andn2_b64 s[50:51], s[50:51], exec
	s_and_b64 s[56:57], s[56:57], exec
	s_andn2_b64 s[48:49], s[48:49], exec
	s_and_b64 s[12:13], s[12:13], exec
	v_lshl_add_u64 v[16:17], v[16:17], 0, 1
	v_lshl_add_u64 v[18:19], v[18:19], 0, 1
	s_or_b64 s[50:51], s[50:51], s[56:57]
	s_andn2_b64 s[52:53], s[52:53], exec
	s_or_b64 s[48:49], s[48:49], s[12:13]
                                        ; implicit-def: $sgpr12_sgpr13
	s_branch .LBB263_1172
.LBB263_1175:
	s_or_b64 exec, exec, s[44:45]
	s_xor_b64 s[12:13], s[46:47], -1
	s_orn2_b64 s[12:13], s[12:13], exec
.LBB263_1176:
	s_or_b64 exec, exec, s[42:43]
	s_and_b64 s[42:43], s[12:13], exec
.LBB263_1177:
	s_or_b64 exec, exec, s[28:29]
	s_orn2_b64 s[28:29], s[42:43], exec
.LBB263_1178:
	s_or_b64 exec, exec, s[40:41]
	v_cndmask_b32_e64 v16, v115, v112, s[28:29]
	v_cndmask_b32_e64 v17, v99, v98, s[28:29]
	v_add_u32_e32 v118, 1, v16
	v_add_u32_e32 v16, -1, v17
	v_min_u32_e32 v16, v118, v16
	v_mov_b32_e32 v17, 0
	v_lshl_add_u64 v[16:17], v[16:17], 3, v[64:65]
	flat_load_dwordx2 v[68:69], v[16:17]
	v_cndmask_b32_e64 v21, v27, v80, s[16:17]
	v_cndmask_b32_e64 v27, v24, v26, s[22:23]
	;; [unrolled: 1-line block ×15, first 2 shown]
	v_cmp_lt_u32_e64 s[12:13], v70, v99
	s_waitcnt vmcnt(0) lgkmcnt(0)
	v_cndmask_b32_e64 v15, v116, v69, s[28:29]
	v_cndmask_b32_e64 v14, v117, v68, s[28:29]
	s_and_saveexec_b64 s[16:17], s[12:13]
	s_cbranch_execz .LBB263_1188
; %bb.1179:
	v_cndmask_b32_e64 v70, v112, v118, s[28:29]
	v_cndmask_b32_e64 v69, v69, v113, s[28:29]
	;; [unrolled: 1-line block ×3, first 2 shown]
	v_cmp_lt_u32_e64 s[12:13], v70, v98
	s_and_saveexec_b64 s[20:21], s[12:13]
	s_cbranch_execz .LBB263_1187
; %bb.1180:
	s_and_saveexec_b64 s[22:23], s[8:9]
	s_cbranch_execz .LBB263_1186
; %bb.1181:
	v_mad_u64_u32 v[70:71], s[12:13], v14, v6, v[8:9]
	v_mul_lo_u32 v80, v14, v7
	v_mul_lo_u32 v81, v15, v6
	v_add3_u32 v71, v81, v71, v80
	v_mad_u64_u32 v[80:81], s[12:13], v68, v6, v[8:9]
	v_mul_lo_u32 v82, v68, v7
	v_mul_lo_u32 v83, v69, v6
	v_add3_u32 v81, v83, v81, v82
	s_mov_b64 s[24:25], 0
	v_mov_b64_e32 v[82:83], v[6:7]
                                        ; implicit-def: $sgpr26_sgpr27
                                        ; implicit-def: $sgpr28_sgpr29
                                        ; implicit-def: $sgpr40_sgpr41
                                        ; implicit-def: $sgpr38_sgpr39
                                        ; implicit-def: $sgpr12_sgpr13
	s_branch .LBB263_1183
.LBB263_1182:                           ;   in Loop: Header=BB263_1183 Depth=1
	s_or_b64 exec, exec, s[42:43]
	s_and_b64 s[42:43], exec, s[28:29]
	s_or_b64 s[24:25], s[42:43], s[24:25]
	s_andn2_b64 s[12:13], s[12:13], exec
	s_and_b64 s[42:43], s[38:39], exec
	s_or_b64 s[12:13], s[12:13], s[42:43]
	s_andn2_b64 s[26:27], s[26:27], exec
	s_and_b64 s[42:43], s[40:41], exec
	s_or_b64 s[26:27], s[26:27], s[42:43]
	s_andn2_b64 exec, exec, s[24:25]
	s_cbranch_execz .LBB263_1185
.LBB263_1183:                           ; =>This Inner Loop Header: Depth=1
	flat_load_ubyte v84, v[80:81]
	flat_load_ubyte v85, v[70:71]
	s_andn2_b64 s[40:41], s[40:41], exec
	s_andn2_b64 s[38:39], s[38:39], exec
	s_or_b64 s[28:29], s[28:29], exec
	s_waitcnt vmcnt(0) lgkmcnt(0)
	v_cmp_le_i16_sdwa s[44:45], sext(v84), sext(v85) src0_sel:BYTE_0 src1_sel:BYTE_0
	v_cmp_lt_i16_sdwa s[42:43], sext(v84), sext(v85) src0_sel:BYTE_0 src1_sel:BYTE_0
	s_and_b64 s[44:45], s[44:45], s[12:13]
	s_or_b64 s[44:45], s[42:43], s[44:45]
	s_and_b64 s[42:43], s[44:45], exec
	v_cmp_eq_u16_sdwa s[46:47], v84, v85 src0_sel:BYTE_0 src1_sel:BYTE_0
	s_or_b64 s[40:41], s[40:41], s[42:43]
	s_and_saveexec_b64 s[42:43], s[46:47]
	s_cbranch_execz .LBB263_1182
; %bb.1184:                             ;   in Loop: Header=BB263_1183 Depth=1
	v_lshl_add_u64 v[82:83], v[82:83], 0, -1
	v_cmp_eq_u64_e64 s[12:13], 0, v[82:83]
	s_andn2_b64 s[38:39], s[38:39], exec
	s_and_b64 s[44:45], s[44:45], exec
	s_andn2_b64 s[28:29], s[28:29], exec
	s_and_b64 s[12:13], s[12:13], exec
	v_lshl_add_u64 v[70:71], v[70:71], 0, 1
	v_lshl_add_u64 v[80:81], v[80:81], 0, 1
	s_or_b64 s[38:39], s[38:39], s[44:45]
	s_andn2_b64 s[40:41], s[40:41], exec
	s_or_b64 s[28:29], s[28:29], s[12:13]
                                        ; implicit-def: $sgpr12_sgpr13
	s_branch .LBB263_1182
.LBB263_1185:
	s_or_b64 exec, exec, s[24:25]
	v_cndmask_b32_e64 v15, v15, v69, s[26:27]
	v_cndmask_b32_e64 v14, v14, v68, s[26:27]
.LBB263_1186:
	s_or_b64 exec, exec, s[22:23]
	v_mov_b64_e32 v[68:69], v[14:15]
.LBB263_1187:
	s_or_b64 exec, exec, s[20:21]
	v_mov_b64_e32 v[14:15], v[68:69]
.LBB263_1188:
	s_or_b64 exec, exec, s[16:17]
.LBB263_1189:
	s_or_b64 exec, exec, s[18:19]
	v_and_b32_e32 v100, 0x3c0, v31
	v_or_b32_e32 v68, 32, v100
	v_min_u32_e32 v98, v1, v68
	v_add_u32_e32 v68, 32, v98
	v_min_u32_e32 v99, v1, v68
	v_and_b32_e32 v68, 56, v31
	v_min_u32_e32 v101, v1, v68
	v_sub_u32_e32 v68, v98, v100
	v_sub_u32_e32 v69, v99, v98
	v_sub_u32_e64 v102, v101, v69 clamp
	v_min_u32_e32 v103, v101, v68
	v_cmp_lt_u32_e64 s[12:13], v102, v103
	; wave barrier
	flat_store_dwordx4 v[66:67], v[24:27]
	flat_store_dwordx4 v[66:67], v[20:23] offset:16
	flat_store_dwordx4 v[66:67], v[16:19] offset:32
	;; [unrolled: 1-line block ×3, first 2 shown]
	; wave barrier
	s_and_saveexec_b64 s[16:17], s[12:13]
	s_cbranch_execz .LBB263_1199
; %bb.1190:
	v_lshlrev_b32_e32 v68, 3, v100
	v_mov_b32_e32 v69, 0
	v_lshl_add_u64 v[70:71], v[64:65], 0, v[68:69]
	v_lshlrev_b32_e32 v68, 3, v98
	v_lshl_add_u64 v[80:81], v[64:65], 0, v[68:69]
	s_mov_b64 s[18:19], 0
	s_branch .LBB263_1193
.LBB263_1191:                           ;   in Loop: Header=BB263_1193 Depth=1
	s_or_b64 exec, exec, s[22:23]
	s_and_b64 s[12:13], s[24:25], exec
.LBB263_1192:                           ;   in Loop: Header=BB263_1193 Depth=1
	s_or_b64 exec, exec, s[20:21]
	v_add_u32_e32 v68, 1, v82
	v_cndmask_b32_e64 v103, v103, v82, s[12:13]
	v_cndmask_b32_e64 v102, v68, v102, s[12:13]
	v_cmp_ge_u32_e64 s[12:13], v102, v103
	s_or_b64 s[18:19], s[12:13], s[18:19]
	s_andn2_b64 exec, exec, s[18:19]
	s_cbranch_execz .LBB263_1198
.LBB263_1193:                           ; =>This Loop Header: Depth=1
                                        ;     Child Loop BB263_1196 Depth 2
	v_add_u32_e32 v68, v103, v102
	v_lshrrev_b32_e32 v82, 1, v68
	s_mov_b64 s[12:13], 0
	s_and_saveexec_b64 s[20:21], s[8:9]
	s_cbranch_execz .LBB263_1192
; %bb.1194:                             ;   in Loop: Header=BB263_1193 Depth=1
	v_mov_b32_e32 v83, v69
	v_xad_u32 v68, v82, -1, v101
	v_lshl_add_u64 v[84:85], v[82:83], 3, v[70:71]
	v_lshl_add_u64 v[86:87], v[68:69], 3, v[80:81]
	flat_load_dwordx2 v[84:85], v[84:85]
	s_mov_b64 s[22:23], 0
	flat_load_dwordx2 v[86:87], v[86:87]
                                        ; implicit-def: $sgpr24_sgpr25
                                        ; implicit-def: $sgpr26_sgpr27
                                        ; implicit-def: $sgpr28_sgpr29
                                        ; implicit-def: $sgpr38_sgpr39
                                        ; implicit-def: $sgpr12_sgpr13
	s_waitcnt vmcnt(0) lgkmcnt(0)
	v_mul_lo_u32 v68, v84, v7
	v_mul_lo_u32 v83, v85, v6
	v_mad_u64_u32 v[84:85], s[40:41], v84, v6, v[8:9]
	v_mul_lo_u32 v96, v86, v7
	v_mul_lo_u32 v97, v87, v6
	v_mad_u64_u32 v[86:87], s[40:41], v86, v6, v[8:9]
	v_add3_u32 v85, v83, v85, v68
	v_add3_u32 v87, v97, v87, v96
	v_mov_b64_e32 v[96:97], v[6:7]
	s_branch .LBB263_1196
.LBB263_1195:                           ;   in Loop: Header=BB263_1196 Depth=2
	s_or_b64 exec, exec, s[40:41]
	s_and_b64 s[40:41], exec, s[26:27]
	s_or_b64 s[22:23], s[40:41], s[22:23]
	s_andn2_b64 s[12:13], s[12:13], exec
	s_and_b64 s[40:41], s[28:29], exec
	s_or_b64 s[12:13], s[12:13], s[40:41]
	s_andn2_b64 s[24:25], s[24:25], exec
	s_and_b64 s[40:41], s[38:39], exec
	s_or_b64 s[24:25], s[24:25], s[40:41]
	s_andn2_b64 exec, exec, s[22:23]
	s_cbranch_execz .LBB263_1191
.LBB263_1196:                           ;   Parent Loop BB263_1193 Depth=1
                                        ; =>  This Inner Loop Header: Depth=2
	flat_load_ubyte v68, v[86:87]
	flat_load_ubyte v83, v[84:85]
	s_andn2_b64 s[38:39], s[38:39], exec
	s_andn2_b64 s[28:29], s[28:29], exec
	s_or_b64 s[26:27], s[26:27], exec
	s_waitcnt vmcnt(0) lgkmcnt(0)
	v_cmp_le_i16_sdwa s[42:43], sext(v68), sext(v83) src0_sel:BYTE_0 src1_sel:BYTE_0
	v_cmp_lt_i16_sdwa s[40:41], sext(v68), sext(v83) src0_sel:BYTE_0 src1_sel:BYTE_0
	s_and_b64 s[42:43], s[42:43], s[12:13]
	s_or_b64 s[42:43], s[40:41], s[42:43]
	s_and_b64 s[40:41], s[42:43], exec
	v_cmp_eq_u16_sdwa s[44:45], v68, v83 src0_sel:BYTE_0 src1_sel:BYTE_0
	s_or_b64 s[38:39], s[38:39], s[40:41]
	s_and_saveexec_b64 s[40:41], s[44:45]
	s_cbranch_execz .LBB263_1195
; %bb.1197:                             ;   in Loop: Header=BB263_1196 Depth=2
	v_lshl_add_u64 v[96:97], v[96:97], 0, -1
	v_cmp_eq_u64_e64 s[12:13], 0, v[96:97]
	s_andn2_b64 s[28:29], s[28:29], exec
	s_and_b64 s[42:43], s[42:43], exec
	s_andn2_b64 s[26:27], s[26:27], exec
	s_and_b64 s[12:13], s[12:13], exec
	v_lshl_add_u64 v[84:85], v[84:85], 0, 1
	v_lshl_add_u64 v[86:87], v[86:87], 0, 1
	s_andn2_b64 s[38:39], s[38:39], exec
	s_or_b64 s[28:29], s[28:29], s[42:43]
	s_or_b64 s[26:27], s[26:27], s[12:13]
                                        ; implicit-def: $sgpr12_sgpr13
	s_branch .LBB263_1195
.LBB263_1198:
	s_or_b64 exec, exec, s[18:19]
.LBB263_1199:
	s_or_b64 exec, exec, s[16:17]
	v_add_u32_e32 v69, v98, v101
	v_add_u32_e32 v68, v102, v100
	v_sub_u32_e32 v70, v69, v102
	v_cmp_le_u32_e64 s[12:13], v68, v98
	v_cmp_le_u32_e64 s[16:17], v70, v99
	s_or_b64 s[12:13], s[12:13], s[16:17]
	s_and_saveexec_b64 s[18:19], s[12:13]
	s_cbranch_execz .LBB263_1283
; %bb.1200:
	v_cmp_ge_u32_e64 s[16:17], v68, v98
	v_cmp_lt_u32_e64 s[12:13], v68, v98
                                        ; implicit-def: $vgpr12_vgpr13
	s_and_saveexec_b64 s[20:21], s[12:13]
	s_cbranch_execz .LBB263_1202
; %bb.1201:
	v_mov_b32_e32 v69, 0
	v_lshl_add_u64 v[12:13], v[68:69], 3, v[64:65]
	flat_load_dwordx2 v[12:13], v[12:13]
.LBB263_1202:
	s_or_b64 exec, exec, s[20:21]
	v_cmp_ge_u32_e64 s[20:21], v70, v99
	v_cmp_lt_u32_e64 s[12:13], v70, v99
                                        ; implicit-def: $vgpr14_vgpr15
	s_and_saveexec_b64 s[22:23], s[12:13]
	s_cbranch_execz .LBB263_1204
; %bb.1203:
	v_mov_b32_e32 v71, 0
	v_lshl_add_u64 v[14:15], v[70:71], 3, v[64:65]
	flat_load_dwordx2 v[14:15], v[14:15]
.LBB263_1204:
	s_or_b64 exec, exec, s[22:23]
	s_or_b64 s[12:13], s[16:17], s[20:21]
	s_xor_b64 s[12:13], s[12:13], -1
	s_and_saveexec_b64 s[16:17], s[12:13]
	s_cbranch_execz .LBB263_1212
; %bb.1205:
	s_mov_b64 s[12:13], 0
	s_and_saveexec_b64 s[22:23], s[8:9]
	s_cbranch_execz .LBB263_1211
; %bb.1206:
	s_waitcnt vmcnt(0) lgkmcnt(0)
	v_mad_u64_u32 v[16:17], s[12:13], v12, v6, v[8:9]
	v_mul_lo_u32 v18, v12, v7
	v_mul_lo_u32 v19, v13, v6
	v_add3_u32 v17, v19, v17, v18
	v_mad_u64_u32 v[18:19], s[12:13], v14, v6, v[8:9]
	v_mul_lo_u32 v20, v14, v7
	v_mul_lo_u32 v21, v15, v6
	v_add3_u32 v19, v21, v19, v20
	s_mov_b64 s[24:25], 0
	v_mov_b64_e32 v[20:21], v[6:7]
                                        ; implicit-def: $sgpr26_sgpr27
                                        ; implicit-def: $sgpr28_sgpr29
                                        ; implicit-def: $sgpr38_sgpr39
                                        ; implicit-def: $sgpr40_sgpr41
                                        ; implicit-def: $sgpr12_sgpr13
	s_branch .LBB263_1208
.LBB263_1207:                           ;   in Loop: Header=BB263_1208 Depth=1
	s_or_b64 exec, exec, s[42:43]
	s_and_b64 s[42:43], exec, s[28:29]
	s_or_b64 s[24:25], s[42:43], s[24:25]
	s_andn2_b64 s[12:13], s[12:13], exec
	s_and_b64 s[42:43], s[38:39], exec
	s_or_b64 s[12:13], s[12:13], s[42:43]
	s_andn2_b64 s[26:27], s[26:27], exec
	s_and_b64 s[42:43], s[40:41], exec
	s_or_b64 s[26:27], s[26:27], s[42:43]
	s_andn2_b64 exec, exec, s[24:25]
	s_cbranch_execz .LBB263_1210
.LBB263_1208:                           ; =>This Inner Loop Header: Depth=1
	flat_load_ubyte v22, v[18:19]
	flat_load_ubyte v23, v[16:17]
	s_andn2_b64 s[40:41], s[40:41], exec
	s_andn2_b64 s[38:39], s[38:39], exec
	s_or_b64 s[28:29], s[28:29], exec
	s_waitcnt vmcnt(0) lgkmcnt(0)
	v_cmp_le_i16_sdwa s[44:45], sext(v22), sext(v23) src0_sel:BYTE_0 src1_sel:BYTE_0
	v_cmp_lt_i16_sdwa s[42:43], sext(v22), sext(v23) src0_sel:BYTE_0 src1_sel:BYTE_0
	s_and_b64 s[44:45], s[44:45], s[12:13]
	s_or_b64 s[44:45], s[42:43], s[44:45]
	s_and_b64 s[42:43], s[44:45], exec
	v_cmp_eq_u16_sdwa s[46:47], v22, v23 src0_sel:BYTE_0 src1_sel:BYTE_0
	s_or_b64 s[40:41], s[40:41], s[42:43]
	s_and_saveexec_b64 s[42:43], s[46:47]
	s_cbranch_execz .LBB263_1207
; %bb.1209:                             ;   in Loop: Header=BB263_1208 Depth=1
	v_lshl_add_u64 v[20:21], v[20:21], 0, -1
	v_cmp_eq_u64_e64 s[12:13], 0, v[20:21]
	s_andn2_b64 s[38:39], s[38:39], exec
	s_and_b64 s[44:45], s[44:45], exec
	s_andn2_b64 s[28:29], s[28:29], exec
	s_and_b64 s[12:13], s[12:13], exec
	v_lshl_add_u64 v[16:17], v[16:17], 0, 1
	v_lshl_add_u64 v[18:19], v[18:19], 0, 1
	s_andn2_b64 s[40:41], s[40:41], exec
	s_or_b64 s[38:39], s[38:39], s[44:45]
	s_or_b64 s[28:29], s[28:29], s[12:13]
                                        ; implicit-def: $sgpr12_sgpr13
	s_branch .LBB263_1207
.LBB263_1210:
	s_or_b64 exec, exec, s[24:25]
	s_and_b64 s[12:13], s[26:27], exec
.LBB263_1211:
	s_or_b64 exec, exec, s[22:23]
	s_xor_b64 s[12:13], s[12:13], -1
	s_andn2_b64 s[20:21], s[20:21], exec
	s_and_b64 s[12:13], s[12:13], exec
	s_or_b64 s[20:21], s[20:21], s[12:13]
.LBB263_1212:
	s_or_b64 exec, exec, s[16:17]
	v_cndmask_b32_e64 v16, v70, v68, s[20:21]
	v_cndmask_b32_e64 v17, v99, v98, s[20:21]
	v_add_u32_e32 v20, 1, v16
	v_add_u32_e32 v16, -1, v17
	v_min_u32_e32 v16, v20, v16
	v_mov_b32_e32 v17, 0
	v_lshl_add_u64 v[18:19], v[16:17], 3, v[64:65]
	flat_load_dwordx2 v[18:19], v[18:19]
	v_cndmask_b32_e64 v27, v20, v70, s[20:21]
	s_mov_b64 s[16:17], -1
	v_cndmask_b32_e64 v68, v68, v20, s[20:21]
	v_cmp_lt_u32_e64 s[12:13], v27, v99
	s_mov_b64 s[22:23], -1
	s_waitcnt vmcnt(0) lgkmcnt(0)
	v_cndmask_b32_e64 v24, v19, v15, s[20:21]
	v_cndmask_b32_e64 v25, v18, v14, s[20:21]
	;; [unrolled: 1-line block ×4, first 2 shown]
	s_and_saveexec_b64 s[24:25], s[12:13]
	s_cbranch_execz .LBB263_1222
; %bb.1213:
	v_cmp_lt_u32_e64 s[12:13], v68, v98
	s_mov_b64 s[26:27], 0
	s_and_saveexec_b64 s[22:23], s[12:13]
	s_cbranch_execz .LBB263_1221
; %bb.1214:
	s_mov_b64 s[12:13], 0
	s_and_saveexec_b64 s[26:27], s[8:9]
	s_cbranch_execz .LBB263_1220
; %bb.1215:
	v_mad_u64_u32 v[18:19], s[12:13], v70, v6, v[8:9]
	v_mul_lo_u32 v16, v70, v7
	v_mul_lo_u32 v20, v26, v6
	v_add3_u32 v19, v20, v19, v16
	v_mad_u64_u32 v[20:21], s[12:13], v25, v6, v[8:9]
	v_mul_lo_u32 v16, v25, v7
	v_mul_lo_u32 v22, v24, v6
	v_add3_u32 v21, v22, v21, v16
	s_mov_b64 s[28:29], 0
	v_mov_b64_e32 v[22:23], v[6:7]
                                        ; implicit-def: $sgpr38_sgpr39
                                        ; implicit-def: $sgpr40_sgpr41
                                        ; implicit-def: $sgpr42_sgpr43
                                        ; implicit-def: $sgpr44_sgpr45
                                        ; implicit-def: $sgpr12_sgpr13
	s_branch .LBB263_1217
.LBB263_1216:                           ;   in Loop: Header=BB263_1217 Depth=1
	s_or_b64 exec, exec, s[46:47]
	s_and_b64 s[46:47], exec, s[40:41]
	s_or_b64 s[28:29], s[46:47], s[28:29]
	s_andn2_b64 s[12:13], s[12:13], exec
	s_and_b64 s[46:47], s[42:43], exec
	s_or_b64 s[12:13], s[12:13], s[46:47]
	s_andn2_b64 s[38:39], s[38:39], exec
	s_and_b64 s[46:47], s[44:45], exec
	s_or_b64 s[38:39], s[38:39], s[46:47]
	s_andn2_b64 exec, exec, s[28:29]
	s_cbranch_execz .LBB263_1219
.LBB263_1217:                           ; =>This Inner Loop Header: Depth=1
	flat_load_ubyte v16, v[20:21]
	flat_load_ubyte v69, v[18:19]
	s_andn2_b64 s[44:45], s[44:45], exec
	s_andn2_b64 s[42:43], s[42:43], exec
	s_or_b64 s[40:41], s[40:41], exec
	s_waitcnt vmcnt(0) lgkmcnt(0)
	v_cmp_le_i16_sdwa s[48:49], sext(v16), sext(v69) src0_sel:BYTE_0 src1_sel:BYTE_0
	v_cmp_lt_i16_sdwa s[46:47], sext(v16), sext(v69) src0_sel:BYTE_0 src1_sel:BYTE_0
	s_and_b64 s[48:49], s[48:49], s[12:13]
	s_or_b64 s[48:49], s[46:47], s[48:49]
	s_and_b64 s[46:47], s[48:49], exec
	v_cmp_eq_u16_sdwa s[50:51], v16, v69 src0_sel:BYTE_0 src1_sel:BYTE_0
	s_or_b64 s[44:45], s[44:45], s[46:47]
	s_and_saveexec_b64 s[46:47], s[50:51]
	s_cbranch_execz .LBB263_1216
; %bb.1218:                             ;   in Loop: Header=BB263_1217 Depth=1
	v_lshl_add_u64 v[22:23], v[22:23], 0, -1
	v_cmp_eq_u64_e64 s[12:13], 0, v[22:23]
	s_andn2_b64 s[42:43], s[42:43], exec
	s_and_b64 s[48:49], s[48:49], exec
	s_andn2_b64 s[40:41], s[40:41], exec
	s_and_b64 s[12:13], s[12:13], exec
	v_lshl_add_u64 v[18:19], v[18:19], 0, 1
	v_lshl_add_u64 v[20:21], v[20:21], 0, 1
	s_andn2_b64 s[44:45], s[44:45], exec
	s_or_b64 s[42:43], s[42:43], s[48:49]
	s_or_b64 s[40:41], s[40:41], s[12:13]
                                        ; implicit-def: $sgpr12_sgpr13
	s_branch .LBB263_1216
.LBB263_1219:
	s_or_b64 exec, exec, s[28:29]
	s_and_b64 s[12:13], s[38:39], exec
.LBB263_1220:
	s_or_b64 exec, exec, s[26:27]
	s_xor_b64 s[12:13], s[12:13], -1
	s_and_b64 s[26:27], s[12:13], exec
.LBB263_1221:
	s_or_b64 exec, exec, s[22:23]
	s_orn2_b64 s[22:23], s[26:27], exec
.LBB263_1222:
	s_or_b64 exec, exec, s[24:25]
	v_cndmask_b32_e64 v16, v27, v68, s[22:23]
	v_cndmask_b32_e64 v18, v99, v98, s[22:23]
	v_add_u32_e32 v19, 1, v16
	v_add_u32_e32 v16, -1, v18
	v_min_u32_e32 v16, v19, v16
	v_lshl_add_u64 v[16:17], v[16:17], 3, v[64:65]
	flat_load_dwordx2 v[16:17], v[16:17]
	v_cndmask_b32_e64 v22, v19, v27, s[22:23]
	v_cndmask_b32_e64 v23, v68, v19, s[22:23]
	v_cmp_lt_u32_e64 s[12:13], v22, v99
	s_waitcnt vmcnt(0) lgkmcnt(0)
	v_cndmask_b32_e64 v27, v17, v24, s[22:23]
	v_cndmask_b32_e64 v71, v16, v25, s[22:23]
	;; [unrolled: 1-line block ×4, first 2 shown]
	s_and_saveexec_b64 s[24:25], s[12:13]
	s_cbranch_execz .LBB263_1232
; %bb.1223:
	v_cmp_lt_u32_e64 s[12:13], v23, v98
	s_mov_b64 s[26:27], 0
	s_and_saveexec_b64 s[16:17], s[12:13]
	s_cbranch_execz .LBB263_1231
; %bb.1224:
	s_mov_b64 s[12:13], 0
	s_and_saveexec_b64 s[26:27], s[8:9]
	s_cbranch_execz .LBB263_1230
; %bb.1225:
	v_mad_u64_u32 v[16:17], s[12:13], v81, v6, v[8:9]
	v_mul_lo_u32 v18, v81, v7
	v_mul_lo_u32 v19, v80, v6
	v_add3_u32 v17, v19, v17, v18
	v_mad_u64_u32 v[18:19], s[12:13], v71, v6, v[8:9]
	v_mul_lo_u32 v20, v71, v7
	v_mul_lo_u32 v21, v27, v6
	v_add3_u32 v19, v21, v19, v20
	s_mov_b64 s[28:29], 0
	v_mov_b64_e32 v[20:21], v[6:7]
                                        ; implicit-def: $sgpr38_sgpr39
                                        ; implicit-def: $sgpr40_sgpr41
                                        ; implicit-def: $sgpr42_sgpr43
                                        ; implicit-def: $sgpr44_sgpr45
                                        ; implicit-def: $sgpr12_sgpr13
	s_branch .LBB263_1227
.LBB263_1226:                           ;   in Loop: Header=BB263_1227 Depth=1
	s_or_b64 exec, exec, s[46:47]
	s_and_b64 s[46:47], exec, s[40:41]
	s_or_b64 s[28:29], s[46:47], s[28:29]
	s_andn2_b64 s[12:13], s[12:13], exec
	s_and_b64 s[46:47], s[42:43], exec
	s_or_b64 s[12:13], s[12:13], s[46:47]
	s_andn2_b64 s[38:39], s[38:39], exec
	s_and_b64 s[46:47], s[44:45], exec
	s_or_b64 s[38:39], s[38:39], s[46:47]
	s_andn2_b64 exec, exec, s[28:29]
	s_cbranch_execz .LBB263_1229
.LBB263_1227:                           ; =>This Inner Loop Header: Depth=1
	flat_load_ubyte v68, v[18:19]
	flat_load_ubyte v69, v[16:17]
	s_andn2_b64 s[44:45], s[44:45], exec
	s_andn2_b64 s[42:43], s[42:43], exec
	s_or_b64 s[40:41], s[40:41], exec
	s_waitcnt vmcnt(0) lgkmcnt(0)
	v_cmp_le_i16_sdwa s[48:49], sext(v68), sext(v69) src0_sel:BYTE_0 src1_sel:BYTE_0
	v_cmp_lt_i16_sdwa s[46:47], sext(v68), sext(v69) src0_sel:BYTE_0 src1_sel:BYTE_0
	s_and_b64 s[48:49], s[48:49], s[12:13]
	s_or_b64 s[48:49], s[46:47], s[48:49]
	s_and_b64 s[46:47], s[48:49], exec
	v_cmp_eq_u16_sdwa s[50:51], v68, v69 src0_sel:BYTE_0 src1_sel:BYTE_0
	s_or_b64 s[44:45], s[44:45], s[46:47]
	s_and_saveexec_b64 s[46:47], s[50:51]
	s_cbranch_execz .LBB263_1226
; %bb.1228:                             ;   in Loop: Header=BB263_1227 Depth=1
	v_lshl_add_u64 v[20:21], v[20:21], 0, -1
	v_cmp_eq_u64_e64 s[12:13], 0, v[20:21]
	s_andn2_b64 s[42:43], s[42:43], exec
	s_and_b64 s[48:49], s[48:49], exec
	s_andn2_b64 s[40:41], s[40:41], exec
	s_and_b64 s[12:13], s[12:13], exec
	v_lshl_add_u64 v[16:17], v[16:17], 0, 1
	v_lshl_add_u64 v[18:19], v[18:19], 0, 1
	s_andn2_b64 s[44:45], s[44:45], exec
	s_or_b64 s[42:43], s[42:43], s[48:49]
	s_or_b64 s[40:41], s[40:41], s[12:13]
                                        ; implicit-def: $sgpr12_sgpr13
	s_branch .LBB263_1226
.LBB263_1229:
	s_or_b64 exec, exec, s[28:29]
	s_and_b64 s[12:13], s[38:39], exec
.LBB263_1230:
	s_or_b64 exec, exec, s[26:27]
	s_xor_b64 s[12:13], s[12:13], -1
	s_and_b64 s[26:27], s[12:13], exec
.LBB263_1231:
	s_or_b64 exec, exec, s[16:17]
	s_orn2_b64 s[16:17], s[26:27], exec
.LBB263_1232:
	s_or_b64 exec, exec, s[24:25]
	v_cndmask_b32_e64 v16, v22, v23, s[16:17]
	v_cndmask_b32_e64 v17, v99, v98, s[16:17]
	v_add_u32_e32 v20, 1, v16
	v_add_u32_e32 v16, -1, v17
	v_min_u32_e32 v16, v20, v16
	v_mov_b32_e32 v17, 0
	v_lshl_add_u64 v[18:19], v[16:17], 3, v[64:65]
	flat_load_dwordx2 v[18:19], v[18:19]
	v_cndmask_b32_e64 v68, v20, v22, s[16:17]
	s_mov_b64 s[24:25], -1
	v_cndmask_b32_e64 v69, v23, v20, s[16:17]
	v_cmp_lt_u32_e64 s[12:13], v68, v99
	s_mov_b64 s[26:27], -1
	s_waitcnt vmcnt(0) lgkmcnt(0)
	v_cndmask_b32_e64 v82, v19, v27, s[16:17]
	v_cndmask_b32_e64 v83, v18, v71, s[16:17]
	;; [unrolled: 1-line block ×4, first 2 shown]
	s_and_saveexec_b64 s[28:29], s[12:13]
	s_cbranch_execz .LBB263_1242
; %bb.1233:
	v_cmp_lt_u32_e64 s[12:13], v69, v98
	s_mov_b64 s[38:39], 0
	s_and_saveexec_b64 s[26:27], s[12:13]
	s_cbranch_execz .LBB263_1241
; %bb.1234:
	s_mov_b64 s[12:13], -1
	s_and_saveexec_b64 s[38:39], s[8:9]
	s_cbranch_execz .LBB263_1240
; %bb.1235:
	v_mad_u64_u32 v[18:19], s[12:13], v85, v6, v[8:9]
	v_mul_lo_u32 v16, v85, v7
	v_mul_lo_u32 v20, v84, v6
	v_add3_u32 v19, v20, v19, v16
	v_mad_u64_u32 v[20:21], s[12:13], v83, v6, v[8:9]
	v_mul_lo_u32 v16, v83, v7
	v_mul_lo_u32 v22, v82, v6
	v_add3_u32 v21, v22, v21, v16
	s_mov_b64 s[40:41], 0
	v_mov_b64_e32 v[22:23], v[6:7]
                                        ; implicit-def: $sgpr42_sgpr43
                                        ; implicit-def: $sgpr44_sgpr45
                                        ; implicit-def: $sgpr48_sgpr49
                                        ; implicit-def: $sgpr46_sgpr47
                                        ; implicit-def: $sgpr12_sgpr13
	s_branch .LBB263_1237
.LBB263_1236:                           ;   in Loop: Header=BB263_1237 Depth=1
	s_or_b64 exec, exec, s[50:51]
	s_and_b64 s[50:51], exec, s[44:45]
	s_or_b64 s[40:41], s[50:51], s[40:41]
	s_andn2_b64 s[12:13], s[12:13], exec
	s_and_b64 s[50:51], s[46:47], exec
	s_or_b64 s[12:13], s[12:13], s[50:51]
	s_andn2_b64 s[42:43], s[42:43], exec
	s_and_b64 s[50:51], s[48:49], exec
	s_or_b64 s[42:43], s[42:43], s[50:51]
	s_andn2_b64 exec, exec, s[40:41]
	s_cbranch_execz .LBB263_1239
.LBB263_1237:                           ; =>This Inner Loop Header: Depth=1
	flat_load_ubyte v16, v[20:21]
	flat_load_ubyte v86, v[18:19]
	s_andn2_b64 s[48:49], s[48:49], exec
	s_andn2_b64 s[46:47], s[46:47], exec
	s_or_b64 s[44:45], s[44:45], exec
	s_waitcnt vmcnt(0) lgkmcnt(0)
	v_cmp_le_i16_sdwa s[52:53], sext(v16), sext(v86) src0_sel:BYTE_0 src1_sel:BYTE_0
	v_cmp_lt_i16_sdwa s[50:51], sext(v16), sext(v86) src0_sel:BYTE_0 src1_sel:BYTE_0
	s_and_b64 s[52:53], s[52:53], s[12:13]
	s_or_b64 s[52:53], s[50:51], s[52:53]
	s_and_b64 s[50:51], s[52:53], exec
	v_cmp_eq_u16_sdwa s[54:55], v16, v86 src0_sel:BYTE_0 src1_sel:BYTE_0
	s_or_b64 s[48:49], s[48:49], s[50:51]
	s_and_saveexec_b64 s[50:51], s[54:55]
	s_cbranch_execz .LBB263_1236
; %bb.1238:                             ;   in Loop: Header=BB263_1237 Depth=1
	v_lshl_add_u64 v[22:23], v[22:23], 0, -1
	v_cmp_eq_u64_e64 s[12:13], 0, v[22:23]
	s_andn2_b64 s[46:47], s[46:47], exec
	s_and_b64 s[52:53], s[52:53], exec
	s_andn2_b64 s[44:45], s[44:45], exec
	s_and_b64 s[12:13], s[12:13], exec
	v_lshl_add_u64 v[18:19], v[18:19], 0, 1
	v_lshl_add_u64 v[20:21], v[20:21], 0, 1
	s_or_b64 s[46:47], s[46:47], s[52:53]
	s_andn2_b64 s[48:49], s[48:49], exec
	s_or_b64 s[44:45], s[44:45], s[12:13]
                                        ; implicit-def: $sgpr12_sgpr13
	s_branch .LBB263_1236
.LBB263_1239:
	s_or_b64 exec, exec, s[40:41]
	s_xor_b64 s[12:13], s[42:43], -1
	s_orn2_b64 s[12:13], s[12:13], exec
.LBB263_1240:
	s_or_b64 exec, exec, s[38:39]
	s_and_b64 s[38:39], s[12:13], exec
.LBB263_1241:
	s_or_b64 exec, exec, s[26:27]
	s_orn2_b64 s[26:27], s[38:39], exec
.LBB263_1242:
	s_or_b64 exec, exec, s[28:29]
	v_cndmask_b32_e64 v16, v68, v69, s[26:27]
	v_cndmask_b32_e64 v18, v99, v98, s[26:27]
	v_add_u32_e32 v19, 1, v16
	v_add_u32_e32 v16, -1, v18
	v_min_u32_e32 v16, v19, v16
	v_lshl_add_u64 v[16:17], v[16:17], 3, v[64:65]
	flat_load_dwordx2 v[16:17], v[16:17]
	v_cndmask_b32_e64 v22, v19, v68, s[26:27]
	v_cndmask_b32_e64 v23, v69, v19, s[26:27]
	v_cmp_lt_u32_e64 s[12:13], v22, v99
	s_waitcnt vmcnt(0) lgkmcnt(0)
	v_cndmask_b32_e64 v86, v17, v82, s[26:27]
	v_cndmask_b32_e64 v87, v16, v83, s[26:27]
	;; [unrolled: 1-line block ×4, first 2 shown]
	s_and_saveexec_b64 s[28:29], s[12:13]
	s_cbranch_execz .LBB263_1252
; %bb.1243:
	v_cmp_lt_u32_e64 s[12:13], v23, v98
	s_mov_b64 s[38:39], 0
	s_and_saveexec_b64 s[24:25], s[12:13]
	s_cbranch_execz .LBB263_1251
; %bb.1244:
	s_mov_b64 s[12:13], -1
	s_and_saveexec_b64 s[38:39], s[8:9]
	s_cbranch_execz .LBB263_1250
; %bb.1245:
	v_mad_u64_u32 v[16:17], s[12:13], v97, v6, v[8:9]
	v_mul_lo_u32 v18, v97, v7
	v_mul_lo_u32 v19, v96, v6
	v_add3_u32 v17, v19, v17, v18
	v_mad_u64_u32 v[18:19], s[12:13], v87, v6, v[8:9]
	v_mul_lo_u32 v20, v87, v7
	v_mul_lo_u32 v21, v86, v6
	v_add3_u32 v19, v21, v19, v20
	s_mov_b64 s[40:41], 0
	v_mov_b64_e32 v[20:21], v[6:7]
                                        ; implicit-def: $sgpr42_sgpr43
                                        ; implicit-def: $sgpr44_sgpr45
                                        ; implicit-def: $sgpr48_sgpr49
                                        ; implicit-def: $sgpr46_sgpr47
                                        ; implicit-def: $sgpr12_sgpr13
	s_branch .LBB263_1247
.LBB263_1246:                           ;   in Loop: Header=BB263_1247 Depth=1
	s_or_b64 exec, exec, s[50:51]
	s_and_b64 s[50:51], exec, s[44:45]
	s_or_b64 s[40:41], s[50:51], s[40:41]
	s_andn2_b64 s[12:13], s[12:13], exec
	s_and_b64 s[50:51], s[46:47], exec
	s_or_b64 s[12:13], s[12:13], s[50:51]
	s_andn2_b64 s[42:43], s[42:43], exec
	s_and_b64 s[50:51], s[48:49], exec
	s_or_b64 s[42:43], s[42:43], s[50:51]
	s_andn2_b64 exec, exec, s[40:41]
	s_cbranch_execz .LBB263_1249
.LBB263_1247:                           ; =>This Inner Loop Header: Depth=1
	flat_load_ubyte v68, v[18:19]
	flat_load_ubyte v69, v[16:17]
	s_andn2_b64 s[48:49], s[48:49], exec
	s_andn2_b64 s[46:47], s[46:47], exec
	s_or_b64 s[44:45], s[44:45], exec
	s_waitcnt vmcnt(0) lgkmcnt(0)
	v_cmp_le_i16_sdwa s[52:53], sext(v68), sext(v69) src0_sel:BYTE_0 src1_sel:BYTE_0
	v_cmp_lt_i16_sdwa s[50:51], sext(v68), sext(v69) src0_sel:BYTE_0 src1_sel:BYTE_0
	s_and_b64 s[52:53], s[52:53], s[12:13]
	s_or_b64 s[52:53], s[50:51], s[52:53]
	s_and_b64 s[50:51], s[52:53], exec
	v_cmp_eq_u16_sdwa s[54:55], v68, v69 src0_sel:BYTE_0 src1_sel:BYTE_0
	s_or_b64 s[48:49], s[48:49], s[50:51]
	s_and_saveexec_b64 s[50:51], s[54:55]
	s_cbranch_execz .LBB263_1246
; %bb.1248:                             ;   in Loop: Header=BB263_1247 Depth=1
	v_lshl_add_u64 v[20:21], v[20:21], 0, -1
	v_cmp_eq_u64_e64 s[12:13], 0, v[20:21]
	s_andn2_b64 s[46:47], s[46:47], exec
	s_and_b64 s[52:53], s[52:53], exec
	s_andn2_b64 s[44:45], s[44:45], exec
	s_and_b64 s[12:13], s[12:13], exec
	v_lshl_add_u64 v[16:17], v[16:17], 0, 1
	v_lshl_add_u64 v[18:19], v[18:19], 0, 1
	s_or_b64 s[46:47], s[46:47], s[52:53]
	s_andn2_b64 s[48:49], s[48:49], exec
	s_or_b64 s[44:45], s[44:45], s[12:13]
                                        ; implicit-def: $sgpr12_sgpr13
	s_branch .LBB263_1246
.LBB263_1249:
	s_or_b64 exec, exec, s[40:41]
	s_xor_b64 s[12:13], s[42:43], -1
	s_orn2_b64 s[12:13], s[12:13], exec
.LBB263_1250:
	s_or_b64 exec, exec, s[38:39]
	s_and_b64 s[38:39], s[12:13], exec
.LBB263_1251:
	s_or_b64 exec, exec, s[24:25]
	s_orn2_b64 s[24:25], s[38:39], exec
.LBB263_1252:
	s_or_b64 exec, exec, s[28:29]
	v_cndmask_b32_e64 v16, v22, v23, s[24:25]
	v_cndmask_b32_e64 v17, v99, v98, s[24:25]
	v_add_u32_e32 v20, 1, v16
	v_add_u32_e32 v16, -1, v17
	v_min_u32_e32 v16, v20, v16
	v_mov_b32_e32 v17, 0
	v_lshl_add_u64 v[18:19], v[16:17], 3, v[64:65]
	flat_load_dwordx2 v[18:19], v[18:19]
	v_cndmask_b32_e64 v68, v20, v22, s[24:25]
	s_mov_b64 s[28:29], -1
	v_cndmask_b32_e64 v69, v23, v20, s[24:25]
	v_cmp_lt_u32_e64 s[12:13], v68, v99
	s_mov_b64 s[38:39], -1
	s_waitcnt vmcnt(0) lgkmcnt(0)
	v_cndmask_b32_e64 v100, v19, v86, s[24:25]
	v_cndmask_b32_e64 v101, v18, v87, s[24:25]
	;; [unrolled: 1-line block ×4, first 2 shown]
	s_and_saveexec_b64 s[40:41], s[12:13]
	s_cbranch_execz .LBB263_1262
; %bb.1253:
	v_cmp_lt_u32_e64 s[12:13], v69, v98
	s_mov_b64 s[42:43], 0
	s_and_saveexec_b64 s[38:39], s[12:13]
	s_cbranch_execz .LBB263_1261
; %bb.1254:
	s_mov_b64 s[12:13], -1
	s_and_saveexec_b64 s[42:43], s[8:9]
	s_cbranch_execz .LBB263_1260
; %bb.1255:
	v_mad_u64_u32 v[18:19], s[12:13], v103, v6, v[8:9]
	v_mul_lo_u32 v16, v103, v7
	v_mul_lo_u32 v20, v102, v6
	v_add3_u32 v19, v20, v19, v16
	v_mad_u64_u32 v[20:21], s[12:13], v101, v6, v[8:9]
	v_mul_lo_u32 v16, v101, v7
	v_mul_lo_u32 v22, v100, v6
	v_add3_u32 v21, v22, v21, v16
	s_mov_b64 s[44:45], 0
	v_mov_b64_e32 v[22:23], v[6:7]
                                        ; implicit-def: $sgpr46_sgpr47
                                        ; implicit-def: $sgpr48_sgpr49
                                        ; implicit-def: $sgpr52_sgpr53
                                        ; implicit-def: $sgpr50_sgpr51
                                        ; implicit-def: $sgpr12_sgpr13
	s_branch .LBB263_1257
.LBB263_1256:                           ;   in Loop: Header=BB263_1257 Depth=1
	s_or_b64 exec, exec, s[54:55]
	s_and_b64 s[54:55], exec, s[48:49]
	s_or_b64 s[44:45], s[54:55], s[44:45]
	s_andn2_b64 s[12:13], s[12:13], exec
	s_and_b64 s[54:55], s[50:51], exec
	s_or_b64 s[12:13], s[12:13], s[54:55]
	s_andn2_b64 s[46:47], s[46:47], exec
	s_and_b64 s[54:55], s[52:53], exec
	s_or_b64 s[46:47], s[46:47], s[54:55]
	s_andn2_b64 exec, exec, s[44:45]
	s_cbranch_execz .LBB263_1259
.LBB263_1257:                           ; =>This Inner Loop Header: Depth=1
	flat_load_ubyte v16, v[20:21]
	flat_load_ubyte v112, v[18:19]
	s_andn2_b64 s[52:53], s[52:53], exec
	s_andn2_b64 s[50:51], s[50:51], exec
	s_or_b64 s[48:49], s[48:49], exec
	s_waitcnt vmcnt(0) lgkmcnt(0)
	v_cmp_le_i16_sdwa s[56:57], sext(v16), sext(v112) src0_sel:BYTE_0 src1_sel:BYTE_0
	v_cmp_lt_i16_sdwa s[54:55], sext(v16), sext(v112) src0_sel:BYTE_0 src1_sel:BYTE_0
	s_and_b64 s[56:57], s[56:57], s[12:13]
	s_or_b64 s[56:57], s[54:55], s[56:57]
	s_and_b64 s[54:55], s[56:57], exec
	v_cmp_eq_u16_sdwa s[58:59], v16, v112 src0_sel:BYTE_0 src1_sel:BYTE_0
	s_or_b64 s[52:53], s[52:53], s[54:55]
	s_and_saveexec_b64 s[54:55], s[58:59]
	s_cbranch_execz .LBB263_1256
; %bb.1258:                             ;   in Loop: Header=BB263_1257 Depth=1
	v_lshl_add_u64 v[22:23], v[22:23], 0, -1
	v_cmp_eq_u64_e64 s[12:13], 0, v[22:23]
	s_andn2_b64 s[50:51], s[50:51], exec
	s_and_b64 s[56:57], s[56:57], exec
	s_andn2_b64 s[48:49], s[48:49], exec
	s_and_b64 s[12:13], s[12:13], exec
	v_lshl_add_u64 v[18:19], v[18:19], 0, 1
	v_lshl_add_u64 v[20:21], v[20:21], 0, 1
	s_or_b64 s[50:51], s[50:51], s[56:57]
	s_andn2_b64 s[52:53], s[52:53], exec
	s_or_b64 s[48:49], s[48:49], s[12:13]
                                        ; implicit-def: $sgpr12_sgpr13
	s_branch .LBB263_1256
.LBB263_1259:
	s_or_b64 exec, exec, s[44:45]
	s_xor_b64 s[12:13], s[46:47], -1
	s_orn2_b64 s[12:13], s[12:13], exec
.LBB263_1260:
	s_or_b64 exec, exec, s[42:43]
	s_and_b64 s[42:43], s[12:13], exec
.LBB263_1261:
	s_or_b64 exec, exec, s[38:39]
	s_orn2_b64 s[38:39], s[42:43], exec
.LBB263_1262:
	s_or_b64 exec, exec, s[40:41]
	v_cndmask_b32_e64 v16, v68, v69, s[38:39]
	v_cndmask_b32_e64 v18, v99, v98, s[38:39]
	v_add_u32_e32 v19, 1, v16
	v_add_u32_e32 v16, -1, v18
	v_min_u32_e32 v16, v19, v16
	v_lshl_add_u64 v[16:17], v[16:17], 3, v[64:65]
	flat_load_dwordx2 v[16:17], v[16:17]
	v_cndmask_b32_e64 v115, v19, v68, s[38:39]
	v_cndmask_b32_e64 v112, v69, v19, s[38:39]
	v_cmp_lt_u32_e64 s[12:13], v115, v99
	s_waitcnt vmcnt(0) lgkmcnt(0)
	v_cndmask_b32_e64 v113, v17, v100, s[38:39]
	v_cndmask_b32_e64 v114, v16, v101, s[38:39]
	v_cndmask_b32_e64 v116, v102, v17, s[38:39]
	v_cndmask_b32_e64 v117, v103, v16, s[38:39]
	s_and_saveexec_b64 s[40:41], s[12:13]
	s_cbranch_execz .LBB263_1272
; %bb.1263:
	v_cmp_lt_u32_e64 s[12:13], v112, v98
	s_mov_b64 s[42:43], 0
	s_and_saveexec_b64 s[28:29], s[12:13]
	s_cbranch_execz .LBB263_1271
; %bb.1264:
	s_mov_b64 s[12:13], -1
	s_and_saveexec_b64 s[42:43], s[8:9]
	s_cbranch_execz .LBB263_1270
; %bb.1265:
	v_mad_u64_u32 v[16:17], s[12:13], v117, v6, v[8:9]
	v_mul_lo_u32 v18, v117, v7
	v_mul_lo_u32 v19, v116, v6
	v_add3_u32 v17, v19, v17, v18
	v_mad_u64_u32 v[18:19], s[12:13], v114, v6, v[8:9]
	v_mul_lo_u32 v20, v114, v7
	v_mul_lo_u32 v21, v113, v6
	v_add3_u32 v19, v21, v19, v20
	s_mov_b64 s[44:45], 0
	v_mov_b64_e32 v[20:21], v[6:7]
                                        ; implicit-def: $sgpr46_sgpr47
                                        ; implicit-def: $sgpr48_sgpr49
                                        ; implicit-def: $sgpr52_sgpr53
                                        ; implicit-def: $sgpr50_sgpr51
                                        ; implicit-def: $sgpr12_sgpr13
	s_branch .LBB263_1267
.LBB263_1266:                           ;   in Loop: Header=BB263_1267 Depth=1
	s_or_b64 exec, exec, s[54:55]
	s_and_b64 s[54:55], exec, s[48:49]
	s_or_b64 s[44:45], s[54:55], s[44:45]
	s_andn2_b64 s[12:13], s[12:13], exec
	s_and_b64 s[54:55], s[50:51], exec
	s_or_b64 s[12:13], s[12:13], s[54:55]
	s_andn2_b64 s[46:47], s[46:47], exec
	s_and_b64 s[54:55], s[52:53], exec
	s_or_b64 s[46:47], s[46:47], s[54:55]
	s_andn2_b64 exec, exec, s[44:45]
	s_cbranch_execz .LBB263_1269
.LBB263_1267:                           ; =>This Inner Loop Header: Depth=1
	flat_load_ubyte v22, v[18:19]
	flat_load_ubyte v23, v[16:17]
	s_andn2_b64 s[52:53], s[52:53], exec
	s_andn2_b64 s[50:51], s[50:51], exec
	s_or_b64 s[48:49], s[48:49], exec
	s_waitcnt vmcnt(0) lgkmcnt(0)
	v_cmp_le_i16_sdwa s[56:57], sext(v22), sext(v23) src0_sel:BYTE_0 src1_sel:BYTE_0
	v_cmp_lt_i16_sdwa s[54:55], sext(v22), sext(v23) src0_sel:BYTE_0 src1_sel:BYTE_0
	s_and_b64 s[56:57], s[56:57], s[12:13]
	s_or_b64 s[56:57], s[54:55], s[56:57]
	s_and_b64 s[54:55], s[56:57], exec
	v_cmp_eq_u16_sdwa s[58:59], v22, v23 src0_sel:BYTE_0 src1_sel:BYTE_0
	s_or_b64 s[52:53], s[52:53], s[54:55]
	s_and_saveexec_b64 s[54:55], s[58:59]
	s_cbranch_execz .LBB263_1266
; %bb.1268:                             ;   in Loop: Header=BB263_1267 Depth=1
	v_lshl_add_u64 v[20:21], v[20:21], 0, -1
	v_cmp_eq_u64_e64 s[12:13], 0, v[20:21]
	s_andn2_b64 s[50:51], s[50:51], exec
	s_and_b64 s[56:57], s[56:57], exec
	s_andn2_b64 s[48:49], s[48:49], exec
	s_and_b64 s[12:13], s[12:13], exec
	v_lshl_add_u64 v[16:17], v[16:17], 0, 1
	v_lshl_add_u64 v[18:19], v[18:19], 0, 1
	s_or_b64 s[50:51], s[50:51], s[56:57]
	s_andn2_b64 s[52:53], s[52:53], exec
	s_or_b64 s[48:49], s[48:49], s[12:13]
                                        ; implicit-def: $sgpr12_sgpr13
	s_branch .LBB263_1266
.LBB263_1269:
	s_or_b64 exec, exec, s[44:45]
	s_xor_b64 s[12:13], s[46:47], -1
	s_orn2_b64 s[12:13], s[12:13], exec
.LBB263_1270:
	s_or_b64 exec, exec, s[42:43]
	s_and_b64 s[42:43], s[12:13], exec
.LBB263_1271:
	s_or_b64 exec, exec, s[28:29]
	s_orn2_b64 s[28:29], s[42:43], exec
.LBB263_1272:
	s_or_b64 exec, exec, s[40:41]
	v_cndmask_b32_e64 v16, v115, v112, s[28:29]
	v_cndmask_b32_e64 v17, v99, v98, s[28:29]
	v_add_u32_e32 v118, 1, v16
	v_add_u32_e32 v16, -1, v17
	v_min_u32_e32 v16, v118, v16
	v_mov_b32_e32 v17, 0
	v_lshl_add_u64 v[16:17], v[16:17], 3, v[64:65]
	flat_load_dwordx2 v[68:69], v[16:17]
	v_cndmask_b32_e64 v21, v27, v80, s[16:17]
	v_cndmask_b32_e64 v27, v24, v26, s[22:23]
	v_cndmask_b32_e64 v26, v25, v70, s[22:23]
	v_cndmask_b32_e64 v70, v118, v115, s[28:29]
	v_cndmask_b32_e64 v19, v100, v102, s[38:39]
	v_cndmask_b32_e64 v18, v101, v103, s[38:39]
	v_cndmask_b32_e64 v17, v86, v96, s[24:25]
	v_cndmask_b32_e64 v16, v87, v97, s[24:25]
	v_cndmask_b32_e64 v23, v82, v84, s[26:27]
	v_cndmask_b32_e64 v22, v83, v85, s[26:27]
	v_cndmask_b32_e64 v20, v71, v81, s[16:17]
	v_cndmask_b32_e64 v25, v15, v13, s[20:21]
	v_cndmask_b32_e64 v24, v14, v12, s[20:21]
	v_cndmask_b32_e64 v13, v113, v116, s[28:29]
	v_cndmask_b32_e64 v12, v114, v117, s[28:29]
	v_cmp_lt_u32_e64 s[12:13], v70, v99
	s_waitcnt vmcnt(0) lgkmcnt(0)
	v_cndmask_b32_e64 v15, v116, v69, s[28:29]
	v_cndmask_b32_e64 v14, v117, v68, s[28:29]
	s_and_saveexec_b64 s[16:17], s[12:13]
	s_cbranch_execz .LBB263_1282
; %bb.1273:
	v_cndmask_b32_e64 v70, v112, v118, s[28:29]
	v_cndmask_b32_e64 v69, v69, v113, s[28:29]
	;; [unrolled: 1-line block ×3, first 2 shown]
	v_cmp_lt_u32_e64 s[12:13], v70, v98
	s_and_saveexec_b64 s[20:21], s[12:13]
	s_cbranch_execz .LBB263_1281
; %bb.1274:
	s_and_saveexec_b64 s[22:23], s[8:9]
	s_cbranch_execz .LBB263_1280
; %bb.1275:
	v_mad_u64_u32 v[70:71], s[12:13], v14, v6, v[8:9]
	v_mul_lo_u32 v80, v14, v7
	v_mul_lo_u32 v81, v15, v6
	v_add3_u32 v71, v81, v71, v80
	v_mad_u64_u32 v[80:81], s[12:13], v68, v6, v[8:9]
	v_mul_lo_u32 v82, v68, v7
	v_mul_lo_u32 v83, v69, v6
	v_add3_u32 v81, v83, v81, v82
	s_mov_b64 s[24:25], 0
	v_mov_b64_e32 v[82:83], v[6:7]
                                        ; implicit-def: $sgpr26_sgpr27
                                        ; implicit-def: $sgpr28_sgpr29
                                        ; implicit-def: $sgpr40_sgpr41
                                        ; implicit-def: $sgpr38_sgpr39
                                        ; implicit-def: $sgpr12_sgpr13
	s_branch .LBB263_1277
.LBB263_1276:                           ;   in Loop: Header=BB263_1277 Depth=1
	s_or_b64 exec, exec, s[42:43]
	s_and_b64 s[42:43], exec, s[28:29]
	s_or_b64 s[24:25], s[42:43], s[24:25]
	s_andn2_b64 s[12:13], s[12:13], exec
	s_and_b64 s[42:43], s[38:39], exec
	s_or_b64 s[12:13], s[12:13], s[42:43]
	s_andn2_b64 s[26:27], s[26:27], exec
	s_and_b64 s[42:43], s[40:41], exec
	s_or_b64 s[26:27], s[26:27], s[42:43]
	s_andn2_b64 exec, exec, s[24:25]
	s_cbranch_execz .LBB263_1279
.LBB263_1277:                           ; =>This Inner Loop Header: Depth=1
	flat_load_ubyte v84, v[80:81]
	flat_load_ubyte v85, v[70:71]
	s_andn2_b64 s[40:41], s[40:41], exec
	s_andn2_b64 s[38:39], s[38:39], exec
	s_or_b64 s[28:29], s[28:29], exec
	s_waitcnt vmcnt(0) lgkmcnt(0)
	v_cmp_le_i16_sdwa s[44:45], sext(v84), sext(v85) src0_sel:BYTE_0 src1_sel:BYTE_0
	v_cmp_lt_i16_sdwa s[42:43], sext(v84), sext(v85) src0_sel:BYTE_0 src1_sel:BYTE_0
	s_and_b64 s[44:45], s[44:45], s[12:13]
	s_or_b64 s[44:45], s[42:43], s[44:45]
	s_and_b64 s[42:43], s[44:45], exec
	v_cmp_eq_u16_sdwa s[46:47], v84, v85 src0_sel:BYTE_0 src1_sel:BYTE_0
	s_or_b64 s[40:41], s[40:41], s[42:43]
	s_and_saveexec_b64 s[42:43], s[46:47]
	s_cbranch_execz .LBB263_1276
; %bb.1278:                             ;   in Loop: Header=BB263_1277 Depth=1
	v_lshl_add_u64 v[82:83], v[82:83], 0, -1
	v_cmp_eq_u64_e64 s[12:13], 0, v[82:83]
	s_andn2_b64 s[38:39], s[38:39], exec
	s_and_b64 s[44:45], s[44:45], exec
	s_andn2_b64 s[28:29], s[28:29], exec
	s_and_b64 s[12:13], s[12:13], exec
	v_lshl_add_u64 v[70:71], v[70:71], 0, 1
	v_lshl_add_u64 v[80:81], v[80:81], 0, 1
	s_or_b64 s[38:39], s[38:39], s[44:45]
	s_andn2_b64 s[40:41], s[40:41], exec
	s_or_b64 s[28:29], s[28:29], s[12:13]
                                        ; implicit-def: $sgpr12_sgpr13
	s_branch .LBB263_1276
.LBB263_1279:
	s_or_b64 exec, exec, s[24:25]
	v_cndmask_b32_e64 v15, v15, v69, s[26:27]
	v_cndmask_b32_e64 v14, v14, v68, s[26:27]
.LBB263_1280:
	s_or_b64 exec, exec, s[22:23]
	v_mov_b64_e32 v[68:69], v[14:15]
.LBB263_1281:
	s_or_b64 exec, exec, s[20:21]
	v_mov_b64_e32 v[14:15], v[68:69]
.LBB263_1282:
	s_or_b64 exec, exec, s[16:17]
.LBB263_1283:
	s_or_b64 exec, exec, s[18:19]
	v_and_b32_e32 v98, 0x380, v31
	; wave barrier
	flat_store_dwordx4 v[66:67], v[24:27]
	flat_store_dwordx4 v[66:67], v[20:23] offset:16
	flat_store_dwordx4 v[66:67], v[16:19] offset:32
	;; [unrolled: 1-line block ×3, first 2 shown]
	v_or_b32_e32 v66, 64, v98
	v_min_u32_e32 v96, v1, v66
	v_add_u32_e32 v66, 64, v96
	v_min_u32_e32 v97, v1, v66
	v_and_b32_e32 v31, 0x78, v31
	v_min_u32_e32 v1, v1, v31
	v_sub_u32_e32 v66, v96, v98
	v_sub_u32_e32 v31, v97, v96
	v_sub_u32_e64 v31, v1, v31 clamp
	v_min_u32_e32 v99, v1, v66
	v_cmp_lt_u32_e64 s[12:13], v31, v99
	; wave barrier
	s_and_saveexec_b64 s[16:17], s[12:13]
	s_cbranch_execz .LBB263_1293
; %bb.1284:
	v_lshlrev_b32_e32 v66, 3, v98
	v_mov_b32_e32 v67, 0
	v_lshl_add_u64 v[68:69], v[64:65], 0, v[66:67]
	v_lshlrev_b32_e32 v66, 3, v96
	v_lshl_add_u64 v[70:71], v[64:65], 0, v[66:67]
	s_mov_b64 s[18:19], 0
	s_branch .LBB263_1287
.LBB263_1285:                           ;   in Loop: Header=BB263_1287 Depth=1
	s_or_b64 exec, exec, s[22:23]
	s_and_b64 s[12:13], s[24:25], exec
.LBB263_1286:                           ;   in Loop: Header=BB263_1287 Depth=1
	s_or_b64 exec, exec, s[20:21]
	v_add_u32_e32 v66, 1, v80
	v_cndmask_b32_e64 v99, v99, v80, s[12:13]
	v_cndmask_b32_e64 v31, v66, v31, s[12:13]
	v_cmp_ge_u32_e64 s[12:13], v31, v99
	s_or_b64 s[18:19], s[12:13], s[18:19]
	s_andn2_b64 exec, exec, s[18:19]
	s_cbranch_execz .LBB263_1292
.LBB263_1287:                           ; =>This Loop Header: Depth=1
                                        ;     Child Loop BB263_1290 Depth 2
	v_add_u32_e32 v66, v99, v31
	v_lshrrev_b32_e32 v80, 1, v66
	s_mov_b64 s[12:13], 0
	s_and_saveexec_b64 s[20:21], s[8:9]
	s_cbranch_execz .LBB263_1286
; %bb.1288:                             ;   in Loop: Header=BB263_1287 Depth=1
	v_mov_b32_e32 v81, v67
	v_xad_u32 v66, v80, -1, v1
	v_lshl_add_u64 v[82:83], v[80:81], 3, v[68:69]
	v_lshl_add_u64 v[84:85], v[66:67], 3, v[70:71]
	flat_load_dwordx2 v[82:83], v[82:83]
	s_mov_b64 s[22:23], 0
	flat_load_dwordx2 v[84:85], v[84:85]
                                        ; implicit-def: $sgpr24_sgpr25
                                        ; implicit-def: $sgpr26_sgpr27
                                        ; implicit-def: $sgpr28_sgpr29
                                        ; implicit-def: $sgpr38_sgpr39
                                        ; implicit-def: $sgpr12_sgpr13
	s_waitcnt vmcnt(0) lgkmcnt(0)
	v_mul_lo_u32 v66, v82, v7
	v_mul_lo_u32 v81, v83, v6
	v_mad_u64_u32 v[82:83], s[40:41], v82, v6, v[8:9]
	v_mul_lo_u32 v86, v84, v7
	v_mul_lo_u32 v87, v85, v6
	v_mad_u64_u32 v[84:85], s[40:41], v84, v6, v[8:9]
	v_add3_u32 v83, v81, v83, v66
	v_add3_u32 v85, v87, v85, v86
	v_mov_b64_e32 v[86:87], v[6:7]
	s_branch .LBB263_1290
.LBB263_1289:                           ;   in Loop: Header=BB263_1290 Depth=2
	s_or_b64 exec, exec, s[40:41]
	s_and_b64 s[40:41], exec, s[26:27]
	s_or_b64 s[22:23], s[40:41], s[22:23]
	s_andn2_b64 s[12:13], s[12:13], exec
	s_and_b64 s[40:41], s[28:29], exec
	s_or_b64 s[12:13], s[12:13], s[40:41]
	s_andn2_b64 s[24:25], s[24:25], exec
	s_and_b64 s[40:41], s[38:39], exec
	s_or_b64 s[24:25], s[24:25], s[40:41]
	s_andn2_b64 exec, exec, s[22:23]
	s_cbranch_execz .LBB263_1285
.LBB263_1290:                           ;   Parent Loop BB263_1287 Depth=1
                                        ; =>  This Inner Loop Header: Depth=2
	flat_load_ubyte v66, v[84:85]
	flat_load_ubyte v81, v[82:83]
	s_andn2_b64 s[38:39], s[38:39], exec
	s_andn2_b64 s[28:29], s[28:29], exec
	s_or_b64 s[26:27], s[26:27], exec
	s_waitcnt vmcnt(0) lgkmcnt(0)
	v_cmp_le_i16_sdwa s[42:43], sext(v66), sext(v81) src0_sel:BYTE_0 src1_sel:BYTE_0
	v_cmp_lt_i16_sdwa s[40:41], sext(v66), sext(v81) src0_sel:BYTE_0 src1_sel:BYTE_0
	s_and_b64 s[42:43], s[42:43], s[12:13]
	s_or_b64 s[42:43], s[40:41], s[42:43]
	s_and_b64 s[40:41], s[42:43], exec
	v_cmp_eq_u16_sdwa s[44:45], v66, v81 src0_sel:BYTE_0 src1_sel:BYTE_0
	s_or_b64 s[38:39], s[38:39], s[40:41]
	s_and_saveexec_b64 s[40:41], s[44:45]
	s_cbranch_execz .LBB263_1289
; %bb.1291:                             ;   in Loop: Header=BB263_1290 Depth=2
	v_lshl_add_u64 v[86:87], v[86:87], 0, -1
	v_cmp_eq_u64_e64 s[12:13], 0, v[86:87]
	s_andn2_b64 s[28:29], s[28:29], exec
	s_and_b64 s[42:43], s[42:43], exec
	s_andn2_b64 s[26:27], s[26:27], exec
	s_and_b64 s[12:13], s[12:13], exec
	v_lshl_add_u64 v[82:83], v[82:83], 0, 1
	v_lshl_add_u64 v[84:85], v[84:85], 0, 1
	s_andn2_b64 s[38:39], s[38:39], exec
	s_or_b64 s[28:29], s[28:29], s[42:43]
	s_or_b64 s[26:27], s[26:27], s[12:13]
                                        ; implicit-def: $sgpr12_sgpr13
	s_branch .LBB263_1289
.LBB263_1292:
	s_or_b64 exec, exec, s[18:19]
.LBB263_1293:
	s_or_b64 exec, exec, s[16:17]
	v_add_u32_e32 v1, v96, v1
	v_add_u32_e32 v66, v31, v98
	v_sub_u32_e32 v68, v1, v31
	v_cmp_le_u32_e64 s[12:13], v66, v96
	v_cmp_le_u32_e64 s[16:17], v68, v97
	s_or_b64 s[12:13], s[12:13], s[16:17]
	s_and_saveexec_b64 s[18:19], s[12:13]
	s_cbranch_execz .LBB263_1377
; %bb.1294:
	v_cmp_ge_u32_e64 s[16:17], v66, v96
	v_cmp_lt_u32_e64 s[12:13], v66, v96
                                        ; implicit-def: $vgpr12_vgpr13
	s_and_saveexec_b64 s[20:21], s[12:13]
	s_cbranch_execz .LBB263_1296
; %bb.1295:
	v_mov_b32_e32 v67, 0
	v_lshl_add_u64 v[12:13], v[66:67], 3, v[64:65]
	flat_load_dwordx2 v[12:13], v[12:13]
.LBB263_1296:
	s_or_b64 exec, exec, s[20:21]
	v_cmp_ge_u32_e64 s[20:21], v68, v97
	v_cmp_lt_u32_e64 s[12:13], v68, v97
                                        ; implicit-def: $vgpr14_vgpr15
	s_and_saveexec_b64 s[22:23], s[12:13]
	s_cbranch_execz .LBB263_1298
; %bb.1297:
	v_mov_b32_e32 v69, 0
	v_lshl_add_u64 v[14:15], v[68:69], 3, v[64:65]
	flat_load_dwordx2 v[14:15], v[14:15]
.LBB263_1298:
	s_or_b64 exec, exec, s[22:23]
	s_or_b64 s[12:13], s[16:17], s[20:21]
	s_xor_b64 s[12:13], s[12:13], -1
	s_and_saveexec_b64 s[16:17], s[12:13]
	s_cbranch_execz .LBB263_1306
; %bb.1299:
	s_mov_b64 s[12:13], 0
	s_and_saveexec_b64 s[22:23], s[8:9]
	s_cbranch_execz .LBB263_1305
; %bb.1300:
	s_waitcnt vmcnt(0) lgkmcnt(0)
	v_mad_u64_u32 v[16:17], s[12:13], v12, v6, v[8:9]
	v_mul_lo_u32 v1, v12, v7
	v_mul_lo_u32 v18, v13, v6
	v_add3_u32 v17, v18, v17, v1
	v_mad_u64_u32 v[18:19], s[12:13], v14, v6, v[8:9]
	v_mul_lo_u32 v1, v14, v7
	v_mul_lo_u32 v20, v15, v6
	v_add3_u32 v19, v20, v19, v1
	s_mov_b64 s[24:25], 0
	v_mov_b64_e32 v[20:21], v[6:7]
                                        ; implicit-def: $sgpr26_sgpr27
                                        ; implicit-def: $sgpr28_sgpr29
                                        ; implicit-def: $sgpr38_sgpr39
                                        ; implicit-def: $sgpr40_sgpr41
                                        ; implicit-def: $sgpr12_sgpr13
	s_branch .LBB263_1302
.LBB263_1301:                           ;   in Loop: Header=BB263_1302 Depth=1
	s_or_b64 exec, exec, s[42:43]
	s_and_b64 s[42:43], exec, s[28:29]
	s_or_b64 s[24:25], s[42:43], s[24:25]
	s_andn2_b64 s[12:13], s[12:13], exec
	s_and_b64 s[42:43], s[38:39], exec
	s_or_b64 s[12:13], s[12:13], s[42:43]
	s_andn2_b64 s[26:27], s[26:27], exec
	s_and_b64 s[42:43], s[40:41], exec
	s_or_b64 s[26:27], s[26:27], s[42:43]
	s_andn2_b64 exec, exec, s[24:25]
	s_cbranch_execz .LBB263_1304
.LBB263_1302:                           ; =>This Inner Loop Header: Depth=1
	flat_load_ubyte v1, v[18:19]
	flat_load_ubyte v22, v[16:17]
	s_andn2_b64 s[40:41], s[40:41], exec
	s_andn2_b64 s[38:39], s[38:39], exec
	s_or_b64 s[28:29], s[28:29], exec
	s_waitcnt vmcnt(0) lgkmcnt(0)
	v_cmp_le_i16_sdwa s[44:45], sext(v1), sext(v22) src0_sel:BYTE_0 src1_sel:BYTE_0
	v_cmp_lt_i16_sdwa s[42:43], sext(v1), sext(v22) src0_sel:BYTE_0 src1_sel:BYTE_0
	s_and_b64 s[44:45], s[44:45], s[12:13]
	s_or_b64 s[44:45], s[42:43], s[44:45]
	s_and_b64 s[42:43], s[44:45], exec
	v_cmp_eq_u16_sdwa s[46:47], v1, v22 src0_sel:BYTE_0 src1_sel:BYTE_0
	s_or_b64 s[40:41], s[40:41], s[42:43]
	s_and_saveexec_b64 s[42:43], s[46:47]
	s_cbranch_execz .LBB263_1301
; %bb.1303:                             ;   in Loop: Header=BB263_1302 Depth=1
	v_lshl_add_u64 v[20:21], v[20:21], 0, -1
	v_cmp_eq_u64_e64 s[12:13], 0, v[20:21]
	s_andn2_b64 s[38:39], s[38:39], exec
	s_and_b64 s[44:45], s[44:45], exec
	s_andn2_b64 s[28:29], s[28:29], exec
	s_and_b64 s[12:13], s[12:13], exec
	v_lshl_add_u64 v[16:17], v[16:17], 0, 1
	v_lshl_add_u64 v[18:19], v[18:19], 0, 1
	s_andn2_b64 s[40:41], s[40:41], exec
	s_or_b64 s[38:39], s[38:39], s[44:45]
	s_or_b64 s[28:29], s[28:29], s[12:13]
                                        ; implicit-def: $sgpr12_sgpr13
	s_branch .LBB263_1301
.LBB263_1304:
	s_or_b64 exec, exec, s[24:25]
	s_and_b64 s[12:13], s[26:27], exec
.LBB263_1305:
	s_or_b64 exec, exec, s[22:23]
	s_xor_b64 s[12:13], s[12:13], -1
	s_andn2_b64 s[20:21], s[20:21], exec
	s_and_b64 s[12:13], s[12:13], exec
	s_or_b64 s[20:21], s[20:21], s[12:13]
.LBB263_1306:
	s_or_b64 exec, exec, s[16:17]
	v_cndmask_b32_e64 v1, v68, v66, s[20:21]
	v_cndmask_b32_e64 v16, v97, v96, s[20:21]
	v_add_u32_e32 v1, 1, v1
	v_add_u32_e32 v16, -1, v16
	v_min_u32_e32 v16, v1, v16
	v_mov_b32_e32 v17, 0
	v_lshl_add_u64 v[18:19], v[16:17], 3, v[64:65]
	flat_load_dwordx2 v[18:19], v[18:19]
	v_cndmask_b32_e64 v27, v1, v68, s[20:21]
	s_mov_b64 s[16:17], -1
	v_cndmask_b32_e64 v31, v66, v1, s[20:21]
	v_cmp_lt_u32_e64 s[12:13], v27, v97
	s_mov_b64 s[22:23], -1
	s_waitcnt vmcnt(0) lgkmcnt(0)
	v_cndmask_b32_e64 v1, v19, v15, s[20:21]
	v_cndmask_b32_e64 v24, v18, v14, s[20:21]
	;; [unrolled: 1-line block ×4, first 2 shown]
	s_and_saveexec_b64 s[24:25], s[12:13]
	s_cbranch_execz .LBB263_1316
; %bb.1307:
	v_cmp_lt_u32_e64 s[12:13], v31, v96
	s_mov_b64 s[26:27], 0
	s_and_saveexec_b64 s[22:23], s[12:13]
	s_cbranch_execz .LBB263_1315
; %bb.1308:
	s_mov_b64 s[12:13], 0
	s_and_saveexec_b64 s[26:27], s[8:9]
	s_cbranch_execz .LBB263_1314
; %bb.1309:
	v_mad_u64_u32 v[18:19], s[12:13], v26, v6, v[8:9]
	v_mul_lo_u32 v16, v26, v7
	v_mul_lo_u32 v20, v25, v6
	v_add3_u32 v19, v20, v19, v16
	v_mad_u64_u32 v[20:21], s[12:13], v24, v6, v[8:9]
	v_mul_lo_u32 v16, v24, v7
	v_mul_lo_u32 v22, v1, v6
	v_add3_u32 v21, v22, v21, v16
	s_mov_b64 s[28:29], 0
	v_mov_b64_e32 v[22:23], v[6:7]
                                        ; implicit-def: $sgpr38_sgpr39
                                        ; implicit-def: $sgpr40_sgpr41
                                        ; implicit-def: $sgpr42_sgpr43
                                        ; implicit-def: $sgpr44_sgpr45
                                        ; implicit-def: $sgpr12_sgpr13
	s_branch .LBB263_1311
.LBB263_1310:                           ;   in Loop: Header=BB263_1311 Depth=1
	s_or_b64 exec, exec, s[46:47]
	s_and_b64 s[46:47], exec, s[40:41]
	s_or_b64 s[28:29], s[46:47], s[28:29]
	s_andn2_b64 s[12:13], s[12:13], exec
	s_and_b64 s[46:47], s[42:43], exec
	s_or_b64 s[12:13], s[12:13], s[46:47]
	s_andn2_b64 s[38:39], s[38:39], exec
	s_and_b64 s[46:47], s[44:45], exec
	s_or_b64 s[38:39], s[38:39], s[46:47]
	s_andn2_b64 exec, exec, s[28:29]
	s_cbranch_execz .LBB263_1313
.LBB263_1311:                           ; =>This Inner Loop Header: Depth=1
	flat_load_ubyte v16, v[20:21]
	flat_load_ubyte v66, v[18:19]
	s_andn2_b64 s[44:45], s[44:45], exec
	s_andn2_b64 s[42:43], s[42:43], exec
	s_or_b64 s[40:41], s[40:41], exec
	s_waitcnt vmcnt(0) lgkmcnt(0)
	v_cmp_le_i16_sdwa s[48:49], sext(v16), sext(v66) src0_sel:BYTE_0 src1_sel:BYTE_0
	v_cmp_lt_i16_sdwa s[46:47], sext(v16), sext(v66) src0_sel:BYTE_0 src1_sel:BYTE_0
	s_and_b64 s[48:49], s[48:49], s[12:13]
	s_or_b64 s[48:49], s[46:47], s[48:49]
	s_and_b64 s[46:47], s[48:49], exec
	v_cmp_eq_u16_sdwa s[50:51], v16, v66 src0_sel:BYTE_0 src1_sel:BYTE_0
	s_or_b64 s[44:45], s[44:45], s[46:47]
	s_and_saveexec_b64 s[46:47], s[50:51]
	s_cbranch_execz .LBB263_1310
; %bb.1312:                             ;   in Loop: Header=BB263_1311 Depth=1
	v_lshl_add_u64 v[22:23], v[22:23], 0, -1
	v_cmp_eq_u64_e64 s[12:13], 0, v[22:23]
	s_andn2_b64 s[42:43], s[42:43], exec
	s_and_b64 s[48:49], s[48:49], exec
	s_andn2_b64 s[40:41], s[40:41], exec
	s_and_b64 s[12:13], s[12:13], exec
	v_lshl_add_u64 v[18:19], v[18:19], 0, 1
	v_lshl_add_u64 v[20:21], v[20:21], 0, 1
	s_andn2_b64 s[44:45], s[44:45], exec
	s_or_b64 s[42:43], s[42:43], s[48:49]
	s_or_b64 s[40:41], s[40:41], s[12:13]
                                        ; implicit-def: $sgpr12_sgpr13
	s_branch .LBB263_1310
.LBB263_1313:
	s_or_b64 exec, exec, s[28:29]
	s_and_b64 s[12:13], s[38:39], exec
.LBB263_1314:
	s_or_b64 exec, exec, s[26:27]
	s_xor_b64 s[12:13], s[12:13], -1
	s_and_b64 s[26:27], s[12:13], exec
.LBB263_1315:
	s_or_b64 exec, exec, s[22:23]
	s_orn2_b64 s[22:23], s[26:27], exec
.LBB263_1316:
	s_or_b64 exec, exec, s[24:25]
	v_cndmask_b32_e64 v16, v27, v31, s[22:23]
	v_cndmask_b32_e64 v18, v97, v96, s[22:23]
	v_add_u32_e32 v19, 1, v16
	v_add_u32_e32 v16, -1, v18
	v_min_u32_e32 v16, v19, v16
	v_lshl_add_u64 v[16:17], v[16:17], 3, v[64:65]
	flat_load_dwordx2 v[16:17], v[16:17]
	v_cndmask_b32_e64 v22, v19, v27, s[22:23]
	v_cndmask_b32_e64 v23, v31, v19, s[22:23]
	v_cmp_lt_u32_e64 s[12:13], v22, v97
	s_waitcnt vmcnt(0) lgkmcnt(0)
	v_cndmask_b32_e64 v27, v17, v1, s[22:23]
	v_cndmask_b32_e64 v31, v16, v24, s[22:23]
	;; [unrolled: 1-line block ×4, first 2 shown]
	s_and_saveexec_b64 s[24:25], s[12:13]
	s_cbranch_execz .LBB263_1326
; %bb.1317:
	v_cmp_lt_u32_e64 s[12:13], v23, v96
	s_mov_b64 s[26:27], 0
	s_and_saveexec_b64 s[16:17], s[12:13]
	s_cbranch_execz .LBB263_1325
; %bb.1318:
	s_mov_b64 s[12:13], 0
	s_and_saveexec_b64 s[26:27], s[8:9]
	s_cbranch_execz .LBB263_1324
; %bb.1319:
	v_mad_u64_u32 v[16:17], s[12:13], v67, v6, v[8:9]
	v_mul_lo_u32 v18, v67, v7
	v_mul_lo_u32 v19, v66, v6
	v_add3_u32 v17, v19, v17, v18
	v_mad_u64_u32 v[18:19], s[12:13], v31, v6, v[8:9]
	v_mul_lo_u32 v20, v31, v7
	v_mul_lo_u32 v21, v27, v6
	v_add3_u32 v19, v21, v19, v20
	s_mov_b64 s[28:29], 0
	v_mov_b64_e32 v[20:21], v[6:7]
                                        ; implicit-def: $sgpr38_sgpr39
                                        ; implicit-def: $sgpr40_sgpr41
                                        ; implicit-def: $sgpr42_sgpr43
                                        ; implicit-def: $sgpr44_sgpr45
                                        ; implicit-def: $sgpr12_sgpr13
	s_branch .LBB263_1321
.LBB263_1320:                           ;   in Loop: Header=BB263_1321 Depth=1
	s_or_b64 exec, exec, s[46:47]
	s_and_b64 s[46:47], exec, s[40:41]
	s_or_b64 s[28:29], s[46:47], s[28:29]
	s_andn2_b64 s[12:13], s[12:13], exec
	s_and_b64 s[46:47], s[42:43], exec
	s_or_b64 s[12:13], s[12:13], s[46:47]
	s_andn2_b64 s[38:39], s[38:39], exec
	s_and_b64 s[46:47], s[44:45], exec
	s_or_b64 s[38:39], s[38:39], s[46:47]
	s_andn2_b64 exec, exec, s[28:29]
	s_cbranch_execz .LBB263_1323
.LBB263_1321:                           ; =>This Inner Loop Header: Depth=1
	flat_load_ubyte v68, v[18:19]
	flat_load_ubyte v69, v[16:17]
	s_andn2_b64 s[44:45], s[44:45], exec
	s_andn2_b64 s[42:43], s[42:43], exec
	s_or_b64 s[40:41], s[40:41], exec
	s_waitcnt vmcnt(0) lgkmcnt(0)
	v_cmp_le_i16_sdwa s[48:49], sext(v68), sext(v69) src0_sel:BYTE_0 src1_sel:BYTE_0
	v_cmp_lt_i16_sdwa s[46:47], sext(v68), sext(v69) src0_sel:BYTE_0 src1_sel:BYTE_0
	s_and_b64 s[48:49], s[48:49], s[12:13]
	s_or_b64 s[48:49], s[46:47], s[48:49]
	s_and_b64 s[46:47], s[48:49], exec
	v_cmp_eq_u16_sdwa s[50:51], v68, v69 src0_sel:BYTE_0 src1_sel:BYTE_0
	s_or_b64 s[44:45], s[44:45], s[46:47]
	s_and_saveexec_b64 s[46:47], s[50:51]
	s_cbranch_execz .LBB263_1320
; %bb.1322:                             ;   in Loop: Header=BB263_1321 Depth=1
	v_lshl_add_u64 v[20:21], v[20:21], 0, -1
	v_cmp_eq_u64_e64 s[12:13], 0, v[20:21]
	s_andn2_b64 s[42:43], s[42:43], exec
	s_and_b64 s[48:49], s[48:49], exec
	s_andn2_b64 s[40:41], s[40:41], exec
	s_and_b64 s[12:13], s[12:13], exec
	v_lshl_add_u64 v[16:17], v[16:17], 0, 1
	v_lshl_add_u64 v[18:19], v[18:19], 0, 1
	s_andn2_b64 s[44:45], s[44:45], exec
	s_or_b64 s[42:43], s[42:43], s[48:49]
	s_or_b64 s[40:41], s[40:41], s[12:13]
                                        ; implicit-def: $sgpr12_sgpr13
	s_branch .LBB263_1320
.LBB263_1323:
	s_or_b64 exec, exec, s[28:29]
	s_and_b64 s[12:13], s[38:39], exec
.LBB263_1324:
	s_or_b64 exec, exec, s[26:27]
	s_xor_b64 s[12:13], s[12:13], -1
	s_and_b64 s[26:27], s[12:13], exec
.LBB263_1325:
	s_or_b64 exec, exec, s[16:17]
	s_orn2_b64 s[16:17], s[26:27], exec
.LBB263_1326:
	s_or_b64 exec, exec, s[24:25]
	v_cndmask_b32_e64 v16, v22, v23, s[16:17]
	v_cndmask_b32_e64 v17, v97, v96, s[16:17]
	v_add_u32_e32 v20, 1, v16
	v_add_u32_e32 v16, -1, v17
	v_min_u32_e32 v16, v20, v16
	v_mov_b32_e32 v17, 0
	v_lshl_add_u64 v[18:19], v[16:17], 3, v[64:65]
	flat_load_dwordx2 v[18:19], v[18:19]
	v_cndmask_b32_e64 v80, v20, v22, s[16:17]
	s_mov_b64 s[24:25], -1
	v_cndmask_b32_e64 v81, v23, v20, s[16:17]
	v_cmp_lt_u32_e64 s[12:13], v80, v97
	s_mov_b64 s[26:27], -1
	s_waitcnt vmcnt(0) lgkmcnt(0)
	v_cndmask_b32_e64 v68, v19, v27, s[16:17]
	v_cndmask_b32_e64 v69, v18, v31, s[16:17]
	v_cndmask_b32_e64 v70, v66, v19, s[16:17]
	v_cndmask_b32_e64 v71, v67, v18, s[16:17]
	s_and_saveexec_b64 s[28:29], s[12:13]
	s_cbranch_execz .LBB263_1336
; %bb.1327:
	v_cmp_lt_u32_e64 s[12:13], v81, v96
	s_mov_b64 s[38:39], 0
	s_and_saveexec_b64 s[26:27], s[12:13]
	s_cbranch_execz .LBB263_1335
; %bb.1328:
	s_mov_b64 s[12:13], -1
	s_and_saveexec_b64 s[38:39], s[8:9]
	s_cbranch_execz .LBB263_1334
; %bb.1329:
	v_mad_u64_u32 v[18:19], s[12:13], v71, v6, v[8:9]
	v_mul_lo_u32 v16, v71, v7
	v_mul_lo_u32 v20, v70, v6
	v_add3_u32 v19, v20, v19, v16
	v_mad_u64_u32 v[20:21], s[12:13], v69, v6, v[8:9]
	v_mul_lo_u32 v16, v69, v7
	v_mul_lo_u32 v22, v68, v6
	v_add3_u32 v21, v22, v21, v16
	s_mov_b64 s[40:41], 0
	v_mov_b64_e32 v[22:23], v[6:7]
                                        ; implicit-def: $sgpr42_sgpr43
                                        ; implicit-def: $sgpr44_sgpr45
                                        ; implicit-def: $sgpr48_sgpr49
                                        ; implicit-def: $sgpr46_sgpr47
                                        ; implicit-def: $sgpr12_sgpr13
	s_branch .LBB263_1331
.LBB263_1330:                           ;   in Loop: Header=BB263_1331 Depth=1
	s_or_b64 exec, exec, s[50:51]
	s_and_b64 s[50:51], exec, s[44:45]
	s_or_b64 s[40:41], s[50:51], s[40:41]
	s_andn2_b64 s[12:13], s[12:13], exec
	s_and_b64 s[50:51], s[46:47], exec
	s_or_b64 s[12:13], s[12:13], s[50:51]
	s_andn2_b64 s[42:43], s[42:43], exec
	s_and_b64 s[50:51], s[48:49], exec
	s_or_b64 s[42:43], s[42:43], s[50:51]
	s_andn2_b64 exec, exec, s[40:41]
	s_cbranch_execz .LBB263_1333
.LBB263_1331:                           ; =>This Inner Loop Header: Depth=1
	flat_load_ubyte v16, v[20:21]
	flat_load_ubyte v82, v[18:19]
	s_andn2_b64 s[48:49], s[48:49], exec
	s_andn2_b64 s[46:47], s[46:47], exec
	s_or_b64 s[44:45], s[44:45], exec
	s_waitcnt vmcnt(0) lgkmcnt(0)
	v_cmp_le_i16_sdwa s[52:53], sext(v16), sext(v82) src0_sel:BYTE_0 src1_sel:BYTE_0
	v_cmp_lt_i16_sdwa s[50:51], sext(v16), sext(v82) src0_sel:BYTE_0 src1_sel:BYTE_0
	s_and_b64 s[52:53], s[52:53], s[12:13]
	s_or_b64 s[52:53], s[50:51], s[52:53]
	s_and_b64 s[50:51], s[52:53], exec
	v_cmp_eq_u16_sdwa s[54:55], v16, v82 src0_sel:BYTE_0 src1_sel:BYTE_0
	s_or_b64 s[48:49], s[48:49], s[50:51]
	s_and_saveexec_b64 s[50:51], s[54:55]
	s_cbranch_execz .LBB263_1330
; %bb.1332:                             ;   in Loop: Header=BB263_1331 Depth=1
	v_lshl_add_u64 v[22:23], v[22:23], 0, -1
	v_cmp_eq_u64_e64 s[12:13], 0, v[22:23]
	s_andn2_b64 s[46:47], s[46:47], exec
	s_and_b64 s[52:53], s[52:53], exec
	s_andn2_b64 s[44:45], s[44:45], exec
	s_and_b64 s[12:13], s[12:13], exec
	v_lshl_add_u64 v[18:19], v[18:19], 0, 1
	v_lshl_add_u64 v[20:21], v[20:21], 0, 1
	s_or_b64 s[46:47], s[46:47], s[52:53]
	s_andn2_b64 s[48:49], s[48:49], exec
	s_or_b64 s[44:45], s[44:45], s[12:13]
                                        ; implicit-def: $sgpr12_sgpr13
	s_branch .LBB263_1330
.LBB263_1333:
	s_or_b64 exec, exec, s[40:41]
	s_xor_b64 s[12:13], s[42:43], -1
	s_orn2_b64 s[12:13], s[12:13], exec
.LBB263_1334:
	s_or_b64 exec, exec, s[38:39]
	s_and_b64 s[38:39], s[12:13], exec
.LBB263_1335:
	s_or_b64 exec, exec, s[26:27]
	s_orn2_b64 s[26:27], s[38:39], exec
.LBB263_1336:
	s_or_b64 exec, exec, s[28:29]
	v_cndmask_b32_e64 v16, v80, v81, s[26:27]
	v_cndmask_b32_e64 v18, v97, v96, s[26:27]
	v_add_u32_e32 v19, 1, v16
	v_add_u32_e32 v16, -1, v18
	v_min_u32_e32 v16, v19, v16
	v_lshl_add_u64 v[16:17], v[16:17], 3, v[64:65]
	flat_load_dwordx2 v[16:17], v[16:17]
	v_cndmask_b32_e64 v22, v19, v80, s[26:27]
	v_cndmask_b32_e64 v23, v81, v19, s[26:27]
	v_cmp_lt_u32_e64 s[12:13], v22, v97
	s_waitcnt vmcnt(0) lgkmcnt(0)
	v_cndmask_b32_e64 v80, v17, v68, s[26:27]
	v_cndmask_b32_e64 v81, v16, v69, s[26:27]
	v_cndmask_b32_e64 v82, v70, v17, s[26:27]
	v_cndmask_b32_e64 v83, v71, v16, s[26:27]
	s_and_saveexec_b64 s[28:29], s[12:13]
	s_cbranch_execz .LBB263_1346
; %bb.1337:
	v_cmp_lt_u32_e64 s[12:13], v23, v96
	s_mov_b64 s[38:39], 0
	s_and_saveexec_b64 s[24:25], s[12:13]
	s_cbranch_execz .LBB263_1345
; %bb.1338:
	s_mov_b64 s[12:13], -1
	s_and_saveexec_b64 s[38:39], s[8:9]
	s_cbranch_execz .LBB263_1344
; %bb.1339:
	v_mad_u64_u32 v[16:17], s[12:13], v83, v6, v[8:9]
	v_mul_lo_u32 v18, v83, v7
	v_mul_lo_u32 v19, v82, v6
	v_add3_u32 v17, v19, v17, v18
	v_mad_u64_u32 v[18:19], s[12:13], v81, v6, v[8:9]
	v_mul_lo_u32 v20, v81, v7
	v_mul_lo_u32 v21, v80, v6
	v_add3_u32 v19, v21, v19, v20
	s_mov_b64 s[40:41], 0
	v_mov_b64_e32 v[20:21], v[6:7]
                                        ; implicit-def: $sgpr42_sgpr43
                                        ; implicit-def: $sgpr44_sgpr45
                                        ; implicit-def: $sgpr48_sgpr49
                                        ; implicit-def: $sgpr46_sgpr47
                                        ; implicit-def: $sgpr12_sgpr13
	s_branch .LBB263_1341
.LBB263_1340:                           ;   in Loop: Header=BB263_1341 Depth=1
	s_or_b64 exec, exec, s[50:51]
	s_and_b64 s[50:51], exec, s[44:45]
	s_or_b64 s[40:41], s[50:51], s[40:41]
	s_andn2_b64 s[12:13], s[12:13], exec
	s_and_b64 s[50:51], s[46:47], exec
	s_or_b64 s[12:13], s[12:13], s[50:51]
	s_andn2_b64 s[42:43], s[42:43], exec
	s_and_b64 s[50:51], s[48:49], exec
	s_or_b64 s[42:43], s[42:43], s[50:51]
	s_andn2_b64 exec, exec, s[40:41]
	s_cbranch_execz .LBB263_1343
.LBB263_1341:                           ; =>This Inner Loop Header: Depth=1
	flat_load_ubyte v84, v[18:19]
	flat_load_ubyte v85, v[16:17]
	s_andn2_b64 s[48:49], s[48:49], exec
	s_andn2_b64 s[46:47], s[46:47], exec
	s_or_b64 s[44:45], s[44:45], exec
	s_waitcnt vmcnt(0) lgkmcnt(0)
	v_cmp_le_i16_sdwa s[52:53], sext(v84), sext(v85) src0_sel:BYTE_0 src1_sel:BYTE_0
	v_cmp_lt_i16_sdwa s[50:51], sext(v84), sext(v85) src0_sel:BYTE_0 src1_sel:BYTE_0
	s_and_b64 s[52:53], s[52:53], s[12:13]
	s_or_b64 s[52:53], s[50:51], s[52:53]
	s_and_b64 s[50:51], s[52:53], exec
	v_cmp_eq_u16_sdwa s[54:55], v84, v85 src0_sel:BYTE_0 src1_sel:BYTE_0
	s_or_b64 s[48:49], s[48:49], s[50:51]
	s_and_saveexec_b64 s[50:51], s[54:55]
	s_cbranch_execz .LBB263_1340
; %bb.1342:                             ;   in Loop: Header=BB263_1341 Depth=1
	v_lshl_add_u64 v[20:21], v[20:21], 0, -1
	v_cmp_eq_u64_e64 s[12:13], 0, v[20:21]
	s_andn2_b64 s[46:47], s[46:47], exec
	s_and_b64 s[52:53], s[52:53], exec
	s_andn2_b64 s[44:45], s[44:45], exec
	s_and_b64 s[12:13], s[12:13], exec
	v_lshl_add_u64 v[16:17], v[16:17], 0, 1
	v_lshl_add_u64 v[18:19], v[18:19], 0, 1
	s_or_b64 s[46:47], s[46:47], s[52:53]
	s_andn2_b64 s[48:49], s[48:49], exec
	s_or_b64 s[44:45], s[44:45], s[12:13]
                                        ; implicit-def: $sgpr12_sgpr13
	s_branch .LBB263_1340
.LBB263_1343:
	s_or_b64 exec, exec, s[40:41]
	s_xor_b64 s[12:13], s[42:43], -1
	s_orn2_b64 s[12:13], s[12:13], exec
.LBB263_1344:
	s_or_b64 exec, exec, s[38:39]
	s_and_b64 s[38:39], s[12:13], exec
.LBB263_1345:
	s_or_b64 exec, exec, s[24:25]
	s_orn2_b64 s[24:25], s[38:39], exec
.LBB263_1346:
	s_or_b64 exec, exec, s[28:29]
	v_cndmask_b32_e64 v16, v22, v23, s[24:25]
	v_cndmask_b32_e64 v17, v97, v96, s[24:25]
	v_add_u32_e32 v20, 1, v16
	v_add_u32_e32 v16, -1, v17
	v_min_u32_e32 v16, v20, v16
	v_mov_b32_e32 v17, 0
	v_lshl_add_u64 v[18:19], v[16:17], 3, v[64:65]
	flat_load_dwordx2 v[18:19], v[18:19]
	v_cndmask_b32_e64 v98, v20, v22, s[24:25]
	s_mov_b64 s[28:29], -1
	v_cndmask_b32_e64 v99, v23, v20, s[24:25]
	v_cmp_lt_u32_e64 s[12:13], v98, v97
	s_mov_b64 s[38:39], -1
	s_waitcnt vmcnt(0) lgkmcnt(0)
	v_cndmask_b32_e64 v84, v19, v80, s[24:25]
	v_cndmask_b32_e64 v85, v18, v81, s[24:25]
	;; [unrolled: 1-line block ×4, first 2 shown]
	s_and_saveexec_b64 s[40:41], s[12:13]
	s_cbranch_execz .LBB263_1356
; %bb.1347:
	v_cmp_lt_u32_e64 s[12:13], v99, v96
	s_mov_b64 s[42:43], 0
	s_and_saveexec_b64 s[38:39], s[12:13]
	s_cbranch_execz .LBB263_1355
; %bb.1348:
	s_mov_b64 s[12:13], -1
	s_and_saveexec_b64 s[42:43], s[8:9]
	s_cbranch_execz .LBB263_1354
; %bb.1349:
	v_mad_u64_u32 v[18:19], s[12:13], v87, v6, v[8:9]
	v_mul_lo_u32 v16, v87, v7
	v_mul_lo_u32 v20, v86, v6
	v_add3_u32 v19, v20, v19, v16
	v_mad_u64_u32 v[20:21], s[12:13], v85, v6, v[8:9]
	v_mul_lo_u32 v16, v85, v7
	v_mul_lo_u32 v22, v84, v6
	v_add3_u32 v21, v22, v21, v16
	s_mov_b64 s[44:45], 0
	v_mov_b64_e32 v[22:23], v[6:7]
                                        ; implicit-def: $sgpr46_sgpr47
                                        ; implicit-def: $sgpr48_sgpr49
                                        ; implicit-def: $sgpr52_sgpr53
                                        ; implicit-def: $sgpr50_sgpr51
                                        ; implicit-def: $sgpr12_sgpr13
	s_branch .LBB263_1351
.LBB263_1350:                           ;   in Loop: Header=BB263_1351 Depth=1
	s_or_b64 exec, exec, s[54:55]
	s_and_b64 s[54:55], exec, s[48:49]
	s_or_b64 s[44:45], s[54:55], s[44:45]
	s_andn2_b64 s[12:13], s[12:13], exec
	s_and_b64 s[54:55], s[50:51], exec
	s_or_b64 s[12:13], s[12:13], s[54:55]
	s_andn2_b64 s[46:47], s[46:47], exec
	s_and_b64 s[54:55], s[52:53], exec
	s_or_b64 s[46:47], s[46:47], s[54:55]
	s_andn2_b64 exec, exec, s[44:45]
	s_cbranch_execz .LBB263_1353
.LBB263_1351:                           ; =>This Inner Loop Header: Depth=1
	flat_load_ubyte v16, v[20:21]
	flat_load_ubyte v100, v[18:19]
	s_andn2_b64 s[52:53], s[52:53], exec
	s_andn2_b64 s[50:51], s[50:51], exec
	s_or_b64 s[48:49], s[48:49], exec
	s_waitcnt vmcnt(0) lgkmcnt(0)
	v_cmp_le_i16_sdwa s[56:57], sext(v16), sext(v100) src0_sel:BYTE_0 src1_sel:BYTE_0
	v_cmp_lt_i16_sdwa s[54:55], sext(v16), sext(v100) src0_sel:BYTE_0 src1_sel:BYTE_0
	s_and_b64 s[56:57], s[56:57], s[12:13]
	s_or_b64 s[56:57], s[54:55], s[56:57]
	s_and_b64 s[54:55], s[56:57], exec
	v_cmp_eq_u16_sdwa s[58:59], v16, v100 src0_sel:BYTE_0 src1_sel:BYTE_0
	s_or_b64 s[52:53], s[52:53], s[54:55]
	s_and_saveexec_b64 s[54:55], s[58:59]
	s_cbranch_execz .LBB263_1350
; %bb.1352:                             ;   in Loop: Header=BB263_1351 Depth=1
	v_lshl_add_u64 v[22:23], v[22:23], 0, -1
	v_cmp_eq_u64_e64 s[12:13], 0, v[22:23]
	s_andn2_b64 s[50:51], s[50:51], exec
	s_and_b64 s[56:57], s[56:57], exec
	s_andn2_b64 s[48:49], s[48:49], exec
	s_and_b64 s[12:13], s[12:13], exec
	v_lshl_add_u64 v[18:19], v[18:19], 0, 1
	v_lshl_add_u64 v[20:21], v[20:21], 0, 1
	s_or_b64 s[50:51], s[50:51], s[56:57]
	s_andn2_b64 s[52:53], s[52:53], exec
	s_or_b64 s[48:49], s[48:49], s[12:13]
                                        ; implicit-def: $sgpr12_sgpr13
	s_branch .LBB263_1350
.LBB263_1353:
	s_or_b64 exec, exec, s[44:45]
	s_xor_b64 s[12:13], s[46:47], -1
	s_orn2_b64 s[12:13], s[12:13], exec
.LBB263_1354:
	s_or_b64 exec, exec, s[42:43]
	s_and_b64 s[42:43], s[12:13], exec
.LBB263_1355:
	s_or_b64 exec, exec, s[38:39]
	s_orn2_b64 s[38:39], s[42:43], exec
.LBB263_1356:
	s_or_b64 exec, exec, s[40:41]
	v_cndmask_b32_e64 v16, v98, v99, s[38:39]
	v_cndmask_b32_e64 v18, v97, v96, s[38:39]
	v_add_u32_e32 v19, 1, v16
	v_add_u32_e32 v16, -1, v18
	v_min_u32_e32 v16, v19, v16
	v_lshl_add_u64 v[16:17], v[16:17], 3, v[64:65]
	flat_load_dwordx2 v[16:17], v[16:17]
	v_cndmask_b32_e64 v101, v19, v98, s[38:39]
	v_cndmask_b32_e64 v98, v99, v19, s[38:39]
	v_cmp_lt_u32_e64 s[12:13], v101, v97
	s_waitcnt vmcnt(0) lgkmcnt(0)
	v_cndmask_b32_e64 v99, v17, v84, s[38:39]
	v_cndmask_b32_e64 v100, v16, v85, s[38:39]
	v_cndmask_b32_e64 v102, v86, v17, s[38:39]
	v_cndmask_b32_e64 v103, v87, v16, s[38:39]
	s_and_saveexec_b64 s[40:41], s[12:13]
	s_cbranch_execz .LBB263_1366
; %bb.1357:
	v_cmp_lt_u32_e64 s[12:13], v98, v96
	s_mov_b64 s[42:43], 0
	s_and_saveexec_b64 s[28:29], s[12:13]
	s_cbranch_execz .LBB263_1365
; %bb.1358:
	s_mov_b64 s[12:13], -1
	s_and_saveexec_b64 s[42:43], s[8:9]
	s_cbranch_execz .LBB263_1364
; %bb.1359:
	v_mad_u64_u32 v[16:17], s[12:13], v103, v6, v[8:9]
	v_mul_lo_u32 v18, v103, v7
	v_mul_lo_u32 v19, v102, v6
	v_add3_u32 v17, v19, v17, v18
	v_mad_u64_u32 v[18:19], s[12:13], v100, v6, v[8:9]
	v_mul_lo_u32 v20, v100, v7
	v_mul_lo_u32 v21, v99, v6
	v_add3_u32 v19, v21, v19, v20
	s_mov_b64 s[44:45], 0
	v_mov_b64_e32 v[20:21], v[6:7]
                                        ; implicit-def: $sgpr46_sgpr47
                                        ; implicit-def: $sgpr48_sgpr49
                                        ; implicit-def: $sgpr52_sgpr53
                                        ; implicit-def: $sgpr50_sgpr51
                                        ; implicit-def: $sgpr12_sgpr13
	s_branch .LBB263_1361
.LBB263_1360:                           ;   in Loop: Header=BB263_1361 Depth=1
	s_or_b64 exec, exec, s[54:55]
	s_and_b64 s[54:55], exec, s[48:49]
	s_or_b64 s[44:45], s[54:55], s[44:45]
	s_andn2_b64 s[12:13], s[12:13], exec
	s_and_b64 s[54:55], s[50:51], exec
	s_or_b64 s[12:13], s[12:13], s[54:55]
	s_andn2_b64 s[46:47], s[46:47], exec
	s_and_b64 s[54:55], s[52:53], exec
	s_or_b64 s[46:47], s[46:47], s[54:55]
	s_andn2_b64 exec, exec, s[44:45]
	s_cbranch_execz .LBB263_1363
.LBB263_1361:                           ; =>This Inner Loop Header: Depth=1
	flat_load_ubyte v22, v[18:19]
	flat_load_ubyte v23, v[16:17]
	s_andn2_b64 s[52:53], s[52:53], exec
	s_andn2_b64 s[50:51], s[50:51], exec
	s_or_b64 s[48:49], s[48:49], exec
	s_waitcnt vmcnt(0) lgkmcnt(0)
	v_cmp_le_i16_sdwa s[56:57], sext(v22), sext(v23) src0_sel:BYTE_0 src1_sel:BYTE_0
	v_cmp_lt_i16_sdwa s[54:55], sext(v22), sext(v23) src0_sel:BYTE_0 src1_sel:BYTE_0
	s_and_b64 s[56:57], s[56:57], s[12:13]
	s_or_b64 s[56:57], s[54:55], s[56:57]
	s_and_b64 s[54:55], s[56:57], exec
	v_cmp_eq_u16_sdwa s[58:59], v22, v23 src0_sel:BYTE_0 src1_sel:BYTE_0
	s_or_b64 s[52:53], s[52:53], s[54:55]
	s_and_saveexec_b64 s[54:55], s[58:59]
	s_cbranch_execz .LBB263_1360
; %bb.1362:                             ;   in Loop: Header=BB263_1361 Depth=1
	v_lshl_add_u64 v[20:21], v[20:21], 0, -1
	v_cmp_eq_u64_e64 s[12:13], 0, v[20:21]
	s_andn2_b64 s[50:51], s[50:51], exec
	s_and_b64 s[56:57], s[56:57], exec
	s_andn2_b64 s[48:49], s[48:49], exec
	s_and_b64 s[12:13], s[12:13], exec
	v_lshl_add_u64 v[16:17], v[16:17], 0, 1
	v_lshl_add_u64 v[18:19], v[18:19], 0, 1
	s_or_b64 s[50:51], s[50:51], s[56:57]
	s_andn2_b64 s[52:53], s[52:53], exec
	s_or_b64 s[48:49], s[48:49], s[12:13]
                                        ; implicit-def: $sgpr12_sgpr13
	s_branch .LBB263_1360
.LBB263_1363:
	s_or_b64 exec, exec, s[44:45]
	s_xor_b64 s[12:13], s[46:47], -1
	s_orn2_b64 s[12:13], s[12:13], exec
.LBB263_1364:
	s_or_b64 exec, exec, s[42:43]
	s_and_b64 s[42:43], s[12:13], exec
.LBB263_1365:
	s_or_b64 exec, exec, s[28:29]
	s_orn2_b64 s[28:29], s[42:43], exec
.LBB263_1366:
	s_or_b64 exec, exec, s[40:41]
	v_cndmask_b32_e64 v16, v101, v98, s[28:29]
	v_cndmask_b32_e64 v17, v97, v96, s[28:29]
	v_add_u32_e32 v112, 1, v16
	v_add_u32_e32 v16, -1, v17
	v_min_u32_e32 v16, v112, v16
	v_mov_b32_e32 v17, 0
	v_lshl_add_u64 v[16:17], v[16:17], 3, v[64:65]
	flat_load_dwordx2 v[64:65], v[16:17]
	v_cndmask_b32_e64 v21, v27, v66, s[16:17]
	v_cndmask_b32_e64 v27, v1, v25, s[22:23]
	;; [unrolled: 1-line block ×15, first 2 shown]
	v_cmp_lt_u32_e64 s[12:13], v1, v97
	s_waitcnt vmcnt(0) lgkmcnt(0)
	v_cndmask_b32_e64 v15, v102, v65, s[28:29]
	v_cndmask_b32_e64 v14, v103, v64, s[28:29]
	s_and_saveexec_b64 s[16:17], s[12:13]
	s_cbranch_execz .LBB263_1376
; %bb.1367:
	v_cndmask_b32_e64 v1, v98, v112, s[28:29]
	v_cndmask_b32_e64 v65, v65, v99, s[28:29]
	;; [unrolled: 1-line block ×3, first 2 shown]
	v_cmp_lt_u32_e64 s[12:13], v1, v96
	s_and_saveexec_b64 s[20:21], s[12:13]
	s_cbranch_execz .LBB263_1375
; %bb.1368:
	s_and_saveexec_b64 s[22:23], s[8:9]
	s_cbranch_execz .LBB263_1374
; %bb.1369:
	v_mad_u64_u32 v[66:67], s[12:13], v14, v6, v[8:9]
	v_mul_lo_u32 v1, v14, v7
	v_mul_lo_u32 v31, v15, v6
	v_add3_u32 v67, v31, v67, v1
	v_mad_u64_u32 v[68:69], s[12:13], v64, v6, v[8:9]
	v_mul_lo_u32 v1, v64, v7
	v_mul_lo_u32 v31, v65, v6
	v_add3_u32 v69, v31, v69, v1
	s_mov_b64 s[24:25], 0
	v_mov_b64_e32 v[70:71], v[6:7]
                                        ; implicit-def: $sgpr26_sgpr27
                                        ; implicit-def: $sgpr28_sgpr29
                                        ; implicit-def: $sgpr40_sgpr41
                                        ; implicit-def: $sgpr38_sgpr39
                                        ; implicit-def: $sgpr12_sgpr13
	s_branch .LBB263_1371
.LBB263_1370:                           ;   in Loop: Header=BB263_1371 Depth=1
	s_or_b64 exec, exec, s[42:43]
	s_and_b64 s[42:43], exec, s[28:29]
	s_or_b64 s[24:25], s[42:43], s[24:25]
	s_andn2_b64 s[12:13], s[12:13], exec
	s_and_b64 s[42:43], s[38:39], exec
	s_or_b64 s[12:13], s[12:13], s[42:43]
	s_andn2_b64 s[26:27], s[26:27], exec
	s_and_b64 s[42:43], s[40:41], exec
	s_or_b64 s[26:27], s[26:27], s[42:43]
	s_andn2_b64 exec, exec, s[24:25]
	s_cbranch_execz .LBB263_1373
.LBB263_1371:                           ; =>This Inner Loop Header: Depth=1
	flat_load_ubyte v1, v[68:69]
	flat_load_ubyte v31, v[66:67]
	s_andn2_b64 s[40:41], s[40:41], exec
	s_andn2_b64 s[38:39], s[38:39], exec
	s_or_b64 s[28:29], s[28:29], exec
	s_waitcnt vmcnt(0) lgkmcnt(0)
	v_cmp_le_i16_sdwa s[44:45], sext(v1), sext(v31) src0_sel:BYTE_0 src1_sel:BYTE_0
	v_cmp_lt_i16_sdwa s[42:43], sext(v1), sext(v31) src0_sel:BYTE_0 src1_sel:BYTE_0
	s_and_b64 s[44:45], s[44:45], s[12:13]
	s_or_b64 s[44:45], s[42:43], s[44:45]
	s_and_b64 s[42:43], s[44:45], exec
	v_cmp_eq_u16_sdwa s[46:47], v1, v31 src0_sel:BYTE_0 src1_sel:BYTE_0
	s_or_b64 s[40:41], s[40:41], s[42:43]
	s_and_saveexec_b64 s[42:43], s[46:47]
	s_cbranch_execz .LBB263_1370
; %bb.1372:                             ;   in Loop: Header=BB263_1371 Depth=1
	v_lshl_add_u64 v[70:71], v[70:71], 0, -1
	v_cmp_eq_u64_e64 s[12:13], 0, v[70:71]
	s_andn2_b64 s[38:39], s[38:39], exec
	s_and_b64 s[44:45], s[44:45], exec
	s_andn2_b64 s[28:29], s[28:29], exec
	s_and_b64 s[12:13], s[12:13], exec
	v_lshl_add_u64 v[66:67], v[66:67], 0, 1
	v_lshl_add_u64 v[68:69], v[68:69], 0, 1
	s_or_b64 s[38:39], s[38:39], s[44:45]
	s_andn2_b64 s[40:41], s[40:41], exec
	s_or_b64 s[28:29], s[28:29], s[12:13]
                                        ; implicit-def: $sgpr12_sgpr13
	s_branch .LBB263_1370
.LBB263_1373:
	s_or_b64 exec, exec, s[24:25]
	v_cndmask_b32_e64 v15, v15, v65, s[26:27]
	v_cndmask_b32_e64 v14, v14, v64, s[26:27]
.LBB263_1374:
	s_or_b64 exec, exec, s[22:23]
	v_mov_b64_e32 v[64:65], v[14:15]
.LBB263_1375:
	s_or_b64 exec, exec, s[20:21]
	v_mov_b64_e32 v[14:15], v[64:65]
.LBB263_1376:
	s_or_b64 exec, exec, s[16:17]
.LBB263_1377:
	s_or_b64 exec, exec, s[18:19]
	s_movk_i32 s64, 0x80
	v_cmp_lt_u32_e64 s[12:13], s64, v0
	; wave barrier
	s_waitcnt lgkmcnt(0)
	s_barrier
	s_and_saveexec_b64 s[18:19], s[12:13]
	s_cbranch_execz .LBB263_1475
; %bb.1378:
	v_lshlrev_b32_e32 v64, 3, v30
	v_mov_b32_e32 v65, 0
	v_lshl_add_u64 v[66:67], v[10:11], 0, v[64:65]
	s_mov_b64 s[20:21], 0
	s_branch .LBB263_1384
.LBB263_1379:                           ;   in Loop: Header=BB263_1384 Depth=1
	s_or_b64 exec, exec, s[50:51]
	v_cndmask_b32_e64 v15, v15, v17, s[52:53]
	v_cndmask_b32_e64 v14, v14, v16, s[52:53]
.LBB263_1380:                           ;   in Loop: Header=BB263_1384 Depth=1
	s_or_b64 exec, exec, s[48:49]
	v_mov_b64_e32 v[16:17], v[14:15]
.LBB263_1381:                           ;   in Loop: Header=BB263_1384 Depth=1
	s_or_b64 exec, exec, s[46:47]
	v_mov_b64_e32 v[14:15], v[16:17]
.LBB263_1382:                           ;   in Loop: Header=BB263_1384 Depth=1
	s_or_b64 exec, exec, s[44:45]
	v_cndmask_b32_e64 v19, v98, v100, s[42:43]
	v_cndmask_b32_e64 v18, v99, v101, s[42:43]
	;; [unrolled: 1-line block ×14, first 2 shown]
.LBB263_1383:                           ;   in Loop: Header=BB263_1384 Depth=1
	s_or_b64 exec, exec, s[22:23]
	v_cmp_ge_u32_e64 s[12:13], s64, v0
	s_or_b64 s[20:21], s[12:13], s[20:21]
	s_barrier
	s_andn2_b64 exec, exec, s[20:21]
	s_cbranch_execz .LBB263_1474
.LBB263_1384:                           ; =>This Loop Header: Depth=1
                                        ;     Child Loop BB263_1388 Depth 2
                                        ;       Child Loop BB263_1391 Depth 3
                                        ;     Child Loop BB263_1403 Depth 2
                                        ;     Child Loop BB263_1412 Depth 2
	;; [unrolled: 1-line block ×8, first 2 shown]
	s_mov_b32 s12, s64
	s_lshl_b32 s64, s64, 1
	s_sub_i32 s16, 0, s64
	v_and_b32_e32 v31, s16, v30
	v_add_u32_e32 v1, s12, v31
	v_min_u32_e32 v68, v1, v0
	s_add_i32 s13, s64, -1
	v_add_u32_e32 v1, s12, v68
	v_min_u32_e32 v1, v1, v0
	v_and_b32_e32 v64, s13, v30
	v_min_u32_e32 v98, v64, v0
	v_sub_u32_e32 v64, v68, v31
	v_sub_u32_e32 v69, v1, v68
	v_sub_u32_e64 v99, v98, v69 clamp
	v_min_u32_e32 v100, v98, v64
	v_cmp_lt_u32_e64 s[12:13], v99, v100
	flat_store_dwordx4 v[66:67], v[24:27]
	flat_store_dwordx4 v[66:67], v[20:23] offset:16
	flat_store_dwordx4 v[66:67], v[16:19] offset:32
	;; [unrolled: 1-line block ×3, first 2 shown]
	s_waitcnt lgkmcnt(0)
	s_barrier
	s_and_saveexec_b64 s[16:17], s[12:13]
	s_cbranch_execz .LBB263_1394
; %bb.1385:                             ;   in Loop: Header=BB263_1384 Depth=1
	v_lshlrev_b32_e32 v64, 3, v31
	v_mov_b32_e32 v69, v65
	v_lshl_add_u64 v[70:71], v[10:11], 0, v[64:65]
	v_lshl_add_u64 v[80:81], v[68:69], 3, v[10:11]
	s_mov_b64 s[22:23], 0
	s_branch .LBB263_1388
.LBB263_1386:                           ;   in Loop: Header=BB263_1388 Depth=2
	s_or_b64 exec, exec, s[26:27]
	s_and_b64 s[12:13], s[28:29], exec
.LBB263_1387:                           ;   in Loop: Header=BB263_1388 Depth=2
	s_or_b64 exec, exec, s[24:25]
	v_add_u32_e32 v64, 1, v82
	v_cndmask_b32_e64 v100, v100, v82, s[12:13]
	v_cndmask_b32_e64 v99, v64, v99, s[12:13]
	v_cmp_ge_u32_e64 s[12:13], v99, v100
	s_or_b64 s[22:23], s[12:13], s[22:23]
	s_andn2_b64 exec, exec, s[22:23]
	s_cbranch_execz .LBB263_1393
.LBB263_1388:                           ;   Parent Loop BB263_1384 Depth=1
                                        ; =>  This Loop Header: Depth=2
                                        ;       Child Loop BB263_1391 Depth 3
	v_add_u32_e32 v64, v100, v99
	v_lshrrev_b32_e32 v82, 1, v64
	s_mov_b64 s[12:13], 0
	s_and_saveexec_b64 s[24:25], s[8:9]
	s_cbranch_execz .LBB263_1387
; %bb.1389:                             ;   in Loop: Header=BB263_1388 Depth=2
	v_mov_b32_e32 v83, v65
	v_xad_u32 v64, v82, -1, v98
	v_lshl_add_u64 v[84:85], v[82:83], 3, v[70:71]
	v_lshl_add_u64 v[86:87], v[64:65], 3, v[80:81]
	flat_load_dwordx2 v[84:85], v[84:85]
	s_mov_b64 s[26:27], 0
	flat_load_dwordx2 v[86:87], v[86:87]
                                        ; implicit-def: $sgpr28_sgpr29
                                        ; implicit-def: $sgpr38_sgpr39
                                        ; implicit-def: $sgpr40_sgpr41
                                        ; implicit-def: $sgpr42_sgpr43
                                        ; implicit-def: $sgpr12_sgpr13
	s_waitcnt vmcnt(0) lgkmcnt(0)
	v_mul_lo_u32 v64, v84, v7
	v_mul_lo_u32 v69, v85, v6
	v_mad_u64_u32 v[84:85], s[44:45], v84, v6, v[8:9]
	v_mul_lo_u32 v83, v86, v7
	v_mul_lo_u32 v96, v87, v6
	v_mad_u64_u32 v[86:87], s[44:45], v86, v6, v[8:9]
	v_add3_u32 v85, v69, v85, v64
	v_add3_u32 v87, v96, v87, v83
	v_mov_b64_e32 v[96:97], v[6:7]
	s_branch .LBB263_1391
.LBB263_1390:                           ;   in Loop: Header=BB263_1391 Depth=3
	s_or_b64 exec, exec, s[44:45]
	s_and_b64 s[44:45], exec, s[38:39]
	s_or_b64 s[26:27], s[44:45], s[26:27]
	s_andn2_b64 s[12:13], s[12:13], exec
	s_and_b64 s[44:45], s[40:41], exec
	s_or_b64 s[12:13], s[12:13], s[44:45]
	s_andn2_b64 s[28:29], s[28:29], exec
	s_and_b64 s[44:45], s[42:43], exec
	s_or_b64 s[28:29], s[28:29], s[44:45]
	s_andn2_b64 exec, exec, s[26:27]
	s_cbranch_execz .LBB263_1386
.LBB263_1391:                           ;   Parent Loop BB263_1384 Depth=1
                                        ;     Parent Loop BB263_1388 Depth=2
                                        ; =>    This Inner Loop Header: Depth=3
	flat_load_ubyte v64, v[86:87]
	flat_load_ubyte v69, v[84:85]
	s_andn2_b64 s[42:43], s[42:43], exec
	s_andn2_b64 s[40:41], s[40:41], exec
	s_or_b64 s[38:39], s[38:39], exec
	s_waitcnt vmcnt(0) lgkmcnt(0)
	v_cmp_le_i16_sdwa s[46:47], sext(v64), sext(v69) src0_sel:BYTE_0 src1_sel:BYTE_0
	v_cmp_lt_i16_sdwa s[44:45], sext(v64), sext(v69) src0_sel:BYTE_0 src1_sel:BYTE_0
	s_and_b64 s[46:47], s[46:47], s[12:13]
	s_or_b64 s[46:47], s[44:45], s[46:47]
	s_and_b64 s[44:45], s[46:47], exec
	v_cmp_eq_u16_sdwa s[48:49], v64, v69 src0_sel:BYTE_0 src1_sel:BYTE_0
	s_or_b64 s[42:43], s[42:43], s[44:45]
	s_and_saveexec_b64 s[44:45], s[48:49]
	s_cbranch_execz .LBB263_1390
; %bb.1392:                             ;   in Loop: Header=BB263_1391 Depth=3
	v_lshl_add_u64 v[96:97], v[96:97], 0, -1
	v_cmp_eq_u64_e64 s[12:13], 0, v[96:97]
	s_andn2_b64 s[40:41], s[40:41], exec
	s_and_b64 s[46:47], s[46:47], exec
	s_andn2_b64 s[38:39], s[38:39], exec
	s_and_b64 s[12:13], s[12:13], exec
	v_lshl_add_u64 v[84:85], v[84:85], 0, 1
	v_lshl_add_u64 v[86:87], v[86:87], 0, 1
	s_andn2_b64 s[42:43], s[42:43], exec
	s_or_b64 s[40:41], s[40:41], s[46:47]
	s_or_b64 s[38:39], s[38:39], s[12:13]
                                        ; implicit-def: $sgpr12_sgpr13
	s_branch .LBB263_1390
.LBB263_1393:                           ;   in Loop: Header=BB263_1384 Depth=1
	s_or_b64 exec, exec, s[22:23]
.LBB263_1394:                           ;   in Loop: Header=BB263_1384 Depth=1
	s_or_b64 exec, exec, s[16:17]
	v_sub_u32_e32 v64, v98, v99
	v_add_u32_e32 v70, v99, v31
	v_add_u32_e32 v80, v64, v68
	v_cmp_le_u32_e64 s[12:13], v70, v68
	v_cmp_le_u32_e64 s[16:17], v80, v1
	s_or_b64 s[12:13], s[12:13], s[16:17]
	s_and_saveexec_b64 s[22:23], s[12:13]
	s_cbranch_execz .LBB263_1383
; %bb.1395:                             ;   in Loop: Header=BB263_1384 Depth=1
	v_cmp_ge_u32_e64 s[16:17], v70, v68
	v_cmp_lt_u32_e64 s[12:13], v70, v68
                                        ; implicit-def: $vgpr12_vgpr13
	s_and_saveexec_b64 s[24:25], s[12:13]
	s_cbranch_execz .LBB263_1397
; %bb.1396:                             ;   in Loop: Header=BB263_1384 Depth=1
	v_mov_b32_e32 v71, v65
	v_lshl_add_u64 v[12:13], v[70:71], 3, v[10:11]
	flat_load_dwordx2 v[12:13], v[12:13]
.LBB263_1397:                           ;   in Loop: Header=BB263_1384 Depth=1
	s_or_b64 exec, exec, s[24:25]
	v_cmp_ge_u32_e64 s[24:25], v80, v1
	v_cmp_lt_u32_e64 s[12:13], v80, v1
                                        ; implicit-def: $vgpr24_vgpr25
	s_and_saveexec_b64 s[26:27], s[12:13]
	s_cbranch_execz .LBB263_1399
; %bb.1398:                             ;   in Loop: Header=BB263_1384 Depth=1
	v_mov_b32_e32 v81, v65
	v_lshl_add_u64 v[14:15], v[80:81], 3, v[10:11]
	flat_load_dwordx2 v[24:25], v[14:15]
.LBB263_1399:                           ;   in Loop: Header=BB263_1384 Depth=1
	s_or_b64 exec, exec, s[26:27]
	s_or_b64 s[12:13], s[16:17], s[24:25]
	s_xor_b64 s[12:13], s[12:13], -1
	s_and_saveexec_b64 s[16:17], s[12:13]
	s_cbranch_execz .LBB263_1407
; %bb.1400:                             ;   in Loop: Header=BB263_1384 Depth=1
	s_mov_b64 s[12:13], 0
	s_and_saveexec_b64 s[26:27], s[8:9]
	s_cbranch_execz .LBB263_1406
; %bb.1401:                             ;   in Loop: Header=BB263_1384 Depth=1
	s_waitcnt vmcnt(0) lgkmcnt(0)
	v_mad_u64_u32 v[14:15], s[12:13], v12, v6, v[8:9]
	v_mul_lo_u32 v16, v12, v7
	v_mul_lo_u32 v17, v13, v6
	v_add3_u32 v15, v17, v15, v16
	v_mad_u64_u32 v[16:17], s[12:13], v24, v6, v[8:9]
	v_mul_lo_u32 v18, v24, v7
	v_mul_lo_u32 v19, v25, v6
	v_add3_u32 v17, v19, v17, v18
	s_mov_b64 s[28:29], 0
	v_mov_b64_e32 v[18:19], v[6:7]
                                        ; implicit-def: $sgpr38_sgpr39
                                        ; implicit-def: $sgpr40_sgpr41
                                        ; implicit-def: $sgpr42_sgpr43
                                        ; implicit-def: $sgpr44_sgpr45
                                        ; implicit-def: $sgpr12_sgpr13
	s_branch .LBB263_1403
.LBB263_1402:                           ;   in Loop: Header=BB263_1403 Depth=2
	s_or_b64 exec, exec, s[46:47]
	s_and_b64 s[46:47], exec, s[40:41]
	s_or_b64 s[28:29], s[46:47], s[28:29]
	s_andn2_b64 s[12:13], s[12:13], exec
	s_and_b64 s[46:47], s[42:43], exec
	s_or_b64 s[12:13], s[12:13], s[46:47]
	s_andn2_b64 s[38:39], s[38:39], exec
	s_and_b64 s[46:47], s[44:45], exec
	s_or_b64 s[38:39], s[38:39], s[46:47]
	s_andn2_b64 exec, exec, s[28:29]
	s_cbranch_execz .LBB263_1405
.LBB263_1403:                           ;   Parent Loop BB263_1384 Depth=1
                                        ; =>  This Inner Loop Header: Depth=2
	flat_load_ubyte v20, v[16:17]
	flat_load_ubyte v21, v[14:15]
	s_andn2_b64 s[44:45], s[44:45], exec
	s_andn2_b64 s[42:43], s[42:43], exec
	s_or_b64 s[40:41], s[40:41], exec
	s_waitcnt vmcnt(0) lgkmcnt(0)
	v_cmp_le_i16_sdwa s[48:49], sext(v20), sext(v21) src0_sel:BYTE_0 src1_sel:BYTE_0
	v_cmp_lt_i16_sdwa s[46:47], sext(v20), sext(v21) src0_sel:BYTE_0 src1_sel:BYTE_0
	s_and_b64 s[48:49], s[48:49], s[12:13]
	s_or_b64 s[48:49], s[46:47], s[48:49]
	s_and_b64 s[46:47], s[48:49], exec
	v_cmp_eq_u16_sdwa s[50:51], v20, v21 src0_sel:BYTE_0 src1_sel:BYTE_0
	s_or_b64 s[44:45], s[44:45], s[46:47]
	s_and_saveexec_b64 s[46:47], s[50:51]
	s_cbranch_execz .LBB263_1402
; %bb.1404:                             ;   in Loop: Header=BB263_1403 Depth=2
	v_lshl_add_u64 v[18:19], v[18:19], 0, -1
	v_cmp_eq_u64_e64 s[12:13], 0, v[18:19]
	s_andn2_b64 s[42:43], s[42:43], exec
	s_and_b64 s[48:49], s[48:49], exec
	s_andn2_b64 s[40:41], s[40:41], exec
	s_and_b64 s[12:13], s[12:13], exec
	v_lshl_add_u64 v[14:15], v[14:15], 0, 1
	v_lshl_add_u64 v[16:17], v[16:17], 0, 1
	s_andn2_b64 s[44:45], s[44:45], exec
	s_or_b64 s[42:43], s[42:43], s[48:49]
	s_or_b64 s[40:41], s[40:41], s[12:13]
                                        ; implicit-def: $sgpr12_sgpr13
	s_branch .LBB263_1402
.LBB263_1405:                           ;   in Loop: Header=BB263_1384 Depth=1
	s_or_b64 exec, exec, s[28:29]
	s_and_b64 s[12:13], s[38:39], exec
.LBB263_1406:                           ;   in Loop: Header=BB263_1384 Depth=1
	s_or_b64 exec, exec, s[26:27]
	s_xor_b64 s[12:13], s[12:13], -1
	s_andn2_b64 s[24:25], s[24:25], exec
	s_and_b64 s[12:13], s[12:13], exec
	s_or_b64 s[24:25], s[24:25], s[12:13]
.LBB263_1407:                           ;   in Loop: Header=BB263_1384 Depth=1
	s_or_b64 exec, exec, s[16:17]
	v_cndmask_b32_e64 v14, v80, v70, s[24:25]
	v_cndmask_b32_e64 v15, v1, v68, s[24:25]
	v_add_u32_e32 v16, 1, v14
	v_add_u32_e32 v14, -1, v15
	v_min_u32_e32 v64, v16, v14
	v_lshl_add_u64 v[14:15], v[64:65], 3, v[10:11]
	flat_load_dwordx2 v[14:15], v[14:15]
	v_cndmask_b32_e64 v20, v16, v80, s[24:25]
	s_mov_b64 s[16:17], -1
	v_cndmask_b32_e64 v21, v70, v16, s[24:25]
	v_cmp_lt_u32_e64 s[12:13], v20, v1
	s_mov_b64 s[26:27], -1
	s_waitcnt vmcnt(0) lgkmcnt(0)
	v_cndmask_b32_e64 v26, v15, v25, s[24:25]
	v_cndmask_b32_e64 v31, v14, v24, s[24:25]
	;; [unrolled: 1-line block ×4, first 2 shown]
	s_and_saveexec_b64 s[28:29], s[12:13]
	s_cbranch_execz .LBB263_1417
; %bb.1408:                             ;   in Loop: Header=BB263_1384 Depth=1
	v_cmp_lt_u32_e64 s[12:13], v21, v68
	s_mov_b64 s[38:39], 0
	s_and_saveexec_b64 s[26:27], s[12:13]
	s_cbranch_execz .LBB263_1416
; %bb.1409:                             ;   in Loop: Header=BB263_1384 Depth=1
	s_mov_b64 s[12:13], 0
	s_and_saveexec_b64 s[38:39], s[8:9]
	s_cbranch_execz .LBB263_1415
; %bb.1410:                             ;   in Loop: Header=BB263_1384 Depth=1
	v_mad_u64_u32 v[14:15], s[12:13], v69, v6, v[8:9]
	v_mul_lo_u32 v16, v69, v7
	v_mul_lo_u32 v17, v27, v6
	v_add3_u32 v15, v17, v15, v16
	v_mad_u64_u32 v[16:17], s[12:13], v31, v6, v[8:9]
	v_mul_lo_u32 v18, v31, v7
	v_mul_lo_u32 v19, v26, v6
	v_add3_u32 v17, v19, v17, v18
	s_mov_b64 s[40:41], 0
	v_mov_b64_e32 v[18:19], v[6:7]
                                        ; implicit-def: $sgpr42_sgpr43
                                        ; implicit-def: $sgpr44_sgpr45
                                        ; implicit-def: $sgpr46_sgpr47
                                        ; implicit-def: $sgpr48_sgpr49
                                        ; implicit-def: $sgpr12_sgpr13
	s_branch .LBB263_1412
.LBB263_1411:                           ;   in Loop: Header=BB263_1412 Depth=2
	s_or_b64 exec, exec, s[50:51]
	s_and_b64 s[50:51], exec, s[44:45]
	s_or_b64 s[40:41], s[50:51], s[40:41]
	s_andn2_b64 s[12:13], s[12:13], exec
	s_and_b64 s[50:51], s[46:47], exec
	s_or_b64 s[12:13], s[12:13], s[50:51]
	s_andn2_b64 s[42:43], s[42:43], exec
	s_and_b64 s[50:51], s[48:49], exec
	s_or_b64 s[42:43], s[42:43], s[50:51]
	s_andn2_b64 exec, exec, s[40:41]
	s_cbranch_execz .LBB263_1414
.LBB263_1412:                           ;   Parent Loop BB263_1384 Depth=1
                                        ; =>  This Inner Loop Header: Depth=2
	flat_load_ubyte v22, v[16:17]
	flat_load_ubyte v23, v[14:15]
	s_andn2_b64 s[48:49], s[48:49], exec
	s_andn2_b64 s[46:47], s[46:47], exec
	s_or_b64 s[44:45], s[44:45], exec
	s_waitcnt vmcnt(0) lgkmcnt(0)
	v_cmp_le_i16_sdwa s[52:53], sext(v22), sext(v23) src0_sel:BYTE_0 src1_sel:BYTE_0
	v_cmp_lt_i16_sdwa s[50:51], sext(v22), sext(v23) src0_sel:BYTE_0 src1_sel:BYTE_0
	s_and_b64 s[52:53], s[52:53], s[12:13]
	s_or_b64 s[52:53], s[50:51], s[52:53]
	s_and_b64 s[50:51], s[52:53], exec
	v_cmp_eq_u16_sdwa s[54:55], v22, v23 src0_sel:BYTE_0 src1_sel:BYTE_0
	s_or_b64 s[48:49], s[48:49], s[50:51]
	s_and_saveexec_b64 s[50:51], s[54:55]
	s_cbranch_execz .LBB263_1411
; %bb.1413:                             ;   in Loop: Header=BB263_1412 Depth=2
	v_lshl_add_u64 v[18:19], v[18:19], 0, -1
	v_cmp_eq_u64_e64 s[12:13], 0, v[18:19]
	s_andn2_b64 s[46:47], s[46:47], exec
	s_and_b64 s[52:53], s[52:53], exec
	s_andn2_b64 s[44:45], s[44:45], exec
	s_and_b64 s[12:13], s[12:13], exec
	v_lshl_add_u64 v[14:15], v[14:15], 0, 1
	v_lshl_add_u64 v[16:17], v[16:17], 0, 1
	s_andn2_b64 s[48:49], s[48:49], exec
	s_or_b64 s[46:47], s[46:47], s[52:53]
	s_or_b64 s[44:45], s[44:45], s[12:13]
                                        ; implicit-def: $sgpr12_sgpr13
	s_branch .LBB263_1411
.LBB263_1414:                           ;   in Loop: Header=BB263_1384 Depth=1
	s_or_b64 exec, exec, s[40:41]
	s_and_b64 s[12:13], s[42:43], exec
.LBB263_1415:                           ;   in Loop: Header=BB263_1384 Depth=1
	s_or_b64 exec, exec, s[38:39]
	s_xor_b64 s[12:13], s[12:13], -1
	s_and_b64 s[38:39], s[12:13], exec
.LBB263_1416:                           ;   in Loop: Header=BB263_1384 Depth=1
	s_or_b64 exec, exec, s[26:27]
	s_orn2_b64 s[26:27], s[38:39], exec
.LBB263_1417:                           ;   in Loop: Header=BB263_1384 Depth=1
	s_or_b64 exec, exec, s[28:29]
	v_cndmask_b32_e64 v14, v20, v21, s[26:27]
	v_cndmask_b32_e64 v15, v1, v68, s[26:27]
	v_add_u32_e32 v16, 1, v14
	v_add_u32_e32 v14, -1, v15
	v_min_u32_e32 v64, v16, v14
	v_lshl_add_u64 v[14:15], v[64:65], 3, v[10:11]
	flat_load_dwordx2 v[14:15], v[14:15]
	v_cndmask_b32_e64 v20, v16, v20, s[26:27]
	v_cndmask_b32_e64 v21, v21, v16, s[26:27]
	v_cmp_lt_u32_e64 s[12:13], v20, v1
	s_waitcnt vmcnt(0) lgkmcnt(0)
	v_cndmask_b32_e64 v70, v15, v26, s[26:27]
	v_cndmask_b32_e64 v71, v14, v31, s[26:27]
	;; [unrolled: 1-line block ×4, first 2 shown]
	s_and_saveexec_b64 s[28:29], s[12:13]
	s_cbranch_execz .LBB263_1427
; %bb.1418:                             ;   in Loop: Header=BB263_1384 Depth=1
	v_cmp_lt_u32_e64 s[12:13], v21, v68
	s_mov_b64 s[38:39], 0
	s_and_saveexec_b64 s[16:17], s[12:13]
	s_cbranch_execz .LBB263_1426
; %bb.1419:                             ;   in Loop: Header=BB263_1384 Depth=1
	s_mov_b64 s[12:13], 0
	s_and_saveexec_b64 s[38:39], s[8:9]
	s_cbranch_execz .LBB263_1425
; %bb.1420:                             ;   in Loop: Header=BB263_1384 Depth=1
	v_mad_u64_u32 v[14:15], s[12:13], v81, v6, v[8:9]
	v_mul_lo_u32 v16, v81, v7
	v_mul_lo_u32 v17, v80, v6
	v_add3_u32 v15, v17, v15, v16
	v_mad_u64_u32 v[16:17], s[12:13], v71, v6, v[8:9]
	v_mul_lo_u32 v18, v71, v7
	v_mul_lo_u32 v19, v70, v6
	v_add3_u32 v17, v19, v17, v18
	s_mov_b64 s[40:41], 0
	v_mov_b64_e32 v[18:19], v[6:7]
                                        ; implicit-def: $sgpr42_sgpr43
                                        ; implicit-def: $sgpr44_sgpr45
                                        ; implicit-def: $sgpr46_sgpr47
                                        ; implicit-def: $sgpr48_sgpr49
                                        ; implicit-def: $sgpr12_sgpr13
	s_branch .LBB263_1422
.LBB263_1421:                           ;   in Loop: Header=BB263_1422 Depth=2
	s_or_b64 exec, exec, s[50:51]
	s_and_b64 s[50:51], exec, s[44:45]
	s_or_b64 s[40:41], s[50:51], s[40:41]
	s_andn2_b64 s[12:13], s[12:13], exec
	s_and_b64 s[50:51], s[46:47], exec
	s_or_b64 s[12:13], s[12:13], s[50:51]
	s_andn2_b64 s[42:43], s[42:43], exec
	s_and_b64 s[50:51], s[48:49], exec
	s_or_b64 s[42:43], s[42:43], s[50:51]
	s_andn2_b64 exec, exec, s[40:41]
	s_cbranch_execz .LBB263_1424
.LBB263_1422:                           ;   Parent Loop BB263_1384 Depth=1
                                        ; =>  This Inner Loop Header: Depth=2
	flat_load_ubyte v22, v[16:17]
	flat_load_ubyte v23, v[14:15]
	s_andn2_b64 s[48:49], s[48:49], exec
	s_andn2_b64 s[46:47], s[46:47], exec
	s_or_b64 s[44:45], s[44:45], exec
	s_waitcnt vmcnt(0) lgkmcnt(0)
	v_cmp_le_i16_sdwa s[52:53], sext(v22), sext(v23) src0_sel:BYTE_0 src1_sel:BYTE_0
	v_cmp_lt_i16_sdwa s[50:51], sext(v22), sext(v23) src0_sel:BYTE_0 src1_sel:BYTE_0
	s_and_b64 s[52:53], s[52:53], s[12:13]
	s_or_b64 s[52:53], s[50:51], s[52:53]
	s_and_b64 s[50:51], s[52:53], exec
	v_cmp_eq_u16_sdwa s[54:55], v22, v23 src0_sel:BYTE_0 src1_sel:BYTE_0
	s_or_b64 s[48:49], s[48:49], s[50:51]
	s_and_saveexec_b64 s[50:51], s[54:55]
	s_cbranch_execz .LBB263_1421
; %bb.1423:                             ;   in Loop: Header=BB263_1422 Depth=2
	v_lshl_add_u64 v[18:19], v[18:19], 0, -1
	v_cmp_eq_u64_e64 s[12:13], 0, v[18:19]
	s_andn2_b64 s[46:47], s[46:47], exec
	s_and_b64 s[52:53], s[52:53], exec
	s_andn2_b64 s[44:45], s[44:45], exec
	s_and_b64 s[12:13], s[12:13], exec
	v_lshl_add_u64 v[14:15], v[14:15], 0, 1
	v_lshl_add_u64 v[16:17], v[16:17], 0, 1
	s_andn2_b64 s[48:49], s[48:49], exec
	s_or_b64 s[46:47], s[46:47], s[52:53]
	s_or_b64 s[44:45], s[44:45], s[12:13]
                                        ; implicit-def: $sgpr12_sgpr13
	s_branch .LBB263_1421
.LBB263_1424:                           ;   in Loop: Header=BB263_1384 Depth=1
	s_or_b64 exec, exec, s[40:41]
	s_and_b64 s[12:13], s[42:43], exec
.LBB263_1425:                           ;   in Loop: Header=BB263_1384 Depth=1
	s_or_b64 exec, exec, s[38:39]
	s_xor_b64 s[12:13], s[12:13], -1
	s_and_b64 s[38:39], s[12:13], exec
.LBB263_1426:                           ;   in Loop: Header=BB263_1384 Depth=1
	s_or_b64 exec, exec, s[16:17]
	s_orn2_b64 s[16:17], s[38:39], exec
.LBB263_1427:                           ;   in Loop: Header=BB263_1384 Depth=1
	s_or_b64 exec, exec, s[28:29]
	v_cndmask_b32_e64 v14, v20, v21, s[16:17]
	v_cndmask_b32_e64 v15, v1, v68, s[16:17]
	v_add_u32_e32 v16, 1, v14
	v_add_u32_e32 v14, -1, v15
	v_min_u32_e32 v64, v16, v14
	v_lshl_add_u64 v[14:15], v[64:65], 3, v[10:11]
	flat_load_dwordx2 v[14:15], v[14:15]
	v_cndmask_b32_e64 v20, v16, v20, s[16:17]
	s_mov_b64 s[28:29], -1
	v_cndmask_b32_e64 v21, v21, v16, s[16:17]
	v_cmp_lt_u32_e64 s[12:13], v20, v1
	s_mov_b64 s[38:39], -1
	s_waitcnt vmcnt(0) lgkmcnt(0)
	v_cndmask_b32_e64 v82, v15, v70, s[16:17]
	v_cndmask_b32_e64 v83, v14, v71, s[16:17]
	;; [unrolled: 1-line block ×4, first 2 shown]
	s_and_saveexec_b64 s[40:41], s[12:13]
	s_cbranch_execz .LBB263_1437
; %bb.1428:                             ;   in Loop: Header=BB263_1384 Depth=1
	v_cmp_lt_u32_e64 s[12:13], v21, v68
	s_mov_b64 s[42:43], 0
	s_and_saveexec_b64 s[38:39], s[12:13]
	s_cbranch_execz .LBB263_1436
; %bb.1429:                             ;   in Loop: Header=BB263_1384 Depth=1
	s_mov_b64 s[12:13], -1
	s_and_saveexec_b64 s[42:43], s[8:9]
	s_cbranch_execz .LBB263_1435
; %bb.1430:                             ;   in Loop: Header=BB263_1384 Depth=1
	v_mad_u64_u32 v[14:15], s[12:13], v85, v6, v[8:9]
	v_mul_lo_u32 v16, v85, v7
	v_mul_lo_u32 v17, v84, v6
	v_add3_u32 v15, v17, v15, v16
	v_mad_u64_u32 v[16:17], s[12:13], v83, v6, v[8:9]
	v_mul_lo_u32 v18, v83, v7
	v_mul_lo_u32 v19, v82, v6
	v_add3_u32 v17, v19, v17, v18
	s_mov_b64 s[44:45], 0
	v_mov_b64_e32 v[18:19], v[6:7]
                                        ; implicit-def: $sgpr46_sgpr47
                                        ; implicit-def: $sgpr48_sgpr49
                                        ; implicit-def: $sgpr52_sgpr53
                                        ; implicit-def: $sgpr50_sgpr51
                                        ; implicit-def: $sgpr12_sgpr13
	s_branch .LBB263_1432
.LBB263_1431:                           ;   in Loop: Header=BB263_1432 Depth=2
	s_or_b64 exec, exec, s[54:55]
	s_and_b64 s[54:55], exec, s[48:49]
	s_or_b64 s[44:45], s[54:55], s[44:45]
	s_andn2_b64 s[12:13], s[12:13], exec
	s_and_b64 s[54:55], s[50:51], exec
	s_or_b64 s[12:13], s[12:13], s[54:55]
	s_andn2_b64 s[46:47], s[46:47], exec
	s_and_b64 s[54:55], s[52:53], exec
	s_or_b64 s[46:47], s[46:47], s[54:55]
	s_andn2_b64 exec, exec, s[44:45]
	s_cbranch_execz .LBB263_1434
.LBB263_1432:                           ;   Parent Loop BB263_1384 Depth=1
                                        ; =>  This Inner Loop Header: Depth=2
	flat_load_ubyte v22, v[16:17]
	flat_load_ubyte v23, v[14:15]
	s_andn2_b64 s[52:53], s[52:53], exec
	s_andn2_b64 s[50:51], s[50:51], exec
	s_or_b64 s[48:49], s[48:49], exec
	s_waitcnt vmcnt(0) lgkmcnt(0)
	v_cmp_le_i16_sdwa s[56:57], sext(v22), sext(v23) src0_sel:BYTE_0 src1_sel:BYTE_0
	v_cmp_lt_i16_sdwa s[54:55], sext(v22), sext(v23) src0_sel:BYTE_0 src1_sel:BYTE_0
	s_and_b64 s[56:57], s[56:57], s[12:13]
	s_or_b64 s[56:57], s[54:55], s[56:57]
	s_and_b64 s[54:55], s[56:57], exec
	v_cmp_eq_u16_sdwa s[58:59], v22, v23 src0_sel:BYTE_0 src1_sel:BYTE_0
	s_or_b64 s[52:53], s[52:53], s[54:55]
	s_and_saveexec_b64 s[54:55], s[58:59]
	s_cbranch_execz .LBB263_1431
; %bb.1433:                             ;   in Loop: Header=BB263_1432 Depth=2
	v_lshl_add_u64 v[18:19], v[18:19], 0, -1
	v_cmp_eq_u64_e64 s[12:13], 0, v[18:19]
	s_andn2_b64 s[50:51], s[50:51], exec
	s_and_b64 s[56:57], s[56:57], exec
	s_andn2_b64 s[48:49], s[48:49], exec
	s_and_b64 s[12:13], s[12:13], exec
	v_lshl_add_u64 v[14:15], v[14:15], 0, 1
	v_lshl_add_u64 v[16:17], v[16:17], 0, 1
	s_or_b64 s[50:51], s[50:51], s[56:57]
	s_andn2_b64 s[52:53], s[52:53], exec
	s_or_b64 s[48:49], s[48:49], s[12:13]
                                        ; implicit-def: $sgpr12_sgpr13
	s_branch .LBB263_1431
.LBB263_1434:                           ;   in Loop: Header=BB263_1384 Depth=1
	s_or_b64 exec, exec, s[44:45]
	s_xor_b64 s[12:13], s[46:47], -1
	s_orn2_b64 s[12:13], s[12:13], exec
.LBB263_1435:                           ;   in Loop: Header=BB263_1384 Depth=1
	s_or_b64 exec, exec, s[42:43]
	s_and_b64 s[42:43], s[12:13], exec
.LBB263_1436:                           ;   in Loop: Header=BB263_1384 Depth=1
	s_or_b64 exec, exec, s[38:39]
	s_orn2_b64 s[38:39], s[42:43], exec
.LBB263_1437:                           ;   in Loop: Header=BB263_1384 Depth=1
	s_or_b64 exec, exec, s[40:41]
	v_cndmask_b32_e64 v14, v20, v21, s[38:39]
	v_cndmask_b32_e64 v15, v1, v68, s[38:39]
	v_add_u32_e32 v16, 1, v14
	v_add_u32_e32 v14, -1, v15
	v_min_u32_e32 v64, v16, v14
	v_lshl_add_u64 v[14:15], v[64:65], 3, v[10:11]
	flat_load_dwordx2 v[14:15], v[14:15]
	v_cndmask_b32_e64 v20, v16, v20, s[38:39]
	v_cndmask_b32_e64 v21, v21, v16, s[38:39]
	v_cmp_lt_u32_e64 s[12:13], v20, v1
	s_waitcnt vmcnt(0) lgkmcnt(0)
	v_cndmask_b32_e64 v86, v15, v82, s[38:39]
	v_cndmask_b32_e64 v87, v14, v83, s[38:39]
	;; [unrolled: 1-line block ×4, first 2 shown]
	s_and_saveexec_b64 s[40:41], s[12:13]
	s_cbranch_execz .LBB263_1447
; %bb.1438:                             ;   in Loop: Header=BB263_1384 Depth=1
	v_cmp_lt_u32_e64 s[12:13], v21, v68
	s_mov_b64 s[42:43], 0
	s_and_saveexec_b64 s[28:29], s[12:13]
	s_cbranch_execz .LBB263_1446
; %bb.1439:                             ;   in Loop: Header=BB263_1384 Depth=1
	s_mov_b64 s[12:13], -1
	s_and_saveexec_b64 s[42:43], s[8:9]
	s_cbranch_execz .LBB263_1445
; %bb.1440:                             ;   in Loop: Header=BB263_1384 Depth=1
	v_mad_u64_u32 v[14:15], s[12:13], v97, v6, v[8:9]
	v_mul_lo_u32 v16, v97, v7
	v_mul_lo_u32 v17, v96, v6
	v_add3_u32 v15, v17, v15, v16
	v_mad_u64_u32 v[16:17], s[12:13], v87, v6, v[8:9]
	v_mul_lo_u32 v18, v87, v7
	v_mul_lo_u32 v19, v86, v6
	v_add3_u32 v17, v19, v17, v18
	s_mov_b64 s[44:45], 0
	v_mov_b64_e32 v[18:19], v[6:7]
                                        ; implicit-def: $sgpr46_sgpr47
                                        ; implicit-def: $sgpr48_sgpr49
                                        ; implicit-def: $sgpr52_sgpr53
                                        ; implicit-def: $sgpr50_sgpr51
                                        ; implicit-def: $sgpr12_sgpr13
	s_branch .LBB263_1442
.LBB263_1441:                           ;   in Loop: Header=BB263_1442 Depth=2
	s_or_b64 exec, exec, s[54:55]
	s_and_b64 s[54:55], exec, s[48:49]
	s_or_b64 s[44:45], s[54:55], s[44:45]
	s_andn2_b64 s[12:13], s[12:13], exec
	s_and_b64 s[54:55], s[50:51], exec
	s_or_b64 s[12:13], s[12:13], s[54:55]
	s_andn2_b64 s[46:47], s[46:47], exec
	s_and_b64 s[54:55], s[52:53], exec
	s_or_b64 s[46:47], s[46:47], s[54:55]
	s_andn2_b64 exec, exec, s[44:45]
	s_cbranch_execz .LBB263_1444
.LBB263_1442:                           ;   Parent Loop BB263_1384 Depth=1
                                        ; =>  This Inner Loop Header: Depth=2
	flat_load_ubyte v22, v[16:17]
	flat_load_ubyte v23, v[14:15]
	s_andn2_b64 s[52:53], s[52:53], exec
	s_andn2_b64 s[50:51], s[50:51], exec
	s_or_b64 s[48:49], s[48:49], exec
	s_waitcnt vmcnt(0) lgkmcnt(0)
	v_cmp_le_i16_sdwa s[56:57], sext(v22), sext(v23) src0_sel:BYTE_0 src1_sel:BYTE_0
	v_cmp_lt_i16_sdwa s[54:55], sext(v22), sext(v23) src0_sel:BYTE_0 src1_sel:BYTE_0
	s_and_b64 s[56:57], s[56:57], s[12:13]
	s_or_b64 s[56:57], s[54:55], s[56:57]
	s_and_b64 s[54:55], s[56:57], exec
	v_cmp_eq_u16_sdwa s[58:59], v22, v23 src0_sel:BYTE_0 src1_sel:BYTE_0
	s_or_b64 s[52:53], s[52:53], s[54:55]
	s_and_saveexec_b64 s[54:55], s[58:59]
	s_cbranch_execz .LBB263_1441
; %bb.1443:                             ;   in Loop: Header=BB263_1442 Depth=2
	v_lshl_add_u64 v[18:19], v[18:19], 0, -1
	v_cmp_eq_u64_e64 s[12:13], 0, v[18:19]
	s_andn2_b64 s[50:51], s[50:51], exec
	s_and_b64 s[56:57], s[56:57], exec
	s_andn2_b64 s[48:49], s[48:49], exec
	s_and_b64 s[12:13], s[12:13], exec
	v_lshl_add_u64 v[14:15], v[14:15], 0, 1
	v_lshl_add_u64 v[16:17], v[16:17], 0, 1
	s_or_b64 s[50:51], s[50:51], s[56:57]
	s_andn2_b64 s[52:53], s[52:53], exec
	s_or_b64 s[48:49], s[48:49], s[12:13]
                                        ; implicit-def: $sgpr12_sgpr13
	s_branch .LBB263_1441
.LBB263_1444:                           ;   in Loop: Header=BB263_1384 Depth=1
	s_or_b64 exec, exec, s[44:45]
	s_xor_b64 s[12:13], s[46:47], -1
	s_orn2_b64 s[12:13], s[12:13], exec
.LBB263_1445:                           ;   in Loop: Header=BB263_1384 Depth=1
	s_or_b64 exec, exec, s[42:43]
	s_and_b64 s[42:43], s[12:13], exec
.LBB263_1446:                           ;   in Loop: Header=BB263_1384 Depth=1
	s_or_b64 exec, exec, s[28:29]
	s_orn2_b64 s[28:29], s[42:43], exec
.LBB263_1447:                           ;   in Loop: Header=BB263_1384 Depth=1
	s_or_b64 exec, exec, s[40:41]
	v_cndmask_b32_e64 v14, v20, v21, s[28:29]
	v_cndmask_b32_e64 v15, v1, v68, s[28:29]
	v_add_u32_e32 v16, 1, v14
	v_add_u32_e32 v14, -1, v15
	v_min_u32_e32 v64, v16, v14
	v_lshl_add_u64 v[14:15], v[64:65], 3, v[10:11]
	flat_load_dwordx2 v[14:15], v[14:15]
	v_cndmask_b32_e64 v20, v16, v20, s[28:29]
	s_mov_b64 s[40:41], -1
	v_cndmask_b32_e64 v21, v21, v16, s[28:29]
	v_cmp_lt_u32_e64 s[12:13], v20, v1
	s_mov_b64 s[42:43], -1
	s_waitcnt vmcnt(0) lgkmcnt(0)
	v_cndmask_b32_e64 v98, v15, v86, s[28:29]
	v_cndmask_b32_e64 v99, v14, v87, s[28:29]
	;; [unrolled: 1-line block ×4, first 2 shown]
	s_and_saveexec_b64 s[44:45], s[12:13]
	s_cbranch_execz .LBB263_1457
; %bb.1448:                             ;   in Loop: Header=BB263_1384 Depth=1
	v_cmp_lt_u32_e64 s[12:13], v21, v68
	s_mov_b64 s[46:47], 0
	s_and_saveexec_b64 s[42:43], s[12:13]
	s_cbranch_execz .LBB263_1456
; %bb.1449:                             ;   in Loop: Header=BB263_1384 Depth=1
	s_mov_b64 s[12:13], -1
	s_and_saveexec_b64 s[46:47], s[8:9]
	s_cbranch_execz .LBB263_1455
; %bb.1450:                             ;   in Loop: Header=BB263_1384 Depth=1
	v_mad_u64_u32 v[14:15], s[12:13], v101, v6, v[8:9]
	v_mul_lo_u32 v16, v101, v7
	v_mul_lo_u32 v17, v100, v6
	v_add3_u32 v15, v17, v15, v16
	v_mad_u64_u32 v[16:17], s[12:13], v99, v6, v[8:9]
	v_mul_lo_u32 v18, v99, v7
	v_mul_lo_u32 v19, v98, v6
	v_add3_u32 v17, v19, v17, v18
	s_mov_b64 s[48:49], 0
	v_mov_b64_e32 v[18:19], v[6:7]
                                        ; implicit-def: $sgpr50_sgpr51
                                        ; implicit-def: $sgpr52_sgpr53
                                        ; implicit-def: $sgpr56_sgpr57
                                        ; implicit-def: $sgpr54_sgpr55
                                        ; implicit-def: $sgpr12_sgpr13
	s_branch .LBB263_1452
.LBB263_1451:                           ;   in Loop: Header=BB263_1452 Depth=2
	s_or_b64 exec, exec, s[58:59]
	s_and_b64 s[58:59], exec, s[52:53]
	s_or_b64 s[48:49], s[58:59], s[48:49]
	s_andn2_b64 s[12:13], s[12:13], exec
	s_and_b64 s[58:59], s[54:55], exec
	s_or_b64 s[12:13], s[12:13], s[58:59]
	s_andn2_b64 s[50:51], s[50:51], exec
	s_and_b64 s[58:59], s[56:57], exec
	s_or_b64 s[50:51], s[50:51], s[58:59]
	s_andn2_b64 exec, exec, s[48:49]
	s_cbranch_execz .LBB263_1454
.LBB263_1452:                           ;   Parent Loop BB263_1384 Depth=1
                                        ; =>  This Inner Loop Header: Depth=2
	flat_load_ubyte v22, v[16:17]
	flat_load_ubyte v23, v[14:15]
	s_andn2_b64 s[56:57], s[56:57], exec
	s_andn2_b64 s[54:55], s[54:55], exec
	s_or_b64 s[52:53], s[52:53], exec
	s_waitcnt vmcnt(0) lgkmcnt(0)
	v_cmp_le_i16_sdwa s[60:61], sext(v22), sext(v23) src0_sel:BYTE_0 src1_sel:BYTE_0
	v_cmp_lt_i16_sdwa s[58:59], sext(v22), sext(v23) src0_sel:BYTE_0 src1_sel:BYTE_0
	s_and_b64 s[60:61], s[60:61], s[12:13]
	s_or_b64 s[60:61], s[58:59], s[60:61]
	s_and_b64 s[58:59], s[60:61], exec
	v_cmp_eq_u16_sdwa s[62:63], v22, v23 src0_sel:BYTE_0 src1_sel:BYTE_0
	s_or_b64 s[56:57], s[56:57], s[58:59]
	s_and_saveexec_b64 s[58:59], s[62:63]
	s_cbranch_execz .LBB263_1451
; %bb.1453:                             ;   in Loop: Header=BB263_1452 Depth=2
	v_lshl_add_u64 v[18:19], v[18:19], 0, -1
	v_cmp_eq_u64_e64 s[12:13], 0, v[18:19]
	s_andn2_b64 s[54:55], s[54:55], exec
	s_and_b64 s[60:61], s[60:61], exec
	s_andn2_b64 s[52:53], s[52:53], exec
	s_and_b64 s[12:13], s[12:13], exec
	v_lshl_add_u64 v[14:15], v[14:15], 0, 1
	v_lshl_add_u64 v[16:17], v[16:17], 0, 1
	s_or_b64 s[54:55], s[54:55], s[60:61]
	s_andn2_b64 s[56:57], s[56:57], exec
	s_or_b64 s[52:53], s[52:53], s[12:13]
                                        ; implicit-def: $sgpr12_sgpr13
	s_branch .LBB263_1451
.LBB263_1454:                           ;   in Loop: Header=BB263_1384 Depth=1
	s_or_b64 exec, exec, s[48:49]
	s_xor_b64 s[12:13], s[50:51], -1
	s_orn2_b64 s[12:13], s[12:13], exec
.LBB263_1455:                           ;   in Loop: Header=BB263_1384 Depth=1
	s_or_b64 exec, exec, s[46:47]
	s_and_b64 s[46:47], s[12:13], exec
.LBB263_1456:                           ;   in Loop: Header=BB263_1384 Depth=1
	s_or_b64 exec, exec, s[42:43]
	s_orn2_b64 s[42:43], s[46:47], exec
.LBB263_1457:                           ;   in Loop: Header=BB263_1384 Depth=1
	s_or_b64 exec, exec, s[44:45]
	v_cndmask_b32_e64 v14, v20, v21, s[42:43]
	v_cndmask_b32_e64 v15, v1, v68, s[42:43]
	v_add_u32_e32 v16, 1, v14
	v_add_u32_e32 v14, -1, v15
	v_min_u32_e32 v64, v16, v14
	v_lshl_add_u64 v[14:15], v[64:65], 3, v[10:11]
	flat_load_dwordx2 v[14:15], v[14:15]
	v_cndmask_b32_e64 v22, v16, v20, s[42:43]
	v_cndmask_b32_e64 v20, v21, v16, s[42:43]
	v_cmp_lt_u32_e64 s[12:13], v22, v1
	s_waitcnt vmcnt(0) lgkmcnt(0)
	v_cndmask_b32_e64 v102, v15, v98, s[42:43]
	v_cndmask_b32_e64 v103, v14, v99, s[42:43]
	;; [unrolled: 1-line block ×4, first 2 shown]
	s_and_saveexec_b64 s[44:45], s[12:13]
	s_cbranch_execz .LBB263_1467
; %bb.1458:                             ;   in Loop: Header=BB263_1384 Depth=1
	v_cmp_lt_u32_e64 s[12:13], v20, v68
	s_mov_b64 s[46:47], 0
	s_and_saveexec_b64 s[40:41], s[12:13]
	s_cbranch_execz .LBB263_1466
; %bb.1459:                             ;   in Loop: Header=BB263_1384 Depth=1
	s_mov_b64 s[12:13], -1
	s_and_saveexec_b64 s[46:47], s[8:9]
	s_cbranch_execz .LBB263_1465
; %bb.1460:                             ;   in Loop: Header=BB263_1384 Depth=1
	v_mad_u64_u32 v[14:15], s[12:13], v113, v6, v[8:9]
	v_mul_lo_u32 v16, v113, v7
	v_mul_lo_u32 v17, v112, v6
	v_add3_u32 v15, v17, v15, v16
	v_mad_u64_u32 v[16:17], s[12:13], v103, v6, v[8:9]
	v_mul_lo_u32 v18, v103, v7
	v_mul_lo_u32 v19, v102, v6
	v_add3_u32 v17, v19, v17, v18
	s_mov_b64 s[48:49], 0
	v_mov_b64_e32 v[18:19], v[6:7]
                                        ; implicit-def: $sgpr50_sgpr51
                                        ; implicit-def: $sgpr52_sgpr53
                                        ; implicit-def: $sgpr56_sgpr57
                                        ; implicit-def: $sgpr54_sgpr55
                                        ; implicit-def: $sgpr12_sgpr13
	s_branch .LBB263_1462
.LBB263_1461:                           ;   in Loop: Header=BB263_1462 Depth=2
	s_or_b64 exec, exec, s[58:59]
	s_and_b64 s[58:59], exec, s[52:53]
	s_or_b64 s[48:49], s[58:59], s[48:49]
	s_andn2_b64 s[12:13], s[12:13], exec
	s_and_b64 s[58:59], s[54:55], exec
	s_or_b64 s[12:13], s[12:13], s[58:59]
	s_andn2_b64 s[50:51], s[50:51], exec
	s_and_b64 s[58:59], s[56:57], exec
	s_or_b64 s[50:51], s[50:51], s[58:59]
	s_andn2_b64 exec, exec, s[48:49]
	s_cbranch_execz .LBB263_1464
.LBB263_1462:                           ;   Parent Loop BB263_1384 Depth=1
                                        ; =>  This Inner Loop Header: Depth=2
	flat_load_ubyte v21, v[16:17]
	flat_load_ubyte v23, v[14:15]
	s_andn2_b64 s[56:57], s[56:57], exec
	s_andn2_b64 s[54:55], s[54:55], exec
	s_or_b64 s[52:53], s[52:53], exec
	s_waitcnt vmcnt(0) lgkmcnt(0)
	v_cmp_le_i16_sdwa s[60:61], sext(v21), sext(v23) src0_sel:BYTE_0 src1_sel:BYTE_0
	v_cmp_lt_i16_sdwa s[58:59], sext(v21), sext(v23) src0_sel:BYTE_0 src1_sel:BYTE_0
	s_and_b64 s[60:61], s[60:61], s[12:13]
	s_or_b64 s[60:61], s[58:59], s[60:61]
	s_and_b64 s[58:59], s[60:61], exec
	v_cmp_eq_u16_sdwa s[62:63], v21, v23 src0_sel:BYTE_0 src1_sel:BYTE_0
	s_or_b64 s[56:57], s[56:57], s[58:59]
	s_and_saveexec_b64 s[58:59], s[62:63]
	s_cbranch_execz .LBB263_1461
; %bb.1463:                             ;   in Loop: Header=BB263_1462 Depth=2
	v_lshl_add_u64 v[18:19], v[18:19], 0, -1
	v_cmp_eq_u64_e64 s[12:13], 0, v[18:19]
	s_andn2_b64 s[54:55], s[54:55], exec
	s_and_b64 s[60:61], s[60:61], exec
	s_andn2_b64 s[52:53], s[52:53], exec
	s_and_b64 s[12:13], s[12:13], exec
	v_lshl_add_u64 v[14:15], v[14:15], 0, 1
	v_lshl_add_u64 v[16:17], v[16:17], 0, 1
	s_or_b64 s[54:55], s[54:55], s[60:61]
	s_andn2_b64 s[56:57], s[56:57], exec
	s_or_b64 s[52:53], s[52:53], s[12:13]
                                        ; implicit-def: $sgpr12_sgpr13
	s_branch .LBB263_1461
.LBB263_1464:                           ;   in Loop: Header=BB263_1384 Depth=1
	s_or_b64 exec, exec, s[48:49]
	s_xor_b64 s[12:13], s[50:51], -1
	s_orn2_b64 s[12:13], s[12:13], exec
.LBB263_1465:                           ;   in Loop: Header=BB263_1384 Depth=1
	s_or_b64 exec, exec, s[46:47]
	s_and_b64 s[46:47], s[12:13], exec
.LBB263_1466:                           ;   in Loop: Header=BB263_1384 Depth=1
	s_or_b64 exec, exec, s[40:41]
	s_orn2_b64 s[40:41], s[46:47], exec
.LBB263_1467:                           ;   in Loop: Header=BB263_1384 Depth=1
	s_or_b64 exec, exec, s[44:45]
	v_cndmask_b32_e64 v14, v22, v20, s[40:41]
	v_cndmask_b32_e64 v15, v1, v68, s[40:41]
	v_add_u32_e32 v18, 1, v14
	v_add_u32_e32 v14, -1, v15
	v_min_u32_e32 v64, v18, v14
	v_lshl_add_u64 v[14:15], v[64:65], 3, v[10:11]
	flat_load_dwordx2 v[16:17], v[14:15]
	v_cndmask_b32_e64 v19, v18, v22, s[40:41]
	v_cmp_lt_u32_e64 s[12:13], v19, v1
	s_waitcnt vmcnt(0) lgkmcnt(0)
	v_cndmask_b32_e64 v15, v112, v17, s[40:41]
	v_cndmask_b32_e64 v14, v113, v16, s[40:41]
	s_and_saveexec_b64 s[44:45], s[12:13]
	s_cbranch_execz .LBB263_1382
; %bb.1468:                             ;   in Loop: Header=BB263_1384 Depth=1
	v_cndmask_b32_e64 v1, v20, v18, s[40:41]
	v_cndmask_b32_e64 v17, v17, v102, s[40:41]
	;; [unrolled: 1-line block ×3, first 2 shown]
	v_cmp_lt_u32_e64 s[12:13], v1, v68
	s_and_saveexec_b64 s[46:47], s[12:13]
	s_cbranch_execz .LBB263_1381
; %bb.1469:                             ;   in Loop: Header=BB263_1384 Depth=1
	s_and_saveexec_b64 s[48:49], s[8:9]
	s_cbranch_execz .LBB263_1380
; %bb.1470:                             ;   in Loop: Header=BB263_1384 Depth=1
	v_mad_u64_u32 v[18:19], s[12:13], v14, v6, v[8:9]
	v_mul_lo_u32 v1, v14, v7
	v_mul_lo_u32 v20, v15, v6
	v_add3_u32 v19, v20, v19, v1
	v_mad_u64_u32 v[20:21], s[12:13], v16, v6, v[8:9]
	v_mul_lo_u32 v1, v16, v7
	v_mul_lo_u32 v22, v17, v6
	v_add3_u32 v21, v22, v21, v1
	s_mov_b64 s[50:51], 0
	v_mov_b64_e32 v[22:23], v[6:7]
                                        ; implicit-def: $sgpr52_sgpr53
                                        ; implicit-def: $sgpr54_sgpr55
                                        ; implicit-def: $sgpr58_sgpr59
                                        ; implicit-def: $sgpr56_sgpr57
                                        ; implicit-def: $sgpr12_sgpr13
	s_branch .LBB263_1472
.LBB263_1471:                           ;   in Loop: Header=BB263_1472 Depth=2
	s_or_b64 exec, exec, s[60:61]
	s_and_b64 s[60:61], exec, s[54:55]
	s_or_b64 s[50:51], s[60:61], s[50:51]
	s_andn2_b64 s[12:13], s[12:13], exec
	s_and_b64 s[60:61], s[56:57], exec
	s_or_b64 s[12:13], s[12:13], s[60:61]
	s_andn2_b64 s[52:53], s[52:53], exec
	s_and_b64 s[60:61], s[58:59], exec
	s_or_b64 s[52:53], s[52:53], s[60:61]
	s_andn2_b64 exec, exec, s[50:51]
	s_cbranch_execz .LBB263_1379
.LBB263_1472:                           ;   Parent Loop BB263_1384 Depth=1
                                        ; =>  This Inner Loop Header: Depth=2
	flat_load_ubyte v1, v[20:21]
	flat_load_ubyte v64, v[18:19]
	s_andn2_b64 s[58:59], s[58:59], exec
	s_andn2_b64 s[56:57], s[56:57], exec
	s_or_b64 s[54:55], s[54:55], exec
	s_waitcnt vmcnt(0) lgkmcnt(0)
	v_cmp_le_i16_sdwa s[62:63], sext(v1), sext(v64) src0_sel:BYTE_0 src1_sel:BYTE_0
	v_cmp_lt_i16_sdwa s[60:61], sext(v1), sext(v64) src0_sel:BYTE_0 src1_sel:BYTE_0
	s_and_b64 s[62:63], s[62:63], s[12:13]
	s_or_b64 s[62:63], s[60:61], s[62:63]
	s_and_b64 s[60:61], s[62:63], exec
	v_cmp_eq_u16_sdwa s[66:67], v1, v64 src0_sel:BYTE_0 src1_sel:BYTE_0
	s_or_b64 s[58:59], s[58:59], s[60:61]
	s_and_saveexec_b64 s[60:61], s[66:67]
	s_cbranch_execz .LBB263_1471
; %bb.1473:                             ;   in Loop: Header=BB263_1472 Depth=2
	v_lshl_add_u64 v[22:23], v[22:23], 0, -1
	v_cmp_eq_u64_e64 s[12:13], 0, v[22:23]
	s_andn2_b64 s[56:57], s[56:57], exec
	s_and_b64 s[62:63], s[62:63], exec
	s_andn2_b64 s[54:55], s[54:55], exec
	s_and_b64 s[12:13], s[12:13], exec
	v_lshl_add_u64 v[18:19], v[18:19], 0, 1
	v_lshl_add_u64 v[20:21], v[20:21], 0, 1
	s_or_b64 s[56:57], s[56:57], s[62:63]
	s_andn2_b64 s[58:59], s[58:59], exec
	s_or_b64 s[54:55], s[54:55], s[12:13]
                                        ; implicit-def: $sgpr12_sgpr13
	s_branch .LBB263_1471
.LBB263_1474:
	s_or_b64 exec, exec, s[20:21]
.LBB263_1475:
	s_or_b64 exec, exec, s[18:19]
	s_barrier
	flat_store_dwordx4 v[54:55], v[24:27]
	flat_store_dwordx4 v[54:55], v[20:23] offset:16
	flat_store_dwordx4 v[54:55], v[16:19] offset:32
	;; [unrolled: 1-line block ×3, first 2 shown]
	s_waitcnt lgkmcnt(0)
	s_barrier
	flat_load_dwordx2 v[18:19], v[32:33] offset:2048
	flat_load_dwordx2 v[16:17], v[34:35]
	flat_load_dwordx2 v[14:15], v[36:37]
	;; [unrolled: 1-line block ×6, first 2 shown]
	v_mov_b32_e32 v31, 0
	v_lshl_add_u64 v[8:9], v[4:5], 0, v[30:31]
	s_and_saveexec_b64 s[8:9], vcc
	s_cbranch_execnz .LBB263_1484
; %bb.1476:
	s_or_b64 exec, exec, s[8:9]
	s_and_saveexec_b64 s[8:9], s[0:1]
	s_cbranch_execnz .LBB263_1485
.LBB263_1477:
	s_or_b64 exec, exec, s[8:9]
	s_and_saveexec_b64 s[0:1], s[2:3]
	s_cbranch_execnz .LBB263_1486
.LBB263_1478:
	s_or_b64 exec, exec, s[0:1]
	s_and_saveexec_b64 s[0:1], s[4:5]
	s_cbranch_execnz .LBB263_1487
.LBB263_1479:
	s_or_b64 exec, exec, s[0:1]
	s_and_saveexec_b64 s[0:1], s[6:7]
	s_cbranch_execnz .LBB263_1488
.LBB263_1480:
	s_or_b64 exec, exec, s[0:1]
	s_and_saveexec_b64 s[0:1], s[14:15]
	s_cbranch_execnz .LBB263_1489
.LBB263_1481:
	s_or_b64 exec, exec, s[0:1]
	s_and_saveexec_b64 s[0:1], s[10:11]
	s_cbranch_execz .LBB263_1483
.LBB263_1482:
	v_add_co_u32_e32 v2, vcc, 0x3000, v8
	s_nop 1
	v_addc_co_u32_e32 v3, vcc, 0, v9, vcc
	s_waitcnt vmcnt(0) lgkmcnt(0)
	flat_store_dwordx2 v[2:3], v[0:1]
.LBB263_1483:
	s_or_b64 exec, exec, s[0:1]
	s_andn2_b64 s[0:1], s[34:35], exec
	s_and_b64 s[2:3], s[30:31], exec
	s_or_b64 s[34:35], s[0:1], s[2:3]
	s_or_b64 exec, exec, s[36:37]
	s_and_saveexec_b64 s[0:1], s[34:35]
	s_cbranch_execnz .LBB263_3
	s_branch .LBB263_4
.LBB263_1484:
	flat_load_dwordx2 v[2:3], v[2:3]
	s_waitcnt vmcnt(0) lgkmcnt(0)
	flat_store_dwordx2 v[8:9], v[2:3]
	s_or_b64 exec, exec, s[8:9]
	s_and_saveexec_b64 s[8:9], s[0:1]
	s_cbranch_execz .LBB263_1477
.LBB263_1485:
	s_waitcnt vmcnt(0) lgkmcnt(0)
	flat_store_dwordx2 v[8:9], v[18:19] offset:2048
	s_or_b64 exec, exec, s[8:9]
	s_and_saveexec_b64 s[0:1], s[2:3]
	s_cbranch_execz .LBB263_1478
.LBB263_1486:
	v_add_co_u32_e32 v2, vcc, 0x1000, v8
	s_nop 1
	v_addc_co_u32_e32 v3, vcc, 0, v9, vcc
	s_waitcnt vmcnt(0) lgkmcnt(0)
	flat_store_dwordx2 v[2:3], v[16:17]
	s_or_b64 exec, exec, s[0:1]
	s_and_saveexec_b64 s[0:1], s[4:5]
	s_cbranch_execz .LBB263_1479
.LBB263_1487:
	v_add_co_u32_e32 v2, vcc, 0x1000, v8
	s_nop 1
	v_addc_co_u32_e32 v3, vcc, 0, v9, vcc
	s_waitcnt vmcnt(0) lgkmcnt(0)
	flat_store_dwordx2 v[2:3], v[14:15] offset:2048
	s_or_b64 exec, exec, s[0:1]
	s_and_saveexec_b64 s[0:1], s[6:7]
	s_cbranch_execz .LBB263_1480
.LBB263_1488:
	v_add_co_u32_e32 v2, vcc, 0x2000, v8
	s_nop 1
	v_addc_co_u32_e32 v3, vcc, 0, v9, vcc
	s_waitcnt vmcnt(0) lgkmcnt(0)
	flat_store_dwordx2 v[2:3], v[10:11]
	s_or_b64 exec, exec, s[0:1]
	s_and_saveexec_b64 s[0:1], s[14:15]
	s_cbranch_execz .LBB263_1481
.LBB263_1489:
	v_add_co_u32_e32 v2, vcc, 0x2000, v8
	s_nop 1
	v_addc_co_u32_e32 v3, vcc, 0, v9, vcc
	s_waitcnt vmcnt(0) lgkmcnt(0)
	flat_store_dwordx2 v[2:3], v[6:7] offset:2048
	s_or_b64 exec, exec, s[0:1]
	s_and_saveexec_b64 s[0:1], s[10:11]
	s_cbranch_execnz .LBB263_1482
	s_branch .LBB263_1483
.Lfunc_end263:
	.size	_ZN7rocprim17ROCPRIM_400000_NS6detail15block_sort_implIlNS0_10empty_typeELj256ELj8ELNS0_4arch9wavefront6targetE1EvE4sortIPlS9_PS3_SA_ZN2at6native12_GLOBAL__N_124unique_dim_cuda_templateIaEESt5tupleIJNSB_6TensorESG_SG_EERKSG_lbbbEUlllE_EEvjbT_T0_T1_T2_T3_RNS7_12storage_typeE, .Lfunc_end263-_ZN7rocprim17ROCPRIM_400000_NS6detail15block_sort_implIlNS0_10empty_typeELj256ELj8ELNS0_4arch9wavefront6targetE1EvE4sortIPlS9_PS3_SA_ZN2at6native12_GLOBAL__N_124unique_dim_cuda_templateIaEESt5tupleIJNSB_6TensorESG_SG_EERKSG_lbbbEUlllE_EEvjbT_T0_T1_T2_T3_RNS7_12storage_typeE
                                        ; -- End function
	.section	.AMDGPU.csdata,"",@progbits
; Function info:
; codeLenInByte = 65096
; NumSgprs: 74
; NumVgprs: 119
; NumAgprs: 0
; TotalNumVgprs: 119
; ScratchSize: 8
; MemoryBound: 1
	.section	.text._ZN7rocprim17ROCPRIM_400000_NS6detail17trampoline_kernelINS0_14default_configENS1_37merge_sort_block_sort_config_selectorIlNS0_10empty_typeEEEZNS1_21merge_sort_block_sortIS3_PlS8_PS5_S9_ZN2at6native12_GLOBAL__N_124unique_dim_cuda_templateIaEESt5tupleIJNSA_6TensorESF_SF_EERKSF_lbbbEUlllE_EE10hipError_tT0_T1_T2_T3_mRjT4_P12ihipStream_tbNS1_7vsmem_tEEUlT_E_NS1_11comp_targetILNS1_3genE5ELNS1_11target_archE942ELNS1_3gpuE9ELNS1_3repE0EEENS1_30default_config_static_selectorELNS0_4arch9wavefront6targetE1EEEvSM_,"axG",@progbits,_ZN7rocprim17ROCPRIM_400000_NS6detail17trampoline_kernelINS0_14default_configENS1_37merge_sort_block_sort_config_selectorIlNS0_10empty_typeEEEZNS1_21merge_sort_block_sortIS3_PlS8_PS5_S9_ZN2at6native12_GLOBAL__N_124unique_dim_cuda_templateIaEESt5tupleIJNSA_6TensorESF_SF_EERKSF_lbbbEUlllE_EE10hipError_tT0_T1_T2_T3_mRjT4_P12ihipStream_tbNS1_7vsmem_tEEUlT_E_NS1_11comp_targetILNS1_3genE5ELNS1_11target_archE942ELNS1_3gpuE9ELNS1_3repE0EEENS1_30default_config_static_selectorELNS0_4arch9wavefront6targetE1EEEvSM_,comdat
	.globl	_ZN7rocprim17ROCPRIM_400000_NS6detail17trampoline_kernelINS0_14default_configENS1_37merge_sort_block_sort_config_selectorIlNS0_10empty_typeEEEZNS1_21merge_sort_block_sortIS3_PlS8_PS5_S9_ZN2at6native12_GLOBAL__N_124unique_dim_cuda_templateIaEESt5tupleIJNSA_6TensorESF_SF_EERKSF_lbbbEUlllE_EE10hipError_tT0_T1_T2_T3_mRjT4_P12ihipStream_tbNS1_7vsmem_tEEUlT_E_NS1_11comp_targetILNS1_3genE5ELNS1_11target_archE942ELNS1_3gpuE9ELNS1_3repE0EEENS1_30default_config_static_selectorELNS0_4arch9wavefront6targetE1EEEvSM_ ; -- Begin function _ZN7rocprim17ROCPRIM_400000_NS6detail17trampoline_kernelINS0_14default_configENS1_37merge_sort_block_sort_config_selectorIlNS0_10empty_typeEEEZNS1_21merge_sort_block_sortIS3_PlS8_PS5_S9_ZN2at6native12_GLOBAL__N_124unique_dim_cuda_templateIaEESt5tupleIJNSA_6TensorESF_SF_EERKSF_lbbbEUlllE_EE10hipError_tT0_T1_T2_T3_mRjT4_P12ihipStream_tbNS1_7vsmem_tEEUlT_E_NS1_11comp_targetILNS1_3genE5ELNS1_11target_archE942ELNS1_3gpuE9ELNS1_3repE0EEENS1_30default_config_static_selectorELNS0_4arch9wavefront6targetE1EEEvSM_
	.p2align	8
	.type	_ZN7rocprim17ROCPRIM_400000_NS6detail17trampoline_kernelINS0_14default_configENS1_37merge_sort_block_sort_config_selectorIlNS0_10empty_typeEEEZNS1_21merge_sort_block_sortIS3_PlS8_PS5_S9_ZN2at6native12_GLOBAL__N_124unique_dim_cuda_templateIaEESt5tupleIJNSA_6TensorESF_SF_EERKSF_lbbbEUlllE_EE10hipError_tT0_T1_T2_T3_mRjT4_P12ihipStream_tbNS1_7vsmem_tEEUlT_E_NS1_11comp_targetILNS1_3genE5ELNS1_11target_archE942ELNS1_3gpuE9ELNS1_3repE0EEENS1_30default_config_static_selectorELNS0_4arch9wavefront6targetE1EEEvSM_,@function
_ZN7rocprim17ROCPRIM_400000_NS6detail17trampoline_kernelINS0_14default_configENS1_37merge_sort_block_sort_config_selectorIlNS0_10empty_typeEEEZNS1_21merge_sort_block_sortIS3_PlS8_PS5_S9_ZN2at6native12_GLOBAL__N_124unique_dim_cuda_templateIaEESt5tupleIJNSA_6TensorESF_SF_EERKSF_lbbbEUlllE_EE10hipError_tT0_T1_T2_T3_mRjT4_P12ihipStream_tbNS1_7vsmem_tEEUlT_E_NS1_11comp_targetILNS1_3genE5ELNS1_11target_archE942ELNS1_3gpuE9ELNS1_3repE0EEENS1_30default_config_static_selectorELNS0_4arch9wavefront6targetE1EEEvSM_: ; @_ZN7rocprim17ROCPRIM_400000_NS6detail17trampoline_kernelINS0_14default_configENS1_37merge_sort_block_sort_config_selectorIlNS0_10empty_typeEEEZNS1_21merge_sort_block_sortIS3_PlS8_PS5_S9_ZN2at6native12_GLOBAL__N_124unique_dim_cuda_templateIaEESt5tupleIJNSA_6TensorESF_SF_EERKSF_lbbbEUlllE_EE10hipError_tT0_T1_T2_T3_mRjT4_P12ihipStream_tbNS1_7vsmem_tEEUlT_E_NS1_11comp_targetILNS1_3genE5ELNS1_11target_archE942ELNS1_3gpuE9ELNS1_3repE0EEENS1_30default_config_static_selectorELNS0_4arch9wavefront6targetE1EEEvSM_
; %bb.0:
	s_load_dwordx2 s[6:7], s[0:1], 0x48
	s_load_dword s5, s[0:1], 0x0
	s_mov_b32 s32, 0
	s_waitcnt lgkmcnt(0)
	s_mul_i32 s4, s7, s4
	s_add_i32 s4, s4, s3
	s_mul_i32 s4, s4, s6
	s_add_i32 s4, s4, s2
	s_cmp_ge_u32 s4, s5
	s_cbranch_scc1 .LBB264_2
; %bb.1:
	s_load_dwordx4 s[8:11], s[0:1], 0x18
	s_load_dwordx2 s[6:7], s[0:1], 0x8
	s_load_dwordx4 s[16:19], s[0:1], 0x38
	s_mov_b32 s5, 0
	s_lshl_b64 s[12:13], s[4:5], 14
	s_waitcnt lgkmcnt(0)
	s_add_u32 s10, s10, s12
	s_addc_u32 s11, s11, s13
	s_add_u32 s14, s8, s12
	s_addc_u32 s15, s9, s13
	s_lshr_b64 s[8:9], s[6:7], 11
	s_cmp_eq_u64 s[8:9], s[4:5]
	s_cselect_b64 s[8:9], -1, 0
	s_lshl_b32 s4, s4, 11
	s_sub_i32 s6, s6, s4
	v_cndmask_b32_e64 v1, 0, 1, s[8:9]
	s_add_u32 s8, s0, 0x48
	s_addc_u32 s9, s1, 0
	s_mov_b64 s[0:1], src_shared_base
	s_mov_b32 s12, s2
	s_mov_b32 s13, s3
	v_mov_b32_e32 v31, v0
	v_mov_b32_e32 v0, s6
	;; [unrolled: 1-line block ×12, first 2 shown]
	s_getpc_b64 s[4:5]
	s_add_u32 s4, s4, _ZN7rocprim17ROCPRIM_400000_NS6detail15block_sort_implIlNS0_10empty_typeELj256ELj8ELNS0_4arch9wavefront6targetE1EvE4sortIPlS9_PS3_SA_ZN2at6native12_GLOBAL__N_124unique_dim_cuda_templateIaEESt5tupleIJNSB_6TensorESG_SG_EERKSG_lbbbEUlllE_EEvjbT_T0_T1_T2_T3_RNS7_12storage_typeE@rel32@lo+4
	s_addc_u32 s5, s5, _ZN7rocprim17ROCPRIM_400000_NS6detail15block_sort_implIlNS0_10empty_typeELj256ELj8ELNS0_4arch9wavefront6targetE1EvE4sortIPlS9_PS3_SA_ZN2at6native12_GLOBAL__N_124unique_dim_cuda_templateIaEESt5tupleIJNSB_6TensorESG_SG_EERKSG_lbbbEUlllE_EEvjbT_T0_T1_T2_T3_RNS7_12storage_typeE@rel32@hi+12
	s_swappc_b64 s[30:31], s[4:5]
.LBB264_2:
	s_endpgm
	.section	.rodata,"a",@progbits
	.p2align	6, 0x0
	.amdhsa_kernel _ZN7rocprim17ROCPRIM_400000_NS6detail17trampoline_kernelINS0_14default_configENS1_37merge_sort_block_sort_config_selectorIlNS0_10empty_typeEEEZNS1_21merge_sort_block_sortIS3_PlS8_PS5_S9_ZN2at6native12_GLOBAL__N_124unique_dim_cuda_templateIaEESt5tupleIJNSA_6TensorESF_SF_EERKSF_lbbbEUlllE_EE10hipError_tT0_T1_T2_T3_mRjT4_P12ihipStream_tbNS1_7vsmem_tEEUlT_E_NS1_11comp_targetILNS1_3genE5ELNS1_11target_archE942ELNS1_3gpuE9ELNS1_3repE0EEENS1_30default_config_static_selectorELNS0_4arch9wavefront6targetE1EEEvSM_
		.amdhsa_group_segment_fixed_size 16896
		.amdhsa_private_segment_fixed_size 8
		.amdhsa_kernarg_size 328
		.amdhsa_user_sgpr_count 2
		.amdhsa_user_sgpr_dispatch_ptr 0
		.amdhsa_user_sgpr_queue_ptr 0
		.amdhsa_user_sgpr_kernarg_segment_ptr 1
		.amdhsa_user_sgpr_dispatch_id 0
		.amdhsa_user_sgpr_kernarg_preload_length 0
		.amdhsa_user_sgpr_kernarg_preload_offset 0
		.amdhsa_user_sgpr_private_segment_size 0
		.amdhsa_uses_dynamic_stack 0
		.amdhsa_enable_private_segment 1
		.amdhsa_system_sgpr_workgroup_id_x 1
		.amdhsa_system_sgpr_workgroup_id_y 1
		.amdhsa_system_sgpr_workgroup_id_z 1
		.amdhsa_system_sgpr_workgroup_info 0
		.amdhsa_system_vgpr_workitem_id 2
		.amdhsa_next_free_vgpr 119
		.amdhsa_next_free_sgpr 68
		.amdhsa_accum_offset 120
		.amdhsa_reserve_vcc 1
		.amdhsa_float_round_mode_32 0
		.amdhsa_float_round_mode_16_64 0
		.amdhsa_float_denorm_mode_32 3
		.amdhsa_float_denorm_mode_16_64 3
		.amdhsa_dx10_clamp 1
		.amdhsa_ieee_mode 1
		.amdhsa_fp16_overflow 0
		.amdhsa_tg_split 0
		.amdhsa_exception_fp_ieee_invalid_op 0
		.amdhsa_exception_fp_denorm_src 0
		.amdhsa_exception_fp_ieee_div_zero 0
		.amdhsa_exception_fp_ieee_overflow 0
		.amdhsa_exception_fp_ieee_underflow 0
		.amdhsa_exception_fp_ieee_inexact 0
		.amdhsa_exception_int_div_zero 0
	.end_amdhsa_kernel
	.section	.text._ZN7rocprim17ROCPRIM_400000_NS6detail17trampoline_kernelINS0_14default_configENS1_37merge_sort_block_sort_config_selectorIlNS0_10empty_typeEEEZNS1_21merge_sort_block_sortIS3_PlS8_PS5_S9_ZN2at6native12_GLOBAL__N_124unique_dim_cuda_templateIaEESt5tupleIJNSA_6TensorESF_SF_EERKSF_lbbbEUlllE_EE10hipError_tT0_T1_T2_T3_mRjT4_P12ihipStream_tbNS1_7vsmem_tEEUlT_E_NS1_11comp_targetILNS1_3genE5ELNS1_11target_archE942ELNS1_3gpuE9ELNS1_3repE0EEENS1_30default_config_static_selectorELNS0_4arch9wavefront6targetE1EEEvSM_,"axG",@progbits,_ZN7rocprim17ROCPRIM_400000_NS6detail17trampoline_kernelINS0_14default_configENS1_37merge_sort_block_sort_config_selectorIlNS0_10empty_typeEEEZNS1_21merge_sort_block_sortIS3_PlS8_PS5_S9_ZN2at6native12_GLOBAL__N_124unique_dim_cuda_templateIaEESt5tupleIJNSA_6TensorESF_SF_EERKSF_lbbbEUlllE_EE10hipError_tT0_T1_T2_T3_mRjT4_P12ihipStream_tbNS1_7vsmem_tEEUlT_E_NS1_11comp_targetILNS1_3genE5ELNS1_11target_archE942ELNS1_3gpuE9ELNS1_3repE0EEENS1_30default_config_static_selectorELNS0_4arch9wavefront6targetE1EEEvSM_,comdat
.Lfunc_end264:
	.size	_ZN7rocprim17ROCPRIM_400000_NS6detail17trampoline_kernelINS0_14default_configENS1_37merge_sort_block_sort_config_selectorIlNS0_10empty_typeEEEZNS1_21merge_sort_block_sortIS3_PlS8_PS5_S9_ZN2at6native12_GLOBAL__N_124unique_dim_cuda_templateIaEESt5tupleIJNSA_6TensorESF_SF_EERKSF_lbbbEUlllE_EE10hipError_tT0_T1_T2_T3_mRjT4_P12ihipStream_tbNS1_7vsmem_tEEUlT_E_NS1_11comp_targetILNS1_3genE5ELNS1_11target_archE942ELNS1_3gpuE9ELNS1_3repE0EEENS1_30default_config_static_selectorELNS0_4arch9wavefront6targetE1EEEvSM_, .Lfunc_end264-_ZN7rocprim17ROCPRIM_400000_NS6detail17trampoline_kernelINS0_14default_configENS1_37merge_sort_block_sort_config_selectorIlNS0_10empty_typeEEEZNS1_21merge_sort_block_sortIS3_PlS8_PS5_S9_ZN2at6native12_GLOBAL__N_124unique_dim_cuda_templateIaEESt5tupleIJNSA_6TensorESF_SF_EERKSF_lbbbEUlllE_EE10hipError_tT0_T1_T2_T3_mRjT4_P12ihipStream_tbNS1_7vsmem_tEEUlT_E_NS1_11comp_targetILNS1_3genE5ELNS1_11target_archE942ELNS1_3gpuE9ELNS1_3repE0EEENS1_30default_config_static_selectorELNS0_4arch9wavefront6targetE1EEEvSM_
                                        ; -- End function
	.section	.AMDGPU.csdata,"",@progbits
; Kernel info:
; codeLenInByte = 228
; NumSgprs: 74
; NumVgprs: 119
; NumAgprs: 0
; TotalNumVgprs: 119
; ScratchSize: 8
; MemoryBound: 0
; FloatMode: 240
; IeeeMode: 1
; LDSByteSize: 16896 bytes/workgroup (compile time only)
; SGPRBlocks: 9
; VGPRBlocks: 14
; NumSGPRsForWavesPerEU: 74
; NumVGPRsForWavesPerEU: 119
; AccumOffset: 120
; Occupancy: 3
; WaveLimiterHint : 1
; COMPUTE_PGM_RSRC2:SCRATCH_EN: 1
; COMPUTE_PGM_RSRC2:USER_SGPR: 2
; COMPUTE_PGM_RSRC2:TRAP_HANDLER: 0
; COMPUTE_PGM_RSRC2:TGID_X_EN: 1
; COMPUTE_PGM_RSRC2:TGID_Y_EN: 1
; COMPUTE_PGM_RSRC2:TGID_Z_EN: 1
; COMPUTE_PGM_RSRC2:TIDIG_COMP_CNT: 2
; COMPUTE_PGM_RSRC3_GFX90A:ACCUM_OFFSET: 29
; COMPUTE_PGM_RSRC3_GFX90A:TG_SPLIT: 0
	.section	.text._ZN7rocprim17ROCPRIM_400000_NS6detail17trampoline_kernelINS0_14default_configENS1_37merge_sort_block_sort_config_selectorIlNS0_10empty_typeEEEZNS1_21merge_sort_block_sortIS3_PlS8_PS5_S9_ZN2at6native12_GLOBAL__N_124unique_dim_cuda_templateIaEESt5tupleIJNSA_6TensorESF_SF_EERKSF_lbbbEUlllE_EE10hipError_tT0_T1_T2_T3_mRjT4_P12ihipStream_tbNS1_7vsmem_tEEUlT_E_NS1_11comp_targetILNS1_3genE4ELNS1_11target_archE910ELNS1_3gpuE8ELNS1_3repE0EEENS1_30default_config_static_selectorELNS0_4arch9wavefront6targetE1EEEvSM_,"axG",@progbits,_ZN7rocprim17ROCPRIM_400000_NS6detail17trampoline_kernelINS0_14default_configENS1_37merge_sort_block_sort_config_selectorIlNS0_10empty_typeEEEZNS1_21merge_sort_block_sortIS3_PlS8_PS5_S9_ZN2at6native12_GLOBAL__N_124unique_dim_cuda_templateIaEESt5tupleIJNSA_6TensorESF_SF_EERKSF_lbbbEUlllE_EE10hipError_tT0_T1_T2_T3_mRjT4_P12ihipStream_tbNS1_7vsmem_tEEUlT_E_NS1_11comp_targetILNS1_3genE4ELNS1_11target_archE910ELNS1_3gpuE8ELNS1_3repE0EEENS1_30default_config_static_selectorELNS0_4arch9wavefront6targetE1EEEvSM_,comdat
	.globl	_ZN7rocprim17ROCPRIM_400000_NS6detail17trampoline_kernelINS0_14default_configENS1_37merge_sort_block_sort_config_selectorIlNS0_10empty_typeEEEZNS1_21merge_sort_block_sortIS3_PlS8_PS5_S9_ZN2at6native12_GLOBAL__N_124unique_dim_cuda_templateIaEESt5tupleIJNSA_6TensorESF_SF_EERKSF_lbbbEUlllE_EE10hipError_tT0_T1_T2_T3_mRjT4_P12ihipStream_tbNS1_7vsmem_tEEUlT_E_NS1_11comp_targetILNS1_3genE4ELNS1_11target_archE910ELNS1_3gpuE8ELNS1_3repE0EEENS1_30default_config_static_selectorELNS0_4arch9wavefront6targetE1EEEvSM_ ; -- Begin function _ZN7rocprim17ROCPRIM_400000_NS6detail17trampoline_kernelINS0_14default_configENS1_37merge_sort_block_sort_config_selectorIlNS0_10empty_typeEEEZNS1_21merge_sort_block_sortIS3_PlS8_PS5_S9_ZN2at6native12_GLOBAL__N_124unique_dim_cuda_templateIaEESt5tupleIJNSA_6TensorESF_SF_EERKSF_lbbbEUlllE_EE10hipError_tT0_T1_T2_T3_mRjT4_P12ihipStream_tbNS1_7vsmem_tEEUlT_E_NS1_11comp_targetILNS1_3genE4ELNS1_11target_archE910ELNS1_3gpuE8ELNS1_3repE0EEENS1_30default_config_static_selectorELNS0_4arch9wavefront6targetE1EEEvSM_
	.p2align	8
	.type	_ZN7rocprim17ROCPRIM_400000_NS6detail17trampoline_kernelINS0_14default_configENS1_37merge_sort_block_sort_config_selectorIlNS0_10empty_typeEEEZNS1_21merge_sort_block_sortIS3_PlS8_PS5_S9_ZN2at6native12_GLOBAL__N_124unique_dim_cuda_templateIaEESt5tupleIJNSA_6TensorESF_SF_EERKSF_lbbbEUlllE_EE10hipError_tT0_T1_T2_T3_mRjT4_P12ihipStream_tbNS1_7vsmem_tEEUlT_E_NS1_11comp_targetILNS1_3genE4ELNS1_11target_archE910ELNS1_3gpuE8ELNS1_3repE0EEENS1_30default_config_static_selectorELNS0_4arch9wavefront6targetE1EEEvSM_,@function
_ZN7rocprim17ROCPRIM_400000_NS6detail17trampoline_kernelINS0_14default_configENS1_37merge_sort_block_sort_config_selectorIlNS0_10empty_typeEEEZNS1_21merge_sort_block_sortIS3_PlS8_PS5_S9_ZN2at6native12_GLOBAL__N_124unique_dim_cuda_templateIaEESt5tupleIJNSA_6TensorESF_SF_EERKSF_lbbbEUlllE_EE10hipError_tT0_T1_T2_T3_mRjT4_P12ihipStream_tbNS1_7vsmem_tEEUlT_E_NS1_11comp_targetILNS1_3genE4ELNS1_11target_archE910ELNS1_3gpuE8ELNS1_3repE0EEENS1_30default_config_static_selectorELNS0_4arch9wavefront6targetE1EEEvSM_: ; @_ZN7rocprim17ROCPRIM_400000_NS6detail17trampoline_kernelINS0_14default_configENS1_37merge_sort_block_sort_config_selectorIlNS0_10empty_typeEEEZNS1_21merge_sort_block_sortIS3_PlS8_PS5_S9_ZN2at6native12_GLOBAL__N_124unique_dim_cuda_templateIaEESt5tupleIJNSA_6TensorESF_SF_EERKSF_lbbbEUlllE_EE10hipError_tT0_T1_T2_T3_mRjT4_P12ihipStream_tbNS1_7vsmem_tEEUlT_E_NS1_11comp_targetILNS1_3genE4ELNS1_11target_archE910ELNS1_3gpuE8ELNS1_3repE0EEENS1_30default_config_static_selectorELNS0_4arch9wavefront6targetE1EEEvSM_
; %bb.0:
	.section	.rodata,"a",@progbits
	.p2align	6, 0x0
	.amdhsa_kernel _ZN7rocprim17ROCPRIM_400000_NS6detail17trampoline_kernelINS0_14default_configENS1_37merge_sort_block_sort_config_selectorIlNS0_10empty_typeEEEZNS1_21merge_sort_block_sortIS3_PlS8_PS5_S9_ZN2at6native12_GLOBAL__N_124unique_dim_cuda_templateIaEESt5tupleIJNSA_6TensorESF_SF_EERKSF_lbbbEUlllE_EE10hipError_tT0_T1_T2_T3_mRjT4_P12ihipStream_tbNS1_7vsmem_tEEUlT_E_NS1_11comp_targetILNS1_3genE4ELNS1_11target_archE910ELNS1_3gpuE8ELNS1_3repE0EEENS1_30default_config_static_selectorELNS0_4arch9wavefront6targetE1EEEvSM_
		.amdhsa_group_segment_fixed_size 0
		.amdhsa_private_segment_fixed_size 0
		.amdhsa_kernarg_size 72
		.amdhsa_user_sgpr_count 2
		.amdhsa_user_sgpr_dispatch_ptr 0
		.amdhsa_user_sgpr_queue_ptr 0
		.amdhsa_user_sgpr_kernarg_segment_ptr 1
		.amdhsa_user_sgpr_dispatch_id 0
		.amdhsa_user_sgpr_kernarg_preload_length 0
		.amdhsa_user_sgpr_kernarg_preload_offset 0
		.amdhsa_user_sgpr_private_segment_size 0
		.amdhsa_uses_dynamic_stack 0
		.amdhsa_enable_private_segment 0
		.amdhsa_system_sgpr_workgroup_id_x 1
		.amdhsa_system_sgpr_workgroup_id_y 0
		.amdhsa_system_sgpr_workgroup_id_z 0
		.amdhsa_system_sgpr_workgroup_info 0
		.amdhsa_system_vgpr_workitem_id 0
		.amdhsa_next_free_vgpr 1
		.amdhsa_next_free_sgpr 0
		.amdhsa_accum_offset 4
		.amdhsa_reserve_vcc 0
		.amdhsa_float_round_mode_32 0
		.amdhsa_float_round_mode_16_64 0
		.amdhsa_float_denorm_mode_32 3
		.amdhsa_float_denorm_mode_16_64 3
		.amdhsa_dx10_clamp 1
		.amdhsa_ieee_mode 1
		.amdhsa_fp16_overflow 0
		.amdhsa_tg_split 0
		.amdhsa_exception_fp_ieee_invalid_op 0
		.amdhsa_exception_fp_denorm_src 0
		.amdhsa_exception_fp_ieee_div_zero 0
		.amdhsa_exception_fp_ieee_overflow 0
		.amdhsa_exception_fp_ieee_underflow 0
		.amdhsa_exception_fp_ieee_inexact 0
		.amdhsa_exception_int_div_zero 0
	.end_amdhsa_kernel
	.section	.text._ZN7rocprim17ROCPRIM_400000_NS6detail17trampoline_kernelINS0_14default_configENS1_37merge_sort_block_sort_config_selectorIlNS0_10empty_typeEEEZNS1_21merge_sort_block_sortIS3_PlS8_PS5_S9_ZN2at6native12_GLOBAL__N_124unique_dim_cuda_templateIaEESt5tupleIJNSA_6TensorESF_SF_EERKSF_lbbbEUlllE_EE10hipError_tT0_T1_T2_T3_mRjT4_P12ihipStream_tbNS1_7vsmem_tEEUlT_E_NS1_11comp_targetILNS1_3genE4ELNS1_11target_archE910ELNS1_3gpuE8ELNS1_3repE0EEENS1_30default_config_static_selectorELNS0_4arch9wavefront6targetE1EEEvSM_,"axG",@progbits,_ZN7rocprim17ROCPRIM_400000_NS6detail17trampoline_kernelINS0_14default_configENS1_37merge_sort_block_sort_config_selectorIlNS0_10empty_typeEEEZNS1_21merge_sort_block_sortIS3_PlS8_PS5_S9_ZN2at6native12_GLOBAL__N_124unique_dim_cuda_templateIaEESt5tupleIJNSA_6TensorESF_SF_EERKSF_lbbbEUlllE_EE10hipError_tT0_T1_T2_T3_mRjT4_P12ihipStream_tbNS1_7vsmem_tEEUlT_E_NS1_11comp_targetILNS1_3genE4ELNS1_11target_archE910ELNS1_3gpuE8ELNS1_3repE0EEENS1_30default_config_static_selectorELNS0_4arch9wavefront6targetE1EEEvSM_,comdat
.Lfunc_end265:
	.size	_ZN7rocprim17ROCPRIM_400000_NS6detail17trampoline_kernelINS0_14default_configENS1_37merge_sort_block_sort_config_selectorIlNS0_10empty_typeEEEZNS1_21merge_sort_block_sortIS3_PlS8_PS5_S9_ZN2at6native12_GLOBAL__N_124unique_dim_cuda_templateIaEESt5tupleIJNSA_6TensorESF_SF_EERKSF_lbbbEUlllE_EE10hipError_tT0_T1_T2_T3_mRjT4_P12ihipStream_tbNS1_7vsmem_tEEUlT_E_NS1_11comp_targetILNS1_3genE4ELNS1_11target_archE910ELNS1_3gpuE8ELNS1_3repE0EEENS1_30default_config_static_selectorELNS0_4arch9wavefront6targetE1EEEvSM_, .Lfunc_end265-_ZN7rocprim17ROCPRIM_400000_NS6detail17trampoline_kernelINS0_14default_configENS1_37merge_sort_block_sort_config_selectorIlNS0_10empty_typeEEEZNS1_21merge_sort_block_sortIS3_PlS8_PS5_S9_ZN2at6native12_GLOBAL__N_124unique_dim_cuda_templateIaEESt5tupleIJNSA_6TensorESF_SF_EERKSF_lbbbEUlllE_EE10hipError_tT0_T1_T2_T3_mRjT4_P12ihipStream_tbNS1_7vsmem_tEEUlT_E_NS1_11comp_targetILNS1_3genE4ELNS1_11target_archE910ELNS1_3gpuE8ELNS1_3repE0EEENS1_30default_config_static_selectorELNS0_4arch9wavefront6targetE1EEEvSM_
                                        ; -- End function
	.section	.AMDGPU.csdata,"",@progbits
; Kernel info:
; codeLenInByte = 0
; NumSgprs: 6
; NumVgprs: 0
; NumAgprs: 0
; TotalNumVgprs: 0
; ScratchSize: 0
; MemoryBound: 0
; FloatMode: 240
; IeeeMode: 1
; LDSByteSize: 0 bytes/workgroup (compile time only)
; SGPRBlocks: 0
; VGPRBlocks: 0
; NumSGPRsForWavesPerEU: 6
; NumVGPRsForWavesPerEU: 1
; AccumOffset: 4
; Occupancy: 8
; WaveLimiterHint : 0
; COMPUTE_PGM_RSRC2:SCRATCH_EN: 0
; COMPUTE_PGM_RSRC2:USER_SGPR: 2
; COMPUTE_PGM_RSRC2:TRAP_HANDLER: 0
; COMPUTE_PGM_RSRC2:TGID_X_EN: 1
; COMPUTE_PGM_RSRC2:TGID_Y_EN: 0
; COMPUTE_PGM_RSRC2:TGID_Z_EN: 0
; COMPUTE_PGM_RSRC2:TIDIG_COMP_CNT: 0
; COMPUTE_PGM_RSRC3_GFX90A:ACCUM_OFFSET: 0
; COMPUTE_PGM_RSRC3_GFX90A:TG_SPLIT: 0
	.section	.text._ZN7rocprim17ROCPRIM_400000_NS6detail17trampoline_kernelINS0_14default_configENS1_37merge_sort_block_sort_config_selectorIlNS0_10empty_typeEEEZNS1_21merge_sort_block_sortIS3_PlS8_PS5_S9_ZN2at6native12_GLOBAL__N_124unique_dim_cuda_templateIaEESt5tupleIJNSA_6TensorESF_SF_EERKSF_lbbbEUlllE_EE10hipError_tT0_T1_T2_T3_mRjT4_P12ihipStream_tbNS1_7vsmem_tEEUlT_E_NS1_11comp_targetILNS1_3genE3ELNS1_11target_archE908ELNS1_3gpuE7ELNS1_3repE0EEENS1_30default_config_static_selectorELNS0_4arch9wavefront6targetE1EEEvSM_,"axG",@progbits,_ZN7rocprim17ROCPRIM_400000_NS6detail17trampoline_kernelINS0_14default_configENS1_37merge_sort_block_sort_config_selectorIlNS0_10empty_typeEEEZNS1_21merge_sort_block_sortIS3_PlS8_PS5_S9_ZN2at6native12_GLOBAL__N_124unique_dim_cuda_templateIaEESt5tupleIJNSA_6TensorESF_SF_EERKSF_lbbbEUlllE_EE10hipError_tT0_T1_T2_T3_mRjT4_P12ihipStream_tbNS1_7vsmem_tEEUlT_E_NS1_11comp_targetILNS1_3genE3ELNS1_11target_archE908ELNS1_3gpuE7ELNS1_3repE0EEENS1_30default_config_static_selectorELNS0_4arch9wavefront6targetE1EEEvSM_,comdat
	.globl	_ZN7rocprim17ROCPRIM_400000_NS6detail17trampoline_kernelINS0_14default_configENS1_37merge_sort_block_sort_config_selectorIlNS0_10empty_typeEEEZNS1_21merge_sort_block_sortIS3_PlS8_PS5_S9_ZN2at6native12_GLOBAL__N_124unique_dim_cuda_templateIaEESt5tupleIJNSA_6TensorESF_SF_EERKSF_lbbbEUlllE_EE10hipError_tT0_T1_T2_T3_mRjT4_P12ihipStream_tbNS1_7vsmem_tEEUlT_E_NS1_11comp_targetILNS1_3genE3ELNS1_11target_archE908ELNS1_3gpuE7ELNS1_3repE0EEENS1_30default_config_static_selectorELNS0_4arch9wavefront6targetE1EEEvSM_ ; -- Begin function _ZN7rocprim17ROCPRIM_400000_NS6detail17trampoline_kernelINS0_14default_configENS1_37merge_sort_block_sort_config_selectorIlNS0_10empty_typeEEEZNS1_21merge_sort_block_sortIS3_PlS8_PS5_S9_ZN2at6native12_GLOBAL__N_124unique_dim_cuda_templateIaEESt5tupleIJNSA_6TensorESF_SF_EERKSF_lbbbEUlllE_EE10hipError_tT0_T1_T2_T3_mRjT4_P12ihipStream_tbNS1_7vsmem_tEEUlT_E_NS1_11comp_targetILNS1_3genE3ELNS1_11target_archE908ELNS1_3gpuE7ELNS1_3repE0EEENS1_30default_config_static_selectorELNS0_4arch9wavefront6targetE1EEEvSM_
	.p2align	8
	.type	_ZN7rocprim17ROCPRIM_400000_NS6detail17trampoline_kernelINS0_14default_configENS1_37merge_sort_block_sort_config_selectorIlNS0_10empty_typeEEEZNS1_21merge_sort_block_sortIS3_PlS8_PS5_S9_ZN2at6native12_GLOBAL__N_124unique_dim_cuda_templateIaEESt5tupleIJNSA_6TensorESF_SF_EERKSF_lbbbEUlllE_EE10hipError_tT0_T1_T2_T3_mRjT4_P12ihipStream_tbNS1_7vsmem_tEEUlT_E_NS1_11comp_targetILNS1_3genE3ELNS1_11target_archE908ELNS1_3gpuE7ELNS1_3repE0EEENS1_30default_config_static_selectorELNS0_4arch9wavefront6targetE1EEEvSM_,@function
_ZN7rocprim17ROCPRIM_400000_NS6detail17trampoline_kernelINS0_14default_configENS1_37merge_sort_block_sort_config_selectorIlNS0_10empty_typeEEEZNS1_21merge_sort_block_sortIS3_PlS8_PS5_S9_ZN2at6native12_GLOBAL__N_124unique_dim_cuda_templateIaEESt5tupleIJNSA_6TensorESF_SF_EERKSF_lbbbEUlllE_EE10hipError_tT0_T1_T2_T3_mRjT4_P12ihipStream_tbNS1_7vsmem_tEEUlT_E_NS1_11comp_targetILNS1_3genE3ELNS1_11target_archE908ELNS1_3gpuE7ELNS1_3repE0EEENS1_30default_config_static_selectorELNS0_4arch9wavefront6targetE1EEEvSM_: ; @_ZN7rocprim17ROCPRIM_400000_NS6detail17trampoline_kernelINS0_14default_configENS1_37merge_sort_block_sort_config_selectorIlNS0_10empty_typeEEEZNS1_21merge_sort_block_sortIS3_PlS8_PS5_S9_ZN2at6native12_GLOBAL__N_124unique_dim_cuda_templateIaEESt5tupleIJNSA_6TensorESF_SF_EERKSF_lbbbEUlllE_EE10hipError_tT0_T1_T2_T3_mRjT4_P12ihipStream_tbNS1_7vsmem_tEEUlT_E_NS1_11comp_targetILNS1_3genE3ELNS1_11target_archE908ELNS1_3gpuE7ELNS1_3repE0EEENS1_30default_config_static_selectorELNS0_4arch9wavefront6targetE1EEEvSM_
; %bb.0:
	.section	.rodata,"a",@progbits
	.p2align	6, 0x0
	.amdhsa_kernel _ZN7rocprim17ROCPRIM_400000_NS6detail17trampoline_kernelINS0_14default_configENS1_37merge_sort_block_sort_config_selectorIlNS0_10empty_typeEEEZNS1_21merge_sort_block_sortIS3_PlS8_PS5_S9_ZN2at6native12_GLOBAL__N_124unique_dim_cuda_templateIaEESt5tupleIJNSA_6TensorESF_SF_EERKSF_lbbbEUlllE_EE10hipError_tT0_T1_T2_T3_mRjT4_P12ihipStream_tbNS1_7vsmem_tEEUlT_E_NS1_11comp_targetILNS1_3genE3ELNS1_11target_archE908ELNS1_3gpuE7ELNS1_3repE0EEENS1_30default_config_static_selectorELNS0_4arch9wavefront6targetE1EEEvSM_
		.amdhsa_group_segment_fixed_size 0
		.amdhsa_private_segment_fixed_size 0
		.amdhsa_kernarg_size 72
		.amdhsa_user_sgpr_count 2
		.amdhsa_user_sgpr_dispatch_ptr 0
		.amdhsa_user_sgpr_queue_ptr 0
		.amdhsa_user_sgpr_kernarg_segment_ptr 1
		.amdhsa_user_sgpr_dispatch_id 0
		.amdhsa_user_sgpr_kernarg_preload_length 0
		.amdhsa_user_sgpr_kernarg_preload_offset 0
		.amdhsa_user_sgpr_private_segment_size 0
		.amdhsa_uses_dynamic_stack 0
		.amdhsa_enable_private_segment 0
		.amdhsa_system_sgpr_workgroup_id_x 1
		.amdhsa_system_sgpr_workgroup_id_y 0
		.amdhsa_system_sgpr_workgroup_id_z 0
		.amdhsa_system_sgpr_workgroup_info 0
		.amdhsa_system_vgpr_workitem_id 0
		.amdhsa_next_free_vgpr 1
		.amdhsa_next_free_sgpr 0
		.amdhsa_accum_offset 4
		.amdhsa_reserve_vcc 0
		.amdhsa_float_round_mode_32 0
		.amdhsa_float_round_mode_16_64 0
		.amdhsa_float_denorm_mode_32 3
		.amdhsa_float_denorm_mode_16_64 3
		.amdhsa_dx10_clamp 1
		.amdhsa_ieee_mode 1
		.amdhsa_fp16_overflow 0
		.amdhsa_tg_split 0
		.amdhsa_exception_fp_ieee_invalid_op 0
		.amdhsa_exception_fp_denorm_src 0
		.amdhsa_exception_fp_ieee_div_zero 0
		.amdhsa_exception_fp_ieee_overflow 0
		.amdhsa_exception_fp_ieee_underflow 0
		.amdhsa_exception_fp_ieee_inexact 0
		.amdhsa_exception_int_div_zero 0
	.end_amdhsa_kernel
	.section	.text._ZN7rocprim17ROCPRIM_400000_NS6detail17trampoline_kernelINS0_14default_configENS1_37merge_sort_block_sort_config_selectorIlNS0_10empty_typeEEEZNS1_21merge_sort_block_sortIS3_PlS8_PS5_S9_ZN2at6native12_GLOBAL__N_124unique_dim_cuda_templateIaEESt5tupleIJNSA_6TensorESF_SF_EERKSF_lbbbEUlllE_EE10hipError_tT0_T1_T2_T3_mRjT4_P12ihipStream_tbNS1_7vsmem_tEEUlT_E_NS1_11comp_targetILNS1_3genE3ELNS1_11target_archE908ELNS1_3gpuE7ELNS1_3repE0EEENS1_30default_config_static_selectorELNS0_4arch9wavefront6targetE1EEEvSM_,"axG",@progbits,_ZN7rocprim17ROCPRIM_400000_NS6detail17trampoline_kernelINS0_14default_configENS1_37merge_sort_block_sort_config_selectorIlNS0_10empty_typeEEEZNS1_21merge_sort_block_sortIS3_PlS8_PS5_S9_ZN2at6native12_GLOBAL__N_124unique_dim_cuda_templateIaEESt5tupleIJNSA_6TensorESF_SF_EERKSF_lbbbEUlllE_EE10hipError_tT0_T1_T2_T3_mRjT4_P12ihipStream_tbNS1_7vsmem_tEEUlT_E_NS1_11comp_targetILNS1_3genE3ELNS1_11target_archE908ELNS1_3gpuE7ELNS1_3repE0EEENS1_30default_config_static_selectorELNS0_4arch9wavefront6targetE1EEEvSM_,comdat
.Lfunc_end266:
	.size	_ZN7rocprim17ROCPRIM_400000_NS6detail17trampoline_kernelINS0_14default_configENS1_37merge_sort_block_sort_config_selectorIlNS0_10empty_typeEEEZNS1_21merge_sort_block_sortIS3_PlS8_PS5_S9_ZN2at6native12_GLOBAL__N_124unique_dim_cuda_templateIaEESt5tupleIJNSA_6TensorESF_SF_EERKSF_lbbbEUlllE_EE10hipError_tT0_T1_T2_T3_mRjT4_P12ihipStream_tbNS1_7vsmem_tEEUlT_E_NS1_11comp_targetILNS1_3genE3ELNS1_11target_archE908ELNS1_3gpuE7ELNS1_3repE0EEENS1_30default_config_static_selectorELNS0_4arch9wavefront6targetE1EEEvSM_, .Lfunc_end266-_ZN7rocprim17ROCPRIM_400000_NS6detail17trampoline_kernelINS0_14default_configENS1_37merge_sort_block_sort_config_selectorIlNS0_10empty_typeEEEZNS1_21merge_sort_block_sortIS3_PlS8_PS5_S9_ZN2at6native12_GLOBAL__N_124unique_dim_cuda_templateIaEESt5tupleIJNSA_6TensorESF_SF_EERKSF_lbbbEUlllE_EE10hipError_tT0_T1_T2_T3_mRjT4_P12ihipStream_tbNS1_7vsmem_tEEUlT_E_NS1_11comp_targetILNS1_3genE3ELNS1_11target_archE908ELNS1_3gpuE7ELNS1_3repE0EEENS1_30default_config_static_selectorELNS0_4arch9wavefront6targetE1EEEvSM_
                                        ; -- End function
	.section	.AMDGPU.csdata,"",@progbits
; Kernel info:
; codeLenInByte = 0
; NumSgprs: 6
; NumVgprs: 0
; NumAgprs: 0
; TotalNumVgprs: 0
; ScratchSize: 0
; MemoryBound: 0
; FloatMode: 240
; IeeeMode: 1
; LDSByteSize: 0 bytes/workgroup (compile time only)
; SGPRBlocks: 0
; VGPRBlocks: 0
; NumSGPRsForWavesPerEU: 6
; NumVGPRsForWavesPerEU: 1
; AccumOffset: 4
; Occupancy: 8
; WaveLimiterHint : 0
; COMPUTE_PGM_RSRC2:SCRATCH_EN: 0
; COMPUTE_PGM_RSRC2:USER_SGPR: 2
; COMPUTE_PGM_RSRC2:TRAP_HANDLER: 0
; COMPUTE_PGM_RSRC2:TGID_X_EN: 1
; COMPUTE_PGM_RSRC2:TGID_Y_EN: 0
; COMPUTE_PGM_RSRC2:TGID_Z_EN: 0
; COMPUTE_PGM_RSRC2:TIDIG_COMP_CNT: 0
; COMPUTE_PGM_RSRC3_GFX90A:ACCUM_OFFSET: 0
; COMPUTE_PGM_RSRC3_GFX90A:TG_SPLIT: 0
	.section	.text._ZN7rocprim17ROCPRIM_400000_NS6detail17trampoline_kernelINS0_14default_configENS1_37merge_sort_block_sort_config_selectorIlNS0_10empty_typeEEEZNS1_21merge_sort_block_sortIS3_PlS8_PS5_S9_ZN2at6native12_GLOBAL__N_124unique_dim_cuda_templateIaEESt5tupleIJNSA_6TensorESF_SF_EERKSF_lbbbEUlllE_EE10hipError_tT0_T1_T2_T3_mRjT4_P12ihipStream_tbNS1_7vsmem_tEEUlT_E_NS1_11comp_targetILNS1_3genE2ELNS1_11target_archE906ELNS1_3gpuE6ELNS1_3repE0EEENS1_30default_config_static_selectorELNS0_4arch9wavefront6targetE1EEEvSM_,"axG",@progbits,_ZN7rocprim17ROCPRIM_400000_NS6detail17trampoline_kernelINS0_14default_configENS1_37merge_sort_block_sort_config_selectorIlNS0_10empty_typeEEEZNS1_21merge_sort_block_sortIS3_PlS8_PS5_S9_ZN2at6native12_GLOBAL__N_124unique_dim_cuda_templateIaEESt5tupleIJNSA_6TensorESF_SF_EERKSF_lbbbEUlllE_EE10hipError_tT0_T1_T2_T3_mRjT4_P12ihipStream_tbNS1_7vsmem_tEEUlT_E_NS1_11comp_targetILNS1_3genE2ELNS1_11target_archE906ELNS1_3gpuE6ELNS1_3repE0EEENS1_30default_config_static_selectorELNS0_4arch9wavefront6targetE1EEEvSM_,comdat
	.globl	_ZN7rocprim17ROCPRIM_400000_NS6detail17trampoline_kernelINS0_14default_configENS1_37merge_sort_block_sort_config_selectorIlNS0_10empty_typeEEEZNS1_21merge_sort_block_sortIS3_PlS8_PS5_S9_ZN2at6native12_GLOBAL__N_124unique_dim_cuda_templateIaEESt5tupleIJNSA_6TensorESF_SF_EERKSF_lbbbEUlllE_EE10hipError_tT0_T1_T2_T3_mRjT4_P12ihipStream_tbNS1_7vsmem_tEEUlT_E_NS1_11comp_targetILNS1_3genE2ELNS1_11target_archE906ELNS1_3gpuE6ELNS1_3repE0EEENS1_30default_config_static_selectorELNS0_4arch9wavefront6targetE1EEEvSM_ ; -- Begin function _ZN7rocprim17ROCPRIM_400000_NS6detail17trampoline_kernelINS0_14default_configENS1_37merge_sort_block_sort_config_selectorIlNS0_10empty_typeEEEZNS1_21merge_sort_block_sortIS3_PlS8_PS5_S9_ZN2at6native12_GLOBAL__N_124unique_dim_cuda_templateIaEESt5tupleIJNSA_6TensorESF_SF_EERKSF_lbbbEUlllE_EE10hipError_tT0_T1_T2_T3_mRjT4_P12ihipStream_tbNS1_7vsmem_tEEUlT_E_NS1_11comp_targetILNS1_3genE2ELNS1_11target_archE906ELNS1_3gpuE6ELNS1_3repE0EEENS1_30default_config_static_selectorELNS0_4arch9wavefront6targetE1EEEvSM_
	.p2align	8
	.type	_ZN7rocprim17ROCPRIM_400000_NS6detail17trampoline_kernelINS0_14default_configENS1_37merge_sort_block_sort_config_selectorIlNS0_10empty_typeEEEZNS1_21merge_sort_block_sortIS3_PlS8_PS5_S9_ZN2at6native12_GLOBAL__N_124unique_dim_cuda_templateIaEESt5tupleIJNSA_6TensorESF_SF_EERKSF_lbbbEUlllE_EE10hipError_tT0_T1_T2_T3_mRjT4_P12ihipStream_tbNS1_7vsmem_tEEUlT_E_NS1_11comp_targetILNS1_3genE2ELNS1_11target_archE906ELNS1_3gpuE6ELNS1_3repE0EEENS1_30default_config_static_selectorELNS0_4arch9wavefront6targetE1EEEvSM_,@function
_ZN7rocprim17ROCPRIM_400000_NS6detail17trampoline_kernelINS0_14default_configENS1_37merge_sort_block_sort_config_selectorIlNS0_10empty_typeEEEZNS1_21merge_sort_block_sortIS3_PlS8_PS5_S9_ZN2at6native12_GLOBAL__N_124unique_dim_cuda_templateIaEESt5tupleIJNSA_6TensorESF_SF_EERKSF_lbbbEUlllE_EE10hipError_tT0_T1_T2_T3_mRjT4_P12ihipStream_tbNS1_7vsmem_tEEUlT_E_NS1_11comp_targetILNS1_3genE2ELNS1_11target_archE906ELNS1_3gpuE6ELNS1_3repE0EEENS1_30default_config_static_selectorELNS0_4arch9wavefront6targetE1EEEvSM_: ; @_ZN7rocprim17ROCPRIM_400000_NS6detail17trampoline_kernelINS0_14default_configENS1_37merge_sort_block_sort_config_selectorIlNS0_10empty_typeEEEZNS1_21merge_sort_block_sortIS3_PlS8_PS5_S9_ZN2at6native12_GLOBAL__N_124unique_dim_cuda_templateIaEESt5tupleIJNSA_6TensorESF_SF_EERKSF_lbbbEUlllE_EE10hipError_tT0_T1_T2_T3_mRjT4_P12ihipStream_tbNS1_7vsmem_tEEUlT_E_NS1_11comp_targetILNS1_3genE2ELNS1_11target_archE906ELNS1_3gpuE6ELNS1_3repE0EEENS1_30default_config_static_selectorELNS0_4arch9wavefront6targetE1EEEvSM_
; %bb.0:
	.section	.rodata,"a",@progbits
	.p2align	6, 0x0
	.amdhsa_kernel _ZN7rocprim17ROCPRIM_400000_NS6detail17trampoline_kernelINS0_14default_configENS1_37merge_sort_block_sort_config_selectorIlNS0_10empty_typeEEEZNS1_21merge_sort_block_sortIS3_PlS8_PS5_S9_ZN2at6native12_GLOBAL__N_124unique_dim_cuda_templateIaEESt5tupleIJNSA_6TensorESF_SF_EERKSF_lbbbEUlllE_EE10hipError_tT0_T1_T2_T3_mRjT4_P12ihipStream_tbNS1_7vsmem_tEEUlT_E_NS1_11comp_targetILNS1_3genE2ELNS1_11target_archE906ELNS1_3gpuE6ELNS1_3repE0EEENS1_30default_config_static_selectorELNS0_4arch9wavefront6targetE1EEEvSM_
		.amdhsa_group_segment_fixed_size 0
		.amdhsa_private_segment_fixed_size 0
		.amdhsa_kernarg_size 72
		.amdhsa_user_sgpr_count 2
		.amdhsa_user_sgpr_dispatch_ptr 0
		.amdhsa_user_sgpr_queue_ptr 0
		.amdhsa_user_sgpr_kernarg_segment_ptr 1
		.amdhsa_user_sgpr_dispatch_id 0
		.amdhsa_user_sgpr_kernarg_preload_length 0
		.amdhsa_user_sgpr_kernarg_preload_offset 0
		.amdhsa_user_sgpr_private_segment_size 0
		.amdhsa_uses_dynamic_stack 0
		.amdhsa_enable_private_segment 0
		.amdhsa_system_sgpr_workgroup_id_x 1
		.amdhsa_system_sgpr_workgroup_id_y 0
		.amdhsa_system_sgpr_workgroup_id_z 0
		.amdhsa_system_sgpr_workgroup_info 0
		.amdhsa_system_vgpr_workitem_id 0
		.amdhsa_next_free_vgpr 1
		.amdhsa_next_free_sgpr 0
		.amdhsa_accum_offset 4
		.amdhsa_reserve_vcc 0
		.amdhsa_float_round_mode_32 0
		.amdhsa_float_round_mode_16_64 0
		.amdhsa_float_denorm_mode_32 3
		.amdhsa_float_denorm_mode_16_64 3
		.amdhsa_dx10_clamp 1
		.amdhsa_ieee_mode 1
		.amdhsa_fp16_overflow 0
		.amdhsa_tg_split 0
		.amdhsa_exception_fp_ieee_invalid_op 0
		.amdhsa_exception_fp_denorm_src 0
		.amdhsa_exception_fp_ieee_div_zero 0
		.amdhsa_exception_fp_ieee_overflow 0
		.amdhsa_exception_fp_ieee_underflow 0
		.amdhsa_exception_fp_ieee_inexact 0
		.amdhsa_exception_int_div_zero 0
	.end_amdhsa_kernel
	.section	.text._ZN7rocprim17ROCPRIM_400000_NS6detail17trampoline_kernelINS0_14default_configENS1_37merge_sort_block_sort_config_selectorIlNS0_10empty_typeEEEZNS1_21merge_sort_block_sortIS3_PlS8_PS5_S9_ZN2at6native12_GLOBAL__N_124unique_dim_cuda_templateIaEESt5tupleIJNSA_6TensorESF_SF_EERKSF_lbbbEUlllE_EE10hipError_tT0_T1_T2_T3_mRjT4_P12ihipStream_tbNS1_7vsmem_tEEUlT_E_NS1_11comp_targetILNS1_3genE2ELNS1_11target_archE906ELNS1_3gpuE6ELNS1_3repE0EEENS1_30default_config_static_selectorELNS0_4arch9wavefront6targetE1EEEvSM_,"axG",@progbits,_ZN7rocprim17ROCPRIM_400000_NS6detail17trampoline_kernelINS0_14default_configENS1_37merge_sort_block_sort_config_selectorIlNS0_10empty_typeEEEZNS1_21merge_sort_block_sortIS3_PlS8_PS5_S9_ZN2at6native12_GLOBAL__N_124unique_dim_cuda_templateIaEESt5tupleIJNSA_6TensorESF_SF_EERKSF_lbbbEUlllE_EE10hipError_tT0_T1_T2_T3_mRjT4_P12ihipStream_tbNS1_7vsmem_tEEUlT_E_NS1_11comp_targetILNS1_3genE2ELNS1_11target_archE906ELNS1_3gpuE6ELNS1_3repE0EEENS1_30default_config_static_selectorELNS0_4arch9wavefront6targetE1EEEvSM_,comdat
.Lfunc_end267:
	.size	_ZN7rocprim17ROCPRIM_400000_NS6detail17trampoline_kernelINS0_14default_configENS1_37merge_sort_block_sort_config_selectorIlNS0_10empty_typeEEEZNS1_21merge_sort_block_sortIS3_PlS8_PS5_S9_ZN2at6native12_GLOBAL__N_124unique_dim_cuda_templateIaEESt5tupleIJNSA_6TensorESF_SF_EERKSF_lbbbEUlllE_EE10hipError_tT0_T1_T2_T3_mRjT4_P12ihipStream_tbNS1_7vsmem_tEEUlT_E_NS1_11comp_targetILNS1_3genE2ELNS1_11target_archE906ELNS1_3gpuE6ELNS1_3repE0EEENS1_30default_config_static_selectorELNS0_4arch9wavefront6targetE1EEEvSM_, .Lfunc_end267-_ZN7rocprim17ROCPRIM_400000_NS6detail17trampoline_kernelINS0_14default_configENS1_37merge_sort_block_sort_config_selectorIlNS0_10empty_typeEEEZNS1_21merge_sort_block_sortIS3_PlS8_PS5_S9_ZN2at6native12_GLOBAL__N_124unique_dim_cuda_templateIaEESt5tupleIJNSA_6TensorESF_SF_EERKSF_lbbbEUlllE_EE10hipError_tT0_T1_T2_T3_mRjT4_P12ihipStream_tbNS1_7vsmem_tEEUlT_E_NS1_11comp_targetILNS1_3genE2ELNS1_11target_archE906ELNS1_3gpuE6ELNS1_3repE0EEENS1_30default_config_static_selectorELNS0_4arch9wavefront6targetE1EEEvSM_
                                        ; -- End function
	.section	.AMDGPU.csdata,"",@progbits
; Kernel info:
; codeLenInByte = 0
; NumSgprs: 6
; NumVgprs: 0
; NumAgprs: 0
; TotalNumVgprs: 0
; ScratchSize: 0
; MemoryBound: 0
; FloatMode: 240
; IeeeMode: 1
; LDSByteSize: 0 bytes/workgroup (compile time only)
; SGPRBlocks: 0
; VGPRBlocks: 0
; NumSGPRsForWavesPerEU: 6
; NumVGPRsForWavesPerEU: 1
; AccumOffset: 4
; Occupancy: 8
; WaveLimiterHint : 0
; COMPUTE_PGM_RSRC2:SCRATCH_EN: 0
; COMPUTE_PGM_RSRC2:USER_SGPR: 2
; COMPUTE_PGM_RSRC2:TRAP_HANDLER: 0
; COMPUTE_PGM_RSRC2:TGID_X_EN: 1
; COMPUTE_PGM_RSRC2:TGID_Y_EN: 0
; COMPUTE_PGM_RSRC2:TGID_Z_EN: 0
; COMPUTE_PGM_RSRC2:TIDIG_COMP_CNT: 0
; COMPUTE_PGM_RSRC3_GFX90A:ACCUM_OFFSET: 0
; COMPUTE_PGM_RSRC3_GFX90A:TG_SPLIT: 0
	.section	.text._ZN7rocprim17ROCPRIM_400000_NS6detail17trampoline_kernelINS0_14default_configENS1_37merge_sort_block_sort_config_selectorIlNS0_10empty_typeEEEZNS1_21merge_sort_block_sortIS3_PlS8_PS5_S9_ZN2at6native12_GLOBAL__N_124unique_dim_cuda_templateIaEESt5tupleIJNSA_6TensorESF_SF_EERKSF_lbbbEUlllE_EE10hipError_tT0_T1_T2_T3_mRjT4_P12ihipStream_tbNS1_7vsmem_tEEUlT_E_NS1_11comp_targetILNS1_3genE10ELNS1_11target_archE1201ELNS1_3gpuE5ELNS1_3repE0EEENS1_30default_config_static_selectorELNS0_4arch9wavefront6targetE1EEEvSM_,"axG",@progbits,_ZN7rocprim17ROCPRIM_400000_NS6detail17trampoline_kernelINS0_14default_configENS1_37merge_sort_block_sort_config_selectorIlNS0_10empty_typeEEEZNS1_21merge_sort_block_sortIS3_PlS8_PS5_S9_ZN2at6native12_GLOBAL__N_124unique_dim_cuda_templateIaEESt5tupleIJNSA_6TensorESF_SF_EERKSF_lbbbEUlllE_EE10hipError_tT0_T1_T2_T3_mRjT4_P12ihipStream_tbNS1_7vsmem_tEEUlT_E_NS1_11comp_targetILNS1_3genE10ELNS1_11target_archE1201ELNS1_3gpuE5ELNS1_3repE0EEENS1_30default_config_static_selectorELNS0_4arch9wavefront6targetE1EEEvSM_,comdat
	.globl	_ZN7rocprim17ROCPRIM_400000_NS6detail17trampoline_kernelINS0_14default_configENS1_37merge_sort_block_sort_config_selectorIlNS0_10empty_typeEEEZNS1_21merge_sort_block_sortIS3_PlS8_PS5_S9_ZN2at6native12_GLOBAL__N_124unique_dim_cuda_templateIaEESt5tupleIJNSA_6TensorESF_SF_EERKSF_lbbbEUlllE_EE10hipError_tT0_T1_T2_T3_mRjT4_P12ihipStream_tbNS1_7vsmem_tEEUlT_E_NS1_11comp_targetILNS1_3genE10ELNS1_11target_archE1201ELNS1_3gpuE5ELNS1_3repE0EEENS1_30default_config_static_selectorELNS0_4arch9wavefront6targetE1EEEvSM_ ; -- Begin function _ZN7rocprim17ROCPRIM_400000_NS6detail17trampoline_kernelINS0_14default_configENS1_37merge_sort_block_sort_config_selectorIlNS0_10empty_typeEEEZNS1_21merge_sort_block_sortIS3_PlS8_PS5_S9_ZN2at6native12_GLOBAL__N_124unique_dim_cuda_templateIaEESt5tupleIJNSA_6TensorESF_SF_EERKSF_lbbbEUlllE_EE10hipError_tT0_T1_T2_T3_mRjT4_P12ihipStream_tbNS1_7vsmem_tEEUlT_E_NS1_11comp_targetILNS1_3genE10ELNS1_11target_archE1201ELNS1_3gpuE5ELNS1_3repE0EEENS1_30default_config_static_selectorELNS0_4arch9wavefront6targetE1EEEvSM_
	.p2align	8
	.type	_ZN7rocprim17ROCPRIM_400000_NS6detail17trampoline_kernelINS0_14default_configENS1_37merge_sort_block_sort_config_selectorIlNS0_10empty_typeEEEZNS1_21merge_sort_block_sortIS3_PlS8_PS5_S9_ZN2at6native12_GLOBAL__N_124unique_dim_cuda_templateIaEESt5tupleIJNSA_6TensorESF_SF_EERKSF_lbbbEUlllE_EE10hipError_tT0_T1_T2_T3_mRjT4_P12ihipStream_tbNS1_7vsmem_tEEUlT_E_NS1_11comp_targetILNS1_3genE10ELNS1_11target_archE1201ELNS1_3gpuE5ELNS1_3repE0EEENS1_30default_config_static_selectorELNS0_4arch9wavefront6targetE1EEEvSM_,@function
_ZN7rocprim17ROCPRIM_400000_NS6detail17trampoline_kernelINS0_14default_configENS1_37merge_sort_block_sort_config_selectorIlNS0_10empty_typeEEEZNS1_21merge_sort_block_sortIS3_PlS8_PS5_S9_ZN2at6native12_GLOBAL__N_124unique_dim_cuda_templateIaEESt5tupleIJNSA_6TensorESF_SF_EERKSF_lbbbEUlllE_EE10hipError_tT0_T1_T2_T3_mRjT4_P12ihipStream_tbNS1_7vsmem_tEEUlT_E_NS1_11comp_targetILNS1_3genE10ELNS1_11target_archE1201ELNS1_3gpuE5ELNS1_3repE0EEENS1_30default_config_static_selectorELNS0_4arch9wavefront6targetE1EEEvSM_: ; @_ZN7rocprim17ROCPRIM_400000_NS6detail17trampoline_kernelINS0_14default_configENS1_37merge_sort_block_sort_config_selectorIlNS0_10empty_typeEEEZNS1_21merge_sort_block_sortIS3_PlS8_PS5_S9_ZN2at6native12_GLOBAL__N_124unique_dim_cuda_templateIaEESt5tupleIJNSA_6TensorESF_SF_EERKSF_lbbbEUlllE_EE10hipError_tT0_T1_T2_T3_mRjT4_P12ihipStream_tbNS1_7vsmem_tEEUlT_E_NS1_11comp_targetILNS1_3genE10ELNS1_11target_archE1201ELNS1_3gpuE5ELNS1_3repE0EEENS1_30default_config_static_selectorELNS0_4arch9wavefront6targetE1EEEvSM_
; %bb.0:
	.section	.rodata,"a",@progbits
	.p2align	6, 0x0
	.amdhsa_kernel _ZN7rocprim17ROCPRIM_400000_NS6detail17trampoline_kernelINS0_14default_configENS1_37merge_sort_block_sort_config_selectorIlNS0_10empty_typeEEEZNS1_21merge_sort_block_sortIS3_PlS8_PS5_S9_ZN2at6native12_GLOBAL__N_124unique_dim_cuda_templateIaEESt5tupleIJNSA_6TensorESF_SF_EERKSF_lbbbEUlllE_EE10hipError_tT0_T1_T2_T3_mRjT4_P12ihipStream_tbNS1_7vsmem_tEEUlT_E_NS1_11comp_targetILNS1_3genE10ELNS1_11target_archE1201ELNS1_3gpuE5ELNS1_3repE0EEENS1_30default_config_static_selectorELNS0_4arch9wavefront6targetE1EEEvSM_
		.amdhsa_group_segment_fixed_size 0
		.amdhsa_private_segment_fixed_size 0
		.amdhsa_kernarg_size 72
		.amdhsa_user_sgpr_count 2
		.amdhsa_user_sgpr_dispatch_ptr 0
		.amdhsa_user_sgpr_queue_ptr 0
		.amdhsa_user_sgpr_kernarg_segment_ptr 1
		.amdhsa_user_sgpr_dispatch_id 0
		.amdhsa_user_sgpr_kernarg_preload_length 0
		.amdhsa_user_sgpr_kernarg_preload_offset 0
		.amdhsa_user_sgpr_private_segment_size 0
		.amdhsa_uses_dynamic_stack 0
		.amdhsa_enable_private_segment 0
		.amdhsa_system_sgpr_workgroup_id_x 1
		.amdhsa_system_sgpr_workgroup_id_y 0
		.amdhsa_system_sgpr_workgroup_id_z 0
		.amdhsa_system_sgpr_workgroup_info 0
		.amdhsa_system_vgpr_workitem_id 0
		.amdhsa_next_free_vgpr 1
		.amdhsa_next_free_sgpr 0
		.amdhsa_accum_offset 4
		.amdhsa_reserve_vcc 0
		.amdhsa_float_round_mode_32 0
		.amdhsa_float_round_mode_16_64 0
		.amdhsa_float_denorm_mode_32 3
		.amdhsa_float_denorm_mode_16_64 3
		.amdhsa_dx10_clamp 1
		.amdhsa_ieee_mode 1
		.amdhsa_fp16_overflow 0
		.amdhsa_tg_split 0
		.amdhsa_exception_fp_ieee_invalid_op 0
		.amdhsa_exception_fp_denorm_src 0
		.amdhsa_exception_fp_ieee_div_zero 0
		.amdhsa_exception_fp_ieee_overflow 0
		.amdhsa_exception_fp_ieee_underflow 0
		.amdhsa_exception_fp_ieee_inexact 0
		.amdhsa_exception_int_div_zero 0
	.end_amdhsa_kernel
	.section	.text._ZN7rocprim17ROCPRIM_400000_NS6detail17trampoline_kernelINS0_14default_configENS1_37merge_sort_block_sort_config_selectorIlNS0_10empty_typeEEEZNS1_21merge_sort_block_sortIS3_PlS8_PS5_S9_ZN2at6native12_GLOBAL__N_124unique_dim_cuda_templateIaEESt5tupleIJNSA_6TensorESF_SF_EERKSF_lbbbEUlllE_EE10hipError_tT0_T1_T2_T3_mRjT4_P12ihipStream_tbNS1_7vsmem_tEEUlT_E_NS1_11comp_targetILNS1_3genE10ELNS1_11target_archE1201ELNS1_3gpuE5ELNS1_3repE0EEENS1_30default_config_static_selectorELNS0_4arch9wavefront6targetE1EEEvSM_,"axG",@progbits,_ZN7rocprim17ROCPRIM_400000_NS6detail17trampoline_kernelINS0_14default_configENS1_37merge_sort_block_sort_config_selectorIlNS0_10empty_typeEEEZNS1_21merge_sort_block_sortIS3_PlS8_PS5_S9_ZN2at6native12_GLOBAL__N_124unique_dim_cuda_templateIaEESt5tupleIJNSA_6TensorESF_SF_EERKSF_lbbbEUlllE_EE10hipError_tT0_T1_T2_T3_mRjT4_P12ihipStream_tbNS1_7vsmem_tEEUlT_E_NS1_11comp_targetILNS1_3genE10ELNS1_11target_archE1201ELNS1_3gpuE5ELNS1_3repE0EEENS1_30default_config_static_selectorELNS0_4arch9wavefront6targetE1EEEvSM_,comdat
.Lfunc_end268:
	.size	_ZN7rocprim17ROCPRIM_400000_NS6detail17trampoline_kernelINS0_14default_configENS1_37merge_sort_block_sort_config_selectorIlNS0_10empty_typeEEEZNS1_21merge_sort_block_sortIS3_PlS8_PS5_S9_ZN2at6native12_GLOBAL__N_124unique_dim_cuda_templateIaEESt5tupleIJNSA_6TensorESF_SF_EERKSF_lbbbEUlllE_EE10hipError_tT0_T1_T2_T3_mRjT4_P12ihipStream_tbNS1_7vsmem_tEEUlT_E_NS1_11comp_targetILNS1_3genE10ELNS1_11target_archE1201ELNS1_3gpuE5ELNS1_3repE0EEENS1_30default_config_static_selectorELNS0_4arch9wavefront6targetE1EEEvSM_, .Lfunc_end268-_ZN7rocprim17ROCPRIM_400000_NS6detail17trampoline_kernelINS0_14default_configENS1_37merge_sort_block_sort_config_selectorIlNS0_10empty_typeEEEZNS1_21merge_sort_block_sortIS3_PlS8_PS5_S9_ZN2at6native12_GLOBAL__N_124unique_dim_cuda_templateIaEESt5tupleIJNSA_6TensorESF_SF_EERKSF_lbbbEUlllE_EE10hipError_tT0_T1_T2_T3_mRjT4_P12ihipStream_tbNS1_7vsmem_tEEUlT_E_NS1_11comp_targetILNS1_3genE10ELNS1_11target_archE1201ELNS1_3gpuE5ELNS1_3repE0EEENS1_30default_config_static_selectorELNS0_4arch9wavefront6targetE1EEEvSM_
                                        ; -- End function
	.section	.AMDGPU.csdata,"",@progbits
; Kernel info:
; codeLenInByte = 0
; NumSgprs: 6
; NumVgprs: 0
; NumAgprs: 0
; TotalNumVgprs: 0
; ScratchSize: 0
; MemoryBound: 0
; FloatMode: 240
; IeeeMode: 1
; LDSByteSize: 0 bytes/workgroup (compile time only)
; SGPRBlocks: 0
; VGPRBlocks: 0
; NumSGPRsForWavesPerEU: 6
; NumVGPRsForWavesPerEU: 1
; AccumOffset: 4
; Occupancy: 8
; WaveLimiterHint : 0
; COMPUTE_PGM_RSRC2:SCRATCH_EN: 0
; COMPUTE_PGM_RSRC2:USER_SGPR: 2
; COMPUTE_PGM_RSRC2:TRAP_HANDLER: 0
; COMPUTE_PGM_RSRC2:TGID_X_EN: 1
; COMPUTE_PGM_RSRC2:TGID_Y_EN: 0
; COMPUTE_PGM_RSRC2:TGID_Z_EN: 0
; COMPUTE_PGM_RSRC2:TIDIG_COMP_CNT: 0
; COMPUTE_PGM_RSRC3_GFX90A:ACCUM_OFFSET: 0
; COMPUTE_PGM_RSRC3_GFX90A:TG_SPLIT: 0
	.section	.text._ZN7rocprim17ROCPRIM_400000_NS6detail17trampoline_kernelINS0_14default_configENS1_37merge_sort_block_sort_config_selectorIlNS0_10empty_typeEEEZNS1_21merge_sort_block_sortIS3_PlS8_PS5_S9_ZN2at6native12_GLOBAL__N_124unique_dim_cuda_templateIaEESt5tupleIJNSA_6TensorESF_SF_EERKSF_lbbbEUlllE_EE10hipError_tT0_T1_T2_T3_mRjT4_P12ihipStream_tbNS1_7vsmem_tEEUlT_E_NS1_11comp_targetILNS1_3genE10ELNS1_11target_archE1200ELNS1_3gpuE4ELNS1_3repE0EEENS1_30default_config_static_selectorELNS0_4arch9wavefront6targetE1EEEvSM_,"axG",@progbits,_ZN7rocprim17ROCPRIM_400000_NS6detail17trampoline_kernelINS0_14default_configENS1_37merge_sort_block_sort_config_selectorIlNS0_10empty_typeEEEZNS1_21merge_sort_block_sortIS3_PlS8_PS5_S9_ZN2at6native12_GLOBAL__N_124unique_dim_cuda_templateIaEESt5tupleIJNSA_6TensorESF_SF_EERKSF_lbbbEUlllE_EE10hipError_tT0_T1_T2_T3_mRjT4_P12ihipStream_tbNS1_7vsmem_tEEUlT_E_NS1_11comp_targetILNS1_3genE10ELNS1_11target_archE1200ELNS1_3gpuE4ELNS1_3repE0EEENS1_30default_config_static_selectorELNS0_4arch9wavefront6targetE1EEEvSM_,comdat
	.globl	_ZN7rocprim17ROCPRIM_400000_NS6detail17trampoline_kernelINS0_14default_configENS1_37merge_sort_block_sort_config_selectorIlNS0_10empty_typeEEEZNS1_21merge_sort_block_sortIS3_PlS8_PS5_S9_ZN2at6native12_GLOBAL__N_124unique_dim_cuda_templateIaEESt5tupleIJNSA_6TensorESF_SF_EERKSF_lbbbEUlllE_EE10hipError_tT0_T1_T2_T3_mRjT4_P12ihipStream_tbNS1_7vsmem_tEEUlT_E_NS1_11comp_targetILNS1_3genE10ELNS1_11target_archE1200ELNS1_3gpuE4ELNS1_3repE0EEENS1_30default_config_static_selectorELNS0_4arch9wavefront6targetE1EEEvSM_ ; -- Begin function _ZN7rocprim17ROCPRIM_400000_NS6detail17trampoline_kernelINS0_14default_configENS1_37merge_sort_block_sort_config_selectorIlNS0_10empty_typeEEEZNS1_21merge_sort_block_sortIS3_PlS8_PS5_S9_ZN2at6native12_GLOBAL__N_124unique_dim_cuda_templateIaEESt5tupleIJNSA_6TensorESF_SF_EERKSF_lbbbEUlllE_EE10hipError_tT0_T1_T2_T3_mRjT4_P12ihipStream_tbNS1_7vsmem_tEEUlT_E_NS1_11comp_targetILNS1_3genE10ELNS1_11target_archE1200ELNS1_3gpuE4ELNS1_3repE0EEENS1_30default_config_static_selectorELNS0_4arch9wavefront6targetE1EEEvSM_
	.p2align	8
	.type	_ZN7rocprim17ROCPRIM_400000_NS6detail17trampoline_kernelINS0_14default_configENS1_37merge_sort_block_sort_config_selectorIlNS0_10empty_typeEEEZNS1_21merge_sort_block_sortIS3_PlS8_PS5_S9_ZN2at6native12_GLOBAL__N_124unique_dim_cuda_templateIaEESt5tupleIJNSA_6TensorESF_SF_EERKSF_lbbbEUlllE_EE10hipError_tT0_T1_T2_T3_mRjT4_P12ihipStream_tbNS1_7vsmem_tEEUlT_E_NS1_11comp_targetILNS1_3genE10ELNS1_11target_archE1200ELNS1_3gpuE4ELNS1_3repE0EEENS1_30default_config_static_selectorELNS0_4arch9wavefront6targetE1EEEvSM_,@function
_ZN7rocprim17ROCPRIM_400000_NS6detail17trampoline_kernelINS0_14default_configENS1_37merge_sort_block_sort_config_selectorIlNS0_10empty_typeEEEZNS1_21merge_sort_block_sortIS3_PlS8_PS5_S9_ZN2at6native12_GLOBAL__N_124unique_dim_cuda_templateIaEESt5tupleIJNSA_6TensorESF_SF_EERKSF_lbbbEUlllE_EE10hipError_tT0_T1_T2_T3_mRjT4_P12ihipStream_tbNS1_7vsmem_tEEUlT_E_NS1_11comp_targetILNS1_3genE10ELNS1_11target_archE1200ELNS1_3gpuE4ELNS1_3repE0EEENS1_30default_config_static_selectorELNS0_4arch9wavefront6targetE1EEEvSM_: ; @_ZN7rocprim17ROCPRIM_400000_NS6detail17trampoline_kernelINS0_14default_configENS1_37merge_sort_block_sort_config_selectorIlNS0_10empty_typeEEEZNS1_21merge_sort_block_sortIS3_PlS8_PS5_S9_ZN2at6native12_GLOBAL__N_124unique_dim_cuda_templateIaEESt5tupleIJNSA_6TensorESF_SF_EERKSF_lbbbEUlllE_EE10hipError_tT0_T1_T2_T3_mRjT4_P12ihipStream_tbNS1_7vsmem_tEEUlT_E_NS1_11comp_targetILNS1_3genE10ELNS1_11target_archE1200ELNS1_3gpuE4ELNS1_3repE0EEENS1_30default_config_static_selectorELNS0_4arch9wavefront6targetE1EEEvSM_
; %bb.0:
	.section	.rodata,"a",@progbits
	.p2align	6, 0x0
	.amdhsa_kernel _ZN7rocprim17ROCPRIM_400000_NS6detail17trampoline_kernelINS0_14default_configENS1_37merge_sort_block_sort_config_selectorIlNS0_10empty_typeEEEZNS1_21merge_sort_block_sortIS3_PlS8_PS5_S9_ZN2at6native12_GLOBAL__N_124unique_dim_cuda_templateIaEESt5tupleIJNSA_6TensorESF_SF_EERKSF_lbbbEUlllE_EE10hipError_tT0_T1_T2_T3_mRjT4_P12ihipStream_tbNS1_7vsmem_tEEUlT_E_NS1_11comp_targetILNS1_3genE10ELNS1_11target_archE1200ELNS1_3gpuE4ELNS1_3repE0EEENS1_30default_config_static_selectorELNS0_4arch9wavefront6targetE1EEEvSM_
		.amdhsa_group_segment_fixed_size 0
		.amdhsa_private_segment_fixed_size 0
		.amdhsa_kernarg_size 72
		.amdhsa_user_sgpr_count 2
		.amdhsa_user_sgpr_dispatch_ptr 0
		.amdhsa_user_sgpr_queue_ptr 0
		.amdhsa_user_sgpr_kernarg_segment_ptr 1
		.amdhsa_user_sgpr_dispatch_id 0
		.amdhsa_user_sgpr_kernarg_preload_length 0
		.amdhsa_user_sgpr_kernarg_preload_offset 0
		.amdhsa_user_sgpr_private_segment_size 0
		.amdhsa_uses_dynamic_stack 0
		.amdhsa_enable_private_segment 0
		.amdhsa_system_sgpr_workgroup_id_x 1
		.amdhsa_system_sgpr_workgroup_id_y 0
		.amdhsa_system_sgpr_workgroup_id_z 0
		.amdhsa_system_sgpr_workgroup_info 0
		.amdhsa_system_vgpr_workitem_id 0
		.amdhsa_next_free_vgpr 1
		.amdhsa_next_free_sgpr 0
		.amdhsa_accum_offset 4
		.amdhsa_reserve_vcc 0
		.amdhsa_float_round_mode_32 0
		.amdhsa_float_round_mode_16_64 0
		.amdhsa_float_denorm_mode_32 3
		.amdhsa_float_denorm_mode_16_64 3
		.amdhsa_dx10_clamp 1
		.amdhsa_ieee_mode 1
		.amdhsa_fp16_overflow 0
		.amdhsa_tg_split 0
		.amdhsa_exception_fp_ieee_invalid_op 0
		.amdhsa_exception_fp_denorm_src 0
		.amdhsa_exception_fp_ieee_div_zero 0
		.amdhsa_exception_fp_ieee_overflow 0
		.amdhsa_exception_fp_ieee_underflow 0
		.amdhsa_exception_fp_ieee_inexact 0
		.amdhsa_exception_int_div_zero 0
	.end_amdhsa_kernel
	.section	.text._ZN7rocprim17ROCPRIM_400000_NS6detail17trampoline_kernelINS0_14default_configENS1_37merge_sort_block_sort_config_selectorIlNS0_10empty_typeEEEZNS1_21merge_sort_block_sortIS3_PlS8_PS5_S9_ZN2at6native12_GLOBAL__N_124unique_dim_cuda_templateIaEESt5tupleIJNSA_6TensorESF_SF_EERKSF_lbbbEUlllE_EE10hipError_tT0_T1_T2_T3_mRjT4_P12ihipStream_tbNS1_7vsmem_tEEUlT_E_NS1_11comp_targetILNS1_3genE10ELNS1_11target_archE1200ELNS1_3gpuE4ELNS1_3repE0EEENS1_30default_config_static_selectorELNS0_4arch9wavefront6targetE1EEEvSM_,"axG",@progbits,_ZN7rocprim17ROCPRIM_400000_NS6detail17trampoline_kernelINS0_14default_configENS1_37merge_sort_block_sort_config_selectorIlNS0_10empty_typeEEEZNS1_21merge_sort_block_sortIS3_PlS8_PS5_S9_ZN2at6native12_GLOBAL__N_124unique_dim_cuda_templateIaEESt5tupleIJNSA_6TensorESF_SF_EERKSF_lbbbEUlllE_EE10hipError_tT0_T1_T2_T3_mRjT4_P12ihipStream_tbNS1_7vsmem_tEEUlT_E_NS1_11comp_targetILNS1_3genE10ELNS1_11target_archE1200ELNS1_3gpuE4ELNS1_3repE0EEENS1_30default_config_static_selectorELNS0_4arch9wavefront6targetE1EEEvSM_,comdat
.Lfunc_end269:
	.size	_ZN7rocprim17ROCPRIM_400000_NS6detail17trampoline_kernelINS0_14default_configENS1_37merge_sort_block_sort_config_selectorIlNS0_10empty_typeEEEZNS1_21merge_sort_block_sortIS3_PlS8_PS5_S9_ZN2at6native12_GLOBAL__N_124unique_dim_cuda_templateIaEESt5tupleIJNSA_6TensorESF_SF_EERKSF_lbbbEUlllE_EE10hipError_tT0_T1_T2_T3_mRjT4_P12ihipStream_tbNS1_7vsmem_tEEUlT_E_NS1_11comp_targetILNS1_3genE10ELNS1_11target_archE1200ELNS1_3gpuE4ELNS1_3repE0EEENS1_30default_config_static_selectorELNS0_4arch9wavefront6targetE1EEEvSM_, .Lfunc_end269-_ZN7rocprim17ROCPRIM_400000_NS6detail17trampoline_kernelINS0_14default_configENS1_37merge_sort_block_sort_config_selectorIlNS0_10empty_typeEEEZNS1_21merge_sort_block_sortIS3_PlS8_PS5_S9_ZN2at6native12_GLOBAL__N_124unique_dim_cuda_templateIaEESt5tupleIJNSA_6TensorESF_SF_EERKSF_lbbbEUlllE_EE10hipError_tT0_T1_T2_T3_mRjT4_P12ihipStream_tbNS1_7vsmem_tEEUlT_E_NS1_11comp_targetILNS1_3genE10ELNS1_11target_archE1200ELNS1_3gpuE4ELNS1_3repE0EEENS1_30default_config_static_selectorELNS0_4arch9wavefront6targetE1EEEvSM_
                                        ; -- End function
	.section	.AMDGPU.csdata,"",@progbits
; Kernel info:
; codeLenInByte = 0
; NumSgprs: 6
; NumVgprs: 0
; NumAgprs: 0
; TotalNumVgprs: 0
; ScratchSize: 0
; MemoryBound: 0
; FloatMode: 240
; IeeeMode: 1
; LDSByteSize: 0 bytes/workgroup (compile time only)
; SGPRBlocks: 0
; VGPRBlocks: 0
; NumSGPRsForWavesPerEU: 6
; NumVGPRsForWavesPerEU: 1
; AccumOffset: 4
; Occupancy: 8
; WaveLimiterHint : 0
; COMPUTE_PGM_RSRC2:SCRATCH_EN: 0
; COMPUTE_PGM_RSRC2:USER_SGPR: 2
; COMPUTE_PGM_RSRC2:TRAP_HANDLER: 0
; COMPUTE_PGM_RSRC2:TGID_X_EN: 1
; COMPUTE_PGM_RSRC2:TGID_Y_EN: 0
; COMPUTE_PGM_RSRC2:TGID_Z_EN: 0
; COMPUTE_PGM_RSRC2:TIDIG_COMP_CNT: 0
; COMPUTE_PGM_RSRC3_GFX90A:ACCUM_OFFSET: 0
; COMPUTE_PGM_RSRC3_GFX90A:TG_SPLIT: 0
	.section	.text._ZN7rocprim17ROCPRIM_400000_NS6detail17trampoline_kernelINS0_14default_configENS1_37merge_sort_block_sort_config_selectorIlNS0_10empty_typeEEEZNS1_21merge_sort_block_sortIS3_PlS8_PS5_S9_ZN2at6native12_GLOBAL__N_124unique_dim_cuda_templateIaEESt5tupleIJNSA_6TensorESF_SF_EERKSF_lbbbEUlllE_EE10hipError_tT0_T1_T2_T3_mRjT4_P12ihipStream_tbNS1_7vsmem_tEEUlT_E_NS1_11comp_targetILNS1_3genE9ELNS1_11target_archE1100ELNS1_3gpuE3ELNS1_3repE0EEENS1_30default_config_static_selectorELNS0_4arch9wavefront6targetE1EEEvSM_,"axG",@progbits,_ZN7rocprim17ROCPRIM_400000_NS6detail17trampoline_kernelINS0_14default_configENS1_37merge_sort_block_sort_config_selectorIlNS0_10empty_typeEEEZNS1_21merge_sort_block_sortIS3_PlS8_PS5_S9_ZN2at6native12_GLOBAL__N_124unique_dim_cuda_templateIaEESt5tupleIJNSA_6TensorESF_SF_EERKSF_lbbbEUlllE_EE10hipError_tT0_T1_T2_T3_mRjT4_P12ihipStream_tbNS1_7vsmem_tEEUlT_E_NS1_11comp_targetILNS1_3genE9ELNS1_11target_archE1100ELNS1_3gpuE3ELNS1_3repE0EEENS1_30default_config_static_selectorELNS0_4arch9wavefront6targetE1EEEvSM_,comdat
	.globl	_ZN7rocprim17ROCPRIM_400000_NS6detail17trampoline_kernelINS0_14default_configENS1_37merge_sort_block_sort_config_selectorIlNS0_10empty_typeEEEZNS1_21merge_sort_block_sortIS3_PlS8_PS5_S9_ZN2at6native12_GLOBAL__N_124unique_dim_cuda_templateIaEESt5tupleIJNSA_6TensorESF_SF_EERKSF_lbbbEUlllE_EE10hipError_tT0_T1_T2_T3_mRjT4_P12ihipStream_tbNS1_7vsmem_tEEUlT_E_NS1_11comp_targetILNS1_3genE9ELNS1_11target_archE1100ELNS1_3gpuE3ELNS1_3repE0EEENS1_30default_config_static_selectorELNS0_4arch9wavefront6targetE1EEEvSM_ ; -- Begin function _ZN7rocprim17ROCPRIM_400000_NS6detail17trampoline_kernelINS0_14default_configENS1_37merge_sort_block_sort_config_selectorIlNS0_10empty_typeEEEZNS1_21merge_sort_block_sortIS3_PlS8_PS5_S9_ZN2at6native12_GLOBAL__N_124unique_dim_cuda_templateIaEESt5tupleIJNSA_6TensorESF_SF_EERKSF_lbbbEUlllE_EE10hipError_tT0_T1_T2_T3_mRjT4_P12ihipStream_tbNS1_7vsmem_tEEUlT_E_NS1_11comp_targetILNS1_3genE9ELNS1_11target_archE1100ELNS1_3gpuE3ELNS1_3repE0EEENS1_30default_config_static_selectorELNS0_4arch9wavefront6targetE1EEEvSM_
	.p2align	8
	.type	_ZN7rocprim17ROCPRIM_400000_NS6detail17trampoline_kernelINS0_14default_configENS1_37merge_sort_block_sort_config_selectorIlNS0_10empty_typeEEEZNS1_21merge_sort_block_sortIS3_PlS8_PS5_S9_ZN2at6native12_GLOBAL__N_124unique_dim_cuda_templateIaEESt5tupleIJNSA_6TensorESF_SF_EERKSF_lbbbEUlllE_EE10hipError_tT0_T1_T2_T3_mRjT4_P12ihipStream_tbNS1_7vsmem_tEEUlT_E_NS1_11comp_targetILNS1_3genE9ELNS1_11target_archE1100ELNS1_3gpuE3ELNS1_3repE0EEENS1_30default_config_static_selectorELNS0_4arch9wavefront6targetE1EEEvSM_,@function
_ZN7rocprim17ROCPRIM_400000_NS6detail17trampoline_kernelINS0_14default_configENS1_37merge_sort_block_sort_config_selectorIlNS0_10empty_typeEEEZNS1_21merge_sort_block_sortIS3_PlS8_PS5_S9_ZN2at6native12_GLOBAL__N_124unique_dim_cuda_templateIaEESt5tupleIJNSA_6TensorESF_SF_EERKSF_lbbbEUlllE_EE10hipError_tT0_T1_T2_T3_mRjT4_P12ihipStream_tbNS1_7vsmem_tEEUlT_E_NS1_11comp_targetILNS1_3genE9ELNS1_11target_archE1100ELNS1_3gpuE3ELNS1_3repE0EEENS1_30default_config_static_selectorELNS0_4arch9wavefront6targetE1EEEvSM_: ; @_ZN7rocprim17ROCPRIM_400000_NS6detail17trampoline_kernelINS0_14default_configENS1_37merge_sort_block_sort_config_selectorIlNS0_10empty_typeEEEZNS1_21merge_sort_block_sortIS3_PlS8_PS5_S9_ZN2at6native12_GLOBAL__N_124unique_dim_cuda_templateIaEESt5tupleIJNSA_6TensorESF_SF_EERKSF_lbbbEUlllE_EE10hipError_tT0_T1_T2_T3_mRjT4_P12ihipStream_tbNS1_7vsmem_tEEUlT_E_NS1_11comp_targetILNS1_3genE9ELNS1_11target_archE1100ELNS1_3gpuE3ELNS1_3repE0EEENS1_30default_config_static_selectorELNS0_4arch9wavefront6targetE1EEEvSM_
; %bb.0:
	.section	.rodata,"a",@progbits
	.p2align	6, 0x0
	.amdhsa_kernel _ZN7rocprim17ROCPRIM_400000_NS6detail17trampoline_kernelINS0_14default_configENS1_37merge_sort_block_sort_config_selectorIlNS0_10empty_typeEEEZNS1_21merge_sort_block_sortIS3_PlS8_PS5_S9_ZN2at6native12_GLOBAL__N_124unique_dim_cuda_templateIaEESt5tupleIJNSA_6TensorESF_SF_EERKSF_lbbbEUlllE_EE10hipError_tT0_T1_T2_T3_mRjT4_P12ihipStream_tbNS1_7vsmem_tEEUlT_E_NS1_11comp_targetILNS1_3genE9ELNS1_11target_archE1100ELNS1_3gpuE3ELNS1_3repE0EEENS1_30default_config_static_selectorELNS0_4arch9wavefront6targetE1EEEvSM_
		.amdhsa_group_segment_fixed_size 0
		.amdhsa_private_segment_fixed_size 0
		.amdhsa_kernarg_size 72
		.amdhsa_user_sgpr_count 2
		.amdhsa_user_sgpr_dispatch_ptr 0
		.amdhsa_user_sgpr_queue_ptr 0
		.amdhsa_user_sgpr_kernarg_segment_ptr 1
		.amdhsa_user_sgpr_dispatch_id 0
		.amdhsa_user_sgpr_kernarg_preload_length 0
		.amdhsa_user_sgpr_kernarg_preload_offset 0
		.amdhsa_user_sgpr_private_segment_size 0
		.amdhsa_uses_dynamic_stack 0
		.amdhsa_enable_private_segment 0
		.amdhsa_system_sgpr_workgroup_id_x 1
		.amdhsa_system_sgpr_workgroup_id_y 0
		.amdhsa_system_sgpr_workgroup_id_z 0
		.amdhsa_system_sgpr_workgroup_info 0
		.amdhsa_system_vgpr_workitem_id 0
		.amdhsa_next_free_vgpr 1
		.amdhsa_next_free_sgpr 0
		.amdhsa_accum_offset 4
		.amdhsa_reserve_vcc 0
		.amdhsa_float_round_mode_32 0
		.amdhsa_float_round_mode_16_64 0
		.amdhsa_float_denorm_mode_32 3
		.amdhsa_float_denorm_mode_16_64 3
		.amdhsa_dx10_clamp 1
		.amdhsa_ieee_mode 1
		.amdhsa_fp16_overflow 0
		.amdhsa_tg_split 0
		.amdhsa_exception_fp_ieee_invalid_op 0
		.amdhsa_exception_fp_denorm_src 0
		.amdhsa_exception_fp_ieee_div_zero 0
		.amdhsa_exception_fp_ieee_overflow 0
		.amdhsa_exception_fp_ieee_underflow 0
		.amdhsa_exception_fp_ieee_inexact 0
		.amdhsa_exception_int_div_zero 0
	.end_amdhsa_kernel
	.section	.text._ZN7rocprim17ROCPRIM_400000_NS6detail17trampoline_kernelINS0_14default_configENS1_37merge_sort_block_sort_config_selectorIlNS0_10empty_typeEEEZNS1_21merge_sort_block_sortIS3_PlS8_PS5_S9_ZN2at6native12_GLOBAL__N_124unique_dim_cuda_templateIaEESt5tupleIJNSA_6TensorESF_SF_EERKSF_lbbbEUlllE_EE10hipError_tT0_T1_T2_T3_mRjT4_P12ihipStream_tbNS1_7vsmem_tEEUlT_E_NS1_11comp_targetILNS1_3genE9ELNS1_11target_archE1100ELNS1_3gpuE3ELNS1_3repE0EEENS1_30default_config_static_selectorELNS0_4arch9wavefront6targetE1EEEvSM_,"axG",@progbits,_ZN7rocprim17ROCPRIM_400000_NS6detail17trampoline_kernelINS0_14default_configENS1_37merge_sort_block_sort_config_selectorIlNS0_10empty_typeEEEZNS1_21merge_sort_block_sortIS3_PlS8_PS5_S9_ZN2at6native12_GLOBAL__N_124unique_dim_cuda_templateIaEESt5tupleIJNSA_6TensorESF_SF_EERKSF_lbbbEUlllE_EE10hipError_tT0_T1_T2_T3_mRjT4_P12ihipStream_tbNS1_7vsmem_tEEUlT_E_NS1_11comp_targetILNS1_3genE9ELNS1_11target_archE1100ELNS1_3gpuE3ELNS1_3repE0EEENS1_30default_config_static_selectorELNS0_4arch9wavefront6targetE1EEEvSM_,comdat
.Lfunc_end270:
	.size	_ZN7rocprim17ROCPRIM_400000_NS6detail17trampoline_kernelINS0_14default_configENS1_37merge_sort_block_sort_config_selectorIlNS0_10empty_typeEEEZNS1_21merge_sort_block_sortIS3_PlS8_PS5_S9_ZN2at6native12_GLOBAL__N_124unique_dim_cuda_templateIaEESt5tupleIJNSA_6TensorESF_SF_EERKSF_lbbbEUlllE_EE10hipError_tT0_T1_T2_T3_mRjT4_P12ihipStream_tbNS1_7vsmem_tEEUlT_E_NS1_11comp_targetILNS1_3genE9ELNS1_11target_archE1100ELNS1_3gpuE3ELNS1_3repE0EEENS1_30default_config_static_selectorELNS0_4arch9wavefront6targetE1EEEvSM_, .Lfunc_end270-_ZN7rocprim17ROCPRIM_400000_NS6detail17trampoline_kernelINS0_14default_configENS1_37merge_sort_block_sort_config_selectorIlNS0_10empty_typeEEEZNS1_21merge_sort_block_sortIS3_PlS8_PS5_S9_ZN2at6native12_GLOBAL__N_124unique_dim_cuda_templateIaEESt5tupleIJNSA_6TensorESF_SF_EERKSF_lbbbEUlllE_EE10hipError_tT0_T1_T2_T3_mRjT4_P12ihipStream_tbNS1_7vsmem_tEEUlT_E_NS1_11comp_targetILNS1_3genE9ELNS1_11target_archE1100ELNS1_3gpuE3ELNS1_3repE0EEENS1_30default_config_static_selectorELNS0_4arch9wavefront6targetE1EEEvSM_
                                        ; -- End function
	.section	.AMDGPU.csdata,"",@progbits
; Kernel info:
; codeLenInByte = 0
; NumSgprs: 6
; NumVgprs: 0
; NumAgprs: 0
; TotalNumVgprs: 0
; ScratchSize: 0
; MemoryBound: 0
; FloatMode: 240
; IeeeMode: 1
; LDSByteSize: 0 bytes/workgroup (compile time only)
; SGPRBlocks: 0
; VGPRBlocks: 0
; NumSGPRsForWavesPerEU: 6
; NumVGPRsForWavesPerEU: 1
; AccumOffset: 4
; Occupancy: 8
; WaveLimiterHint : 0
; COMPUTE_PGM_RSRC2:SCRATCH_EN: 0
; COMPUTE_PGM_RSRC2:USER_SGPR: 2
; COMPUTE_PGM_RSRC2:TRAP_HANDLER: 0
; COMPUTE_PGM_RSRC2:TGID_X_EN: 1
; COMPUTE_PGM_RSRC2:TGID_Y_EN: 0
; COMPUTE_PGM_RSRC2:TGID_Z_EN: 0
; COMPUTE_PGM_RSRC2:TIDIG_COMP_CNT: 0
; COMPUTE_PGM_RSRC3_GFX90A:ACCUM_OFFSET: 0
; COMPUTE_PGM_RSRC3_GFX90A:TG_SPLIT: 0
	.section	.text._ZN7rocprim17ROCPRIM_400000_NS6detail17trampoline_kernelINS0_14default_configENS1_37merge_sort_block_sort_config_selectorIlNS0_10empty_typeEEEZNS1_21merge_sort_block_sortIS3_PlS8_PS5_S9_ZN2at6native12_GLOBAL__N_124unique_dim_cuda_templateIaEESt5tupleIJNSA_6TensorESF_SF_EERKSF_lbbbEUlllE_EE10hipError_tT0_T1_T2_T3_mRjT4_P12ihipStream_tbNS1_7vsmem_tEEUlT_E_NS1_11comp_targetILNS1_3genE8ELNS1_11target_archE1030ELNS1_3gpuE2ELNS1_3repE0EEENS1_30default_config_static_selectorELNS0_4arch9wavefront6targetE1EEEvSM_,"axG",@progbits,_ZN7rocprim17ROCPRIM_400000_NS6detail17trampoline_kernelINS0_14default_configENS1_37merge_sort_block_sort_config_selectorIlNS0_10empty_typeEEEZNS1_21merge_sort_block_sortIS3_PlS8_PS5_S9_ZN2at6native12_GLOBAL__N_124unique_dim_cuda_templateIaEESt5tupleIJNSA_6TensorESF_SF_EERKSF_lbbbEUlllE_EE10hipError_tT0_T1_T2_T3_mRjT4_P12ihipStream_tbNS1_7vsmem_tEEUlT_E_NS1_11comp_targetILNS1_3genE8ELNS1_11target_archE1030ELNS1_3gpuE2ELNS1_3repE0EEENS1_30default_config_static_selectorELNS0_4arch9wavefront6targetE1EEEvSM_,comdat
	.globl	_ZN7rocprim17ROCPRIM_400000_NS6detail17trampoline_kernelINS0_14default_configENS1_37merge_sort_block_sort_config_selectorIlNS0_10empty_typeEEEZNS1_21merge_sort_block_sortIS3_PlS8_PS5_S9_ZN2at6native12_GLOBAL__N_124unique_dim_cuda_templateIaEESt5tupleIJNSA_6TensorESF_SF_EERKSF_lbbbEUlllE_EE10hipError_tT0_T1_T2_T3_mRjT4_P12ihipStream_tbNS1_7vsmem_tEEUlT_E_NS1_11comp_targetILNS1_3genE8ELNS1_11target_archE1030ELNS1_3gpuE2ELNS1_3repE0EEENS1_30default_config_static_selectorELNS0_4arch9wavefront6targetE1EEEvSM_ ; -- Begin function _ZN7rocprim17ROCPRIM_400000_NS6detail17trampoline_kernelINS0_14default_configENS1_37merge_sort_block_sort_config_selectorIlNS0_10empty_typeEEEZNS1_21merge_sort_block_sortIS3_PlS8_PS5_S9_ZN2at6native12_GLOBAL__N_124unique_dim_cuda_templateIaEESt5tupleIJNSA_6TensorESF_SF_EERKSF_lbbbEUlllE_EE10hipError_tT0_T1_T2_T3_mRjT4_P12ihipStream_tbNS1_7vsmem_tEEUlT_E_NS1_11comp_targetILNS1_3genE8ELNS1_11target_archE1030ELNS1_3gpuE2ELNS1_3repE0EEENS1_30default_config_static_selectorELNS0_4arch9wavefront6targetE1EEEvSM_
	.p2align	8
	.type	_ZN7rocprim17ROCPRIM_400000_NS6detail17trampoline_kernelINS0_14default_configENS1_37merge_sort_block_sort_config_selectorIlNS0_10empty_typeEEEZNS1_21merge_sort_block_sortIS3_PlS8_PS5_S9_ZN2at6native12_GLOBAL__N_124unique_dim_cuda_templateIaEESt5tupleIJNSA_6TensorESF_SF_EERKSF_lbbbEUlllE_EE10hipError_tT0_T1_T2_T3_mRjT4_P12ihipStream_tbNS1_7vsmem_tEEUlT_E_NS1_11comp_targetILNS1_3genE8ELNS1_11target_archE1030ELNS1_3gpuE2ELNS1_3repE0EEENS1_30default_config_static_selectorELNS0_4arch9wavefront6targetE1EEEvSM_,@function
_ZN7rocprim17ROCPRIM_400000_NS6detail17trampoline_kernelINS0_14default_configENS1_37merge_sort_block_sort_config_selectorIlNS0_10empty_typeEEEZNS1_21merge_sort_block_sortIS3_PlS8_PS5_S9_ZN2at6native12_GLOBAL__N_124unique_dim_cuda_templateIaEESt5tupleIJNSA_6TensorESF_SF_EERKSF_lbbbEUlllE_EE10hipError_tT0_T1_T2_T3_mRjT4_P12ihipStream_tbNS1_7vsmem_tEEUlT_E_NS1_11comp_targetILNS1_3genE8ELNS1_11target_archE1030ELNS1_3gpuE2ELNS1_3repE0EEENS1_30default_config_static_selectorELNS0_4arch9wavefront6targetE1EEEvSM_: ; @_ZN7rocprim17ROCPRIM_400000_NS6detail17trampoline_kernelINS0_14default_configENS1_37merge_sort_block_sort_config_selectorIlNS0_10empty_typeEEEZNS1_21merge_sort_block_sortIS3_PlS8_PS5_S9_ZN2at6native12_GLOBAL__N_124unique_dim_cuda_templateIaEESt5tupleIJNSA_6TensorESF_SF_EERKSF_lbbbEUlllE_EE10hipError_tT0_T1_T2_T3_mRjT4_P12ihipStream_tbNS1_7vsmem_tEEUlT_E_NS1_11comp_targetILNS1_3genE8ELNS1_11target_archE1030ELNS1_3gpuE2ELNS1_3repE0EEENS1_30default_config_static_selectorELNS0_4arch9wavefront6targetE1EEEvSM_
; %bb.0:
	.section	.rodata,"a",@progbits
	.p2align	6, 0x0
	.amdhsa_kernel _ZN7rocprim17ROCPRIM_400000_NS6detail17trampoline_kernelINS0_14default_configENS1_37merge_sort_block_sort_config_selectorIlNS0_10empty_typeEEEZNS1_21merge_sort_block_sortIS3_PlS8_PS5_S9_ZN2at6native12_GLOBAL__N_124unique_dim_cuda_templateIaEESt5tupleIJNSA_6TensorESF_SF_EERKSF_lbbbEUlllE_EE10hipError_tT0_T1_T2_T3_mRjT4_P12ihipStream_tbNS1_7vsmem_tEEUlT_E_NS1_11comp_targetILNS1_3genE8ELNS1_11target_archE1030ELNS1_3gpuE2ELNS1_3repE0EEENS1_30default_config_static_selectorELNS0_4arch9wavefront6targetE1EEEvSM_
		.amdhsa_group_segment_fixed_size 0
		.amdhsa_private_segment_fixed_size 0
		.amdhsa_kernarg_size 72
		.amdhsa_user_sgpr_count 2
		.amdhsa_user_sgpr_dispatch_ptr 0
		.amdhsa_user_sgpr_queue_ptr 0
		.amdhsa_user_sgpr_kernarg_segment_ptr 1
		.amdhsa_user_sgpr_dispatch_id 0
		.amdhsa_user_sgpr_kernarg_preload_length 0
		.amdhsa_user_sgpr_kernarg_preload_offset 0
		.amdhsa_user_sgpr_private_segment_size 0
		.amdhsa_uses_dynamic_stack 0
		.amdhsa_enable_private_segment 0
		.amdhsa_system_sgpr_workgroup_id_x 1
		.amdhsa_system_sgpr_workgroup_id_y 0
		.amdhsa_system_sgpr_workgroup_id_z 0
		.amdhsa_system_sgpr_workgroup_info 0
		.amdhsa_system_vgpr_workitem_id 0
		.amdhsa_next_free_vgpr 1
		.amdhsa_next_free_sgpr 0
		.amdhsa_accum_offset 4
		.amdhsa_reserve_vcc 0
		.amdhsa_float_round_mode_32 0
		.amdhsa_float_round_mode_16_64 0
		.amdhsa_float_denorm_mode_32 3
		.amdhsa_float_denorm_mode_16_64 3
		.amdhsa_dx10_clamp 1
		.amdhsa_ieee_mode 1
		.amdhsa_fp16_overflow 0
		.amdhsa_tg_split 0
		.amdhsa_exception_fp_ieee_invalid_op 0
		.amdhsa_exception_fp_denorm_src 0
		.amdhsa_exception_fp_ieee_div_zero 0
		.amdhsa_exception_fp_ieee_overflow 0
		.amdhsa_exception_fp_ieee_underflow 0
		.amdhsa_exception_fp_ieee_inexact 0
		.amdhsa_exception_int_div_zero 0
	.end_amdhsa_kernel
	.section	.text._ZN7rocprim17ROCPRIM_400000_NS6detail17trampoline_kernelINS0_14default_configENS1_37merge_sort_block_sort_config_selectorIlNS0_10empty_typeEEEZNS1_21merge_sort_block_sortIS3_PlS8_PS5_S9_ZN2at6native12_GLOBAL__N_124unique_dim_cuda_templateIaEESt5tupleIJNSA_6TensorESF_SF_EERKSF_lbbbEUlllE_EE10hipError_tT0_T1_T2_T3_mRjT4_P12ihipStream_tbNS1_7vsmem_tEEUlT_E_NS1_11comp_targetILNS1_3genE8ELNS1_11target_archE1030ELNS1_3gpuE2ELNS1_3repE0EEENS1_30default_config_static_selectorELNS0_4arch9wavefront6targetE1EEEvSM_,"axG",@progbits,_ZN7rocprim17ROCPRIM_400000_NS6detail17trampoline_kernelINS0_14default_configENS1_37merge_sort_block_sort_config_selectorIlNS0_10empty_typeEEEZNS1_21merge_sort_block_sortIS3_PlS8_PS5_S9_ZN2at6native12_GLOBAL__N_124unique_dim_cuda_templateIaEESt5tupleIJNSA_6TensorESF_SF_EERKSF_lbbbEUlllE_EE10hipError_tT0_T1_T2_T3_mRjT4_P12ihipStream_tbNS1_7vsmem_tEEUlT_E_NS1_11comp_targetILNS1_3genE8ELNS1_11target_archE1030ELNS1_3gpuE2ELNS1_3repE0EEENS1_30default_config_static_selectorELNS0_4arch9wavefront6targetE1EEEvSM_,comdat
.Lfunc_end271:
	.size	_ZN7rocprim17ROCPRIM_400000_NS6detail17trampoline_kernelINS0_14default_configENS1_37merge_sort_block_sort_config_selectorIlNS0_10empty_typeEEEZNS1_21merge_sort_block_sortIS3_PlS8_PS5_S9_ZN2at6native12_GLOBAL__N_124unique_dim_cuda_templateIaEESt5tupleIJNSA_6TensorESF_SF_EERKSF_lbbbEUlllE_EE10hipError_tT0_T1_T2_T3_mRjT4_P12ihipStream_tbNS1_7vsmem_tEEUlT_E_NS1_11comp_targetILNS1_3genE8ELNS1_11target_archE1030ELNS1_3gpuE2ELNS1_3repE0EEENS1_30default_config_static_selectorELNS0_4arch9wavefront6targetE1EEEvSM_, .Lfunc_end271-_ZN7rocprim17ROCPRIM_400000_NS6detail17trampoline_kernelINS0_14default_configENS1_37merge_sort_block_sort_config_selectorIlNS0_10empty_typeEEEZNS1_21merge_sort_block_sortIS3_PlS8_PS5_S9_ZN2at6native12_GLOBAL__N_124unique_dim_cuda_templateIaEESt5tupleIJNSA_6TensorESF_SF_EERKSF_lbbbEUlllE_EE10hipError_tT0_T1_T2_T3_mRjT4_P12ihipStream_tbNS1_7vsmem_tEEUlT_E_NS1_11comp_targetILNS1_3genE8ELNS1_11target_archE1030ELNS1_3gpuE2ELNS1_3repE0EEENS1_30default_config_static_selectorELNS0_4arch9wavefront6targetE1EEEvSM_
                                        ; -- End function
	.section	.AMDGPU.csdata,"",@progbits
; Kernel info:
; codeLenInByte = 0
; NumSgprs: 6
; NumVgprs: 0
; NumAgprs: 0
; TotalNumVgprs: 0
; ScratchSize: 0
; MemoryBound: 0
; FloatMode: 240
; IeeeMode: 1
; LDSByteSize: 0 bytes/workgroup (compile time only)
; SGPRBlocks: 0
; VGPRBlocks: 0
; NumSGPRsForWavesPerEU: 6
; NumVGPRsForWavesPerEU: 1
; AccumOffset: 4
; Occupancy: 8
; WaveLimiterHint : 0
; COMPUTE_PGM_RSRC2:SCRATCH_EN: 0
; COMPUTE_PGM_RSRC2:USER_SGPR: 2
; COMPUTE_PGM_RSRC2:TRAP_HANDLER: 0
; COMPUTE_PGM_RSRC2:TGID_X_EN: 1
; COMPUTE_PGM_RSRC2:TGID_Y_EN: 0
; COMPUTE_PGM_RSRC2:TGID_Z_EN: 0
; COMPUTE_PGM_RSRC2:TIDIG_COMP_CNT: 0
; COMPUTE_PGM_RSRC3_GFX90A:ACCUM_OFFSET: 0
; COMPUTE_PGM_RSRC3_GFX90A:TG_SPLIT: 0
	.section	.text._ZN7rocprim17ROCPRIM_400000_NS6detail17trampoline_kernelINS0_14default_configENS1_38merge_sort_block_merge_config_selectorIlNS0_10empty_typeEEEZZNS1_27merge_sort_block_merge_implIS3_PlPS5_mZN2at6native12_GLOBAL__N_124unique_dim_cuda_templateIaEESt5tupleIJNSA_6TensorESF_SF_EERKSF_lbbbEUlllE_EE10hipError_tT0_T1_T2_jT3_P12ihipStream_tbPNSt15iterator_traitsISL_E10value_typeEPNSR_ISM_E10value_typeEPSN_NS1_7vsmem_tEENKUlT_SL_SM_SN_E_clIS8_S8_S9_S9_EESK_S10_SL_SM_SN_EUlS10_E_NS1_11comp_targetILNS1_3genE0ELNS1_11target_archE4294967295ELNS1_3gpuE0ELNS1_3repE0EEENS1_48merge_mergepath_partition_config_static_selectorELNS0_4arch9wavefront6targetE1EEEvSM_,"axG",@progbits,_ZN7rocprim17ROCPRIM_400000_NS6detail17trampoline_kernelINS0_14default_configENS1_38merge_sort_block_merge_config_selectorIlNS0_10empty_typeEEEZZNS1_27merge_sort_block_merge_implIS3_PlPS5_mZN2at6native12_GLOBAL__N_124unique_dim_cuda_templateIaEESt5tupleIJNSA_6TensorESF_SF_EERKSF_lbbbEUlllE_EE10hipError_tT0_T1_T2_jT3_P12ihipStream_tbPNSt15iterator_traitsISL_E10value_typeEPNSR_ISM_E10value_typeEPSN_NS1_7vsmem_tEENKUlT_SL_SM_SN_E_clIS8_S8_S9_S9_EESK_S10_SL_SM_SN_EUlS10_E_NS1_11comp_targetILNS1_3genE0ELNS1_11target_archE4294967295ELNS1_3gpuE0ELNS1_3repE0EEENS1_48merge_mergepath_partition_config_static_selectorELNS0_4arch9wavefront6targetE1EEEvSM_,comdat
	.globl	_ZN7rocprim17ROCPRIM_400000_NS6detail17trampoline_kernelINS0_14default_configENS1_38merge_sort_block_merge_config_selectorIlNS0_10empty_typeEEEZZNS1_27merge_sort_block_merge_implIS3_PlPS5_mZN2at6native12_GLOBAL__N_124unique_dim_cuda_templateIaEESt5tupleIJNSA_6TensorESF_SF_EERKSF_lbbbEUlllE_EE10hipError_tT0_T1_T2_jT3_P12ihipStream_tbPNSt15iterator_traitsISL_E10value_typeEPNSR_ISM_E10value_typeEPSN_NS1_7vsmem_tEENKUlT_SL_SM_SN_E_clIS8_S8_S9_S9_EESK_S10_SL_SM_SN_EUlS10_E_NS1_11comp_targetILNS1_3genE0ELNS1_11target_archE4294967295ELNS1_3gpuE0ELNS1_3repE0EEENS1_48merge_mergepath_partition_config_static_selectorELNS0_4arch9wavefront6targetE1EEEvSM_ ; -- Begin function _ZN7rocprim17ROCPRIM_400000_NS6detail17trampoline_kernelINS0_14default_configENS1_38merge_sort_block_merge_config_selectorIlNS0_10empty_typeEEEZZNS1_27merge_sort_block_merge_implIS3_PlPS5_mZN2at6native12_GLOBAL__N_124unique_dim_cuda_templateIaEESt5tupleIJNSA_6TensorESF_SF_EERKSF_lbbbEUlllE_EE10hipError_tT0_T1_T2_jT3_P12ihipStream_tbPNSt15iterator_traitsISL_E10value_typeEPNSR_ISM_E10value_typeEPSN_NS1_7vsmem_tEENKUlT_SL_SM_SN_E_clIS8_S8_S9_S9_EESK_S10_SL_SM_SN_EUlS10_E_NS1_11comp_targetILNS1_3genE0ELNS1_11target_archE4294967295ELNS1_3gpuE0ELNS1_3repE0EEENS1_48merge_mergepath_partition_config_static_selectorELNS0_4arch9wavefront6targetE1EEEvSM_
	.p2align	8
	.type	_ZN7rocprim17ROCPRIM_400000_NS6detail17trampoline_kernelINS0_14default_configENS1_38merge_sort_block_merge_config_selectorIlNS0_10empty_typeEEEZZNS1_27merge_sort_block_merge_implIS3_PlPS5_mZN2at6native12_GLOBAL__N_124unique_dim_cuda_templateIaEESt5tupleIJNSA_6TensorESF_SF_EERKSF_lbbbEUlllE_EE10hipError_tT0_T1_T2_jT3_P12ihipStream_tbPNSt15iterator_traitsISL_E10value_typeEPNSR_ISM_E10value_typeEPSN_NS1_7vsmem_tEENKUlT_SL_SM_SN_E_clIS8_S8_S9_S9_EESK_S10_SL_SM_SN_EUlS10_E_NS1_11comp_targetILNS1_3genE0ELNS1_11target_archE4294967295ELNS1_3gpuE0ELNS1_3repE0EEENS1_48merge_mergepath_partition_config_static_selectorELNS0_4arch9wavefront6targetE1EEEvSM_,@function
_ZN7rocprim17ROCPRIM_400000_NS6detail17trampoline_kernelINS0_14default_configENS1_38merge_sort_block_merge_config_selectorIlNS0_10empty_typeEEEZZNS1_27merge_sort_block_merge_implIS3_PlPS5_mZN2at6native12_GLOBAL__N_124unique_dim_cuda_templateIaEESt5tupleIJNSA_6TensorESF_SF_EERKSF_lbbbEUlllE_EE10hipError_tT0_T1_T2_jT3_P12ihipStream_tbPNSt15iterator_traitsISL_E10value_typeEPNSR_ISM_E10value_typeEPSN_NS1_7vsmem_tEENKUlT_SL_SM_SN_E_clIS8_S8_S9_S9_EESK_S10_SL_SM_SN_EUlS10_E_NS1_11comp_targetILNS1_3genE0ELNS1_11target_archE4294967295ELNS1_3gpuE0ELNS1_3repE0EEENS1_48merge_mergepath_partition_config_static_selectorELNS0_4arch9wavefront6targetE1EEEvSM_: ; @_ZN7rocprim17ROCPRIM_400000_NS6detail17trampoline_kernelINS0_14default_configENS1_38merge_sort_block_merge_config_selectorIlNS0_10empty_typeEEEZZNS1_27merge_sort_block_merge_implIS3_PlPS5_mZN2at6native12_GLOBAL__N_124unique_dim_cuda_templateIaEESt5tupleIJNSA_6TensorESF_SF_EERKSF_lbbbEUlllE_EE10hipError_tT0_T1_T2_jT3_P12ihipStream_tbPNSt15iterator_traitsISL_E10value_typeEPNSR_ISM_E10value_typeEPSN_NS1_7vsmem_tEENKUlT_SL_SM_SN_E_clIS8_S8_S9_S9_EESK_S10_SL_SM_SN_EUlS10_E_NS1_11comp_targetILNS1_3genE0ELNS1_11target_archE4294967295ELNS1_3gpuE0ELNS1_3repE0EEENS1_48merge_mergepath_partition_config_static_selectorELNS0_4arch9wavefront6targetE1EEEvSM_
; %bb.0:
	.section	.rodata,"a",@progbits
	.p2align	6, 0x0
	.amdhsa_kernel _ZN7rocprim17ROCPRIM_400000_NS6detail17trampoline_kernelINS0_14default_configENS1_38merge_sort_block_merge_config_selectorIlNS0_10empty_typeEEEZZNS1_27merge_sort_block_merge_implIS3_PlPS5_mZN2at6native12_GLOBAL__N_124unique_dim_cuda_templateIaEESt5tupleIJNSA_6TensorESF_SF_EERKSF_lbbbEUlllE_EE10hipError_tT0_T1_T2_jT3_P12ihipStream_tbPNSt15iterator_traitsISL_E10value_typeEPNSR_ISM_E10value_typeEPSN_NS1_7vsmem_tEENKUlT_SL_SM_SN_E_clIS8_S8_S9_S9_EESK_S10_SL_SM_SN_EUlS10_E_NS1_11comp_targetILNS1_3genE0ELNS1_11target_archE4294967295ELNS1_3gpuE0ELNS1_3repE0EEENS1_48merge_mergepath_partition_config_static_selectorELNS0_4arch9wavefront6targetE1EEEvSM_
		.amdhsa_group_segment_fixed_size 0
		.amdhsa_private_segment_fixed_size 0
		.amdhsa_kernarg_size 56
		.amdhsa_user_sgpr_count 2
		.amdhsa_user_sgpr_dispatch_ptr 0
		.amdhsa_user_sgpr_queue_ptr 0
		.amdhsa_user_sgpr_kernarg_segment_ptr 1
		.amdhsa_user_sgpr_dispatch_id 0
		.amdhsa_user_sgpr_kernarg_preload_length 0
		.amdhsa_user_sgpr_kernarg_preload_offset 0
		.amdhsa_user_sgpr_private_segment_size 0
		.amdhsa_uses_dynamic_stack 0
		.amdhsa_enable_private_segment 0
		.amdhsa_system_sgpr_workgroup_id_x 1
		.amdhsa_system_sgpr_workgroup_id_y 0
		.amdhsa_system_sgpr_workgroup_id_z 0
		.amdhsa_system_sgpr_workgroup_info 0
		.amdhsa_system_vgpr_workitem_id 0
		.amdhsa_next_free_vgpr 1
		.amdhsa_next_free_sgpr 0
		.amdhsa_accum_offset 4
		.amdhsa_reserve_vcc 0
		.amdhsa_float_round_mode_32 0
		.amdhsa_float_round_mode_16_64 0
		.amdhsa_float_denorm_mode_32 3
		.amdhsa_float_denorm_mode_16_64 3
		.amdhsa_dx10_clamp 1
		.amdhsa_ieee_mode 1
		.amdhsa_fp16_overflow 0
		.amdhsa_tg_split 0
		.amdhsa_exception_fp_ieee_invalid_op 0
		.amdhsa_exception_fp_denorm_src 0
		.amdhsa_exception_fp_ieee_div_zero 0
		.amdhsa_exception_fp_ieee_overflow 0
		.amdhsa_exception_fp_ieee_underflow 0
		.amdhsa_exception_fp_ieee_inexact 0
		.amdhsa_exception_int_div_zero 0
	.end_amdhsa_kernel
	.section	.text._ZN7rocprim17ROCPRIM_400000_NS6detail17trampoline_kernelINS0_14default_configENS1_38merge_sort_block_merge_config_selectorIlNS0_10empty_typeEEEZZNS1_27merge_sort_block_merge_implIS3_PlPS5_mZN2at6native12_GLOBAL__N_124unique_dim_cuda_templateIaEESt5tupleIJNSA_6TensorESF_SF_EERKSF_lbbbEUlllE_EE10hipError_tT0_T1_T2_jT3_P12ihipStream_tbPNSt15iterator_traitsISL_E10value_typeEPNSR_ISM_E10value_typeEPSN_NS1_7vsmem_tEENKUlT_SL_SM_SN_E_clIS8_S8_S9_S9_EESK_S10_SL_SM_SN_EUlS10_E_NS1_11comp_targetILNS1_3genE0ELNS1_11target_archE4294967295ELNS1_3gpuE0ELNS1_3repE0EEENS1_48merge_mergepath_partition_config_static_selectorELNS0_4arch9wavefront6targetE1EEEvSM_,"axG",@progbits,_ZN7rocprim17ROCPRIM_400000_NS6detail17trampoline_kernelINS0_14default_configENS1_38merge_sort_block_merge_config_selectorIlNS0_10empty_typeEEEZZNS1_27merge_sort_block_merge_implIS3_PlPS5_mZN2at6native12_GLOBAL__N_124unique_dim_cuda_templateIaEESt5tupleIJNSA_6TensorESF_SF_EERKSF_lbbbEUlllE_EE10hipError_tT0_T1_T2_jT3_P12ihipStream_tbPNSt15iterator_traitsISL_E10value_typeEPNSR_ISM_E10value_typeEPSN_NS1_7vsmem_tEENKUlT_SL_SM_SN_E_clIS8_S8_S9_S9_EESK_S10_SL_SM_SN_EUlS10_E_NS1_11comp_targetILNS1_3genE0ELNS1_11target_archE4294967295ELNS1_3gpuE0ELNS1_3repE0EEENS1_48merge_mergepath_partition_config_static_selectorELNS0_4arch9wavefront6targetE1EEEvSM_,comdat
.Lfunc_end272:
	.size	_ZN7rocprim17ROCPRIM_400000_NS6detail17trampoline_kernelINS0_14default_configENS1_38merge_sort_block_merge_config_selectorIlNS0_10empty_typeEEEZZNS1_27merge_sort_block_merge_implIS3_PlPS5_mZN2at6native12_GLOBAL__N_124unique_dim_cuda_templateIaEESt5tupleIJNSA_6TensorESF_SF_EERKSF_lbbbEUlllE_EE10hipError_tT0_T1_T2_jT3_P12ihipStream_tbPNSt15iterator_traitsISL_E10value_typeEPNSR_ISM_E10value_typeEPSN_NS1_7vsmem_tEENKUlT_SL_SM_SN_E_clIS8_S8_S9_S9_EESK_S10_SL_SM_SN_EUlS10_E_NS1_11comp_targetILNS1_3genE0ELNS1_11target_archE4294967295ELNS1_3gpuE0ELNS1_3repE0EEENS1_48merge_mergepath_partition_config_static_selectorELNS0_4arch9wavefront6targetE1EEEvSM_, .Lfunc_end272-_ZN7rocprim17ROCPRIM_400000_NS6detail17trampoline_kernelINS0_14default_configENS1_38merge_sort_block_merge_config_selectorIlNS0_10empty_typeEEEZZNS1_27merge_sort_block_merge_implIS3_PlPS5_mZN2at6native12_GLOBAL__N_124unique_dim_cuda_templateIaEESt5tupleIJNSA_6TensorESF_SF_EERKSF_lbbbEUlllE_EE10hipError_tT0_T1_T2_jT3_P12ihipStream_tbPNSt15iterator_traitsISL_E10value_typeEPNSR_ISM_E10value_typeEPSN_NS1_7vsmem_tEENKUlT_SL_SM_SN_E_clIS8_S8_S9_S9_EESK_S10_SL_SM_SN_EUlS10_E_NS1_11comp_targetILNS1_3genE0ELNS1_11target_archE4294967295ELNS1_3gpuE0ELNS1_3repE0EEENS1_48merge_mergepath_partition_config_static_selectorELNS0_4arch9wavefront6targetE1EEEvSM_
                                        ; -- End function
	.section	.AMDGPU.csdata,"",@progbits
; Kernel info:
; codeLenInByte = 0
; NumSgprs: 6
; NumVgprs: 0
; NumAgprs: 0
; TotalNumVgprs: 0
; ScratchSize: 0
; MemoryBound: 0
; FloatMode: 240
; IeeeMode: 1
; LDSByteSize: 0 bytes/workgroup (compile time only)
; SGPRBlocks: 0
; VGPRBlocks: 0
; NumSGPRsForWavesPerEU: 6
; NumVGPRsForWavesPerEU: 1
; AccumOffset: 4
; Occupancy: 8
; WaveLimiterHint : 0
; COMPUTE_PGM_RSRC2:SCRATCH_EN: 0
; COMPUTE_PGM_RSRC2:USER_SGPR: 2
; COMPUTE_PGM_RSRC2:TRAP_HANDLER: 0
; COMPUTE_PGM_RSRC2:TGID_X_EN: 1
; COMPUTE_PGM_RSRC2:TGID_Y_EN: 0
; COMPUTE_PGM_RSRC2:TGID_Z_EN: 0
; COMPUTE_PGM_RSRC2:TIDIG_COMP_CNT: 0
; COMPUTE_PGM_RSRC3_GFX90A:ACCUM_OFFSET: 0
; COMPUTE_PGM_RSRC3_GFX90A:TG_SPLIT: 0
	.section	.text._ZN7rocprim17ROCPRIM_400000_NS6detail17trampoline_kernelINS0_14default_configENS1_38merge_sort_block_merge_config_selectorIlNS0_10empty_typeEEEZZNS1_27merge_sort_block_merge_implIS3_PlPS5_mZN2at6native12_GLOBAL__N_124unique_dim_cuda_templateIaEESt5tupleIJNSA_6TensorESF_SF_EERKSF_lbbbEUlllE_EE10hipError_tT0_T1_T2_jT3_P12ihipStream_tbPNSt15iterator_traitsISL_E10value_typeEPNSR_ISM_E10value_typeEPSN_NS1_7vsmem_tEENKUlT_SL_SM_SN_E_clIS8_S8_S9_S9_EESK_S10_SL_SM_SN_EUlS10_E_NS1_11comp_targetILNS1_3genE10ELNS1_11target_archE1201ELNS1_3gpuE5ELNS1_3repE0EEENS1_48merge_mergepath_partition_config_static_selectorELNS0_4arch9wavefront6targetE1EEEvSM_,"axG",@progbits,_ZN7rocprim17ROCPRIM_400000_NS6detail17trampoline_kernelINS0_14default_configENS1_38merge_sort_block_merge_config_selectorIlNS0_10empty_typeEEEZZNS1_27merge_sort_block_merge_implIS3_PlPS5_mZN2at6native12_GLOBAL__N_124unique_dim_cuda_templateIaEESt5tupleIJNSA_6TensorESF_SF_EERKSF_lbbbEUlllE_EE10hipError_tT0_T1_T2_jT3_P12ihipStream_tbPNSt15iterator_traitsISL_E10value_typeEPNSR_ISM_E10value_typeEPSN_NS1_7vsmem_tEENKUlT_SL_SM_SN_E_clIS8_S8_S9_S9_EESK_S10_SL_SM_SN_EUlS10_E_NS1_11comp_targetILNS1_3genE10ELNS1_11target_archE1201ELNS1_3gpuE5ELNS1_3repE0EEENS1_48merge_mergepath_partition_config_static_selectorELNS0_4arch9wavefront6targetE1EEEvSM_,comdat
	.globl	_ZN7rocprim17ROCPRIM_400000_NS6detail17trampoline_kernelINS0_14default_configENS1_38merge_sort_block_merge_config_selectorIlNS0_10empty_typeEEEZZNS1_27merge_sort_block_merge_implIS3_PlPS5_mZN2at6native12_GLOBAL__N_124unique_dim_cuda_templateIaEESt5tupleIJNSA_6TensorESF_SF_EERKSF_lbbbEUlllE_EE10hipError_tT0_T1_T2_jT3_P12ihipStream_tbPNSt15iterator_traitsISL_E10value_typeEPNSR_ISM_E10value_typeEPSN_NS1_7vsmem_tEENKUlT_SL_SM_SN_E_clIS8_S8_S9_S9_EESK_S10_SL_SM_SN_EUlS10_E_NS1_11comp_targetILNS1_3genE10ELNS1_11target_archE1201ELNS1_3gpuE5ELNS1_3repE0EEENS1_48merge_mergepath_partition_config_static_selectorELNS0_4arch9wavefront6targetE1EEEvSM_ ; -- Begin function _ZN7rocprim17ROCPRIM_400000_NS6detail17trampoline_kernelINS0_14default_configENS1_38merge_sort_block_merge_config_selectorIlNS0_10empty_typeEEEZZNS1_27merge_sort_block_merge_implIS3_PlPS5_mZN2at6native12_GLOBAL__N_124unique_dim_cuda_templateIaEESt5tupleIJNSA_6TensorESF_SF_EERKSF_lbbbEUlllE_EE10hipError_tT0_T1_T2_jT3_P12ihipStream_tbPNSt15iterator_traitsISL_E10value_typeEPNSR_ISM_E10value_typeEPSN_NS1_7vsmem_tEENKUlT_SL_SM_SN_E_clIS8_S8_S9_S9_EESK_S10_SL_SM_SN_EUlS10_E_NS1_11comp_targetILNS1_3genE10ELNS1_11target_archE1201ELNS1_3gpuE5ELNS1_3repE0EEENS1_48merge_mergepath_partition_config_static_selectorELNS0_4arch9wavefront6targetE1EEEvSM_
	.p2align	8
	.type	_ZN7rocprim17ROCPRIM_400000_NS6detail17trampoline_kernelINS0_14default_configENS1_38merge_sort_block_merge_config_selectorIlNS0_10empty_typeEEEZZNS1_27merge_sort_block_merge_implIS3_PlPS5_mZN2at6native12_GLOBAL__N_124unique_dim_cuda_templateIaEESt5tupleIJNSA_6TensorESF_SF_EERKSF_lbbbEUlllE_EE10hipError_tT0_T1_T2_jT3_P12ihipStream_tbPNSt15iterator_traitsISL_E10value_typeEPNSR_ISM_E10value_typeEPSN_NS1_7vsmem_tEENKUlT_SL_SM_SN_E_clIS8_S8_S9_S9_EESK_S10_SL_SM_SN_EUlS10_E_NS1_11comp_targetILNS1_3genE10ELNS1_11target_archE1201ELNS1_3gpuE5ELNS1_3repE0EEENS1_48merge_mergepath_partition_config_static_selectorELNS0_4arch9wavefront6targetE1EEEvSM_,@function
_ZN7rocprim17ROCPRIM_400000_NS6detail17trampoline_kernelINS0_14default_configENS1_38merge_sort_block_merge_config_selectorIlNS0_10empty_typeEEEZZNS1_27merge_sort_block_merge_implIS3_PlPS5_mZN2at6native12_GLOBAL__N_124unique_dim_cuda_templateIaEESt5tupleIJNSA_6TensorESF_SF_EERKSF_lbbbEUlllE_EE10hipError_tT0_T1_T2_jT3_P12ihipStream_tbPNSt15iterator_traitsISL_E10value_typeEPNSR_ISM_E10value_typeEPSN_NS1_7vsmem_tEENKUlT_SL_SM_SN_E_clIS8_S8_S9_S9_EESK_S10_SL_SM_SN_EUlS10_E_NS1_11comp_targetILNS1_3genE10ELNS1_11target_archE1201ELNS1_3gpuE5ELNS1_3repE0EEENS1_48merge_mergepath_partition_config_static_selectorELNS0_4arch9wavefront6targetE1EEEvSM_: ; @_ZN7rocprim17ROCPRIM_400000_NS6detail17trampoline_kernelINS0_14default_configENS1_38merge_sort_block_merge_config_selectorIlNS0_10empty_typeEEEZZNS1_27merge_sort_block_merge_implIS3_PlPS5_mZN2at6native12_GLOBAL__N_124unique_dim_cuda_templateIaEESt5tupleIJNSA_6TensorESF_SF_EERKSF_lbbbEUlllE_EE10hipError_tT0_T1_T2_jT3_P12ihipStream_tbPNSt15iterator_traitsISL_E10value_typeEPNSR_ISM_E10value_typeEPSN_NS1_7vsmem_tEENKUlT_SL_SM_SN_E_clIS8_S8_S9_S9_EESK_S10_SL_SM_SN_EUlS10_E_NS1_11comp_targetILNS1_3genE10ELNS1_11target_archE1201ELNS1_3gpuE5ELNS1_3repE0EEENS1_48merge_mergepath_partition_config_static_selectorELNS0_4arch9wavefront6targetE1EEEvSM_
; %bb.0:
	.section	.rodata,"a",@progbits
	.p2align	6, 0x0
	.amdhsa_kernel _ZN7rocprim17ROCPRIM_400000_NS6detail17trampoline_kernelINS0_14default_configENS1_38merge_sort_block_merge_config_selectorIlNS0_10empty_typeEEEZZNS1_27merge_sort_block_merge_implIS3_PlPS5_mZN2at6native12_GLOBAL__N_124unique_dim_cuda_templateIaEESt5tupleIJNSA_6TensorESF_SF_EERKSF_lbbbEUlllE_EE10hipError_tT0_T1_T2_jT3_P12ihipStream_tbPNSt15iterator_traitsISL_E10value_typeEPNSR_ISM_E10value_typeEPSN_NS1_7vsmem_tEENKUlT_SL_SM_SN_E_clIS8_S8_S9_S9_EESK_S10_SL_SM_SN_EUlS10_E_NS1_11comp_targetILNS1_3genE10ELNS1_11target_archE1201ELNS1_3gpuE5ELNS1_3repE0EEENS1_48merge_mergepath_partition_config_static_selectorELNS0_4arch9wavefront6targetE1EEEvSM_
		.amdhsa_group_segment_fixed_size 0
		.amdhsa_private_segment_fixed_size 0
		.amdhsa_kernarg_size 56
		.amdhsa_user_sgpr_count 2
		.amdhsa_user_sgpr_dispatch_ptr 0
		.amdhsa_user_sgpr_queue_ptr 0
		.amdhsa_user_sgpr_kernarg_segment_ptr 1
		.amdhsa_user_sgpr_dispatch_id 0
		.amdhsa_user_sgpr_kernarg_preload_length 0
		.amdhsa_user_sgpr_kernarg_preload_offset 0
		.amdhsa_user_sgpr_private_segment_size 0
		.amdhsa_uses_dynamic_stack 0
		.amdhsa_enable_private_segment 0
		.amdhsa_system_sgpr_workgroup_id_x 1
		.amdhsa_system_sgpr_workgroup_id_y 0
		.amdhsa_system_sgpr_workgroup_id_z 0
		.amdhsa_system_sgpr_workgroup_info 0
		.amdhsa_system_vgpr_workitem_id 0
		.amdhsa_next_free_vgpr 1
		.amdhsa_next_free_sgpr 0
		.amdhsa_accum_offset 4
		.amdhsa_reserve_vcc 0
		.amdhsa_float_round_mode_32 0
		.amdhsa_float_round_mode_16_64 0
		.amdhsa_float_denorm_mode_32 3
		.amdhsa_float_denorm_mode_16_64 3
		.amdhsa_dx10_clamp 1
		.amdhsa_ieee_mode 1
		.amdhsa_fp16_overflow 0
		.amdhsa_tg_split 0
		.amdhsa_exception_fp_ieee_invalid_op 0
		.amdhsa_exception_fp_denorm_src 0
		.amdhsa_exception_fp_ieee_div_zero 0
		.amdhsa_exception_fp_ieee_overflow 0
		.amdhsa_exception_fp_ieee_underflow 0
		.amdhsa_exception_fp_ieee_inexact 0
		.amdhsa_exception_int_div_zero 0
	.end_amdhsa_kernel
	.section	.text._ZN7rocprim17ROCPRIM_400000_NS6detail17trampoline_kernelINS0_14default_configENS1_38merge_sort_block_merge_config_selectorIlNS0_10empty_typeEEEZZNS1_27merge_sort_block_merge_implIS3_PlPS5_mZN2at6native12_GLOBAL__N_124unique_dim_cuda_templateIaEESt5tupleIJNSA_6TensorESF_SF_EERKSF_lbbbEUlllE_EE10hipError_tT0_T1_T2_jT3_P12ihipStream_tbPNSt15iterator_traitsISL_E10value_typeEPNSR_ISM_E10value_typeEPSN_NS1_7vsmem_tEENKUlT_SL_SM_SN_E_clIS8_S8_S9_S9_EESK_S10_SL_SM_SN_EUlS10_E_NS1_11comp_targetILNS1_3genE10ELNS1_11target_archE1201ELNS1_3gpuE5ELNS1_3repE0EEENS1_48merge_mergepath_partition_config_static_selectorELNS0_4arch9wavefront6targetE1EEEvSM_,"axG",@progbits,_ZN7rocprim17ROCPRIM_400000_NS6detail17trampoline_kernelINS0_14default_configENS1_38merge_sort_block_merge_config_selectorIlNS0_10empty_typeEEEZZNS1_27merge_sort_block_merge_implIS3_PlPS5_mZN2at6native12_GLOBAL__N_124unique_dim_cuda_templateIaEESt5tupleIJNSA_6TensorESF_SF_EERKSF_lbbbEUlllE_EE10hipError_tT0_T1_T2_jT3_P12ihipStream_tbPNSt15iterator_traitsISL_E10value_typeEPNSR_ISM_E10value_typeEPSN_NS1_7vsmem_tEENKUlT_SL_SM_SN_E_clIS8_S8_S9_S9_EESK_S10_SL_SM_SN_EUlS10_E_NS1_11comp_targetILNS1_3genE10ELNS1_11target_archE1201ELNS1_3gpuE5ELNS1_3repE0EEENS1_48merge_mergepath_partition_config_static_selectorELNS0_4arch9wavefront6targetE1EEEvSM_,comdat
.Lfunc_end273:
	.size	_ZN7rocprim17ROCPRIM_400000_NS6detail17trampoline_kernelINS0_14default_configENS1_38merge_sort_block_merge_config_selectorIlNS0_10empty_typeEEEZZNS1_27merge_sort_block_merge_implIS3_PlPS5_mZN2at6native12_GLOBAL__N_124unique_dim_cuda_templateIaEESt5tupleIJNSA_6TensorESF_SF_EERKSF_lbbbEUlllE_EE10hipError_tT0_T1_T2_jT3_P12ihipStream_tbPNSt15iterator_traitsISL_E10value_typeEPNSR_ISM_E10value_typeEPSN_NS1_7vsmem_tEENKUlT_SL_SM_SN_E_clIS8_S8_S9_S9_EESK_S10_SL_SM_SN_EUlS10_E_NS1_11comp_targetILNS1_3genE10ELNS1_11target_archE1201ELNS1_3gpuE5ELNS1_3repE0EEENS1_48merge_mergepath_partition_config_static_selectorELNS0_4arch9wavefront6targetE1EEEvSM_, .Lfunc_end273-_ZN7rocprim17ROCPRIM_400000_NS6detail17trampoline_kernelINS0_14default_configENS1_38merge_sort_block_merge_config_selectorIlNS0_10empty_typeEEEZZNS1_27merge_sort_block_merge_implIS3_PlPS5_mZN2at6native12_GLOBAL__N_124unique_dim_cuda_templateIaEESt5tupleIJNSA_6TensorESF_SF_EERKSF_lbbbEUlllE_EE10hipError_tT0_T1_T2_jT3_P12ihipStream_tbPNSt15iterator_traitsISL_E10value_typeEPNSR_ISM_E10value_typeEPSN_NS1_7vsmem_tEENKUlT_SL_SM_SN_E_clIS8_S8_S9_S9_EESK_S10_SL_SM_SN_EUlS10_E_NS1_11comp_targetILNS1_3genE10ELNS1_11target_archE1201ELNS1_3gpuE5ELNS1_3repE0EEENS1_48merge_mergepath_partition_config_static_selectorELNS0_4arch9wavefront6targetE1EEEvSM_
                                        ; -- End function
	.section	.AMDGPU.csdata,"",@progbits
; Kernel info:
; codeLenInByte = 0
; NumSgprs: 6
; NumVgprs: 0
; NumAgprs: 0
; TotalNumVgprs: 0
; ScratchSize: 0
; MemoryBound: 0
; FloatMode: 240
; IeeeMode: 1
; LDSByteSize: 0 bytes/workgroup (compile time only)
; SGPRBlocks: 0
; VGPRBlocks: 0
; NumSGPRsForWavesPerEU: 6
; NumVGPRsForWavesPerEU: 1
; AccumOffset: 4
; Occupancy: 8
; WaveLimiterHint : 0
; COMPUTE_PGM_RSRC2:SCRATCH_EN: 0
; COMPUTE_PGM_RSRC2:USER_SGPR: 2
; COMPUTE_PGM_RSRC2:TRAP_HANDLER: 0
; COMPUTE_PGM_RSRC2:TGID_X_EN: 1
; COMPUTE_PGM_RSRC2:TGID_Y_EN: 0
; COMPUTE_PGM_RSRC2:TGID_Z_EN: 0
; COMPUTE_PGM_RSRC2:TIDIG_COMP_CNT: 0
; COMPUTE_PGM_RSRC3_GFX90A:ACCUM_OFFSET: 0
; COMPUTE_PGM_RSRC3_GFX90A:TG_SPLIT: 0
	.section	.text._ZN7rocprim17ROCPRIM_400000_NS6detail17trampoline_kernelINS0_14default_configENS1_38merge_sort_block_merge_config_selectorIlNS0_10empty_typeEEEZZNS1_27merge_sort_block_merge_implIS3_PlPS5_mZN2at6native12_GLOBAL__N_124unique_dim_cuda_templateIaEESt5tupleIJNSA_6TensorESF_SF_EERKSF_lbbbEUlllE_EE10hipError_tT0_T1_T2_jT3_P12ihipStream_tbPNSt15iterator_traitsISL_E10value_typeEPNSR_ISM_E10value_typeEPSN_NS1_7vsmem_tEENKUlT_SL_SM_SN_E_clIS8_S8_S9_S9_EESK_S10_SL_SM_SN_EUlS10_E_NS1_11comp_targetILNS1_3genE5ELNS1_11target_archE942ELNS1_3gpuE9ELNS1_3repE0EEENS1_48merge_mergepath_partition_config_static_selectorELNS0_4arch9wavefront6targetE1EEEvSM_,"axG",@progbits,_ZN7rocprim17ROCPRIM_400000_NS6detail17trampoline_kernelINS0_14default_configENS1_38merge_sort_block_merge_config_selectorIlNS0_10empty_typeEEEZZNS1_27merge_sort_block_merge_implIS3_PlPS5_mZN2at6native12_GLOBAL__N_124unique_dim_cuda_templateIaEESt5tupleIJNSA_6TensorESF_SF_EERKSF_lbbbEUlllE_EE10hipError_tT0_T1_T2_jT3_P12ihipStream_tbPNSt15iterator_traitsISL_E10value_typeEPNSR_ISM_E10value_typeEPSN_NS1_7vsmem_tEENKUlT_SL_SM_SN_E_clIS8_S8_S9_S9_EESK_S10_SL_SM_SN_EUlS10_E_NS1_11comp_targetILNS1_3genE5ELNS1_11target_archE942ELNS1_3gpuE9ELNS1_3repE0EEENS1_48merge_mergepath_partition_config_static_selectorELNS0_4arch9wavefront6targetE1EEEvSM_,comdat
	.globl	_ZN7rocprim17ROCPRIM_400000_NS6detail17trampoline_kernelINS0_14default_configENS1_38merge_sort_block_merge_config_selectorIlNS0_10empty_typeEEEZZNS1_27merge_sort_block_merge_implIS3_PlPS5_mZN2at6native12_GLOBAL__N_124unique_dim_cuda_templateIaEESt5tupleIJNSA_6TensorESF_SF_EERKSF_lbbbEUlllE_EE10hipError_tT0_T1_T2_jT3_P12ihipStream_tbPNSt15iterator_traitsISL_E10value_typeEPNSR_ISM_E10value_typeEPSN_NS1_7vsmem_tEENKUlT_SL_SM_SN_E_clIS8_S8_S9_S9_EESK_S10_SL_SM_SN_EUlS10_E_NS1_11comp_targetILNS1_3genE5ELNS1_11target_archE942ELNS1_3gpuE9ELNS1_3repE0EEENS1_48merge_mergepath_partition_config_static_selectorELNS0_4arch9wavefront6targetE1EEEvSM_ ; -- Begin function _ZN7rocprim17ROCPRIM_400000_NS6detail17trampoline_kernelINS0_14default_configENS1_38merge_sort_block_merge_config_selectorIlNS0_10empty_typeEEEZZNS1_27merge_sort_block_merge_implIS3_PlPS5_mZN2at6native12_GLOBAL__N_124unique_dim_cuda_templateIaEESt5tupleIJNSA_6TensorESF_SF_EERKSF_lbbbEUlllE_EE10hipError_tT0_T1_T2_jT3_P12ihipStream_tbPNSt15iterator_traitsISL_E10value_typeEPNSR_ISM_E10value_typeEPSN_NS1_7vsmem_tEENKUlT_SL_SM_SN_E_clIS8_S8_S9_S9_EESK_S10_SL_SM_SN_EUlS10_E_NS1_11comp_targetILNS1_3genE5ELNS1_11target_archE942ELNS1_3gpuE9ELNS1_3repE0EEENS1_48merge_mergepath_partition_config_static_selectorELNS0_4arch9wavefront6targetE1EEEvSM_
	.p2align	8
	.type	_ZN7rocprim17ROCPRIM_400000_NS6detail17trampoline_kernelINS0_14default_configENS1_38merge_sort_block_merge_config_selectorIlNS0_10empty_typeEEEZZNS1_27merge_sort_block_merge_implIS3_PlPS5_mZN2at6native12_GLOBAL__N_124unique_dim_cuda_templateIaEESt5tupleIJNSA_6TensorESF_SF_EERKSF_lbbbEUlllE_EE10hipError_tT0_T1_T2_jT3_P12ihipStream_tbPNSt15iterator_traitsISL_E10value_typeEPNSR_ISM_E10value_typeEPSN_NS1_7vsmem_tEENKUlT_SL_SM_SN_E_clIS8_S8_S9_S9_EESK_S10_SL_SM_SN_EUlS10_E_NS1_11comp_targetILNS1_3genE5ELNS1_11target_archE942ELNS1_3gpuE9ELNS1_3repE0EEENS1_48merge_mergepath_partition_config_static_selectorELNS0_4arch9wavefront6targetE1EEEvSM_,@function
_ZN7rocprim17ROCPRIM_400000_NS6detail17trampoline_kernelINS0_14default_configENS1_38merge_sort_block_merge_config_selectorIlNS0_10empty_typeEEEZZNS1_27merge_sort_block_merge_implIS3_PlPS5_mZN2at6native12_GLOBAL__N_124unique_dim_cuda_templateIaEESt5tupleIJNSA_6TensorESF_SF_EERKSF_lbbbEUlllE_EE10hipError_tT0_T1_T2_jT3_P12ihipStream_tbPNSt15iterator_traitsISL_E10value_typeEPNSR_ISM_E10value_typeEPSN_NS1_7vsmem_tEENKUlT_SL_SM_SN_E_clIS8_S8_S9_S9_EESK_S10_SL_SM_SN_EUlS10_E_NS1_11comp_targetILNS1_3genE5ELNS1_11target_archE942ELNS1_3gpuE9ELNS1_3repE0EEENS1_48merge_mergepath_partition_config_static_selectorELNS0_4arch9wavefront6targetE1EEEvSM_: ; @_ZN7rocprim17ROCPRIM_400000_NS6detail17trampoline_kernelINS0_14default_configENS1_38merge_sort_block_merge_config_selectorIlNS0_10empty_typeEEEZZNS1_27merge_sort_block_merge_implIS3_PlPS5_mZN2at6native12_GLOBAL__N_124unique_dim_cuda_templateIaEESt5tupleIJNSA_6TensorESF_SF_EERKSF_lbbbEUlllE_EE10hipError_tT0_T1_T2_jT3_P12ihipStream_tbPNSt15iterator_traitsISL_E10value_typeEPNSR_ISM_E10value_typeEPSN_NS1_7vsmem_tEENKUlT_SL_SM_SN_E_clIS8_S8_S9_S9_EESK_S10_SL_SM_SN_EUlS10_E_NS1_11comp_targetILNS1_3genE5ELNS1_11target_archE942ELNS1_3gpuE9ELNS1_3repE0EEENS1_48merge_mergepath_partition_config_static_selectorELNS0_4arch9wavefront6targetE1EEEvSM_
; %bb.0:
	s_load_dword s3, s[0:1], 0x0
	v_lshl_or_b32 v0, s2, 7, v0
	s_waitcnt lgkmcnt(0)
	v_cmp_gt_u32_e32 vcc, s3, v0
	s_and_saveexec_b64 s[2:3], vcc
	s_cbranch_execz .LBB274_12
; %bb.1:
	s_load_dwordx4 s[12:15], s[0:1], 0x8
	s_load_dwordx8 s[4:11], s[0:1], 0x18
	v_mov_b32_e32 v5, 0
	v_mov_b32_e32 v7, v5
	s_waitcnt lgkmcnt(0)
	v_mov_b32_e32 v1, s12
	v_alignbit_b32 v1, s13, v1, 9
	v_and_b32_e32 v1, -2, v1
	v_add_u32_e32 v2, -1, v1
	v_sub_u32_e32 v1, 0, v1
	v_and_b32_e32 v4, v0, v1
	v_lshlrev_b64 v[8:9], 10, v[4:5]
	v_mov_b32_e32 v1, s15
	v_cmp_lt_u64_e32 vcc, s[14:15], v[8:9]
	v_mov_b32_e32 v4, s14
	v_and_b32_e32 v6, v2, v0
	v_cndmask_b32_e32 v3, v9, v1, vcc
	v_cndmask_b32_e32 v2, v8, v4, vcc
	v_lshl_add_u64 v[8:9], v[8:9], 0, s[12:13]
	v_cmp_lt_u64_e32 vcc, s[14:15], v[8:9]
	s_nop 1
	v_cndmask_b32_e32 v11, v9, v1, vcc
	v_cndmask_b32_e32 v10, v8, v4, vcc
	v_lshl_add_u64 v[8:9], v[10:11], 0, s[12:13]
	v_cmp_lt_u64_e32 vcc, s[14:15], v[8:9]
	s_nop 1
	v_cndmask_b32_e32 v14, v8, v4, vcc
	v_cndmask_b32_e32 v1, v9, v1, vcc
	v_sub_co_u32_e32 v8, vcc, v14, v2
	v_lshlrev_b64 v[4:5], 10, v[6:7]
	s_nop 0
	v_subb_co_u32_e32 v9, vcc, v1, v3, vcc
	v_cmp_lt_u64_e32 vcc, v[8:9], v[4:5]
	s_nop 1
	v_cndmask_b32_e32 v13, v5, v9, vcc
	v_cndmask_b32_e32 v12, v4, v8, vcc
	v_sub_co_u32_e32 v6, vcc, v10, v2
	s_nop 1
	v_subb_co_u32_e32 v7, vcc, v11, v3, vcc
	v_sub_co_u32_e32 v4, vcc, v10, v14
	s_nop 1
	v_subb_co_u32_e32 v5, vcc, v11, v1, vcc
	v_lshl_add_u64 v[4:5], v[12:13], 0, v[4:5]
	v_cmp_gt_u64_e32 vcc, v[4:5], v[12:13]
	s_nop 1
	v_cndmask_b32_e64 v5, v5, 0, vcc
	v_cndmask_b32_e64 v4, v4, 0, vcc
	v_cmp_lt_u64_e32 vcc, v[12:13], v[6:7]
	s_nop 1
	v_cndmask_b32_e32 v7, v7, v13, vcc
	v_cndmask_b32_e32 v6, v6, v12, vcc
	v_cmp_lt_u64_e32 vcc, v[4:5], v[6:7]
	s_and_saveexec_b64 s[2:3], vcc
	s_cbranch_execz .LBB274_11
; %bb.2:
	v_cmp_gt_i64_e64 s[0:1], s[6:7], 0
	v_lshl_add_u64 v[10:11], v[10:11], 3, s[4:5]
	v_lshl_add_u64 v[8:9], v[2:3], 3, s[4:5]
	v_cndmask_b32_e64 v1, 0, 1, s[0:1]
	v_lshl_add_u64 v[10:11], v[12:13], 3, v[10:11]
	s_mov_b64 s[4:5], 0
	v_cmp_ne_u32_e64 s[0:1], 1, v1
	s_branch .LBB274_5
.LBB274_3:                              ;   in Loop: Header=BB274_5 Depth=1
	s_or_b64 exec, exec, s[14:15]
.LBB274_4:                              ;   in Loop: Header=BB274_5 Depth=1
	v_lshl_add_u64 v[14:15], v[12:13], 0, 1
	v_cndmask_b32_e64 v7, v7, v13, s[12:13]
	v_cndmask_b32_e64 v6, v6, v12, s[12:13]
	;; [unrolled: 1-line block ×4, first 2 shown]
	v_cmp_ge_u64_e32 vcc, v[4:5], v[6:7]
	s_or_b64 s[4:5], vcc, s[4:5]
	s_andn2_b64 exec, exec, s[4:5]
	s_cbranch_execz .LBB274_10
.LBB274_5:                              ; =>This Loop Header: Depth=1
                                        ;     Child Loop BB274_8 Depth 2
	v_lshl_add_u64 v[12:13], v[6:7], 0, v[4:5]
	v_lshrrev_b64 v[12:13], 1, v[12:13]
	s_and_b64 vcc, exec, s[0:1]
	s_mov_b64 s[12:13], 0
	s_cbranch_vccnz .LBB274_4
; %bb.6:                                ;   in Loop: Header=BB274_5 Depth=1
	v_not_b32_e32 v15, v13
	v_not_b32_e32 v14, v12
	v_lshl_add_u64 v[14:15], v[14:15], 3, v[10:11]
	v_lshl_add_u64 v[16:17], v[12:13], 3, v[8:9]
	global_load_dwordx2 v[14:15], v[14:15], off
	v_mov_b64_e32 v[18:19], s[8:9]
	global_load_dwordx2 v[16:17], v[16:17], off
	s_mov_b64 s[14:15], 0
                                        ; implicit-def: $sgpr12_sgpr13
                                        ; implicit-def: $sgpr16_sgpr17
                                        ; implicit-def: $sgpr18_sgpr19
                                        ; implicit-def: $sgpr20_sgpr21
                                        ; implicit-def: $sgpr24_sgpr25
	s_waitcnt vmcnt(1)
	v_mul_lo_u32 v1, v14, s7
	v_mul_lo_u32 v20, v15, s6
	v_mad_u64_u32 v[14:15], s[22:23], v14, s6, v[18:19]
	s_waitcnt vmcnt(0)
	v_mul_lo_u32 v21, v16, s7
	v_mul_lo_u32 v22, v17, s6
	v_mad_u64_u32 v[16:17], s[22:23], v16, s6, v[18:19]
	v_add3_u32 v15, v20, v15, v1
	v_add3_u32 v17, v22, v17, v21
	s_mov_b64 s[22:23], s[6:7]
	s_branch .LBB274_8
.LBB274_7:                              ;   in Loop: Header=BB274_8 Depth=2
	s_or_b64 exec, exec, s[26:27]
	s_and_b64 s[26:27], exec, s[16:17]
	s_or_b64 s[14:15], s[26:27], s[14:15]
	s_andn2_b64 s[24:25], s[24:25], exec
	s_and_b64 s[26:27], s[18:19], exec
	s_or_b64 s[24:25], s[24:25], s[26:27]
	s_andn2_b64 s[12:13], s[12:13], exec
	s_and_b64 s[26:27], s[20:21], exec
	s_or_b64 s[12:13], s[12:13], s[26:27]
	s_andn2_b64 exec, exec, s[14:15]
	s_cbranch_execz .LBB274_3
.LBB274_8:                              ;   Parent Loop BB274_5 Depth=1
                                        ; =>  This Inner Loop Header: Depth=2
	global_load_ubyte v1, v[14:15], off
	global_load_ubyte v18, v[16:17], off
	s_andn2_b64 s[20:21], s[20:21], exec
	s_andn2_b64 s[18:19], s[18:19], exec
	s_or_b64 s[16:17], s[16:17], exec
	s_waitcnt vmcnt(0)
	v_cmp_le_i16_sdwa s[28:29], sext(v1), sext(v18) src0_sel:BYTE_0 src1_sel:BYTE_0
	v_cmp_lt_i16_sdwa s[26:27], sext(v1), sext(v18) src0_sel:BYTE_0 src1_sel:BYTE_0
	s_and_b64 s[28:29], s[28:29], s[24:25]
	s_or_b64 s[28:29], s[26:27], s[28:29]
	s_and_b64 s[26:27], s[28:29], exec
	v_cmp_eq_u16_sdwa s[30:31], v1, v18 src0_sel:BYTE_0 src1_sel:BYTE_0
	s_or_b64 s[20:21], s[20:21], s[26:27]
	s_and_saveexec_b64 s[26:27], s[30:31]
	s_cbranch_execz .LBB274_7
; %bb.9:                                ;   in Loop: Header=BB274_8 Depth=2
	s_add_u32 s22, s22, -1
	s_addc_u32 s23, s23, -1
	s_cmp_eq_u64 s[22:23], 0
	s_cselect_b64 s[24:25], -1, 0
	s_andn2_b64 s[18:19], s[18:19], exec
	s_and_b64 s[28:29], s[28:29], exec
	s_andn2_b64 s[16:17], s[16:17], exec
	s_and_b64 s[24:25], s[24:25], exec
	v_lshl_add_u64 v[14:15], v[14:15], 0, 1
	v_lshl_add_u64 v[16:17], v[16:17], 0, 1
	s_andn2_b64 s[20:21], s[20:21], exec
	s_or_b64 s[18:19], s[18:19], s[28:29]
	s_or_b64 s[16:17], s[16:17], s[24:25]
                                        ; implicit-def: $sgpr24_sgpr25
	s_branch .LBB274_7
.LBB274_10:
	s_or_b64 exec, exec, s[4:5]
.LBB274_11:
	s_or_b64 exec, exec, s[2:3]
	v_mov_b32_e32 v6, s10
	v_mov_b32_e32 v7, s11
	;; [unrolled: 1-line block ×3, first 2 shown]
	v_lshl_add_u64 v[2:3], v[4:5], 0, v[2:3]
	v_lshl_add_u64 v[0:1], v[0:1], 3, v[6:7]
	global_store_dwordx2 v[0:1], v[2:3], off
.LBB274_12:
	s_endpgm
	.section	.rodata,"a",@progbits
	.p2align	6, 0x0
	.amdhsa_kernel _ZN7rocprim17ROCPRIM_400000_NS6detail17trampoline_kernelINS0_14default_configENS1_38merge_sort_block_merge_config_selectorIlNS0_10empty_typeEEEZZNS1_27merge_sort_block_merge_implIS3_PlPS5_mZN2at6native12_GLOBAL__N_124unique_dim_cuda_templateIaEESt5tupleIJNSA_6TensorESF_SF_EERKSF_lbbbEUlllE_EE10hipError_tT0_T1_T2_jT3_P12ihipStream_tbPNSt15iterator_traitsISL_E10value_typeEPNSR_ISM_E10value_typeEPSN_NS1_7vsmem_tEENKUlT_SL_SM_SN_E_clIS8_S8_S9_S9_EESK_S10_SL_SM_SN_EUlS10_E_NS1_11comp_targetILNS1_3genE5ELNS1_11target_archE942ELNS1_3gpuE9ELNS1_3repE0EEENS1_48merge_mergepath_partition_config_static_selectorELNS0_4arch9wavefront6targetE1EEEvSM_
		.amdhsa_group_segment_fixed_size 0
		.amdhsa_private_segment_fixed_size 0
		.amdhsa_kernarg_size 56
		.amdhsa_user_sgpr_count 2
		.amdhsa_user_sgpr_dispatch_ptr 0
		.amdhsa_user_sgpr_queue_ptr 0
		.amdhsa_user_sgpr_kernarg_segment_ptr 1
		.amdhsa_user_sgpr_dispatch_id 0
		.amdhsa_user_sgpr_kernarg_preload_length 0
		.amdhsa_user_sgpr_kernarg_preload_offset 0
		.amdhsa_user_sgpr_private_segment_size 0
		.amdhsa_uses_dynamic_stack 0
		.amdhsa_enable_private_segment 0
		.amdhsa_system_sgpr_workgroup_id_x 1
		.amdhsa_system_sgpr_workgroup_id_y 0
		.amdhsa_system_sgpr_workgroup_id_z 0
		.amdhsa_system_sgpr_workgroup_info 0
		.amdhsa_system_vgpr_workitem_id 0
		.amdhsa_next_free_vgpr 23
		.amdhsa_next_free_sgpr 32
		.amdhsa_accum_offset 24
		.amdhsa_reserve_vcc 1
		.amdhsa_float_round_mode_32 0
		.amdhsa_float_round_mode_16_64 0
		.amdhsa_float_denorm_mode_32 3
		.amdhsa_float_denorm_mode_16_64 3
		.amdhsa_dx10_clamp 1
		.amdhsa_ieee_mode 1
		.amdhsa_fp16_overflow 0
		.amdhsa_tg_split 0
		.amdhsa_exception_fp_ieee_invalid_op 0
		.amdhsa_exception_fp_denorm_src 0
		.amdhsa_exception_fp_ieee_div_zero 0
		.amdhsa_exception_fp_ieee_overflow 0
		.amdhsa_exception_fp_ieee_underflow 0
		.amdhsa_exception_fp_ieee_inexact 0
		.amdhsa_exception_int_div_zero 0
	.end_amdhsa_kernel
	.section	.text._ZN7rocprim17ROCPRIM_400000_NS6detail17trampoline_kernelINS0_14default_configENS1_38merge_sort_block_merge_config_selectorIlNS0_10empty_typeEEEZZNS1_27merge_sort_block_merge_implIS3_PlPS5_mZN2at6native12_GLOBAL__N_124unique_dim_cuda_templateIaEESt5tupleIJNSA_6TensorESF_SF_EERKSF_lbbbEUlllE_EE10hipError_tT0_T1_T2_jT3_P12ihipStream_tbPNSt15iterator_traitsISL_E10value_typeEPNSR_ISM_E10value_typeEPSN_NS1_7vsmem_tEENKUlT_SL_SM_SN_E_clIS8_S8_S9_S9_EESK_S10_SL_SM_SN_EUlS10_E_NS1_11comp_targetILNS1_3genE5ELNS1_11target_archE942ELNS1_3gpuE9ELNS1_3repE0EEENS1_48merge_mergepath_partition_config_static_selectorELNS0_4arch9wavefront6targetE1EEEvSM_,"axG",@progbits,_ZN7rocprim17ROCPRIM_400000_NS6detail17trampoline_kernelINS0_14default_configENS1_38merge_sort_block_merge_config_selectorIlNS0_10empty_typeEEEZZNS1_27merge_sort_block_merge_implIS3_PlPS5_mZN2at6native12_GLOBAL__N_124unique_dim_cuda_templateIaEESt5tupleIJNSA_6TensorESF_SF_EERKSF_lbbbEUlllE_EE10hipError_tT0_T1_T2_jT3_P12ihipStream_tbPNSt15iterator_traitsISL_E10value_typeEPNSR_ISM_E10value_typeEPSN_NS1_7vsmem_tEENKUlT_SL_SM_SN_E_clIS8_S8_S9_S9_EESK_S10_SL_SM_SN_EUlS10_E_NS1_11comp_targetILNS1_3genE5ELNS1_11target_archE942ELNS1_3gpuE9ELNS1_3repE0EEENS1_48merge_mergepath_partition_config_static_selectorELNS0_4arch9wavefront6targetE1EEEvSM_,comdat
.Lfunc_end274:
	.size	_ZN7rocprim17ROCPRIM_400000_NS6detail17trampoline_kernelINS0_14default_configENS1_38merge_sort_block_merge_config_selectorIlNS0_10empty_typeEEEZZNS1_27merge_sort_block_merge_implIS3_PlPS5_mZN2at6native12_GLOBAL__N_124unique_dim_cuda_templateIaEESt5tupleIJNSA_6TensorESF_SF_EERKSF_lbbbEUlllE_EE10hipError_tT0_T1_T2_jT3_P12ihipStream_tbPNSt15iterator_traitsISL_E10value_typeEPNSR_ISM_E10value_typeEPSN_NS1_7vsmem_tEENKUlT_SL_SM_SN_E_clIS8_S8_S9_S9_EESK_S10_SL_SM_SN_EUlS10_E_NS1_11comp_targetILNS1_3genE5ELNS1_11target_archE942ELNS1_3gpuE9ELNS1_3repE0EEENS1_48merge_mergepath_partition_config_static_selectorELNS0_4arch9wavefront6targetE1EEEvSM_, .Lfunc_end274-_ZN7rocprim17ROCPRIM_400000_NS6detail17trampoline_kernelINS0_14default_configENS1_38merge_sort_block_merge_config_selectorIlNS0_10empty_typeEEEZZNS1_27merge_sort_block_merge_implIS3_PlPS5_mZN2at6native12_GLOBAL__N_124unique_dim_cuda_templateIaEESt5tupleIJNSA_6TensorESF_SF_EERKSF_lbbbEUlllE_EE10hipError_tT0_T1_T2_jT3_P12ihipStream_tbPNSt15iterator_traitsISL_E10value_typeEPNSR_ISM_E10value_typeEPSN_NS1_7vsmem_tEENKUlT_SL_SM_SN_E_clIS8_S8_S9_S9_EESK_S10_SL_SM_SN_EUlS10_E_NS1_11comp_targetILNS1_3genE5ELNS1_11target_archE942ELNS1_3gpuE9ELNS1_3repE0EEENS1_48merge_mergepath_partition_config_static_selectorELNS0_4arch9wavefront6targetE1EEEvSM_
                                        ; -- End function
	.section	.AMDGPU.csdata,"",@progbits
; Kernel info:
; codeLenInByte = 796
; NumSgprs: 38
; NumVgprs: 23
; NumAgprs: 0
; TotalNumVgprs: 23
; ScratchSize: 0
; MemoryBound: 0
; FloatMode: 240
; IeeeMode: 1
; LDSByteSize: 0 bytes/workgroup (compile time only)
; SGPRBlocks: 4
; VGPRBlocks: 2
; NumSGPRsForWavesPerEU: 38
; NumVGPRsForWavesPerEU: 23
; AccumOffset: 24
; Occupancy: 8
; WaveLimiterHint : 0
; COMPUTE_PGM_RSRC2:SCRATCH_EN: 0
; COMPUTE_PGM_RSRC2:USER_SGPR: 2
; COMPUTE_PGM_RSRC2:TRAP_HANDLER: 0
; COMPUTE_PGM_RSRC2:TGID_X_EN: 1
; COMPUTE_PGM_RSRC2:TGID_Y_EN: 0
; COMPUTE_PGM_RSRC2:TGID_Z_EN: 0
; COMPUTE_PGM_RSRC2:TIDIG_COMP_CNT: 0
; COMPUTE_PGM_RSRC3_GFX90A:ACCUM_OFFSET: 5
; COMPUTE_PGM_RSRC3_GFX90A:TG_SPLIT: 0
	.section	.text._ZN7rocprim17ROCPRIM_400000_NS6detail17trampoline_kernelINS0_14default_configENS1_38merge_sort_block_merge_config_selectorIlNS0_10empty_typeEEEZZNS1_27merge_sort_block_merge_implIS3_PlPS5_mZN2at6native12_GLOBAL__N_124unique_dim_cuda_templateIaEESt5tupleIJNSA_6TensorESF_SF_EERKSF_lbbbEUlllE_EE10hipError_tT0_T1_T2_jT3_P12ihipStream_tbPNSt15iterator_traitsISL_E10value_typeEPNSR_ISM_E10value_typeEPSN_NS1_7vsmem_tEENKUlT_SL_SM_SN_E_clIS8_S8_S9_S9_EESK_S10_SL_SM_SN_EUlS10_E_NS1_11comp_targetILNS1_3genE4ELNS1_11target_archE910ELNS1_3gpuE8ELNS1_3repE0EEENS1_48merge_mergepath_partition_config_static_selectorELNS0_4arch9wavefront6targetE1EEEvSM_,"axG",@progbits,_ZN7rocprim17ROCPRIM_400000_NS6detail17trampoline_kernelINS0_14default_configENS1_38merge_sort_block_merge_config_selectorIlNS0_10empty_typeEEEZZNS1_27merge_sort_block_merge_implIS3_PlPS5_mZN2at6native12_GLOBAL__N_124unique_dim_cuda_templateIaEESt5tupleIJNSA_6TensorESF_SF_EERKSF_lbbbEUlllE_EE10hipError_tT0_T1_T2_jT3_P12ihipStream_tbPNSt15iterator_traitsISL_E10value_typeEPNSR_ISM_E10value_typeEPSN_NS1_7vsmem_tEENKUlT_SL_SM_SN_E_clIS8_S8_S9_S9_EESK_S10_SL_SM_SN_EUlS10_E_NS1_11comp_targetILNS1_3genE4ELNS1_11target_archE910ELNS1_3gpuE8ELNS1_3repE0EEENS1_48merge_mergepath_partition_config_static_selectorELNS0_4arch9wavefront6targetE1EEEvSM_,comdat
	.globl	_ZN7rocprim17ROCPRIM_400000_NS6detail17trampoline_kernelINS0_14default_configENS1_38merge_sort_block_merge_config_selectorIlNS0_10empty_typeEEEZZNS1_27merge_sort_block_merge_implIS3_PlPS5_mZN2at6native12_GLOBAL__N_124unique_dim_cuda_templateIaEESt5tupleIJNSA_6TensorESF_SF_EERKSF_lbbbEUlllE_EE10hipError_tT0_T1_T2_jT3_P12ihipStream_tbPNSt15iterator_traitsISL_E10value_typeEPNSR_ISM_E10value_typeEPSN_NS1_7vsmem_tEENKUlT_SL_SM_SN_E_clIS8_S8_S9_S9_EESK_S10_SL_SM_SN_EUlS10_E_NS1_11comp_targetILNS1_3genE4ELNS1_11target_archE910ELNS1_3gpuE8ELNS1_3repE0EEENS1_48merge_mergepath_partition_config_static_selectorELNS0_4arch9wavefront6targetE1EEEvSM_ ; -- Begin function _ZN7rocprim17ROCPRIM_400000_NS6detail17trampoline_kernelINS0_14default_configENS1_38merge_sort_block_merge_config_selectorIlNS0_10empty_typeEEEZZNS1_27merge_sort_block_merge_implIS3_PlPS5_mZN2at6native12_GLOBAL__N_124unique_dim_cuda_templateIaEESt5tupleIJNSA_6TensorESF_SF_EERKSF_lbbbEUlllE_EE10hipError_tT0_T1_T2_jT3_P12ihipStream_tbPNSt15iterator_traitsISL_E10value_typeEPNSR_ISM_E10value_typeEPSN_NS1_7vsmem_tEENKUlT_SL_SM_SN_E_clIS8_S8_S9_S9_EESK_S10_SL_SM_SN_EUlS10_E_NS1_11comp_targetILNS1_3genE4ELNS1_11target_archE910ELNS1_3gpuE8ELNS1_3repE0EEENS1_48merge_mergepath_partition_config_static_selectorELNS0_4arch9wavefront6targetE1EEEvSM_
	.p2align	8
	.type	_ZN7rocprim17ROCPRIM_400000_NS6detail17trampoline_kernelINS0_14default_configENS1_38merge_sort_block_merge_config_selectorIlNS0_10empty_typeEEEZZNS1_27merge_sort_block_merge_implIS3_PlPS5_mZN2at6native12_GLOBAL__N_124unique_dim_cuda_templateIaEESt5tupleIJNSA_6TensorESF_SF_EERKSF_lbbbEUlllE_EE10hipError_tT0_T1_T2_jT3_P12ihipStream_tbPNSt15iterator_traitsISL_E10value_typeEPNSR_ISM_E10value_typeEPSN_NS1_7vsmem_tEENKUlT_SL_SM_SN_E_clIS8_S8_S9_S9_EESK_S10_SL_SM_SN_EUlS10_E_NS1_11comp_targetILNS1_3genE4ELNS1_11target_archE910ELNS1_3gpuE8ELNS1_3repE0EEENS1_48merge_mergepath_partition_config_static_selectorELNS0_4arch9wavefront6targetE1EEEvSM_,@function
_ZN7rocprim17ROCPRIM_400000_NS6detail17trampoline_kernelINS0_14default_configENS1_38merge_sort_block_merge_config_selectorIlNS0_10empty_typeEEEZZNS1_27merge_sort_block_merge_implIS3_PlPS5_mZN2at6native12_GLOBAL__N_124unique_dim_cuda_templateIaEESt5tupleIJNSA_6TensorESF_SF_EERKSF_lbbbEUlllE_EE10hipError_tT0_T1_T2_jT3_P12ihipStream_tbPNSt15iterator_traitsISL_E10value_typeEPNSR_ISM_E10value_typeEPSN_NS1_7vsmem_tEENKUlT_SL_SM_SN_E_clIS8_S8_S9_S9_EESK_S10_SL_SM_SN_EUlS10_E_NS1_11comp_targetILNS1_3genE4ELNS1_11target_archE910ELNS1_3gpuE8ELNS1_3repE0EEENS1_48merge_mergepath_partition_config_static_selectorELNS0_4arch9wavefront6targetE1EEEvSM_: ; @_ZN7rocprim17ROCPRIM_400000_NS6detail17trampoline_kernelINS0_14default_configENS1_38merge_sort_block_merge_config_selectorIlNS0_10empty_typeEEEZZNS1_27merge_sort_block_merge_implIS3_PlPS5_mZN2at6native12_GLOBAL__N_124unique_dim_cuda_templateIaEESt5tupleIJNSA_6TensorESF_SF_EERKSF_lbbbEUlllE_EE10hipError_tT0_T1_T2_jT3_P12ihipStream_tbPNSt15iterator_traitsISL_E10value_typeEPNSR_ISM_E10value_typeEPSN_NS1_7vsmem_tEENKUlT_SL_SM_SN_E_clIS8_S8_S9_S9_EESK_S10_SL_SM_SN_EUlS10_E_NS1_11comp_targetILNS1_3genE4ELNS1_11target_archE910ELNS1_3gpuE8ELNS1_3repE0EEENS1_48merge_mergepath_partition_config_static_selectorELNS0_4arch9wavefront6targetE1EEEvSM_
; %bb.0:
	.section	.rodata,"a",@progbits
	.p2align	6, 0x0
	.amdhsa_kernel _ZN7rocprim17ROCPRIM_400000_NS6detail17trampoline_kernelINS0_14default_configENS1_38merge_sort_block_merge_config_selectorIlNS0_10empty_typeEEEZZNS1_27merge_sort_block_merge_implIS3_PlPS5_mZN2at6native12_GLOBAL__N_124unique_dim_cuda_templateIaEESt5tupleIJNSA_6TensorESF_SF_EERKSF_lbbbEUlllE_EE10hipError_tT0_T1_T2_jT3_P12ihipStream_tbPNSt15iterator_traitsISL_E10value_typeEPNSR_ISM_E10value_typeEPSN_NS1_7vsmem_tEENKUlT_SL_SM_SN_E_clIS8_S8_S9_S9_EESK_S10_SL_SM_SN_EUlS10_E_NS1_11comp_targetILNS1_3genE4ELNS1_11target_archE910ELNS1_3gpuE8ELNS1_3repE0EEENS1_48merge_mergepath_partition_config_static_selectorELNS0_4arch9wavefront6targetE1EEEvSM_
		.amdhsa_group_segment_fixed_size 0
		.amdhsa_private_segment_fixed_size 0
		.amdhsa_kernarg_size 56
		.amdhsa_user_sgpr_count 2
		.amdhsa_user_sgpr_dispatch_ptr 0
		.amdhsa_user_sgpr_queue_ptr 0
		.amdhsa_user_sgpr_kernarg_segment_ptr 1
		.amdhsa_user_sgpr_dispatch_id 0
		.amdhsa_user_sgpr_kernarg_preload_length 0
		.amdhsa_user_sgpr_kernarg_preload_offset 0
		.amdhsa_user_sgpr_private_segment_size 0
		.amdhsa_uses_dynamic_stack 0
		.amdhsa_enable_private_segment 0
		.amdhsa_system_sgpr_workgroup_id_x 1
		.amdhsa_system_sgpr_workgroup_id_y 0
		.amdhsa_system_sgpr_workgroup_id_z 0
		.amdhsa_system_sgpr_workgroup_info 0
		.amdhsa_system_vgpr_workitem_id 0
		.amdhsa_next_free_vgpr 1
		.amdhsa_next_free_sgpr 0
		.amdhsa_accum_offset 4
		.amdhsa_reserve_vcc 0
		.amdhsa_float_round_mode_32 0
		.amdhsa_float_round_mode_16_64 0
		.amdhsa_float_denorm_mode_32 3
		.amdhsa_float_denorm_mode_16_64 3
		.amdhsa_dx10_clamp 1
		.amdhsa_ieee_mode 1
		.amdhsa_fp16_overflow 0
		.amdhsa_tg_split 0
		.amdhsa_exception_fp_ieee_invalid_op 0
		.amdhsa_exception_fp_denorm_src 0
		.amdhsa_exception_fp_ieee_div_zero 0
		.amdhsa_exception_fp_ieee_overflow 0
		.amdhsa_exception_fp_ieee_underflow 0
		.amdhsa_exception_fp_ieee_inexact 0
		.amdhsa_exception_int_div_zero 0
	.end_amdhsa_kernel
	.section	.text._ZN7rocprim17ROCPRIM_400000_NS6detail17trampoline_kernelINS0_14default_configENS1_38merge_sort_block_merge_config_selectorIlNS0_10empty_typeEEEZZNS1_27merge_sort_block_merge_implIS3_PlPS5_mZN2at6native12_GLOBAL__N_124unique_dim_cuda_templateIaEESt5tupleIJNSA_6TensorESF_SF_EERKSF_lbbbEUlllE_EE10hipError_tT0_T1_T2_jT3_P12ihipStream_tbPNSt15iterator_traitsISL_E10value_typeEPNSR_ISM_E10value_typeEPSN_NS1_7vsmem_tEENKUlT_SL_SM_SN_E_clIS8_S8_S9_S9_EESK_S10_SL_SM_SN_EUlS10_E_NS1_11comp_targetILNS1_3genE4ELNS1_11target_archE910ELNS1_3gpuE8ELNS1_3repE0EEENS1_48merge_mergepath_partition_config_static_selectorELNS0_4arch9wavefront6targetE1EEEvSM_,"axG",@progbits,_ZN7rocprim17ROCPRIM_400000_NS6detail17trampoline_kernelINS0_14default_configENS1_38merge_sort_block_merge_config_selectorIlNS0_10empty_typeEEEZZNS1_27merge_sort_block_merge_implIS3_PlPS5_mZN2at6native12_GLOBAL__N_124unique_dim_cuda_templateIaEESt5tupleIJNSA_6TensorESF_SF_EERKSF_lbbbEUlllE_EE10hipError_tT0_T1_T2_jT3_P12ihipStream_tbPNSt15iterator_traitsISL_E10value_typeEPNSR_ISM_E10value_typeEPSN_NS1_7vsmem_tEENKUlT_SL_SM_SN_E_clIS8_S8_S9_S9_EESK_S10_SL_SM_SN_EUlS10_E_NS1_11comp_targetILNS1_3genE4ELNS1_11target_archE910ELNS1_3gpuE8ELNS1_3repE0EEENS1_48merge_mergepath_partition_config_static_selectorELNS0_4arch9wavefront6targetE1EEEvSM_,comdat
.Lfunc_end275:
	.size	_ZN7rocprim17ROCPRIM_400000_NS6detail17trampoline_kernelINS0_14default_configENS1_38merge_sort_block_merge_config_selectorIlNS0_10empty_typeEEEZZNS1_27merge_sort_block_merge_implIS3_PlPS5_mZN2at6native12_GLOBAL__N_124unique_dim_cuda_templateIaEESt5tupleIJNSA_6TensorESF_SF_EERKSF_lbbbEUlllE_EE10hipError_tT0_T1_T2_jT3_P12ihipStream_tbPNSt15iterator_traitsISL_E10value_typeEPNSR_ISM_E10value_typeEPSN_NS1_7vsmem_tEENKUlT_SL_SM_SN_E_clIS8_S8_S9_S9_EESK_S10_SL_SM_SN_EUlS10_E_NS1_11comp_targetILNS1_3genE4ELNS1_11target_archE910ELNS1_3gpuE8ELNS1_3repE0EEENS1_48merge_mergepath_partition_config_static_selectorELNS0_4arch9wavefront6targetE1EEEvSM_, .Lfunc_end275-_ZN7rocprim17ROCPRIM_400000_NS6detail17trampoline_kernelINS0_14default_configENS1_38merge_sort_block_merge_config_selectorIlNS0_10empty_typeEEEZZNS1_27merge_sort_block_merge_implIS3_PlPS5_mZN2at6native12_GLOBAL__N_124unique_dim_cuda_templateIaEESt5tupleIJNSA_6TensorESF_SF_EERKSF_lbbbEUlllE_EE10hipError_tT0_T1_T2_jT3_P12ihipStream_tbPNSt15iterator_traitsISL_E10value_typeEPNSR_ISM_E10value_typeEPSN_NS1_7vsmem_tEENKUlT_SL_SM_SN_E_clIS8_S8_S9_S9_EESK_S10_SL_SM_SN_EUlS10_E_NS1_11comp_targetILNS1_3genE4ELNS1_11target_archE910ELNS1_3gpuE8ELNS1_3repE0EEENS1_48merge_mergepath_partition_config_static_selectorELNS0_4arch9wavefront6targetE1EEEvSM_
                                        ; -- End function
	.section	.AMDGPU.csdata,"",@progbits
; Kernel info:
; codeLenInByte = 0
; NumSgprs: 6
; NumVgprs: 0
; NumAgprs: 0
; TotalNumVgprs: 0
; ScratchSize: 0
; MemoryBound: 0
; FloatMode: 240
; IeeeMode: 1
; LDSByteSize: 0 bytes/workgroup (compile time only)
; SGPRBlocks: 0
; VGPRBlocks: 0
; NumSGPRsForWavesPerEU: 6
; NumVGPRsForWavesPerEU: 1
; AccumOffset: 4
; Occupancy: 8
; WaveLimiterHint : 0
; COMPUTE_PGM_RSRC2:SCRATCH_EN: 0
; COMPUTE_PGM_RSRC2:USER_SGPR: 2
; COMPUTE_PGM_RSRC2:TRAP_HANDLER: 0
; COMPUTE_PGM_RSRC2:TGID_X_EN: 1
; COMPUTE_PGM_RSRC2:TGID_Y_EN: 0
; COMPUTE_PGM_RSRC2:TGID_Z_EN: 0
; COMPUTE_PGM_RSRC2:TIDIG_COMP_CNT: 0
; COMPUTE_PGM_RSRC3_GFX90A:ACCUM_OFFSET: 0
; COMPUTE_PGM_RSRC3_GFX90A:TG_SPLIT: 0
	.section	.text._ZN7rocprim17ROCPRIM_400000_NS6detail17trampoline_kernelINS0_14default_configENS1_38merge_sort_block_merge_config_selectorIlNS0_10empty_typeEEEZZNS1_27merge_sort_block_merge_implIS3_PlPS5_mZN2at6native12_GLOBAL__N_124unique_dim_cuda_templateIaEESt5tupleIJNSA_6TensorESF_SF_EERKSF_lbbbEUlllE_EE10hipError_tT0_T1_T2_jT3_P12ihipStream_tbPNSt15iterator_traitsISL_E10value_typeEPNSR_ISM_E10value_typeEPSN_NS1_7vsmem_tEENKUlT_SL_SM_SN_E_clIS8_S8_S9_S9_EESK_S10_SL_SM_SN_EUlS10_E_NS1_11comp_targetILNS1_3genE3ELNS1_11target_archE908ELNS1_3gpuE7ELNS1_3repE0EEENS1_48merge_mergepath_partition_config_static_selectorELNS0_4arch9wavefront6targetE1EEEvSM_,"axG",@progbits,_ZN7rocprim17ROCPRIM_400000_NS6detail17trampoline_kernelINS0_14default_configENS1_38merge_sort_block_merge_config_selectorIlNS0_10empty_typeEEEZZNS1_27merge_sort_block_merge_implIS3_PlPS5_mZN2at6native12_GLOBAL__N_124unique_dim_cuda_templateIaEESt5tupleIJNSA_6TensorESF_SF_EERKSF_lbbbEUlllE_EE10hipError_tT0_T1_T2_jT3_P12ihipStream_tbPNSt15iterator_traitsISL_E10value_typeEPNSR_ISM_E10value_typeEPSN_NS1_7vsmem_tEENKUlT_SL_SM_SN_E_clIS8_S8_S9_S9_EESK_S10_SL_SM_SN_EUlS10_E_NS1_11comp_targetILNS1_3genE3ELNS1_11target_archE908ELNS1_3gpuE7ELNS1_3repE0EEENS1_48merge_mergepath_partition_config_static_selectorELNS0_4arch9wavefront6targetE1EEEvSM_,comdat
	.globl	_ZN7rocprim17ROCPRIM_400000_NS6detail17trampoline_kernelINS0_14default_configENS1_38merge_sort_block_merge_config_selectorIlNS0_10empty_typeEEEZZNS1_27merge_sort_block_merge_implIS3_PlPS5_mZN2at6native12_GLOBAL__N_124unique_dim_cuda_templateIaEESt5tupleIJNSA_6TensorESF_SF_EERKSF_lbbbEUlllE_EE10hipError_tT0_T1_T2_jT3_P12ihipStream_tbPNSt15iterator_traitsISL_E10value_typeEPNSR_ISM_E10value_typeEPSN_NS1_7vsmem_tEENKUlT_SL_SM_SN_E_clIS8_S8_S9_S9_EESK_S10_SL_SM_SN_EUlS10_E_NS1_11comp_targetILNS1_3genE3ELNS1_11target_archE908ELNS1_3gpuE7ELNS1_3repE0EEENS1_48merge_mergepath_partition_config_static_selectorELNS0_4arch9wavefront6targetE1EEEvSM_ ; -- Begin function _ZN7rocprim17ROCPRIM_400000_NS6detail17trampoline_kernelINS0_14default_configENS1_38merge_sort_block_merge_config_selectorIlNS0_10empty_typeEEEZZNS1_27merge_sort_block_merge_implIS3_PlPS5_mZN2at6native12_GLOBAL__N_124unique_dim_cuda_templateIaEESt5tupleIJNSA_6TensorESF_SF_EERKSF_lbbbEUlllE_EE10hipError_tT0_T1_T2_jT3_P12ihipStream_tbPNSt15iterator_traitsISL_E10value_typeEPNSR_ISM_E10value_typeEPSN_NS1_7vsmem_tEENKUlT_SL_SM_SN_E_clIS8_S8_S9_S9_EESK_S10_SL_SM_SN_EUlS10_E_NS1_11comp_targetILNS1_3genE3ELNS1_11target_archE908ELNS1_3gpuE7ELNS1_3repE0EEENS1_48merge_mergepath_partition_config_static_selectorELNS0_4arch9wavefront6targetE1EEEvSM_
	.p2align	8
	.type	_ZN7rocprim17ROCPRIM_400000_NS6detail17trampoline_kernelINS0_14default_configENS1_38merge_sort_block_merge_config_selectorIlNS0_10empty_typeEEEZZNS1_27merge_sort_block_merge_implIS3_PlPS5_mZN2at6native12_GLOBAL__N_124unique_dim_cuda_templateIaEESt5tupleIJNSA_6TensorESF_SF_EERKSF_lbbbEUlllE_EE10hipError_tT0_T1_T2_jT3_P12ihipStream_tbPNSt15iterator_traitsISL_E10value_typeEPNSR_ISM_E10value_typeEPSN_NS1_7vsmem_tEENKUlT_SL_SM_SN_E_clIS8_S8_S9_S9_EESK_S10_SL_SM_SN_EUlS10_E_NS1_11comp_targetILNS1_3genE3ELNS1_11target_archE908ELNS1_3gpuE7ELNS1_3repE0EEENS1_48merge_mergepath_partition_config_static_selectorELNS0_4arch9wavefront6targetE1EEEvSM_,@function
_ZN7rocprim17ROCPRIM_400000_NS6detail17trampoline_kernelINS0_14default_configENS1_38merge_sort_block_merge_config_selectorIlNS0_10empty_typeEEEZZNS1_27merge_sort_block_merge_implIS3_PlPS5_mZN2at6native12_GLOBAL__N_124unique_dim_cuda_templateIaEESt5tupleIJNSA_6TensorESF_SF_EERKSF_lbbbEUlllE_EE10hipError_tT0_T1_T2_jT3_P12ihipStream_tbPNSt15iterator_traitsISL_E10value_typeEPNSR_ISM_E10value_typeEPSN_NS1_7vsmem_tEENKUlT_SL_SM_SN_E_clIS8_S8_S9_S9_EESK_S10_SL_SM_SN_EUlS10_E_NS1_11comp_targetILNS1_3genE3ELNS1_11target_archE908ELNS1_3gpuE7ELNS1_3repE0EEENS1_48merge_mergepath_partition_config_static_selectorELNS0_4arch9wavefront6targetE1EEEvSM_: ; @_ZN7rocprim17ROCPRIM_400000_NS6detail17trampoline_kernelINS0_14default_configENS1_38merge_sort_block_merge_config_selectorIlNS0_10empty_typeEEEZZNS1_27merge_sort_block_merge_implIS3_PlPS5_mZN2at6native12_GLOBAL__N_124unique_dim_cuda_templateIaEESt5tupleIJNSA_6TensorESF_SF_EERKSF_lbbbEUlllE_EE10hipError_tT0_T1_T2_jT3_P12ihipStream_tbPNSt15iterator_traitsISL_E10value_typeEPNSR_ISM_E10value_typeEPSN_NS1_7vsmem_tEENKUlT_SL_SM_SN_E_clIS8_S8_S9_S9_EESK_S10_SL_SM_SN_EUlS10_E_NS1_11comp_targetILNS1_3genE3ELNS1_11target_archE908ELNS1_3gpuE7ELNS1_3repE0EEENS1_48merge_mergepath_partition_config_static_selectorELNS0_4arch9wavefront6targetE1EEEvSM_
; %bb.0:
	.section	.rodata,"a",@progbits
	.p2align	6, 0x0
	.amdhsa_kernel _ZN7rocprim17ROCPRIM_400000_NS6detail17trampoline_kernelINS0_14default_configENS1_38merge_sort_block_merge_config_selectorIlNS0_10empty_typeEEEZZNS1_27merge_sort_block_merge_implIS3_PlPS5_mZN2at6native12_GLOBAL__N_124unique_dim_cuda_templateIaEESt5tupleIJNSA_6TensorESF_SF_EERKSF_lbbbEUlllE_EE10hipError_tT0_T1_T2_jT3_P12ihipStream_tbPNSt15iterator_traitsISL_E10value_typeEPNSR_ISM_E10value_typeEPSN_NS1_7vsmem_tEENKUlT_SL_SM_SN_E_clIS8_S8_S9_S9_EESK_S10_SL_SM_SN_EUlS10_E_NS1_11comp_targetILNS1_3genE3ELNS1_11target_archE908ELNS1_3gpuE7ELNS1_3repE0EEENS1_48merge_mergepath_partition_config_static_selectorELNS0_4arch9wavefront6targetE1EEEvSM_
		.amdhsa_group_segment_fixed_size 0
		.amdhsa_private_segment_fixed_size 0
		.amdhsa_kernarg_size 56
		.amdhsa_user_sgpr_count 2
		.amdhsa_user_sgpr_dispatch_ptr 0
		.amdhsa_user_sgpr_queue_ptr 0
		.amdhsa_user_sgpr_kernarg_segment_ptr 1
		.amdhsa_user_sgpr_dispatch_id 0
		.amdhsa_user_sgpr_kernarg_preload_length 0
		.amdhsa_user_sgpr_kernarg_preload_offset 0
		.amdhsa_user_sgpr_private_segment_size 0
		.amdhsa_uses_dynamic_stack 0
		.amdhsa_enable_private_segment 0
		.amdhsa_system_sgpr_workgroup_id_x 1
		.amdhsa_system_sgpr_workgroup_id_y 0
		.amdhsa_system_sgpr_workgroup_id_z 0
		.amdhsa_system_sgpr_workgroup_info 0
		.amdhsa_system_vgpr_workitem_id 0
		.amdhsa_next_free_vgpr 1
		.amdhsa_next_free_sgpr 0
		.amdhsa_accum_offset 4
		.amdhsa_reserve_vcc 0
		.amdhsa_float_round_mode_32 0
		.amdhsa_float_round_mode_16_64 0
		.amdhsa_float_denorm_mode_32 3
		.amdhsa_float_denorm_mode_16_64 3
		.amdhsa_dx10_clamp 1
		.amdhsa_ieee_mode 1
		.amdhsa_fp16_overflow 0
		.amdhsa_tg_split 0
		.amdhsa_exception_fp_ieee_invalid_op 0
		.amdhsa_exception_fp_denorm_src 0
		.amdhsa_exception_fp_ieee_div_zero 0
		.amdhsa_exception_fp_ieee_overflow 0
		.amdhsa_exception_fp_ieee_underflow 0
		.amdhsa_exception_fp_ieee_inexact 0
		.amdhsa_exception_int_div_zero 0
	.end_amdhsa_kernel
	.section	.text._ZN7rocprim17ROCPRIM_400000_NS6detail17trampoline_kernelINS0_14default_configENS1_38merge_sort_block_merge_config_selectorIlNS0_10empty_typeEEEZZNS1_27merge_sort_block_merge_implIS3_PlPS5_mZN2at6native12_GLOBAL__N_124unique_dim_cuda_templateIaEESt5tupleIJNSA_6TensorESF_SF_EERKSF_lbbbEUlllE_EE10hipError_tT0_T1_T2_jT3_P12ihipStream_tbPNSt15iterator_traitsISL_E10value_typeEPNSR_ISM_E10value_typeEPSN_NS1_7vsmem_tEENKUlT_SL_SM_SN_E_clIS8_S8_S9_S9_EESK_S10_SL_SM_SN_EUlS10_E_NS1_11comp_targetILNS1_3genE3ELNS1_11target_archE908ELNS1_3gpuE7ELNS1_3repE0EEENS1_48merge_mergepath_partition_config_static_selectorELNS0_4arch9wavefront6targetE1EEEvSM_,"axG",@progbits,_ZN7rocprim17ROCPRIM_400000_NS6detail17trampoline_kernelINS0_14default_configENS1_38merge_sort_block_merge_config_selectorIlNS0_10empty_typeEEEZZNS1_27merge_sort_block_merge_implIS3_PlPS5_mZN2at6native12_GLOBAL__N_124unique_dim_cuda_templateIaEESt5tupleIJNSA_6TensorESF_SF_EERKSF_lbbbEUlllE_EE10hipError_tT0_T1_T2_jT3_P12ihipStream_tbPNSt15iterator_traitsISL_E10value_typeEPNSR_ISM_E10value_typeEPSN_NS1_7vsmem_tEENKUlT_SL_SM_SN_E_clIS8_S8_S9_S9_EESK_S10_SL_SM_SN_EUlS10_E_NS1_11comp_targetILNS1_3genE3ELNS1_11target_archE908ELNS1_3gpuE7ELNS1_3repE0EEENS1_48merge_mergepath_partition_config_static_selectorELNS0_4arch9wavefront6targetE1EEEvSM_,comdat
.Lfunc_end276:
	.size	_ZN7rocprim17ROCPRIM_400000_NS6detail17trampoline_kernelINS0_14default_configENS1_38merge_sort_block_merge_config_selectorIlNS0_10empty_typeEEEZZNS1_27merge_sort_block_merge_implIS3_PlPS5_mZN2at6native12_GLOBAL__N_124unique_dim_cuda_templateIaEESt5tupleIJNSA_6TensorESF_SF_EERKSF_lbbbEUlllE_EE10hipError_tT0_T1_T2_jT3_P12ihipStream_tbPNSt15iterator_traitsISL_E10value_typeEPNSR_ISM_E10value_typeEPSN_NS1_7vsmem_tEENKUlT_SL_SM_SN_E_clIS8_S8_S9_S9_EESK_S10_SL_SM_SN_EUlS10_E_NS1_11comp_targetILNS1_3genE3ELNS1_11target_archE908ELNS1_3gpuE7ELNS1_3repE0EEENS1_48merge_mergepath_partition_config_static_selectorELNS0_4arch9wavefront6targetE1EEEvSM_, .Lfunc_end276-_ZN7rocprim17ROCPRIM_400000_NS6detail17trampoline_kernelINS0_14default_configENS1_38merge_sort_block_merge_config_selectorIlNS0_10empty_typeEEEZZNS1_27merge_sort_block_merge_implIS3_PlPS5_mZN2at6native12_GLOBAL__N_124unique_dim_cuda_templateIaEESt5tupleIJNSA_6TensorESF_SF_EERKSF_lbbbEUlllE_EE10hipError_tT0_T1_T2_jT3_P12ihipStream_tbPNSt15iterator_traitsISL_E10value_typeEPNSR_ISM_E10value_typeEPSN_NS1_7vsmem_tEENKUlT_SL_SM_SN_E_clIS8_S8_S9_S9_EESK_S10_SL_SM_SN_EUlS10_E_NS1_11comp_targetILNS1_3genE3ELNS1_11target_archE908ELNS1_3gpuE7ELNS1_3repE0EEENS1_48merge_mergepath_partition_config_static_selectorELNS0_4arch9wavefront6targetE1EEEvSM_
                                        ; -- End function
	.section	.AMDGPU.csdata,"",@progbits
; Kernel info:
; codeLenInByte = 0
; NumSgprs: 6
; NumVgprs: 0
; NumAgprs: 0
; TotalNumVgprs: 0
; ScratchSize: 0
; MemoryBound: 0
; FloatMode: 240
; IeeeMode: 1
; LDSByteSize: 0 bytes/workgroup (compile time only)
; SGPRBlocks: 0
; VGPRBlocks: 0
; NumSGPRsForWavesPerEU: 6
; NumVGPRsForWavesPerEU: 1
; AccumOffset: 4
; Occupancy: 8
; WaveLimiterHint : 0
; COMPUTE_PGM_RSRC2:SCRATCH_EN: 0
; COMPUTE_PGM_RSRC2:USER_SGPR: 2
; COMPUTE_PGM_RSRC2:TRAP_HANDLER: 0
; COMPUTE_PGM_RSRC2:TGID_X_EN: 1
; COMPUTE_PGM_RSRC2:TGID_Y_EN: 0
; COMPUTE_PGM_RSRC2:TGID_Z_EN: 0
; COMPUTE_PGM_RSRC2:TIDIG_COMP_CNT: 0
; COMPUTE_PGM_RSRC3_GFX90A:ACCUM_OFFSET: 0
; COMPUTE_PGM_RSRC3_GFX90A:TG_SPLIT: 0
	.section	.text._ZN7rocprim17ROCPRIM_400000_NS6detail17trampoline_kernelINS0_14default_configENS1_38merge_sort_block_merge_config_selectorIlNS0_10empty_typeEEEZZNS1_27merge_sort_block_merge_implIS3_PlPS5_mZN2at6native12_GLOBAL__N_124unique_dim_cuda_templateIaEESt5tupleIJNSA_6TensorESF_SF_EERKSF_lbbbEUlllE_EE10hipError_tT0_T1_T2_jT3_P12ihipStream_tbPNSt15iterator_traitsISL_E10value_typeEPNSR_ISM_E10value_typeEPSN_NS1_7vsmem_tEENKUlT_SL_SM_SN_E_clIS8_S8_S9_S9_EESK_S10_SL_SM_SN_EUlS10_E_NS1_11comp_targetILNS1_3genE2ELNS1_11target_archE906ELNS1_3gpuE6ELNS1_3repE0EEENS1_48merge_mergepath_partition_config_static_selectorELNS0_4arch9wavefront6targetE1EEEvSM_,"axG",@progbits,_ZN7rocprim17ROCPRIM_400000_NS6detail17trampoline_kernelINS0_14default_configENS1_38merge_sort_block_merge_config_selectorIlNS0_10empty_typeEEEZZNS1_27merge_sort_block_merge_implIS3_PlPS5_mZN2at6native12_GLOBAL__N_124unique_dim_cuda_templateIaEESt5tupleIJNSA_6TensorESF_SF_EERKSF_lbbbEUlllE_EE10hipError_tT0_T1_T2_jT3_P12ihipStream_tbPNSt15iterator_traitsISL_E10value_typeEPNSR_ISM_E10value_typeEPSN_NS1_7vsmem_tEENKUlT_SL_SM_SN_E_clIS8_S8_S9_S9_EESK_S10_SL_SM_SN_EUlS10_E_NS1_11comp_targetILNS1_3genE2ELNS1_11target_archE906ELNS1_3gpuE6ELNS1_3repE0EEENS1_48merge_mergepath_partition_config_static_selectorELNS0_4arch9wavefront6targetE1EEEvSM_,comdat
	.globl	_ZN7rocprim17ROCPRIM_400000_NS6detail17trampoline_kernelINS0_14default_configENS1_38merge_sort_block_merge_config_selectorIlNS0_10empty_typeEEEZZNS1_27merge_sort_block_merge_implIS3_PlPS5_mZN2at6native12_GLOBAL__N_124unique_dim_cuda_templateIaEESt5tupleIJNSA_6TensorESF_SF_EERKSF_lbbbEUlllE_EE10hipError_tT0_T1_T2_jT3_P12ihipStream_tbPNSt15iterator_traitsISL_E10value_typeEPNSR_ISM_E10value_typeEPSN_NS1_7vsmem_tEENKUlT_SL_SM_SN_E_clIS8_S8_S9_S9_EESK_S10_SL_SM_SN_EUlS10_E_NS1_11comp_targetILNS1_3genE2ELNS1_11target_archE906ELNS1_3gpuE6ELNS1_3repE0EEENS1_48merge_mergepath_partition_config_static_selectorELNS0_4arch9wavefront6targetE1EEEvSM_ ; -- Begin function _ZN7rocprim17ROCPRIM_400000_NS6detail17trampoline_kernelINS0_14default_configENS1_38merge_sort_block_merge_config_selectorIlNS0_10empty_typeEEEZZNS1_27merge_sort_block_merge_implIS3_PlPS5_mZN2at6native12_GLOBAL__N_124unique_dim_cuda_templateIaEESt5tupleIJNSA_6TensorESF_SF_EERKSF_lbbbEUlllE_EE10hipError_tT0_T1_T2_jT3_P12ihipStream_tbPNSt15iterator_traitsISL_E10value_typeEPNSR_ISM_E10value_typeEPSN_NS1_7vsmem_tEENKUlT_SL_SM_SN_E_clIS8_S8_S9_S9_EESK_S10_SL_SM_SN_EUlS10_E_NS1_11comp_targetILNS1_3genE2ELNS1_11target_archE906ELNS1_3gpuE6ELNS1_3repE0EEENS1_48merge_mergepath_partition_config_static_selectorELNS0_4arch9wavefront6targetE1EEEvSM_
	.p2align	8
	.type	_ZN7rocprim17ROCPRIM_400000_NS6detail17trampoline_kernelINS0_14default_configENS1_38merge_sort_block_merge_config_selectorIlNS0_10empty_typeEEEZZNS1_27merge_sort_block_merge_implIS3_PlPS5_mZN2at6native12_GLOBAL__N_124unique_dim_cuda_templateIaEESt5tupleIJNSA_6TensorESF_SF_EERKSF_lbbbEUlllE_EE10hipError_tT0_T1_T2_jT3_P12ihipStream_tbPNSt15iterator_traitsISL_E10value_typeEPNSR_ISM_E10value_typeEPSN_NS1_7vsmem_tEENKUlT_SL_SM_SN_E_clIS8_S8_S9_S9_EESK_S10_SL_SM_SN_EUlS10_E_NS1_11comp_targetILNS1_3genE2ELNS1_11target_archE906ELNS1_3gpuE6ELNS1_3repE0EEENS1_48merge_mergepath_partition_config_static_selectorELNS0_4arch9wavefront6targetE1EEEvSM_,@function
_ZN7rocprim17ROCPRIM_400000_NS6detail17trampoline_kernelINS0_14default_configENS1_38merge_sort_block_merge_config_selectorIlNS0_10empty_typeEEEZZNS1_27merge_sort_block_merge_implIS3_PlPS5_mZN2at6native12_GLOBAL__N_124unique_dim_cuda_templateIaEESt5tupleIJNSA_6TensorESF_SF_EERKSF_lbbbEUlllE_EE10hipError_tT0_T1_T2_jT3_P12ihipStream_tbPNSt15iterator_traitsISL_E10value_typeEPNSR_ISM_E10value_typeEPSN_NS1_7vsmem_tEENKUlT_SL_SM_SN_E_clIS8_S8_S9_S9_EESK_S10_SL_SM_SN_EUlS10_E_NS1_11comp_targetILNS1_3genE2ELNS1_11target_archE906ELNS1_3gpuE6ELNS1_3repE0EEENS1_48merge_mergepath_partition_config_static_selectorELNS0_4arch9wavefront6targetE1EEEvSM_: ; @_ZN7rocprim17ROCPRIM_400000_NS6detail17trampoline_kernelINS0_14default_configENS1_38merge_sort_block_merge_config_selectorIlNS0_10empty_typeEEEZZNS1_27merge_sort_block_merge_implIS3_PlPS5_mZN2at6native12_GLOBAL__N_124unique_dim_cuda_templateIaEESt5tupleIJNSA_6TensorESF_SF_EERKSF_lbbbEUlllE_EE10hipError_tT0_T1_T2_jT3_P12ihipStream_tbPNSt15iterator_traitsISL_E10value_typeEPNSR_ISM_E10value_typeEPSN_NS1_7vsmem_tEENKUlT_SL_SM_SN_E_clIS8_S8_S9_S9_EESK_S10_SL_SM_SN_EUlS10_E_NS1_11comp_targetILNS1_3genE2ELNS1_11target_archE906ELNS1_3gpuE6ELNS1_3repE0EEENS1_48merge_mergepath_partition_config_static_selectorELNS0_4arch9wavefront6targetE1EEEvSM_
; %bb.0:
	.section	.rodata,"a",@progbits
	.p2align	6, 0x0
	.amdhsa_kernel _ZN7rocprim17ROCPRIM_400000_NS6detail17trampoline_kernelINS0_14default_configENS1_38merge_sort_block_merge_config_selectorIlNS0_10empty_typeEEEZZNS1_27merge_sort_block_merge_implIS3_PlPS5_mZN2at6native12_GLOBAL__N_124unique_dim_cuda_templateIaEESt5tupleIJNSA_6TensorESF_SF_EERKSF_lbbbEUlllE_EE10hipError_tT0_T1_T2_jT3_P12ihipStream_tbPNSt15iterator_traitsISL_E10value_typeEPNSR_ISM_E10value_typeEPSN_NS1_7vsmem_tEENKUlT_SL_SM_SN_E_clIS8_S8_S9_S9_EESK_S10_SL_SM_SN_EUlS10_E_NS1_11comp_targetILNS1_3genE2ELNS1_11target_archE906ELNS1_3gpuE6ELNS1_3repE0EEENS1_48merge_mergepath_partition_config_static_selectorELNS0_4arch9wavefront6targetE1EEEvSM_
		.amdhsa_group_segment_fixed_size 0
		.amdhsa_private_segment_fixed_size 0
		.amdhsa_kernarg_size 56
		.amdhsa_user_sgpr_count 2
		.amdhsa_user_sgpr_dispatch_ptr 0
		.amdhsa_user_sgpr_queue_ptr 0
		.amdhsa_user_sgpr_kernarg_segment_ptr 1
		.amdhsa_user_sgpr_dispatch_id 0
		.amdhsa_user_sgpr_kernarg_preload_length 0
		.amdhsa_user_sgpr_kernarg_preload_offset 0
		.amdhsa_user_sgpr_private_segment_size 0
		.amdhsa_uses_dynamic_stack 0
		.amdhsa_enable_private_segment 0
		.amdhsa_system_sgpr_workgroup_id_x 1
		.amdhsa_system_sgpr_workgroup_id_y 0
		.amdhsa_system_sgpr_workgroup_id_z 0
		.amdhsa_system_sgpr_workgroup_info 0
		.amdhsa_system_vgpr_workitem_id 0
		.amdhsa_next_free_vgpr 1
		.amdhsa_next_free_sgpr 0
		.amdhsa_accum_offset 4
		.amdhsa_reserve_vcc 0
		.amdhsa_float_round_mode_32 0
		.amdhsa_float_round_mode_16_64 0
		.amdhsa_float_denorm_mode_32 3
		.amdhsa_float_denorm_mode_16_64 3
		.amdhsa_dx10_clamp 1
		.amdhsa_ieee_mode 1
		.amdhsa_fp16_overflow 0
		.amdhsa_tg_split 0
		.amdhsa_exception_fp_ieee_invalid_op 0
		.amdhsa_exception_fp_denorm_src 0
		.amdhsa_exception_fp_ieee_div_zero 0
		.amdhsa_exception_fp_ieee_overflow 0
		.amdhsa_exception_fp_ieee_underflow 0
		.amdhsa_exception_fp_ieee_inexact 0
		.amdhsa_exception_int_div_zero 0
	.end_amdhsa_kernel
	.section	.text._ZN7rocprim17ROCPRIM_400000_NS6detail17trampoline_kernelINS0_14default_configENS1_38merge_sort_block_merge_config_selectorIlNS0_10empty_typeEEEZZNS1_27merge_sort_block_merge_implIS3_PlPS5_mZN2at6native12_GLOBAL__N_124unique_dim_cuda_templateIaEESt5tupleIJNSA_6TensorESF_SF_EERKSF_lbbbEUlllE_EE10hipError_tT0_T1_T2_jT3_P12ihipStream_tbPNSt15iterator_traitsISL_E10value_typeEPNSR_ISM_E10value_typeEPSN_NS1_7vsmem_tEENKUlT_SL_SM_SN_E_clIS8_S8_S9_S9_EESK_S10_SL_SM_SN_EUlS10_E_NS1_11comp_targetILNS1_3genE2ELNS1_11target_archE906ELNS1_3gpuE6ELNS1_3repE0EEENS1_48merge_mergepath_partition_config_static_selectorELNS0_4arch9wavefront6targetE1EEEvSM_,"axG",@progbits,_ZN7rocprim17ROCPRIM_400000_NS6detail17trampoline_kernelINS0_14default_configENS1_38merge_sort_block_merge_config_selectorIlNS0_10empty_typeEEEZZNS1_27merge_sort_block_merge_implIS3_PlPS5_mZN2at6native12_GLOBAL__N_124unique_dim_cuda_templateIaEESt5tupleIJNSA_6TensorESF_SF_EERKSF_lbbbEUlllE_EE10hipError_tT0_T1_T2_jT3_P12ihipStream_tbPNSt15iterator_traitsISL_E10value_typeEPNSR_ISM_E10value_typeEPSN_NS1_7vsmem_tEENKUlT_SL_SM_SN_E_clIS8_S8_S9_S9_EESK_S10_SL_SM_SN_EUlS10_E_NS1_11comp_targetILNS1_3genE2ELNS1_11target_archE906ELNS1_3gpuE6ELNS1_3repE0EEENS1_48merge_mergepath_partition_config_static_selectorELNS0_4arch9wavefront6targetE1EEEvSM_,comdat
.Lfunc_end277:
	.size	_ZN7rocprim17ROCPRIM_400000_NS6detail17trampoline_kernelINS0_14default_configENS1_38merge_sort_block_merge_config_selectorIlNS0_10empty_typeEEEZZNS1_27merge_sort_block_merge_implIS3_PlPS5_mZN2at6native12_GLOBAL__N_124unique_dim_cuda_templateIaEESt5tupleIJNSA_6TensorESF_SF_EERKSF_lbbbEUlllE_EE10hipError_tT0_T1_T2_jT3_P12ihipStream_tbPNSt15iterator_traitsISL_E10value_typeEPNSR_ISM_E10value_typeEPSN_NS1_7vsmem_tEENKUlT_SL_SM_SN_E_clIS8_S8_S9_S9_EESK_S10_SL_SM_SN_EUlS10_E_NS1_11comp_targetILNS1_3genE2ELNS1_11target_archE906ELNS1_3gpuE6ELNS1_3repE0EEENS1_48merge_mergepath_partition_config_static_selectorELNS0_4arch9wavefront6targetE1EEEvSM_, .Lfunc_end277-_ZN7rocprim17ROCPRIM_400000_NS6detail17trampoline_kernelINS0_14default_configENS1_38merge_sort_block_merge_config_selectorIlNS0_10empty_typeEEEZZNS1_27merge_sort_block_merge_implIS3_PlPS5_mZN2at6native12_GLOBAL__N_124unique_dim_cuda_templateIaEESt5tupleIJNSA_6TensorESF_SF_EERKSF_lbbbEUlllE_EE10hipError_tT0_T1_T2_jT3_P12ihipStream_tbPNSt15iterator_traitsISL_E10value_typeEPNSR_ISM_E10value_typeEPSN_NS1_7vsmem_tEENKUlT_SL_SM_SN_E_clIS8_S8_S9_S9_EESK_S10_SL_SM_SN_EUlS10_E_NS1_11comp_targetILNS1_3genE2ELNS1_11target_archE906ELNS1_3gpuE6ELNS1_3repE0EEENS1_48merge_mergepath_partition_config_static_selectorELNS0_4arch9wavefront6targetE1EEEvSM_
                                        ; -- End function
	.section	.AMDGPU.csdata,"",@progbits
; Kernel info:
; codeLenInByte = 0
; NumSgprs: 6
; NumVgprs: 0
; NumAgprs: 0
; TotalNumVgprs: 0
; ScratchSize: 0
; MemoryBound: 0
; FloatMode: 240
; IeeeMode: 1
; LDSByteSize: 0 bytes/workgroup (compile time only)
; SGPRBlocks: 0
; VGPRBlocks: 0
; NumSGPRsForWavesPerEU: 6
; NumVGPRsForWavesPerEU: 1
; AccumOffset: 4
; Occupancy: 8
; WaveLimiterHint : 0
; COMPUTE_PGM_RSRC2:SCRATCH_EN: 0
; COMPUTE_PGM_RSRC2:USER_SGPR: 2
; COMPUTE_PGM_RSRC2:TRAP_HANDLER: 0
; COMPUTE_PGM_RSRC2:TGID_X_EN: 1
; COMPUTE_PGM_RSRC2:TGID_Y_EN: 0
; COMPUTE_PGM_RSRC2:TGID_Z_EN: 0
; COMPUTE_PGM_RSRC2:TIDIG_COMP_CNT: 0
; COMPUTE_PGM_RSRC3_GFX90A:ACCUM_OFFSET: 0
; COMPUTE_PGM_RSRC3_GFX90A:TG_SPLIT: 0
	.section	.text._ZN7rocprim17ROCPRIM_400000_NS6detail17trampoline_kernelINS0_14default_configENS1_38merge_sort_block_merge_config_selectorIlNS0_10empty_typeEEEZZNS1_27merge_sort_block_merge_implIS3_PlPS5_mZN2at6native12_GLOBAL__N_124unique_dim_cuda_templateIaEESt5tupleIJNSA_6TensorESF_SF_EERKSF_lbbbEUlllE_EE10hipError_tT0_T1_T2_jT3_P12ihipStream_tbPNSt15iterator_traitsISL_E10value_typeEPNSR_ISM_E10value_typeEPSN_NS1_7vsmem_tEENKUlT_SL_SM_SN_E_clIS8_S8_S9_S9_EESK_S10_SL_SM_SN_EUlS10_E_NS1_11comp_targetILNS1_3genE9ELNS1_11target_archE1100ELNS1_3gpuE3ELNS1_3repE0EEENS1_48merge_mergepath_partition_config_static_selectorELNS0_4arch9wavefront6targetE1EEEvSM_,"axG",@progbits,_ZN7rocprim17ROCPRIM_400000_NS6detail17trampoline_kernelINS0_14default_configENS1_38merge_sort_block_merge_config_selectorIlNS0_10empty_typeEEEZZNS1_27merge_sort_block_merge_implIS3_PlPS5_mZN2at6native12_GLOBAL__N_124unique_dim_cuda_templateIaEESt5tupleIJNSA_6TensorESF_SF_EERKSF_lbbbEUlllE_EE10hipError_tT0_T1_T2_jT3_P12ihipStream_tbPNSt15iterator_traitsISL_E10value_typeEPNSR_ISM_E10value_typeEPSN_NS1_7vsmem_tEENKUlT_SL_SM_SN_E_clIS8_S8_S9_S9_EESK_S10_SL_SM_SN_EUlS10_E_NS1_11comp_targetILNS1_3genE9ELNS1_11target_archE1100ELNS1_3gpuE3ELNS1_3repE0EEENS1_48merge_mergepath_partition_config_static_selectorELNS0_4arch9wavefront6targetE1EEEvSM_,comdat
	.globl	_ZN7rocprim17ROCPRIM_400000_NS6detail17trampoline_kernelINS0_14default_configENS1_38merge_sort_block_merge_config_selectorIlNS0_10empty_typeEEEZZNS1_27merge_sort_block_merge_implIS3_PlPS5_mZN2at6native12_GLOBAL__N_124unique_dim_cuda_templateIaEESt5tupleIJNSA_6TensorESF_SF_EERKSF_lbbbEUlllE_EE10hipError_tT0_T1_T2_jT3_P12ihipStream_tbPNSt15iterator_traitsISL_E10value_typeEPNSR_ISM_E10value_typeEPSN_NS1_7vsmem_tEENKUlT_SL_SM_SN_E_clIS8_S8_S9_S9_EESK_S10_SL_SM_SN_EUlS10_E_NS1_11comp_targetILNS1_3genE9ELNS1_11target_archE1100ELNS1_3gpuE3ELNS1_3repE0EEENS1_48merge_mergepath_partition_config_static_selectorELNS0_4arch9wavefront6targetE1EEEvSM_ ; -- Begin function _ZN7rocprim17ROCPRIM_400000_NS6detail17trampoline_kernelINS0_14default_configENS1_38merge_sort_block_merge_config_selectorIlNS0_10empty_typeEEEZZNS1_27merge_sort_block_merge_implIS3_PlPS5_mZN2at6native12_GLOBAL__N_124unique_dim_cuda_templateIaEESt5tupleIJNSA_6TensorESF_SF_EERKSF_lbbbEUlllE_EE10hipError_tT0_T1_T2_jT3_P12ihipStream_tbPNSt15iterator_traitsISL_E10value_typeEPNSR_ISM_E10value_typeEPSN_NS1_7vsmem_tEENKUlT_SL_SM_SN_E_clIS8_S8_S9_S9_EESK_S10_SL_SM_SN_EUlS10_E_NS1_11comp_targetILNS1_3genE9ELNS1_11target_archE1100ELNS1_3gpuE3ELNS1_3repE0EEENS1_48merge_mergepath_partition_config_static_selectorELNS0_4arch9wavefront6targetE1EEEvSM_
	.p2align	8
	.type	_ZN7rocprim17ROCPRIM_400000_NS6detail17trampoline_kernelINS0_14default_configENS1_38merge_sort_block_merge_config_selectorIlNS0_10empty_typeEEEZZNS1_27merge_sort_block_merge_implIS3_PlPS5_mZN2at6native12_GLOBAL__N_124unique_dim_cuda_templateIaEESt5tupleIJNSA_6TensorESF_SF_EERKSF_lbbbEUlllE_EE10hipError_tT0_T1_T2_jT3_P12ihipStream_tbPNSt15iterator_traitsISL_E10value_typeEPNSR_ISM_E10value_typeEPSN_NS1_7vsmem_tEENKUlT_SL_SM_SN_E_clIS8_S8_S9_S9_EESK_S10_SL_SM_SN_EUlS10_E_NS1_11comp_targetILNS1_3genE9ELNS1_11target_archE1100ELNS1_3gpuE3ELNS1_3repE0EEENS1_48merge_mergepath_partition_config_static_selectorELNS0_4arch9wavefront6targetE1EEEvSM_,@function
_ZN7rocprim17ROCPRIM_400000_NS6detail17trampoline_kernelINS0_14default_configENS1_38merge_sort_block_merge_config_selectorIlNS0_10empty_typeEEEZZNS1_27merge_sort_block_merge_implIS3_PlPS5_mZN2at6native12_GLOBAL__N_124unique_dim_cuda_templateIaEESt5tupleIJNSA_6TensorESF_SF_EERKSF_lbbbEUlllE_EE10hipError_tT0_T1_T2_jT3_P12ihipStream_tbPNSt15iterator_traitsISL_E10value_typeEPNSR_ISM_E10value_typeEPSN_NS1_7vsmem_tEENKUlT_SL_SM_SN_E_clIS8_S8_S9_S9_EESK_S10_SL_SM_SN_EUlS10_E_NS1_11comp_targetILNS1_3genE9ELNS1_11target_archE1100ELNS1_3gpuE3ELNS1_3repE0EEENS1_48merge_mergepath_partition_config_static_selectorELNS0_4arch9wavefront6targetE1EEEvSM_: ; @_ZN7rocprim17ROCPRIM_400000_NS6detail17trampoline_kernelINS0_14default_configENS1_38merge_sort_block_merge_config_selectorIlNS0_10empty_typeEEEZZNS1_27merge_sort_block_merge_implIS3_PlPS5_mZN2at6native12_GLOBAL__N_124unique_dim_cuda_templateIaEESt5tupleIJNSA_6TensorESF_SF_EERKSF_lbbbEUlllE_EE10hipError_tT0_T1_T2_jT3_P12ihipStream_tbPNSt15iterator_traitsISL_E10value_typeEPNSR_ISM_E10value_typeEPSN_NS1_7vsmem_tEENKUlT_SL_SM_SN_E_clIS8_S8_S9_S9_EESK_S10_SL_SM_SN_EUlS10_E_NS1_11comp_targetILNS1_3genE9ELNS1_11target_archE1100ELNS1_3gpuE3ELNS1_3repE0EEENS1_48merge_mergepath_partition_config_static_selectorELNS0_4arch9wavefront6targetE1EEEvSM_
; %bb.0:
	.section	.rodata,"a",@progbits
	.p2align	6, 0x0
	.amdhsa_kernel _ZN7rocprim17ROCPRIM_400000_NS6detail17trampoline_kernelINS0_14default_configENS1_38merge_sort_block_merge_config_selectorIlNS0_10empty_typeEEEZZNS1_27merge_sort_block_merge_implIS3_PlPS5_mZN2at6native12_GLOBAL__N_124unique_dim_cuda_templateIaEESt5tupleIJNSA_6TensorESF_SF_EERKSF_lbbbEUlllE_EE10hipError_tT0_T1_T2_jT3_P12ihipStream_tbPNSt15iterator_traitsISL_E10value_typeEPNSR_ISM_E10value_typeEPSN_NS1_7vsmem_tEENKUlT_SL_SM_SN_E_clIS8_S8_S9_S9_EESK_S10_SL_SM_SN_EUlS10_E_NS1_11comp_targetILNS1_3genE9ELNS1_11target_archE1100ELNS1_3gpuE3ELNS1_3repE0EEENS1_48merge_mergepath_partition_config_static_selectorELNS0_4arch9wavefront6targetE1EEEvSM_
		.amdhsa_group_segment_fixed_size 0
		.amdhsa_private_segment_fixed_size 0
		.amdhsa_kernarg_size 56
		.amdhsa_user_sgpr_count 2
		.amdhsa_user_sgpr_dispatch_ptr 0
		.amdhsa_user_sgpr_queue_ptr 0
		.amdhsa_user_sgpr_kernarg_segment_ptr 1
		.amdhsa_user_sgpr_dispatch_id 0
		.amdhsa_user_sgpr_kernarg_preload_length 0
		.amdhsa_user_sgpr_kernarg_preload_offset 0
		.amdhsa_user_sgpr_private_segment_size 0
		.amdhsa_uses_dynamic_stack 0
		.amdhsa_enable_private_segment 0
		.amdhsa_system_sgpr_workgroup_id_x 1
		.amdhsa_system_sgpr_workgroup_id_y 0
		.amdhsa_system_sgpr_workgroup_id_z 0
		.amdhsa_system_sgpr_workgroup_info 0
		.amdhsa_system_vgpr_workitem_id 0
		.amdhsa_next_free_vgpr 1
		.amdhsa_next_free_sgpr 0
		.amdhsa_accum_offset 4
		.amdhsa_reserve_vcc 0
		.amdhsa_float_round_mode_32 0
		.amdhsa_float_round_mode_16_64 0
		.amdhsa_float_denorm_mode_32 3
		.amdhsa_float_denorm_mode_16_64 3
		.amdhsa_dx10_clamp 1
		.amdhsa_ieee_mode 1
		.amdhsa_fp16_overflow 0
		.amdhsa_tg_split 0
		.amdhsa_exception_fp_ieee_invalid_op 0
		.amdhsa_exception_fp_denorm_src 0
		.amdhsa_exception_fp_ieee_div_zero 0
		.amdhsa_exception_fp_ieee_overflow 0
		.amdhsa_exception_fp_ieee_underflow 0
		.amdhsa_exception_fp_ieee_inexact 0
		.amdhsa_exception_int_div_zero 0
	.end_amdhsa_kernel
	.section	.text._ZN7rocprim17ROCPRIM_400000_NS6detail17trampoline_kernelINS0_14default_configENS1_38merge_sort_block_merge_config_selectorIlNS0_10empty_typeEEEZZNS1_27merge_sort_block_merge_implIS3_PlPS5_mZN2at6native12_GLOBAL__N_124unique_dim_cuda_templateIaEESt5tupleIJNSA_6TensorESF_SF_EERKSF_lbbbEUlllE_EE10hipError_tT0_T1_T2_jT3_P12ihipStream_tbPNSt15iterator_traitsISL_E10value_typeEPNSR_ISM_E10value_typeEPSN_NS1_7vsmem_tEENKUlT_SL_SM_SN_E_clIS8_S8_S9_S9_EESK_S10_SL_SM_SN_EUlS10_E_NS1_11comp_targetILNS1_3genE9ELNS1_11target_archE1100ELNS1_3gpuE3ELNS1_3repE0EEENS1_48merge_mergepath_partition_config_static_selectorELNS0_4arch9wavefront6targetE1EEEvSM_,"axG",@progbits,_ZN7rocprim17ROCPRIM_400000_NS6detail17trampoline_kernelINS0_14default_configENS1_38merge_sort_block_merge_config_selectorIlNS0_10empty_typeEEEZZNS1_27merge_sort_block_merge_implIS3_PlPS5_mZN2at6native12_GLOBAL__N_124unique_dim_cuda_templateIaEESt5tupleIJNSA_6TensorESF_SF_EERKSF_lbbbEUlllE_EE10hipError_tT0_T1_T2_jT3_P12ihipStream_tbPNSt15iterator_traitsISL_E10value_typeEPNSR_ISM_E10value_typeEPSN_NS1_7vsmem_tEENKUlT_SL_SM_SN_E_clIS8_S8_S9_S9_EESK_S10_SL_SM_SN_EUlS10_E_NS1_11comp_targetILNS1_3genE9ELNS1_11target_archE1100ELNS1_3gpuE3ELNS1_3repE0EEENS1_48merge_mergepath_partition_config_static_selectorELNS0_4arch9wavefront6targetE1EEEvSM_,comdat
.Lfunc_end278:
	.size	_ZN7rocprim17ROCPRIM_400000_NS6detail17trampoline_kernelINS0_14default_configENS1_38merge_sort_block_merge_config_selectorIlNS0_10empty_typeEEEZZNS1_27merge_sort_block_merge_implIS3_PlPS5_mZN2at6native12_GLOBAL__N_124unique_dim_cuda_templateIaEESt5tupleIJNSA_6TensorESF_SF_EERKSF_lbbbEUlllE_EE10hipError_tT0_T1_T2_jT3_P12ihipStream_tbPNSt15iterator_traitsISL_E10value_typeEPNSR_ISM_E10value_typeEPSN_NS1_7vsmem_tEENKUlT_SL_SM_SN_E_clIS8_S8_S9_S9_EESK_S10_SL_SM_SN_EUlS10_E_NS1_11comp_targetILNS1_3genE9ELNS1_11target_archE1100ELNS1_3gpuE3ELNS1_3repE0EEENS1_48merge_mergepath_partition_config_static_selectorELNS0_4arch9wavefront6targetE1EEEvSM_, .Lfunc_end278-_ZN7rocprim17ROCPRIM_400000_NS6detail17trampoline_kernelINS0_14default_configENS1_38merge_sort_block_merge_config_selectorIlNS0_10empty_typeEEEZZNS1_27merge_sort_block_merge_implIS3_PlPS5_mZN2at6native12_GLOBAL__N_124unique_dim_cuda_templateIaEESt5tupleIJNSA_6TensorESF_SF_EERKSF_lbbbEUlllE_EE10hipError_tT0_T1_T2_jT3_P12ihipStream_tbPNSt15iterator_traitsISL_E10value_typeEPNSR_ISM_E10value_typeEPSN_NS1_7vsmem_tEENKUlT_SL_SM_SN_E_clIS8_S8_S9_S9_EESK_S10_SL_SM_SN_EUlS10_E_NS1_11comp_targetILNS1_3genE9ELNS1_11target_archE1100ELNS1_3gpuE3ELNS1_3repE0EEENS1_48merge_mergepath_partition_config_static_selectorELNS0_4arch9wavefront6targetE1EEEvSM_
                                        ; -- End function
	.section	.AMDGPU.csdata,"",@progbits
; Kernel info:
; codeLenInByte = 0
; NumSgprs: 6
; NumVgprs: 0
; NumAgprs: 0
; TotalNumVgprs: 0
; ScratchSize: 0
; MemoryBound: 0
; FloatMode: 240
; IeeeMode: 1
; LDSByteSize: 0 bytes/workgroup (compile time only)
; SGPRBlocks: 0
; VGPRBlocks: 0
; NumSGPRsForWavesPerEU: 6
; NumVGPRsForWavesPerEU: 1
; AccumOffset: 4
; Occupancy: 8
; WaveLimiterHint : 0
; COMPUTE_PGM_RSRC2:SCRATCH_EN: 0
; COMPUTE_PGM_RSRC2:USER_SGPR: 2
; COMPUTE_PGM_RSRC2:TRAP_HANDLER: 0
; COMPUTE_PGM_RSRC2:TGID_X_EN: 1
; COMPUTE_PGM_RSRC2:TGID_Y_EN: 0
; COMPUTE_PGM_RSRC2:TGID_Z_EN: 0
; COMPUTE_PGM_RSRC2:TIDIG_COMP_CNT: 0
; COMPUTE_PGM_RSRC3_GFX90A:ACCUM_OFFSET: 0
; COMPUTE_PGM_RSRC3_GFX90A:TG_SPLIT: 0
	.section	.text._ZN7rocprim17ROCPRIM_400000_NS6detail17trampoline_kernelINS0_14default_configENS1_38merge_sort_block_merge_config_selectorIlNS0_10empty_typeEEEZZNS1_27merge_sort_block_merge_implIS3_PlPS5_mZN2at6native12_GLOBAL__N_124unique_dim_cuda_templateIaEESt5tupleIJNSA_6TensorESF_SF_EERKSF_lbbbEUlllE_EE10hipError_tT0_T1_T2_jT3_P12ihipStream_tbPNSt15iterator_traitsISL_E10value_typeEPNSR_ISM_E10value_typeEPSN_NS1_7vsmem_tEENKUlT_SL_SM_SN_E_clIS8_S8_S9_S9_EESK_S10_SL_SM_SN_EUlS10_E_NS1_11comp_targetILNS1_3genE8ELNS1_11target_archE1030ELNS1_3gpuE2ELNS1_3repE0EEENS1_48merge_mergepath_partition_config_static_selectorELNS0_4arch9wavefront6targetE1EEEvSM_,"axG",@progbits,_ZN7rocprim17ROCPRIM_400000_NS6detail17trampoline_kernelINS0_14default_configENS1_38merge_sort_block_merge_config_selectorIlNS0_10empty_typeEEEZZNS1_27merge_sort_block_merge_implIS3_PlPS5_mZN2at6native12_GLOBAL__N_124unique_dim_cuda_templateIaEESt5tupleIJNSA_6TensorESF_SF_EERKSF_lbbbEUlllE_EE10hipError_tT0_T1_T2_jT3_P12ihipStream_tbPNSt15iterator_traitsISL_E10value_typeEPNSR_ISM_E10value_typeEPSN_NS1_7vsmem_tEENKUlT_SL_SM_SN_E_clIS8_S8_S9_S9_EESK_S10_SL_SM_SN_EUlS10_E_NS1_11comp_targetILNS1_3genE8ELNS1_11target_archE1030ELNS1_3gpuE2ELNS1_3repE0EEENS1_48merge_mergepath_partition_config_static_selectorELNS0_4arch9wavefront6targetE1EEEvSM_,comdat
	.globl	_ZN7rocprim17ROCPRIM_400000_NS6detail17trampoline_kernelINS0_14default_configENS1_38merge_sort_block_merge_config_selectorIlNS0_10empty_typeEEEZZNS1_27merge_sort_block_merge_implIS3_PlPS5_mZN2at6native12_GLOBAL__N_124unique_dim_cuda_templateIaEESt5tupleIJNSA_6TensorESF_SF_EERKSF_lbbbEUlllE_EE10hipError_tT0_T1_T2_jT3_P12ihipStream_tbPNSt15iterator_traitsISL_E10value_typeEPNSR_ISM_E10value_typeEPSN_NS1_7vsmem_tEENKUlT_SL_SM_SN_E_clIS8_S8_S9_S9_EESK_S10_SL_SM_SN_EUlS10_E_NS1_11comp_targetILNS1_3genE8ELNS1_11target_archE1030ELNS1_3gpuE2ELNS1_3repE0EEENS1_48merge_mergepath_partition_config_static_selectorELNS0_4arch9wavefront6targetE1EEEvSM_ ; -- Begin function _ZN7rocprim17ROCPRIM_400000_NS6detail17trampoline_kernelINS0_14default_configENS1_38merge_sort_block_merge_config_selectorIlNS0_10empty_typeEEEZZNS1_27merge_sort_block_merge_implIS3_PlPS5_mZN2at6native12_GLOBAL__N_124unique_dim_cuda_templateIaEESt5tupleIJNSA_6TensorESF_SF_EERKSF_lbbbEUlllE_EE10hipError_tT0_T1_T2_jT3_P12ihipStream_tbPNSt15iterator_traitsISL_E10value_typeEPNSR_ISM_E10value_typeEPSN_NS1_7vsmem_tEENKUlT_SL_SM_SN_E_clIS8_S8_S9_S9_EESK_S10_SL_SM_SN_EUlS10_E_NS1_11comp_targetILNS1_3genE8ELNS1_11target_archE1030ELNS1_3gpuE2ELNS1_3repE0EEENS1_48merge_mergepath_partition_config_static_selectorELNS0_4arch9wavefront6targetE1EEEvSM_
	.p2align	8
	.type	_ZN7rocprim17ROCPRIM_400000_NS6detail17trampoline_kernelINS0_14default_configENS1_38merge_sort_block_merge_config_selectorIlNS0_10empty_typeEEEZZNS1_27merge_sort_block_merge_implIS3_PlPS5_mZN2at6native12_GLOBAL__N_124unique_dim_cuda_templateIaEESt5tupleIJNSA_6TensorESF_SF_EERKSF_lbbbEUlllE_EE10hipError_tT0_T1_T2_jT3_P12ihipStream_tbPNSt15iterator_traitsISL_E10value_typeEPNSR_ISM_E10value_typeEPSN_NS1_7vsmem_tEENKUlT_SL_SM_SN_E_clIS8_S8_S9_S9_EESK_S10_SL_SM_SN_EUlS10_E_NS1_11comp_targetILNS1_3genE8ELNS1_11target_archE1030ELNS1_3gpuE2ELNS1_3repE0EEENS1_48merge_mergepath_partition_config_static_selectorELNS0_4arch9wavefront6targetE1EEEvSM_,@function
_ZN7rocprim17ROCPRIM_400000_NS6detail17trampoline_kernelINS0_14default_configENS1_38merge_sort_block_merge_config_selectorIlNS0_10empty_typeEEEZZNS1_27merge_sort_block_merge_implIS3_PlPS5_mZN2at6native12_GLOBAL__N_124unique_dim_cuda_templateIaEESt5tupleIJNSA_6TensorESF_SF_EERKSF_lbbbEUlllE_EE10hipError_tT0_T1_T2_jT3_P12ihipStream_tbPNSt15iterator_traitsISL_E10value_typeEPNSR_ISM_E10value_typeEPSN_NS1_7vsmem_tEENKUlT_SL_SM_SN_E_clIS8_S8_S9_S9_EESK_S10_SL_SM_SN_EUlS10_E_NS1_11comp_targetILNS1_3genE8ELNS1_11target_archE1030ELNS1_3gpuE2ELNS1_3repE0EEENS1_48merge_mergepath_partition_config_static_selectorELNS0_4arch9wavefront6targetE1EEEvSM_: ; @_ZN7rocprim17ROCPRIM_400000_NS6detail17trampoline_kernelINS0_14default_configENS1_38merge_sort_block_merge_config_selectorIlNS0_10empty_typeEEEZZNS1_27merge_sort_block_merge_implIS3_PlPS5_mZN2at6native12_GLOBAL__N_124unique_dim_cuda_templateIaEESt5tupleIJNSA_6TensorESF_SF_EERKSF_lbbbEUlllE_EE10hipError_tT0_T1_T2_jT3_P12ihipStream_tbPNSt15iterator_traitsISL_E10value_typeEPNSR_ISM_E10value_typeEPSN_NS1_7vsmem_tEENKUlT_SL_SM_SN_E_clIS8_S8_S9_S9_EESK_S10_SL_SM_SN_EUlS10_E_NS1_11comp_targetILNS1_3genE8ELNS1_11target_archE1030ELNS1_3gpuE2ELNS1_3repE0EEENS1_48merge_mergepath_partition_config_static_selectorELNS0_4arch9wavefront6targetE1EEEvSM_
; %bb.0:
	.section	.rodata,"a",@progbits
	.p2align	6, 0x0
	.amdhsa_kernel _ZN7rocprim17ROCPRIM_400000_NS6detail17trampoline_kernelINS0_14default_configENS1_38merge_sort_block_merge_config_selectorIlNS0_10empty_typeEEEZZNS1_27merge_sort_block_merge_implIS3_PlPS5_mZN2at6native12_GLOBAL__N_124unique_dim_cuda_templateIaEESt5tupleIJNSA_6TensorESF_SF_EERKSF_lbbbEUlllE_EE10hipError_tT0_T1_T2_jT3_P12ihipStream_tbPNSt15iterator_traitsISL_E10value_typeEPNSR_ISM_E10value_typeEPSN_NS1_7vsmem_tEENKUlT_SL_SM_SN_E_clIS8_S8_S9_S9_EESK_S10_SL_SM_SN_EUlS10_E_NS1_11comp_targetILNS1_3genE8ELNS1_11target_archE1030ELNS1_3gpuE2ELNS1_3repE0EEENS1_48merge_mergepath_partition_config_static_selectorELNS0_4arch9wavefront6targetE1EEEvSM_
		.amdhsa_group_segment_fixed_size 0
		.amdhsa_private_segment_fixed_size 0
		.amdhsa_kernarg_size 56
		.amdhsa_user_sgpr_count 2
		.amdhsa_user_sgpr_dispatch_ptr 0
		.amdhsa_user_sgpr_queue_ptr 0
		.amdhsa_user_sgpr_kernarg_segment_ptr 1
		.amdhsa_user_sgpr_dispatch_id 0
		.amdhsa_user_sgpr_kernarg_preload_length 0
		.amdhsa_user_sgpr_kernarg_preload_offset 0
		.amdhsa_user_sgpr_private_segment_size 0
		.amdhsa_uses_dynamic_stack 0
		.amdhsa_enable_private_segment 0
		.amdhsa_system_sgpr_workgroup_id_x 1
		.amdhsa_system_sgpr_workgroup_id_y 0
		.amdhsa_system_sgpr_workgroup_id_z 0
		.amdhsa_system_sgpr_workgroup_info 0
		.amdhsa_system_vgpr_workitem_id 0
		.amdhsa_next_free_vgpr 1
		.amdhsa_next_free_sgpr 0
		.amdhsa_accum_offset 4
		.amdhsa_reserve_vcc 0
		.amdhsa_float_round_mode_32 0
		.amdhsa_float_round_mode_16_64 0
		.amdhsa_float_denorm_mode_32 3
		.amdhsa_float_denorm_mode_16_64 3
		.amdhsa_dx10_clamp 1
		.amdhsa_ieee_mode 1
		.amdhsa_fp16_overflow 0
		.amdhsa_tg_split 0
		.amdhsa_exception_fp_ieee_invalid_op 0
		.amdhsa_exception_fp_denorm_src 0
		.amdhsa_exception_fp_ieee_div_zero 0
		.amdhsa_exception_fp_ieee_overflow 0
		.amdhsa_exception_fp_ieee_underflow 0
		.amdhsa_exception_fp_ieee_inexact 0
		.amdhsa_exception_int_div_zero 0
	.end_amdhsa_kernel
	.section	.text._ZN7rocprim17ROCPRIM_400000_NS6detail17trampoline_kernelINS0_14default_configENS1_38merge_sort_block_merge_config_selectorIlNS0_10empty_typeEEEZZNS1_27merge_sort_block_merge_implIS3_PlPS5_mZN2at6native12_GLOBAL__N_124unique_dim_cuda_templateIaEESt5tupleIJNSA_6TensorESF_SF_EERKSF_lbbbEUlllE_EE10hipError_tT0_T1_T2_jT3_P12ihipStream_tbPNSt15iterator_traitsISL_E10value_typeEPNSR_ISM_E10value_typeEPSN_NS1_7vsmem_tEENKUlT_SL_SM_SN_E_clIS8_S8_S9_S9_EESK_S10_SL_SM_SN_EUlS10_E_NS1_11comp_targetILNS1_3genE8ELNS1_11target_archE1030ELNS1_3gpuE2ELNS1_3repE0EEENS1_48merge_mergepath_partition_config_static_selectorELNS0_4arch9wavefront6targetE1EEEvSM_,"axG",@progbits,_ZN7rocprim17ROCPRIM_400000_NS6detail17trampoline_kernelINS0_14default_configENS1_38merge_sort_block_merge_config_selectorIlNS0_10empty_typeEEEZZNS1_27merge_sort_block_merge_implIS3_PlPS5_mZN2at6native12_GLOBAL__N_124unique_dim_cuda_templateIaEESt5tupleIJNSA_6TensorESF_SF_EERKSF_lbbbEUlllE_EE10hipError_tT0_T1_T2_jT3_P12ihipStream_tbPNSt15iterator_traitsISL_E10value_typeEPNSR_ISM_E10value_typeEPSN_NS1_7vsmem_tEENKUlT_SL_SM_SN_E_clIS8_S8_S9_S9_EESK_S10_SL_SM_SN_EUlS10_E_NS1_11comp_targetILNS1_3genE8ELNS1_11target_archE1030ELNS1_3gpuE2ELNS1_3repE0EEENS1_48merge_mergepath_partition_config_static_selectorELNS0_4arch9wavefront6targetE1EEEvSM_,comdat
.Lfunc_end279:
	.size	_ZN7rocprim17ROCPRIM_400000_NS6detail17trampoline_kernelINS0_14default_configENS1_38merge_sort_block_merge_config_selectorIlNS0_10empty_typeEEEZZNS1_27merge_sort_block_merge_implIS3_PlPS5_mZN2at6native12_GLOBAL__N_124unique_dim_cuda_templateIaEESt5tupleIJNSA_6TensorESF_SF_EERKSF_lbbbEUlllE_EE10hipError_tT0_T1_T2_jT3_P12ihipStream_tbPNSt15iterator_traitsISL_E10value_typeEPNSR_ISM_E10value_typeEPSN_NS1_7vsmem_tEENKUlT_SL_SM_SN_E_clIS8_S8_S9_S9_EESK_S10_SL_SM_SN_EUlS10_E_NS1_11comp_targetILNS1_3genE8ELNS1_11target_archE1030ELNS1_3gpuE2ELNS1_3repE0EEENS1_48merge_mergepath_partition_config_static_selectorELNS0_4arch9wavefront6targetE1EEEvSM_, .Lfunc_end279-_ZN7rocprim17ROCPRIM_400000_NS6detail17trampoline_kernelINS0_14default_configENS1_38merge_sort_block_merge_config_selectorIlNS0_10empty_typeEEEZZNS1_27merge_sort_block_merge_implIS3_PlPS5_mZN2at6native12_GLOBAL__N_124unique_dim_cuda_templateIaEESt5tupleIJNSA_6TensorESF_SF_EERKSF_lbbbEUlllE_EE10hipError_tT0_T1_T2_jT3_P12ihipStream_tbPNSt15iterator_traitsISL_E10value_typeEPNSR_ISM_E10value_typeEPSN_NS1_7vsmem_tEENKUlT_SL_SM_SN_E_clIS8_S8_S9_S9_EESK_S10_SL_SM_SN_EUlS10_E_NS1_11comp_targetILNS1_3genE8ELNS1_11target_archE1030ELNS1_3gpuE2ELNS1_3repE0EEENS1_48merge_mergepath_partition_config_static_selectorELNS0_4arch9wavefront6targetE1EEEvSM_
                                        ; -- End function
	.section	.AMDGPU.csdata,"",@progbits
; Kernel info:
; codeLenInByte = 0
; NumSgprs: 6
; NumVgprs: 0
; NumAgprs: 0
; TotalNumVgprs: 0
; ScratchSize: 0
; MemoryBound: 0
; FloatMode: 240
; IeeeMode: 1
; LDSByteSize: 0 bytes/workgroup (compile time only)
; SGPRBlocks: 0
; VGPRBlocks: 0
; NumSGPRsForWavesPerEU: 6
; NumVGPRsForWavesPerEU: 1
; AccumOffset: 4
; Occupancy: 8
; WaveLimiterHint : 0
; COMPUTE_PGM_RSRC2:SCRATCH_EN: 0
; COMPUTE_PGM_RSRC2:USER_SGPR: 2
; COMPUTE_PGM_RSRC2:TRAP_HANDLER: 0
; COMPUTE_PGM_RSRC2:TGID_X_EN: 1
; COMPUTE_PGM_RSRC2:TGID_Y_EN: 0
; COMPUTE_PGM_RSRC2:TGID_Z_EN: 0
; COMPUTE_PGM_RSRC2:TIDIG_COMP_CNT: 0
; COMPUTE_PGM_RSRC3_GFX90A:ACCUM_OFFSET: 0
; COMPUTE_PGM_RSRC3_GFX90A:TG_SPLIT: 0
	.section	.text._ZN7rocprim17ROCPRIM_400000_NS6detail17trampoline_kernelINS0_14default_configENS1_38merge_sort_block_merge_config_selectorIlNS0_10empty_typeEEEZZNS1_27merge_sort_block_merge_implIS3_PlPS5_mZN2at6native12_GLOBAL__N_124unique_dim_cuda_templateIaEESt5tupleIJNSA_6TensorESF_SF_EERKSF_lbbbEUlllE_EE10hipError_tT0_T1_T2_jT3_P12ihipStream_tbPNSt15iterator_traitsISL_E10value_typeEPNSR_ISM_E10value_typeEPSN_NS1_7vsmem_tEENKUlT_SL_SM_SN_E_clIS8_S8_S9_S9_EESK_S10_SL_SM_SN_EUlS10_E0_NS1_11comp_targetILNS1_3genE0ELNS1_11target_archE4294967295ELNS1_3gpuE0ELNS1_3repE0EEENS1_38merge_mergepath_config_static_selectorELNS0_4arch9wavefront6targetE1EEEvSM_,"axG",@progbits,_ZN7rocprim17ROCPRIM_400000_NS6detail17trampoline_kernelINS0_14default_configENS1_38merge_sort_block_merge_config_selectorIlNS0_10empty_typeEEEZZNS1_27merge_sort_block_merge_implIS3_PlPS5_mZN2at6native12_GLOBAL__N_124unique_dim_cuda_templateIaEESt5tupleIJNSA_6TensorESF_SF_EERKSF_lbbbEUlllE_EE10hipError_tT0_T1_T2_jT3_P12ihipStream_tbPNSt15iterator_traitsISL_E10value_typeEPNSR_ISM_E10value_typeEPSN_NS1_7vsmem_tEENKUlT_SL_SM_SN_E_clIS8_S8_S9_S9_EESK_S10_SL_SM_SN_EUlS10_E0_NS1_11comp_targetILNS1_3genE0ELNS1_11target_archE4294967295ELNS1_3gpuE0ELNS1_3repE0EEENS1_38merge_mergepath_config_static_selectorELNS0_4arch9wavefront6targetE1EEEvSM_,comdat
	.globl	_ZN7rocprim17ROCPRIM_400000_NS6detail17trampoline_kernelINS0_14default_configENS1_38merge_sort_block_merge_config_selectorIlNS0_10empty_typeEEEZZNS1_27merge_sort_block_merge_implIS3_PlPS5_mZN2at6native12_GLOBAL__N_124unique_dim_cuda_templateIaEESt5tupleIJNSA_6TensorESF_SF_EERKSF_lbbbEUlllE_EE10hipError_tT0_T1_T2_jT3_P12ihipStream_tbPNSt15iterator_traitsISL_E10value_typeEPNSR_ISM_E10value_typeEPSN_NS1_7vsmem_tEENKUlT_SL_SM_SN_E_clIS8_S8_S9_S9_EESK_S10_SL_SM_SN_EUlS10_E0_NS1_11comp_targetILNS1_3genE0ELNS1_11target_archE4294967295ELNS1_3gpuE0ELNS1_3repE0EEENS1_38merge_mergepath_config_static_selectorELNS0_4arch9wavefront6targetE1EEEvSM_ ; -- Begin function _ZN7rocprim17ROCPRIM_400000_NS6detail17trampoline_kernelINS0_14default_configENS1_38merge_sort_block_merge_config_selectorIlNS0_10empty_typeEEEZZNS1_27merge_sort_block_merge_implIS3_PlPS5_mZN2at6native12_GLOBAL__N_124unique_dim_cuda_templateIaEESt5tupleIJNSA_6TensorESF_SF_EERKSF_lbbbEUlllE_EE10hipError_tT0_T1_T2_jT3_P12ihipStream_tbPNSt15iterator_traitsISL_E10value_typeEPNSR_ISM_E10value_typeEPSN_NS1_7vsmem_tEENKUlT_SL_SM_SN_E_clIS8_S8_S9_S9_EESK_S10_SL_SM_SN_EUlS10_E0_NS1_11comp_targetILNS1_3genE0ELNS1_11target_archE4294967295ELNS1_3gpuE0ELNS1_3repE0EEENS1_38merge_mergepath_config_static_selectorELNS0_4arch9wavefront6targetE1EEEvSM_
	.p2align	8
	.type	_ZN7rocprim17ROCPRIM_400000_NS6detail17trampoline_kernelINS0_14default_configENS1_38merge_sort_block_merge_config_selectorIlNS0_10empty_typeEEEZZNS1_27merge_sort_block_merge_implIS3_PlPS5_mZN2at6native12_GLOBAL__N_124unique_dim_cuda_templateIaEESt5tupleIJNSA_6TensorESF_SF_EERKSF_lbbbEUlllE_EE10hipError_tT0_T1_T2_jT3_P12ihipStream_tbPNSt15iterator_traitsISL_E10value_typeEPNSR_ISM_E10value_typeEPSN_NS1_7vsmem_tEENKUlT_SL_SM_SN_E_clIS8_S8_S9_S9_EESK_S10_SL_SM_SN_EUlS10_E0_NS1_11comp_targetILNS1_3genE0ELNS1_11target_archE4294967295ELNS1_3gpuE0ELNS1_3repE0EEENS1_38merge_mergepath_config_static_selectorELNS0_4arch9wavefront6targetE1EEEvSM_,@function
_ZN7rocprim17ROCPRIM_400000_NS6detail17trampoline_kernelINS0_14default_configENS1_38merge_sort_block_merge_config_selectorIlNS0_10empty_typeEEEZZNS1_27merge_sort_block_merge_implIS3_PlPS5_mZN2at6native12_GLOBAL__N_124unique_dim_cuda_templateIaEESt5tupleIJNSA_6TensorESF_SF_EERKSF_lbbbEUlllE_EE10hipError_tT0_T1_T2_jT3_P12ihipStream_tbPNSt15iterator_traitsISL_E10value_typeEPNSR_ISM_E10value_typeEPSN_NS1_7vsmem_tEENKUlT_SL_SM_SN_E_clIS8_S8_S9_S9_EESK_S10_SL_SM_SN_EUlS10_E0_NS1_11comp_targetILNS1_3genE0ELNS1_11target_archE4294967295ELNS1_3gpuE0ELNS1_3repE0EEENS1_38merge_mergepath_config_static_selectorELNS0_4arch9wavefront6targetE1EEEvSM_: ; @_ZN7rocprim17ROCPRIM_400000_NS6detail17trampoline_kernelINS0_14default_configENS1_38merge_sort_block_merge_config_selectorIlNS0_10empty_typeEEEZZNS1_27merge_sort_block_merge_implIS3_PlPS5_mZN2at6native12_GLOBAL__N_124unique_dim_cuda_templateIaEESt5tupleIJNSA_6TensorESF_SF_EERKSF_lbbbEUlllE_EE10hipError_tT0_T1_T2_jT3_P12ihipStream_tbPNSt15iterator_traitsISL_E10value_typeEPNSR_ISM_E10value_typeEPSN_NS1_7vsmem_tEENKUlT_SL_SM_SN_E_clIS8_S8_S9_S9_EESK_S10_SL_SM_SN_EUlS10_E0_NS1_11comp_targetILNS1_3genE0ELNS1_11target_archE4294967295ELNS1_3gpuE0ELNS1_3repE0EEENS1_38merge_mergepath_config_static_selectorELNS0_4arch9wavefront6targetE1EEEvSM_
; %bb.0:
	.section	.rodata,"a",@progbits
	.p2align	6, 0x0
	.amdhsa_kernel _ZN7rocprim17ROCPRIM_400000_NS6detail17trampoline_kernelINS0_14default_configENS1_38merge_sort_block_merge_config_selectorIlNS0_10empty_typeEEEZZNS1_27merge_sort_block_merge_implIS3_PlPS5_mZN2at6native12_GLOBAL__N_124unique_dim_cuda_templateIaEESt5tupleIJNSA_6TensorESF_SF_EERKSF_lbbbEUlllE_EE10hipError_tT0_T1_T2_jT3_P12ihipStream_tbPNSt15iterator_traitsISL_E10value_typeEPNSR_ISM_E10value_typeEPSN_NS1_7vsmem_tEENKUlT_SL_SM_SN_E_clIS8_S8_S9_S9_EESK_S10_SL_SM_SN_EUlS10_E0_NS1_11comp_targetILNS1_3genE0ELNS1_11target_archE4294967295ELNS1_3gpuE0ELNS1_3repE0EEENS1_38merge_mergepath_config_static_selectorELNS0_4arch9wavefront6targetE1EEEvSM_
		.amdhsa_group_segment_fixed_size 0
		.amdhsa_private_segment_fixed_size 0
		.amdhsa_kernarg_size 88
		.amdhsa_user_sgpr_count 2
		.amdhsa_user_sgpr_dispatch_ptr 0
		.amdhsa_user_sgpr_queue_ptr 0
		.amdhsa_user_sgpr_kernarg_segment_ptr 1
		.amdhsa_user_sgpr_dispatch_id 0
		.amdhsa_user_sgpr_kernarg_preload_length 0
		.amdhsa_user_sgpr_kernarg_preload_offset 0
		.amdhsa_user_sgpr_private_segment_size 0
		.amdhsa_uses_dynamic_stack 0
		.amdhsa_enable_private_segment 0
		.amdhsa_system_sgpr_workgroup_id_x 1
		.amdhsa_system_sgpr_workgroup_id_y 0
		.amdhsa_system_sgpr_workgroup_id_z 0
		.amdhsa_system_sgpr_workgroup_info 0
		.amdhsa_system_vgpr_workitem_id 0
		.amdhsa_next_free_vgpr 1
		.amdhsa_next_free_sgpr 0
		.amdhsa_accum_offset 4
		.amdhsa_reserve_vcc 0
		.amdhsa_float_round_mode_32 0
		.amdhsa_float_round_mode_16_64 0
		.amdhsa_float_denorm_mode_32 3
		.amdhsa_float_denorm_mode_16_64 3
		.amdhsa_dx10_clamp 1
		.amdhsa_ieee_mode 1
		.amdhsa_fp16_overflow 0
		.amdhsa_tg_split 0
		.amdhsa_exception_fp_ieee_invalid_op 0
		.amdhsa_exception_fp_denorm_src 0
		.amdhsa_exception_fp_ieee_div_zero 0
		.amdhsa_exception_fp_ieee_overflow 0
		.amdhsa_exception_fp_ieee_underflow 0
		.amdhsa_exception_fp_ieee_inexact 0
		.amdhsa_exception_int_div_zero 0
	.end_amdhsa_kernel
	.section	.text._ZN7rocprim17ROCPRIM_400000_NS6detail17trampoline_kernelINS0_14default_configENS1_38merge_sort_block_merge_config_selectorIlNS0_10empty_typeEEEZZNS1_27merge_sort_block_merge_implIS3_PlPS5_mZN2at6native12_GLOBAL__N_124unique_dim_cuda_templateIaEESt5tupleIJNSA_6TensorESF_SF_EERKSF_lbbbEUlllE_EE10hipError_tT0_T1_T2_jT3_P12ihipStream_tbPNSt15iterator_traitsISL_E10value_typeEPNSR_ISM_E10value_typeEPSN_NS1_7vsmem_tEENKUlT_SL_SM_SN_E_clIS8_S8_S9_S9_EESK_S10_SL_SM_SN_EUlS10_E0_NS1_11comp_targetILNS1_3genE0ELNS1_11target_archE4294967295ELNS1_3gpuE0ELNS1_3repE0EEENS1_38merge_mergepath_config_static_selectorELNS0_4arch9wavefront6targetE1EEEvSM_,"axG",@progbits,_ZN7rocprim17ROCPRIM_400000_NS6detail17trampoline_kernelINS0_14default_configENS1_38merge_sort_block_merge_config_selectorIlNS0_10empty_typeEEEZZNS1_27merge_sort_block_merge_implIS3_PlPS5_mZN2at6native12_GLOBAL__N_124unique_dim_cuda_templateIaEESt5tupleIJNSA_6TensorESF_SF_EERKSF_lbbbEUlllE_EE10hipError_tT0_T1_T2_jT3_P12ihipStream_tbPNSt15iterator_traitsISL_E10value_typeEPNSR_ISM_E10value_typeEPSN_NS1_7vsmem_tEENKUlT_SL_SM_SN_E_clIS8_S8_S9_S9_EESK_S10_SL_SM_SN_EUlS10_E0_NS1_11comp_targetILNS1_3genE0ELNS1_11target_archE4294967295ELNS1_3gpuE0ELNS1_3repE0EEENS1_38merge_mergepath_config_static_selectorELNS0_4arch9wavefront6targetE1EEEvSM_,comdat
.Lfunc_end280:
	.size	_ZN7rocprim17ROCPRIM_400000_NS6detail17trampoline_kernelINS0_14default_configENS1_38merge_sort_block_merge_config_selectorIlNS0_10empty_typeEEEZZNS1_27merge_sort_block_merge_implIS3_PlPS5_mZN2at6native12_GLOBAL__N_124unique_dim_cuda_templateIaEESt5tupleIJNSA_6TensorESF_SF_EERKSF_lbbbEUlllE_EE10hipError_tT0_T1_T2_jT3_P12ihipStream_tbPNSt15iterator_traitsISL_E10value_typeEPNSR_ISM_E10value_typeEPSN_NS1_7vsmem_tEENKUlT_SL_SM_SN_E_clIS8_S8_S9_S9_EESK_S10_SL_SM_SN_EUlS10_E0_NS1_11comp_targetILNS1_3genE0ELNS1_11target_archE4294967295ELNS1_3gpuE0ELNS1_3repE0EEENS1_38merge_mergepath_config_static_selectorELNS0_4arch9wavefront6targetE1EEEvSM_, .Lfunc_end280-_ZN7rocprim17ROCPRIM_400000_NS6detail17trampoline_kernelINS0_14default_configENS1_38merge_sort_block_merge_config_selectorIlNS0_10empty_typeEEEZZNS1_27merge_sort_block_merge_implIS3_PlPS5_mZN2at6native12_GLOBAL__N_124unique_dim_cuda_templateIaEESt5tupleIJNSA_6TensorESF_SF_EERKSF_lbbbEUlllE_EE10hipError_tT0_T1_T2_jT3_P12ihipStream_tbPNSt15iterator_traitsISL_E10value_typeEPNSR_ISM_E10value_typeEPSN_NS1_7vsmem_tEENKUlT_SL_SM_SN_E_clIS8_S8_S9_S9_EESK_S10_SL_SM_SN_EUlS10_E0_NS1_11comp_targetILNS1_3genE0ELNS1_11target_archE4294967295ELNS1_3gpuE0ELNS1_3repE0EEENS1_38merge_mergepath_config_static_selectorELNS0_4arch9wavefront6targetE1EEEvSM_
                                        ; -- End function
	.section	.AMDGPU.csdata,"",@progbits
; Kernel info:
; codeLenInByte = 0
; NumSgprs: 6
; NumVgprs: 0
; NumAgprs: 0
; TotalNumVgprs: 0
; ScratchSize: 0
; MemoryBound: 0
; FloatMode: 240
; IeeeMode: 1
; LDSByteSize: 0 bytes/workgroup (compile time only)
; SGPRBlocks: 0
; VGPRBlocks: 0
; NumSGPRsForWavesPerEU: 6
; NumVGPRsForWavesPerEU: 1
; AccumOffset: 4
; Occupancy: 8
; WaveLimiterHint : 0
; COMPUTE_PGM_RSRC2:SCRATCH_EN: 0
; COMPUTE_PGM_RSRC2:USER_SGPR: 2
; COMPUTE_PGM_RSRC2:TRAP_HANDLER: 0
; COMPUTE_PGM_RSRC2:TGID_X_EN: 1
; COMPUTE_PGM_RSRC2:TGID_Y_EN: 0
; COMPUTE_PGM_RSRC2:TGID_Z_EN: 0
; COMPUTE_PGM_RSRC2:TIDIG_COMP_CNT: 0
; COMPUTE_PGM_RSRC3_GFX90A:ACCUM_OFFSET: 0
; COMPUTE_PGM_RSRC3_GFX90A:TG_SPLIT: 0
	.section	.text._ZN7rocprim17ROCPRIM_400000_NS6detail17trampoline_kernelINS0_14default_configENS1_38merge_sort_block_merge_config_selectorIlNS0_10empty_typeEEEZZNS1_27merge_sort_block_merge_implIS3_PlPS5_mZN2at6native12_GLOBAL__N_124unique_dim_cuda_templateIaEESt5tupleIJNSA_6TensorESF_SF_EERKSF_lbbbEUlllE_EE10hipError_tT0_T1_T2_jT3_P12ihipStream_tbPNSt15iterator_traitsISL_E10value_typeEPNSR_ISM_E10value_typeEPSN_NS1_7vsmem_tEENKUlT_SL_SM_SN_E_clIS8_S8_S9_S9_EESK_S10_SL_SM_SN_EUlS10_E0_NS1_11comp_targetILNS1_3genE10ELNS1_11target_archE1201ELNS1_3gpuE5ELNS1_3repE0EEENS1_38merge_mergepath_config_static_selectorELNS0_4arch9wavefront6targetE1EEEvSM_,"axG",@progbits,_ZN7rocprim17ROCPRIM_400000_NS6detail17trampoline_kernelINS0_14default_configENS1_38merge_sort_block_merge_config_selectorIlNS0_10empty_typeEEEZZNS1_27merge_sort_block_merge_implIS3_PlPS5_mZN2at6native12_GLOBAL__N_124unique_dim_cuda_templateIaEESt5tupleIJNSA_6TensorESF_SF_EERKSF_lbbbEUlllE_EE10hipError_tT0_T1_T2_jT3_P12ihipStream_tbPNSt15iterator_traitsISL_E10value_typeEPNSR_ISM_E10value_typeEPSN_NS1_7vsmem_tEENKUlT_SL_SM_SN_E_clIS8_S8_S9_S9_EESK_S10_SL_SM_SN_EUlS10_E0_NS1_11comp_targetILNS1_3genE10ELNS1_11target_archE1201ELNS1_3gpuE5ELNS1_3repE0EEENS1_38merge_mergepath_config_static_selectorELNS0_4arch9wavefront6targetE1EEEvSM_,comdat
	.globl	_ZN7rocprim17ROCPRIM_400000_NS6detail17trampoline_kernelINS0_14default_configENS1_38merge_sort_block_merge_config_selectorIlNS0_10empty_typeEEEZZNS1_27merge_sort_block_merge_implIS3_PlPS5_mZN2at6native12_GLOBAL__N_124unique_dim_cuda_templateIaEESt5tupleIJNSA_6TensorESF_SF_EERKSF_lbbbEUlllE_EE10hipError_tT0_T1_T2_jT3_P12ihipStream_tbPNSt15iterator_traitsISL_E10value_typeEPNSR_ISM_E10value_typeEPSN_NS1_7vsmem_tEENKUlT_SL_SM_SN_E_clIS8_S8_S9_S9_EESK_S10_SL_SM_SN_EUlS10_E0_NS1_11comp_targetILNS1_3genE10ELNS1_11target_archE1201ELNS1_3gpuE5ELNS1_3repE0EEENS1_38merge_mergepath_config_static_selectorELNS0_4arch9wavefront6targetE1EEEvSM_ ; -- Begin function _ZN7rocprim17ROCPRIM_400000_NS6detail17trampoline_kernelINS0_14default_configENS1_38merge_sort_block_merge_config_selectorIlNS0_10empty_typeEEEZZNS1_27merge_sort_block_merge_implIS3_PlPS5_mZN2at6native12_GLOBAL__N_124unique_dim_cuda_templateIaEESt5tupleIJNSA_6TensorESF_SF_EERKSF_lbbbEUlllE_EE10hipError_tT0_T1_T2_jT3_P12ihipStream_tbPNSt15iterator_traitsISL_E10value_typeEPNSR_ISM_E10value_typeEPSN_NS1_7vsmem_tEENKUlT_SL_SM_SN_E_clIS8_S8_S9_S9_EESK_S10_SL_SM_SN_EUlS10_E0_NS1_11comp_targetILNS1_3genE10ELNS1_11target_archE1201ELNS1_3gpuE5ELNS1_3repE0EEENS1_38merge_mergepath_config_static_selectorELNS0_4arch9wavefront6targetE1EEEvSM_
	.p2align	8
	.type	_ZN7rocprim17ROCPRIM_400000_NS6detail17trampoline_kernelINS0_14default_configENS1_38merge_sort_block_merge_config_selectorIlNS0_10empty_typeEEEZZNS1_27merge_sort_block_merge_implIS3_PlPS5_mZN2at6native12_GLOBAL__N_124unique_dim_cuda_templateIaEESt5tupleIJNSA_6TensorESF_SF_EERKSF_lbbbEUlllE_EE10hipError_tT0_T1_T2_jT3_P12ihipStream_tbPNSt15iterator_traitsISL_E10value_typeEPNSR_ISM_E10value_typeEPSN_NS1_7vsmem_tEENKUlT_SL_SM_SN_E_clIS8_S8_S9_S9_EESK_S10_SL_SM_SN_EUlS10_E0_NS1_11comp_targetILNS1_3genE10ELNS1_11target_archE1201ELNS1_3gpuE5ELNS1_3repE0EEENS1_38merge_mergepath_config_static_selectorELNS0_4arch9wavefront6targetE1EEEvSM_,@function
_ZN7rocprim17ROCPRIM_400000_NS6detail17trampoline_kernelINS0_14default_configENS1_38merge_sort_block_merge_config_selectorIlNS0_10empty_typeEEEZZNS1_27merge_sort_block_merge_implIS3_PlPS5_mZN2at6native12_GLOBAL__N_124unique_dim_cuda_templateIaEESt5tupleIJNSA_6TensorESF_SF_EERKSF_lbbbEUlllE_EE10hipError_tT0_T1_T2_jT3_P12ihipStream_tbPNSt15iterator_traitsISL_E10value_typeEPNSR_ISM_E10value_typeEPSN_NS1_7vsmem_tEENKUlT_SL_SM_SN_E_clIS8_S8_S9_S9_EESK_S10_SL_SM_SN_EUlS10_E0_NS1_11comp_targetILNS1_3genE10ELNS1_11target_archE1201ELNS1_3gpuE5ELNS1_3repE0EEENS1_38merge_mergepath_config_static_selectorELNS0_4arch9wavefront6targetE1EEEvSM_: ; @_ZN7rocprim17ROCPRIM_400000_NS6detail17trampoline_kernelINS0_14default_configENS1_38merge_sort_block_merge_config_selectorIlNS0_10empty_typeEEEZZNS1_27merge_sort_block_merge_implIS3_PlPS5_mZN2at6native12_GLOBAL__N_124unique_dim_cuda_templateIaEESt5tupleIJNSA_6TensorESF_SF_EERKSF_lbbbEUlllE_EE10hipError_tT0_T1_T2_jT3_P12ihipStream_tbPNSt15iterator_traitsISL_E10value_typeEPNSR_ISM_E10value_typeEPSN_NS1_7vsmem_tEENKUlT_SL_SM_SN_E_clIS8_S8_S9_S9_EESK_S10_SL_SM_SN_EUlS10_E0_NS1_11comp_targetILNS1_3genE10ELNS1_11target_archE1201ELNS1_3gpuE5ELNS1_3repE0EEENS1_38merge_mergepath_config_static_selectorELNS0_4arch9wavefront6targetE1EEEvSM_
; %bb.0:
	.section	.rodata,"a",@progbits
	.p2align	6, 0x0
	.amdhsa_kernel _ZN7rocprim17ROCPRIM_400000_NS6detail17trampoline_kernelINS0_14default_configENS1_38merge_sort_block_merge_config_selectorIlNS0_10empty_typeEEEZZNS1_27merge_sort_block_merge_implIS3_PlPS5_mZN2at6native12_GLOBAL__N_124unique_dim_cuda_templateIaEESt5tupleIJNSA_6TensorESF_SF_EERKSF_lbbbEUlllE_EE10hipError_tT0_T1_T2_jT3_P12ihipStream_tbPNSt15iterator_traitsISL_E10value_typeEPNSR_ISM_E10value_typeEPSN_NS1_7vsmem_tEENKUlT_SL_SM_SN_E_clIS8_S8_S9_S9_EESK_S10_SL_SM_SN_EUlS10_E0_NS1_11comp_targetILNS1_3genE10ELNS1_11target_archE1201ELNS1_3gpuE5ELNS1_3repE0EEENS1_38merge_mergepath_config_static_selectorELNS0_4arch9wavefront6targetE1EEEvSM_
		.amdhsa_group_segment_fixed_size 0
		.amdhsa_private_segment_fixed_size 0
		.amdhsa_kernarg_size 88
		.amdhsa_user_sgpr_count 2
		.amdhsa_user_sgpr_dispatch_ptr 0
		.amdhsa_user_sgpr_queue_ptr 0
		.amdhsa_user_sgpr_kernarg_segment_ptr 1
		.amdhsa_user_sgpr_dispatch_id 0
		.amdhsa_user_sgpr_kernarg_preload_length 0
		.amdhsa_user_sgpr_kernarg_preload_offset 0
		.amdhsa_user_sgpr_private_segment_size 0
		.amdhsa_uses_dynamic_stack 0
		.amdhsa_enable_private_segment 0
		.amdhsa_system_sgpr_workgroup_id_x 1
		.amdhsa_system_sgpr_workgroup_id_y 0
		.amdhsa_system_sgpr_workgroup_id_z 0
		.amdhsa_system_sgpr_workgroup_info 0
		.amdhsa_system_vgpr_workitem_id 0
		.amdhsa_next_free_vgpr 1
		.amdhsa_next_free_sgpr 0
		.amdhsa_accum_offset 4
		.amdhsa_reserve_vcc 0
		.amdhsa_float_round_mode_32 0
		.amdhsa_float_round_mode_16_64 0
		.amdhsa_float_denorm_mode_32 3
		.amdhsa_float_denorm_mode_16_64 3
		.amdhsa_dx10_clamp 1
		.amdhsa_ieee_mode 1
		.amdhsa_fp16_overflow 0
		.amdhsa_tg_split 0
		.amdhsa_exception_fp_ieee_invalid_op 0
		.amdhsa_exception_fp_denorm_src 0
		.amdhsa_exception_fp_ieee_div_zero 0
		.amdhsa_exception_fp_ieee_overflow 0
		.amdhsa_exception_fp_ieee_underflow 0
		.amdhsa_exception_fp_ieee_inexact 0
		.amdhsa_exception_int_div_zero 0
	.end_amdhsa_kernel
	.section	.text._ZN7rocprim17ROCPRIM_400000_NS6detail17trampoline_kernelINS0_14default_configENS1_38merge_sort_block_merge_config_selectorIlNS0_10empty_typeEEEZZNS1_27merge_sort_block_merge_implIS3_PlPS5_mZN2at6native12_GLOBAL__N_124unique_dim_cuda_templateIaEESt5tupleIJNSA_6TensorESF_SF_EERKSF_lbbbEUlllE_EE10hipError_tT0_T1_T2_jT3_P12ihipStream_tbPNSt15iterator_traitsISL_E10value_typeEPNSR_ISM_E10value_typeEPSN_NS1_7vsmem_tEENKUlT_SL_SM_SN_E_clIS8_S8_S9_S9_EESK_S10_SL_SM_SN_EUlS10_E0_NS1_11comp_targetILNS1_3genE10ELNS1_11target_archE1201ELNS1_3gpuE5ELNS1_3repE0EEENS1_38merge_mergepath_config_static_selectorELNS0_4arch9wavefront6targetE1EEEvSM_,"axG",@progbits,_ZN7rocprim17ROCPRIM_400000_NS6detail17trampoline_kernelINS0_14default_configENS1_38merge_sort_block_merge_config_selectorIlNS0_10empty_typeEEEZZNS1_27merge_sort_block_merge_implIS3_PlPS5_mZN2at6native12_GLOBAL__N_124unique_dim_cuda_templateIaEESt5tupleIJNSA_6TensorESF_SF_EERKSF_lbbbEUlllE_EE10hipError_tT0_T1_T2_jT3_P12ihipStream_tbPNSt15iterator_traitsISL_E10value_typeEPNSR_ISM_E10value_typeEPSN_NS1_7vsmem_tEENKUlT_SL_SM_SN_E_clIS8_S8_S9_S9_EESK_S10_SL_SM_SN_EUlS10_E0_NS1_11comp_targetILNS1_3genE10ELNS1_11target_archE1201ELNS1_3gpuE5ELNS1_3repE0EEENS1_38merge_mergepath_config_static_selectorELNS0_4arch9wavefront6targetE1EEEvSM_,comdat
.Lfunc_end281:
	.size	_ZN7rocprim17ROCPRIM_400000_NS6detail17trampoline_kernelINS0_14default_configENS1_38merge_sort_block_merge_config_selectorIlNS0_10empty_typeEEEZZNS1_27merge_sort_block_merge_implIS3_PlPS5_mZN2at6native12_GLOBAL__N_124unique_dim_cuda_templateIaEESt5tupleIJNSA_6TensorESF_SF_EERKSF_lbbbEUlllE_EE10hipError_tT0_T1_T2_jT3_P12ihipStream_tbPNSt15iterator_traitsISL_E10value_typeEPNSR_ISM_E10value_typeEPSN_NS1_7vsmem_tEENKUlT_SL_SM_SN_E_clIS8_S8_S9_S9_EESK_S10_SL_SM_SN_EUlS10_E0_NS1_11comp_targetILNS1_3genE10ELNS1_11target_archE1201ELNS1_3gpuE5ELNS1_3repE0EEENS1_38merge_mergepath_config_static_selectorELNS0_4arch9wavefront6targetE1EEEvSM_, .Lfunc_end281-_ZN7rocprim17ROCPRIM_400000_NS6detail17trampoline_kernelINS0_14default_configENS1_38merge_sort_block_merge_config_selectorIlNS0_10empty_typeEEEZZNS1_27merge_sort_block_merge_implIS3_PlPS5_mZN2at6native12_GLOBAL__N_124unique_dim_cuda_templateIaEESt5tupleIJNSA_6TensorESF_SF_EERKSF_lbbbEUlllE_EE10hipError_tT0_T1_T2_jT3_P12ihipStream_tbPNSt15iterator_traitsISL_E10value_typeEPNSR_ISM_E10value_typeEPSN_NS1_7vsmem_tEENKUlT_SL_SM_SN_E_clIS8_S8_S9_S9_EESK_S10_SL_SM_SN_EUlS10_E0_NS1_11comp_targetILNS1_3genE10ELNS1_11target_archE1201ELNS1_3gpuE5ELNS1_3repE0EEENS1_38merge_mergepath_config_static_selectorELNS0_4arch9wavefront6targetE1EEEvSM_
                                        ; -- End function
	.section	.AMDGPU.csdata,"",@progbits
; Kernel info:
; codeLenInByte = 0
; NumSgprs: 6
; NumVgprs: 0
; NumAgprs: 0
; TotalNumVgprs: 0
; ScratchSize: 0
; MemoryBound: 0
; FloatMode: 240
; IeeeMode: 1
; LDSByteSize: 0 bytes/workgroup (compile time only)
; SGPRBlocks: 0
; VGPRBlocks: 0
; NumSGPRsForWavesPerEU: 6
; NumVGPRsForWavesPerEU: 1
; AccumOffset: 4
; Occupancy: 8
; WaveLimiterHint : 0
; COMPUTE_PGM_RSRC2:SCRATCH_EN: 0
; COMPUTE_PGM_RSRC2:USER_SGPR: 2
; COMPUTE_PGM_RSRC2:TRAP_HANDLER: 0
; COMPUTE_PGM_RSRC2:TGID_X_EN: 1
; COMPUTE_PGM_RSRC2:TGID_Y_EN: 0
; COMPUTE_PGM_RSRC2:TGID_Z_EN: 0
; COMPUTE_PGM_RSRC2:TIDIG_COMP_CNT: 0
; COMPUTE_PGM_RSRC3_GFX90A:ACCUM_OFFSET: 0
; COMPUTE_PGM_RSRC3_GFX90A:TG_SPLIT: 0
	.section	.text._ZN7rocprim17ROCPRIM_400000_NS6detail17trampoline_kernelINS0_14default_configENS1_38merge_sort_block_merge_config_selectorIlNS0_10empty_typeEEEZZNS1_27merge_sort_block_merge_implIS3_PlPS5_mZN2at6native12_GLOBAL__N_124unique_dim_cuda_templateIaEESt5tupleIJNSA_6TensorESF_SF_EERKSF_lbbbEUlllE_EE10hipError_tT0_T1_T2_jT3_P12ihipStream_tbPNSt15iterator_traitsISL_E10value_typeEPNSR_ISM_E10value_typeEPSN_NS1_7vsmem_tEENKUlT_SL_SM_SN_E_clIS8_S8_S9_S9_EESK_S10_SL_SM_SN_EUlS10_E0_NS1_11comp_targetILNS1_3genE5ELNS1_11target_archE942ELNS1_3gpuE9ELNS1_3repE0EEENS1_38merge_mergepath_config_static_selectorELNS0_4arch9wavefront6targetE1EEEvSM_,"axG",@progbits,_ZN7rocprim17ROCPRIM_400000_NS6detail17trampoline_kernelINS0_14default_configENS1_38merge_sort_block_merge_config_selectorIlNS0_10empty_typeEEEZZNS1_27merge_sort_block_merge_implIS3_PlPS5_mZN2at6native12_GLOBAL__N_124unique_dim_cuda_templateIaEESt5tupleIJNSA_6TensorESF_SF_EERKSF_lbbbEUlllE_EE10hipError_tT0_T1_T2_jT3_P12ihipStream_tbPNSt15iterator_traitsISL_E10value_typeEPNSR_ISM_E10value_typeEPSN_NS1_7vsmem_tEENKUlT_SL_SM_SN_E_clIS8_S8_S9_S9_EESK_S10_SL_SM_SN_EUlS10_E0_NS1_11comp_targetILNS1_3genE5ELNS1_11target_archE942ELNS1_3gpuE9ELNS1_3repE0EEENS1_38merge_mergepath_config_static_selectorELNS0_4arch9wavefront6targetE1EEEvSM_,comdat
	.globl	_ZN7rocprim17ROCPRIM_400000_NS6detail17trampoline_kernelINS0_14default_configENS1_38merge_sort_block_merge_config_selectorIlNS0_10empty_typeEEEZZNS1_27merge_sort_block_merge_implIS3_PlPS5_mZN2at6native12_GLOBAL__N_124unique_dim_cuda_templateIaEESt5tupleIJNSA_6TensorESF_SF_EERKSF_lbbbEUlllE_EE10hipError_tT0_T1_T2_jT3_P12ihipStream_tbPNSt15iterator_traitsISL_E10value_typeEPNSR_ISM_E10value_typeEPSN_NS1_7vsmem_tEENKUlT_SL_SM_SN_E_clIS8_S8_S9_S9_EESK_S10_SL_SM_SN_EUlS10_E0_NS1_11comp_targetILNS1_3genE5ELNS1_11target_archE942ELNS1_3gpuE9ELNS1_3repE0EEENS1_38merge_mergepath_config_static_selectorELNS0_4arch9wavefront6targetE1EEEvSM_ ; -- Begin function _ZN7rocprim17ROCPRIM_400000_NS6detail17trampoline_kernelINS0_14default_configENS1_38merge_sort_block_merge_config_selectorIlNS0_10empty_typeEEEZZNS1_27merge_sort_block_merge_implIS3_PlPS5_mZN2at6native12_GLOBAL__N_124unique_dim_cuda_templateIaEESt5tupleIJNSA_6TensorESF_SF_EERKSF_lbbbEUlllE_EE10hipError_tT0_T1_T2_jT3_P12ihipStream_tbPNSt15iterator_traitsISL_E10value_typeEPNSR_ISM_E10value_typeEPSN_NS1_7vsmem_tEENKUlT_SL_SM_SN_E_clIS8_S8_S9_S9_EESK_S10_SL_SM_SN_EUlS10_E0_NS1_11comp_targetILNS1_3genE5ELNS1_11target_archE942ELNS1_3gpuE9ELNS1_3repE0EEENS1_38merge_mergepath_config_static_selectorELNS0_4arch9wavefront6targetE1EEEvSM_
	.p2align	8
	.type	_ZN7rocprim17ROCPRIM_400000_NS6detail17trampoline_kernelINS0_14default_configENS1_38merge_sort_block_merge_config_selectorIlNS0_10empty_typeEEEZZNS1_27merge_sort_block_merge_implIS3_PlPS5_mZN2at6native12_GLOBAL__N_124unique_dim_cuda_templateIaEESt5tupleIJNSA_6TensorESF_SF_EERKSF_lbbbEUlllE_EE10hipError_tT0_T1_T2_jT3_P12ihipStream_tbPNSt15iterator_traitsISL_E10value_typeEPNSR_ISM_E10value_typeEPSN_NS1_7vsmem_tEENKUlT_SL_SM_SN_E_clIS8_S8_S9_S9_EESK_S10_SL_SM_SN_EUlS10_E0_NS1_11comp_targetILNS1_3genE5ELNS1_11target_archE942ELNS1_3gpuE9ELNS1_3repE0EEENS1_38merge_mergepath_config_static_selectorELNS0_4arch9wavefront6targetE1EEEvSM_,@function
_ZN7rocprim17ROCPRIM_400000_NS6detail17trampoline_kernelINS0_14default_configENS1_38merge_sort_block_merge_config_selectorIlNS0_10empty_typeEEEZZNS1_27merge_sort_block_merge_implIS3_PlPS5_mZN2at6native12_GLOBAL__N_124unique_dim_cuda_templateIaEESt5tupleIJNSA_6TensorESF_SF_EERKSF_lbbbEUlllE_EE10hipError_tT0_T1_T2_jT3_P12ihipStream_tbPNSt15iterator_traitsISL_E10value_typeEPNSR_ISM_E10value_typeEPSN_NS1_7vsmem_tEENKUlT_SL_SM_SN_E_clIS8_S8_S9_S9_EESK_S10_SL_SM_SN_EUlS10_E0_NS1_11comp_targetILNS1_3genE5ELNS1_11target_archE942ELNS1_3gpuE9ELNS1_3repE0EEENS1_38merge_mergepath_config_static_selectorELNS0_4arch9wavefront6targetE1EEEvSM_: ; @_ZN7rocprim17ROCPRIM_400000_NS6detail17trampoline_kernelINS0_14default_configENS1_38merge_sort_block_merge_config_selectorIlNS0_10empty_typeEEEZZNS1_27merge_sort_block_merge_implIS3_PlPS5_mZN2at6native12_GLOBAL__N_124unique_dim_cuda_templateIaEESt5tupleIJNSA_6TensorESF_SF_EERKSF_lbbbEUlllE_EE10hipError_tT0_T1_T2_jT3_P12ihipStream_tbPNSt15iterator_traitsISL_E10value_typeEPNSR_ISM_E10value_typeEPSN_NS1_7vsmem_tEENKUlT_SL_SM_SN_E_clIS8_S8_S9_S9_EESK_S10_SL_SM_SN_EUlS10_E0_NS1_11comp_targetILNS1_3genE5ELNS1_11target_archE942ELNS1_3gpuE9ELNS1_3repE0EEENS1_38merge_mergepath_config_static_selectorELNS0_4arch9wavefront6targetE1EEEvSM_
; %bb.0:
	s_load_dwordx2 s[24:25], s[0:1], 0x58
	s_load_dword s5, s[0:1], 0x38
	s_add_u32 s22, s0, 0x58
	s_addc_u32 s23, s1, 0
	s_waitcnt lgkmcnt(0)
	s_mul_i32 s4, s25, s4
	s_add_i32 s3, s4, s3
	s_mul_i32 s3, s3, s24
	s_add_i32 s6, s3, s2
	s_cmp_ge_u32 s6, s5
	s_cbranch_scc1 .LBB282_136
; %bb.1:
	s_load_dwordx2 s[4:5], s[0:1], 0x50
	s_load_dwordx4 s[12:15], s[0:1], 0x8
	s_load_dwordx4 s[8:11], s[0:1], 0x28
	s_mov_b32 s7, 0
	s_lshl_b64 s[16:17], s[6:7], 3
	s_waitcnt lgkmcnt(0)
	s_add_u32 s4, s4, s16
	s_addc_u32 s5, s5, s17
	v_mov_b32_e32 v1, s10
	v_alignbit_b32 v1, s11, v1, 9
	v_and_b32_e32 v1, -2, v1
	v_sub_u32_e32 v1, 0, v1
	s_load_dwordx4 s[16:19], s[4:5], 0x0
	v_and_b32_e32 v2, s6, v1
	v_mov_b32_e32 v3, 0
	v_lshlrev_b64 v[6:7], 10, v[2:3]
	s_lshl_b64 s[20:21], s[6:7], 10
	v_mov_b32_e32 v5, s21
	v_sub_co_u32_e32 v4, vcc, s20, v6
	v_lshlrev_b64 v[2:3], 11, v[2:3]
	s_nop 0
	v_subb_co_u32_e32 v5, vcc, v5, v7, vcc
	v_lshl_add_u64 v[8:9], v[2:3], 0, s[10:11]
	v_lshl_add_u64 v[2:3], v[8:9], 0, v[4:5]
	s_waitcnt lgkmcnt(0)
	v_mov_b32_e32 v5, s19
	v_subrev_co_u32_e32 v4, vcc, s18, v2
	s_mov_b64 s[4:5], 0x400
	s_nop 0
	v_subb_co_u32_e32 v5, vcc, v3, v5, vcc
	v_or_b32_e32 v1, s6, v1
	v_lshl_add_u64 v[10:11], v[4:5], 0, s[4:5]
	v_cmp_ne_u32_e32 vcc, -1, v1
	v_cmp_lt_u64_e64 s[4:5], s[8:9], v[10:11]
	s_cbranch_vccz .LBB282_3
; %bb.2:
	v_mov_b32_e32 v1, s8
	v_mov_b64_e32 v[4:5], s[18:19]
	v_cndmask_b32_e64 v6, v10, v1, s[4:5]
	s_branch .LBB282_4
.LBB282_3:
	v_sub_co_u32_e32 v6, vcc, v8, v6
	v_mov_b32_e32 v1, s8
	s_nop 0
	v_subb_co_u32_e32 v7, vcc, v9, v7, vcc
	v_cmp_lt_u64_e32 vcc, s[8:9], v[6:7]
	s_nop 1
	v_cndmask_b32_e32 v4, v6, v1, vcc
	v_lshl_add_u64 v[6:7], v[6:7], 0, s[10:11]
	v_cmp_lt_u64_e32 vcc, s[8:9], v[6:7]
	s_nop 1
	v_cndmask_b32_e32 v6, v6, v1, vcc
.LBB282_4:
	s_lshr_b64 s[18:19], s[8:9], 10
	s_cmp_lg_u64 s[18:19], s[6:7]
	s_cselect_b64 s[10:11], -1, 0
	s_lshl_b64 s[4:5], s[16:17], 3
	s_add_u32 s4, s12, s4
	s_addc_u32 s5, s13, s5
	s_cmp_lt_u32 s2, s24
	v_mov_b32_e32 v19, 0
	s_cselect_b32 s2, 12, 18
	global_load_dword v5, v19, s[22:23] offset:14
	s_add_u32 s2, s22, s2
	s_addc_u32 s3, s23, 0
	global_load_ushort v7, v19, s[2:3]
	v_mov_b32_e32 v8, s17
	v_subrev_co_u32_e32 v2, vcc, s16, v2
	v_mov_b32_e32 v9, s9
	s_nop 0
	v_subb_co_u32_e32 v3, vcc, v3, v8, vcc
	v_mov_b32_e32 v10, s8
	v_cmp_lt_u64_e32 vcc, s[8:9], v[2:3]
	v_subrev_u32_e32 v1, s16, v4
	s_cmp_eq_u64 s[18:19], s[6:7]
	v_cndmask_b32_e32 v3, v3, v9, vcc
	v_cndmask_b32_e32 v2, v2, v10, vcc
	v_sub_u32_e32 v25, v6, v2
	v_lshlrev_b64 v[2:3], 3, v[2:3]
	v_lshl_add_u64 v[20:21], s[12:13], 0, v[2:3]
	v_lshlrev_b32_e32 v18, 3, v0
	s_waitcnt vmcnt(1)
	v_lshrrev_b32_e32 v2, 16, v5
	v_and_b32_e32 v3, 0xffff, v5
	v_mul_lo_u32 v2, v3, v2
	s_waitcnt vmcnt(0)
	v_mul_lo_u32 v26, v2, v7
	s_cbranch_scc1 .LBB282_6
; %bb.5:
	v_sub_u32_e32 v4, v0, v1
	v_mov_b32_e32 v5, v19
	v_add_u32_e32 v6, v26, v0
	v_lshl_add_u64 v[2:3], s[4:5], 0, v[18:19]
	v_lshl_add_u64 v[4:5], v[4:5], 3, v[20:21]
	v_cmp_lt_u32_e32 vcc, v0, v1
	v_mov_b32_e32 v7, v19
	v_sub_u32_e32 v8, v6, v1
	v_mov_b32_e32 v9, v19
	v_cndmask_b32_e32 v3, v5, v3, vcc
	v_cndmask_b32_e32 v2, v4, v2, vcc
	v_lshl_add_u64 v[4:5], v[6:7], 3, s[4:5]
	v_lshl_add_u64 v[8:9], v[8:9], 3, v[20:21]
	v_cmp_lt_u32_e32 vcc, v6, v1
	v_mov_b32_e32 v11, v19
	v_mov_b32_e32 v13, v19
	v_cndmask_b32_e32 v4, v8, v4, vcc
	v_add_u32_e32 v8, v6, v26
	v_cndmask_b32_e32 v5, v9, v5, vcc
	v_mov_b32_e32 v9, v19
	v_sub_u32_e32 v10, v8, v1
	v_lshl_add_u64 v[6:7], v[8:9], 3, s[4:5]
	v_lshl_add_u64 v[10:11], v[10:11], 3, v[20:21]
	v_cmp_lt_u32_e32 vcc, v8, v1
	v_mov_b32_e32 v15, v19
	v_mov_b32_e32 v17, v19
	v_cndmask_b32_e32 v6, v10, v6, vcc
	v_add_u32_e32 v10, v8, v26
	v_cndmask_b32_e32 v7, v11, v7, vcc
	v_mov_b32_e32 v11, v19
	v_sub_u32_e32 v12, v10, v1
	;; [unrolled: 10-line block ×3, first 2 shown]
	v_lshl_add_u64 v[10:11], v[12:13], 3, s[4:5]
	v_lshl_add_u64 v[14:15], v[14:15], 3, v[20:21]
	v_cmp_lt_u32_e32 vcc, v12, v1
	global_load_dwordx2 v[2:3], v[2:3], off
	v_add_u32_e32 v24, v1, v25
	v_cndmask_b32_e32 v10, v14, v10, vcc
	v_add_u32_e32 v14, v12, v26
	v_cndmask_b32_e32 v11, v15, v11, vcc
	v_mov_b32_e32 v15, v19
	v_sub_u32_e32 v16, v14, v1
	v_lshl_add_u64 v[12:13], v[14:15], 3, s[4:5]
	v_lshl_add_u64 v[16:17], v[16:17], 3, v[20:21]
	v_cmp_lt_u32_e32 vcc, v14, v1
	global_load_dwordx2 v[4:5], v[4:5], off
	s_nop 0
	v_cndmask_b32_e32 v13, v17, v13, vcc
	v_cndmask_b32_e32 v12, v16, v12, vcc
	v_add_u32_e32 v16, v14, v26
	v_mov_b32_e32 v17, v19
	v_lshl_add_u64 v[14:15], v[16:17], 3, s[4:5]
	v_sub_u32_e32 v22, v16, v1
	v_cmp_lt_u32_e32 vcc, v16, v1
	v_add_u32_e32 v16, v16, v26
	v_lshl_add_u64 v[22:23], v[22:23], 3, v[20:21]
	v_sub_u32_e32 v28, v16, v1
	v_cndmask_b32_e32 v15, v23, v15, vcc
	v_cndmask_b32_e32 v14, v22, v14, vcc
	v_lshl_add_u64 v[22:23], v[16:17], 3, s[4:5]
	v_lshl_add_u64 v[28:29], v[28:29], 3, v[20:21]
	v_cmp_lt_u32_e32 vcc, v16, v1
	global_load_dwordx2 v[6:7], v[6:7], off
	s_nop 0
	v_cndmask_b32_e32 v17, v29, v23, vcc
	v_cndmask_b32_e32 v16, v28, v22, vcc
	global_load_dwordx2 v[8:9], v[8:9], off
	s_nop 0
	global_load_dwordx2 v[10:11], v[10:11], off
	s_nop 0
	;; [unrolled: 2-line block ×4, first 2 shown]
	global_load_dwordx2 v[16:17], v[16:17], off
	s_cbranch_execz .LBB282_7
	s_branch .LBB282_24
.LBB282_6:
                                        ; implicit-def: $vgpr2_vgpr3_vgpr4_vgpr5_vgpr6_vgpr7_vgpr8_vgpr9_vgpr10_vgpr11_vgpr12_vgpr13_vgpr14_vgpr15_vgpr16_vgpr17
                                        ; implicit-def: $vgpr24
.LBB282_7:
	v_add_u32_e32 v24, v1, v25
	v_cmp_lt_u32_e32 vcc, v0, v24
                                        ; implicit-def: $vgpr2_vgpr3_vgpr4_vgpr5_vgpr6_vgpr7_vgpr8_vgpr9_vgpr10_vgpr11_vgpr12_vgpr13_vgpr14_vgpr15_vgpr16_vgpr17
	s_and_saveexec_b64 s[2:3], vcc
	s_cbranch_execz .LBB282_9
; %bb.8:
	v_mov_b32_e32 v19, 0
	s_waitcnt vmcnt(6)
	v_sub_u32_e32 v4, v0, v1
	v_mov_b32_e32 v5, v19
	v_lshl_add_u64 v[2:3], s[4:5], 0, v[18:19]
	v_lshl_add_u64 v[4:5], v[4:5], 3, v[20:21]
	v_cmp_lt_u32_e32 vcc, v0, v1
	s_nop 1
	v_cndmask_b32_e32 v3, v5, v3, vcc
	v_cndmask_b32_e32 v2, v4, v2, vcc
	global_load_dwordx2 v[2:3], v[2:3], off
.LBB282_9:
	s_or_b64 exec, exec, s[2:3]
	v_add_u32_e32 v22, v26, v0
	v_cmp_lt_u32_e32 vcc, v22, v24
	s_and_saveexec_b64 s[2:3], vcc
	s_cbranch_execz .LBB282_11
; %bb.10:
	v_mov_b32_e32 v23, 0
	v_sub_u32_e32 v28, v22, v1
	v_mov_b32_e32 v29, v23
	s_waitcnt vmcnt(6)
	v_lshl_add_u64 v[4:5], v[22:23], 3, s[4:5]
	v_lshl_add_u64 v[28:29], v[28:29], 3, v[20:21]
	v_cmp_lt_u32_e32 vcc, v22, v1
	s_nop 1
	v_cndmask_b32_e32 v5, v29, v5, vcc
	v_cndmask_b32_e32 v4, v28, v4, vcc
	global_load_dwordx2 v[4:5], v[4:5], off
.LBB282_11:
	s_or_b64 exec, exec, s[2:3]
	v_add_u32_e32 v22, v22, v26
	v_cmp_lt_u32_e32 vcc, v22, v24
	s_and_saveexec_b64 s[2:3], vcc
	s_cbranch_execz .LBB282_13
; %bb.12:
	v_mov_b32_e32 v23, 0
	v_sub_u32_e32 v28, v22, v1
	v_mov_b32_e32 v29, v23
	s_waitcnt vmcnt(5)
	v_lshl_add_u64 v[6:7], v[22:23], 3, s[4:5]
	v_lshl_add_u64 v[28:29], v[28:29], 3, v[20:21]
	v_cmp_lt_u32_e32 vcc, v22, v1
	s_nop 1
	v_cndmask_b32_e32 v7, v29, v7, vcc
	v_cndmask_b32_e32 v6, v28, v6, vcc
	global_load_dwordx2 v[6:7], v[6:7], off
.LBB282_13:
	;; [unrolled: 18-line block ×6, first 2 shown]
	s_or_b64 exec, exec, s[2:3]
	v_add_u32_e32 v22, v22, v26
	v_cmp_lt_u32_e32 vcc, v22, v24
	s_and_saveexec_b64 s[2:3], vcc
	s_cbranch_execz .LBB282_23
; %bb.22:
	v_mov_b32_e32 v23, 0
	s_waitcnt vmcnt(0)
	v_lshl_add_u64 v[16:17], v[22:23], 3, s[4:5]
	v_cmp_lt_u32_e32 vcc, v22, v1
	v_sub_u32_e32 v22, v22, v1
	v_lshl_add_u64 v[20:21], v[22:23], 3, v[20:21]
	v_cndmask_b32_e32 v17, v21, v17, vcc
	v_cndmask_b32_e32 v16, v20, v16, vcc
	global_load_dwordx2 v[16:17], v[16:17], off
.LBB282_23:
	s_or_b64 exec, exec, s[2:3]
.LBB282_24:
	s_load_dwordx4 s[4:7], s[0:1], 0x40
	v_min_u32_e32 v19, v24, v18
	v_sub_u32_e64 v25, v19, v25 clamp
	v_min_u32_e32 v26, v19, v1
	v_cmp_lt_u32_e32 vcc, v25, v26
	s_waitcnt vmcnt(0)
	ds_write2st64_b64 v18, v[2:3], v[4:5] offset1:2
	ds_write2st64_b64 v18, v[6:7], v[8:9] offset0:4 offset1:6
	ds_write2st64_b64 v18, v[10:11], v[12:13] offset0:8 offset1:10
	;; [unrolled: 1-line block ×3, first 2 shown]
	s_waitcnt lgkmcnt(0)
	s_barrier
	s_and_saveexec_b64 s[2:3], vcc
	s_cbranch_execz .LBB282_34
; %bb.25:
	v_lshlrev_b32_e32 v20, 3, v19
	v_cmp_gt_i64_e64 s[0:1], s[4:5], 0
	v_lshl_add_u32 v27, v1, 3, v20
	s_mov_b64 s[12:13], 0
	v_cndmask_b32_e64 v20, 0, 1, s[0:1]
	v_cmp_ne_u32_e64 s[0:1], 1, v20
	s_branch .LBB282_28
.LBB282_26:                             ;   in Loop: Header=BB282_28 Depth=1
	s_or_b64 exec, exec, s[18:19]
.LBB282_27:                             ;   in Loop: Header=BB282_28 Depth=1
	v_add_u32_e32 v20, 1, v28
	v_cndmask_b32_e64 v26, v26, v28, s[16:17]
	v_cndmask_b32_e64 v25, v20, v25, s[16:17]
	v_cmp_ge_u32_e32 vcc, v25, v26
	s_or_b64 s[12:13], vcc, s[12:13]
	s_andn2_b64 exec, exec, s[12:13]
	s_cbranch_execz .LBB282_33
.LBB282_28:                             ; =>This Loop Header: Depth=1
                                        ;     Child Loop BB282_31 Depth 2
	v_add_u32_e32 v20, v26, v25
	v_lshrrev_b32_e32 v28, 1, v20
	s_and_b64 vcc, exec, s[0:1]
	s_mov_b64 s[16:17], 0
	s_cbranch_vccnz .LBB282_27
; %bb.29:                               ;   in Loop: Header=BB282_28 Depth=1
	v_not_b32_e32 v20, v28
	v_lshl_add_u32 v20, v20, 3, v27
	ds_read_b64 v[20:21], v20
	v_lshlrev_b32_e32 v29, 3, v28
	ds_read_b64 v[30:31], v29
	v_mov_b64_e32 v[22:23], s[6:7]
	s_mov_b64 s[18:19], 0
	s_waitcnt lgkmcnt(1)
	v_mul_lo_u32 v29, v20, s5
	v_mul_lo_u32 v32, v21, s4
	v_mad_u64_u32 v[20:21], s[16:17], v20, s4, v[22:23]
	v_add3_u32 v21, v32, v21, v29
	s_waitcnt lgkmcnt(0)
	v_mul_lo_u32 v29, v30, s5
	v_mul_lo_u32 v31, v31, s4
	v_mad_u64_u32 v[22:23], s[16:17], v30, s4, v[22:23]
	v_add3_u32 v23, v31, v23, v29
	s_mov_b64 s[26:27], s[4:5]
                                        ; implicit-def: $sgpr16_sgpr17
                                        ; implicit-def: $sgpr22_sgpr23
                                        ; implicit-def: $sgpr24_sgpr25
                                        ; implicit-def: $sgpr28_sgpr29
                                        ; implicit-def: $sgpr30_sgpr31
	s_branch .LBB282_31
.LBB282_30:                             ;   in Loop: Header=BB282_31 Depth=2
	s_or_b64 exec, exec, s[34:35]
	s_and_b64 s[34:35], exec, s[22:23]
	s_or_b64 s[18:19], s[34:35], s[18:19]
	s_andn2_b64 s[30:31], s[30:31], exec
	s_and_b64 s[34:35], s[24:25], exec
	s_or_b64 s[30:31], s[30:31], s[34:35]
	s_andn2_b64 s[16:17], s[16:17], exec
	s_and_b64 s[34:35], s[28:29], exec
	s_or_b64 s[16:17], s[16:17], s[34:35]
	s_andn2_b64 exec, exec, s[18:19]
	s_cbranch_execz .LBB282_26
.LBB282_31:                             ;   Parent Loop BB282_28 Depth=1
                                        ; =>  This Inner Loop Header: Depth=2
	global_load_ubyte v29, v[20:21], off
	global_load_ubyte v30, v[22:23], off
	s_andn2_b64 s[28:29], s[28:29], exec
	s_andn2_b64 s[24:25], s[24:25], exec
	s_or_b64 s[22:23], s[22:23], exec
	s_waitcnt vmcnt(0)
	v_cmp_le_i16_sdwa s[36:37], sext(v29), sext(v30) src0_sel:BYTE_0 src1_sel:BYTE_0
	v_cmp_lt_i16_sdwa s[34:35], sext(v29), sext(v30) src0_sel:BYTE_0 src1_sel:BYTE_0
	s_and_b64 s[36:37], s[36:37], s[30:31]
	s_or_b64 s[36:37], s[34:35], s[36:37]
	s_and_b64 s[34:35], s[36:37], exec
	v_cmp_eq_u16_sdwa s[38:39], v29, v30 src0_sel:BYTE_0 src1_sel:BYTE_0
	s_or_b64 s[28:29], s[28:29], s[34:35]
	s_and_saveexec_b64 s[34:35], s[38:39]
	s_cbranch_execz .LBB282_30
; %bb.32:                               ;   in Loop: Header=BB282_31 Depth=2
	s_add_u32 s26, s26, -1
	s_addc_u32 s27, s27, -1
	s_cmp_eq_u64 s[26:27], 0
	s_cselect_b64 s[30:31], -1, 0
	s_andn2_b64 s[24:25], s[24:25], exec
	s_and_b64 s[36:37], s[36:37], exec
	s_andn2_b64 s[22:23], s[22:23], exec
	s_and_b64 s[30:31], s[30:31], exec
	v_lshl_add_u64 v[20:21], v[20:21], 0, 1
	v_lshl_add_u64 v[22:23], v[22:23], 0, 1
	s_andn2_b64 s[28:29], s[28:29], exec
	s_or_b64 s[24:25], s[24:25], s[36:37]
	s_or_b64 s[22:23], s[22:23], s[30:31]
                                        ; implicit-def: $sgpr30_sgpr31
	s_branch .LBB282_30
.LBB282_33:
	s_or_b64 exec, exec, s[12:13]
.LBB282_34:
	s_or_b64 exec, exec, s[2:3]
	v_sub_u32_e32 v19, v19, v25
	v_add_u32_e32 v21, v19, v1
	v_cmp_le_u32_e32 vcc, v25, v1
	v_cmp_le_u32_e64 s[0:1], v21, v24
	s_or_b64 s[0:1], vcc, s[0:1]
	s_and_saveexec_b64 s[2:3], s[0:1]
	s_cbranch_execz .LBB282_122
; %bb.35:
	v_cmp_ge_u32_e32 vcc, v25, v1
	v_cmp_lt_u32_e64 s[0:1], v25, v1
                                        ; implicit-def: $vgpr2_vgpr3
	s_and_saveexec_b64 s[12:13], s[0:1]
	s_cbranch_execz .LBB282_37
; %bb.36:
	v_lshlrev_b32_e32 v2, 3, v25
	ds_read_b64 v[2:3], v2
.LBB282_37:
	s_or_b64 exec, exec, s[12:13]
	v_cmp_ge_u32_e64 s[12:13], v21, v24
	v_cmp_lt_u32_e64 s[0:1], v21, v24
                                        ; implicit-def: $vgpr14_vgpr15
	s_and_saveexec_b64 s[16:17], s[0:1]
	s_cbranch_execz .LBB282_39
; %bb.38:
	v_lshlrev_b32_e32 v4, 3, v21
	ds_read_b64 v[14:15], v4
.LBB282_39:
	s_or_b64 exec, exec, s[16:17]
	s_or_b64 s[16:17], vcc, s[12:13]
	s_mov_b64 s[18:19], 0
	v_cmp_gt_i64_e64 s[0:1], s[4:5], 0
	s_xor_b64 s[22:23], s[16:17], -1
	s_and_saveexec_b64 s[16:17], s[22:23]
	s_cbranch_execz .LBB282_47
; %bb.40:
	s_andn2_b64 vcc, exec, s[0:1]
	s_cbranch_vccnz .LBB282_46
; %bb.41:
	v_mov_b64_e32 v[6:7], s[6:7]
	s_waitcnt lgkmcnt(0)
	v_mad_u64_u32 v[4:5], s[18:19], v14, s4, v[6:7]
	v_mul_lo_u32 v8, v14, s5
	v_mul_lo_u32 v9, v15, s4
	v_add3_u32 v5, v9, v5, v8
	v_mad_u64_u32 v[6:7], s[18:19], v2, s4, v[6:7]
	v_mul_lo_u32 v8, v2, s5
	v_mul_lo_u32 v9, v3, s4
	v_add3_u32 v7, v9, v7, v8
	s_mov_b64 s[22:23], 0
	s_mov_b64 s[28:29], s[4:5]
                                        ; implicit-def: $sgpr18_sgpr19
                                        ; implicit-def: $sgpr24_sgpr25
                                        ; implicit-def: $sgpr26_sgpr27
                                        ; implicit-def: $sgpr30_sgpr31
                                        ; implicit-def: $sgpr34_sgpr35
	s_branch .LBB282_43
.LBB282_42:                             ;   in Loop: Header=BB282_43 Depth=1
	s_or_b64 exec, exec, s[36:37]
	s_and_b64 s[36:37], exec, s[24:25]
	s_or_b64 s[22:23], s[36:37], s[22:23]
	s_andn2_b64 s[34:35], s[34:35], exec
	s_and_b64 s[36:37], s[26:27], exec
	s_or_b64 s[34:35], s[34:35], s[36:37]
	s_andn2_b64 s[18:19], s[18:19], exec
	s_and_b64 s[36:37], s[30:31], exec
	s_or_b64 s[18:19], s[18:19], s[36:37]
	s_andn2_b64 exec, exec, s[22:23]
	s_cbranch_execz .LBB282_45
.LBB282_43:                             ; =>This Inner Loop Header: Depth=1
	global_load_ubyte v8, v[4:5], off
	global_load_ubyte v9, v[6:7], off
	s_andn2_b64 s[30:31], s[30:31], exec
	s_andn2_b64 s[26:27], s[26:27], exec
	s_or_b64 s[24:25], s[24:25], exec
	s_waitcnt vmcnt(0)
	v_cmp_le_i16_sdwa s[38:39], sext(v8), sext(v9) src0_sel:BYTE_0 src1_sel:BYTE_0
	v_cmp_lt_i16_sdwa s[36:37], sext(v8), sext(v9) src0_sel:BYTE_0 src1_sel:BYTE_0
	s_and_b64 s[38:39], s[38:39], s[34:35]
	s_or_b64 s[38:39], s[36:37], s[38:39]
	s_and_b64 s[36:37], s[38:39], exec
	v_cmp_eq_u16_sdwa s[40:41], v8, v9 src0_sel:BYTE_0 src1_sel:BYTE_0
	s_or_b64 s[30:31], s[30:31], s[36:37]
	s_and_saveexec_b64 s[36:37], s[40:41]
	s_cbranch_execz .LBB282_42
; %bb.44:                               ;   in Loop: Header=BB282_43 Depth=1
	s_add_u32 s28, s28, -1
	s_addc_u32 s29, s29, -1
	s_cmp_eq_u64 s[28:29], 0
	s_cselect_b64 s[34:35], -1, 0
	s_andn2_b64 s[26:27], s[26:27], exec
	s_and_b64 s[38:39], s[38:39], exec
	s_andn2_b64 s[24:25], s[24:25], exec
	s_and_b64 s[34:35], s[34:35], exec
	v_lshl_add_u64 v[4:5], v[4:5], 0, 1
	v_lshl_add_u64 v[6:7], v[6:7], 0, 1
	s_andn2_b64 s[30:31], s[30:31], exec
	s_or_b64 s[26:27], s[26:27], s[38:39]
	s_or_b64 s[24:25], s[24:25], s[34:35]
                                        ; implicit-def: $sgpr34_sgpr35
	s_branch .LBB282_42
.LBB282_45:
	s_or_b64 exec, exec, s[22:23]
.LBB282_46:
	s_xor_b64 s[18:19], s[18:19], -1
	s_andn2_b64 s[12:13], s[12:13], exec
	s_and_b64 s[18:19], s[18:19], exec
	s_or_b64 s[12:13], s[12:13], s[18:19]
.LBB282_47:
	s_or_b64 exec, exec, s[16:17]
	v_cndmask_b32_e64 v4, v21, v25, s[12:13]
	v_cndmask_b32_e64 v5, v24, v1, s[12:13]
	v_add_u32_e32 v6, 1, v4
	v_add_u32_e32 v4, -1, v5
	v_min_u32_e32 v4, v6, v4
	v_lshlrev_b32_e32 v4, 3, v4
	ds_read_b64 v[4:5], v4
	v_cndmask_b32_e64 v8, v6, v21, s[12:13]
	v_cndmask_b32_e64 v9, v25, v6, s[12:13]
	v_cmp_lt_u32_e32 vcc, v8, v24
	s_mov_b64 s[18:19], -1
	s_waitcnt lgkmcnt(0)
	v_cndmask_b32_e64 v16, v5, v15, s[12:13]
	v_cndmask_b32_e64 v17, v4, v14, s[12:13]
	;; [unrolled: 1-line block ×4, first 2 shown]
	s_mov_b64 s[16:17], -1
	s_and_saveexec_b64 s[22:23], vcc
	s_cbranch_execz .LBB282_57
; %bb.48:
	v_cmp_lt_u32_e32 vcc, v9, v1
	s_mov_b64 s[24:25], 0
	s_and_saveexec_b64 s[16:17], vcc
	s_cbranch_execz .LBB282_56
; %bb.49:
	s_andn2_b64 vcc, exec, s[0:1]
	s_cbranch_vccnz .LBB282_55
; %bb.50:
	v_mov_b64_e32 v[6:7], s[6:7]
	v_mad_u64_u32 v[4:5], s[24:25], v17, s4, v[6:7]
	v_mul_lo_u32 v10, v17, s5
	v_mul_lo_u32 v11, v16, s4
	v_add3_u32 v5, v11, v5, v10
	v_mad_u64_u32 v[6:7], s[24:25], v20, s4, v[6:7]
	v_mul_lo_u32 v10, v20, s5
	v_mul_lo_u32 v11, v19, s4
	v_add3_u32 v7, v11, v7, v10
	s_mov_b64 s[26:27], 0
	s_mov_b64 s[34:35], s[4:5]
                                        ; implicit-def: $sgpr24_sgpr25
                                        ; implicit-def: $sgpr28_sgpr29
                                        ; implicit-def: $sgpr30_sgpr31
                                        ; implicit-def: $sgpr36_sgpr37
                                        ; implicit-def: $sgpr38_sgpr39
	s_branch .LBB282_52
.LBB282_51:                             ;   in Loop: Header=BB282_52 Depth=1
	s_or_b64 exec, exec, s[40:41]
	s_and_b64 s[40:41], exec, s[28:29]
	s_or_b64 s[26:27], s[40:41], s[26:27]
	s_andn2_b64 s[38:39], s[38:39], exec
	s_and_b64 s[40:41], s[30:31], exec
	s_or_b64 s[38:39], s[38:39], s[40:41]
	s_andn2_b64 s[24:25], s[24:25], exec
	s_and_b64 s[40:41], s[36:37], exec
	s_or_b64 s[24:25], s[24:25], s[40:41]
	s_andn2_b64 exec, exec, s[26:27]
	s_cbranch_execz .LBB282_54
.LBB282_52:                             ; =>This Inner Loop Header: Depth=1
	global_load_ubyte v10, v[4:5], off
	global_load_ubyte v11, v[6:7], off
	s_andn2_b64 s[36:37], s[36:37], exec
	s_andn2_b64 s[30:31], s[30:31], exec
	s_or_b64 s[28:29], s[28:29], exec
	s_waitcnt vmcnt(0)
	v_cmp_le_i16_sdwa s[42:43], sext(v10), sext(v11) src0_sel:BYTE_0 src1_sel:BYTE_0
	v_cmp_lt_i16_sdwa s[40:41], sext(v10), sext(v11) src0_sel:BYTE_0 src1_sel:BYTE_0
	s_and_b64 s[42:43], s[42:43], s[38:39]
	s_or_b64 s[42:43], s[40:41], s[42:43]
	s_and_b64 s[40:41], s[42:43], exec
	v_cmp_eq_u16_sdwa s[44:45], v10, v11 src0_sel:BYTE_0 src1_sel:BYTE_0
	s_or_b64 s[36:37], s[36:37], s[40:41]
	s_and_saveexec_b64 s[40:41], s[44:45]
	s_cbranch_execz .LBB282_51
; %bb.53:                               ;   in Loop: Header=BB282_52 Depth=1
	s_add_u32 s34, s34, -1
	s_addc_u32 s35, s35, -1
	s_cmp_eq_u64 s[34:35], 0
	s_cselect_b64 s[38:39], -1, 0
	s_andn2_b64 s[30:31], s[30:31], exec
	s_and_b64 s[42:43], s[42:43], exec
	s_andn2_b64 s[28:29], s[28:29], exec
	s_and_b64 s[38:39], s[38:39], exec
	v_lshl_add_u64 v[4:5], v[4:5], 0, 1
	v_lshl_add_u64 v[6:7], v[6:7], 0, 1
	s_andn2_b64 s[36:37], s[36:37], exec
	s_or_b64 s[30:31], s[30:31], s[42:43]
	s_or_b64 s[28:29], s[28:29], s[38:39]
                                        ; implicit-def: $sgpr38_sgpr39
	s_branch .LBB282_51
.LBB282_54:
	s_or_b64 exec, exec, s[26:27]
.LBB282_55:
	s_xor_b64 s[24:25], s[24:25], -1
	s_and_b64 s[24:25], s[24:25], exec
.LBB282_56:
	s_or_b64 exec, exec, s[16:17]
	s_orn2_b64 s[16:17], s[24:25], exec
.LBB282_57:
	s_or_b64 exec, exec, s[22:23]
	v_cndmask_b32_e64 v4, v8, v9, s[16:17]
	v_cndmask_b32_e64 v5, v24, v1, s[16:17]
	v_add_u32_e32 v6, 1, v4
	v_add_u32_e32 v4, -1, v5
	v_min_u32_e32 v4, v6, v4
	v_lshlrev_b32_e32 v4, 3, v4
	ds_read_b64 v[4:5], v4
	v_cndmask_b32_e64 v10, v6, v8, s[16:17]
	v_cndmask_b32_e64 v11, v9, v6, s[16:17]
	v_cmp_lt_u32_e32 vcc, v10, v24
	s_waitcnt lgkmcnt(0)
	v_cndmask_b32_e64 v21, v5, v16, s[16:17]
	v_cndmask_b32_e64 v22, v4, v17, s[16:17]
	;; [unrolled: 1-line block ×4, first 2 shown]
	s_and_saveexec_b64 s[22:23], vcc
	s_cbranch_execz .LBB282_67
; %bb.58:
	v_cmp_lt_u32_e32 vcc, v11, v1
	s_mov_b64 s[24:25], 0
	s_and_saveexec_b64 s[18:19], vcc
	s_cbranch_execz .LBB282_66
; %bb.59:
	s_andn2_b64 vcc, exec, s[0:1]
	s_cbranch_vccnz .LBB282_65
; %bb.60:
	v_mov_b64_e32 v[6:7], s[6:7]
	v_mad_u64_u32 v[4:5], s[24:25], v22, s4, v[6:7]
	v_mul_lo_u32 v8, v22, s5
	v_mul_lo_u32 v9, v21, s4
	v_add3_u32 v5, v9, v5, v8
	v_mad_u64_u32 v[6:7], s[24:25], v25, s4, v[6:7]
	v_mul_lo_u32 v8, v25, s5
	v_mul_lo_u32 v9, v23, s4
	v_add3_u32 v7, v9, v7, v8
	s_mov_b64 s[26:27], 0
	s_mov_b64 s[34:35], s[4:5]
                                        ; implicit-def: $sgpr24_sgpr25
                                        ; implicit-def: $sgpr28_sgpr29
                                        ; implicit-def: $sgpr30_sgpr31
                                        ; implicit-def: $sgpr36_sgpr37
                                        ; implicit-def: $sgpr38_sgpr39
	s_branch .LBB282_62
.LBB282_61:                             ;   in Loop: Header=BB282_62 Depth=1
	s_or_b64 exec, exec, s[40:41]
	s_and_b64 s[40:41], exec, s[28:29]
	s_or_b64 s[26:27], s[40:41], s[26:27]
	s_andn2_b64 s[38:39], s[38:39], exec
	s_and_b64 s[40:41], s[30:31], exec
	s_or_b64 s[38:39], s[38:39], s[40:41]
	s_andn2_b64 s[24:25], s[24:25], exec
	s_and_b64 s[40:41], s[36:37], exec
	s_or_b64 s[24:25], s[24:25], s[40:41]
	s_andn2_b64 exec, exec, s[26:27]
	s_cbranch_execz .LBB282_64
.LBB282_62:                             ; =>This Inner Loop Header: Depth=1
	global_load_ubyte v8, v[4:5], off
	global_load_ubyte v9, v[6:7], off
	s_andn2_b64 s[36:37], s[36:37], exec
	s_andn2_b64 s[30:31], s[30:31], exec
	s_or_b64 s[28:29], s[28:29], exec
	s_waitcnt vmcnt(0)
	v_cmp_le_i16_sdwa s[42:43], sext(v8), sext(v9) src0_sel:BYTE_0 src1_sel:BYTE_0
	v_cmp_lt_i16_sdwa s[40:41], sext(v8), sext(v9) src0_sel:BYTE_0 src1_sel:BYTE_0
	s_and_b64 s[42:43], s[42:43], s[38:39]
	s_or_b64 s[42:43], s[40:41], s[42:43]
	s_and_b64 s[40:41], s[42:43], exec
	v_cmp_eq_u16_sdwa s[44:45], v8, v9 src0_sel:BYTE_0 src1_sel:BYTE_0
	s_or_b64 s[36:37], s[36:37], s[40:41]
	s_and_saveexec_b64 s[40:41], s[44:45]
	s_cbranch_execz .LBB282_61
; %bb.63:                               ;   in Loop: Header=BB282_62 Depth=1
	s_add_u32 s34, s34, -1
	s_addc_u32 s35, s35, -1
	s_cmp_eq_u64 s[34:35], 0
	s_cselect_b64 s[38:39], -1, 0
	s_andn2_b64 s[30:31], s[30:31], exec
	s_and_b64 s[42:43], s[42:43], exec
	s_andn2_b64 s[28:29], s[28:29], exec
	s_and_b64 s[38:39], s[38:39], exec
	v_lshl_add_u64 v[4:5], v[4:5], 0, 1
	v_lshl_add_u64 v[6:7], v[6:7], 0, 1
	s_andn2_b64 s[36:37], s[36:37], exec
	s_or_b64 s[30:31], s[30:31], s[42:43]
	s_or_b64 s[28:29], s[28:29], s[38:39]
                                        ; implicit-def: $sgpr38_sgpr39
	s_branch .LBB282_61
.LBB282_64:
	s_or_b64 exec, exec, s[26:27]
.LBB282_65:
	s_xor_b64 s[24:25], s[24:25], -1
	s_and_b64 s[24:25], s[24:25], exec
.LBB282_66:
	s_or_b64 exec, exec, s[18:19]
	s_orn2_b64 s[18:19], s[24:25], exec
.LBB282_67:
	s_or_b64 exec, exec, s[22:23]
	v_cndmask_b32_e64 v4, v10, v11, s[18:19]
	v_cndmask_b32_e64 v5, v24, v1, s[18:19]
	v_add_u32_e32 v6, 1, v4
	v_add_u32_e32 v4, -1, v5
	v_min_u32_e32 v4, v6, v4
	v_lshlrev_b32_e32 v4, 3, v4
	ds_read_b64 v[4:5], v4
	v_cndmask_b32_e64 v12, v6, v10, s[18:19]
	v_cndmask_b32_e64 v13, v11, v6, s[18:19]
	v_cmp_lt_u32_e32 vcc, v12, v24
	s_mov_b64 s[24:25], -1
	s_waitcnt lgkmcnt(0)
	v_cndmask_b32_e64 v8, v5, v21, s[18:19]
	v_cndmask_b32_e64 v26, v4, v22, s[18:19]
	v_cndmask_b32_e64 v9, v23, v5, s[18:19]
	v_cndmask_b32_e64 v27, v25, v4, s[18:19]
	s_mov_b64 s[22:23], -1
	s_and_saveexec_b64 s[26:27], vcc
	s_cbranch_execz .LBB282_78
; %bb.68:
	v_cmp_lt_u32_e32 vcc, v13, v1
	s_mov_b64 s[28:29], 0
	s_and_saveexec_b64 s[22:23], vcc
	s_cbranch_execz .LBB282_77
; %bb.69:
	s_andn2_b64 vcc, exec, s[0:1]
	s_cbranch_vccnz .LBB282_75
; %bb.70:
	v_mov_b64_e32 v[6:7], s[6:7]
	v_mad_u64_u32 v[4:5], s[28:29], v26, s4, v[6:7]
	v_mul_lo_u32 v10, v26, s5
	v_mul_lo_u32 v11, v8, s4
	v_add3_u32 v5, v11, v5, v10
	v_mad_u64_u32 v[6:7], s[28:29], v27, s4, v[6:7]
	v_mul_lo_u32 v10, v27, s5
	v_mul_lo_u32 v11, v9, s4
	v_add3_u32 v7, v11, v7, v10
	s_mov_b64 s[28:29], 0
	s_mov_b64 s[38:39], s[4:5]
                                        ; implicit-def: $sgpr30_sgpr31
                                        ; implicit-def: $sgpr34_sgpr35
                                        ; implicit-def: $sgpr40_sgpr41
                                        ; implicit-def: $sgpr36_sgpr37
                                        ; implicit-def: $sgpr42_sgpr43
	s_branch .LBB282_72
.LBB282_71:                             ;   in Loop: Header=BB282_72 Depth=1
	s_or_b64 exec, exec, s[44:45]
	s_and_b64 s[44:45], exec, s[34:35]
	s_or_b64 s[28:29], s[44:45], s[28:29]
	s_andn2_b64 s[42:43], s[42:43], exec
	s_and_b64 s[44:45], s[36:37], exec
	s_or_b64 s[42:43], s[42:43], s[44:45]
	s_andn2_b64 s[30:31], s[30:31], exec
	s_and_b64 s[44:45], s[40:41], exec
	s_or_b64 s[30:31], s[30:31], s[44:45]
	s_andn2_b64 exec, exec, s[28:29]
	s_cbranch_execz .LBB282_74
.LBB282_72:                             ; =>This Inner Loop Header: Depth=1
	global_load_ubyte v10, v[4:5], off
	global_load_ubyte v11, v[6:7], off
	s_andn2_b64 s[40:41], s[40:41], exec
	s_andn2_b64 s[36:37], s[36:37], exec
	s_or_b64 s[34:35], s[34:35], exec
	s_waitcnt vmcnt(0)
	v_cmp_le_i16_sdwa s[46:47], sext(v10), sext(v11) src0_sel:BYTE_0 src1_sel:BYTE_0
	v_cmp_lt_i16_sdwa s[44:45], sext(v10), sext(v11) src0_sel:BYTE_0 src1_sel:BYTE_0
	s_and_b64 s[46:47], s[46:47], s[42:43]
	s_or_b64 s[46:47], s[44:45], s[46:47]
	s_and_b64 s[44:45], s[46:47], exec
	v_cmp_eq_u16_sdwa s[48:49], v10, v11 src0_sel:BYTE_0 src1_sel:BYTE_0
	s_or_b64 s[40:41], s[40:41], s[44:45]
	s_and_saveexec_b64 s[44:45], s[48:49]
	s_cbranch_execz .LBB282_71
; %bb.73:                               ;   in Loop: Header=BB282_72 Depth=1
	s_add_u32 s38, s38, -1
	s_addc_u32 s39, s39, -1
	s_cmp_eq_u64 s[38:39], 0
	s_cselect_b64 s[42:43], -1, 0
	s_andn2_b64 s[36:37], s[36:37], exec
	s_and_b64 s[46:47], s[46:47], exec
	s_andn2_b64 s[34:35], s[34:35], exec
	s_and_b64 s[42:43], s[42:43], exec
	v_lshl_add_u64 v[4:5], v[4:5], 0, 1
	v_lshl_add_u64 v[6:7], v[6:7], 0, 1
	s_or_b64 s[36:37], s[36:37], s[46:47]
	s_andn2_b64 s[40:41], s[40:41], exec
	s_or_b64 s[34:35], s[34:35], s[42:43]
                                        ; implicit-def: $sgpr42_sgpr43
	s_branch .LBB282_71
.LBB282_74:
	s_or_b64 exec, exec, s[28:29]
	s_xor_b64 s[28:29], s[30:31], -1
	s_branch .LBB282_76
.LBB282_75:
	s_mov_b64 s[28:29], -1
.LBB282_76:
	s_and_b64 s[28:29], s[28:29], exec
.LBB282_77:
	s_or_b64 exec, exec, s[22:23]
	s_orn2_b64 s[22:23], s[28:29], exec
.LBB282_78:
	s_or_b64 exec, exec, s[26:27]
	v_cndmask_b32_e64 v4, v12, v13, s[22:23]
	v_cndmask_b32_e64 v5, v24, v1, s[22:23]
	v_add_u32_e32 v6, 1, v4
	v_add_u32_e32 v4, -1, v5
	v_min_u32_e32 v4, v6, v4
	v_lshlrev_b32_e32 v4, 3, v4
	ds_read_b64 v[4:5], v4
	v_cndmask_b32_e64 v32, v6, v12, s[22:23]
	v_cndmask_b32_e64 v33, v13, v6, s[22:23]
	v_cmp_lt_u32_e32 vcc, v32, v24
	s_waitcnt lgkmcnt(0)
	v_cndmask_b32_e64 v10, v5, v8, s[22:23]
	v_cndmask_b32_e64 v28, v4, v26, s[22:23]
	;; [unrolled: 1-line block ×4, first 2 shown]
	s_and_saveexec_b64 s[26:27], vcc
	s_cbranch_execz .LBB282_89
; %bb.79:
	v_cmp_lt_u32_e32 vcc, v33, v1
	s_mov_b64 s[28:29], 0
	s_and_saveexec_b64 s[24:25], vcc
	s_cbranch_execz .LBB282_88
; %bb.80:
	s_andn2_b64 vcc, exec, s[0:1]
	s_cbranch_vccnz .LBB282_86
; %bb.81:
	v_mov_b64_e32 v[6:7], s[6:7]
	v_mad_u64_u32 v[4:5], s[28:29], v28, s4, v[6:7]
	v_mul_lo_u32 v12, v28, s5
	v_mul_lo_u32 v13, v10, s4
	v_add3_u32 v5, v13, v5, v12
	v_mad_u64_u32 v[6:7], s[28:29], v29, s4, v[6:7]
	v_mul_lo_u32 v12, v29, s5
	v_mul_lo_u32 v13, v11, s4
	v_add3_u32 v7, v13, v7, v12
	s_mov_b64 s[28:29], 0
	s_mov_b64 s[38:39], s[4:5]
                                        ; implicit-def: $sgpr30_sgpr31
                                        ; implicit-def: $sgpr34_sgpr35
                                        ; implicit-def: $sgpr40_sgpr41
                                        ; implicit-def: $sgpr36_sgpr37
                                        ; implicit-def: $sgpr42_sgpr43
	s_branch .LBB282_83
.LBB282_82:                             ;   in Loop: Header=BB282_83 Depth=1
	s_or_b64 exec, exec, s[44:45]
	s_and_b64 s[44:45], exec, s[34:35]
	s_or_b64 s[28:29], s[44:45], s[28:29]
	s_andn2_b64 s[42:43], s[42:43], exec
	s_and_b64 s[44:45], s[36:37], exec
	s_or_b64 s[42:43], s[42:43], s[44:45]
	s_andn2_b64 s[30:31], s[30:31], exec
	s_and_b64 s[44:45], s[40:41], exec
	s_or_b64 s[30:31], s[30:31], s[44:45]
	s_andn2_b64 exec, exec, s[28:29]
	s_cbranch_execz .LBB282_85
.LBB282_83:                             ; =>This Inner Loop Header: Depth=1
	global_load_ubyte v12, v[4:5], off
	global_load_ubyte v13, v[6:7], off
	s_andn2_b64 s[40:41], s[40:41], exec
	s_andn2_b64 s[36:37], s[36:37], exec
	s_or_b64 s[34:35], s[34:35], exec
	s_waitcnt vmcnt(0)
	v_cmp_le_i16_sdwa s[46:47], sext(v12), sext(v13) src0_sel:BYTE_0 src1_sel:BYTE_0
	v_cmp_lt_i16_sdwa s[44:45], sext(v12), sext(v13) src0_sel:BYTE_0 src1_sel:BYTE_0
	s_and_b64 s[46:47], s[46:47], s[42:43]
	s_or_b64 s[46:47], s[44:45], s[46:47]
	s_and_b64 s[44:45], s[46:47], exec
	v_cmp_eq_u16_sdwa s[48:49], v12, v13 src0_sel:BYTE_0 src1_sel:BYTE_0
	s_or_b64 s[40:41], s[40:41], s[44:45]
	s_and_saveexec_b64 s[44:45], s[48:49]
	s_cbranch_execz .LBB282_82
; %bb.84:                               ;   in Loop: Header=BB282_83 Depth=1
	s_add_u32 s38, s38, -1
	s_addc_u32 s39, s39, -1
	s_cmp_eq_u64 s[38:39], 0
	s_cselect_b64 s[42:43], -1, 0
	s_andn2_b64 s[36:37], s[36:37], exec
	s_and_b64 s[46:47], s[46:47], exec
	s_andn2_b64 s[34:35], s[34:35], exec
	s_and_b64 s[42:43], s[42:43], exec
	v_lshl_add_u64 v[4:5], v[4:5], 0, 1
	v_lshl_add_u64 v[6:7], v[6:7], 0, 1
	s_or_b64 s[36:37], s[36:37], s[46:47]
	s_andn2_b64 s[40:41], s[40:41], exec
	s_or_b64 s[34:35], s[34:35], s[42:43]
                                        ; implicit-def: $sgpr42_sgpr43
	s_branch .LBB282_82
.LBB282_85:
	s_or_b64 exec, exec, s[28:29]
	s_xor_b64 s[28:29], s[30:31], -1
	s_branch .LBB282_87
.LBB282_86:
	s_mov_b64 s[28:29], -1
.LBB282_87:
	s_and_b64 s[28:29], s[28:29], exec
.LBB282_88:
	s_or_b64 exec, exec, s[24:25]
	s_orn2_b64 s[24:25], s[28:29], exec
.LBB282_89:
	s_or_b64 exec, exec, s[26:27]
	v_cndmask_b32_e64 v4, v32, v33, s[24:25]
	v_cndmask_b32_e64 v5, v24, v1, s[24:25]
	v_add_u32_e32 v6, 1, v4
	v_add_u32_e32 v4, -1, v5
	v_min_u32_e32 v4, v6, v4
	v_lshlrev_b32_e32 v4, 3, v4
	ds_read_b64 v[4:5], v4
	v_cndmask_b32_e64 v34, v6, v32, s[24:25]
	v_cndmask_b32_e64 v38, v33, v6, s[24:25]
	v_cmp_lt_u32_e32 vcc, v34, v24
	s_mov_b64 s[26:27], -1
	s_waitcnt lgkmcnt(0)
	v_cndmask_b32_e64 v12, v5, v10, s[24:25]
	v_cndmask_b32_e64 v30, v4, v28, s[24:25]
	;; [unrolled: 1-line block ×4, first 2 shown]
	s_mov_b64 s[28:29], -1
	s_and_saveexec_b64 s[30:31], vcc
	s_cbranch_execz .LBB282_100
; %bb.90:
	v_cmp_lt_u32_e32 vcc, v38, v1
	s_mov_b64 s[34:35], 0
	s_and_saveexec_b64 s[28:29], vcc
	s_cbranch_execz .LBB282_99
; %bb.91:
	s_andn2_b64 vcc, exec, s[0:1]
	s_cbranch_vccnz .LBB282_97
; %bb.92:
	v_mov_b64_e32 v[6:7], s[6:7]
	v_mad_u64_u32 v[4:5], s[34:35], v30, s4, v[6:7]
	v_mul_lo_u32 v32, v30, s5
	v_mul_lo_u32 v33, v12, s4
	v_add3_u32 v5, v33, v5, v32
	v_mad_u64_u32 v[6:7], s[34:35], v31, s4, v[6:7]
	v_mul_lo_u32 v32, v31, s5
	v_mul_lo_u32 v33, v13, s4
	v_add3_u32 v7, v33, v7, v32
	s_mov_b64 s[34:35], 0
	s_mov_b64 s[42:43], s[4:5]
                                        ; implicit-def: $sgpr36_sgpr37
                                        ; implicit-def: $sgpr38_sgpr39
                                        ; implicit-def: $sgpr44_sgpr45
                                        ; implicit-def: $sgpr40_sgpr41
                                        ; implicit-def: $sgpr46_sgpr47
	s_branch .LBB282_94
.LBB282_93:                             ;   in Loop: Header=BB282_94 Depth=1
	s_or_b64 exec, exec, s[48:49]
	s_and_b64 s[48:49], exec, s[38:39]
	s_or_b64 s[34:35], s[48:49], s[34:35]
	s_andn2_b64 s[46:47], s[46:47], exec
	s_and_b64 s[48:49], s[40:41], exec
	s_or_b64 s[46:47], s[46:47], s[48:49]
	s_andn2_b64 s[36:37], s[36:37], exec
	s_and_b64 s[48:49], s[44:45], exec
	s_or_b64 s[36:37], s[36:37], s[48:49]
	s_andn2_b64 exec, exec, s[34:35]
	s_cbranch_execz .LBB282_96
.LBB282_94:                             ; =>This Inner Loop Header: Depth=1
	global_load_ubyte v32, v[4:5], off
	global_load_ubyte v33, v[6:7], off
	s_andn2_b64 s[44:45], s[44:45], exec
	s_andn2_b64 s[40:41], s[40:41], exec
	s_or_b64 s[38:39], s[38:39], exec
	s_waitcnt vmcnt(0)
	v_cmp_le_i16_sdwa s[50:51], sext(v32), sext(v33) src0_sel:BYTE_0 src1_sel:BYTE_0
	v_cmp_lt_i16_sdwa s[48:49], sext(v32), sext(v33) src0_sel:BYTE_0 src1_sel:BYTE_0
	s_and_b64 s[50:51], s[50:51], s[46:47]
	s_or_b64 s[50:51], s[48:49], s[50:51]
	s_and_b64 s[48:49], s[50:51], exec
	v_cmp_eq_u16_sdwa s[52:53], v32, v33 src0_sel:BYTE_0 src1_sel:BYTE_0
	s_or_b64 s[44:45], s[44:45], s[48:49]
	s_and_saveexec_b64 s[48:49], s[52:53]
	s_cbranch_execz .LBB282_93
; %bb.95:                               ;   in Loop: Header=BB282_94 Depth=1
	s_add_u32 s42, s42, -1
	s_addc_u32 s43, s43, -1
	s_cmp_eq_u64 s[42:43], 0
	s_cselect_b64 s[46:47], -1, 0
	s_andn2_b64 s[40:41], s[40:41], exec
	s_and_b64 s[50:51], s[50:51], exec
	s_andn2_b64 s[38:39], s[38:39], exec
	s_and_b64 s[46:47], s[46:47], exec
	v_lshl_add_u64 v[4:5], v[4:5], 0, 1
	v_lshl_add_u64 v[6:7], v[6:7], 0, 1
	s_or_b64 s[40:41], s[40:41], s[50:51]
	s_andn2_b64 s[44:45], s[44:45], exec
	s_or_b64 s[38:39], s[38:39], s[46:47]
                                        ; implicit-def: $sgpr46_sgpr47
	s_branch .LBB282_93
.LBB282_96:
	s_or_b64 exec, exec, s[34:35]
	s_xor_b64 s[34:35], s[36:37], -1
	s_branch .LBB282_98
.LBB282_97:
	s_mov_b64 s[34:35], -1
.LBB282_98:
	s_and_b64 s[34:35], s[34:35], exec
.LBB282_99:
	s_or_b64 exec, exec, s[28:29]
	s_orn2_b64 s[28:29], s[34:35], exec
.LBB282_100:
	s_or_b64 exec, exec, s[30:31]
	v_cndmask_b32_e64 v4, v34, v38, s[28:29]
	v_cndmask_b32_e64 v5, v24, v1, s[28:29]
	v_add_u32_e32 v6, 1, v4
	v_add_u32_e32 v4, -1, v5
	v_min_u32_e32 v4, v6, v4
	v_lshlrev_b32_e32 v4, 3, v4
	ds_read_b64 v[4:5], v4
	v_cndmask_b32_e64 v35, v6, v34, s[28:29]
	v_cndmask_b32_e64 v34, v38, v6, s[28:29]
	v_cmp_lt_u32_e32 vcc, v35, v24
	s_waitcnt lgkmcnt(0)
	v_cndmask_b32_e64 v32, v5, v12, s[28:29]
	v_cndmask_b32_e64 v33, v4, v30, s[28:29]
	;; [unrolled: 1-line block ×4, first 2 shown]
	s_and_saveexec_b64 s[30:31], vcc
	s_cbranch_execz .LBB282_111
; %bb.101:
	v_cmp_lt_u32_e32 vcc, v34, v1
	s_mov_b64 s[34:35], 0
	s_and_saveexec_b64 s[26:27], vcc
	s_cbranch_execz .LBB282_110
; %bb.102:
	s_andn2_b64 vcc, exec, s[0:1]
	s_cbranch_vccnz .LBB282_108
; %bb.103:
	v_mov_b64_e32 v[6:7], s[6:7]
	v_mad_u64_u32 v[4:5], s[34:35], v33, s4, v[6:7]
	v_mul_lo_u32 v38, v33, s5
	v_mul_lo_u32 v39, v32, s4
	v_add3_u32 v5, v39, v5, v38
	v_mad_u64_u32 v[6:7], s[34:35], v37, s4, v[6:7]
	v_mul_lo_u32 v38, v37, s5
	v_mul_lo_u32 v39, v36, s4
	v_add3_u32 v7, v39, v7, v38
	s_mov_b64 s[34:35], 0
	s_mov_b64 s[42:43], s[4:5]
                                        ; implicit-def: $sgpr36_sgpr37
                                        ; implicit-def: $sgpr38_sgpr39
                                        ; implicit-def: $sgpr44_sgpr45
                                        ; implicit-def: $sgpr40_sgpr41
                                        ; implicit-def: $sgpr46_sgpr47
	s_branch .LBB282_105
.LBB282_104:                            ;   in Loop: Header=BB282_105 Depth=1
	s_or_b64 exec, exec, s[48:49]
	s_and_b64 s[48:49], exec, s[38:39]
	s_or_b64 s[34:35], s[48:49], s[34:35]
	s_andn2_b64 s[46:47], s[46:47], exec
	s_and_b64 s[48:49], s[40:41], exec
	s_or_b64 s[46:47], s[46:47], s[48:49]
	s_andn2_b64 s[36:37], s[36:37], exec
	s_and_b64 s[48:49], s[44:45], exec
	s_or_b64 s[36:37], s[36:37], s[48:49]
	s_andn2_b64 exec, exec, s[34:35]
	s_cbranch_execz .LBB282_107
.LBB282_105:                            ; =>This Inner Loop Header: Depth=1
	global_load_ubyte v38, v[4:5], off
	global_load_ubyte v39, v[6:7], off
	s_andn2_b64 s[44:45], s[44:45], exec
	s_andn2_b64 s[40:41], s[40:41], exec
	s_or_b64 s[38:39], s[38:39], exec
	s_waitcnt vmcnt(0)
	v_cmp_le_i16_sdwa s[50:51], sext(v38), sext(v39) src0_sel:BYTE_0 src1_sel:BYTE_0
	v_cmp_lt_i16_sdwa s[48:49], sext(v38), sext(v39) src0_sel:BYTE_0 src1_sel:BYTE_0
	s_and_b64 s[50:51], s[50:51], s[46:47]
	s_or_b64 s[50:51], s[48:49], s[50:51]
	s_and_b64 s[48:49], s[50:51], exec
	v_cmp_eq_u16_sdwa s[52:53], v38, v39 src0_sel:BYTE_0 src1_sel:BYTE_0
	s_or_b64 s[44:45], s[44:45], s[48:49]
	s_and_saveexec_b64 s[48:49], s[52:53]
	s_cbranch_execz .LBB282_104
; %bb.106:                              ;   in Loop: Header=BB282_105 Depth=1
	s_add_u32 s42, s42, -1
	s_addc_u32 s43, s43, -1
	s_cmp_eq_u64 s[42:43], 0
	s_cselect_b64 s[46:47], -1, 0
	s_andn2_b64 s[40:41], s[40:41], exec
	s_and_b64 s[50:51], s[50:51], exec
	s_andn2_b64 s[38:39], s[38:39], exec
	s_and_b64 s[46:47], s[46:47], exec
	v_lshl_add_u64 v[4:5], v[4:5], 0, 1
	v_lshl_add_u64 v[6:7], v[6:7], 0, 1
	s_or_b64 s[40:41], s[40:41], s[50:51]
	s_andn2_b64 s[44:45], s[44:45], exec
	s_or_b64 s[38:39], s[38:39], s[46:47]
                                        ; implicit-def: $sgpr46_sgpr47
	s_branch .LBB282_104
.LBB282_107:
	s_or_b64 exec, exec, s[34:35]
	s_xor_b64 s[34:35], s[36:37], -1
	s_branch .LBB282_109
.LBB282_108:
	s_mov_b64 s[34:35], -1
.LBB282_109:
	s_and_b64 s[34:35], s[34:35], exec
.LBB282_110:
	s_or_b64 exec, exec, s[26:27]
	s_orn2_b64 s[26:27], s[34:35], exec
.LBB282_111:
	s_or_b64 exec, exec, s[30:31]
	v_cndmask_b32_e64 v5, v16, v19, s[16:17]
	v_cndmask_b32_e64 v4, v17, v20, s[16:17]
	;; [unrolled: 1-line block ×4, first 2 shown]
	v_add_u32_e32 v19, 1, v16
	v_add_u32_e32 v16, -1, v17
	v_min_u32_e32 v16, v19, v16
	v_lshlrev_b32_e32 v16, 3, v16
	v_cndmask_b32_e64 v7, v21, v23, s[18:19]
	ds_read_b64 v[20:21], v16
	v_cndmask_b32_e64 v6, v22, v25, s[18:19]
	v_cndmask_b32_e64 v22, v19, v35, s[26:27]
	;; [unrolled: 1-line block ×12, first 2 shown]
	s_waitcnt lgkmcnt(0)
	v_cndmask_b32_e64 v17, v36, v21, s[26:27]
	v_cndmask_b32_e64 v16, v37, v20, s[26:27]
	v_cmp_lt_u32_e32 vcc, v22, v24
	s_and_saveexec_b64 s[12:13], vcc
	s_cbranch_execz .LBB282_121
; %bb.112:
	v_cndmask_b32_e64 v19, v34, v19, s[26:27]
	v_cndmask_b32_e64 v21, v21, v32, s[26:27]
	;; [unrolled: 1-line block ×3, first 2 shown]
	v_cmp_lt_u32_e32 vcc, v19, v1
	s_and_saveexec_b64 s[16:17], vcc
	s_cbranch_execz .LBB282_120
; %bb.113:
	s_andn2_b64 vcc, exec, s[0:1]
	s_cbranch_vccnz .LBB282_119
; %bb.114:
	v_mov_b64_e32 v[24:25], s[6:7]
	v_mad_u64_u32 v[22:23], s[0:1], v20, s4, v[24:25]
	v_mul_lo_u32 v1, v20, s5
	v_mul_lo_u32 v19, v21, s4
	v_add3_u32 v23, v19, v23, v1
	v_mad_u64_u32 v[24:25], s[0:1], v16, s4, v[24:25]
	v_mul_lo_u32 v1, v16, s5
	v_mul_lo_u32 v19, v17, s4
	v_add3_u32 v25, v19, v25, v1
	s_mov_b64 s[0:1], 0
                                        ; implicit-def: $sgpr6_sgpr7
                                        ; implicit-def: $sgpr18_sgpr19
                                        ; implicit-def: $sgpr24_sgpr25
                                        ; implicit-def: $sgpr22_sgpr23
                                        ; implicit-def: $sgpr26_sgpr27
	s_branch .LBB282_116
.LBB282_115:                            ;   in Loop: Header=BB282_116 Depth=1
	s_or_b64 exec, exec, s[28:29]
	s_and_b64 s[28:29], exec, s[18:19]
	s_or_b64 s[0:1], s[28:29], s[0:1]
	s_andn2_b64 s[26:27], s[26:27], exec
	s_and_b64 s[28:29], s[22:23], exec
	s_or_b64 s[26:27], s[26:27], s[28:29]
	s_andn2_b64 s[6:7], s[6:7], exec
	s_and_b64 s[28:29], s[24:25], exec
	s_or_b64 s[6:7], s[6:7], s[28:29]
	s_andn2_b64 exec, exec, s[0:1]
	s_cbranch_execz .LBB282_118
.LBB282_116:                            ; =>This Inner Loop Header: Depth=1
	global_load_ubyte v1, v[22:23], off
	global_load_ubyte v19, v[24:25], off
	s_andn2_b64 s[24:25], s[24:25], exec
	s_andn2_b64 s[22:23], s[22:23], exec
	s_or_b64 s[18:19], s[18:19], exec
	s_waitcnt vmcnt(0)
	v_cmp_le_i16_sdwa s[30:31], sext(v1), sext(v19) src0_sel:BYTE_0 src1_sel:BYTE_0
	v_cmp_lt_i16_sdwa s[28:29], sext(v1), sext(v19) src0_sel:BYTE_0 src1_sel:BYTE_0
	s_and_b64 s[30:31], s[30:31], s[26:27]
	s_or_b64 s[30:31], s[28:29], s[30:31]
	s_and_b64 s[28:29], s[30:31], exec
	v_cmp_eq_u16_sdwa s[34:35], v1, v19 src0_sel:BYTE_0 src1_sel:BYTE_0
	s_or_b64 s[24:25], s[24:25], s[28:29]
	s_and_saveexec_b64 s[28:29], s[34:35]
	s_cbranch_execz .LBB282_115
; %bb.117:                              ;   in Loop: Header=BB282_116 Depth=1
	s_add_u32 s4, s4, -1
	s_addc_u32 s5, s5, -1
	s_cmp_eq_u64 s[4:5], 0
	s_cselect_b64 s[26:27], -1, 0
	s_andn2_b64 s[22:23], s[22:23], exec
	s_and_b64 s[30:31], s[30:31], exec
	s_andn2_b64 s[18:19], s[18:19], exec
	s_and_b64 s[26:27], s[26:27], exec
	v_lshl_add_u64 v[22:23], v[22:23], 0, 1
	v_lshl_add_u64 v[24:25], v[24:25], 0, 1
	s_or_b64 s[22:23], s[22:23], s[30:31]
	s_andn2_b64 s[24:25], s[24:25], exec
	s_or_b64 s[18:19], s[18:19], s[26:27]
                                        ; implicit-def: $sgpr26_sgpr27
	s_branch .LBB282_115
.LBB282_118:
	s_or_b64 exec, exec, s[0:1]
	v_cndmask_b32_e64 v17, v17, v21, s[6:7]
	v_cndmask_b32_e64 v16, v16, v20, s[6:7]
.LBB282_119:
	v_mov_b64_e32 v[20:21], v[16:17]
.LBB282_120:
	s_or_b64 exec, exec, s[16:17]
	v_mov_b64_e32 v[16:17], v[20:21]
.LBB282_121:
	s_or_b64 exec, exec, s[12:13]
.LBB282_122:
	s_or_b64 exec, exec, s[2:3]
	v_lshrrev_b32_e32 v1, 2, v0
	v_lshlrev_b32_e32 v19, 3, v18
	v_lshl_add_u32 v19, v1, 3, v19
	v_and_b32_e32 v1, 24, v1
	v_or_b32_e32 v25, 0x80, v0
	v_add_u32_e32 v26, v18, v1
	v_lshrrev_b32_e32 v1, 2, v25
	v_and_b32_e32 v1, 56, v1
	v_or_b32_e32 v24, 0x100, v0
	s_barrier
	s_barrier
	ds_write2_b64 v19, v[2:3], v[4:5] offset1:1
	ds_write2_b64 v19, v[6:7], v[8:9] offset0:2 offset1:3
	ds_write2_b64 v19, v[10:11], v[12:13] offset0:4 offset1:5
	;; [unrolled: 1-line block ×3, first 2 shown]
	v_add_u32_e32 v6, v18, v1
	v_lshrrev_b32_e32 v1, 2, v24
	v_and_b32_e32 v1, 0x58, v1
	v_or_b32_e32 v23, 0x180, v0
	v_add_u32_e32 v7, v18, v1
	v_lshrrev_b32_e32 v1, 2, v23
	v_and_b32_e32 v1, 0x78, v1
	v_or_b32_e32 v22, 0x200, v0
	;; [unrolled: 4-line block ×4, first 2 shown]
	v_add_u32_e32 v27, v18, v1
	v_lshrrev_b32_e32 v1, 2, v20
	v_and_b32_e32 v1, 0xd8, v1
	s_lshl_b64 s[0:1], s[20:21], 3
	v_add_u32_e32 v28, v18, v1
	v_or_b32_e32 v1, 0x380, v0
	s_add_u32 s0, s14, s0
	v_lshrrev_b32_e32 v2, 2, v1
	s_addc_u32 s1, s15, s1
	v_and_b32_e32 v2, 0xf8, v2
	v_mov_b32_e32 v19, 0
	v_add_u32_e32 v29, v18, v2
	v_lshl_add_u64 v[2:3], s[0:1], 0, v[18:19]
	s_and_b64 vcc, exec, s[10:11]
	s_waitcnt lgkmcnt(0)
	s_cbranch_vccz .LBB282_124
; %bb.123:
	s_barrier
	ds_read_b64 v[10:11], v26
	ds_read_b64 v[12:13], v6 offset:1024
	ds_read_b64 v[14:15], v7 offset:2048
	;; [unrolled: 1-line block ×7, first 2 shown]
	s_waitcnt lgkmcnt(7)
	global_store_dwordx2 v[2:3], v[10:11], off
	s_waitcnt lgkmcnt(6)
	global_store_dwordx2 v[2:3], v[12:13], off offset:1024
	s_waitcnt lgkmcnt(5)
	global_store_dwordx2 v[2:3], v[14:15], off offset:2048
	;; [unrolled: 2-line block ×3, first 2 shown]
	v_add_co_u32_e32 v10, vcc, 0x1000, v2
	s_nop 1
	v_addc_co_u32_e32 v11, vcc, 0, v3, vcc
	s_waitcnt lgkmcnt(3)
	global_store_dwordx2 v[10:11], v[18:19], off
	s_waitcnt lgkmcnt(2)
	global_store_dwordx2 v[10:11], v[30:31], off offset:1024
	s_waitcnt lgkmcnt(1)
	global_store_dwordx2 v[10:11], v[32:33], off offset:2048
	s_mov_b64 s[0:1], -1
	s_cbranch_execz .LBB282_125
	s_branch .LBB282_134
.LBB282_124:
	s_mov_b64 s[0:1], 0
                                        ; implicit-def: $vgpr4_vgpr5
.LBB282_125:
	s_barrier
	s_waitcnt lgkmcnt(0)
	ds_read_b64 v[16:17], v6 offset:1024
	ds_read_b64 v[14:15], v7 offset:2048
	;; [unrolled: 1-line block ×7, first 2 shown]
	s_sub_i32 s2, s8, s20
	v_cmp_gt_u32_e32 vcc, s2, v0
	s_and_saveexec_b64 s[0:1], vcc
	s_cbranch_execnz .LBB282_137
; %bb.126:
	s_or_b64 exec, exec, s[0:1]
	v_cmp_gt_u32_e32 vcc, s2, v25
	s_and_saveexec_b64 s[0:1], vcc
	s_cbranch_execnz .LBB282_138
.LBB282_127:
	s_or_b64 exec, exec, s[0:1]
	v_cmp_gt_u32_e32 vcc, s2, v24
	s_and_saveexec_b64 s[0:1], vcc
	s_cbranch_execnz .LBB282_139
.LBB282_128:
	s_or_b64 exec, exec, s[0:1]
	v_cmp_gt_u32_e32 vcc, s2, v23
	s_and_saveexec_b64 s[0:1], vcc
	s_cbranch_execnz .LBB282_140
.LBB282_129:
	s_or_b64 exec, exec, s[0:1]
	v_cmp_gt_u32_e32 vcc, s2, v22
	s_and_saveexec_b64 s[0:1], vcc
	s_cbranch_execnz .LBB282_141
.LBB282_130:
	s_or_b64 exec, exec, s[0:1]
	v_cmp_gt_u32_e32 vcc, s2, v21
	s_and_saveexec_b64 s[0:1], vcc
	s_cbranch_execnz .LBB282_142
.LBB282_131:
	s_or_b64 exec, exec, s[0:1]
	v_cmp_gt_u32_e32 vcc, s2, v20
	s_and_saveexec_b64 s[0:1], vcc
	s_cbranch_execz .LBB282_133
.LBB282_132:
	s_waitcnt lgkmcnt(2)
	v_add_co_u32_e32 v8, vcc, 0x1000, v2
	s_nop 1
	v_addc_co_u32_e32 v9, vcc, 0, v3, vcc
	s_waitcnt lgkmcnt(1)
	global_store_dwordx2 v[8:9], v[6:7], off offset:2048
.LBB282_133:
	s_or_b64 exec, exec, s[0:1]
	v_cmp_gt_u32_e64 s[0:1], s2, v1
.LBB282_134:
	s_and_saveexec_b64 s[2:3], s[0:1]
	s_cbranch_execz .LBB282_136
; %bb.135:
	v_add_co_u32_e32 v0, vcc, 0x1000, v2
	s_nop 1
	v_addc_co_u32_e32 v1, vcc, 0, v3, vcc
	s_waitcnt lgkmcnt(0)
	global_store_dwordx2 v[0:1], v[4:5], off offset:3072
.LBB282_136:
	s_endpgm
.LBB282_137:
	ds_read_b64 v[18:19], v26
	s_waitcnt lgkmcnt(0)
	global_store_dwordx2 v[2:3], v[18:19], off
	s_or_b64 exec, exec, s[0:1]
	v_cmp_gt_u32_e32 vcc, s2, v25
	s_and_saveexec_b64 s[0:1], vcc
	s_cbranch_execz .LBB282_127
.LBB282_138:
	s_waitcnt lgkmcnt(6)
	global_store_dwordx2 v[2:3], v[16:17], off offset:1024
	s_or_b64 exec, exec, s[0:1]
	v_cmp_gt_u32_e32 vcc, s2, v24
	s_and_saveexec_b64 s[0:1], vcc
	s_cbranch_execz .LBB282_128
.LBB282_139:
	s_waitcnt lgkmcnt(5)
	global_store_dwordx2 v[2:3], v[14:15], off offset:2048
	s_or_b64 exec, exec, s[0:1]
	v_cmp_gt_u32_e32 vcc, s2, v23
	s_and_saveexec_b64 s[0:1], vcc
	s_cbranch_execz .LBB282_129
.LBB282_140:
	s_waitcnt lgkmcnt(4)
	global_store_dwordx2 v[2:3], v[12:13], off offset:3072
	s_or_b64 exec, exec, s[0:1]
	v_cmp_gt_u32_e32 vcc, s2, v22
	s_and_saveexec_b64 s[0:1], vcc
	s_cbranch_execz .LBB282_130
.LBB282_141:
	s_waitcnt lgkmcnt(4)
	v_add_co_u32_e32 v12, vcc, 0x1000, v2
	s_nop 1
	v_addc_co_u32_e32 v13, vcc, 0, v3, vcc
	s_waitcnt lgkmcnt(3)
	global_store_dwordx2 v[12:13], v[10:11], off
	s_or_b64 exec, exec, s[0:1]
	v_cmp_gt_u32_e32 vcc, s2, v21
	s_and_saveexec_b64 s[0:1], vcc
	s_cbranch_execz .LBB282_131
.LBB282_142:
	s_waitcnt lgkmcnt(3)
	v_add_co_u32_e32 v10, vcc, 0x1000, v2
	s_nop 1
	v_addc_co_u32_e32 v11, vcc, 0, v3, vcc
	s_waitcnt lgkmcnt(2)
	global_store_dwordx2 v[10:11], v[8:9], off offset:1024
	s_or_b64 exec, exec, s[0:1]
	v_cmp_gt_u32_e32 vcc, s2, v20
	s_and_saveexec_b64 s[0:1], vcc
	s_cbranch_execnz .LBB282_132
	s_branch .LBB282_133
	.section	.rodata,"a",@progbits
	.p2align	6, 0x0
	.amdhsa_kernel _ZN7rocprim17ROCPRIM_400000_NS6detail17trampoline_kernelINS0_14default_configENS1_38merge_sort_block_merge_config_selectorIlNS0_10empty_typeEEEZZNS1_27merge_sort_block_merge_implIS3_PlPS5_mZN2at6native12_GLOBAL__N_124unique_dim_cuda_templateIaEESt5tupleIJNSA_6TensorESF_SF_EERKSF_lbbbEUlllE_EE10hipError_tT0_T1_T2_jT3_P12ihipStream_tbPNSt15iterator_traitsISL_E10value_typeEPNSR_ISM_E10value_typeEPSN_NS1_7vsmem_tEENKUlT_SL_SM_SN_E_clIS8_S8_S9_S9_EESK_S10_SL_SM_SN_EUlS10_E0_NS1_11comp_targetILNS1_3genE5ELNS1_11target_archE942ELNS1_3gpuE9ELNS1_3repE0EEENS1_38merge_mergepath_config_static_selectorELNS0_4arch9wavefront6targetE1EEEvSM_
		.amdhsa_group_segment_fixed_size 8448
		.amdhsa_private_segment_fixed_size 0
		.amdhsa_kernarg_size 344
		.amdhsa_user_sgpr_count 2
		.amdhsa_user_sgpr_dispatch_ptr 0
		.amdhsa_user_sgpr_queue_ptr 0
		.amdhsa_user_sgpr_kernarg_segment_ptr 1
		.amdhsa_user_sgpr_dispatch_id 0
		.amdhsa_user_sgpr_kernarg_preload_length 0
		.amdhsa_user_sgpr_kernarg_preload_offset 0
		.amdhsa_user_sgpr_private_segment_size 0
		.amdhsa_uses_dynamic_stack 0
		.amdhsa_enable_private_segment 0
		.amdhsa_system_sgpr_workgroup_id_x 1
		.amdhsa_system_sgpr_workgroup_id_y 1
		.amdhsa_system_sgpr_workgroup_id_z 1
		.amdhsa_system_sgpr_workgroup_info 0
		.amdhsa_system_vgpr_workitem_id 0
		.amdhsa_next_free_vgpr 40
		.amdhsa_next_free_sgpr 54
		.amdhsa_accum_offset 40
		.amdhsa_reserve_vcc 1
		.amdhsa_float_round_mode_32 0
		.amdhsa_float_round_mode_16_64 0
		.amdhsa_float_denorm_mode_32 3
		.amdhsa_float_denorm_mode_16_64 3
		.amdhsa_dx10_clamp 1
		.amdhsa_ieee_mode 1
		.amdhsa_fp16_overflow 0
		.amdhsa_tg_split 0
		.amdhsa_exception_fp_ieee_invalid_op 0
		.amdhsa_exception_fp_denorm_src 0
		.amdhsa_exception_fp_ieee_div_zero 0
		.amdhsa_exception_fp_ieee_overflow 0
		.amdhsa_exception_fp_ieee_underflow 0
		.amdhsa_exception_fp_ieee_inexact 0
		.amdhsa_exception_int_div_zero 0
	.end_amdhsa_kernel
	.section	.text._ZN7rocprim17ROCPRIM_400000_NS6detail17trampoline_kernelINS0_14default_configENS1_38merge_sort_block_merge_config_selectorIlNS0_10empty_typeEEEZZNS1_27merge_sort_block_merge_implIS3_PlPS5_mZN2at6native12_GLOBAL__N_124unique_dim_cuda_templateIaEESt5tupleIJNSA_6TensorESF_SF_EERKSF_lbbbEUlllE_EE10hipError_tT0_T1_T2_jT3_P12ihipStream_tbPNSt15iterator_traitsISL_E10value_typeEPNSR_ISM_E10value_typeEPSN_NS1_7vsmem_tEENKUlT_SL_SM_SN_E_clIS8_S8_S9_S9_EESK_S10_SL_SM_SN_EUlS10_E0_NS1_11comp_targetILNS1_3genE5ELNS1_11target_archE942ELNS1_3gpuE9ELNS1_3repE0EEENS1_38merge_mergepath_config_static_selectorELNS0_4arch9wavefront6targetE1EEEvSM_,"axG",@progbits,_ZN7rocprim17ROCPRIM_400000_NS6detail17trampoline_kernelINS0_14default_configENS1_38merge_sort_block_merge_config_selectorIlNS0_10empty_typeEEEZZNS1_27merge_sort_block_merge_implIS3_PlPS5_mZN2at6native12_GLOBAL__N_124unique_dim_cuda_templateIaEESt5tupleIJNSA_6TensorESF_SF_EERKSF_lbbbEUlllE_EE10hipError_tT0_T1_T2_jT3_P12ihipStream_tbPNSt15iterator_traitsISL_E10value_typeEPNSR_ISM_E10value_typeEPSN_NS1_7vsmem_tEENKUlT_SL_SM_SN_E_clIS8_S8_S9_S9_EESK_S10_SL_SM_SN_EUlS10_E0_NS1_11comp_targetILNS1_3genE5ELNS1_11target_archE942ELNS1_3gpuE9ELNS1_3repE0EEENS1_38merge_mergepath_config_static_selectorELNS0_4arch9wavefront6targetE1EEEvSM_,comdat
.Lfunc_end282:
	.size	_ZN7rocprim17ROCPRIM_400000_NS6detail17trampoline_kernelINS0_14default_configENS1_38merge_sort_block_merge_config_selectorIlNS0_10empty_typeEEEZZNS1_27merge_sort_block_merge_implIS3_PlPS5_mZN2at6native12_GLOBAL__N_124unique_dim_cuda_templateIaEESt5tupleIJNSA_6TensorESF_SF_EERKSF_lbbbEUlllE_EE10hipError_tT0_T1_T2_jT3_P12ihipStream_tbPNSt15iterator_traitsISL_E10value_typeEPNSR_ISM_E10value_typeEPSN_NS1_7vsmem_tEENKUlT_SL_SM_SN_E_clIS8_S8_S9_S9_EESK_S10_SL_SM_SN_EUlS10_E0_NS1_11comp_targetILNS1_3genE5ELNS1_11target_archE942ELNS1_3gpuE9ELNS1_3repE0EEENS1_38merge_mergepath_config_static_selectorELNS0_4arch9wavefront6targetE1EEEvSM_, .Lfunc_end282-_ZN7rocprim17ROCPRIM_400000_NS6detail17trampoline_kernelINS0_14default_configENS1_38merge_sort_block_merge_config_selectorIlNS0_10empty_typeEEEZZNS1_27merge_sort_block_merge_implIS3_PlPS5_mZN2at6native12_GLOBAL__N_124unique_dim_cuda_templateIaEESt5tupleIJNSA_6TensorESF_SF_EERKSF_lbbbEUlllE_EE10hipError_tT0_T1_T2_jT3_P12ihipStream_tbPNSt15iterator_traitsISL_E10value_typeEPNSR_ISM_E10value_typeEPSN_NS1_7vsmem_tEENKUlT_SL_SM_SN_E_clIS8_S8_S9_S9_EESK_S10_SL_SM_SN_EUlS10_E0_NS1_11comp_targetILNS1_3genE5ELNS1_11target_archE942ELNS1_3gpuE9ELNS1_3repE0EEENS1_38merge_mergepath_config_static_selectorELNS0_4arch9wavefront6targetE1EEEvSM_
                                        ; -- End function
	.section	.AMDGPU.csdata,"",@progbits
; Kernel info:
; codeLenInByte = 6504
; NumSgprs: 60
; NumVgprs: 40
; NumAgprs: 0
; TotalNumVgprs: 40
; ScratchSize: 0
; MemoryBound: 0
; FloatMode: 240
; IeeeMode: 1
; LDSByteSize: 8448 bytes/workgroup (compile time only)
; SGPRBlocks: 7
; VGPRBlocks: 4
; NumSGPRsForWavesPerEU: 60
; NumVGPRsForWavesPerEU: 40
; AccumOffset: 40
; Occupancy: 4
; WaveLimiterHint : 1
; COMPUTE_PGM_RSRC2:SCRATCH_EN: 0
; COMPUTE_PGM_RSRC2:USER_SGPR: 2
; COMPUTE_PGM_RSRC2:TRAP_HANDLER: 0
; COMPUTE_PGM_RSRC2:TGID_X_EN: 1
; COMPUTE_PGM_RSRC2:TGID_Y_EN: 1
; COMPUTE_PGM_RSRC2:TGID_Z_EN: 1
; COMPUTE_PGM_RSRC2:TIDIG_COMP_CNT: 0
; COMPUTE_PGM_RSRC3_GFX90A:ACCUM_OFFSET: 9
; COMPUTE_PGM_RSRC3_GFX90A:TG_SPLIT: 0
	.section	.text._ZN7rocprim17ROCPRIM_400000_NS6detail17trampoline_kernelINS0_14default_configENS1_38merge_sort_block_merge_config_selectorIlNS0_10empty_typeEEEZZNS1_27merge_sort_block_merge_implIS3_PlPS5_mZN2at6native12_GLOBAL__N_124unique_dim_cuda_templateIaEESt5tupleIJNSA_6TensorESF_SF_EERKSF_lbbbEUlllE_EE10hipError_tT0_T1_T2_jT3_P12ihipStream_tbPNSt15iterator_traitsISL_E10value_typeEPNSR_ISM_E10value_typeEPSN_NS1_7vsmem_tEENKUlT_SL_SM_SN_E_clIS8_S8_S9_S9_EESK_S10_SL_SM_SN_EUlS10_E0_NS1_11comp_targetILNS1_3genE4ELNS1_11target_archE910ELNS1_3gpuE8ELNS1_3repE0EEENS1_38merge_mergepath_config_static_selectorELNS0_4arch9wavefront6targetE1EEEvSM_,"axG",@progbits,_ZN7rocprim17ROCPRIM_400000_NS6detail17trampoline_kernelINS0_14default_configENS1_38merge_sort_block_merge_config_selectorIlNS0_10empty_typeEEEZZNS1_27merge_sort_block_merge_implIS3_PlPS5_mZN2at6native12_GLOBAL__N_124unique_dim_cuda_templateIaEESt5tupleIJNSA_6TensorESF_SF_EERKSF_lbbbEUlllE_EE10hipError_tT0_T1_T2_jT3_P12ihipStream_tbPNSt15iterator_traitsISL_E10value_typeEPNSR_ISM_E10value_typeEPSN_NS1_7vsmem_tEENKUlT_SL_SM_SN_E_clIS8_S8_S9_S9_EESK_S10_SL_SM_SN_EUlS10_E0_NS1_11comp_targetILNS1_3genE4ELNS1_11target_archE910ELNS1_3gpuE8ELNS1_3repE0EEENS1_38merge_mergepath_config_static_selectorELNS0_4arch9wavefront6targetE1EEEvSM_,comdat
	.globl	_ZN7rocprim17ROCPRIM_400000_NS6detail17trampoline_kernelINS0_14default_configENS1_38merge_sort_block_merge_config_selectorIlNS0_10empty_typeEEEZZNS1_27merge_sort_block_merge_implIS3_PlPS5_mZN2at6native12_GLOBAL__N_124unique_dim_cuda_templateIaEESt5tupleIJNSA_6TensorESF_SF_EERKSF_lbbbEUlllE_EE10hipError_tT0_T1_T2_jT3_P12ihipStream_tbPNSt15iterator_traitsISL_E10value_typeEPNSR_ISM_E10value_typeEPSN_NS1_7vsmem_tEENKUlT_SL_SM_SN_E_clIS8_S8_S9_S9_EESK_S10_SL_SM_SN_EUlS10_E0_NS1_11comp_targetILNS1_3genE4ELNS1_11target_archE910ELNS1_3gpuE8ELNS1_3repE0EEENS1_38merge_mergepath_config_static_selectorELNS0_4arch9wavefront6targetE1EEEvSM_ ; -- Begin function _ZN7rocprim17ROCPRIM_400000_NS6detail17trampoline_kernelINS0_14default_configENS1_38merge_sort_block_merge_config_selectorIlNS0_10empty_typeEEEZZNS1_27merge_sort_block_merge_implIS3_PlPS5_mZN2at6native12_GLOBAL__N_124unique_dim_cuda_templateIaEESt5tupleIJNSA_6TensorESF_SF_EERKSF_lbbbEUlllE_EE10hipError_tT0_T1_T2_jT3_P12ihipStream_tbPNSt15iterator_traitsISL_E10value_typeEPNSR_ISM_E10value_typeEPSN_NS1_7vsmem_tEENKUlT_SL_SM_SN_E_clIS8_S8_S9_S9_EESK_S10_SL_SM_SN_EUlS10_E0_NS1_11comp_targetILNS1_3genE4ELNS1_11target_archE910ELNS1_3gpuE8ELNS1_3repE0EEENS1_38merge_mergepath_config_static_selectorELNS0_4arch9wavefront6targetE1EEEvSM_
	.p2align	8
	.type	_ZN7rocprim17ROCPRIM_400000_NS6detail17trampoline_kernelINS0_14default_configENS1_38merge_sort_block_merge_config_selectorIlNS0_10empty_typeEEEZZNS1_27merge_sort_block_merge_implIS3_PlPS5_mZN2at6native12_GLOBAL__N_124unique_dim_cuda_templateIaEESt5tupleIJNSA_6TensorESF_SF_EERKSF_lbbbEUlllE_EE10hipError_tT0_T1_T2_jT3_P12ihipStream_tbPNSt15iterator_traitsISL_E10value_typeEPNSR_ISM_E10value_typeEPSN_NS1_7vsmem_tEENKUlT_SL_SM_SN_E_clIS8_S8_S9_S9_EESK_S10_SL_SM_SN_EUlS10_E0_NS1_11comp_targetILNS1_3genE4ELNS1_11target_archE910ELNS1_3gpuE8ELNS1_3repE0EEENS1_38merge_mergepath_config_static_selectorELNS0_4arch9wavefront6targetE1EEEvSM_,@function
_ZN7rocprim17ROCPRIM_400000_NS6detail17trampoline_kernelINS0_14default_configENS1_38merge_sort_block_merge_config_selectorIlNS0_10empty_typeEEEZZNS1_27merge_sort_block_merge_implIS3_PlPS5_mZN2at6native12_GLOBAL__N_124unique_dim_cuda_templateIaEESt5tupleIJNSA_6TensorESF_SF_EERKSF_lbbbEUlllE_EE10hipError_tT0_T1_T2_jT3_P12ihipStream_tbPNSt15iterator_traitsISL_E10value_typeEPNSR_ISM_E10value_typeEPSN_NS1_7vsmem_tEENKUlT_SL_SM_SN_E_clIS8_S8_S9_S9_EESK_S10_SL_SM_SN_EUlS10_E0_NS1_11comp_targetILNS1_3genE4ELNS1_11target_archE910ELNS1_3gpuE8ELNS1_3repE0EEENS1_38merge_mergepath_config_static_selectorELNS0_4arch9wavefront6targetE1EEEvSM_: ; @_ZN7rocprim17ROCPRIM_400000_NS6detail17trampoline_kernelINS0_14default_configENS1_38merge_sort_block_merge_config_selectorIlNS0_10empty_typeEEEZZNS1_27merge_sort_block_merge_implIS3_PlPS5_mZN2at6native12_GLOBAL__N_124unique_dim_cuda_templateIaEESt5tupleIJNSA_6TensorESF_SF_EERKSF_lbbbEUlllE_EE10hipError_tT0_T1_T2_jT3_P12ihipStream_tbPNSt15iterator_traitsISL_E10value_typeEPNSR_ISM_E10value_typeEPSN_NS1_7vsmem_tEENKUlT_SL_SM_SN_E_clIS8_S8_S9_S9_EESK_S10_SL_SM_SN_EUlS10_E0_NS1_11comp_targetILNS1_3genE4ELNS1_11target_archE910ELNS1_3gpuE8ELNS1_3repE0EEENS1_38merge_mergepath_config_static_selectorELNS0_4arch9wavefront6targetE1EEEvSM_
; %bb.0:
	.section	.rodata,"a",@progbits
	.p2align	6, 0x0
	.amdhsa_kernel _ZN7rocprim17ROCPRIM_400000_NS6detail17trampoline_kernelINS0_14default_configENS1_38merge_sort_block_merge_config_selectorIlNS0_10empty_typeEEEZZNS1_27merge_sort_block_merge_implIS3_PlPS5_mZN2at6native12_GLOBAL__N_124unique_dim_cuda_templateIaEESt5tupleIJNSA_6TensorESF_SF_EERKSF_lbbbEUlllE_EE10hipError_tT0_T1_T2_jT3_P12ihipStream_tbPNSt15iterator_traitsISL_E10value_typeEPNSR_ISM_E10value_typeEPSN_NS1_7vsmem_tEENKUlT_SL_SM_SN_E_clIS8_S8_S9_S9_EESK_S10_SL_SM_SN_EUlS10_E0_NS1_11comp_targetILNS1_3genE4ELNS1_11target_archE910ELNS1_3gpuE8ELNS1_3repE0EEENS1_38merge_mergepath_config_static_selectorELNS0_4arch9wavefront6targetE1EEEvSM_
		.amdhsa_group_segment_fixed_size 0
		.amdhsa_private_segment_fixed_size 0
		.amdhsa_kernarg_size 88
		.amdhsa_user_sgpr_count 2
		.amdhsa_user_sgpr_dispatch_ptr 0
		.amdhsa_user_sgpr_queue_ptr 0
		.amdhsa_user_sgpr_kernarg_segment_ptr 1
		.amdhsa_user_sgpr_dispatch_id 0
		.amdhsa_user_sgpr_kernarg_preload_length 0
		.amdhsa_user_sgpr_kernarg_preload_offset 0
		.amdhsa_user_sgpr_private_segment_size 0
		.amdhsa_uses_dynamic_stack 0
		.amdhsa_enable_private_segment 0
		.amdhsa_system_sgpr_workgroup_id_x 1
		.amdhsa_system_sgpr_workgroup_id_y 0
		.amdhsa_system_sgpr_workgroup_id_z 0
		.amdhsa_system_sgpr_workgroup_info 0
		.amdhsa_system_vgpr_workitem_id 0
		.amdhsa_next_free_vgpr 1
		.amdhsa_next_free_sgpr 0
		.amdhsa_accum_offset 4
		.amdhsa_reserve_vcc 0
		.amdhsa_float_round_mode_32 0
		.amdhsa_float_round_mode_16_64 0
		.amdhsa_float_denorm_mode_32 3
		.amdhsa_float_denorm_mode_16_64 3
		.amdhsa_dx10_clamp 1
		.amdhsa_ieee_mode 1
		.amdhsa_fp16_overflow 0
		.amdhsa_tg_split 0
		.amdhsa_exception_fp_ieee_invalid_op 0
		.amdhsa_exception_fp_denorm_src 0
		.amdhsa_exception_fp_ieee_div_zero 0
		.amdhsa_exception_fp_ieee_overflow 0
		.amdhsa_exception_fp_ieee_underflow 0
		.amdhsa_exception_fp_ieee_inexact 0
		.amdhsa_exception_int_div_zero 0
	.end_amdhsa_kernel
	.section	.text._ZN7rocprim17ROCPRIM_400000_NS6detail17trampoline_kernelINS0_14default_configENS1_38merge_sort_block_merge_config_selectorIlNS0_10empty_typeEEEZZNS1_27merge_sort_block_merge_implIS3_PlPS5_mZN2at6native12_GLOBAL__N_124unique_dim_cuda_templateIaEESt5tupleIJNSA_6TensorESF_SF_EERKSF_lbbbEUlllE_EE10hipError_tT0_T1_T2_jT3_P12ihipStream_tbPNSt15iterator_traitsISL_E10value_typeEPNSR_ISM_E10value_typeEPSN_NS1_7vsmem_tEENKUlT_SL_SM_SN_E_clIS8_S8_S9_S9_EESK_S10_SL_SM_SN_EUlS10_E0_NS1_11comp_targetILNS1_3genE4ELNS1_11target_archE910ELNS1_3gpuE8ELNS1_3repE0EEENS1_38merge_mergepath_config_static_selectorELNS0_4arch9wavefront6targetE1EEEvSM_,"axG",@progbits,_ZN7rocprim17ROCPRIM_400000_NS6detail17trampoline_kernelINS0_14default_configENS1_38merge_sort_block_merge_config_selectorIlNS0_10empty_typeEEEZZNS1_27merge_sort_block_merge_implIS3_PlPS5_mZN2at6native12_GLOBAL__N_124unique_dim_cuda_templateIaEESt5tupleIJNSA_6TensorESF_SF_EERKSF_lbbbEUlllE_EE10hipError_tT0_T1_T2_jT3_P12ihipStream_tbPNSt15iterator_traitsISL_E10value_typeEPNSR_ISM_E10value_typeEPSN_NS1_7vsmem_tEENKUlT_SL_SM_SN_E_clIS8_S8_S9_S9_EESK_S10_SL_SM_SN_EUlS10_E0_NS1_11comp_targetILNS1_3genE4ELNS1_11target_archE910ELNS1_3gpuE8ELNS1_3repE0EEENS1_38merge_mergepath_config_static_selectorELNS0_4arch9wavefront6targetE1EEEvSM_,comdat
.Lfunc_end283:
	.size	_ZN7rocprim17ROCPRIM_400000_NS6detail17trampoline_kernelINS0_14default_configENS1_38merge_sort_block_merge_config_selectorIlNS0_10empty_typeEEEZZNS1_27merge_sort_block_merge_implIS3_PlPS5_mZN2at6native12_GLOBAL__N_124unique_dim_cuda_templateIaEESt5tupleIJNSA_6TensorESF_SF_EERKSF_lbbbEUlllE_EE10hipError_tT0_T1_T2_jT3_P12ihipStream_tbPNSt15iterator_traitsISL_E10value_typeEPNSR_ISM_E10value_typeEPSN_NS1_7vsmem_tEENKUlT_SL_SM_SN_E_clIS8_S8_S9_S9_EESK_S10_SL_SM_SN_EUlS10_E0_NS1_11comp_targetILNS1_3genE4ELNS1_11target_archE910ELNS1_3gpuE8ELNS1_3repE0EEENS1_38merge_mergepath_config_static_selectorELNS0_4arch9wavefront6targetE1EEEvSM_, .Lfunc_end283-_ZN7rocprim17ROCPRIM_400000_NS6detail17trampoline_kernelINS0_14default_configENS1_38merge_sort_block_merge_config_selectorIlNS0_10empty_typeEEEZZNS1_27merge_sort_block_merge_implIS3_PlPS5_mZN2at6native12_GLOBAL__N_124unique_dim_cuda_templateIaEESt5tupleIJNSA_6TensorESF_SF_EERKSF_lbbbEUlllE_EE10hipError_tT0_T1_T2_jT3_P12ihipStream_tbPNSt15iterator_traitsISL_E10value_typeEPNSR_ISM_E10value_typeEPSN_NS1_7vsmem_tEENKUlT_SL_SM_SN_E_clIS8_S8_S9_S9_EESK_S10_SL_SM_SN_EUlS10_E0_NS1_11comp_targetILNS1_3genE4ELNS1_11target_archE910ELNS1_3gpuE8ELNS1_3repE0EEENS1_38merge_mergepath_config_static_selectorELNS0_4arch9wavefront6targetE1EEEvSM_
                                        ; -- End function
	.section	.AMDGPU.csdata,"",@progbits
; Kernel info:
; codeLenInByte = 0
; NumSgprs: 6
; NumVgprs: 0
; NumAgprs: 0
; TotalNumVgprs: 0
; ScratchSize: 0
; MemoryBound: 0
; FloatMode: 240
; IeeeMode: 1
; LDSByteSize: 0 bytes/workgroup (compile time only)
; SGPRBlocks: 0
; VGPRBlocks: 0
; NumSGPRsForWavesPerEU: 6
; NumVGPRsForWavesPerEU: 1
; AccumOffset: 4
; Occupancy: 8
; WaveLimiterHint : 0
; COMPUTE_PGM_RSRC2:SCRATCH_EN: 0
; COMPUTE_PGM_RSRC2:USER_SGPR: 2
; COMPUTE_PGM_RSRC2:TRAP_HANDLER: 0
; COMPUTE_PGM_RSRC2:TGID_X_EN: 1
; COMPUTE_PGM_RSRC2:TGID_Y_EN: 0
; COMPUTE_PGM_RSRC2:TGID_Z_EN: 0
; COMPUTE_PGM_RSRC2:TIDIG_COMP_CNT: 0
; COMPUTE_PGM_RSRC3_GFX90A:ACCUM_OFFSET: 0
; COMPUTE_PGM_RSRC3_GFX90A:TG_SPLIT: 0
	.section	.text._ZN7rocprim17ROCPRIM_400000_NS6detail17trampoline_kernelINS0_14default_configENS1_38merge_sort_block_merge_config_selectorIlNS0_10empty_typeEEEZZNS1_27merge_sort_block_merge_implIS3_PlPS5_mZN2at6native12_GLOBAL__N_124unique_dim_cuda_templateIaEESt5tupleIJNSA_6TensorESF_SF_EERKSF_lbbbEUlllE_EE10hipError_tT0_T1_T2_jT3_P12ihipStream_tbPNSt15iterator_traitsISL_E10value_typeEPNSR_ISM_E10value_typeEPSN_NS1_7vsmem_tEENKUlT_SL_SM_SN_E_clIS8_S8_S9_S9_EESK_S10_SL_SM_SN_EUlS10_E0_NS1_11comp_targetILNS1_3genE3ELNS1_11target_archE908ELNS1_3gpuE7ELNS1_3repE0EEENS1_38merge_mergepath_config_static_selectorELNS0_4arch9wavefront6targetE1EEEvSM_,"axG",@progbits,_ZN7rocprim17ROCPRIM_400000_NS6detail17trampoline_kernelINS0_14default_configENS1_38merge_sort_block_merge_config_selectorIlNS0_10empty_typeEEEZZNS1_27merge_sort_block_merge_implIS3_PlPS5_mZN2at6native12_GLOBAL__N_124unique_dim_cuda_templateIaEESt5tupleIJNSA_6TensorESF_SF_EERKSF_lbbbEUlllE_EE10hipError_tT0_T1_T2_jT3_P12ihipStream_tbPNSt15iterator_traitsISL_E10value_typeEPNSR_ISM_E10value_typeEPSN_NS1_7vsmem_tEENKUlT_SL_SM_SN_E_clIS8_S8_S9_S9_EESK_S10_SL_SM_SN_EUlS10_E0_NS1_11comp_targetILNS1_3genE3ELNS1_11target_archE908ELNS1_3gpuE7ELNS1_3repE0EEENS1_38merge_mergepath_config_static_selectorELNS0_4arch9wavefront6targetE1EEEvSM_,comdat
	.globl	_ZN7rocprim17ROCPRIM_400000_NS6detail17trampoline_kernelINS0_14default_configENS1_38merge_sort_block_merge_config_selectorIlNS0_10empty_typeEEEZZNS1_27merge_sort_block_merge_implIS3_PlPS5_mZN2at6native12_GLOBAL__N_124unique_dim_cuda_templateIaEESt5tupleIJNSA_6TensorESF_SF_EERKSF_lbbbEUlllE_EE10hipError_tT0_T1_T2_jT3_P12ihipStream_tbPNSt15iterator_traitsISL_E10value_typeEPNSR_ISM_E10value_typeEPSN_NS1_7vsmem_tEENKUlT_SL_SM_SN_E_clIS8_S8_S9_S9_EESK_S10_SL_SM_SN_EUlS10_E0_NS1_11comp_targetILNS1_3genE3ELNS1_11target_archE908ELNS1_3gpuE7ELNS1_3repE0EEENS1_38merge_mergepath_config_static_selectorELNS0_4arch9wavefront6targetE1EEEvSM_ ; -- Begin function _ZN7rocprim17ROCPRIM_400000_NS6detail17trampoline_kernelINS0_14default_configENS1_38merge_sort_block_merge_config_selectorIlNS0_10empty_typeEEEZZNS1_27merge_sort_block_merge_implIS3_PlPS5_mZN2at6native12_GLOBAL__N_124unique_dim_cuda_templateIaEESt5tupleIJNSA_6TensorESF_SF_EERKSF_lbbbEUlllE_EE10hipError_tT0_T1_T2_jT3_P12ihipStream_tbPNSt15iterator_traitsISL_E10value_typeEPNSR_ISM_E10value_typeEPSN_NS1_7vsmem_tEENKUlT_SL_SM_SN_E_clIS8_S8_S9_S9_EESK_S10_SL_SM_SN_EUlS10_E0_NS1_11comp_targetILNS1_3genE3ELNS1_11target_archE908ELNS1_3gpuE7ELNS1_3repE0EEENS1_38merge_mergepath_config_static_selectorELNS0_4arch9wavefront6targetE1EEEvSM_
	.p2align	8
	.type	_ZN7rocprim17ROCPRIM_400000_NS6detail17trampoline_kernelINS0_14default_configENS1_38merge_sort_block_merge_config_selectorIlNS0_10empty_typeEEEZZNS1_27merge_sort_block_merge_implIS3_PlPS5_mZN2at6native12_GLOBAL__N_124unique_dim_cuda_templateIaEESt5tupleIJNSA_6TensorESF_SF_EERKSF_lbbbEUlllE_EE10hipError_tT0_T1_T2_jT3_P12ihipStream_tbPNSt15iterator_traitsISL_E10value_typeEPNSR_ISM_E10value_typeEPSN_NS1_7vsmem_tEENKUlT_SL_SM_SN_E_clIS8_S8_S9_S9_EESK_S10_SL_SM_SN_EUlS10_E0_NS1_11comp_targetILNS1_3genE3ELNS1_11target_archE908ELNS1_3gpuE7ELNS1_3repE0EEENS1_38merge_mergepath_config_static_selectorELNS0_4arch9wavefront6targetE1EEEvSM_,@function
_ZN7rocprim17ROCPRIM_400000_NS6detail17trampoline_kernelINS0_14default_configENS1_38merge_sort_block_merge_config_selectorIlNS0_10empty_typeEEEZZNS1_27merge_sort_block_merge_implIS3_PlPS5_mZN2at6native12_GLOBAL__N_124unique_dim_cuda_templateIaEESt5tupleIJNSA_6TensorESF_SF_EERKSF_lbbbEUlllE_EE10hipError_tT0_T1_T2_jT3_P12ihipStream_tbPNSt15iterator_traitsISL_E10value_typeEPNSR_ISM_E10value_typeEPSN_NS1_7vsmem_tEENKUlT_SL_SM_SN_E_clIS8_S8_S9_S9_EESK_S10_SL_SM_SN_EUlS10_E0_NS1_11comp_targetILNS1_3genE3ELNS1_11target_archE908ELNS1_3gpuE7ELNS1_3repE0EEENS1_38merge_mergepath_config_static_selectorELNS0_4arch9wavefront6targetE1EEEvSM_: ; @_ZN7rocprim17ROCPRIM_400000_NS6detail17trampoline_kernelINS0_14default_configENS1_38merge_sort_block_merge_config_selectorIlNS0_10empty_typeEEEZZNS1_27merge_sort_block_merge_implIS3_PlPS5_mZN2at6native12_GLOBAL__N_124unique_dim_cuda_templateIaEESt5tupleIJNSA_6TensorESF_SF_EERKSF_lbbbEUlllE_EE10hipError_tT0_T1_T2_jT3_P12ihipStream_tbPNSt15iterator_traitsISL_E10value_typeEPNSR_ISM_E10value_typeEPSN_NS1_7vsmem_tEENKUlT_SL_SM_SN_E_clIS8_S8_S9_S9_EESK_S10_SL_SM_SN_EUlS10_E0_NS1_11comp_targetILNS1_3genE3ELNS1_11target_archE908ELNS1_3gpuE7ELNS1_3repE0EEENS1_38merge_mergepath_config_static_selectorELNS0_4arch9wavefront6targetE1EEEvSM_
; %bb.0:
	.section	.rodata,"a",@progbits
	.p2align	6, 0x0
	.amdhsa_kernel _ZN7rocprim17ROCPRIM_400000_NS6detail17trampoline_kernelINS0_14default_configENS1_38merge_sort_block_merge_config_selectorIlNS0_10empty_typeEEEZZNS1_27merge_sort_block_merge_implIS3_PlPS5_mZN2at6native12_GLOBAL__N_124unique_dim_cuda_templateIaEESt5tupleIJNSA_6TensorESF_SF_EERKSF_lbbbEUlllE_EE10hipError_tT0_T1_T2_jT3_P12ihipStream_tbPNSt15iterator_traitsISL_E10value_typeEPNSR_ISM_E10value_typeEPSN_NS1_7vsmem_tEENKUlT_SL_SM_SN_E_clIS8_S8_S9_S9_EESK_S10_SL_SM_SN_EUlS10_E0_NS1_11comp_targetILNS1_3genE3ELNS1_11target_archE908ELNS1_3gpuE7ELNS1_3repE0EEENS1_38merge_mergepath_config_static_selectorELNS0_4arch9wavefront6targetE1EEEvSM_
		.amdhsa_group_segment_fixed_size 0
		.amdhsa_private_segment_fixed_size 0
		.amdhsa_kernarg_size 88
		.amdhsa_user_sgpr_count 2
		.amdhsa_user_sgpr_dispatch_ptr 0
		.amdhsa_user_sgpr_queue_ptr 0
		.amdhsa_user_sgpr_kernarg_segment_ptr 1
		.amdhsa_user_sgpr_dispatch_id 0
		.amdhsa_user_sgpr_kernarg_preload_length 0
		.amdhsa_user_sgpr_kernarg_preload_offset 0
		.amdhsa_user_sgpr_private_segment_size 0
		.amdhsa_uses_dynamic_stack 0
		.amdhsa_enable_private_segment 0
		.amdhsa_system_sgpr_workgroup_id_x 1
		.amdhsa_system_sgpr_workgroup_id_y 0
		.amdhsa_system_sgpr_workgroup_id_z 0
		.amdhsa_system_sgpr_workgroup_info 0
		.amdhsa_system_vgpr_workitem_id 0
		.amdhsa_next_free_vgpr 1
		.amdhsa_next_free_sgpr 0
		.amdhsa_accum_offset 4
		.amdhsa_reserve_vcc 0
		.amdhsa_float_round_mode_32 0
		.amdhsa_float_round_mode_16_64 0
		.amdhsa_float_denorm_mode_32 3
		.amdhsa_float_denorm_mode_16_64 3
		.amdhsa_dx10_clamp 1
		.amdhsa_ieee_mode 1
		.amdhsa_fp16_overflow 0
		.amdhsa_tg_split 0
		.amdhsa_exception_fp_ieee_invalid_op 0
		.amdhsa_exception_fp_denorm_src 0
		.amdhsa_exception_fp_ieee_div_zero 0
		.amdhsa_exception_fp_ieee_overflow 0
		.amdhsa_exception_fp_ieee_underflow 0
		.amdhsa_exception_fp_ieee_inexact 0
		.amdhsa_exception_int_div_zero 0
	.end_amdhsa_kernel
	.section	.text._ZN7rocprim17ROCPRIM_400000_NS6detail17trampoline_kernelINS0_14default_configENS1_38merge_sort_block_merge_config_selectorIlNS0_10empty_typeEEEZZNS1_27merge_sort_block_merge_implIS3_PlPS5_mZN2at6native12_GLOBAL__N_124unique_dim_cuda_templateIaEESt5tupleIJNSA_6TensorESF_SF_EERKSF_lbbbEUlllE_EE10hipError_tT0_T1_T2_jT3_P12ihipStream_tbPNSt15iterator_traitsISL_E10value_typeEPNSR_ISM_E10value_typeEPSN_NS1_7vsmem_tEENKUlT_SL_SM_SN_E_clIS8_S8_S9_S9_EESK_S10_SL_SM_SN_EUlS10_E0_NS1_11comp_targetILNS1_3genE3ELNS1_11target_archE908ELNS1_3gpuE7ELNS1_3repE0EEENS1_38merge_mergepath_config_static_selectorELNS0_4arch9wavefront6targetE1EEEvSM_,"axG",@progbits,_ZN7rocprim17ROCPRIM_400000_NS6detail17trampoline_kernelINS0_14default_configENS1_38merge_sort_block_merge_config_selectorIlNS0_10empty_typeEEEZZNS1_27merge_sort_block_merge_implIS3_PlPS5_mZN2at6native12_GLOBAL__N_124unique_dim_cuda_templateIaEESt5tupleIJNSA_6TensorESF_SF_EERKSF_lbbbEUlllE_EE10hipError_tT0_T1_T2_jT3_P12ihipStream_tbPNSt15iterator_traitsISL_E10value_typeEPNSR_ISM_E10value_typeEPSN_NS1_7vsmem_tEENKUlT_SL_SM_SN_E_clIS8_S8_S9_S9_EESK_S10_SL_SM_SN_EUlS10_E0_NS1_11comp_targetILNS1_3genE3ELNS1_11target_archE908ELNS1_3gpuE7ELNS1_3repE0EEENS1_38merge_mergepath_config_static_selectorELNS0_4arch9wavefront6targetE1EEEvSM_,comdat
.Lfunc_end284:
	.size	_ZN7rocprim17ROCPRIM_400000_NS6detail17trampoline_kernelINS0_14default_configENS1_38merge_sort_block_merge_config_selectorIlNS0_10empty_typeEEEZZNS1_27merge_sort_block_merge_implIS3_PlPS5_mZN2at6native12_GLOBAL__N_124unique_dim_cuda_templateIaEESt5tupleIJNSA_6TensorESF_SF_EERKSF_lbbbEUlllE_EE10hipError_tT0_T1_T2_jT3_P12ihipStream_tbPNSt15iterator_traitsISL_E10value_typeEPNSR_ISM_E10value_typeEPSN_NS1_7vsmem_tEENKUlT_SL_SM_SN_E_clIS8_S8_S9_S9_EESK_S10_SL_SM_SN_EUlS10_E0_NS1_11comp_targetILNS1_3genE3ELNS1_11target_archE908ELNS1_3gpuE7ELNS1_3repE0EEENS1_38merge_mergepath_config_static_selectorELNS0_4arch9wavefront6targetE1EEEvSM_, .Lfunc_end284-_ZN7rocprim17ROCPRIM_400000_NS6detail17trampoline_kernelINS0_14default_configENS1_38merge_sort_block_merge_config_selectorIlNS0_10empty_typeEEEZZNS1_27merge_sort_block_merge_implIS3_PlPS5_mZN2at6native12_GLOBAL__N_124unique_dim_cuda_templateIaEESt5tupleIJNSA_6TensorESF_SF_EERKSF_lbbbEUlllE_EE10hipError_tT0_T1_T2_jT3_P12ihipStream_tbPNSt15iterator_traitsISL_E10value_typeEPNSR_ISM_E10value_typeEPSN_NS1_7vsmem_tEENKUlT_SL_SM_SN_E_clIS8_S8_S9_S9_EESK_S10_SL_SM_SN_EUlS10_E0_NS1_11comp_targetILNS1_3genE3ELNS1_11target_archE908ELNS1_3gpuE7ELNS1_3repE0EEENS1_38merge_mergepath_config_static_selectorELNS0_4arch9wavefront6targetE1EEEvSM_
                                        ; -- End function
	.section	.AMDGPU.csdata,"",@progbits
; Kernel info:
; codeLenInByte = 0
; NumSgprs: 6
; NumVgprs: 0
; NumAgprs: 0
; TotalNumVgprs: 0
; ScratchSize: 0
; MemoryBound: 0
; FloatMode: 240
; IeeeMode: 1
; LDSByteSize: 0 bytes/workgroup (compile time only)
; SGPRBlocks: 0
; VGPRBlocks: 0
; NumSGPRsForWavesPerEU: 6
; NumVGPRsForWavesPerEU: 1
; AccumOffset: 4
; Occupancy: 8
; WaveLimiterHint : 0
; COMPUTE_PGM_RSRC2:SCRATCH_EN: 0
; COMPUTE_PGM_RSRC2:USER_SGPR: 2
; COMPUTE_PGM_RSRC2:TRAP_HANDLER: 0
; COMPUTE_PGM_RSRC2:TGID_X_EN: 1
; COMPUTE_PGM_RSRC2:TGID_Y_EN: 0
; COMPUTE_PGM_RSRC2:TGID_Z_EN: 0
; COMPUTE_PGM_RSRC2:TIDIG_COMP_CNT: 0
; COMPUTE_PGM_RSRC3_GFX90A:ACCUM_OFFSET: 0
; COMPUTE_PGM_RSRC3_GFX90A:TG_SPLIT: 0
	.section	.text._ZN7rocprim17ROCPRIM_400000_NS6detail17trampoline_kernelINS0_14default_configENS1_38merge_sort_block_merge_config_selectorIlNS0_10empty_typeEEEZZNS1_27merge_sort_block_merge_implIS3_PlPS5_mZN2at6native12_GLOBAL__N_124unique_dim_cuda_templateIaEESt5tupleIJNSA_6TensorESF_SF_EERKSF_lbbbEUlllE_EE10hipError_tT0_T1_T2_jT3_P12ihipStream_tbPNSt15iterator_traitsISL_E10value_typeEPNSR_ISM_E10value_typeEPSN_NS1_7vsmem_tEENKUlT_SL_SM_SN_E_clIS8_S8_S9_S9_EESK_S10_SL_SM_SN_EUlS10_E0_NS1_11comp_targetILNS1_3genE2ELNS1_11target_archE906ELNS1_3gpuE6ELNS1_3repE0EEENS1_38merge_mergepath_config_static_selectorELNS0_4arch9wavefront6targetE1EEEvSM_,"axG",@progbits,_ZN7rocprim17ROCPRIM_400000_NS6detail17trampoline_kernelINS0_14default_configENS1_38merge_sort_block_merge_config_selectorIlNS0_10empty_typeEEEZZNS1_27merge_sort_block_merge_implIS3_PlPS5_mZN2at6native12_GLOBAL__N_124unique_dim_cuda_templateIaEESt5tupleIJNSA_6TensorESF_SF_EERKSF_lbbbEUlllE_EE10hipError_tT0_T1_T2_jT3_P12ihipStream_tbPNSt15iterator_traitsISL_E10value_typeEPNSR_ISM_E10value_typeEPSN_NS1_7vsmem_tEENKUlT_SL_SM_SN_E_clIS8_S8_S9_S9_EESK_S10_SL_SM_SN_EUlS10_E0_NS1_11comp_targetILNS1_3genE2ELNS1_11target_archE906ELNS1_3gpuE6ELNS1_3repE0EEENS1_38merge_mergepath_config_static_selectorELNS0_4arch9wavefront6targetE1EEEvSM_,comdat
	.globl	_ZN7rocprim17ROCPRIM_400000_NS6detail17trampoline_kernelINS0_14default_configENS1_38merge_sort_block_merge_config_selectorIlNS0_10empty_typeEEEZZNS1_27merge_sort_block_merge_implIS3_PlPS5_mZN2at6native12_GLOBAL__N_124unique_dim_cuda_templateIaEESt5tupleIJNSA_6TensorESF_SF_EERKSF_lbbbEUlllE_EE10hipError_tT0_T1_T2_jT3_P12ihipStream_tbPNSt15iterator_traitsISL_E10value_typeEPNSR_ISM_E10value_typeEPSN_NS1_7vsmem_tEENKUlT_SL_SM_SN_E_clIS8_S8_S9_S9_EESK_S10_SL_SM_SN_EUlS10_E0_NS1_11comp_targetILNS1_3genE2ELNS1_11target_archE906ELNS1_3gpuE6ELNS1_3repE0EEENS1_38merge_mergepath_config_static_selectorELNS0_4arch9wavefront6targetE1EEEvSM_ ; -- Begin function _ZN7rocprim17ROCPRIM_400000_NS6detail17trampoline_kernelINS0_14default_configENS1_38merge_sort_block_merge_config_selectorIlNS0_10empty_typeEEEZZNS1_27merge_sort_block_merge_implIS3_PlPS5_mZN2at6native12_GLOBAL__N_124unique_dim_cuda_templateIaEESt5tupleIJNSA_6TensorESF_SF_EERKSF_lbbbEUlllE_EE10hipError_tT0_T1_T2_jT3_P12ihipStream_tbPNSt15iterator_traitsISL_E10value_typeEPNSR_ISM_E10value_typeEPSN_NS1_7vsmem_tEENKUlT_SL_SM_SN_E_clIS8_S8_S9_S9_EESK_S10_SL_SM_SN_EUlS10_E0_NS1_11comp_targetILNS1_3genE2ELNS1_11target_archE906ELNS1_3gpuE6ELNS1_3repE0EEENS1_38merge_mergepath_config_static_selectorELNS0_4arch9wavefront6targetE1EEEvSM_
	.p2align	8
	.type	_ZN7rocprim17ROCPRIM_400000_NS6detail17trampoline_kernelINS0_14default_configENS1_38merge_sort_block_merge_config_selectorIlNS0_10empty_typeEEEZZNS1_27merge_sort_block_merge_implIS3_PlPS5_mZN2at6native12_GLOBAL__N_124unique_dim_cuda_templateIaEESt5tupleIJNSA_6TensorESF_SF_EERKSF_lbbbEUlllE_EE10hipError_tT0_T1_T2_jT3_P12ihipStream_tbPNSt15iterator_traitsISL_E10value_typeEPNSR_ISM_E10value_typeEPSN_NS1_7vsmem_tEENKUlT_SL_SM_SN_E_clIS8_S8_S9_S9_EESK_S10_SL_SM_SN_EUlS10_E0_NS1_11comp_targetILNS1_3genE2ELNS1_11target_archE906ELNS1_3gpuE6ELNS1_3repE0EEENS1_38merge_mergepath_config_static_selectorELNS0_4arch9wavefront6targetE1EEEvSM_,@function
_ZN7rocprim17ROCPRIM_400000_NS6detail17trampoline_kernelINS0_14default_configENS1_38merge_sort_block_merge_config_selectorIlNS0_10empty_typeEEEZZNS1_27merge_sort_block_merge_implIS3_PlPS5_mZN2at6native12_GLOBAL__N_124unique_dim_cuda_templateIaEESt5tupleIJNSA_6TensorESF_SF_EERKSF_lbbbEUlllE_EE10hipError_tT0_T1_T2_jT3_P12ihipStream_tbPNSt15iterator_traitsISL_E10value_typeEPNSR_ISM_E10value_typeEPSN_NS1_7vsmem_tEENKUlT_SL_SM_SN_E_clIS8_S8_S9_S9_EESK_S10_SL_SM_SN_EUlS10_E0_NS1_11comp_targetILNS1_3genE2ELNS1_11target_archE906ELNS1_3gpuE6ELNS1_3repE0EEENS1_38merge_mergepath_config_static_selectorELNS0_4arch9wavefront6targetE1EEEvSM_: ; @_ZN7rocprim17ROCPRIM_400000_NS6detail17trampoline_kernelINS0_14default_configENS1_38merge_sort_block_merge_config_selectorIlNS0_10empty_typeEEEZZNS1_27merge_sort_block_merge_implIS3_PlPS5_mZN2at6native12_GLOBAL__N_124unique_dim_cuda_templateIaEESt5tupleIJNSA_6TensorESF_SF_EERKSF_lbbbEUlllE_EE10hipError_tT0_T1_T2_jT3_P12ihipStream_tbPNSt15iterator_traitsISL_E10value_typeEPNSR_ISM_E10value_typeEPSN_NS1_7vsmem_tEENKUlT_SL_SM_SN_E_clIS8_S8_S9_S9_EESK_S10_SL_SM_SN_EUlS10_E0_NS1_11comp_targetILNS1_3genE2ELNS1_11target_archE906ELNS1_3gpuE6ELNS1_3repE0EEENS1_38merge_mergepath_config_static_selectorELNS0_4arch9wavefront6targetE1EEEvSM_
; %bb.0:
	.section	.rodata,"a",@progbits
	.p2align	6, 0x0
	.amdhsa_kernel _ZN7rocprim17ROCPRIM_400000_NS6detail17trampoline_kernelINS0_14default_configENS1_38merge_sort_block_merge_config_selectorIlNS0_10empty_typeEEEZZNS1_27merge_sort_block_merge_implIS3_PlPS5_mZN2at6native12_GLOBAL__N_124unique_dim_cuda_templateIaEESt5tupleIJNSA_6TensorESF_SF_EERKSF_lbbbEUlllE_EE10hipError_tT0_T1_T2_jT3_P12ihipStream_tbPNSt15iterator_traitsISL_E10value_typeEPNSR_ISM_E10value_typeEPSN_NS1_7vsmem_tEENKUlT_SL_SM_SN_E_clIS8_S8_S9_S9_EESK_S10_SL_SM_SN_EUlS10_E0_NS1_11comp_targetILNS1_3genE2ELNS1_11target_archE906ELNS1_3gpuE6ELNS1_3repE0EEENS1_38merge_mergepath_config_static_selectorELNS0_4arch9wavefront6targetE1EEEvSM_
		.amdhsa_group_segment_fixed_size 0
		.amdhsa_private_segment_fixed_size 0
		.amdhsa_kernarg_size 88
		.amdhsa_user_sgpr_count 2
		.amdhsa_user_sgpr_dispatch_ptr 0
		.amdhsa_user_sgpr_queue_ptr 0
		.amdhsa_user_sgpr_kernarg_segment_ptr 1
		.amdhsa_user_sgpr_dispatch_id 0
		.amdhsa_user_sgpr_kernarg_preload_length 0
		.amdhsa_user_sgpr_kernarg_preload_offset 0
		.amdhsa_user_sgpr_private_segment_size 0
		.amdhsa_uses_dynamic_stack 0
		.amdhsa_enable_private_segment 0
		.amdhsa_system_sgpr_workgroup_id_x 1
		.amdhsa_system_sgpr_workgroup_id_y 0
		.amdhsa_system_sgpr_workgroup_id_z 0
		.amdhsa_system_sgpr_workgroup_info 0
		.amdhsa_system_vgpr_workitem_id 0
		.amdhsa_next_free_vgpr 1
		.amdhsa_next_free_sgpr 0
		.amdhsa_accum_offset 4
		.amdhsa_reserve_vcc 0
		.amdhsa_float_round_mode_32 0
		.amdhsa_float_round_mode_16_64 0
		.amdhsa_float_denorm_mode_32 3
		.amdhsa_float_denorm_mode_16_64 3
		.amdhsa_dx10_clamp 1
		.amdhsa_ieee_mode 1
		.amdhsa_fp16_overflow 0
		.amdhsa_tg_split 0
		.amdhsa_exception_fp_ieee_invalid_op 0
		.amdhsa_exception_fp_denorm_src 0
		.amdhsa_exception_fp_ieee_div_zero 0
		.amdhsa_exception_fp_ieee_overflow 0
		.amdhsa_exception_fp_ieee_underflow 0
		.amdhsa_exception_fp_ieee_inexact 0
		.amdhsa_exception_int_div_zero 0
	.end_amdhsa_kernel
	.section	.text._ZN7rocprim17ROCPRIM_400000_NS6detail17trampoline_kernelINS0_14default_configENS1_38merge_sort_block_merge_config_selectorIlNS0_10empty_typeEEEZZNS1_27merge_sort_block_merge_implIS3_PlPS5_mZN2at6native12_GLOBAL__N_124unique_dim_cuda_templateIaEESt5tupleIJNSA_6TensorESF_SF_EERKSF_lbbbEUlllE_EE10hipError_tT0_T1_T2_jT3_P12ihipStream_tbPNSt15iterator_traitsISL_E10value_typeEPNSR_ISM_E10value_typeEPSN_NS1_7vsmem_tEENKUlT_SL_SM_SN_E_clIS8_S8_S9_S9_EESK_S10_SL_SM_SN_EUlS10_E0_NS1_11comp_targetILNS1_3genE2ELNS1_11target_archE906ELNS1_3gpuE6ELNS1_3repE0EEENS1_38merge_mergepath_config_static_selectorELNS0_4arch9wavefront6targetE1EEEvSM_,"axG",@progbits,_ZN7rocprim17ROCPRIM_400000_NS6detail17trampoline_kernelINS0_14default_configENS1_38merge_sort_block_merge_config_selectorIlNS0_10empty_typeEEEZZNS1_27merge_sort_block_merge_implIS3_PlPS5_mZN2at6native12_GLOBAL__N_124unique_dim_cuda_templateIaEESt5tupleIJNSA_6TensorESF_SF_EERKSF_lbbbEUlllE_EE10hipError_tT0_T1_T2_jT3_P12ihipStream_tbPNSt15iterator_traitsISL_E10value_typeEPNSR_ISM_E10value_typeEPSN_NS1_7vsmem_tEENKUlT_SL_SM_SN_E_clIS8_S8_S9_S9_EESK_S10_SL_SM_SN_EUlS10_E0_NS1_11comp_targetILNS1_3genE2ELNS1_11target_archE906ELNS1_3gpuE6ELNS1_3repE0EEENS1_38merge_mergepath_config_static_selectorELNS0_4arch9wavefront6targetE1EEEvSM_,comdat
.Lfunc_end285:
	.size	_ZN7rocprim17ROCPRIM_400000_NS6detail17trampoline_kernelINS0_14default_configENS1_38merge_sort_block_merge_config_selectorIlNS0_10empty_typeEEEZZNS1_27merge_sort_block_merge_implIS3_PlPS5_mZN2at6native12_GLOBAL__N_124unique_dim_cuda_templateIaEESt5tupleIJNSA_6TensorESF_SF_EERKSF_lbbbEUlllE_EE10hipError_tT0_T1_T2_jT3_P12ihipStream_tbPNSt15iterator_traitsISL_E10value_typeEPNSR_ISM_E10value_typeEPSN_NS1_7vsmem_tEENKUlT_SL_SM_SN_E_clIS8_S8_S9_S9_EESK_S10_SL_SM_SN_EUlS10_E0_NS1_11comp_targetILNS1_3genE2ELNS1_11target_archE906ELNS1_3gpuE6ELNS1_3repE0EEENS1_38merge_mergepath_config_static_selectorELNS0_4arch9wavefront6targetE1EEEvSM_, .Lfunc_end285-_ZN7rocprim17ROCPRIM_400000_NS6detail17trampoline_kernelINS0_14default_configENS1_38merge_sort_block_merge_config_selectorIlNS0_10empty_typeEEEZZNS1_27merge_sort_block_merge_implIS3_PlPS5_mZN2at6native12_GLOBAL__N_124unique_dim_cuda_templateIaEESt5tupleIJNSA_6TensorESF_SF_EERKSF_lbbbEUlllE_EE10hipError_tT0_T1_T2_jT3_P12ihipStream_tbPNSt15iterator_traitsISL_E10value_typeEPNSR_ISM_E10value_typeEPSN_NS1_7vsmem_tEENKUlT_SL_SM_SN_E_clIS8_S8_S9_S9_EESK_S10_SL_SM_SN_EUlS10_E0_NS1_11comp_targetILNS1_3genE2ELNS1_11target_archE906ELNS1_3gpuE6ELNS1_3repE0EEENS1_38merge_mergepath_config_static_selectorELNS0_4arch9wavefront6targetE1EEEvSM_
                                        ; -- End function
	.section	.AMDGPU.csdata,"",@progbits
; Kernel info:
; codeLenInByte = 0
; NumSgprs: 6
; NumVgprs: 0
; NumAgprs: 0
; TotalNumVgprs: 0
; ScratchSize: 0
; MemoryBound: 0
; FloatMode: 240
; IeeeMode: 1
; LDSByteSize: 0 bytes/workgroup (compile time only)
; SGPRBlocks: 0
; VGPRBlocks: 0
; NumSGPRsForWavesPerEU: 6
; NumVGPRsForWavesPerEU: 1
; AccumOffset: 4
; Occupancy: 8
; WaveLimiterHint : 0
; COMPUTE_PGM_RSRC2:SCRATCH_EN: 0
; COMPUTE_PGM_RSRC2:USER_SGPR: 2
; COMPUTE_PGM_RSRC2:TRAP_HANDLER: 0
; COMPUTE_PGM_RSRC2:TGID_X_EN: 1
; COMPUTE_PGM_RSRC2:TGID_Y_EN: 0
; COMPUTE_PGM_RSRC2:TGID_Z_EN: 0
; COMPUTE_PGM_RSRC2:TIDIG_COMP_CNT: 0
; COMPUTE_PGM_RSRC3_GFX90A:ACCUM_OFFSET: 0
; COMPUTE_PGM_RSRC3_GFX90A:TG_SPLIT: 0
	.section	.text._ZN7rocprim17ROCPRIM_400000_NS6detail17trampoline_kernelINS0_14default_configENS1_38merge_sort_block_merge_config_selectorIlNS0_10empty_typeEEEZZNS1_27merge_sort_block_merge_implIS3_PlPS5_mZN2at6native12_GLOBAL__N_124unique_dim_cuda_templateIaEESt5tupleIJNSA_6TensorESF_SF_EERKSF_lbbbEUlllE_EE10hipError_tT0_T1_T2_jT3_P12ihipStream_tbPNSt15iterator_traitsISL_E10value_typeEPNSR_ISM_E10value_typeEPSN_NS1_7vsmem_tEENKUlT_SL_SM_SN_E_clIS8_S8_S9_S9_EESK_S10_SL_SM_SN_EUlS10_E0_NS1_11comp_targetILNS1_3genE9ELNS1_11target_archE1100ELNS1_3gpuE3ELNS1_3repE0EEENS1_38merge_mergepath_config_static_selectorELNS0_4arch9wavefront6targetE1EEEvSM_,"axG",@progbits,_ZN7rocprim17ROCPRIM_400000_NS6detail17trampoline_kernelINS0_14default_configENS1_38merge_sort_block_merge_config_selectorIlNS0_10empty_typeEEEZZNS1_27merge_sort_block_merge_implIS3_PlPS5_mZN2at6native12_GLOBAL__N_124unique_dim_cuda_templateIaEESt5tupleIJNSA_6TensorESF_SF_EERKSF_lbbbEUlllE_EE10hipError_tT0_T1_T2_jT3_P12ihipStream_tbPNSt15iterator_traitsISL_E10value_typeEPNSR_ISM_E10value_typeEPSN_NS1_7vsmem_tEENKUlT_SL_SM_SN_E_clIS8_S8_S9_S9_EESK_S10_SL_SM_SN_EUlS10_E0_NS1_11comp_targetILNS1_3genE9ELNS1_11target_archE1100ELNS1_3gpuE3ELNS1_3repE0EEENS1_38merge_mergepath_config_static_selectorELNS0_4arch9wavefront6targetE1EEEvSM_,comdat
	.globl	_ZN7rocprim17ROCPRIM_400000_NS6detail17trampoline_kernelINS0_14default_configENS1_38merge_sort_block_merge_config_selectorIlNS0_10empty_typeEEEZZNS1_27merge_sort_block_merge_implIS3_PlPS5_mZN2at6native12_GLOBAL__N_124unique_dim_cuda_templateIaEESt5tupleIJNSA_6TensorESF_SF_EERKSF_lbbbEUlllE_EE10hipError_tT0_T1_T2_jT3_P12ihipStream_tbPNSt15iterator_traitsISL_E10value_typeEPNSR_ISM_E10value_typeEPSN_NS1_7vsmem_tEENKUlT_SL_SM_SN_E_clIS8_S8_S9_S9_EESK_S10_SL_SM_SN_EUlS10_E0_NS1_11comp_targetILNS1_3genE9ELNS1_11target_archE1100ELNS1_3gpuE3ELNS1_3repE0EEENS1_38merge_mergepath_config_static_selectorELNS0_4arch9wavefront6targetE1EEEvSM_ ; -- Begin function _ZN7rocprim17ROCPRIM_400000_NS6detail17trampoline_kernelINS0_14default_configENS1_38merge_sort_block_merge_config_selectorIlNS0_10empty_typeEEEZZNS1_27merge_sort_block_merge_implIS3_PlPS5_mZN2at6native12_GLOBAL__N_124unique_dim_cuda_templateIaEESt5tupleIJNSA_6TensorESF_SF_EERKSF_lbbbEUlllE_EE10hipError_tT0_T1_T2_jT3_P12ihipStream_tbPNSt15iterator_traitsISL_E10value_typeEPNSR_ISM_E10value_typeEPSN_NS1_7vsmem_tEENKUlT_SL_SM_SN_E_clIS8_S8_S9_S9_EESK_S10_SL_SM_SN_EUlS10_E0_NS1_11comp_targetILNS1_3genE9ELNS1_11target_archE1100ELNS1_3gpuE3ELNS1_3repE0EEENS1_38merge_mergepath_config_static_selectorELNS0_4arch9wavefront6targetE1EEEvSM_
	.p2align	8
	.type	_ZN7rocprim17ROCPRIM_400000_NS6detail17trampoline_kernelINS0_14default_configENS1_38merge_sort_block_merge_config_selectorIlNS0_10empty_typeEEEZZNS1_27merge_sort_block_merge_implIS3_PlPS5_mZN2at6native12_GLOBAL__N_124unique_dim_cuda_templateIaEESt5tupleIJNSA_6TensorESF_SF_EERKSF_lbbbEUlllE_EE10hipError_tT0_T1_T2_jT3_P12ihipStream_tbPNSt15iterator_traitsISL_E10value_typeEPNSR_ISM_E10value_typeEPSN_NS1_7vsmem_tEENKUlT_SL_SM_SN_E_clIS8_S8_S9_S9_EESK_S10_SL_SM_SN_EUlS10_E0_NS1_11comp_targetILNS1_3genE9ELNS1_11target_archE1100ELNS1_3gpuE3ELNS1_3repE0EEENS1_38merge_mergepath_config_static_selectorELNS0_4arch9wavefront6targetE1EEEvSM_,@function
_ZN7rocprim17ROCPRIM_400000_NS6detail17trampoline_kernelINS0_14default_configENS1_38merge_sort_block_merge_config_selectorIlNS0_10empty_typeEEEZZNS1_27merge_sort_block_merge_implIS3_PlPS5_mZN2at6native12_GLOBAL__N_124unique_dim_cuda_templateIaEESt5tupleIJNSA_6TensorESF_SF_EERKSF_lbbbEUlllE_EE10hipError_tT0_T1_T2_jT3_P12ihipStream_tbPNSt15iterator_traitsISL_E10value_typeEPNSR_ISM_E10value_typeEPSN_NS1_7vsmem_tEENKUlT_SL_SM_SN_E_clIS8_S8_S9_S9_EESK_S10_SL_SM_SN_EUlS10_E0_NS1_11comp_targetILNS1_3genE9ELNS1_11target_archE1100ELNS1_3gpuE3ELNS1_3repE0EEENS1_38merge_mergepath_config_static_selectorELNS0_4arch9wavefront6targetE1EEEvSM_: ; @_ZN7rocprim17ROCPRIM_400000_NS6detail17trampoline_kernelINS0_14default_configENS1_38merge_sort_block_merge_config_selectorIlNS0_10empty_typeEEEZZNS1_27merge_sort_block_merge_implIS3_PlPS5_mZN2at6native12_GLOBAL__N_124unique_dim_cuda_templateIaEESt5tupleIJNSA_6TensorESF_SF_EERKSF_lbbbEUlllE_EE10hipError_tT0_T1_T2_jT3_P12ihipStream_tbPNSt15iterator_traitsISL_E10value_typeEPNSR_ISM_E10value_typeEPSN_NS1_7vsmem_tEENKUlT_SL_SM_SN_E_clIS8_S8_S9_S9_EESK_S10_SL_SM_SN_EUlS10_E0_NS1_11comp_targetILNS1_3genE9ELNS1_11target_archE1100ELNS1_3gpuE3ELNS1_3repE0EEENS1_38merge_mergepath_config_static_selectorELNS0_4arch9wavefront6targetE1EEEvSM_
; %bb.0:
	.section	.rodata,"a",@progbits
	.p2align	6, 0x0
	.amdhsa_kernel _ZN7rocprim17ROCPRIM_400000_NS6detail17trampoline_kernelINS0_14default_configENS1_38merge_sort_block_merge_config_selectorIlNS0_10empty_typeEEEZZNS1_27merge_sort_block_merge_implIS3_PlPS5_mZN2at6native12_GLOBAL__N_124unique_dim_cuda_templateIaEESt5tupleIJNSA_6TensorESF_SF_EERKSF_lbbbEUlllE_EE10hipError_tT0_T1_T2_jT3_P12ihipStream_tbPNSt15iterator_traitsISL_E10value_typeEPNSR_ISM_E10value_typeEPSN_NS1_7vsmem_tEENKUlT_SL_SM_SN_E_clIS8_S8_S9_S9_EESK_S10_SL_SM_SN_EUlS10_E0_NS1_11comp_targetILNS1_3genE9ELNS1_11target_archE1100ELNS1_3gpuE3ELNS1_3repE0EEENS1_38merge_mergepath_config_static_selectorELNS0_4arch9wavefront6targetE1EEEvSM_
		.amdhsa_group_segment_fixed_size 0
		.amdhsa_private_segment_fixed_size 0
		.amdhsa_kernarg_size 88
		.amdhsa_user_sgpr_count 2
		.amdhsa_user_sgpr_dispatch_ptr 0
		.amdhsa_user_sgpr_queue_ptr 0
		.amdhsa_user_sgpr_kernarg_segment_ptr 1
		.amdhsa_user_sgpr_dispatch_id 0
		.amdhsa_user_sgpr_kernarg_preload_length 0
		.amdhsa_user_sgpr_kernarg_preload_offset 0
		.amdhsa_user_sgpr_private_segment_size 0
		.amdhsa_uses_dynamic_stack 0
		.amdhsa_enable_private_segment 0
		.amdhsa_system_sgpr_workgroup_id_x 1
		.amdhsa_system_sgpr_workgroup_id_y 0
		.amdhsa_system_sgpr_workgroup_id_z 0
		.amdhsa_system_sgpr_workgroup_info 0
		.amdhsa_system_vgpr_workitem_id 0
		.amdhsa_next_free_vgpr 1
		.amdhsa_next_free_sgpr 0
		.amdhsa_accum_offset 4
		.amdhsa_reserve_vcc 0
		.amdhsa_float_round_mode_32 0
		.amdhsa_float_round_mode_16_64 0
		.amdhsa_float_denorm_mode_32 3
		.amdhsa_float_denorm_mode_16_64 3
		.amdhsa_dx10_clamp 1
		.amdhsa_ieee_mode 1
		.amdhsa_fp16_overflow 0
		.amdhsa_tg_split 0
		.amdhsa_exception_fp_ieee_invalid_op 0
		.amdhsa_exception_fp_denorm_src 0
		.amdhsa_exception_fp_ieee_div_zero 0
		.amdhsa_exception_fp_ieee_overflow 0
		.amdhsa_exception_fp_ieee_underflow 0
		.amdhsa_exception_fp_ieee_inexact 0
		.amdhsa_exception_int_div_zero 0
	.end_amdhsa_kernel
	.section	.text._ZN7rocprim17ROCPRIM_400000_NS6detail17trampoline_kernelINS0_14default_configENS1_38merge_sort_block_merge_config_selectorIlNS0_10empty_typeEEEZZNS1_27merge_sort_block_merge_implIS3_PlPS5_mZN2at6native12_GLOBAL__N_124unique_dim_cuda_templateIaEESt5tupleIJNSA_6TensorESF_SF_EERKSF_lbbbEUlllE_EE10hipError_tT0_T1_T2_jT3_P12ihipStream_tbPNSt15iterator_traitsISL_E10value_typeEPNSR_ISM_E10value_typeEPSN_NS1_7vsmem_tEENKUlT_SL_SM_SN_E_clIS8_S8_S9_S9_EESK_S10_SL_SM_SN_EUlS10_E0_NS1_11comp_targetILNS1_3genE9ELNS1_11target_archE1100ELNS1_3gpuE3ELNS1_3repE0EEENS1_38merge_mergepath_config_static_selectorELNS0_4arch9wavefront6targetE1EEEvSM_,"axG",@progbits,_ZN7rocprim17ROCPRIM_400000_NS6detail17trampoline_kernelINS0_14default_configENS1_38merge_sort_block_merge_config_selectorIlNS0_10empty_typeEEEZZNS1_27merge_sort_block_merge_implIS3_PlPS5_mZN2at6native12_GLOBAL__N_124unique_dim_cuda_templateIaEESt5tupleIJNSA_6TensorESF_SF_EERKSF_lbbbEUlllE_EE10hipError_tT0_T1_T2_jT3_P12ihipStream_tbPNSt15iterator_traitsISL_E10value_typeEPNSR_ISM_E10value_typeEPSN_NS1_7vsmem_tEENKUlT_SL_SM_SN_E_clIS8_S8_S9_S9_EESK_S10_SL_SM_SN_EUlS10_E0_NS1_11comp_targetILNS1_3genE9ELNS1_11target_archE1100ELNS1_3gpuE3ELNS1_3repE0EEENS1_38merge_mergepath_config_static_selectorELNS0_4arch9wavefront6targetE1EEEvSM_,comdat
.Lfunc_end286:
	.size	_ZN7rocprim17ROCPRIM_400000_NS6detail17trampoline_kernelINS0_14default_configENS1_38merge_sort_block_merge_config_selectorIlNS0_10empty_typeEEEZZNS1_27merge_sort_block_merge_implIS3_PlPS5_mZN2at6native12_GLOBAL__N_124unique_dim_cuda_templateIaEESt5tupleIJNSA_6TensorESF_SF_EERKSF_lbbbEUlllE_EE10hipError_tT0_T1_T2_jT3_P12ihipStream_tbPNSt15iterator_traitsISL_E10value_typeEPNSR_ISM_E10value_typeEPSN_NS1_7vsmem_tEENKUlT_SL_SM_SN_E_clIS8_S8_S9_S9_EESK_S10_SL_SM_SN_EUlS10_E0_NS1_11comp_targetILNS1_3genE9ELNS1_11target_archE1100ELNS1_3gpuE3ELNS1_3repE0EEENS1_38merge_mergepath_config_static_selectorELNS0_4arch9wavefront6targetE1EEEvSM_, .Lfunc_end286-_ZN7rocprim17ROCPRIM_400000_NS6detail17trampoline_kernelINS0_14default_configENS1_38merge_sort_block_merge_config_selectorIlNS0_10empty_typeEEEZZNS1_27merge_sort_block_merge_implIS3_PlPS5_mZN2at6native12_GLOBAL__N_124unique_dim_cuda_templateIaEESt5tupleIJNSA_6TensorESF_SF_EERKSF_lbbbEUlllE_EE10hipError_tT0_T1_T2_jT3_P12ihipStream_tbPNSt15iterator_traitsISL_E10value_typeEPNSR_ISM_E10value_typeEPSN_NS1_7vsmem_tEENKUlT_SL_SM_SN_E_clIS8_S8_S9_S9_EESK_S10_SL_SM_SN_EUlS10_E0_NS1_11comp_targetILNS1_3genE9ELNS1_11target_archE1100ELNS1_3gpuE3ELNS1_3repE0EEENS1_38merge_mergepath_config_static_selectorELNS0_4arch9wavefront6targetE1EEEvSM_
                                        ; -- End function
	.section	.AMDGPU.csdata,"",@progbits
; Kernel info:
; codeLenInByte = 0
; NumSgprs: 6
; NumVgprs: 0
; NumAgprs: 0
; TotalNumVgprs: 0
; ScratchSize: 0
; MemoryBound: 0
; FloatMode: 240
; IeeeMode: 1
; LDSByteSize: 0 bytes/workgroup (compile time only)
; SGPRBlocks: 0
; VGPRBlocks: 0
; NumSGPRsForWavesPerEU: 6
; NumVGPRsForWavesPerEU: 1
; AccumOffset: 4
; Occupancy: 8
; WaveLimiterHint : 0
; COMPUTE_PGM_RSRC2:SCRATCH_EN: 0
; COMPUTE_PGM_RSRC2:USER_SGPR: 2
; COMPUTE_PGM_RSRC2:TRAP_HANDLER: 0
; COMPUTE_PGM_RSRC2:TGID_X_EN: 1
; COMPUTE_PGM_RSRC2:TGID_Y_EN: 0
; COMPUTE_PGM_RSRC2:TGID_Z_EN: 0
; COMPUTE_PGM_RSRC2:TIDIG_COMP_CNT: 0
; COMPUTE_PGM_RSRC3_GFX90A:ACCUM_OFFSET: 0
; COMPUTE_PGM_RSRC3_GFX90A:TG_SPLIT: 0
	.section	.text._ZN7rocprim17ROCPRIM_400000_NS6detail17trampoline_kernelINS0_14default_configENS1_38merge_sort_block_merge_config_selectorIlNS0_10empty_typeEEEZZNS1_27merge_sort_block_merge_implIS3_PlPS5_mZN2at6native12_GLOBAL__N_124unique_dim_cuda_templateIaEESt5tupleIJNSA_6TensorESF_SF_EERKSF_lbbbEUlllE_EE10hipError_tT0_T1_T2_jT3_P12ihipStream_tbPNSt15iterator_traitsISL_E10value_typeEPNSR_ISM_E10value_typeEPSN_NS1_7vsmem_tEENKUlT_SL_SM_SN_E_clIS8_S8_S9_S9_EESK_S10_SL_SM_SN_EUlS10_E0_NS1_11comp_targetILNS1_3genE8ELNS1_11target_archE1030ELNS1_3gpuE2ELNS1_3repE0EEENS1_38merge_mergepath_config_static_selectorELNS0_4arch9wavefront6targetE1EEEvSM_,"axG",@progbits,_ZN7rocprim17ROCPRIM_400000_NS6detail17trampoline_kernelINS0_14default_configENS1_38merge_sort_block_merge_config_selectorIlNS0_10empty_typeEEEZZNS1_27merge_sort_block_merge_implIS3_PlPS5_mZN2at6native12_GLOBAL__N_124unique_dim_cuda_templateIaEESt5tupleIJNSA_6TensorESF_SF_EERKSF_lbbbEUlllE_EE10hipError_tT0_T1_T2_jT3_P12ihipStream_tbPNSt15iterator_traitsISL_E10value_typeEPNSR_ISM_E10value_typeEPSN_NS1_7vsmem_tEENKUlT_SL_SM_SN_E_clIS8_S8_S9_S9_EESK_S10_SL_SM_SN_EUlS10_E0_NS1_11comp_targetILNS1_3genE8ELNS1_11target_archE1030ELNS1_3gpuE2ELNS1_3repE0EEENS1_38merge_mergepath_config_static_selectorELNS0_4arch9wavefront6targetE1EEEvSM_,comdat
	.globl	_ZN7rocprim17ROCPRIM_400000_NS6detail17trampoline_kernelINS0_14default_configENS1_38merge_sort_block_merge_config_selectorIlNS0_10empty_typeEEEZZNS1_27merge_sort_block_merge_implIS3_PlPS5_mZN2at6native12_GLOBAL__N_124unique_dim_cuda_templateIaEESt5tupleIJNSA_6TensorESF_SF_EERKSF_lbbbEUlllE_EE10hipError_tT0_T1_T2_jT3_P12ihipStream_tbPNSt15iterator_traitsISL_E10value_typeEPNSR_ISM_E10value_typeEPSN_NS1_7vsmem_tEENKUlT_SL_SM_SN_E_clIS8_S8_S9_S9_EESK_S10_SL_SM_SN_EUlS10_E0_NS1_11comp_targetILNS1_3genE8ELNS1_11target_archE1030ELNS1_3gpuE2ELNS1_3repE0EEENS1_38merge_mergepath_config_static_selectorELNS0_4arch9wavefront6targetE1EEEvSM_ ; -- Begin function _ZN7rocprim17ROCPRIM_400000_NS6detail17trampoline_kernelINS0_14default_configENS1_38merge_sort_block_merge_config_selectorIlNS0_10empty_typeEEEZZNS1_27merge_sort_block_merge_implIS3_PlPS5_mZN2at6native12_GLOBAL__N_124unique_dim_cuda_templateIaEESt5tupleIJNSA_6TensorESF_SF_EERKSF_lbbbEUlllE_EE10hipError_tT0_T1_T2_jT3_P12ihipStream_tbPNSt15iterator_traitsISL_E10value_typeEPNSR_ISM_E10value_typeEPSN_NS1_7vsmem_tEENKUlT_SL_SM_SN_E_clIS8_S8_S9_S9_EESK_S10_SL_SM_SN_EUlS10_E0_NS1_11comp_targetILNS1_3genE8ELNS1_11target_archE1030ELNS1_3gpuE2ELNS1_3repE0EEENS1_38merge_mergepath_config_static_selectorELNS0_4arch9wavefront6targetE1EEEvSM_
	.p2align	8
	.type	_ZN7rocprim17ROCPRIM_400000_NS6detail17trampoline_kernelINS0_14default_configENS1_38merge_sort_block_merge_config_selectorIlNS0_10empty_typeEEEZZNS1_27merge_sort_block_merge_implIS3_PlPS5_mZN2at6native12_GLOBAL__N_124unique_dim_cuda_templateIaEESt5tupleIJNSA_6TensorESF_SF_EERKSF_lbbbEUlllE_EE10hipError_tT0_T1_T2_jT3_P12ihipStream_tbPNSt15iterator_traitsISL_E10value_typeEPNSR_ISM_E10value_typeEPSN_NS1_7vsmem_tEENKUlT_SL_SM_SN_E_clIS8_S8_S9_S9_EESK_S10_SL_SM_SN_EUlS10_E0_NS1_11comp_targetILNS1_3genE8ELNS1_11target_archE1030ELNS1_3gpuE2ELNS1_3repE0EEENS1_38merge_mergepath_config_static_selectorELNS0_4arch9wavefront6targetE1EEEvSM_,@function
_ZN7rocprim17ROCPRIM_400000_NS6detail17trampoline_kernelINS0_14default_configENS1_38merge_sort_block_merge_config_selectorIlNS0_10empty_typeEEEZZNS1_27merge_sort_block_merge_implIS3_PlPS5_mZN2at6native12_GLOBAL__N_124unique_dim_cuda_templateIaEESt5tupleIJNSA_6TensorESF_SF_EERKSF_lbbbEUlllE_EE10hipError_tT0_T1_T2_jT3_P12ihipStream_tbPNSt15iterator_traitsISL_E10value_typeEPNSR_ISM_E10value_typeEPSN_NS1_7vsmem_tEENKUlT_SL_SM_SN_E_clIS8_S8_S9_S9_EESK_S10_SL_SM_SN_EUlS10_E0_NS1_11comp_targetILNS1_3genE8ELNS1_11target_archE1030ELNS1_3gpuE2ELNS1_3repE0EEENS1_38merge_mergepath_config_static_selectorELNS0_4arch9wavefront6targetE1EEEvSM_: ; @_ZN7rocprim17ROCPRIM_400000_NS6detail17trampoline_kernelINS0_14default_configENS1_38merge_sort_block_merge_config_selectorIlNS0_10empty_typeEEEZZNS1_27merge_sort_block_merge_implIS3_PlPS5_mZN2at6native12_GLOBAL__N_124unique_dim_cuda_templateIaEESt5tupleIJNSA_6TensorESF_SF_EERKSF_lbbbEUlllE_EE10hipError_tT0_T1_T2_jT3_P12ihipStream_tbPNSt15iterator_traitsISL_E10value_typeEPNSR_ISM_E10value_typeEPSN_NS1_7vsmem_tEENKUlT_SL_SM_SN_E_clIS8_S8_S9_S9_EESK_S10_SL_SM_SN_EUlS10_E0_NS1_11comp_targetILNS1_3genE8ELNS1_11target_archE1030ELNS1_3gpuE2ELNS1_3repE0EEENS1_38merge_mergepath_config_static_selectorELNS0_4arch9wavefront6targetE1EEEvSM_
; %bb.0:
	.section	.rodata,"a",@progbits
	.p2align	6, 0x0
	.amdhsa_kernel _ZN7rocprim17ROCPRIM_400000_NS6detail17trampoline_kernelINS0_14default_configENS1_38merge_sort_block_merge_config_selectorIlNS0_10empty_typeEEEZZNS1_27merge_sort_block_merge_implIS3_PlPS5_mZN2at6native12_GLOBAL__N_124unique_dim_cuda_templateIaEESt5tupleIJNSA_6TensorESF_SF_EERKSF_lbbbEUlllE_EE10hipError_tT0_T1_T2_jT3_P12ihipStream_tbPNSt15iterator_traitsISL_E10value_typeEPNSR_ISM_E10value_typeEPSN_NS1_7vsmem_tEENKUlT_SL_SM_SN_E_clIS8_S8_S9_S9_EESK_S10_SL_SM_SN_EUlS10_E0_NS1_11comp_targetILNS1_3genE8ELNS1_11target_archE1030ELNS1_3gpuE2ELNS1_3repE0EEENS1_38merge_mergepath_config_static_selectorELNS0_4arch9wavefront6targetE1EEEvSM_
		.amdhsa_group_segment_fixed_size 0
		.amdhsa_private_segment_fixed_size 0
		.amdhsa_kernarg_size 88
		.amdhsa_user_sgpr_count 2
		.amdhsa_user_sgpr_dispatch_ptr 0
		.amdhsa_user_sgpr_queue_ptr 0
		.amdhsa_user_sgpr_kernarg_segment_ptr 1
		.amdhsa_user_sgpr_dispatch_id 0
		.amdhsa_user_sgpr_kernarg_preload_length 0
		.amdhsa_user_sgpr_kernarg_preload_offset 0
		.amdhsa_user_sgpr_private_segment_size 0
		.amdhsa_uses_dynamic_stack 0
		.amdhsa_enable_private_segment 0
		.amdhsa_system_sgpr_workgroup_id_x 1
		.amdhsa_system_sgpr_workgroup_id_y 0
		.amdhsa_system_sgpr_workgroup_id_z 0
		.amdhsa_system_sgpr_workgroup_info 0
		.amdhsa_system_vgpr_workitem_id 0
		.amdhsa_next_free_vgpr 1
		.amdhsa_next_free_sgpr 0
		.amdhsa_accum_offset 4
		.amdhsa_reserve_vcc 0
		.amdhsa_float_round_mode_32 0
		.amdhsa_float_round_mode_16_64 0
		.amdhsa_float_denorm_mode_32 3
		.amdhsa_float_denorm_mode_16_64 3
		.amdhsa_dx10_clamp 1
		.amdhsa_ieee_mode 1
		.amdhsa_fp16_overflow 0
		.amdhsa_tg_split 0
		.amdhsa_exception_fp_ieee_invalid_op 0
		.amdhsa_exception_fp_denorm_src 0
		.amdhsa_exception_fp_ieee_div_zero 0
		.amdhsa_exception_fp_ieee_overflow 0
		.amdhsa_exception_fp_ieee_underflow 0
		.amdhsa_exception_fp_ieee_inexact 0
		.amdhsa_exception_int_div_zero 0
	.end_amdhsa_kernel
	.section	.text._ZN7rocprim17ROCPRIM_400000_NS6detail17trampoline_kernelINS0_14default_configENS1_38merge_sort_block_merge_config_selectorIlNS0_10empty_typeEEEZZNS1_27merge_sort_block_merge_implIS3_PlPS5_mZN2at6native12_GLOBAL__N_124unique_dim_cuda_templateIaEESt5tupleIJNSA_6TensorESF_SF_EERKSF_lbbbEUlllE_EE10hipError_tT0_T1_T2_jT3_P12ihipStream_tbPNSt15iterator_traitsISL_E10value_typeEPNSR_ISM_E10value_typeEPSN_NS1_7vsmem_tEENKUlT_SL_SM_SN_E_clIS8_S8_S9_S9_EESK_S10_SL_SM_SN_EUlS10_E0_NS1_11comp_targetILNS1_3genE8ELNS1_11target_archE1030ELNS1_3gpuE2ELNS1_3repE0EEENS1_38merge_mergepath_config_static_selectorELNS0_4arch9wavefront6targetE1EEEvSM_,"axG",@progbits,_ZN7rocprim17ROCPRIM_400000_NS6detail17trampoline_kernelINS0_14default_configENS1_38merge_sort_block_merge_config_selectorIlNS0_10empty_typeEEEZZNS1_27merge_sort_block_merge_implIS3_PlPS5_mZN2at6native12_GLOBAL__N_124unique_dim_cuda_templateIaEESt5tupleIJNSA_6TensorESF_SF_EERKSF_lbbbEUlllE_EE10hipError_tT0_T1_T2_jT3_P12ihipStream_tbPNSt15iterator_traitsISL_E10value_typeEPNSR_ISM_E10value_typeEPSN_NS1_7vsmem_tEENKUlT_SL_SM_SN_E_clIS8_S8_S9_S9_EESK_S10_SL_SM_SN_EUlS10_E0_NS1_11comp_targetILNS1_3genE8ELNS1_11target_archE1030ELNS1_3gpuE2ELNS1_3repE0EEENS1_38merge_mergepath_config_static_selectorELNS0_4arch9wavefront6targetE1EEEvSM_,comdat
.Lfunc_end287:
	.size	_ZN7rocprim17ROCPRIM_400000_NS6detail17trampoline_kernelINS0_14default_configENS1_38merge_sort_block_merge_config_selectorIlNS0_10empty_typeEEEZZNS1_27merge_sort_block_merge_implIS3_PlPS5_mZN2at6native12_GLOBAL__N_124unique_dim_cuda_templateIaEESt5tupleIJNSA_6TensorESF_SF_EERKSF_lbbbEUlllE_EE10hipError_tT0_T1_T2_jT3_P12ihipStream_tbPNSt15iterator_traitsISL_E10value_typeEPNSR_ISM_E10value_typeEPSN_NS1_7vsmem_tEENKUlT_SL_SM_SN_E_clIS8_S8_S9_S9_EESK_S10_SL_SM_SN_EUlS10_E0_NS1_11comp_targetILNS1_3genE8ELNS1_11target_archE1030ELNS1_3gpuE2ELNS1_3repE0EEENS1_38merge_mergepath_config_static_selectorELNS0_4arch9wavefront6targetE1EEEvSM_, .Lfunc_end287-_ZN7rocprim17ROCPRIM_400000_NS6detail17trampoline_kernelINS0_14default_configENS1_38merge_sort_block_merge_config_selectorIlNS0_10empty_typeEEEZZNS1_27merge_sort_block_merge_implIS3_PlPS5_mZN2at6native12_GLOBAL__N_124unique_dim_cuda_templateIaEESt5tupleIJNSA_6TensorESF_SF_EERKSF_lbbbEUlllE_EE10hipError_tT0_T1_T2_jT3_P12ihipStream_tbPNSt15iterator_traitsISL_E10value_typeEPNSR_ISM_E10value_typeEPSN_NS1_7vsmem_tEENKUlT_SL_SM_SN_E_clIS8_S8_S9_S9_EESK_S10_SL_SM_SN_EUlS10_E0_NS1_11comp_targetILNS1_3genE8ELNS1_11target_archE1030ELNS1_3gpuE2ELNS1_3repE0EEENS1_38merge_mergepath_config_static_selectorELNS0_4arch9wavefront6targetE1EEEvSM_
                                        ; -- End function
	.section	.AMDGPU.csdata,"",@progbits
; Kernel info:
; codeLenInByte = 0
; NumSgprs: 6
; NumVgprs: 0
; NumAgprs: 0
; TotalNumVgprs: 0
; ScratchSize: 0
; MemoryBound: 0
; FloatMode: 240
; IeeeMode: 1
; LDSByteSize: 0 bytes/workgroup (compile time only)
; SGPRBlocks: 0
; VGPRBlocks: 0
; NumSGPRsForWavesPerEU: 6
; NumVGPRsForWavesPerEU: 1
; AccumOffset: 4
; Occupancy: 8
; WaveLimiterHint : 0
; COMPUTE_PGM_RSRC2:SCRATCH_EN: 0
; COMPUTE_PGM_RSRC2:USER_SGPR: 2
; COMPUTE_PGM_RSRC2:TRAP_HANDLER: 0
; COMPUTE_PGM_RSRC2:TGID_X_EN: 1
; COMPUTE_PGM_RSRC2:TGID_Y_EN: 0
; COMPUTE_PGM_RSRC2:TGID_Z_EN: 0
; COMPUTE_PGM_RSRC2:TIDIG_COMP_CNT: 0
; COMPUTE_PGM_RSRC3_GFX90A:ACCUM_OFFSET: 0
; COMPUTE_PGM_RSRC3_GFX90A:TG_SPLIT: 0
	.section	.text._ZN7rocprim17ROCPRIM_400000_NS6detail17trampoline_kernelINS0_14default_configENS1_38merge_sort_block_merge_config_selectorIlNS0_10empty_typeEEEZZNS1_27merge_sort_block_merge_implIS3_PlPS5_mZN2at6native12_GLOBAL__N_124unique_dim_cuda_templateIaEESt5tupleIJNSA_6TensorESF_SF_EERKSF_lbbbEUlllE_EE10hipError_tT0_T1_T2_jT3_P12ihipStream_tbPNSt15iterator_traitsISL_E10value_typeEPNSR_ISM_E10value_typeEPSN_NS1_7vsmem_tEENKUlT_SL_SM_SN_E_clIS8_S8_S9_S9_EESK_S10_SL_SM_SN_EUlS10_E1_NS1_11comp_targetILNS1_3genE0ELNS1_11target_archE4294967295ELNS1_3gpuE0ELNS1_3repE0EEENS1_36merge_oddeven_config_static_selectorELNS0_4arch9wavefront6targetE1EEEvSM_,"axG",@progbits,_ZN7rocprim17ROCPRIM_400000_NS6detail17trampoline_kernelINS0_14default_configENS1_38merge_sort_block_merge_config_selectorIlNS0_10empty_typeEEEZZNS1_27merge_sort_block_merge_implIS3_PlPS5_mZN2at6native12_GLOBAL__N_124unique_dim_cuda_templateIaEESt5tupleIJNSA_6TensorESF_SF_EERKSF_lbbbEUlllE_EE10hipError_tT0_T1_T2_jT3_P12ihipStream_tbPNSt15iterator_traitsISL_E10value_typeEPNSR_ISM_E10value_typeEPSN_NS1_7vsmem_tEENKUlT_SL_SM_SN_E_clIS8_S8_S9_S9_EESK_S10_SL_SM_SN_EUlS10_E1_NS1_11comp_targetILNS1_3genE0ELNS1_11target_archE4294967295ELNS1_3gpuE0ELNS1_3repE0EEENS1_36merge_oddeven_config_static_selectorELNS0_4arch9wavefront6targetE1EEEvSM_,comdat
	.globl	_ZN7rocprim17ROCPRIM_400000_NS6detail17trampoline_kernelINS0_14default_configENS1_38merge_sort_block_merge_config_selectorIlNS0_10empty_typeEEEZZNS1_27merge_sort_block_merge_implIS3_PlPS5_mZN2at6native12_GLOBAL__N_124unique_dim_cuda_templateIaEESt5tupleIJNSA_6TensorESF_SF_EERKSF_lbbbEUlllE_EE10hipError_tT0_T1_T2_jT3_P12ihipStream_tbPNSt15iterator_traitsISL_E10value_typeEPNSR_ISM_E10value_typeEPSN_NS1_7vsmem_tEENKUlT_SL_SM_SN_E_clIS8_S8_S9_S9_EESK_S10_SL_SM_SN_EUlS10_E1_NS1_11comp_targetILNS1_3genE0ELNS1_11target_archE4294967295ELNS1_3gpuE0ELNS1_3repE0EEENS1_36merge_oddeven_config_static_selectorELNS0_4arch9wavefront6targetE1EEEvSM_ ; -- Begin function _ZN7rocprim17ROCPRIM_400000_NS6detail17trampoline_kernelINS0_14default_configENS1_38merge_sort_block_merge_config_selectorIlNS0_10empty_typeEEEZZNS1_27merge_sort_block_merge_implIS3_PlPS5_mZN2at6native12_GLOBAL__N_124unique_dim_cuda_templateIaEESt5tupleIJNSA_6TensorESF_SF_EERKSF_lbbbEUlllE_EE10hipError_tT0_T1_T2_jT3_P12ihipStream_tbPNSt15iterator_traitsISL_E10value_typeEPNSR_ISM_E10value_typeEPSN_NS1_7vsmem_tEENKUlT_SL_SM_SN_E_clIS8_S8_S9_S9_EESK_S10_SL_SM_SN_EUlS10_E1_NS1_11comp_targetILNS1_3genE0ELNS1_11target_archE4294967295ELNS1_3gpuE0ELNS1_3repE0EEENS1_36merge_oddeven_config_static_selectorELNS0_4arch9wavefront6targetE1EEEvSM_
	.p2align	8
	.type	_ZN7rocprim17ROCPRIM_400000_NS6detail17trampoline_kernelINS0_14default_configENS1_38merge_sort_block_merge_config_selectorIlNS0_10empty_typeEEEZZNS1_27merge_sort_block_merge_implIS3_PlPS5_mZN2at6native12_GLOBAL__N_124unique_dim_cuda_templateIaEESt5tupleIJNSA_6TensorESF_SF_EERKSF_lbbbEUlllE_EE10hipError_tT0_T1_T2_jT3_P12ihipStream_tbPNSt15iterator_traitsISL_E10value_typeEPNSR_ISM_E10value_typeEPSN_NS1_7vsmem_tEENKUlT_SL_SM_SN_E_clIS8_S8_S9_S9_EESK_S10_SL_SM_SN_EUlS10_E1_NS1_11comp_targetILNS1_3genE0ELNS1_11target_archE4294967295ELNS1_3gpuE0ELNS1_3repE0EEENS1_36merge_oddeven_config_static_selectorELNS0_4arch9wavefront6targetE1EEEvSM_,@function
_ZN7rocprim17ROCPRIM_400000_NS6detail17trampoline_kernelINS0_14default_configENS1_38merge_sort_block_merge_config_selectorIlNS0_10empty_typeEEEZZNS1_27merge_sort_block_merge_implIS3_PlPS5_mZN2at6native12_GLOBAL__N_124unique_dim_cuda_templateIaEESt5tupleIJNSA_6TensorESF_SF_EERKSF_lbbbEUlllE_EE10hipError_tT0_T1_T2_jT3_P12ihipStream_tbPNSt15iterator_traitsISL_E10value_typeEPNSR_ISM_E10value_typeEPSN_NS1_7vsmem_tEENKUlT_SL_SM_SN_E_clIS8_S8_S9_S9_EESK_S10_SL_SM_SN_EUlS10_E1_NS1_11comp_targetILNS1_3genE0ELNS1_11target_archE4294967295ELNS1_3gpuE0ELNS1_3repE0EEENS1_36merge_oddeven_config_static_selectorELNS0_4arch9wavefront6targetE1EEEvSM_: ; @_ZN7rocprim17ROCPRIM_400000_NS6detail17trampoline_kernelINS0_14default_configENS1_38merge_sort_block_merge_config_selectorIlNS0_10empty_typeEEEZZNS1_27merge_sort_block_merge_implIS3_PlPS5_mZN2at6native12_GLOBAL__N_124unique_dim_cuda_templateIaEESt5tupleIJNSA_6TensorESF_SF_EERKSF_lbbbEUlllE_EE10hipError_tT0_T1_T2_jT3_P12ihipStream_tbPNSt15iterator_traitsISL_E10value_typeEPNSR_ISM_E10value_typeEPSN_NS1_7vsmem_tEENKUlT_SL_SM_SN_E_clIS8_S8_S9_S9_EESK_S10_SL_SM_SN_EUlS10_E1_NS1_11comp_targetILNS1_3genE0ELNS1_11target_archE4294967295ELNS1_3gpuE0ELNS1_3repE0EEENS1_36merge_oddeven_config_static_selectorELNS0_4arch9wavefront6targetE1EEEvSM_
; %bb.0:
	.section	.rodata,"a",@progbits
	.p2align	6, 0x0
	.amdhsa_kernel _ZN7rocprim17ROCPRIM_400000_NS6detail17trampoline_kernelINS0_14default_configENS1_38merge_sort_block_merge_config_selectorIlNS0_10empty_typeEEEZZNS1_27merge_sort_block_merge_implIS3_PlPS5_mZN2at6native12_GLOBAL__N_124unique_dim_cuda_templateIaEESt5tupleIJNSA_6TensorESF_SF_EERKSF_lbbbEUlllE_EE10hipError_tT0_T1_T2_jT3_P12ihipStream_tbPNSt15iterator_traitsISL_E10value_typeEPNSR_ISM_E10value_typeEPSN_NS1_7vsmem_tEENKUlT_SL_SM_SN_E_clIS8_S8_S9_S9_EESK_S10_SL_SM_SN_EUlS10_E1_NS1_11comp_targetILNS1_3genE0ELNS1_11target_archE4294967295ELNS1_3gpuE0ELNS1_3repE0EEENS1_36merge_oddeven_config_static_selectorELNS0_4arch9wavefront6targetE1EEEvSM_
		.amdhsa_group_segment_fixed_size 0
		.amdhsa_private_segment_fixed_size 0
		.amdhsa_kernarg_size 64
		.amdhsa_user_sgpr_count 2
		.amdhsa_user_sgpr_dispatch_ptr 0
		.amdhsa_user_sgpr_queue_ptr 0
		.amdhsa_user_sgpr_kernarg_segment_ptr 1
		.amdhsa_user_sgpr_dispatch_id 0
		.amdhsa_user_sgpr_kernarg_preload_length 0
		.amdhsa_user_sgpr_kernarg_preload_offset 0
		.amdhsa_user_sgpr_private_segment_size 0
		.amdhsa_uses_dynamic_stack 0
		.amdhsa_enable_private_segment 0
		.amdhsa_system_sgpr_workgroup_id_x 1
		.amdhsa_system_sgpr_workgroup_id_y 0
		.amdhsa_system_sgpr_workgroup_id_z 0
		.amdhsa_system_sgpr_workgroup_info 0
		.amdhsa_system_vgpr_workitem_id 0
		.amdhsa_next_free_vgpr 1
		.amdhsa_next_free_sgpr 0
		.amdhsa_accum_offset 4
		.amdhsa_reserve_vcc 0
		.amdhsa_float_round_mode_32 0
		.amdhsa_float_round_mode_16_64 0
		.amdhsa_float_denorm_mode_32 3
		.amdhsa_float_denorm_mode_16_64 3
		.amdhsa_dx10_clamp 1
		.amdhsa_ieee_mode 1
		.amdhsa_fp16_overflow 0
		.amdhsa_tg_split 0
		.amdhsa_exception_fp_ieee_invalid_op 0
		.amdhsa_exception_fp_denorm_src 0
		.amdhsa_exception_fp_ieee_div_zero 0
		.amdhsa_exception_fp_ieee_overflow 0
		.amdhsa_exception_fp_ieee_underflow 0
		.amdhsa_exception_fp_ieee_inexact 0
		.amdhsa_exception_int_div_zero 0
	.end_amdhsa_kernel
	.section	.text._ZN7rocprim17ROCPRIM_400000_NS6detail17trampoline_kernelINS0_14default_configENS1_38merge_sort_block_merge_config_selectorIlNS0_10empty_typeEEEZZNS1_27merge_sort_block_merge_implIS3_PlPS5_mZN2at6native12_GLOBAL__N_124unique_dim_cuda_templateIaEESt5tupleIJNSA_6TensorESF_SF_EERKSF_lbbbEUlllE_EE10hipError_tT0_T1_T2_jT3_P12ihipStream_tbPNSt15iterator_traitsISL_E10value_typeEPNSR_ISM_E10value_typeEPSN_NS1_7vsmem_tEENKUlT_SL_SM_SN_E_clIS8_S8_S9_S9_EESK_S10_SL_SM_SN_EUlS10_E1_NS1_11comp_targetILNS1_3genE0ELNS1_11target_archE4294967295ELNS1_3gpuE0ELNS1_3repE0EEENS1_36merge_oddeven_config_static_selectorELNS0_4arch9wavefront6targetE1EEEvSM_,"axG",@progbits,_ZN7rocprim17ROCPRIM_400000_NS6detail17trampoline_kernelINS0_14default_configENS1_38merge_sort_block_merge_config_selectorIlNS0_10empty_typeEEEZZNS1_27merge_sort_block_merge_implIS3_PlPS5_mZN2at6native12_GLOBAL__N_124unique_dim_cuda_templateIaEESt5tupleIJNSA_6TensorESF_SF_EERKSF_lbbbEUlllE_EE10hipError_tT0_T1_T2_jT3_P12ihipStream_tbPNSt15iterator_traitsISL_E10value_typeEPNSR_ISM_E10value_typeEPSN_NS1_7vsmem_tEENKUlT_SL_SM_SN_E_clIS8_S8_S9_S9_EESK_S10_SL_SM_SN_EUlS10_E1_NS1_11comp_targetILNS1_3genE0ELNS1_11target_archE4294967295ELNS1_3gpuE0ELNS1_3repE0EEENS1_36merge_oddeven_config_static_selectorELNS0_4arch9wavefront6targetE1EEEvSM_,comdat
.Lfunc_end288:
	.size	_ZN7rocprim17ROCPRIM_400000_NS6detail17trampoline_kernelINS0_14default_configENS1_38merge_sort_block_merge_config_selectorIlNS0_10empty_typeEEEZZNS1_27merge_sort_block_merge_implIS3_PlPS5_mZN2at6native12_GLOBAL__N_124unique_dim_cuda_templateIaEESt5tupleIJNSA_6TensorESF_SF_EERKSF_lbbbEUlllE_EE10hipError_tT0_T1_T2_jT3_P12ihipStream_tbPNSt15iterator_traitsISL_E10value_typeEPNSR_ISM_E10value_typeEPSN_NS1_7vsmem_tEENKUlT_SL_SM_SN_E_clIS8_S8_S9_S9_EESK_S10_SL_SM_SN_EUlS10_E1_NS1_11comp_targetILNS1_3genE0ELNS1_11target_archE4294967295ELNS1_3gpuE0ELNS1_3repE0EEENS1_36merge_oddeven_config_static_selectorELNS0_4arch9wavefront6targetE1EEEvSM_, .Lfunc_end288-_ZN7rocprim17ROCPRIM_400000_NS6detail17trampoline_kernelINS0_14default_configENS1_38merge_sort_block_merge_config_selectorIlNS0_10empty_typeEEEZZNS1_27merge_sort_block_merge_implIS3_PlPS5_mZN2at6native12_GLOBAL__N_124unique_dim_cuda_templateIaEESt5tupleIJNSA_6TensorESF_SF_EERKSF_lbbbEUlllE_EE10hipError_tT0_T1_T2_jT3_P12ihipStream_tbPNSt15iterator_traitsISL_E10value_typeEPNSR_ISM_E10value_typeEPSN_NS1_7vsmem_tEENKUlT_SL_SM_SN_E_clIS8_S8_S9_S9_EESK_S10_SL_SM_SN_EUlS10_E1_NS1_11comp_targetILNS1_3genE0ELNS1_11target_archE4294967295ELNS1_3gpuE0ELNS1_3repE0EEENS1_36merge_oddeven_config_static_selectorELNS0_4arch9wavefront6targetE1EEEvSM_
                                        ; -- End function
	.section	.AMDGPU.csdata,"",@progbits
; Kernel info:
; codeLenInByte = 0
; NumSgprs: 6
; NumVgprs: 0
; NumAgprs: 0
; TotalNumVgprs: 0
; ScratchSize: 0
; MemoryBound: 0
; FloatMode: 240
; IeeeMode: 1
; LDSByteSize: 0 bytes/workgroup (compile time only)
; SGPRBlocks: 0
; VGPRBlocks: 0
; NumSGPRsForWavesPerEU: 6
; NumVGPRsForWavesPerEU: 1
; AccumOffset: 4
; Occupancy: 8
; WaveLimiterHint : 0
; COMPUTE_PGM_RSRC2:SCRATCH_EN: 0
; COMPUTE_PGM_RSRC2:USER_SGPR: 2
; COMPUTE_PGM_RSRC2:TRAP_HANDLER: 0
; COMPUTE_PGM_RSRC2:TGID_X_EN: 1
; COMPUTE_PGM_RSRC2:TGID_Y_EN: 0
; COMPUTE_PGM_RSRC2:TGID_Z_EN: 0
; COMPUTE_PGM_RSRC2:TIDIG_COMP_CNT: 0
; COMPUTE_PGM_RSRC3_GFX90A:ACCUM_OFFSET: 0
; COMPUTE_PGM_RSRC3_GFX90A:TG_SPLIT: 0
	.section	.text._ZN7rocprim17ROCPRIM_400000_NS6detail17trampoline_kernelINS0_14default_configENS1_38merge_sort_block_merge_config_selectorIlNS0_10empty_typeEEEZZNS1_27merge_sort_block_merge_implIS3_PlPS5_mZN2at6native12_GLOBAL__N_124unique_dim_cuda_templateIaEESt5tupleIJNSA_6TensorESF_SF_EERKSF_lbbbEUlllE_EE10hipError_tT0_T1_T2_jT3_P12ihipStream_tbPNSt15iterator_traitsISL_E10value_typeEPNSR_ISM_E10value_typeEPSN_NS1_7vsmem_tEENKUlT_SL_SM_SN_E_clIS8_S8_S9_S9_EESK_S10_SL_SM_SN_EUlS10_E1_NS1_11comp_targetILNS1_3genE10ELNS1_11target_archE1201ELNS1_3gpuE5ELNS1_3repE0EEENS1_36merge_oddeven_config_static_selectorELNS0_4arch9wavefront6targetE1EEEvSM_,"axG",@progbits,_ZN7rocprim17ROCPRIM_400000_NS6detail17trampoline_kernelINS0_14default_configENS1_38merge_sort_block_merge_config_selectorIlNS0_10empty_typeEEEZZNS1_27merge_sort_block_merge_implIS3_PlPS5_mZN2at6native12_GLOBAL__N_124unique_dim_cuda_templateIaEESt5tupleIJNSA_6TensorESF_SF_EERKSF_lbbbEUlllE_EE10hipError_tT0_T1_T2_jT3_P12ihipStream_tbPNSt15iterator_traitsISL_E10value_typeEPNSR_ISM_E10value_typeEPSN_NS1_7vsmem_tEENKUlT_SL_SM_SN_E_clIS8_S8_S9_S9_EESK_S10_SL_SM_SN_EUlS10_E1_NS1_11comp_targetILNS1_3genE10ELNS1_11target_archE1201ELNS1_3gpuE5ELNS1_3repE0EEENS1_36merge_oddeven_config_static_selectorELNS0_4arch9wavefront6targetE1EEEvSM_,comdat
	.globl	_ZN7rocprim17ROCPRIM_400000_NS6detail17trampoline_kernelINS0_14default_configENS1_38merge_sort_block_merge_config_selectorIlNS0_10empty_typeEEEZZNS1_27merge_sort_block_merge_implIS3_PlPS5_mZN2at6native12_GLOBAL__N_124unique_dim_cuda_templateIaEESt5tupleIJNSA_6TensorESF_SF_EERKSF_lbbbEUlllE_EE10hipError_tT0_T1_T2_jT3_P12ihipStream_tbPNSt15iterator_traitsISL_E10value_typeEPNSR_ISM_E10value_typeEPSN_NS1_7vsmem_tEENKUlT_SL_SM_SN_E_clIS8_S8_S9_S9_EESK_S10_SL_SM_SN_EUlS10_E1_NS1_11comp_targetILNS1_3genE10ELNS1_11target_archE1201ELNS1_3gpuE5ELNS1_3repE0EEENS1_36merge_oddeven_config_static_selectorELNS0_4arch9wavefront6targetE1EEEvSM_ ; -- Begin function _ZN7rocprim17ROCPRIM_400000_NS6detail17trampoline_kernelINS0_14default_configENS1_38merge_sort_block_merge_config_selectorIlNS0_10empty_typeEEEZZNS1_27merge_sort_block_merge_implIS3_PlPS5_mZN2at6native12_GLOBAL__N_124unique_dim_cuda_templateIaEESt5tupleIJNSA_6TensorESF_SF_EERKSF_lbbbEUlllE_EE10hipError_tT0_T1_T2_jT3_P12ihipStream_tbPNSt15iterator_traitsISL_E10value_typeEPNSR_ISM_E10value_typeEPSN_NS1_7vsmem_tEENKUlT_SL_SM_SN_E_clIS8_S8_S9_S9_EESK_S10_SL_SM_SN_EUlS10_E1_NS1_11comp_targetILNS1_3genE10ELNS1_11target_archE1201ELNS1_3gpuE5ELNS1_3repE0EEENS1_36merge_oddeven_config_static_selectorELNS0_4arch9wavefront6targetE1EEEvSM_
	.p2align	8
	.type	_ZN7rocprim17ROCPRIM_400000_NS6detail17trampoline_kernelINS0_14default_configENS1_38merge_sort_block_merge_config_selectorIlNS0_10empty_typeEEEZZNS1_27merge_sort_block_merge_implIS3_PlPS5_mZN2at6native12_GLOBAL__N_124unique_dim_cuda_templateIaEESt5tupleIJNSA_6TensorESF_SF_EERKSF_lbbbEUlllE_EE10hipError_tT0_T1_T2_jT3_P12ihipStream_tbPNSt15iterator_traitsISL_E10value_typeEPNSR_ISM_E10value_typeEPSN_NS1_7vsmem_tEENKUlT_SL_SM_SN_E_clIS8_S8_S9_S9_EESK_S10_SL_SM_SN_EUlS10_E1_NS1_11comp_targetILNS1_3genE10ELNS1_11target_archE1201ELNS1_3gpuE5ELNS1_3repE0EEENS1_36merge_oddeven_config_static_selectorELNS0_4arch9wavefront6targetE1EEEvSM_,@function
_ZN7rocprim17ROCPRIM_400000_NS6detail17trampoline_kernelINS0_14default_configENS1_38merge_sort_block_merge_config_selectorIlNS0_10empty_typeEEEZZNS1_27merge_sort_block_merge_implIS3_PlPS5_mZN2at6native12_GLOBAL__N_124unique_dim_cuda_templateIaEESt5tupleIJNSA_6TensorESF_SF_EERKSF_lbbbEUlllE_EE10hipError_tT0_T1_T2_jT3_P12ihipStream_tbPNSt15iterator_traitsISL_E10value_typeEPNSR_ISM_E10value_typeEPSN_NS1_7vsmem_tEENKUlT_SL_SM_SN_E_clIS8_S8_S9_S9_EESK_S10_SL_SM_SN_EUlS10_E1_NS1_11comp_targetILNS1_3genE10ELNS1_11target_archE1201ELNS1_3gpuE5ELNS1_3repE0EEENS1_36merge_oddeven_config_static_selectorELNS0_4arch9wavefront6targetE1EEEvSM_: ; @_ZN7rocprim17ROCPRIM_400000_NS6detail17trampoline_kernelINS0_14default_configENS1_38merge_sort_block_merge_config_selectorIlNS0_10empty_typeEEEZZNS1_27merge_sort_block_merge_implIS3_PlPS5_mZN2at6native12_GLOBAL__N_124unique_dim_cuda_templateIaEESt5tupleIJNSA_6TensorESF_SF_EERKSF_lbbbEUlllE_EE10hipError_tT0_T1_T2_jT3_P12ihipStream_tbPNSt15iterator_traitsISL_E10value_typeEPNSR_ISM_E10value_typeEPSN_NS1_7vsmem_tEENKUlT_SL_SM_SN_E_clIS8_S8_S9_S9_EESK_S10_SL_SM_SN_EUlS10_E1_NS1_11comp_targetILNS1_3genE10ELNS1_11target_archE1201ELNS1_3gpuE5ELNS1_3repE0EEENS1_36merge_oddeven_config_static_selectorELNS0_4arch9wavefront6targetE1EEEvSM_
; %bb.0:
	.section	.rodata,"a",@progbits
	.p2align	6, 0x0
	.amdhsa_kernel _ZN7rocprim17ROCPRIM_400000_NS6detail17trampoline_kernelINS0_14default_configENS1_38merge_sort_block_merge_config_selectorIlNS0_10empty_typeEEEZZNS1_27merge_sort_block_merge_implIS3_PlPS5_mZN2at6native12_GLOBAL__N_124unique_dim_cuda_templateIaEESt5tupleIJNSA_6TensorESF_SF_EERKSF_lbbbEUlllE_EE10hipError_tT0_T1_T2_jT3_P12ihipStream_tbPNSt15iterator_traitsISL_E10value_typeEPNSR_ISM_E10value_typeEPSN_NS1_7vsmem_tEENKUlT_SL_SM_SN_E_clIS8_S8_S9_S9_EESK_S10_SL_SM_SN_EUlS10_E1_NS1_11comp_targetILNS1_3genE10ELNS1_11target_archE1201ELNS1_3gpuE5ELNS1_3repE0EEENS1_36merge_oddeven_config_static_selectorELNS0_4arch9wavefront6targetE1EEEvSM_
		.amdhsa_group_segment_fixed_size 0
		.amdhsa_private_segment_fixed_size 0
		.amdhsa_kernarg_size 64
		.amdhsa_user_sgpr_count 2
		.amdhsa_user_sgpr_dispatch_ptr 0
		.amdhsa_user_sgpr_queue_ptr 0
		.amdhsa_user_sgpr_kernarg_segment_ptr 1
		.amdhsa_user_sgpr_dispatch_id 0
		.amdhsa_user_sgpr_kernarg_preload_length 0
		.amdhsa_user_sgpr_kernarg_preload_offset 0
		.amdhsa_user_sgpr_private_segment_size 0
		.amdhsa_uses_dynamic_stack 0
		.amdhsa_enable_private_segment 0
		.amdhsa_system_sgpr_workgroup_id_x 1
		.amdhsa_system_sgpr_workgroup_id_y 0
		.amdhsa_system_sgpr_workgroup_id_z 0
		.amdhsa_system_sgpr_workgroup_info 0
		.amdhsa_system_vgpr_workitem_id 0
		.amdhsa_next_free_vgpr 1
		.amdhsa_next_free_sgpr 0
		.amdhsa_accum_offset 4
		.amdhsa_reserve_vcc 0
		.amdhsa_float_round_mode_32 0
		.amdhsa_float_round_mode_16_64 0
		.amdhsa_float_denorm_mode_32 3
		.amdhsa_float_denorm_mode_16_64 3
		.amdhsa_dx10_clamp 1
		.amdhsa_ieee_mode 1
		.amdhsa_fp16_overflow 0
		.amdhsa_tg_split 0
		.amdhsa_exception_fp_ieee_invalid_op 0
		.amdhsa_exception_fp_denorm_src 0
		.amdhsa_exception_fp_ieee_div_zero 0
		.amdhsa_exception_fp_ieee_overflow 0
		.amdhsa_exception_fp_ieee_underflow 0
		.amdhsa_exception_fp_ieee_inexact 0
		.amdhsa_exception_int_div_zero 0
	.end_amdhsa_kernel
	.section	.text._ZN7rocprim17ROCPRIM_400000_NS6detail17trampoline_kernelINS0_14default_configENS1_38merge_sort_block_merge_config_selectorIlNS0_10empty_typeEEEZZNS1_27merge_sort_block_merge_implIS3_PlPS5_mZN2at6native12_GLOBAL__N_124unique_dim_cuda_templateIaEESt5tupleIJNSA_6TensorESF_SF_EERKSF_lbbbEUlllE_EE10hipError_tT0_T1_T2_jT3_P12ihipStream_tbPNSt15iterator_traitsISL_E10value_typeEPNSR_ISM_E10value_typeEPSN_NS1_7vsmem_tEENKUlT_SL_SM_SN_E_clIS8_S8_S9_S9_EESK_S10_SL_SM_SN_EUlS10_E1_NS1_11comp_targetILNS1_3genE10ELNS1_11target_archE1201ELNS1_3gpuE5ELNS1_3repE0EEENS1_36merge_oddeven_config_static_selectorELNS0_4arch9wavefront6targetE1EEEvSM_,"axG",@progbits,_ZN7rocprim17ROCPRIM_400000_NS6detail17trampoline_kernelINS0_14default_configENS1_38merge_sort_block_merge_config_selectorIlNS0_10empty_typeEEEZZNS1_27merge_sort_block_merge_implIS3_PlPS5_mZN2at6native12_GLOBAL__N_124unique_dim_cuda_templateIaEESt5tupleIJNSA_6TensorESF_SF_EERKSF_lbbbEUlllE_EE10hipError_tT0_T1_T2_jT3_P12ihipStream_tbPNSt15iterator_traitsISL_E10value_typeEPNSR_ISM_E10value_typeEPSN_NS1_7vsmem_tEENKUlT_SL_SM_SN_E_clIS8_S8_S9_S9_EESK_S10_SL_SM_SN_EUlS10_E1_NS1_11comp_targetILNS1_3genE10ELNS1_11target_archE1201ELNS1_3gpuE5ELNS1_3repE0EEENS1_36merge_oddeven_config_static_selectorELNS0_4arch9wavefront6targetE1EEEvSM_,comdat
.Lfunc_end289:
	.size	_ZN7rocprim17ROCPRIM_400000_NS6detail17trampoline_kernelINS0_14default_configENS1_38merge_sort_block_merge_config_selectorIlNS0_10empty_typeEEEZZNS1_27merge_sort_block_merge_implIS3_PlPS5_mZN2at6native12_GLOBAL__N_124unique_dim_cuda_templateIaEESt5tupleIJNSA_6TensorESF_SF_EERKSF_lbbbEUlllE_EE10hipError_tT0_T1_T2_jT3_P12ihipStream_tbPNSt15iterator_traitsISL_E10value_typeEPNSR_ISM_E10value_typeEPSN_NS1_7vsmem_tEENKUlT_SL_SM_SN_E_clIS8_S8_S9_S9_EESK_S10_SL_SM_SN_EUlS10_E1_NS1_11comp_targetILNS1_3genE10ELNS1_11target_archE1201ELNS1_3gpuE5ELNS1_3repE0EEENS1_36merge_oddeven_config_static_selectorELNS0_4arch9wavefront6targetE1EEEvSM_, .Lfunc_end289-_ZN7rocprim17ROCPRIM_400000_NS6detail17trampoline_kernelINS0_14default_configENS1_38merge_sort_block_merge_config_selectorIlNS0_10empty_typeEEEZZNS1_27merge_sort_block_merge_implIS3_PlPS5_mZN2at6native12_GLOBAL__N_124unique_dim_cuda_templateIaEESt5tupleIJNSA_6TensorESF_SF_EERKSF_lbbbEUlllE_EE10hipError_tT0_T1_T2_jT3_P12ihipStream_tbPNSt15iterator_traitsISL_E10value_typeEPNSR_ISM_E10value_typeEPSN_NS1_7vsmem_tEENKUlT_SL_SM_SN_E_clIS8_S8_S9_S9_EESK_S10_SL_SM_SN_EUlS10_E1_NS1_11comp_targetILNS1_3genE10ELNS1_11target_archE1201ELNS1_3gpuE5ELNS1_3repE0EEENS1_36merge_oddeven_config_static_selectorELNS0_4arch9wavefront6targetE1EEEvSM_
                                        ; -- End function
	.section	.AMDGPU.csdata,"",@progbits
; Kernel info:
; codeLenInByte = 0
; NumSgprs: 6
; NumVgprs: 0
; NumAgprs: 0
; TotalNumVgprs: 0
; ScratchSize: 0
; MemoryBound: 0
; FloatMode: 240
; IeeeMode: 1
; LDSByteSize: 0 bytes/workgroup (compile time only)
; SGPRBlocks: 0
; VGPRBlocks: 0
; NumSGPRsForWavesPerEU: 6
; NumVGPRsForWavesPerEU: 1
; AccumOffset: 4
; Occupancy: 8
; WaveLimiterHint : 0
; COMPUTE_PGM_RSRC2:SCRATCH_EN: 0
; COMPUTE_PGM_RSRC2:USER_SGPR: 2
; COMPUTE_PGM_RSRC2:TRAP_HANDLER: 0
; COMPUTE_PGM_RSRC2:TGID_X_EN: 1
; COMPUTE_PGM_RSRC2:TGID_Y_EN: 0
; COMPUTE_PGM_RSRC2:TGID_Z_EN: 0
; COMPUTE_PGM_RSRC2:TIDIG_COMP_CNT: 0
; COMPUTE_PGM_RSRC3_GFX90A:ACCUM_OFFSET: 0
; COMPUTE_PGM_RSRC3_GFX90A:TG_SPLIT: 0
	.section	.text._ZN7rocprim17ROCPRIM_400000_NS6detail17trampoline_kernelINS0_14default_configENS1_38merge_sort_block_merge_config_selectorIlNS0_10empty_typeEEEZZNS1_27merge_sort_block_merge_implIS3_PlPS5_mZN2at6native12_GLOBAL__N_124unique_dim_cuda_templateIaEESt5tupleIJNSA_6TensorESF_SF_EERKSF_lbbbEUlllE_EE10hipError_tT0_T1_T2_jT3_P12ihipStream_tbPNSt15iterator_traitsISL_E10value_typeEPNSR_ISM_E10value_typeEPSN_NS1_7vsmem_tEENKUlT_SL_SM_SN_E_clIS8_S8_S9_S9_EESK_S10_SL_SM_SN_EUlS10_E1_NS1_11comp_targetILNS1_3genE5ELNS1_11target_archE942ELNS1_3gpuE9ELNS1_3repE0EEENS1_36merge_oddeven_config_static_selectorELNS0_4arch9wavefront6targetE1EEEvSM_,"axG",@progbits,_ZN7rocprim17ROCPRIM_400000_NS6detail17trampoline_kernelINS0_14default_configENS1_38merge_sort_block_merge_config_selectorIlNS0_10empty_typeEEEZZNS1_27merge_sort_block_merge_implIS3_PlPS5_mZN2at6native12_GLOBAL__N_124unique_dim_cuda_templateIaEESt5tupleIJNSA_6TensorESF_SF_EERKSF_lbbbEUlllE_EE10hipError_tT0_T1_T2_jT3_P12ihipStream_tbPNSt15iterator_traitsISL_E10value_typeEPNSR_ISM_E10value_typeEPSN_NS1_7vsmem_tEENKUlT_SL_SM_SN_E_clIS8_S8_S9_S9_EESK_S10_SL_SM_SN_EUlS10_E1_NS1_11comp_targetILNS1_3genE5ELNS1_11target_archE942ELNS1_3gpuE9ELNS1_3repE0EEENS1_36merge_oddeven_config_static_selectorELNS0_4arch9wavefront6targetE1EEEvSM_,comdat
	.globl	_ZN7rocprim17ROCPRIM_400000_NS6detail17trampoline_kernelINS0_14default_configENS1_38merge_sort_block_merge_config_selectorIlNS0_10empty_typeEEEZZNS1_27merge_sort_block_merge_implIS3_PlPS5_mZN2at6native12_GLOBAL__N_124unique_dim_cuda_templateIaEESt5tupleIJNSA_6TensorESF_SF_EERKSF_lbbbEUlllE_EE10hipError_tT0_T1_T2_jT3_P12ihipStream_tbPNSt15iterator_traitsISL_E10value_typeEPNSR_ISM_E10value_typeEPSN_NS1_7vsmem_tEENKUlT_SL_SM_SN_E_clIS8_S8_S9_S9_EESK_S10_SL_SM_SN_EUlS10_E1_NS1_11comp_targetILNS1_3genE5ELNS1_11target_archE942ELNS1_3gpuE9ELNS1_3repE0EEENS1_36merge_oddeven_config_static_selectorELNS0_4arch9wavefront6targetE1EEEvSM_ ; -- Begin function _ZN7rocprim17ROCPRIM_400000_NS6detail17trampoline_kernelINS0_14default_configENS1_38merge_sort_block_merge_config_selectorIlNS0_10empty_typeEEEZZNS1_27merge_sort_block_merge_implIS3_PlPS5_mZN2at6native12_GLOBAL__N_124unique_dim_cuda_templateIaEESt5tupleIJNSA_6TensorESF_SF_EERKSF_lbbbEUlllE_EE10hipError_tT0_T1_T2_jT3_P12ihipStream_tbPNSt15iterator_traitsISL_E10value_typeEPNSR_ISM_E10value_typeEPSN_NS1_7vsmem_tEENKUlT_SL_SM_SN_E_clIS8_S8_S9_S9_EESK_S10_SL_SM_SN_EUlS10_E1_NS1_11comp_targetILNS1_3genE5ELNS1_11target_archE942ELNS1_3gpuE9ELNS1_3repE0EEENS1_36merge_oddeven_config_static_selectorELNS0_4arch9wavefront6targetE1EEEvSM_
	.p2align	8
	.type	_ZN7rocprim17ROCPRIM_400000_NS6detail17trampoline_kernelINS0_14default_configENS1_38merge_sort_block_merge_config_selectorIlNS0_10empty_typeEEEZZNS1_27merge_sort_block_merge_implIS3_PlPS5_mZN2at6native12_GLOBAL__N_124unique_dim_cuda_templateIaEESt5tupleIJNSA_6TensorESF_SF_EERKSF_lbbbEUlllE_EE10hipError_tT0_T1_T2_jT3_P12ihipStream_tbPNSt15iterator_traitsISL_E10value_typeEPNSR_ISM_E10value_typeEPSN_NS1_7vsmem_tEENKUlT_SL_SM_SN_E_clIS8_S8_S9_S9_EESK_S10_SL_SM_SN_EUlS10_E1_NS1_11comp_targetILNS1_3genE5ELNS1_11target_archE942ELNS1_3gpuE9ELNS1_3repE0EEENS1_36merge_oddeven_config_static_selectorELNS0_4arch9wavefront6targetE1EEEvSM_,@function
_ZN7rocprim17ROCPRIM_400000_NS6detail17trampoline_kernelINS0_14default_configENS1_38merge_sort_block_merge_config_selectorIlNS0_10empty_typeEEEZZNS1_27merge_sort_block_merge_implIS3_PlPS5_mZN2at6native12_GLOBAL__N_124unique_dim_cuda_templateIaEESt5tupleIJNSA_6TensorESF_SF_EERKSF_lbbbEUlllE_EE10hipError_tT0_T1_T2_jT3_P12ihipStream_tbPNSt15iterator_traitsISL_E10value_typeEPNSR_ISM_E10value_typeEPSN_NS1_7vsmem_tEENKUlT_SL_SM_SN_E_clIS8_S8_S9_S9_EESK_S10_SL_SM_SN_EUlS10_E1_NS1_11comp_targetILNS1_3genE5ELNS1_11target_archE942ELNS1_3gpuE9ELNS1_3repE0EEENS1_36merge_oddeven_config_static_selectorELNS0_4arch9wavefront6targetE1EEEvSM_: ; @_ZN7rocprim17ROCPRIM_400000_NS6detail17trampoline_kernelINS0_14default_configENS1_38merge_sort_block_merge_config_selectorIlNS0_10empty_typeEEEZZNS1_27merge_sort_block_merge_implIS3_PlPS5_mZN2at6native12_GLOBAL__N_124unique_dim_cuda_templateIaEESt5tupleIJNSA_6TensorESF_SF_EERKSF_lbbbEUlllE_EE10hipError_tT0_T1_T2_jT3_P12ihipStream_tbPNSt15iterator_traitsISL_E10value_typeEPNSR_ISM_E10value_typeEPSN_NS1_7vsmem_tEENKUlT_SL_SM_SN_E_clIS8_S8_S9_S9_EESK_S10_SL_SM_SN_EUlS10_E1_NS1_11comp_targetILNS1_3genE5ELNS1_11target_archE942ELNS1_3gpuE9ELNS1_3repE0EEENS1_36merge_oddeven_config_static_selectorELNS0_4arch9wavefront6targetE1EEEvSM_
; %bb.0:
	s_load_dword s22, s[0:1], 0x20
	s_waitcnt lgkmcnt(0)
	s_lshr_b32 s3, s22, 8
	s_cmp_lg_u32 s2, s3
	s_cselect_b64 s[12:13], -1, 0
	s_cmp_eq_u32 s2, s3
	s_cselect_b64 s[18:19], -1, 0
	s_lshl_b32 s20, s2, 8
	s_sub_i32 s3, s22, s20
	v_cmp_gt_u32_e64 s[4:5], s3, v0
	s_or_b64 s[6:7], s[12:13], s[4:5]
	s_and_saveexec_b64 s[8:9], s[6:7]
	s_cbranch_execz .LBB290_54
; %bb.1:
	s_load_dwordx4 s[8:11], s[0:1], 0x0
	s_load_dword s23, s[0:1], 0x28
	s_mov_b32 s21, 0
	s_lshl_b64 s[6:7], s[20:21], 3
	v_lshlrev_b32_e32 v1, 3, v0
	s_waitcnt lgkmcnt(0)
	s_add_u32 s6, s8, s6
	s_addc_u32 s7, s9, s7
	global_load_dwordx2 v[2:3], v1, s[6:7]
	s_lshr_b32 s3, s23, 8
	s_sub_i32 s6, 0, s3
	s_and_b32 s2, s2, s6
	s_and_b32 s3, s2, s3
	s_cmp_lg_u32 s3, 0
	s_cselect_b64 s[6:7], -1, 0
	s_lshl_b32 s21, s2, 8
	s_sub_i32 s2, 0, s23
	s_cmp_eq_u32 s3, 0
	s_cselect_b32 s33, s23, s2
	s_add_i32 s33, s33, s21
	s_cmp_lt_u32 s33, s22
	s_cbranch_scc1 .LBB290_3
; %bb.2:
	v_add_u32_e32 v4, s20, v0
	v_cmp_gt_u32_e32 vcc, s22, v4
	s_or_b64 s[12:13], vcc, s[12:13]
	s_and_b64 s[16:17], s[12:13], exec
	s_cbranch_execz .LBB290_4
	s_branch .LBB290_52
.LBB290_3:
	s_mov_b64 s[16:17], 0
                                        ; implicit-def: $vgpr4
.LBB290_4:
	s_load_dwordx4 s[12:15], s[0:1], 0x30
	s_min_u32 s40, s33, s22
	s_add_i32 s0, s40, s23
	s_min_u32 s41, s0, s22
	s_min_u32 s0, s21, s40
	v_add_u32_e32 v0, s20, v0
	s_add_i32 s21, s21, s40
	v_subrev_u32_e32 v0, s21, v0
	v_add_u32_e32 v14, s0, v0
	s_and_b64 vcc, exec, s[18:19]
	s_cbranch_vccz .LBB290_26
; %bb.5:
                                        ; implicit-def: $vgpr4
	s_and_saveexec_b64 s[18:19], s[4:5]
	s_cbranch_execz .LBB290_29
; %bb.6:
	s_cmp_ge_u32 s33, s41
	v_mov_b32_e32 v15, s40
	s_cbranch_scc1 .LBB290_28
; %bb.7:
	s_waitcnt lgkmcnt(0)
	v_mov_b64_e32 v[0:1], s[14:15]
	s_waitcnt vmcnt(0)
	v_mad_u64_u32 v[4:5], s[0:1], v2, s12, v[0:1]
	v_mul_lo_u32 v6, v2, s13
	v_mul_lo_u32 v7, v3, s12
	v_add3_u32 v5, v7, v5, v6
	v_cndmask_b32_e64 v6, 0, 1, s[6:7]
	v_cmp_gt_i64_e64 s[2:3], s[12:13], 0
	v_cmp_ne_u32_e64 s[0:1], 1, v6
	s_mov_b64 s[4:5], 0
	v_cndmask_b32_e64 v6, 0, 1, s[2:3]
	v_mov_b32_e32 v16, s41
	v_mov_b32_e32 v15, s40
	;; [unrolled: 1-line block ×3, first 2 shown]
	v_cmp_ne_u32_e64 s[2:3], 1, v6
	s_branch .LBB290_10
.LBB290_8:                              ;   in Loop: Header=BB290_10 Depth=1
	s_or_b64 exec, exec, s[22:23]
.LBB290_9:                              ;   in Loop: Header=BB290_10 Depth=1
	s_waitcnt vmcnt(0)
	v_add_u32_e32 v8, 1, v6
	v_cndmask_b32_e64 v16, v6, v16, s[20:21]
	v_cndmask_b32_e64 v15, v15, v8, s[20:21]
	v_cmp_ge_u32_e32 vcc, v15, v16
	s_or_b64 s[4:5], vcc, s[4:5]
	s_andn2_b64 exec, exec, s[4:5]
	s_cbranch_execz .LBB290_27
.LBB290_10:                             ; =>This Loop Header: Depth=1
                                        ;     Child Loop BB290_14 Depth 2
                                        ;     Child Loop BB290_23 Depth 2
	v_add_u32_e32 v6, v15, v16
	v_lshrrev_b32_e32 v6, 1, v6
	v_lshl_add_u64 v[8:9], v[6:7], 3, s[8:9]
	global_load_dwordx2 v[8:9], v[8:9], off
	s_and_b64 vcc, exec, s[0:1]
	s_mov_b64 s[22:23], -1
                                        ; implicit-def: $sgpr20_sgpr21
	s_cbranch_vccnz .LBB290_19
; %bb.11:                               ;   in Loop: Header=BB290_10 Depth=1
	s_and_b64 vcc, exec, s[2:3]
	s_cbranch_vccnz .LBB290_17
; %bb.12:                               ;   in Loop: Header=BB290_10 Depth=1
	s_waitcnt vmcnt(0)
	v_mad_u64_u32 v[10:11], s[20:21], v8, s12, v[0:1]
	v_mul_lo_u32 v12, v8, s13
	v_mul_lo_u32 v13, v9, s12
	v_add3_u32 v11, v13, v11, v12
	s_mov_b64 s[22:23], 0
	s_mov_b64 s[28:29], s[12:13]
	v_mov_b64_e32 v[12:13], v[4:5]
                                        ; implicit-def: $sgpr20_sgpr21
                                        ; implicit-def: $sgpr24_sgpr25
                                        ; implicit-def: $sgpr26_sgpr27
                                        ; implicit-def: $sgpr30_sgpr31
                                        ; implicit-def: $sgpr34_sgpr35
	s_branch .LBB290_14
.LBB290_13:                             ;   in Loop: Header=BB290_14 Depth=2
	s_or_b64 exec, exec, s[36:37]
	s_and_b64 s[36:37], exec, s[24:25]
	s_or_b64 s[22:23], s[36:37], s[22:23]
	s_andn2_b64 s[34:35], s[34:35], exec
	s_and_b64 s[36:37], s[26:27], exec
	s_or_b64 s[34:35], s[34:35], s[36:37]
	s_andn2_b64 s[20:21], s[20:21], exec
	s_and_b64 s[36:37], s[30:31], exec
	s_or_b64 s[20:21], s[20:21], s[36:37]
	s_andn2_b64 exec, exec, s[22:23]
	s_cbranch_execz .LBB290_16
.LBB290_14:                             ;   Parent Loop BB290_10 Depth=1
                                        ; =>  This Inner Loop Header: Depth=2
	global_load_ubyte v17, v[12:13], off
	global_load_ubyte v18, v[10:11], off
	s_andn2_b64 s[30:31], s[30:31], exec
	s_andn2_b64 s[26:27], s[26:27], exec
	s_or_b64 s[24:25], s[24:25], exec
	s_waitcnt vmcnt(0)
	v_cmp_le_i16_sdwa s[38:39], sext(v17), sext(v18) src0_sel:BYTE_0 src1_sel:BYTE_0
	v_cmp_lt_i16_sdwa s[36:37], sext(v17), sext(v18) src0_sel:BYTE_0 src1_sel:BYTE_0
	s_and_b64 s[38:39], s[38:39], s[34:35]
	s_or_b64 s[38:39], s[36:37], s[38:39]
	s_and_b64 s[36:37], s[38:39], exec
	v_cmp_eq_u16_sdwa s[42:43], v17, v18 src0_sel:BYTE_0 src1_sel:BYTE_0
	s_or_b64 s[30:31], s[30:31], s[36:37]
	s_and_saveexec_b64 s[36:37], s[42:43]
	s_cbranch_execz .LBB290_13
; %bb.15:                               ;   in Loop: Header=BB290_14 Depth=2
	s_add_u32 s28, s28, -1
	s_addc_u32 s29, s29, -1
	s_cmp_eq_u64 s[28:29], 0
	s_cselect_b64 s[34:35], -1, 0
	s_andn2_b64 s[26:27], s[26:27], exec
	s_and_b64 s[38:39], s[38:39], exec
	s_andn2_b64 s[24:25], s[24:25], exec
	s_and_b64 s[34:35], s[34:35], exec
	v_lshl_add_u64 v[12:13], v[12:13], 0, 1
	v_lshl_add_u64 v[10:11], v[10:11], 0, 1
	s_andn2_b64 s[30:31], s[30:31], exec
	s_or_b64 s[26:27], s[26:27], s[38:39]
	s_or_b64 s[24:25], s[24:25], s[34:35]
                                        ; implicit-def: $sgpr34_sgpr35
	s_branch .LBB290_13
.LBB290_16:                             ;   in Loop: Header=BB290_10 Depth=1
	s_or_b64 exec, exec, s[22:23]
	s_branch .LBB290_18
.LBB290_17:                             ;   in Loop: Header=BB290_10 Depth=1
	s_mov_b64 s[20:21], 0
.LBB290_18:                             ;   in Loop: Header=BB290_10 Depth=1
	s_xor_b64 s[20:21], s[20:21], -1
	s_mov_b64 s[22:23], 0
.LBB290_19:                             ;   in Loop: Header=BB290_10 Depth=1
	s_and_b64 vcc, exec, s[22:23]
	s_cbranch_vccz .LBB290_9
; %bb.20:                               ;   in Loop: Header=BB290_10 Depth=1
	s_and_b64 vcc, exec, s[2:3]
	s_cbranch_vccnz .LBB290_25
; %bb.21:                               ;   in Loop: Header=BB290_10 Depth=1
	s_waitcnt vmcnt(0)
	v_mad_u64_u32 v[10:11], s[20:21], v8, s12, v[0:1]
	v_mul_lo_u32 v8, v8, s13
	v_mul_lo_u32 v9, v9, s12
	v_add3_u32 v11, v9, v11, v8
	s_mov_b64 s[22:23], 0
	s_mov_b64 s[28:29], s[12:13]
	v_mov_b64_e32 v[8:9], v[4:5]
                                        ; implicit-def: $sgpr20_sgpr21
                                        ; implicit-def: $sgpr24_sgpr25
                                        ; implicit-def: $sgpr26_sgpr27
                                        ; implicit-def: $sgpr30_sgpr31
                                        ; implicit-def: $sgpr34_sgpr35
	s_branch .LBB290_23
.LBB290_22:                             ;   in Loop: Header=BB290_23 Depth=2
	s_or_b64 exec, exec, s[36:37]
	s_and_b64 s[36:37], exec, s[24:25]
	s_or_b64 s[22:23], s[36:37], s[22:23]
	s_andn2_b64 s[34:35], s[34:35], exec
	s_and_b64 s[36:37], s[26:27], exec
	s_or_b64 s[34:35], s[34:35], s[36:37]
	s_andn2_b64 s[20:21], s[20:21], exec
	s_and_b64 s[36:37], s[30:31], exec
	s_or_b64 s[20:21], s[20:21], s[36:37]
	s_andn2_b64 exec, exec, s[22:23]
	s_cbranch_execz .LBB290_8
.LBB290_23:                             ;   Parent Loop BB290_10 Depth=1
                                        ; =>  This Inner Loop Header: Depth=2
	global_load_ubyte v12, v[10:11], off
	global_load_ubyte v13, v[8:9], off
	s_andn2_b64 s[30:31], s[30:31], exec
	s_andn2_b64 s[26:27], s[26:27], exec
	s_or_b64 s[24:25], s[24:25], exec
	s_waitcnt vmcnt(0)
	v_cmp_le_i16_sdwa s[38:39], sext(v12), sext(v13) src0_sel:BYTE_0 src1_sel:BYTE_0
	v_cmp_lt_i16_sdwa s[36:37], sext(v12), sext(v13) src0_sel:BYTE_0 src1_sel:BYTE_0
	s_and_b64 s[38:39], s[38:39], s[34:35]
	s_or_b64 s[38:39], s[36:37], s[38:39]
	s_and_b64 s[36:37], s[38:39], exec
	v_cmp_eq_u16_sdwa s[42:43], v12, v13 src0_sel:BYTE_0 src1_sel:BYTE_0
	s_or_b64 s[30:31], s[30:31], s[36:37]
	s_and_saveexec_b64 s[36:37], s[42:43]
	s_cbranch_execz .LBB290_22
; %bb.24:                               ;   in Loop: Header=BB290_23 Depth=2
	s_add_u32 s28, s28, -1
	s_addc_u32 s29, s29, -1
	s_cmp_eq_u64 s[28:29], 0
	s_cselect_b64 s[34:35], -1, 0
	s_andn2_b64 s[26:27], s[26:27], exec
	s_and_b64 s[38:39], s[38:39], exec
	s_andn2_b64 s[24:25], s[24:25], exec
	s_and_b64 s[34:35], s[34:35], exec
	v_lshl_add_u64 v[10:11], v[10:11], 0, 1
	v_lshl_add_u64 v[8:9], v[8:9], 0, 1
	s_andn2_b64 s[30:31], s[30:31], exec
	s_or_b64 s[26:27], s[26:27], s[38:39]
	s_or_b64 s[24:25], s[24:25], s[34:35]
                                        ; implicit-def: $sgpr34_sgpr35
	s_branch .LBB290_22
.LBB290_25:                             ;   in Loop: Header=BB290_10 Depth=1
	s_mov_b64 s[20:21], 0
	s_branch .LBB290_9
.LBB290_26:
                                        ; implicit-def: $vgpr4
	s_cbranch_execnz .LBB290_30
	s_branch .LBB290_52
.LBB290_27:
	s_or_b64 exec, exec, s[4:5]
.LBB290_28:
	v_add_u32_e32 v4, v15, v14
	s_or_b64 s[16:17], s[16:17], exec
.LBB290_29:
	s_or_b64 exec, exec, s[18:19]
	s_branch .LBB290_52
.LBB290_30:
	s_cmp_ge_u32 s33, s41
	v_mov_b32_e32 v15, s40
	s_cbranch_scc1 .LBB290_51
; %bb.31:
	s_waitcnt lgkmcnt(0)
	v_mov_b64_e32 v[0:1], s[14:15]
	s_waitcnt vmcnt(0)
	v_mad_u64_u32 v[4:5], s[0:1], v2, s12, v[0:1]
	v_mul_lo_u32 v6, v2, s13
	v_mul_lo_u32 v7, v3, s12
	v_add3_u32 v5, v7, v5, v6
	v_cndmask_b32_e64 v6, 0, 1, s[6:7]
	v_cmp_gt_i64_e64 s[2:3], s[12:13], 0
	v_cmp_ne_u32_e64 s[0:1], 1, v6
	s_mov_b64 s[4:5], 0
	v_cndmask_b32_e64 v6, 0, 1, s[2:3]
	v_mov_b32_e32 v16, s41
	v_mov_b32_e32 v15, s40
	;; [unrolled: 1-line block ×3, first 2 shown]
	v_cmp_ne_u32_e64 s[2:3], 1, v6
	s_branch .LBB290_34
.LBB290_32:                             ;   in Loop: Header=BB290_34 Depth=1
	s_or_b64 exec, exec, s[14:15]
.LBB290_33:                             ;   in Loop: Header=BB290_34 Depth=1
	s_waitcnt vmcnt(0)
	v_add_u32_e32 v8, 1, v6
	v_cndmask_b32_e64 v16, v6, v16, s[6:7]
	v_cndmask_b32_e64 v15, v15, v8, s[6:7]
	v_cmp_ge_u32_e32 vcc, v15, v16
	s_or_b64 s[4:5], vcc, s[4:5]
	s_andn2_b64 exec, exec, s[4:5]
	s_cbranch_execz .LBB290_50
.LBB290_34:                             ; =>This Loop Header: Depth=1
                                        ;     Child Loop BB290_38 Depth 2
                                        ;     Child Loop BB290_47 Depth 2
	v_add_u32_e32 v6, v15, v16
	v_lshrrev_b32_e32 v6, 1, v6
	v_lshl_add_u64 v[8:9], v[6:7], 3, s[8:9]
	global_load_dwordx2 v[8:9], v[8:9], off
	s_and_b64 vcc, exec, s[0:1]
	s_mov_b64 s[14:15], -1
                                        ; implicit-def: $sgpr6_sgpr7
	s_cbranch_vccnz .LBB290_43
; %bb.35:                               ;   in Loop: Header=BB290_34 Depth=1
	s_and_b64 vcc, exec, s[2:3]
	s_cbranch_vccnz .LBB290_41
; %bb.36:                               ;   in Loop: Header=BB290_34 Depth=1
	s_waitcnt vmcnt(0)
	v_mad_u64_u32 v[10:11], s[6:7], v8, s12, v[0:1]
	v_mul_lo_u32 v12, v8, s13
	v_mul_lo_u32 v13, v9, s12
	v_add3_u32 v11, v13, v11, v12
	s_mov_b64 s[14:15], 0
	s_mov_b64 s[20:21], s[12:13]
	v_mov_b64_e32 v[12:13], v[4:5]
                                        ; implicit-def: $sgpr6_sgpr7
                                        ; implicit-def: $sgpr16_sgpr17
                                        ; implicit-def: $sgpr18_sgpr19
                                        ; implicit-def: $sgpr22_sgpr23
                                        ; implicit-def: $sgpr24_sgpr25
	s_branch .LBB290_38
.LBB290_37:                             ;   in Loop: Header=BB290_38 Depth=2
	s_or_b64 exec, exec, s[26:27]
	s_and_b64 s[26:27], exec, s[16:17]
	s_or_b64 s[14:15], s[26:27], s[14:15]
	s_andn2_b64 s[24:25], s[24:25], exec
	s_and_b64 s[26:27], s[18:19], exec
	s_or_b64 s[24:25], s[24:25], s[26:27]
	s_andn2_b64 s[6:7], s[6:7], exec
	s_and_b64 s[26:27], s[22:23], exec
	s_or_b64 s[6:7], s[6:7], s[26:27]
	s_andn2_b64 exec, exec, s[14:15]
	s_cbranch_execz .LBB290_40
.LBB290_38:                             ;   Parent Loop BB290_34 Depth=1
                                        ; =>  This Inner Loop Header: Depth=2
	global_load_ubyte v17, v[12:13], off
	global_load_ubyte v18, v[10:11], off
	s_andn2_b64 s[22:23], s[22:23], exec
	s_andn2_b64 s[18:19], s[18:19], exec
	s_or_b64 s[16:17], s[16:17], exec
	s_waitcnt vmcnt(0)
	v_cmp_le_i16_sdwa s[28:29], sext(v17), sext(v18) src0_sel:BYTE_0 src1_sel:BYTE_0
	v_cmp_lt_i16_sdwa s[26:27], sext(v17), sext(v18) src0_sel:BYTE_0 src1_sel:BYTE_0
	s_and_b64 s[28:29], s[28:29], s[24:25]
	s_or_b64 s[28:29], s[26:27], s[28:29]
	s_and_b64 s[26:27], s[28:29], exec
	v_cmp_eq_u16_sdwa s[30:31], v17, v18 src0_sel:BYTE_0 src1_sel:BYTE_0
	s_or_b64 s[22:23], s[22:23], s[26:27]
	s_and_saveexec_b64 s[26:27], s[30:31]
	s_cbranch_execz .LBB290_37
; %bb.39:                               ;   in Loop: Header=BB290_38 Depth=2
	s_add_u32 s20, s20, -1
	s_addc_u32 s21, s21, -1
	s_cmp_eq_u64 s[20:21], 0
	s_cselect_b64 s[24:25], -1, 0
	s_andn2_b64 s[18:19], s[18:19], exec
	s_and_b64 s[28:29], s[28:29], exec
	s_andn2_b64 s[16:17], s[16:17], exec
	s_and_b64 s[24:25], s[24:25], exec
	v_lshl_add_u64 v[12:13], v[12:13], 0, 1
	v_lshl_add_u64 v[10:11], v[10:11], 0, 1
	s_andn2_b64 s[22:23], s[22:23], exec
	s_or_b64 s[18:19], s[18:19], s[28:29]
	s_or_b64 s[16:17], s[16:17], s[24:25]
                                        ; implicit-def: $sgpr24_sgpr25
	s_branch .LBB290_37
.LBB290_40:                             ;   in Loop: Header=BB290_34 Depth=1
	s_or_b64 exec, exec, s[14:15]
	s_branch .LBB290_42
.LBB290_41:                             ;   in Loop: Header=BB290_34 Depth=1
	s_mov_b64 s[6:7], 0
.LBB290_42:                             ;   in Loop: Header=BB290_34 Depth=1
	s_xor_b64 s[6:7], s[6:7], -1
	s_mov_b64 s[14:15], 0
.LBB290_43:                             ;   in Loop: Header=BB290_34 Depth=1
	s_and_b64 vcc, exec, s[14:15]
	s_cbranch_vccz .LBB290_33
; %bb.44:                               ;   in Loop: Header=BB290_34 Depth=1
	s_and_b64 vcc, exec, s[2:3]
	s_cbranch_vccnz .LBB290_49
; %bb.45:                               ;   in Loop: Header=BB290_34 Depth=1
	s_waitcnt vmcnt(0)
	v_mad_u64_u32 v[10:11], s[6:7], v8, s12, v[0:1]
	v_mul_lo_u32 v8, v8, s13
	v_mul_lo_u32 v9, v9, s12
	v_add3_u32 v11, v9, v11, v8
	s_mov_b64 s[14:15], 0
	s_mov_b64 s[20:21], s[12:13]
	v_mov_b64_e32 v[8:9], v[4:5]
                                        ; implicit-def: $sgpr6_sgpr7
                                        ; implicit-def: $sgpr16_sgpr17
                                        ; implicit-def: $sgpr18_sgpr19
                                        ; implicit-def: $sgpr22_sgpr23
                                        ; implicit-def: $sgpr24_sgpr25
	s_branch .LBB290_47
.LBB290_46:                             ;   in Loop: Header=BB290_47 Depth=2
	s_or_b64 exec, exec, s[26:27]
	s_and_b64 s[26:27], exec, s[16:17]
	s_or_b64 s[14:15], s[26:27], s[14:15]
	s_andn2_b64 s[24:25], s[24:25], exec
	s_and_b64 s[26:27], s[18:19], exec
	s_or_b64 s[24:25], s[24:25], s[26:27]
	s_andn2_b64 s[6:7], s[6:7], exec
	s_and_b64 s[26:27], s[22:23], exec
	s_or_b64 s[6:7], s[6:7], s[26:27]
	s_andn2_b64 exec, exec, s[14:15]
	s_cbranch_execz .LBB290_32
.LBB290_47:                             ;   Parent Loop BB290_34 Depth=1
                                        ; =>  This Inner Loop Header: Depth=2
	global_load_ubyte v12, v[10:11], off
	global_load_ubyte v13, v[8:9], off
	s_andn2_b64 s[22:23], s[22:23], exec
	s_andn2_b64 s[18:19], s[18:19], exec
	s_or_b64 s[16:17], s[16:17], exec
	s_waitcnt vmcnt(0)
	v_cmp_le_i16_sdwa s[28:29], sext(v12), sext(v13) src0_sel:BYTE_0 src1_sel:BYTE_0
	v_cmp_lt_i16_sdwa s[26:27], sext(v12), sext(v13) src0_sel:BYTE_0 src1_sel:BYTE_0
	s_and_b64 s[28:29], s[28:29], s[24:25]
	s_or_b64 s[28:29], s[26:27], s[28:29]
	s_and_b64 s[26:27], s[28:29], exec
	v_cmp_eq_u16_sdwa s[30:31], v12, v13 src0_sel:BYTE_0 src1_sel:BYTE_0
	s_or_b64 s[22:23], s[22:23], s[26:27]
	s_and_saveexec_b64 s[26:27], s[30:31]
	s_cbranch_execz .LBB290_46
; %bb.48:                               ;   in Loop: Header=BB290_47 Depth=2
	s_add_u32 s20, s20, -1
	s_addc_u32 s21, s21, -1
	s_cmp_eq_u64 s[20:21], 0
	s_cselect_b64 s[24:25], -1, 0
	s_andn2_b64 s[18:19], s[18:19], exec
	s_and_b64 s[28:29], s[28:29], exec
	s_andn2_b64 s[16:17], s[16:17], exec
	s_and_b64 s[24:25], s[24:25], exec
	v_lshl_add_u64 v[10:11], v[10:11], 0, 1
	v_lshl_add_u64 v[8:9], v[8:9], 0, 1
	s_andn2_b64 s[22:23], s[22:23], exec
	s_or_b64 s[18:19], s[18:19], s[28:29]
	s_or_b64 s[16:17], s[16:17], s[24:25]
                                        ; implicit-def: $sgpr24_sgpr25
	s_branch .LBB290_46
.LBB290_49:                             ;   in Loop: Header=BB290_34 Depth=1
	s_mov_b64 s[6:7], 0
	s_branch .LBB290_33
.LBB290_50:
	s_or_b64 exec, exec, s[4:5]
.LBB290_51:
	v_add_u32_e32 v4, v15, v14
	s_mov_b64 s[16:17], -1
.LBB290_52:
	s_and_b64 exec, exec, s[16:17]
	s_cbranch_execz .LBB290_54
; %bb.53:
	v_mov_b32_e32 v0, s10
	v_mov_b32_e32 v1, s11
	;; [unrolled: 1-line block ×3, first 2 shown]
	v_lshl_add_u64 v[0:1], v[4:5], 3, v[0:1]
	s_waitcnt vmcnt(0)
	global_store_dwordx2 v[0:1], v[2:3], off
.LBB290_54:
	s_endpgm
	.section	.rodata,"a",@progbits
	.p2align	6, 0x0
	.amdhsa_kernel _ZN7rocprim17ROCPRIM_400000_NS6detail17trampoline_kernelINS0_14default_configENS1_38merge_sort_block_merge_config_selectorIlNS0_10empty_typeEEEZZNS1_27merge_sort_block_merge_implIS3_PlPS5_mZN2at6native12_GLOBAL__N_124unique_dim_cuda_templateIaEESt5tupleIJNSA_6TensorESF_SF_EERKSF_lbbbEUlllE_EE10hipError_tT0_T1_T2_jT3_P12ihipStream_tbPNSt15iterator_traitsISL_E10value_typeEPNSR_ISM_E10value_typeEPSN_NS1_7vsmem_tEENKUlT_SL_SM_SN_E_clIS8_S8_S9_S9_EESK_S10_SL_SM_SN_EUlS10_E1_NS1_11comp_targetILNS1_3genE5ELNS1_11target_archE942ELNS1_3gpuE9ELNS1_3repE0EEENS1_36merge_oddeven_config_static_selectorELNS0_4arch9wavefront6targetE1EEEvSM_
		.amdhsa_group_segment_fixed_size 0
		.amdhsa_private_segment_fixed_size 0
		.amdhsa_kernarg_size 64
		.amdhsa_user_sgpr_count 2
		.amdhsa_user_sgpr_dispatch_ptr 0
		.amdhsa_user_sgpr_queue_ptr 0
		.amdhsa_user_sgpr_kernarg_segment_ptr 1
		.amdhsa_user_sgpr_dispatch_id 0
		.amdhsa_user_sgpr_kernarg_preload_length 0
		.amdhsa_user_sgpr_kernarg_preload_offset 0
		.amdhsa_user_sgpr_private_segment_size 0
		.amdhsa_uses_dynamic_stack 0
		.amdhsa_enable_private_segment 0
		.amdhsa_system_sgpr_workgroup_id_x 1
		.amdhsa_system_sgpr_workgroup_id_y 0
		.amdhsa_system_sgpr_workgroup_id_z 0
		.amdhsa_system_sgpr_workgroup_info 0
		.amdhsa_system_vgpr_workitem_id 0
		.amdhsa_next_free_vgpr 19
		.amdhsa_next_free_sgpr 44
		.amdhsa_accum_offset 20
		.amdhsa_reserve_vcc 1
		.amdhsa_float_round_mode_32 0
		.amdhsa_float_round_mode_16_64 0
		.amdhsa_float_denorm_mode_32 3
		.amdhsa_float_denorm_mode_16_64 3
		.amdhsa_dx10_clamp 1
		.amdhsa_ieee_mode 1
		.amdhsa_fp16_overflow 0
		.amdhsa_tg_split 0
		.amdhsa_exception_fp_ieee_invalid_op 0
		.amdhsa_exception_fp_denorm_src 0
		.amdhsa_exception_fp_ieee_div_zero 0
		.amdhsa_exception_fp_ieee_overflow 0
		.amdhsa_exception_fp_ieee_underflow 0
		.amdhsa_exception_fp_ieee_inexact 0
		.amdhsa_exception_int_div_zero 0
	.end_amdhsa_kernel
	.section	.text._ZN7rocprim17ROCPRIM_400000_NS6detail17trampoline_kernelINS0_14default_configENS1_38merge_sort_block_merge_config_selectorIlNS0_10empty_typeEEEZZNS1_27merge_sort_block_merge_implIS3_PlPS5_mZN2at6native12_GLOBAL__N_124unique_dim_cuda_templateIaEESt5tupleIJNSA_6TensorESF_SF_EERKSF_lbbbEUlllE_EE10hipError_tT0_T1_T2_jT3_P12ihipStream_tbPNSt15iterator_traitsISL_E10value_typeEPNSR_ISM_E10value_typeEPSN_NS1_7vsmem_tEENKUlT_SL_SM_SN_E_clIS8_S8_S9_S9_EESK_S10_SL_SM_SN_EUlS10_E1_NS1_11comp_targetILNS1_3genE5ELNS1_11target_archE942ELNS1_3gpuE9ELNS1_3repE0EEENS1_36merge_oddeven_config_static_selectorELNS0_4arch9wavefront6targetE1EEEvSM_,"axG",@progbits,_ZN7rocprim17ROCPRIM_400000_NS6detail17trampoline_kernelINS0_14default_configENS1_38merge_sort_block_merge_config_selectorIlNS0_10empty_typeEEEZZNS1_27merge_sort_block_merge_implIS3_PlPS5_mZN2at6native12_GLOBAL__N_124unique_dim_cuda_templateIaEESt5tupleIJNSA_6TensorESF_SF_EERKSF_lbbbEUlllE_EE10hipError_tT0_T1_T2_jT3_P12ihipStream_tbPNSt15iterator_traitsISL_E10value_typeEPNSR_ISM_E10value_typeEPSN_NS1_7vsmem_tEENKUlT_SL_SM_SN_E_clIS8_S8_S9_S9_EESK_S10_SL_SM_SN_EUlS10_E1_NS1_11comp_targetILNS1_3genE5ELNS1_11target_archE942ELNS1_3gpuE9ELNS1_3repE0EEENS1_36merge_oddeven_config_static_selectorELNS0_4arch9wavefront6targetE1EEEvSM_,comdat
.Lfunc_end290:
	.size	_ZN7rocprim17ROCPRIM_400000_NS6detail17trampoline_kernelINS0_14default_configENS1_38merge_sort_block_merge_config_selectorIlNS0_10empty_typeEEEZZNS1_27merge_sort_block_merge_implIS3_PlPS5_mZN2at6native12_GLOBAL__N_124unique_dim_cuda_templateIaEESt5tupleIJNSA_6TensorESF_SF_EERKSF_lbbbEUlllE_EE10hipError_tT0_T1_T2_jT3_P12ihipStream_tbPNSt15iterator_traitsISL_E10value_typeEPNSR_ISM_E10value_typeEPSN_NS1_7vsmem_tEENKUlT_SL_SM_SN_E_clIS8_S8_S9_S9_EESK_S10_SL_SM_SN_EUlS10_E1_NS1_11comp_targetILNS1_3genE5ELNS1_11target_archE942ELNS1_3gpuE9ELNS1_3repE0EEENS1_36merge_oddeven_config_static_selectorELNS0_4arch9wavefront6targetE1EEEvSM_, .Lfunc_end290-_ZN7rocprim17ROCPRIM_400000_NS6detail17trampoline_kernelINS0_14default_configENS1_38merge_sort_block_merge_config_selectorIlNS0_10empty_typeEEEZZNS1_27merge_sort_block_merge_implIS3_PlPS5_mZN2at6native12_GLOBAL__N_124unique_dim_cuda_templateIaEESt5tupleIJNSA_6TensorESF_SF_EERKSF_lbbbEUlllE_EE10hipError_tT0_T1_T2_jT3_P12ihipStream_tbPNSt15iterator_traitsISL_E10value_typeEPNSR_ISM_E10value_typeEPSN_NS1_7vsmem_tEENKUlT_SL_SM_SN_E_clIS8_S8_S9_S9_EESK_S10_SL_SM_SN_EUlS10_E1_NS1_11comp_targetILNS1_3genE5ELNS1_11target_archE942ELNS1_3gpuE9ELNS1_3repE0EEENS1_36merge_oddeven_config_static_selectorELNS0_4arch9wavefront6targetE1EEEvSM_
                                        ; -- End function
	.section	.AMDGPU.csdata,"",@progbits
; Kernel info:
; codeLenInByte = 1784
; NumSgprs: 50
; NumVgprs: 19
; NumAgprs: 0
; TotalNumVgprs: 19
; ScratchSize: 0
; MemoryBound: 0
; FloatMode: 240
; IeeeMode: 1
; LDSByteSize: 0 bytes/workgroup (compile time only)
; SGPRBlocks: 6
; VGPRBlocks: 2
; NumSGPRsForWavesPerEU: 50
; NumVGPRsForWavesPerEU: 19
; AccumOffset: 20
; Occupancy: 8
; WaveLimiterHint : 0
; COMPUTE_PGM_RSRC2:SCRATCH_EN: 0
; COMPUTE_PGM_RSRC2:USER_SGPR: 2
; COMPUTE_PGM_RSRC2:TRAP_HANDLER: 0
; COMPUTE_PGM_RSRC2:TGID_X_EN: 1
; COMPUTE_PGM_RSRC2:TGID_Y_EN: 0
; COMPUTE_PGM_RSRC2:TGID_Z_EN: 0
; COMPUTE_PGM_RSRC2:TIDIG_COMP_CNT: 0
; COMPUTE_PGM_RSRC3_GFX90A:ACCUM_OFFSET: 4
; COMPUTE_PGM_RSRC3_GFX90A:TG_SPLIT: 0
	.section	.text._ZN7rocprim17ROCPRIM_400000_NS6detail17trampoline_kernelINS0_14default_configENS1_38merge_sort_block_merge_config_selectorIlNS0_10empty_typeEEEZZNS1_27merge_sort_block_merge_implIS3_PlPS5_mZN2at6native12_GLOBAL__N_124unique_dim_cuda_templateIaEESt5tupleIJNSA_6TensorESF_SF_EERKSF_lbbbEUlllE_EE10hipError_tT0_T1_T2_jT3_P12ihipStream_tbPNSt15iterator_traitsISL_E10value_typeEPNSR_ISM_E10value_typeEPSN_NS1_7vsmem_tEENKUlT_SL_SM_SN_E_clIS8_S8_S9_S9_EESK_S10_SL_SM_SN_EUlS10_E1_NS1_11comp_targetILNS1_3genE4ELNS1_11target_archE910ELNS1_3gpuE8ELNS1_3repE0EEENS1_36merge_oddeven_config_static_selectorELNS0_4arch9wavefront6targetE1EEEvSM_,"axG",@progbits,_ZN7rocprim17ROCPRIM_400000_NS6detail17trampoline_kernelINS0_14default_configENS1_38merge_sort_block_merge_config_selectorIlNS0_10empty_typeEEEZZNS1_27merge_sort_block_merge_implIS3_PlPS5_mZN2at6native12_GLOBAL__N_124unique_dim_cuda_templateIaEESt5tupleIJNSA_6TensorESF_SF_EERKSF_lbbbEUlllE_EE10hipError_tT0_T1_T2_jT3_P12ihipStream_tbPNSt15iterator_traitsISL_E10value_typeEPNSR_ISM_E10value_typeEPSN_NS1_7vsmem_tEENKUlT_SL_SM_SN_E_clIS8_S8_S9_S9_EESK_S10_SL_SM_SN_EUlS10_E1_NS1_11comp_targetILNS1_3genE4ELNS1_11target_archE910ELNS1_3gpuE8ELNS1_3repE0EEENS1_36merge_oddeven_config_static_selectorELNS0_4arch9wavefront6targetE1EEEvSM_,comdat
	.globl	_ZN7rocprim17ROCPRIM_400000_NS6detail17trampoline_kernelINS0_14default_configENS1_38merge_sort_block_merge_config_selectorIlNS0_10empty_typeEEEZZNS1_27merge_sort_block_merge_implIS3_PlPS5_mZN2at6native12_GLOBAL__N_124unique_dim_cuda_templateIaEESt5tupleIJNSA_6TensorESF_SF_EERKSF_lbbbEUlllE_EE10hipError_tT0_T1_T2_jT3_P12ihipStream_tbPNSt15iterator_traitsISL_E10value_typeEPNSR_ISM_E10value_typeEPSN_NS1_7vsmem_tEENKUlT_SL_SM_SN_E_clIS8_S8_S9_S9_EESK_S10_SL_SM_SN_EUlS10_E1_NS1_11comp_targetILNS1_3genE4ELNS1_11target_archE910ELNS1_3gpuE8ELNS1_3repE0EEENS1_36merge_oddeven_config_static_selectorELNS0_4arch9wavefront6targetE1EEEvSM_ ; -- Begin function _ZN7rocprim17ROCPRIM_400000_NS6detail17trampoline_kernelINS0_14default_configENS1_38merge_sort_block_merge_config_selectorIlNS0_10empty_typeEEEZZNS1_27merge_sort_block_merge_implIS3_PlPS5_mZN2at6native12_GLOBAL__N_124unique_dim_cuda_templateIaEESt5tupleIJNSA_6TensorESF_SF_EERKSF_lbbbEUlllE_EE10hipError_tT0_T1_T2_jT3_P12ihipStream_tbPNSt15iterator_traitsISL_E10value_typeEPNSR_ISM_E10value_typeEPSN_NS1_7vsmem_tEENKUlT_SL_SM_SN_E_clIS8_S8_S9_S9_EESK_S10_SL_SM_SN_EUlS10_E1_NS1_11comp_targetILNS1_3genE4ELNS1_11target_archE910ELNS1_3gpuE8ELNS1_3repE0EEENS1_36merge_oddeven_config_static_selectorELNS0_4arch9wavefront6targetE1EEEvSM_
	.p2align	8
	.type	_ZN7rocprim17ROCPRIM_400000_NS6detail17trampoline_kernelINS0_14default_configENS1_38merge_sort_block_merge_config_selectorIlNS0_10empty_typeEEEZZNS1_27merge_sort_block_merge_implIS3_PlPS5_mZN2at6native12_GLOBAL__N_124unique_dim_cuda_templateIaEESt5tupleIJNSA_6TensorESF_SF_EERKSF_lbbbEUlllE_EE10hipError_tT0_T1_T2_jT3_P12ihipStream_tbPNSt15iterator_traitsISL_E10value_typeEPNSR_ISM_E10value_typeEPSN_NS1_7vsmem_tEENKUlT_SL_SM_SN_E_clIS8_S8_S9_S9_EESK_S10_SL_SM_SN_EUlS10_E1_NS1_11comp_targetILNS1_3genE4ELNS1_11target_archE910ELNS1_3gpuE8ELNS1_3repE0EEENS1_36merge_oddeven_config_static_selectorELNS0_4arch9wavefront6targetE1EEEvSM_,@function
_ZN7rocprim17ROCPRIM_400000_NS6detail17trampoline_kernelINS0_14default_configENS1_38merge_sort_block_merge_config_selectorIlNS0_10empty_typeEEEZZNS1_27merge_sort_block_merge_implIS3_PlPS5_mZN2at6native12_GLOBAL__N_124unique_dim_cuda_templateIaEESt5tupleIJNSA_6TensorESF_SF_EERKSF_lbbbEUlllE_EE10hipError_tT0_T1_T2_jT3_P12ihipStream_tbPNSt15iterator_traitsISL_E10value_typeEPNSR_ISM_E10value_typeEPSN_NS1_7vsmem_tEENKUlT_SL_SM_SN_E_clIS8_S8_S9_S9_EESK_S10_SL_SM_SN_EUlS10_E1_NS1_11comp_targetILNS1_3genE4ELNS1_11target_archE910ELNS1_3gpuE8ELNS1_3repE0EEENS1_36merge_oddeven_config_static_selectorELNS0_4arch9wavefront6targetE1EEEvSM_: ; @_ZN7rocprim17ROCPRIM_400000_NS6detail17trampoline_kernelINS0_14default_configENS1_38merge_sort_block_merge_config_selectorIlNS0_10empty_typeEEEZZNS1_27merge_sort_block_merge_implIS3_PlPS5_mZN2at6native12_GLOBAL__N_124unique_dim_cuda_templateIaEESt5tupleIJNSA_6TensorESF_SF_EERKSF_lbbbEUlllE_EE10hipError_tT0_T1_T2_jT3_P12ihipStream_tbPNSt15iterator_traitsISL_E10value_typeEPNSR_ISM_E10value_typeEPSN_NS1_7vsmem_tEENKUlT_SL_SM_SN_E_clIS8_S8_S9_S9_EESK_S10_SL_SM_SN_EUlS10_E1_NS1_11comp_targetILNS1_3genE4ELNS1_11target_archE910ELNS1_3gpuE8ELNS1_3repE0EEENS1_36merge_oddeven_config_static_selectorELNS0_4arch9wavefront6targetE1EEEvSM_
; %bb.0:
	.section	.rodata,"a",@progbits
	.p2align	6, 0x0
	.amdhsa_kernel _ZN7rocprim17ROCPRIM_400000_NS6detail17trampoline_kernelINS0_14default_configENS1_38merge_sort_block_merge_config_selectorIlNS0_10empty_typeEEEZZNS1_27merge_sort_block_merge_implIS3_PlPS5_mZN2at6native12_GLOBAL__N_124unique_dim_cuda_templateIaEESt5tupleIJNSA_6TensorESF_SF_EERKSF_lbbbEUlllE_EE10hipError_tT0_T1_T2_jT3_P12ihipStream_tbPNSt15iterator_traitsISL_E10value_typeEPNSR_ISM_E10value_typeEPSN_NS1_7vsmem_tEENKUlT_SL_SM_SN_E_clIS8_S8_S9_S9_EESK_S10_SL_SM_SN_EUlS10_E1_NS1_11comp_targetILNS1_3genE4ELNS1_11target_archE910ELNS1_3gpuE8ELNS1_3repE0EEENS1_36merge_oddeven_config_static_selectorELNS0_4arch9wavefront6targetE1EEEvSM_
		.amdhsa_group_segment_fixed_size 0
		.amdhsa_private_segment_fixed_size 0
		.amdhsa_kernarg_size 64
		.amdhsa_user_sgpr_count 2
		.amdhsa_user_sgpr_dispatch_ptr 0
		.amdhsa_user_sgpr_queue_ptr 0
		.amdhsa_user_sgpr_kernarg_segment_ptr 1
		.amdhsa_user_sgpr_dispatch_id 0
		.amdhsa_user_sgpr_kernarg_preload_length 0
		.amdhsa_user_sgpr_kernarg_preload_offset 0
		.amdhsa_user_sgpr_private_segment_size 0
		.amdhsa_uses_dynamic_stack 0
		.amdhsa_enable_private_segment 0
		.amdhsa_system_sgpr_workgroup_id_x 1
		.amdhsa_system_sgpr_workgroup_id_y 0
		.amdhsa_system_sgpr_workgroup_id_z 0
		.amdhsa_system_sgpr_workgroup_info 0
		.amdhsa_system_vgpr_workitem_id 0
		.amdhsa_next_free_vgpr 1
		.amdhsa_next_free_sgpr 0
		.amdhsa_accum_offset 4
		.amdhsa_reserve_vcc 0
		.amdhsa_float_round_mode_32 0
		.amdhsa_float_round_mode_16_64 0
		.amdhsa_float_denorm_mode_32 3
		.amdhsa_float_denorm_mode_16_64 3
		.amdhsa_dx10_clamp 1
		.amdhsa_ieee_mode 1
		.amdhsa_fp16_overflow 0
		.amdhsa_tg_split 0
		.amdhsa_exception_fp_ieee_invalid_op 0
		.amdhsa_exception_fp_denorm_src 0
		.amdhsa_exception_fp_ieee_div_zero 0
		.amdhsa_exception_fp_ieee_overflow 0
		.amdhsa_exception_fp_ieee_underflow 0
		.amdhsa_exception_fp_ieee_inexact 0
		.amdhsa_exception_int_div_zero 0
	.end_amdhsa_kernel
	.section	.text._ZN7rocprim17ROCPRIM_400000_NS6detail17trampoline_kernelINS0_14default_configENS1_38merge_sort_block_merge_config_selectorIlNS0_10empty_typeEEEZZNS1_27merge_sort_block_merge_implIS3_PlPS5_mZN2at6native12_GLOBAL__N_124unique_dim_cuda_templateIaEESt5tupleIJNSA_6TensorESF_SF_EERKSF_lbbbEUlllE_EE10hipError_tT0_T1_T2_jT3_P12ihipStream_tbPNSt15iterator_traitsISL_E10value_typeEPNSR_ISM_E10value_typeEPSN_NS1_7vsmem_tEENKUlT_SL_SM_SN_E_clIS8_S8_S9_S9_EESK_S10_SL_SM_SN_EUlS10_E1_NS1_11comp_targetILNS1_3genE4ELNS1_11target_archE910ELNS1_3gpuE8ELNS1_3repE0EEENS1_36merge_oddeven_config_static_selectorELNS0_4arch9wavefront6targetE1EEEvSM_,"axG",@progbits,_ZN7rocprim17ROCPRIM_400000_NS6detail17trampoline_kernelINS0_14default_configENS1_38merge_sort_block_merge_config_selectorIlNS0_10empty_typeEEEZZNS1_27merge_sort_block_merge_implIS3_PlPS5_mZN2at6native12_GLOBAL__N_124unique_dim_cuda_templateIaEESt5tupleIJNSA_6TensorESF_SF_EERKSF_lbbbEUlllE_EE10hipError_tT0_T1_T2_jT3_P12ihipStream_tbPNSt15iterator_traitsISL_E10value_typeEPNSR_ISM_E10value_typeEPSN_NS1_7vsmem_tEENKUlT_SL_SM_SN_E_clIS8_S8_S9_S9_EESK_S10_SL_SM_SN_EUlS10_E1_NS1_11comp_targetILNS1_3genE4ELNS1_11target_archE910ELNS1_3gpuE8ELNS1_3repE0EEENS1_36merge_oddeven_config_static_selectorELNS0_4arch9wavefront6targetE1EEEvSM_,comdat
.Lfunc_end291:
	.size	_ZN7rocprim17ROCPRIM_400000_NS6detail17trampoline_kernelINS0_14default_configENS1_38merge_sort_block_merge_config_selectorIlNS0_10empty_typeEEEZZNS1_27merge_sort_block_merge_implIS3_PlPS5_mZN2at6native12_GLOBAL__N_124unique_dim_cuda_templateIaEESt5tupleIJNSA_6TensorESF_SF_EERKSF_lbbbEUlllE_EE10hipError_tT0_T1_T2_jT3_P12ihipStream_tbPNSt15iterator_traitsISL_E10value_typeEPNSR_ISM_E10value_typeEPSN_NS1_7vsmem_tEENKUlT_SL_SM_SN_E_clIS8_S8_S9_S9_EESK_S10_SL_SM_SN_EUlS10_E1_NS1_11comp_targetILNS1_3genE4ELNS1_11target_archE910ELNS1_3gpuE8ELNS1_3repE0EEENS1_36merge_oddeven_config_static_selectorELNS0_4arch9wavefront6targetE1EEEvSM_, .Lfunc_end291-_ZN7rocprim17ROCPRIM_400000_NS6detail17trampoline_kernelINS0_14default_configENS1_38merge_sort_block_merge_config_selectorIlNS0_10empty_typeEEEZZNS1_27merge_sort_block_merge_implIS3_PlPS5_mZN2at6native12_GLOBAL__N_124unique_dim_cuda_templateIaEESt5tupleIJNSA_6TensorESF_SF_EERKSF_lbbbEUlllE_EE10hipError_tT0_T1_T2_jT3_P12ihipStream_tbPNSt15iterator_traitsISL_E10value_typeEPNSR_ISM_E10value_typeEPSN_NS1_7vsmem_tEENKUlT_SL_SM_SN_E_clIS8_S8_S9_S9_EESK_S10_SL_SM_SN_EUlS10_E1_NS1_11comp_targetILNS1_3genE4ELNS1_11target_archE910ELNS1_3gpuE8ELNS1_3repE0EEENS1_36merge_oddeven_config_static_selectorELNS0_4arch9wavefront6targetE1EEEvSM_
                                        ; -- End function
	.section	.AMDGPU.csdata,"",@progbits
; Kernel info:
; codeLenInByte = 0
; NumSgprs: 6
; NumVgprs: 0
; NumAgprs: 0
; TotalNumVgprs: 0
; ScratchSize: 0
; MemoryBound: 0
; FloatMode: 240
; IeeeMode: 1
; LDSByteSize: 0 bytes/workgroup (compile time only)
; SGPRBlocks: 0
; VGPRBlocks: 0
; NumSGPRsForWavesPerEU: 6
; NumVGPRsForWavesPerEU: 1
; AccumOffset: 4
; Occupancy: 8
; WaveLimiterHint : 0
; COMPUTE_PGM_RSRC2:SCRATCH_EN: 0
; COMPUTE_PGM_RSRC2:USER_SGPR: 2
; COMPUTE_PGM_RSRC2:TRAP_HANDLER: 0
; COMPUTE_PGM_RSRC2:TGID_X_EN: 1
; COMPUTE_PGM_RSRC2:TGID_Y_EN: 0
; COMPUTE_PGM_RSRC2:TGID_Z_EN: 0
; COMPUTE_PGM_RSRC2:TIDIG_COMP_CNT: 0
; COMPUTE_PGM_RSRC3_GFX90A:ACCUM_OFFSET: 0
; COMPUTE_PGM_RSRC3_GFX90A:TG_SPLIT: 0
	.section	.text._ZN7rocprim17ROCPRIM_400000_NS6detail17trampoline_kernelINS0_14default_configENS1_38merge_sort_block_merge_config_selectorIlNS0_10empty_typeEEEZZNS1_27merge_sort_block_merge_implIS3_PlPS5_mZN2at6native12_GLOBAL__N_124unique_dim_cuda_templateIaEESt5tupleIJNSA_6TensorESF_SF_EERKSF_lbbbEUlllE_EE10hipError_tT0_T1_T2_jT3_P12ihipStream_tbPNSt15iterator_traitsISL_E10value_typeEPNSR_ISM_E10value_typeEPSN_NS1_7vsmem_tEENKUlT_SL_SM_SN_E_clIS8_S8_S9_S9_EESK_S10_SL_SM_SN_EUlS10_E1_NS1_11comp_targetILNS1_3genE3ELNS1_11target_archE908ELNS1_3gpuE7ELNS1_3repE0EEENS1_36merge_oddeven_config_static_selectorELNS0_4arch9wavefront6targetE1EEEvSM_,"axG",@progbits,_ZN7rocprim17ROCPRIM_400000_NS6detail17trampoline_kernelINS0_14default_configENS1_38merge_sort_block_merge_config_selectorIlNS0_10empty_typeEEEZZNS1_27merge_sort_block_merge_implIS3_PlPS5_mZN2at6native12_GLOBAL__N_124unique_dim_cuda_templateIaEESt5tupleIJNSA_6TensorESF_SF_EERKSF_lbbbEUlllE_EE10hipError_tT0_T1_T2_jT3_P12ihipStream_tbPNSt15iterator_traitsISL_E10value_typeEPNSR_ISM_E10value_typeEPSN_NS1_7vsmem_tEENKUlT_SL_SM_SN_E_clIS8_S8_S9_S9_EESK_S10_SL_SM_SN_EUlS10_E1_NS1_11comp_targetILNS1_3genE3ELNS1_11target_archE908ELNS1_3gpuE7ELNS1_3repE0EEENS1_36merge_oddeven_config_static_selectorELNS0_4arch9wavefront6targetE1EEEvSM_,comdat
	.globl	_ZN7rocprim17ROCPRIM_400000_NS6detail17trampoline_kernelINS0_14default_configENS1_38merge_sort_block_merge_config_selectorIlNS0_10empty_typeEEEZZNS1_27merge_sort_block_merge_implIS3_PlPS5_mZN2at6native12_GLOBAL__N_124unique_dim_cuda_templateIaEESt5tupleIJNSA_6TensorESF_SF_EERKSF_lbbbEUlllE_EE10hipError_tT0_T1_T2_jT3_P12ihipStream_tbPNSt15iterator_traitsISL_E10value_typeEPNSR_ISM_E10value_typeEPSN_NS1_7vsmem_tEENKUlT_SL_SM_SN_E_clIS8_S8_S9_S9_EESK_S10_SL_SM_SN_EUlS10_E1_NS1_11comp_targetILNS1_3genE3ELNS1_11target_archE908ELNS1_3gpuE7ELNS1_3repE0EEENS1_36merge_oddeven_config_static_selectorELNS0_4arch9wavefront6targetE1EEEvSM_ ; -- Begin function _ZN7rocprim17ROCPRIM_400000_NS6detail17trampoline_kernelINS0_14default_configENS1_38merge_sort_block_merge_config_selectorIlNS0_10empty_typeEEEZZNS1_27merge_sort_block_merge_implIS3_PlPS5_mZN2at6native12_GLOBAL__N_124unique_dim_cuda_templateIaEESt5tupleIJNSA_6TensorESF_SF_EERKSF_lbbbEUlllE_EE10hipError_tT0_T1_T2_jT3_P12ihipStream_tbPNSt15iterator_traitsISL_E10value_typeEPNSR_ISM_E10value_typeEPSN_NS1_7vsmem_tEENKUlT_SL_SM_SN_E_clIS8_S8_S9_S9_EESK_S10_SL_SM_SN_EUlS10_E1_NS1_11comp_targetILNS1_3genE3ELNS1_11target_archE908ELNS1_3gpuE7ELNS1_3repE0EEENS1_36merge_oddeven_config_static_selectorELNS0_4arch9wavefront6targetE1EEEvSM_
	.p2align	8
	.type	_ZN7rocprim17ROCPRIM_400000_NS6detail17trampoline_kernelINS0_14default_configENS1_38merge_sort_block_merge_config_selectorIlNS0_10empty_typeEEEZZNS1_27merge_sort_block_merge_implIS3_PlPS5_mZN2at6native12_GLOBAL__N_124unique_dim_cuda_templateIaEESt5tupleIJNSA_6TensorESF_SF_EERKSF_lbbbEUlllE_EE10hipError_tT0_T1_T2_jT3_P12ihipStream_tbPNSt15iterator_traitsISL_E10value_typeEPNSR_ISM_E10value_typeEPSN_NS1_7vsmem_tEENKUlT_SL_SM_SN_E_clIS8_S8_S9_S9_EESK_S10_SL_SM_SN_EUlS10_E1_NS1_11comp_targetILNS1_3genE3ELNS1_11target_archE908ELNS1_3gpuE7ELNS1_3repE0EEENS1_36merge_oddeven_config_static_selectorELNS0_4arch9wavefront6targetE1EEEvSM_,@function
_ZN7rocprim17ROCPRIM_400000_NS6detail17trampoline_kernelINS0_14default_configENS1_38merge_sort_block_merge_config_selectorIlNS0_10empty_typeEEEZZNS1_27merge_sort_block_merge_implIS3_PlPS5_mZN2at6native12_GLOBAL__N_124unique_dim_cuda_templateIaEESt5tupleIJNSA_6TensorESF_SF_EERKSF_lbbbEUlllE_EE10hipError_tT0_T1_T2_jT3_P12ihipStream_tbPNSt15iterator_traitsISL_E10value_typeEPNSR_ISM_E10value_typeEPSN_NS1_7vsmem_tEENKUlT_SL_SM_SN_E_clIS8_S8_S9_S9_EESK_S10_SL_SM_SN_EUlS10_E1_NS1_11comp_targetILNS1_3genE3ELNS1_11target_archE908ELNS1_3gpuE7ELNS1_3repE0EEENS1_36merge_oddeven_config_static_selectorELNS0_4arch9wavefront6targetE1EEEvSM_: ; @_ZN7rocprim17ROCPRIM_400000_NS6detail17trampoline_kernelINS0_14default_configENS1_38merge_sort_block_merge_config_selectorIlNS0_10empty_typeEEEZZNS1_27merge_sort_block_merge_implIS3_PlPS5_mZN2at6native12_GLOBAL__N_124unique_dim_cuda_templateIaEESt5tupleIJNSA_6TensorESF_SF_EERKSF_lbbbEUlllE_EE10hipError_tT0_T1_T2_jT3_P12ihipStream_tbPNSt15iterator_traitsISL_E10value_typeEPNSR_ISM_E10value_typeEPSN_NS1_7vsmem_tEENKUlT_SL_SM_SN_E_clIS8_S8_S9_S9_EESK_S10_SL_SM_SN_EUlS10_E1_NS1_11comp_targetILNS1_3genE3ELNS1_11target_archE908ELNS1_3gpuE7ELNS1_3repE0EEENS1_36merge_oddeven_config_static_selectorELNS0_4arch9wavefront6targetE1EEEvSM_
; %bb.0:
	.section	.rodata,"a",@progbits
	.p2align	6, 0x0
	.amdhsa_kernel _ZN7rocprim17ROCPRIM_400000_NS6detail17trampoline_kernelINS0_14default_configENS1_38merge_sort_block_merge_config_selectorIlNS0_10empty_typeEEEZZNS1_27merge_sort_block_merge_implIS3_PlPS5_mZN2at6native12_GLOBAL__N_124unique_dim_cuda_templateIaEESt5tupleIJNSA_6TensorESF_SF_EERKSF_lbbbEUlllE_EE10hipError_tT0_T1_T2_jT3_P12ihipStream_tbPNSt15iterator_traitsISL_E10value_typeEPNSR_ISM_E10value_typeEPSN_NS1_7vsmem_tEENKUlT_SL_SM_SN_E_clIS8_S8_S9_S9_EESK_S10_SL_SM_SN_EUlS10_E1_NS1_11comp_targetILNS1_3genE3ELNS1_11target_archE908ELNS1_3gpuE7ELNS1_3repE0EEENS1_36merge_oddeven_config_static_selectorELNS0_4arch9wavefront6targetE1EEEvSM_
		.amdhsa_group_segment_fixed_size 0
		.amdhsa_private_segment_fixed_size 0
		.amdhsa_kernarg_size 64
		.amdhsa_user_sgpr_count 2
		.amdhsa_user_sgpr_dispatch_ptr 0
		.amdhsa_user_sgpr_queue_ptr 0
		.amdhsa_user_sgpr_kernarg_segment_ptr 1
		.amdhsa_user_sgpr_dispatch_id 0
		.amdhsa_user_sgpr_kernarg_preload_length 0
		.amdhsa_user_sgpr_kernarg_preload_offset 0
		.amdhsa_user_sgpr_private_segment_size 0
		.amdhsa_uses_dynamic_stack 0
		.amdhsa_enable_private_segment 0
		.amdhsa_system_sgpr_workgroup_id_x 1
		.amdhsa_system_sgpr_workgroup_id_y 0
		.amdhsa_system_sgpr_workgroup_id_z 0
		.amdhsa_system_sgpr_workgroup_info 0
		.amdhsa_system_vgpr_workitem_id 0
		.amdhsa_next_free_vgpr 1
		.amdhsa_next_free_sgpr 0
		.amdhsa_accum_offset 4
		.amdhsa_reserve_vcc 0
		.amdhsa_float_round_mode_32 0
		.amdhsa_float_round_mode_16_64 0
		.amdhsa_float_denorm_mode_32 3
		.amdhsa_float_denorm_mode_16_64 3
		.amdhsa_dx10_clamp 1
		.amdhsa_ieee_mode 1
		.amdhsa_fp16_overflow 0
		.amdhsa_tg_split 0
		.amdhsa_exception_fp_ieee_invalid_op 0
		.amdhsa_exception_fp_denorm_src 0
		.amdhsa_exception_fp_ieee_div_zero 0
		.amdhsa_exception_fp_ieee_overflow 0
		.amdhsa_exception_fp_ieee_underflow 0
		.amdhsa_exception_fp_ieee_inexact 0
		.amdhsa_exception_int_div_zero 0
	.end_amdhsa_kernel
	.section	.text._ZN7rocprim17ROCPRIM_400000_NS6detail17trampoline_kernelINS0_14default_configENS1_38merge_sort_block_merge_config_selectorIlNS0_10empty_typeEEEZZNS1_27merge_sort_block_merge_implIS3_PlPS5_mZN2at6native12_GLOBAL__N_124unique_dim_cuda_templateIaEESt5tupleIJNSA_6TensorESF_SF_EERKSF_lbbbEUlllE_EE10hipError_tT0_T1_T2_jT3_P12ihipStream_tbPNSt15iterator_traitsISL_E10value_typeEPNSR_ISM_E10value_typeEPSN_NS1_7vsmem_tEENKUlT_SL_SM_SN_E_clIS8_S8_S9_S9_EESK_S10_SL_SM_SN_EUlS10_E1_NS1_11comp_targetILNS1_3genE3ELNS1_11target_archE908ELNS1_3gpuE7ELNS1_3repE0EEENS1_36merge_oddeven_config_static_selectorELNS0_4arch9wavefront6targetE1EEEvSM_,"axG",@progbits,_ZN7rocprim17ROCPRIM_400000_NS6detail17trampoline_kernelINS0_14default_configENS1_38merge_sort_block_merge_config_selectorIlNS0_10empty_typeEEEZZNS1_27merge_sort_block_merge_implIS3_PlPS5_mZN2at6native12_GLOBAL__N_124unique_dim_cuda_templateIaEESt5tupleIJNSA_6TensorESF_SF_EERKSF_lbbbEUlllE_EE10hipError_tT0_T1_T2_jT3_P12ihipStream_tbPNSt15iterator_traitsISL_E10value_typeEPNSR_ISM_E10value_typeEPSN_NS1_7vsmem_tEENKUlT_SL_SM_SN_E_clIS8_S8_S9_S9_EESK_S10_SL_SM_SN_EUlS10_E1_NS1_11comp_targetILNS1_3genE3ELNS1_11target_archE908ELNS1_3gpuE7ELNS1_3repE0EEENS1_36merge_oddeven_config_static_selectorELNS0_4arch9wavefront6targetE1EEEvSM_,comdat
.Lfunc_end292:
	.size	_ZN7rocprim17ROCPRIM_400000_NS6detail17trampoline_kernelINS0_14default_configENS1_38merge_sort_block_merge_config_selectorIlNS0_10empty_typeEEEZZNS1_27merge_sort_block_merge_implIS3_PlPS5_mZN2at6native12_GLOBAL__N_124unique_dim_cuda_templateIaEESt5tupleIJNSA_6TensorESF_SF_EERKSF_lbbbEUlllE_EE10hipError_tT0_T1_T2_jT3_P12ihipStream_tbPNSt15iterator_traitsISL_E10value_typeEPNSR_ISM_E10value_typeEPSN_NS1_7vsmem_tEENKUlT_SL_SM_SN_E_clIS8_S8_S9_S9_EESK_S10_SL_SM_SN_EUlS10_E1_NS1_11comp_targetILNS1_3genE3ELNS1_11target_archE908ELNS1_3gpuE7ELNS1_3repE0EEENS1_36merge_oddeven_config_static_selectorELNS0_4arch9wavefront6targetE1EEEvSM_, .Lfunc_end292-_ZN7rocprim17ROCPRIM_400000_NS6detail17trampoline_kernelINS0_14default_configENS1_38merge_sort_block_merge_config_selectorIlNS0_10empty_typeEEEZZNS1_27merge_sort_block_merge_implIS3_PlPS5_mZN2at6native12_GLOBAL__N_124unique_dim_cuda_templateIaEESt5tupleIJNSA_6TensorESF_SF_EERKSF_lbbbEUlllE_EE10hipError_tT0_T1_T2_jT3_P12ihipStream_tbPNSt15iterator_traitsISL_E10value_typeEPNSR_ISM_E10value_typeEPSN_NS1_7vsmem_tEENKUlT_SL_SM_SN_E_clIS8_S8_S9_S9_EESK_S10_SL_SM_SN_EUlS10_E1_NS1_11comp_targetILNS1_3genE3ELNS1_11target_archE908ELNS1_3gpuE7ELNS1_3repE0EEENS1_36merge_oddeven_config_static_selectorELNS0_4arch9wavefront6targetE1EEEvSM_
                                        ; -- End function
	.section	.AMDGPU.csdata,"",@progbits
; Kernel info:
; codeLenInByte = 0
; NumSgprs: 6
; NumVgprs: 0
; NumAgprs: 0
; TotalNumVgprs: 0
; ScratchSize: 0
; MemoryBound: 0
; FloatMode: 240
; IeeeMode: 1
; LDSByteSize: 0 bytes/workgroup (compile time only)
; SGPRBlocks: 0
; VGPRBlocks: 0
; NumSGPRsForWavesPerEU: 6
; NumVGPRsForWavesPerEU: 1
; AccumOffset: 4
; Occupancy: 8
; WaveLimiterHint : 0
; COMPUTE_PGM_RSRC2:SCRATCH_EN: 0
; COMPUTE_PGM_RSRC2:USER_SGPR: 2
; COMPUTE_PGM_RSRC2:TRAP_HANDLER: 0
; COMPUTE_PGM_RSRC2:TGID_X_EN: 1
; COMPUTE_PGM_RSRC2:TGID_Y_EN: 0
; COMPUTE_PGM_RSRC2:TGID_Z_EN: 0
; COMPUTE_PGM_RSRC2:TIDIG_COMP_CNT: 0
; COMPUTE_PGM_RSRC3_GFX90A:ACCUM_OFFSET: 0
; COMPUTE_PGM_RSRC3_GFX90A:TG_SPLIT: 0
	.section	.text._ZN7rocprim17ROCPRIM_400000_NS6detail17trampoline_kernelINS0_14default_configENS1_38merge_sort_block_merge_config_selectorIlNS0_10empty_typeEEEZZNS1_27merge_sort_block_merge_implIS3_PlPS5_mZN2at6native12_GLOBAL__N_124unique_dim_cuda_templateIaEESt5tupleIJNSA_6TensorESF_SF_EERKSF_lbbbEUlllE_EE10hipError_tT0_T1_T2_jT3_P12ihipStream_tbPNSt15iterator_traitsISL_E10value_typeEPNSR_ISM_E10value_typeEPSN_NS1_7vsmem_tEENKUlT_SL_SM_SN_E_clIS8_S8_S9_S9_EESK_S10_SL_SM_SN_EUlS10_E1_NS1_11comp_targetILNS1_3genE2ELNS1_11target_archE906ELNS1_3gpuE6ELNS1_3repE0EEENS1_36merge_oddeven_config_static_selectorELNS0_4arch9wavefront6targetE1EEEvSM_,"axG",@progbits,_ZN7rocprim17ROCPRIM_400000_NS6detail17trampoline_kernelINS0_14default_configENS1_38merge_sort_block_merge_config_selectorIlNS0_10empty_typeEEEZZNS1_27merge_sort_block_merge_implIS3_PlPS5_mZN2at6native12_GLOBAL__N_124unique_dim_cuda_templateIaEESt5tupleIJNSA_6TensorESF_SF_EERKSF_lbbbEUlllE_EE10hipError_tT0_T1_T2_jT3_P12ihipStream_tbPNSt15iterator_traitsISL_E10value_typeEPNSR_ISM_E10value_typeEPSN_NS1_7vsmem_tEENKUlT_SL_SM_SN_E_clIS8_S8_S9_S9_EESK_S10_SL_SM_SN_EUlS10_E1_NS1_11comp_targetILNS1_3genE2ELNS1_11target_archE906ELNS1_3gpuE6ELNS1_3repE0EEENS1_36merge_oddeven_config_static_selectorELNS0_4arch9wavefront6targetE1EEEvSM_,comdat
	.globl	_ZN7rocprim17ROCPRIM_400000_NS6detail17trampoline_kernelINS0_14default_configENS1_38merge_sort_block_merge_config_selectorIlNS0_10empty_typeEEEZZNS1_27merge_sort_block_merge_implIS3_PlPS5_mZN2at6native12_GLOBAL__N_124unique_dim_cuda_templateIaEESt5tupleIJNSA_6TensorESF_SF_EERKSF_lbbbEUlllE_EE10hipError_tT0_T1_T2_jT3_P12ihipStream_tbPNSt15iterator_traitsISL_E10value_typeEPNSR_ISM_E10value_typeEPSN_NS1_7vsmem_tEENKUlT_SL_SM_SN_E_clIS8_S8_S9_S9_EESK_S10_SL_SM_SN_EUlS10_E1_NS1_11comp_targetILNS1_3genE2ELNS1_11target_archE906ELNS1_3gpuE6ELNS1_3repE0EEENS1_36merge_oddeven_config_static_selectorELNS0_4arch9wavefront6targetE1EEEvSM_ ; -- Begin function _ZN7rocprim17ROCPRIM_400000_NS6detail17trampoline_kernelINS0_14default_configENS1_38merge_sort_block_merge_config_selectorIlNS0_10empty_typeEEEZZNS1_27merge_sort_block_merge_implIS3_PlPS5_mZN2at6native12_GLOBAL__N_124unique_dim_cuda_templateIaEESt5tupleIJNSA_6TensorESF_SF_EERKSF_lbbbEUlllE_EE10hipError_tT0_T1_T2_jT3_P12ihipStream_tbPNSt15iterator_traitsISL_E10value_typeEPNSR_ISM_E10value_typeEPSN_NS1_7vsmem_tEENKUlT_SL_SM_SN_E_clIS8_S8_S9_S9_EESK_S10_SL_SM_SN_EUlS10_E1_NS1_11comp_targetILNS1_3genE2ELNS1_11target_archE906ELNS1_3gpuE6ELNS1_3repE0EEENS1_36merge_oddeven_config_static_selectorELNS0_4arch9wavefront6targetE1EEEvSM_
	.p2align	8
	.type	_ZN7rocprim17ROCPRIM_400000_NS6detail17trampoline_kernelINS0_14default_configENS1_38merge_sort_block_merge_config_selectorIlNS0_10empty_typeEEEZZNS1_27merge_sort_block_merge_implIS3_PlPS5_mZN2at6native12_GLOBAL__N_124unique_dim_cuda_templateIaEESt5tupleIJNSA_6TensorESF_SF_EERKSF_lbbbEUlllE_EE10hipError_tT0_T1_T2_jT3_P12ihipStream_tbPNSt15iterator_traitsISL_E10value_typeEPNSR_ISM_E10value_typeEPSN_NS1_7vsmem_tEENKUlT_SL_SM_SN_E_clIS8_S8_S9_S9_EESK_S10_SL_SM_SN_EUlS10_E1_NS1_11comp_targetILNS1_3genE2ELNS1_11target_archE906ELNS1_3gpuE6ELNS1_3repE0EEENS1_36merge_oddeven_config_static_selectorELNS0_4arch9wavefront6targetE1EEEvSM_,@function
_ZN7rocprim17ROCPRIM_400000_NS6detail17trampoline_kernelINS0_14default_configENS1_38merge_sort_block_merge_config_selectorIlNS0_10empty_typeEEEZZNS1_27merge_sort_block_merge_implIS3_PlPS5_mZN2at6native12_GLOBAL__N_124unique_dim_cuda_templateIaEESt5tupleIJNSA_6TensorESF_SF_EERKSF_lbbbEUlllE_EE10hipError_tT0_T1_T2_jT3_P12ihipStream_tbPNSt15iterator_traitsISL_E10value_typeEPNSR_ISM_E10value_typeEPSN_NS1_7vsmem_tEENKUlT_SL_SM_SN_E_clIS8_S8_S9_S9_EESK_S10_SL_SM_SN_EUlS10_E1_NS1_11comp_targetILNS1_3genE2ELNS1_11target_archE906ELNS1_3gpuE6ELNS1_3repE0EEENS1_36merge_oddeven_config_static_selectorELNS0_4arch9wavefront6targetE1EEEvSM_: ; @_ZN7rocprim17ROCPRIM_400000_NS6detail17trampoline_kernelINS0_14default_configENS1_38merge_sort_block_merge_config_selectorIlNS0_10empty_typeEEEZZNS1_27merge_sort_block_merge_implIS3_PlPS5_mZN2at6native12_GLOBAL__N_124unique_dim_cuda_templateIaEESt5tupleIJNSA_6TensorESF_SF_EERKSF_lbbbEUlllE_EE10hipError_tT0_T1_T2_jT3_P12ihipStream_tbPNSt15iterator_traitsISL_E10value_typeEPNSR_ISM_E10value_typeEPSN_NS1_7vsmem_tEENKUlT_SL_SM_SN_E_clIS8_S8_S9_S9_EESK_S10_SL_SM_SN_EUlS10_E1_NS1_11comp_targetILNS1_3genE2ELNS1_11target_archE906ELNS1_3gpuE6ELNS1_3repE0EEENS1_36merge_oddeven_config_static_selectorELNS0_4arch9wavefront6targetE1EEEvSM_
; %bb.0:
	.section	.rodata,"a",@progbits
	.p2align	6, 0x0
	.amdhsa_kernel _ZN7rocprim17ROCPRIM_400000_NS6detail17trampoline_kernelINS0_14default_configENS1_38merge_sort_block_merge_config_selectorIlNS0_10empty_typeEEEZZNS1_27merge_sort_block_merge_implIS3_PlPS5_mZN2at6native12_GLOBAL__N_124unique_dim_cuda_templateIaEESt5tupleIJNSA_6TensorESF_SF_EERKSF_lbbbEUlllE_EE10hipError_tT0_T1_T2_jT3_P12ihipStream_tbPNSt15iterator_traitsISL_E10value_typeEPNSR_ISM_E10value_typeEPSN_NS1_7vsmem_tEENKUlT_SL_SM_SN_E_clIS8_S8_S9_S9_EESK_S10_SL_SM_SN_EUlS10_E1_NS1_11comp_targetILNS1_3genE2ELNS1_11target_archE906ELNS1_3gpuE6ELNS1_3repE0EEENS1_36merge_oddeven_config_static_selectorELNS0_4arch9wavefront6targetE1EEEvSM_
		.amdhsa_group_segment_fixed_size 0
		.amdhsa_private_segment_fixed_size 0
		.amdhsa_kernarg_size 64
		.amdhsa_user_sgpr_count 2
		.amdhsa_user_sgpr_dispatch_ptr 0
		.amdhsa_user_sgpr_queue_ptr 0
		.amdhsa_user_sgpr_kernarg_segment_ptr 1
		.amdhsa_user_sgpr_dispatch_id 0
		.amdhsa_user_sgpr_kernarg_preload_length 0
		.amdhsa_user_sgpr_kernarg_preload_offset 0
		.amdhsa_user_sgpr_private_segment_size 0
		.amdhsa_uses_dynamic_stack 0
		.amdhsa_enable_private_segment 0
		.amdhsa_system_sgpr_workgroup_id_x 1
		.amdhsa_system_sgpr_workgroup_id_y 0
		.amdhsa_system_sgpr_workgroup_id_z 0
		.amdhsa_system_sgpr_workgroup_info 0
		.amdhsa_system_vgpr_workitem_id 0
		.amdhsa_next_free_vgpr 1
		.amdhsa_next_free_sgpr 0
		.amdhsa_accum_offset 4
		.amdhsa_reserve_vcc 0
		.amdhsa_float_round_mode_32 0
		.amdhsa_float_round_mode_16_64 0
		.amdhsa_float_denorm_mode_32 3
		.amdhsa_float_denorm_mode_16_64 3
		.amdhsa_dx10_clamp 1
		.amdhsa_ieee_mode 1
		.amdhsa_fp16_overflow 0
		.amdhsa_tg_split 0
		.amdhsa_exception_fp_ieee_invalid_op 0
		.amdhsa_exception_fp_denorm_src 0
		.amdhsa_exception_fp_ieee_div_zero 0
		.amdhsa_exception_fp_ieee_overflow 0
		.amdhsa_exception_fp_ieee_underflow 0
		.amdhsa_exception_fp_ieee_inexact 0
		.amdhsa_exception_int_div_zero 0
	.end_amdhsa_kernel
	.section	.text._ZN7rocprim17ROCPRIM_400000_NS6detail17trampoline_kernelINS0_14default_configENS1_38merge_sort_block_merge_config_selectorIlNS0_10empty_typeEEEZZNS1_27merge_sort_block_merge_implIS3_PlPS5_mZN2at6native12_GLOBAL__N_124unique_dim_cuda_templateIaEESt5tupleIJNSA_6TensorESF_SF_EERKSF_lbbbEUlllE_EE10hipError_tT0_T1_T2_jT3_P12ihipStream_tbPNSt15iterator_traitsISL_E10value_typeEPNSR_ISM_E10value_typeEPSN_NS1_7vsmem_tEENKUlT_SL_SM_SN_E_clIS8_S8_S9_S9_EESK_S10_SL_SM_SN_EUlS10_E1_NS1_11comp_targetILNS1_3genE2ELNS1_11target_archE906ELNS1_3gpuE6ELNS1_3repE0EEENS1_36merge_oddeven_config_static_selectorELNS0_4arch9wavefront6targetE1EEEvSM_,"axG",@progbits,_ZN7rocprim17ROCPRIM_400000_NS6detail17trampoline_kernelINS0_14default_configENS1_38merge_sort_block_merge_config_selectorIlNS0_10empty_typeEEEZZNS1_27merge_sort_block_merge_implIS3_PlPS5_mZN2at6native12_GLOBAL__N_124unique_dim_cuda_templateIaEESt5tupleIJNSA_6TensorESF_SF_EERKSF_lbbbEUlllE_EE10hipError_tT0_T1_T2_jT3_P12ihipStream_tbPNSt15iterator_traitsISL_E10value_typeEPNSR_ISM_E10value_typeEPSN_NS1_7vsmem_tEENKUlT_SL_SM_SN_E_clIS8_S8_S9_S9_EESK_S10_SL_SM_SN_EUlS10_E1_NS1_11comp_targetILNS1_3genE2ELNS1_11target_archE906ELNS1_3gpuE6ELNS1_3repE0EEENS1_36merge_oddeven_config_static_selectorELNS0_4arch9wavefront6targetE1EEEvSM_,comdat
.Lfunc_end293:
	.size	_ZN7rocprim17ROCPRIM_400000_NS6detail17trampoline_kernelINS0_14default_configENS1_38merge_sort_block_merge_config_selectorIlNS0_10empty_typeEEEZZNS1_27merge_sort_block_merge_implIS3_PlPS5_mZN2at6native12_GLOBAL__N_124unique_dim_cuda_templateIaEESt5tupleIJNSA_6TensorESF_SF_EERKSF_lbbbEUlllE_EE10hipError_tT0_T1_T2_jT3_P12ihipStream_tbPNSt15iterator_traitsISL_E10value_typeEPNSR_ISM_E10value_typeEPSN_NS1_7vsmem_tEENKUlT_SL_SM_SN_E_clIS8_S8_S9_S9_EESK_S10_SL_SM_SN_EUlS10_E1_NS1_11comp_targetILNS1_3genE2ELNS1_11target_archE906ELNS1_3gpuE6ELNS1_3repE0EEENS1_36merge_oddeven_config_static_selectorELNS0_4arch9wavefront6targetE1EEEvSM_, .Lfunc_end293-_ZN7rocprim17ROCPRIM_400000_NS6detail17trampoline_kernelINS0_14default_configENS1_38merge_sort_block_merge_config_selectorIlNS0_10empty_typeEEEZZNS1_27merge_sort_block_merge_implIS3_PlPS5_mZN2at6native12_GLOBAL__N_124unique_dim_cuda_templateIaEESt5tupleIJNSA_6TensorESF_SF_EERKSF_lbbbEUlllE_EE10hipError_tT0_T1_T2_jT3_P12ihipStream_tbPNSt15iterator_traitsISL_E10value_typeEPNSR_ISM_E10value_typeEPSN_NS1_7vsmem_tEENKUlT_SL_SM_SN_E_clIS8_S8_S9_S9_EESK_S10_SL_SM_SN_EUlS10_E1_NS1_11comp_targetILNS1_3genE2ELNS1_11target_archE906ELNS1_3gpuE6ELNS1_3repE0EEENS1_36merge_oddeven_config_static_selectorELNS0_4arch9wavefront6targetE1EEEvSM_
                                        ; -- End function
	.section	.AMDGPU.csdata,"",@progbits
; Kernel info:
; codeLenInByte = 0
; NumSgprs: 6
; NumVgprs: 0
; NumAgprs: 0
; TotalNumVgprs: 0
; ScratchSize: 0
; MemoryBound: 0
; FloatMode: 240
; IeeeMode: 1
; LDSByteSize: 0 bytes/workgroup (compile time only)
; SGPRBlocks: 0
; VGPRBlocks: 0
; NumSGPRsForWavesPerEU: 6
; NumVGPRsForWavesPerEU: 1
; AccumOffset: 4
; Occupancy: 8
; WaveLimiterHint : 0
; COMPUTE_PGM_RSRC2:SCRATCH_EN: 0
; COMPUTE_PGM_RSRC2:USER_SGPR: 2
; COMPUTE_PGM_RSRC2:TRAP_HANDLER: 0
; COMPUTE_PGM_RSRC2:TGID_X_EN: 1
; COMPUTE_PGM_RSRC2:TGID_Y_EN: 0
; COMPUTE_PGM_RSRC2:TGID_Z_EN: 0
; COMPUTE_PGM_RSRC2:TIDIG_COMP_CNT: 0
; COMPUTE_PGM_RSRC3_GFX90A:ACCUM_OFFSET: 0
; COMPUTE_PGM_RSRC3_GFX90A:TG_SPLIT: 0
	.section	.text._ZN7rocprim17ROCPRIM_400000_NS6detail17trampoline_kernelINS0_14default_configENS1_38merge_sort_block_merge_config_selectorIlNS0_10empty_typeEEEZZNS1_27merge_sort_block_merge_implIS3_PlPS5_mZN2at6native12_GLOBAL__N_124unique_dim_cuda_templateIaEESt5tupleIJNSA_6TensorESF_SF_EERKSF_lbbbEUlllE_EE10hipError_tT0_T1_T2_jT3_P12ihipStream_tbPNSt15iterator_traitsISL_E10value_typeEPNSR_ISM_E10value_typeEPSN_NS1_7vsmem_tEENKUlT_SL_SM_SN_E_clIS8_S8_S9_S9_EESK_S10_SL_SM_SN_EUlS10_E1_NS1_11comp_targetILNS1_3genE9ELNS1_11target_archE1100ELNS1_3gpuE3ELNS1_3repE0EEENS1_36merge_oddeven_config_static_selectorELNS0_4arch9wavefront6targetE1EEEvSM_,"axG",@progbits,_ZN7rocprim17ROCPRIM_400000_NS6detail17trampoline_kernelINS0_14default_configENS1_38merge_sort_block_merge_config_selectorIlNS0_10empty_typeEEEZZNS1_27merge_sort_block_merge_implIS3_PlPS5_mZN2at6native12_GLOBAL__N_124unique_dim_cuda_templateIaEESt5tupleIJNSA_6TensorESF_SF_EERKSF_lbbbEUlllE_EE10hipError_tT0_T1_T2_jT3_P12ihipStream_tbPNSt15iterator_traitsISL_E10value_typeEPNSR_ISM_E10value_typeEPSN_NS1_7vsmem_tEENKUlT_SL_SM_SN_E_clIS8_S8_S9_S9_EESK_S10_SL_SM_SN_EUlS10_E1_NS1_11comp_targetILNS1_3genE9ELNS1_11target_archE1100ELNS1_3gpuE3ELNS1_3repE0EEENS1_36merge_oddeven_config_static_selectorELNS0_4arch9wavefront6targetE1EEEvSM_,comdat
	.globl	_ZN7rocprim17ROCPRIM_400000_NS6detail17trampoline_kernelINS0_14default_configENS1_38merge_sort_block_merge_config_selectorIlNS0_10empty_typeEEEZZNS1_27merge_sort_block_merge_implIS3_PlPS5_mZN2at6native12_GLOBAL__N_124unique_dim_cuda_templateIaEESt5tupleIJNSA_6TensorESF_SF_EERKSF_lbbbEUlllE_EE10hipError_tT0_T1_T2_jT3_P12ihipStream_tbPNSt15iterator_traitsISL_E10value_typeEPNSR_ISM_E10value_typeEPSN_NS1_7vsmem_tEENKUlT_SL_SM_SN_E_clIS8_S8_S9_S9_EESK_S10_SL_SM_SN_EUlS10_E1_NS1_11comp_targetILNS1_3genE9ELNS1_11target_archE1100ELNS1_3gpuE3ELNS1_3repE0EEENS1_36merge_oddeven_config_static_selectorELNS0_4arch9wavefront6targetE1EEEvSM_ ; -- Begin function _ZN7rocprim17ROCPRIM_400000_NS6detail17trampoline_kernelINS0_14default_configENS1_38merge_sort_block_merge_config_selectorIlNS0_10empty_typeEEEZZNS1_27merge_sort_block_merge_implIS3_PlPS5_mZN2at6native12_GLOBAL__N_124unique_dim_cuda_templateIaEESt5tupleIJNSA_6TensorESF_SF_EERKSF_lbbbEUlllE_EE10hipError_tT0_T1_T2_jT3_P12ihipStream_tbPNSt15iterator_traitsISL_E10value_typeEPNSR_ISM_E10value_typeEPSN_NS1_7vsmem_tEENKUlT_SL_SM_SN_E_clIS8_S8_S9_S9_EESK_S10_SL_SM_SN_EUlS10_E1_NS1_11comp_targetILNS1_3genE9ELNS1_11target_archE1100ELNS1_3gpuE3ELNS1_3repE0EEENS1_36merge_oddeven_config_static_selectorELNS0_4arch9wavefront6targetE1EEEvSM_
	.p2align	8
	.type	_ZN7rocprim17ROCPRIM_400000_NS6detail17trampoline_kernelINS0_14default_configENS1_38merge_sort_block_merge_config_selectorIlNS0_10empty_typeEEEZZNS1_27merge_sort_block_merge_implIS3_PlPS5_mZN2at6native12_GLOBAL__N_124unique_dim_cuda_templateIaEESt5tupleIJNSA_6TensorESF_SF_EERKSF_lbbbEUlllE_EE10hipError_tT0_T1_T2_jT3_P12ihipStream_tbPNSt15iterator_traitsISL_E10value_typeEPNSR_ISM_E10value_typeEPSN_NS1_7vsmem_tEENKUlT_SL_SM_SN_E_clIS8_S8_S9_S9_EESK_S10_SL_SM_SN_EUlS10_E1_NS1_11comp_targetILNS1_3genE9ELNS1_11target_archE1100ELNS1_3gpuE3ELNS1_3repE0EEENS1_36merge_oddeven_config_static_selectorELNS0_4arch9wavefront6targetE1EEEvSM_,@function
_ZN7rocprim17ROCPRIM_400000_NS6detail17trampoline_kernelINS0_14default_configENS1_38merge_sort_block_merge_config_selectorIlNS0_10empty_typeEEEZZNS1_27merge_sort_block_merge_implIS3_PlPS5_mZN2at6native12_GLOBAL__N_124unique_dim_cuda_templateIaEESt5tupleIJNSA_6TensorESF_SF_EERKSF_lbbbEUlllE_EE10hipError_tT0_T1_T2_jT3_P12ihipStream_tbPNSt15iterator_traitsISL_E10value_typeEPNSR_ISM_E10value_typeEPSN_NS1_7vsmem_tEENKUlT_SL_SM_SN_E_clIS8_S8_S9_S9_EESK_S10_SL_SM_SN_EUlS10_E1_NS1_11comp_targetILNS1_3genE9ELNS1_11target_archE1100ELNS1_3gpuE3ELNS1_3repE0EEENS1_36merge_oddeven_config_static_selectorELNS0_4arch9wavefront6targetE1EEEvSM_: ; @_ZN7rocprim17ROCPRIM_400000_NS6detail17trampoline_kernelINS0_14default_configENS1_38merge_sort_block_merge_config_selectorIlNS0_10empty_typeEEEZZNS1_27merge_sort_block_merge_implIS3_PlPS5_mZN2at6native12_GLOBAL__N_124unique_dim_cuda_templateIaEESt5tupleIJNSA_6TensorESF_SF_EERKSF_lbbbEUlllE_EE10hipError_tT0_T1_T2_jT3_P12ihipStream_tbPNSt15iterator_traitsISL_E10value_typeEPNSR_ISM_E10value_typeEPSN_NS1_7vsmem_tEENKUlT_SL_SM_SN_E_clIS8_S8_S9_S9_EESK_S10_SL_SM_SN_EUlS10_E1_NS1_11comp_targetILNS1_3genE9ELNS1_11target_archE1100ELNS1_3gpuE3ELNS1_3repE0EEENS1_36merge_oddeven_config_static_selectorELNS0_4arch9wavefront6targetE1EEEvSM_
; %bb.0:
	.section	.rodata,"a",@progbits
	.p2align	6, 0x0
	.amdhsa_kernel _ZN7rocprim17ROCPRIM_400000_NS6detail17trampoline_kernelINS0_14default_configENS1_38merge_sort_block_merge_config_selectorIlNS0_10empty_typeEEEZZNS1_27merge_sort_block_merge_implIS3_PlPS5_mZN2at6native12_GLOBAL__N_124unique_dim_cuda_templateIaEESt5tupleIJNSA_6TensorESF_SF_EERKSF_lbbbEUlllE_EE10hipError_tT0_T1_T2_jT3_P12ihipStream_tbPNSt15iterator_traitsISL_E10value_typeEPNSR_ISM_E10value_typeEPSN_NS1_7vsmem_tEENKUlT_SL_SM_SN_E_clIS8_S8_S9_S9_EESK_S10_SL_SM_SN_EUlS10_E1_NS1_11comp_targetILNS1_3genE9ELNS1_11target_archE1100ELNS1_3gpuE3ELNS1_3repE0EEENS1_36merge_oddeven_config_static_selectorELNS0_4arch9wavefront6targetE1EEEvSM_
		.amdhsa_group_segment_fixed_size 0
		.amdhsa_private_segment_fixed_size 0
		.amdhsa_kernarg_size 64
		.amdhsa_user_sgpr_count 2
		.amdhsa_user_sgpr_dispatch_ptr 0
		.amdhsa_user_sgpr_queue_ptr 0
		.amdhsa_user_sgpr_kernarg_segment_ptr 1
		.amdhsa_user_sgpr_dispatch_id 0
		.amdhsa_user_sgpr_kernarg_preload_length 0
		.amdhsa_user_sgpr_kernarg_preload_offset 0
		.amdhsa_user_sgpr_private_segment_size 0
		.amdhsa_uses_dynamic_stack 0
		.amdhsa_enable_private_segment 0
		.amdhsa_system_sgpr_workgroup_id_x 1
		.amdhsa_system_sgpr_workgroup_id_y 0
		.amdhsa_system_sgpr_workgroup_id_z 0
		.amdhsa_system_sgpr_workgroup_info 0
		.amdhsa_system_vgpr_workitem_id 0
		.amdhsa_next_free_vgpr 1
		.amdhsa_next_free_sgpr 0
		.amdhsa_accum_offset 4
		.amdhsa_reserve_vcc 0
		.amdhsa_float_round_mode_32 0
		.amdhsa_float_round_mode_16_64 0
		.amdhsa_float_denorm_mode_32 3
		.amdhsa_float_denorm_mode_16_64 3
		.amdhsa_dx10_clamp 1
		.amdhsa_ieee_mode 1
		.amdhsa_fp16_overflow 0
		.amdhsa_tg_split 0
		.amdhsa_exception_fp_ieee_invalid_op 0
		.amdhsa_exception_fp_denorm_src 0
		.amdhsa_exception_fp_ieee_div_zero 0
		.amdhsa_exception_fp_ieee_overflow 0
		.amdhsa_exception_fp_ieee_underflow 0
		.amdhsa_exception_fp_ieee_inexact 0
		.amdhsa_exception_int_div_zero 0
	.end_amdhsa_kernel
	.section	.text._ZN7rocprim17ROCPRIM_400000_NS6detail17trampoline_kernelINS0_14default_configENS1_38merge_sort_block_merge_config_selectorIlNS0_10empty_typeEEEZZNS1_27merge_sort_block_merge_implIS3_PlPS5_mZN2at6native12_GLOBAL__N_124unique_dim_cuda_templateIaEESt5tupleIJNSA_6TensorESF_SF_EERKSF_lbbbEUlllE_EE10hipError_tT0_T1_T2_jT3_P12ihipStream_tbPNSt15iterator_traitsISL_E10value_typeEPNSR_ISM_E10value_typeEPSN_NS1_7vsmem_tEENKUlT_SL_SM_SN_E_clIS8_S8_S9_S9_EESK_S10_SL_SM_SN_EUlS10_E1_NS1_11comp_targetILNS1_3genE9ELNS1_11target_archE1100ELNS1_3gpuE3ELNS1_3repE0EEENS1_36merge_oddeven_config_static_selectorELNS0_4arch9wavefront6targetE1EEEvSM_,"axG",@progbits,_ZN7rocprim17ROCPRIM_400000_NS6detail17trampoline_kernelINS0_14default_configENS1_38merge_sort_block_merge_config_selectorIlNS0_10empty_typeEEEZZNS1_27merge_sort_block_merge_implIS3_PlPS5_mZN2at6native12_GLOBAL__N_124unique_dim_cuda_templateIaEESt5tupleIJNSA_6TensorESF_SF_EERKSF_lbbbEUlllE_EE10hipError_tT0_T1_T2_jT3_P12ihipStream_tbPNSt15iterator_traitsISL_E10value_typeEPNSR_ISM_E10value_typeEPSN_NS1_7vsmem_tEENKUlT_SL_SM_SN_E_clIS8_S8_S9_S9_EESK_S10_SL_SM_SN_EUlS10_E1_NS1_11comp_targetILNS1_3genE9ELNS1_11target_archE1100ELNS1_3gpuE3ELNS1_3repE0EEENS1_36merge_oddeven_config_static_selectorELNS0_4arch9wavefront6targetE1EEEvSM_,comdat
.Lfunc_end294:
	.size	_ZN7rocprim17ROCPRIM_400000_NS6detail17trampoline_kernelINS0_14default_configENS1_38merge_sort_block_merge_config_selectorIlNS0_10empty_typeEEEZZNS1_27merge_sort_block_merge_implIS3_PlPS5_mZN2at6native12_GLOBAL__N_124unique_dim_cuda_templateIaEESt5tupleIJNSA_6TensorESF_SF_EERKSF_lbbbEUlllE_EE10hipError_tT0_T1_T2_jT3_P12ihipStream_tbPNSt15iterator_traitsISL_E10value_typeEPNSR_ISM_E10value_typeEPSN_NS1_7vsmem_tEENKUlT_SL_SM_SN_E_clIS8_S8_S9_S9_EESK_S10_SL_SM_SN_EUlS10_E1_NS1_11comp_targetILNS1_3genE9ELNS1_11target_archE1100ELNS1_3gpuE3ELNS1_3repE0EEENS1_36merge_oddeven_config_static_selectorELNS0_4arch9wavefront6targetE1EEEvSM_, .Lfunc_end294-_ZN7rocprim17ROCPRIM_400000_NS6detail17trampoline_kernelINS0_14default_configENS1_38merge_sort_block_merge_config_selectorIlNS0_10empty_typeEEEZZNS1_27merge_sort_block_merge_implIS3_PlPS5_mZN2at6native12_GLOBAL__N_124unique_dim_cuda_templateIaEESt5tupleIJNSA_6TensorESF_SF_EERKSF_lbbbEUlllE_EE10hipError_tT0_T1_T2_jT3_P12ihipStream_tbPNSt15iterator_traitsISL_E10value_typeEPNSR_ISM_E10value_typeEPSN_NS1_7vsmem_tEENKUlT_SL_SM_SN_E_clIS8_S8_S9_S9_EESK_S10_SL_SM_SN_EUlS10_E1_NS1_11comp_targetILNS1_3genE9ELNS1_11target_archE1100ELNS1_3gpuE3ELNS1_3repE0EEENS1_36merge_oddeven_config_static_selectorELNS0_4arch9wavefront6targetE1EEEvSM_
                                        ; -- End function
	.section	.AMDGPU.csdata,"",@progbits
; Kernel info:
; codeLenInByte = 0
; NumSgprs: 6
; NumVgprs: 0
; NumAgprs: 0
; TotalNumVgprs: 0
; ScratchSize: 0
; MemoryBound: 0
; FloatMode: 240
; IeeeMode: 1
; LDSByteSize: 0 bytes/workgroup (compile time only)
; SGPRBlocks: 0
; VGPRBlocks: 0
; NumSGPRsForWavesPerEU: 6
; NumVGPRsForWavesPerEU: 1
; AccumOffset: 4
; Occupancy: 8
; WaveLimiterHint : 0
; COMPUTE_PGM_RSRC2:SCRATCH_EN: 0
; COMPUTE_PGM_RSRC2:USER_SGPR: 2
; COMPUTE_PGM_RSRC2:TRAP_HANDLER: 0
; COMPUTE_PGM_RSRC2:TGID_X_EN: 1
; COMPUTE_PGM_RSRC2:TGID_Y_EN: 0
; COMPUTE_PGM_RSRC2:TGID_Z_EN: 0
; COMPUTE_PGM_RSRC2:TIDIG_COMP_CNT: 0
; COMPUTE_PGM_RSRC3_GFX90A:ACCUM_OFFSET: 0
; COMPUTE_PGM_RSRC3_GFX90A:TG_SPLIT: 0
	.section	.text._ZN7rocprim17ROCPRIM_400000_NS6detail17trampoline_kernelINS0_14default_configENS1_38merge_sort_block_merge_config_selectorIlNS0_10empty_typeEEEZZNS1_27merge_sort_block_merge_implIS3_PlPS5_mZN2at6native12_GLOBAL__N_124unique_dim_cuda_templateIaEESt5tupleIJNSA_6TensorESF_SF_EERKSF_lbbbEUlllE_EE10hipError_tT0_T1_T2_jT3_P12ihipStream_tbPNSt15iterator_traitsISL_E10value_typeEPNSR_ISM_E10value_typeEPSN_NS1_7vsmem_tEENKUlT_SL_SM_SN_E_clIS8_S8_S9_S9_EESK_S10_SL_SM_SN_EUlS10_E1_NS1_11comp_targetILNS1_3genE8ELNS1_11target_archE1030ELNS1_3gpuE2ELNS1_3repE0EEENS1_36merge_oddeven_config_static_selectorELNS0_4arch9wavefront6targetE1EEEvSM_,"axG",@progbits,_ZN7rocprim17ROCPRIM_400000_NS6detail17trampoline_kernelINS0_14default_configENS1_38merge_sort_block_merge_config_selectorIlNS0_10empty_typeEEEZZNS1_27merge_sort_block_merge_implIS3_PlPS5_mZN2at6native12_GLOBAL__N_124unique_dim_cuda_templateIaEESt5tupleIJNSA_6TensorESF_SF_EERKSF_lbbbEUlllE_EE10hipError_tT0_T1_T2_jT3_P12ihipStream_tbPNSt15iterator_traitsISL_E10value_typeEPNSR_ISM_E10value_typeEPSN_NS1_7vsmem_tEENKUlT_SL_SM_SN_E_clIS8_S8_S9_S9_EESK_S10_SL_SM_SN_EUlS10_E1_NS1_11comp_targetILNS1_3genE8ELNS1_11target_archE1030ELNS1_3gpuE2ELNS1_3repE0EEENS1_36merge_oddeven_config_static_selectorELNS0_4arch9wavefront6targetE1EEEvSM_,comdat
	.globl	_ZN7rocprim17ROCPRIM_400000_NS6detail17trampoline_kernelINS0_14default_configENS1_38merge_sort_block_merge_config_selectorIlNS0_10empty_typeEEEZZNS1_27merge_sort_block_merge_implIS3_PlPS5_mZN2at6native12_GLOBAL__N_124unique_dim_cuda_templateIaEESt5tupleIJNSA_6TensorESF_SF_EERKSF_lbbbEUlllE_EE10hipError_tT0_T1_T2_jT3_P12ihipStream_tbPNSt15iterator_traitsISL_E10value_typeEPNSR_ISM_E10value_typeEPSN_NS1_7vsmem_tEENKUlT_SL_SM_SN_E_clIS8_S8_S9_S9_EESK_S10_SL_SM_SN_EUlS10_E1_NS1_11comp_targetILNS1_3genE8ELNS1_11target_archE1030ELNS1_3gpuE2ELNS1_3repE0EEENS1_36merge_oddeven_config_static_selectorELNS0_4arch9wavefront6targetE1EEEvSM_ ; -- Begin function _ZN7rocprim17ROCPRIM_400000_NS6detail17trampoline_kernelINS0_14default_configENS1_38merge_sort_block_merge_config_selectorIlNS0_10empty_typeEEEZZNS1_27merge_sort_block_merge_implIS3_PlPS5_mZN2at6native12_GLOBAL__N_124unique_dim_cuda_templateIaEESt5tupleIJNSA_6TensorESF_SF_EERKSF_lbbbEUlllE_EE10hipError_tT0_T1_T2_jT3_P12ihipStream_tbPNSt15iterator_traitsISL_E10value_typeEPNSR_ISM_E10value_typeEPSN_NS1_7vsmem_tEENKUlT_SL_SM_SN_E_clIS8_S8_S9_S9_EESK_S10_SL_SM_SN_EUlS10_E1_NS1_11comp_targetILNS1_3genE8ELNS1_11target_archE1030ELNS1_3gpuE2ELNS1_3repE0EEENS1_36merge_oddeven_config_static_selectorELNS0_4arch9wavefront6targetE1EEEvSM_
	.p2align	8
	.type	_ZN7rocprim17ROCPRIM_400000_NS6detail17trampoline_kernelINS0_14default_configENS1_38merge_sort_block_merge_config_selectorIlNS0_10empty_typeEEEZZNS1_27merge_sort_block_merge_implIS3_PlPS5_mZN2at6native12_GLOBAL__N_124unique_dim_cuda_templateIaEESt5tupleIJNSA_6TensorESF_SF_EERKSF_lbbbEUlllE_EE10hipError_tT0_T1_T2_jT3_P12ihipStream_tbPNSt15iterator_traitsISL_E10value_typeEPNSR_ISM_E10value_typeEPSN_NS1_7vsmem_tEENKUlT_SL_SM_SN_E_clIS8_S8_S9_S9_EESK_S10_SL_SM_SN_EUlS10_E1_NS1_11comp_targetILNS1_3genE8ELNS1_11target_archE1030ELNS1_3gpuE2ELNS1_3repE0EEENS1_36merge_oddeven_config_static_selectorELNS0_4arch9wavefront6targetE1EEEvSM_,@function
_ZN7rocprim17ROCPRIM_400000_NS6detail17trampoline_kernelINS0_14default_configENS1_38merge_sort_block_merge_config_selectorIlNS0_10empty_typeEEEZZNS1_27merge_sort_block_merge_implIS3_PlPS5_mZN2at6native12_GLOBAL__N_124unique_dim_cuda_templateIaEESt5tupleIJNSA_6TensorESF_SF_EERKSF_lbbbEUlllE_EE10hipError_tT0_T1_T2_jT3_P12ihipStream_tbPNSt15iterator_traitsISL_E10value_typeEPNSR_ISM_E10value_typeEPSN_NS1_7vsmem_tEENKUlT_SL_SM_SN_E_clIS8_S8_S9_S9_EESK_S10_SL_SM_SN_EUlS10_E1_NS1_11comp_targetILNS1_3genE8ELNS1_11target_archE1030ELNS1_3gpuE2ELNS1_3repE0EEENS1_36merge_oddeven_config_static_selectorELNS0_4arch9wavefront6targetE1EEEvSM_: ; @_ZN7rocprim17ROCPRIM_400000_NS6detail17trampoline_kernelINS0_14default_configENS1_38merge_sort_block_merge_config_selectorIlNS0_10empty_typeEEEZZNS1_27merge_sort_block_merge_implIS3_PlPS5_mZN2at6native12_GLOBAL__N_124unique_dim_cuda_templateIaEESt5tupleIJNSA_6TensorESF_SF_EERKSF_lbbbEUlllE_EE10hipError_tT0_T1_T2_jT3_P12ihipStream_tbPNSt15iterator_traitsISL_E10value_typeEPNSR_ISM_E10value_typeEPSN_NS1_7vsmem_tEENKUlT_SL_SM_SN_E_clIS8_S8_S9_S9_EESK_S10_SL_SM_SN_EUlS10_E1_NS1_11comp_targetILNS1_3genE8ELNS1_11target_archE1030ELNS1_3gpuE2ELNS1_3repE0EEENS1_36merge_oddeven_config_static_selectorELNS0_4arch9wavefront6targetE1EEEvSM_
; %bb.0:
	.section	.rodata,"a",@progbits
	.p2align	6, 0x0
	.amdhsa_kernel _ZN7rocprim17ROCPRIM_400000_NS6detail17trampoline_kernelINS0_14default_configENS1_38merge_sort_block_merge_config_selectorIlNS0_10empty_typeEEEZZNS1_27merge_sort_block_merge_implIS3_PlPS5_mZN2at6native12_GLOBAL__N_124unique_dim_cuda_templateIaEESt5tupleIJNSA_6TensorESF_SF_EERKSF_lbbbEUlllE_EE10hipError_tT0_T1_T2_jT3_P12ihipStream_tbPNSt15iterator_traitsISL_E10value_typeEPNSR_ISM_E10value_typeEPSN_NS1_7vsmem_tEENKUlT_SL_SM_SN_E_clIS8_S8_S9_S9_EESK_S10_SL_SM_SN_EUlS10_E1_NS1_11comp_targetILNS1_3genE8ELNS1_11target_archE1030ELNS1_3gpuE2ELNS1_3repE0EEENS1_36merge_oddeven_config_static_selectorELNS0_4arch9wavefront6targetE1EEEvSM_
		.amdhsa_group_segment_fixed_size 0
		.amdhsa_private_segment_fixed_size 0
		.amdhsa_kernarg_size 64
		.amdhsa_user_sgpr_count 2
		.amdhsa_user_sgpr_dispatch_ptr 0
		.amdhsa_user_sgpr_queue_ptr 0
		.amdhsa_user_sgpr_kernarg_segment_ptr 1
		.amdhsa_user_sgpr_dispatch_id 0
		.amdhsa_user_sgpr_kernarg_preload_length 0
		.amdhsa_user_sgpr_kernarg_preload_offset 0
		.amdhsa_user_sgpr_private_segment_size 0
		.amdhsa_uses_dynamic_stack 0
		.amdhsa_enable_private_segment 0
		.amdhsa_system_sgpr_workgroup_id_x 1
		.amdhsa_system_sgpr_workgroup_id_y 0
		.amdhsa_system_sgpr_workgroup_id_z 0
		.amdhsa_system_sgpr_workgroup_info 0
		.amdhsa_system_vgpr_workitem_id 0
		.amdhsa_next_free_vgpr 1
		.amdhsa_next_free_sgpr 0
		.amdhsa_accum_offset 4
		.amdhsa_reserve_vcc 0
		.amdhsa_float_round_mode_32 0
		.amdhsa_float_round_mode_16_64 0
		.amdhsa_float_denorm_mode_32 3
		.amdhsa_float_denorm_mode_16_64 3
		.amdhsa_dx10_clamp 1
		.amdhsa_ieee_mode 1
		.amdhsa_fp16_overflow 0
		.amdhsa_tg_split 0
		.amdhsa_exception_fp_ieee_invalid_op 0
		.amdhsa_exception_fp_denorm_src 0
		.amdhsa_exception_fp_ieee_div_zero 0
		.amdhsa_exception_fp_ieee_overflow 0
		.amdhsa_exception_fp_ieee_underflow 0
		.amdhsa_exception_fp_ieee_inexact 0
		.amdhsa_exception_int_div_zero 0
	.end_amdhsa_kernel
	.section	.text._ZN7rocprim17ROCPRIM_400000_NS6detail17trampoline_kernelINS0_14default_configENS1_38merge_sort_block_merge_config_selectorIlNS0_10empty_typeEEEZZNS1_27merge_sort_block_merge_implIS3_PlPS5_mZN2at6native12_GLOBAL__N_124unique_dim_cuda_templateIaEESt5tupleIJNSA_6TensorESF_SF_EERKSF_lbbbEUlllE_EE10hipError_tT0_T1_T2_jT3_P12ihipStream_tbPNSt15iterator_traitsISL_E10value_typeEPNSR_ISM_E10value_typeEPSN_NS1_7vsmem_tEENKUlT_SL_SM_SN_E_clIS8_S8_S9_S9_EESK_S10_SL_SM_SN_EUlS10_E1_NS1_11comp_targetILNS1_3genE8ELNS1_11target_archE1030ELNS1_3gpuE2ELNS1_3repE0EEENS1_36merge_oddeven_config_static_selectorELNS0_4arch9wavefront6targetE1EEEvSM_,"axG",@progbits,_ZN7rocprim17ROCPRIM_400000_NS6detail17trampoline_kernelINS0_14default_configENS1_38merge_sort_block_merge_config_selectorIlNS0_10empty_typeEEEZZNS1_27merge_sort_block_merge_implIS3_PlPS5_mZN2at6native12_GLOBAL__N_124unique_dim_cuda_templateIaEESt5tupleIJNSA_6TensorESF_SF_EERKSF_lbbbEUlllE_EE10hipError_tT0_T1_T2_jT3_P12ihipStream_tbPNSt15iterator_traitsISL_E10value_typeEPNSR_ISM_E10value_typeEPSN_NS1_7vsmem_tEENKUlT_SL_SM_SN_E_clIS8_S8_S9_S9_EESK_S10_SL_SM_SN_EUlS10_E1_NS1_11comp_targetILNS1_3genE8ELNS1_11target_archE1030ELNS1_3gpuE2ELNS1_3repE0EEENS1_36merge_oddeven_config_static_selectorELNS0_4arch9wavefront6targetE1EEEvSM_,comdat
.Lfunc_end295:
	.size	_ZN7rocprim17ROCPRIM_400000_NS6detail17trampoline_kernelINS0_14default_configENS1_38merge_sort_block_merge_config_selectorIlNS0_10empty_typeEEEZZNS1_27merge_sort_block_merge_implIS3_PlPS5_mZN2at6native12_GLOBAL__N_124unique_dim_cuda_templateIaEESt5tupleIJNSA_6TensorESF_SF_EERKSF_lbbbEUlllE_EE10hipError_tT0_T1_T2_jT3_P12ihipStream_tbPNSt15iterator_traitsISL_E10value_typeEPNSR_ISM_E10value_typeEPSN_NS1_7vsmem_tEENKUlT_SL_SM_SN_E_clIS8_S8_S9_S9_EESK_S10_SL_SM_SN_EUlS10_E1_NS1_11comp_targetILNS1_3genE8ELNS1_11target_archE1030ELNS1_3gpuE2ELNS1_3repE0EEENS1_36merge_oddeven_config_static_selectorELNS0_4arch9wavefront6targetE1EEEvSM_, .Lfunc_end295-_ZN7rocprim17ROCPRIM_400000_NS6detail17trampoline_kernelINS0_14default_configENS1_38merge_sort_block_merge_config_selectorIlNS0_10empty_typeEEEZZNS1_27merge_sort_block_merge_implIS3_PlPS5_mZN2at6native12_GLOBAL__N_124unique_dim_cuda_templateIaEESt5tupleIJNSA_6TensorESF_SF_EERKSF_lbbbEUlllE_EE10hipError_tT0_T1_T2_jT3_P12ihipStream_tbPNSt15iterator_traitsISL_E10value_typeEPNSR_ISM_E10value_typeEPSN_NS1_7vsmem_tEENKUlT_SL_SM_SN_E_clIS8_S8_S9_S9_EESK_S10_SL_SM_SN_EUlS10_E1_NS1_11comp_targetILNS1_3genE8ELNS1_11target_archE1030ELNS1_3gpuE2ELNS1_3repE0EEENS1_36merge_oddeven_config_static_selectorELNS0_4arch9wavefront6targetE1EEEvSM_
                                        ; -- End function
	.section	.AMDGPU.csdata,"",@progbits
; Kernel info:
; codeLenInByte = 0
; NumSgprs: 6
; NumVgprs: 0
; NumAgprs: 0
; TotalNumVgprs: 0
; ScratchSize: 0
; MemoryBound: 0
; FloatMode: 240
; IeeeMode: 1
; LDSByteSize: 0 bytes/workgroup (compile time only)
; SGPRBlocks: 0
; VGPRBlocks: 0
; NumSGPRsForWavesPerEU: 6
; NumVGPRsForWavesPerEU: 1
; AccumOffset: 4
; Occupancy: 8
; WaveLimiterHint : 0
; COMPUTE_PGM_RSRC2:SCRATCH_EN: 0
; COMPUTE_PGM_RSRC2:USER_SGPR: 2
; COMPUTE_PGM_RSRC2:TRAP_HANDLER: 0
; COMPUTE_PGM_RSRC2:TGID_X_EN: 1
; COMPUTE_PGM_RSRC2:TGID_Y_EN: 0
; COMPUTE_PGM_RSRC2:TGID_Z_EN: 0
; COMPUTE_PGM_RSRC2:TIDIG_COMP_CNT: 0
; COMPUTE_PGM_RSRC3_GFX90A:ACCUM_OFFSET: 0
; COMPUTE_PGM_RSRC3_GFX90A:TG_SPLIT: 0
	.section	.text._ZN7rocprim17ROCPRIM_400000_NS6detail17trampoline_kernelINS0_14default_configENS1_35adjacent_difference_config_selectorILb0ElEEZNS1_24adjacent_difference_implIS3_Lb0ELb0EPlS7_ZN2at6native12_GLOBAL__N_124unique_dim_cuda_templateIaEESt5tupleIJNS8_6TensorESD_SD_EERKSD_lbbbEUlllE1_EE10hipError_tPvRmT2_T3_mT4_P12ihipStream_tbEUlT_E_NS1_11comp_targetILNS1_3genE0ELNS1_11target_archE4294967295ELNS1_3gpuE0ELNS1_3repE0EEENS1_30default_config_static_selectorELNS0_4arch9wavefront6targetE1EEEvT1_,"axG",@progbits,_ZN7rocprim17ROCPRIM_400000_NS6detail17trampoline_kernelINS0_14default_configENS1_35adjacent_difference_config_selectorILb0ElEEZNS1_24adjacent_difference_implIS3_Lb0ELb0EPlS7_ZN2at6native12_GLOBAL__N_124unique_dim_cuda_templateIaEESt5tupleIJNS8_6TensorESD_SD_EERKSD_lbbbEUlllE1_EE10hipError_tPvRmT2_T3_mT4_P12ihipStream_tbEUlT_E_NS1_11comp_targetILNS1_3genE0ELNS1_11target_archE4294967295ELNS1_3gpuE0ELNS1_3repE0EEENS1_30default_config_static_selectorELNS0_4arch9wavefront6targetE1EEEvT1_,comdat
	.globl	_ZN7rocprim17ROCPRIM_400000_NS6detail17trampoline_kernelINS0_14default_configENS1_35adjacent_difference_config_selectorILb0ElEEZNS1_24adjacent_difference_implIS3_Lb0ELb0EPlS7_ZN2at6native12_GLOBAL__N_124unique_dim_cuda_templateIaEESt5tupleIJNS8_6TensorESD_SD_EERKSD_lbbbEUlllE1_EE10hipError_tPvRmT2_T3_mT4_P12ihipStream_tbEUlT_E_NS1_11comp_targetILNS1_3genE0ELNS1_11target_archE4294967295ELNS1_3gpuE0ELNS1_3repE0EEENS1_30default_config_static_selectorELNS0_4arch9wavefront6targetE1EEEvT1_ ; -- Begin function _ZN7rocprim17ROCPRIM_400000_NS6detail17trampoline_kernelINS0_14default_configENS1_35adjacent_difference_config_selectorILb0ElEEZNS1_24adjacent_difference_implIS3_Lb0ELb0EPlS7_ZN2at6native12_GLOBAL__N_124unique_dim_cuda_templateIaEESt5tupleIJNS8_6TensorESD_SD_EERKSD_lbbbEUlllE1_EE10hipError_tPvRmT2_T3_mT4_P12ihipStream_tbEUlT_E_NS1_11comp_targetILNS1_3genE0ELNS1_11target_archE4294967295ELNS1_3gpuE0ELNS1_3repE0EEENS1_30default_config_static_selectorELNS0_4arch9wavefront6targetE1EEEvT1_
	.p2align	8
	.type	_ZN7rocprim17ROCPRIM_400000_NS6detail17trampoline_kernelINS0_14default_configENS1_35adjacent_difference_config_selectorILb0ElEEZNS1_24adjacent_difference_implIS3_Lb0ELb0EPlS7_ZN2at6native12_GLOBAL__N_124unique_dim_cuda_templateIaEESt5tupleIJNS8_6TensorESD_SD_EERKSD_lbbbEUlllE1_EE10hipError_tPvRmT2_T3_mT4_P12ihipStream_tbEUlT_E_NS1_11comp_targetILNS1_3genE0ELNS1_11target_archE4294967295ELNS1_3gpuE0ELNS1_3repE0EEENS1_30default_config_static_selectorELNS0_4arch9wavefront6targetE1EEEvT1_,@function
_ZN7rocprim17ROCPRIM_400000_NS6detail17trampoline_kernelINS0_14default_configENS1_35adjacent_difference_config_selectorILb0ElEEZNS1_24adjacent_difference_implIS3_Lb0ELb0EPlS7_ZN2at6native12_GLOBAL__N_124unique_dim_cuda_templateIaEESt5tupleIJNS8_6TensorESD_SD_EERKSD_lbbbEUlllE1_EE10hipError_tPvRmT2_T3_mT4_P12ihipStream_tbEUlT_E_NS1_11comp_targetILNS1_3genE0ELNS1_11target_archE4294967295ELNS1_3gpuE0ELNS1_3repE0EEENS1_30default_config_static_selectorELNS0_4arch9wavefront6targetE1EEEvT1_: ; @_ZN7rocprim17ROCPRIM_400000_NS6detail17trampoline_kernelINS0_14default_configENS1_35adjacent_difference_config_selectorILb0ElEEZNS1_24adjacent_difference_implIS3_Lb0ELb0EPlS7_ZN2at6native12_GLOBAL__N_124unique_dim_cuda_templateIaEESt5tupleIJNS8_6TensorESD_SD_EERKSD_lbbbEUlllE1_EE10hipError_tPvRmT2_T3_mT4_P12ihipStream_tbEUlT_E_NS1_11comp_targetILNS1_3genE0ELNS1_11target_archE4294967295ELNS1_3gpuE0ELNS1_3repE0EEENS1_30default_config_static_selectorELNS0_4arch9wavefront6targetE1EEEvT1_
; %bb.0:
	.section	.rodata,"a",@progbits
	.p2align	6, 0x0
	.amdhsa_kernel _ZN7rocprim17ROCPRIM_400000_NS6detail17trampoline_kernelINS0_14default_configENS1_35adjacent_difference_config_selectorILb0ElEEZNS1_24adjacent_difference_implIS3_Lb0ELb0EPlS7_ZN2at6native12_GLOBAL__N_124unique_dim_cuda_templateIaEESt5tupleIJNS8_6TensorESD_SD_EERKSD_lbbbEUlllE1_EE10hipError_tPvRmT2_T3_mT4_P12ihipStream_tbEUlT_E_NS1_11comp_targetILNS1_3genE0ELNS1_11target_archE4294967295ELNS1_3gpuE0ELNS1_3repE0EEENS1_30default_config_static_selectorELNS0_4arch9wavefront6targetE1EEEvT1_
		.amdhsa_group_segment_fixed_size 0
		.amdhsa_private_segment_fixed_size 0
		.amdhsa_kernarg_size 64
		.amdhsa_user_sgpr_count 2
		.amdhsa_user_sgpr_dispatch_ptr 0
		.amdhsa_user_sgpr_queue_ptr 0
		.amdhsa_user_sgpr_kernarg_segment_ptr 1
		.amdhsa_user_sgpr_dispatch_id 0
		.amdhsa_user_sgpr_kernarg_preload_length 0
		.amdhsa_user_sgpr_kernarg_preload_offset 0
		.amdhsa_user_sgpr_private_segment_size 0
		.amdhsa_uses_dynamic_stack 0
		.amdhsa_enable_private_segment 0
		.amdhsa_system_sgpr_workgroup_id_x 1
		.amdhsa_system_sgpr_workgroup_id_y 0
		.amdhsa_system_sgpr_workgroup_id_z 0
		.amdhsa_system_sgpr_workgroup_info 0
		.amdhsa_system_vgpr_workitem_id 0
		.amdhsa_next_free_vgpr 1
		.amdhsa_next_free_sgpr 0
		.amdhsa_accum_offset 4
		.amdhsa_reserve_vcc 0
		.amdhsa_float_round_mode_32 0
		.amdhsa_float_round_mode_16_64 0
		.amdhsa_float_denorm_mode_32 3
		.amdhsa_float_denorm_mode_16_64 3
		.amdhsa_dx10_clamp 1
		.amdhsa_ieee_mode 1
		.amdhsa_fp16_overflow 0
		.amdhsa_tg_split 0
		.amdhsa_exception_fp_ieee_invalid_op 0
		.amdhsa_exception_fp_denorm_src 0
		.amdhsa_exception_fp_ieee_div_zero 0
		.amdhsa_exception_fp_ieee_overflow 0
		.amdhsa_exception_fp_ieee_underflow 0
		.amdhsa_exception_fp_ieee_inexact 0
		.amdhsa_exception_int_div_zero 0
	.end_amdhsa_kernel
	.section	.text._ZN7rocprim17ROCPRIM_400000_NS6detail17trampoline_kernelINS0_14default_configENS1_35adjacent_difference_config_selectorILb0ElEEZNS1_24adjacent_difference_implIS3_Lb0ELb0EPlS7_ZN2at6native12_GLOBAL__N_124unique_dim_cuda_templateIaEESt5tupleIJNS8_6TensorESD_SD_EERKSD_lbbbEUlllE1_EE10hipError_tPvRmT2_T3_mT4_P12ihipStream_tbEUlT_E_NS1_11comp_targetILNS1_3genE0ELNS1_11target_archE4294967295ELNS1_3gpuE0ELNS1_3repE0EEENS1_30default_config_static_selectorELNS0_4arch9wavefront6targetE1EEEvT1_,"axG",@progbits,_ZN7rocprim17ROCPRIM_400000_NS6detail17trampoline_kernelINS0_14default_configENS1_35adjacent_difference_config_selectorILb0ElEEZNS1_24adjacent_difference_implIS3_Lb0ELb0EPlS7_ZN2at6native12_GLOBAL__N_124unique_dim_cuda_templateIaEESt5tupleIJNS8_6TensorESD_SD_EERKSD_lbbbEUlllE1_EE10hipError_tPvRmT2_T3_mT4_P12ihipStream_tbEUlT_E_NS1_11comp_targetILNS1_3genE0ELNS1_11target_archE4294967295ELNS1_3gpuE0ELNS1_3repE0EEENS1_30default_config_static_selectorELNS0_4arch9wavefront6targetE1EEEvT1_,comdat
.Lfunc_end296:
	.size	_ZN7rocprim17ROCPRIM_400000_NS6detail17trampoline_kernelINS0_14default_configENS1_35adjacent_difference_config_selectorILb0ElEEZNS1_24adjacent_difference_implIS3_Lb0ELb0EPlS7_ZN2at6native12_GLOBAL__N_124unique_dim_cuda_templateIaEESt5tupleIJNS8_6TensorESD_SD_EERKSD_lbbbEUlllE1_EE10hipError_tPvRmT2_T3_mT4_P12ihipStream_tbEUlT_E_NS1_11comp_targetILNS1_3genE0ELNS1_11target_archE4294967295ELNS1_3gpuE0ELNS1_3repE0EEENS1_30default_config_static_selectorELNS0_4arch9wavefront6targetE1EEEvT1_, .Lfunc_end296-_ZN7rocprim17ROCPRIM_400000_NS6detail17trampoline_kernelINS0_14default_configENS1_35adjacent_difference_config_selectorILb0ElEEZNS1_24adjacent_difference_implIS3_Lb0ELb0EPlS7_ZN2at6native12_GLOBAL__N_124unique_dim_cuda_templateIaEESt5tupleIJNS8_6TensorESD_SD_EERKSD_lbbbEUlllE1_EE10hipError_tPvRmT2_T3_mT4_P12ihipStream_tbEUlT_E_NS1_11comp_targetILNS1_3genE0ELNS1_11target_archE4294967295ELNS1_3gpuE0ELNS1_3repE0EEENS1_30default_config_static_selectorELNS0_4arch9wavefront6targetE1EEEvT1_
                                        ; -- End function
	.section	.AMDGPU.csdata,"",@progbits
; Kernel info:
; codeLenInByte = 0
; NumSgprs: 6
; NumVgprs: 0
; NumAgprs: 0
; TotalNumVgprs: 0
; ScratchSize: 0
; MemoryBound: 0
; FloatMode: 240
; IeeeMode: 1
; LDSByteSize: 0 bytes/workgroup (compile time only)
; SGPRBlocks: 0
; VGPRBlocks: 0
; NumSGPRsForWavesPerEU: 6
; NumVGPRsForWavesPerEU: 1
; AccumOffset: 4
; Occupancy: 8
; WaveLimiterHint : 0
; COMPUTE_PGM_RSRC2:SCRATCH_EN: 0
; COMPUTE_PGM_RSRC2:USER_SGPR: 2
; COMPUTE_PGM_RSRC2:TRAP_HANDLER: 0
; COMPUTE_PGM_RSRC2:TGID_X_EN: 1
; COMPUTE_PGM_RSRC2:TGID_Y_EN: 0
; COMPUTE_PGM_RSRC2:TGID_Z_EN: 0
; COMPUTE_PGM_RSRC2:TIDIG_COMP_CNT: 0
; COMPUTE_PGM_RSRC3_GFX90A:ACCUM_OFFSET: 0
; COMPUTE_PGM_RSRC3_GFX90A:TG_SPLIT: 0
	.section	.text._ZN7rocprim17ROCPRIM_400000_NS6detail17trampoline_kernelINS0_14default_configENS1_35adjacent_difference_config_selectorILb0ElEEZNS1_24adjacent_difference_implIS3_Lb0ELb0EPlS7_ZN2at6native12_GLOBAL__N_124unique_dim_cuda_templateIaEESt5tupleIJNS8_6TensorESD_SD_EERKSD_lbbbEUlllE1_EE10hipError_tPvRmT2_T3_mT4_P12ihipStream_tbEUlT_E_NS1_11comp_targetILNS1_3genE10ELNS1_11target_archE1201ELNS1_3gpuE5ELNS1_3repE0EEENS1_30default_config_static_selectorELNS0_4arch9wavefront6targetE1EEEvT1_,"axG",@progbits,_ZN7rocprim17ROCPRIM_400000_NS6detail17trampoline_kernelINS0_14default_configENS1_35adjacent_difference_config_selectorILb0ElEEZNS1_24adjacent_difference_implIS3_Lb0ELb0EPlS7_ZN2at6native12_GLOBAL__N_124unique_dim_cuda_templateIaEESt5tupleIJNS8_6TensorESD_SD_EERKSD_lbbbEUlllE1_EE10hipError_tPvRmT2_T3_mT4_P12ihipStream_tbEUlT_E_NS1_11comp_targetILNS1_3genE10ELNS1_11target_archE1201ELNS1_3gpuE5ELNS1_3repE0EEENS1_30default_config_static_selectorELNS0_4arch9wavefront6targetE1EEEvT1_,comdat
	.globl	_ZN7rocprim17ROCPRIM_400000_NS6detail17trampoline_kernelINS0_14default_configENS1_35adjacent_difference_config_selectorILb0ElEEZNS1_24adjacent_difference_implIS3_Lb0ELb0EPlS7_ZN2at6native12_GLOBAL__N_124unique_dim_cuda_templateIaEESt5tupleIJNS8_6TensorESD_SD_EERKSD_lbbbEUlllE1_EE10hipError_tPvRmT2_T3_mT4_P12ihipStream_tbEUlT_E_NS1_11comp_targetILNS1_3genE10ELNS1_11target_archE1201ELNS1_3gpuE5ELNS1_3repE0EEENS1_30default_config_static_selectorELNS0_4arch9wavefront6targetE1EEEvT1_ ; -- Begin function _ZN7rocprim17ROCPRIM_400000_NS6detail17trampoline_kernelINS0_14default_configENS1_35adjacent_difference_config_selectorILb0ElEEZNS1_24adjacent_difference_implIS3_Lb0ELb0EPlS7_ZN2at6native12_GLOBAL__N_124unique_dim_cuda_templateIaEESt5tupleIJNS8_6TensorESD_SD_EERKSD_lbbbEUlllE1_EE10hipError_tPvRmT2_T3_mT4_P12ihipStream_tbEUlT_E_NS1_11comp_targetILNS1_3genE10ELNS1_11target_archE1201ELNS1_3gpuE5ELNS1_3repE0EEENS1_30default_config_static_selectorELNS0_4arch9wavefront6targetE1EEEvT1_
	.p2align	8
	.type	_ZN7rocprim17ROCPRIM_400000_NS6detail17trampoline_kernelINS0_14default_configENS1_35adjacent_difference_config_selectorILb0ElEEZNS1_24adjacent_difference_implIS3_Lb0ELb0EPlS7_ZN2at6native12_GLOBAL__N_124unique_dim_cuda_templateIaEESt5tupleIJNS8_6TensorESD_SD_EERKSD_lbbbEUlllE1_EE10hipError_tPvRmT2_T3_mT4_P12ihipStream_tbEUlT_E_NS1_11comp_targetILNS1_3genE10ELNS1_11target_archE1201ELNS1_3gpuE5ELNS1_3repE0EEENS1_30default_config_static_selectorELNS0_4arch9wavefront6targetE1EEEvT1_,@function
_ZN7rocprim17ROCPRIM_400000_NS6detail17trampoline_kernelINS0_14default_configENS1_35adjacent_difference_config_selectorILb0ElEEZNS1_24adjacent_difference_implIS3_Lb0ELb0EPlS7_ZN2at6native12_GLOBAL__N_124unique_dim_cuda_templateIaEESt5tupleIJNS8_6TensorESD_SD_EERKSD_lbbbEUlllE1_EE10hipError_tPvRmT2_T3_mT4_P12ihipStream_tbEUlT_E_NS1_11comp_targetILNS1_3genE10ELNS1_11target_archE1201ELNS1_3gpuE5ELNS1_3repE0EEENS1_30default_config_static_selectorELNS0_4arch9wavefront6targetE1EEEvT1_: ; @_ZN7rocprim17ROCPRIM_400000_NS6detail17trampoline_kernelINS0_14default_configENS1_35adjacent_difference_config_selectorILb0ElEEZNS1_24adjacent_difference_implIS3_Lb0ELb0EPlS7_ZN2at6native12_GLOBAL__N_124unique_dim_cuda_templateIaEESt5tupleIJNS8_6TensorESD_SD_EERKSD_lbbbEUlllE1_EE10hipError_tPvRmT2_T3_mT4_P12ihipStream_tbEUlT_E_NS1_11comp_targetILNS1_3genE10ELNS1_11target_archE1201ELNS1_3gpuE5ELNS1_3repE0EEENS1_30default_config_static_selectorELNS0_4arch9wavefront6targetE1EEEvT1_
; %bb.0:
	.section	.rodata,"a",@progbits
	.p2align	6, 0x0
	.amdhsa_kernel _ZN7rocprim17ROCPRIM_400000_NS6detail17trampoline_kernelINS0_14default_configENS1_35adjacent_difference_config_selectorILb0ElEEZNS1_24adjacent_difference_implIS3_Lb0ELb0EPlS7_ZN2at6native12_GLOBAL__N_124unique_dim_cuda_templateIaEESt5tupleIJNS8_6TensorESD_SD_EERKSD_lbbbEUlllE1_EE10hipError_tPvRmT2_T3_mT4_P12ihipStream_tbEUlT_E_NS1_11comp_targetILNS1_3genE10ELNS1_11target_archE1201ELNS1_3gpuE5ELNS1_3repE0EEENS1_30default_config_static_selectorELNS0_4arch9wavefront6targetE1EEEvT1_
		.amdhsa_group_segment_fixed_size 0
		.amdhsa_private_segment_fixed_size 0
		.amdhsa_kernarg_size 64
		.amdhsa_user_sgpr_count 2
		.amdhsa_user_sgpr_dispatch_ptr 0
		.amdhsa_user_sgpr_queue_ptr 0
		.amdhsa_user_sgpr_kernarg_segment_ptr 1
		.amdhsa_user_sgpr_dispatch_id 0
		.amdhsa_user_sgpr_kernarg_preload_length 0
		.amdhsa_user_sgpr_kernarg_preload_offset 0
		.amdhsa_user_sgpr_private_segment_size 0
		.amdhsa_uses_dynamic_stack 0
		.amdhsa_enable_private_segment 0
		.amdhsa_system_sgpr_workgroup_id_x 1
		.amdhsa_system_sgpr_workgroup_id_y 0
		.amdhsa_system_sgpr_workgroup_id_z 0
		.amdhsa_system_sgpr_workgroup_info 0
		.amdhsa_system_vgpr_workitem_id 0
		.amdhsa_next_free_vgpr 1
		.amdhsa_next_free_sgpr 0
		.amdhsa_accum_offset 4
		.amdhsa_reserve_vcc 0
		.amdhsa_float_round_mode_32 0
		.amdhsa_float_round_mode_16_64 0
		.amdhsa_float_denorm_mode_32 3
		.amdhsa_float_denorm_mode_16_64 3
		.amdhsa_dx10_clamp 1
		.amdhsa_ieee_mode 1
		.amdhsa_fp16_overflow 0
		.amdhsa_tg_split 0
		.amdhsa_exception_fp_ieee_invalid_op 0
		.amdhsa_exception_fp_denorm_src 0
		.amdhsa_exception_fp_ieee_div_zero 0
		.amdhsa_exception_fp_ieee_overflow 0
		.amdhsa_exception_fp_ieee_underflow 0
		.amdhsa_exception_fp_ieee_inexact 0
		.amdhsa_exception_int_div_zero 0
	.end_amdhsa_kernel
	.section	.text._ZN7rocprim17ROCPRIM_400000_NS6detail17trampoline_kernelINS0_14default_configENS1_35adjacent_difference_config_selectorILb0ElEEZNS1_24adjacent_difference_implIS3_Lb0ELb0EPlS7_ZN2at6native12_GLOBAL__N_124unique_dim_cuda_templateIaEESt5tupleIJNS8_6TensorESD_SD_EERKSD_lbbbEUlllE1_EE10hipError_tPvRmT2_T3_mT4_P12ihipStream_tbEUlT_E_NS1_11comp_targetILNS1_3genE10ELNS1_11target_archE1201ELNS1_3gpuE5ELNS1_3repE0EEENS1_30default_config_static_selectorELNS0_4arch9wavefront6targetE1EEEvT1_,"axG",@progbits,_ZN7rocprim17ROCPRIM_400000_NS6detail17trampoline_kernelINS0_14default_configENS1_35adjacent_difference_config_selectorILb0ElEEZNS1_24adjacent_difference_implIS3_Lb0ELb0EPlS7_ZN2at6native12_GLOBAL__N_124unique_dim_cuda_templateIaEESt5tupleIJNS8_6TensorESD_SD_EERKSD_lbbbEUlllE1_EE10hipError_tPvRmT2_T3_mT4_P12ihipStream_tbEUlT_E_NS1_11comp_targetILNS1_3genE10ELNS1_11target_archE1201ELNS1_3gpuE5ELNS1_3repE0EEENS1_30default_config_static_selectorELNS0_4arch9wavefront6targetE1EEEvT1_,comdat
.Lfunc_end297:
	.size	_ZN7rocprim17ROCPRIM_400000_NS6detail17trampoline_kernelINS0_14default_configENS1_35adjacent_difference_config_selectorILb0ElEEZNS1_24adjacent_difference_implIS3_Lb0ELb0EPlS7_ZN2at6native12_GLOBAL__N_124unique_dim_cuda_templateIaEESt5tupleIJNS8_6TensorESD_SD_EERKSD_lbbbEUlllE1_EE10hipError_tPvRmT2_T3_mT4_P12ihipStream_tbEUlT_E_NS1_11comp_targetILNS1_3genE10ELNS1_11target_archE1201ELNS1_3gpuE5ELNS1_3repE0EEENS1_30default_config_static_selectorELNS0_4arch9wavefront6targetE1EEEvT1_, .Lfunc_end297-_ZN7rocprim17ROCPRIM_400000_NS6detail17trampoline_kernelINS0_14default_configENS1_35adjacent_difference_config_selectorILb0ElEEZNS1_24adjacent_difference_implIS3_Lb0ELb0EPlS7_ZN2at6native12_GLOBAL__N_124unique_dim_cuda_templateIaEESt5tupleIJNS8_6TensorESD_SD_EERKSD_lbbbEUlllE1_EE10hipError_tPvRmT2_T3_mT4_P12ihipStream_tbEUlT_E_NS1_11comp_targetILNS1_3genE10ELNS1_11target_archE1201ELNS1_3gpuE5ELNS1_3repE0EEENS1_30default_config_static_selectorELNS0_4arch9wavefront6targetE1EEEvT1_
                                        ; -- End function
	.section	.AMDGPU.csdata,"",@progbits
; Kernel info:
; codeLenInByte = 0
; NumSgprs: 6
; NumVgprs: 0
; NumAgprs: 0
; TotalNumVgprs: 0
; ScratchSize: 0
; MemoryBound: 0
; FloatMode: 240
; IeeeMode: 1
; LDSByteSize: 0 bytes/workgroup (compile time only)
; SGPRBlocks: 0
; VGPRBlocks: 0
; NumSGPRsForWavesPerEU: 6
; NumVGPRsForWavesPerEU: 1
; AccumOffset: 4
; Occupancy: 8
; WaveLimiterHint : 0
; COMPUTE_PGM_RSRC2:SCRATCH_EN: 0
; COMPUTE_PGM_RSRC2:USER_SGPR: 2
; COMPUTE_PGM_RSRC2:TRAP_HANDLER: 0
; COMPUTE_PGM_RSRC2:TGID_X_EN: 1
; COMPUTE_PGM_RSRC2:TGID_Y_EN: 0
; COMPUTE_PGM_RSRC2:TGID_Z_EN: 0
; COMPUTE_PGM_RSRC2:TIDIG_COMP_CNT: 0
; COMPUTE_PGM_RSRC3_GFX90A:ACCUM_OFFSET: 0
; COMPUTE_PGM_RSRC3_GFX90A:TG_SPLIT: 0
	.section	.text._ZN7rocprim17ROCPRIM_400000_NS6detail17trampoline_kernelINS0_14default_configENS1_35adjacent_difference_config_selectorILb0ElEEZNS1_24adjacent_difference_implIS3_Lb0ELb0EPlS7_ZN2at6native12_GLOBAL__N_124unique_dim_cuda_templateIaEESt5tupleIJNS8_6TensorESD_SD_EERKSD_lbbbEUlllE1_EE10hipError_tPvRmT2_T3_mT4_P12ihipStream_tbEUlT_E_NS1_11comp_targetILNS1_3genE5ELNS1_11target_archE942ELNS1_3gpuE9ELNS1_3repE0EEENS1_30default_config_static_selectorELNS0_4arch9wavefront6targetE1EEEvT1_,"axG",@progbits,_ZN7rocprim17ROCPRIM_400000_NS6detail17trampoline_kernelINS0_14default_configENS1_35adjacent_difference_config_selectorILb0ElEEZNS1_24adjacent_difference_implIS3_Lb0ELb0EPlS7_ZN2at6native12_GLOBAL__N_124unique_dim_cuda_templateIaEESt5tupleIJNS8_6TensorESD_SD_EERKSD_lbbbEUlllE1_EE10hipError_tPvRmT2_T3_mT4_P12ihipStream_tbEUlT_E_NS1_11comp_targetILNS1_3genE5ELNS1_11target_archE942ELNS1_3gpuE9ELNS1_3repE0EEENS1_30default_config_static_selectorELNS0_4arch9wavefront6targetE1EEEvT1_,comdat
	.globl	_ZN7rocprim17ROCPRIM_400000_NS6detail17trampoline_kernelINS0_14default_configENS1_35adjacent_difference_config_selectorILb0ElEEZNS1_24adjacent_difference_implIS3_Lb0ELb0EPlS7_ZN2at6native12_GLOBAL__N_124unique_dim_cuda_templateIaEESt5tupleIJNS8_6TensorESD_SD_EERKSD_lbbbEUlllE1_EE10hipError_tPvRmT2_T3_mT4_P12ihipStream_tbEUlT_E_NS1_11comp_targetILNS1_3genE5ELNS1_11target_archE942ELNS1_3gpuE9ELNS1_3repE0EEENS1_30default_config_static_selectorELNS0_4arch9wavefront6targetE1EEEvT1_ ; -- Begin function _ZN7rocprim17ROCPRIM_400000_NS6detail17trampoline_kernelINS0_14default_configENS1_35adjacent_difference_config_selectorILb0ElEEZNS1_24adjacent_difference_implIS3_Lb0ELb0EPlS7_ZN2at6native12_GLOBAL__N_124unique_dim_cuda_templateIaEESt5tupleIJNS8_6TensorESD_SD_EERKSD_lbbbEUlllE1_EE10hipError_tPvRmT2_T3_mT4_P12ihipStream_tbEUlT_E_NS1_11comp_targetILNS1_3genE5ELNS1_11target_archE942ELNS1_3gpuE9ELNS1_3repE0EEENS1_30default_config_static_selectorELNS0_4arch9wavefront6targetE1EEEvT1_
	.p2align	8
	.type	_ZN7rocprim17ROCPRIM_400000_NS6detail17trampoline_kernelINS0_14default_configENS1_35adjacent_difference_config_selectorILb0ElEEZNS1_24adjacent_difference_implIS3_Lb0ELb0EPlS7_ZN2at6native12_GLOBAL__N_124unique_dim_cuda_templateIaEESt5tupleIJNS8_6TensorESD_SD_EERKSD_lbbbEUlllE1_EE10hipError_tPvRmT2_T3_mT4_P12ihipStream_tbEUlT_E_NS1_11comp_targetILNS1_3genE5ELNS1_11target_archE942ELNS1_3gpuE9ELNS1_3repE0EEENS1_30default_config_static_selectorELNS0_4arch9wavefront6targetE1EEEvT1_,@function
_ZN7rocprim17ROCPRIM_400000_NS6detail17trampoline_kernelINS0_14default_configENS1_35adjacent_difference_config_selectorILb0ElEEZNS1_24adjacent_difference_implIS3_Lb0ELb0EPlS7_ZN2at6native12_GLOBAL__N_124unique_dim_cuda_templateIaEESt5tupleIJNS8_6TensorESD_SD_EERKSD_lbbbEUlllE1_EE10hipError_tPvRmT2_T3_mT4_P12ihipStream_tbEUlT_E_NS1_11comp_targetILNS1_3genE5ELNS1_11target_archE942ELNS1_3gpuE9ELNS1_3repE0EEENS1_30default_config_static_selectorELNS0_4arch9wavefront6targetE1EEEvT1_: ; @_ZN7rocprim17ROCPRIM_400000_NS6detail17trampoline_kernelINS0_14default_configENS1_35adjacent_difference_config_selectorILb0ElEEZNS1_24adjacent_difference_implIS3_Lb0ELb0EPlS7_ZN2at6native12_GLOBAL__N_124unique_dim_cuda_templateIaEESt5tupleIJNS8_6TensorESD_SD_EERKSD_lbbbEUlllE1_EE10hipError_tPvRmT2_T3_mT4_P12ihipStream_tbEUlT_E_NS1_11comp_targetILNS1_3genE5ELNS1_11target_archE942ELNS1_3gpuE9ELNS1_3repE0EEENS1_30default_config_static_selectorELNS0_4arch9wavefront6targetE1EEEvT1_
; %bb.0:
	s_load_dwordx8 s[4:11], s[0:1], 0x0
	s_load_dwordx4 s[12:15], s[0:1], 0x20
	s_load_dwordx2 s[18:19], s[0:1], 0x38
	s_mov_b32 s1, 0xcec4e8e0
	v_bfrev_b32_e32 v1, 1
	s_waitcnt lgkmcnt(0)
	s_lshl_b64 s[16:17], s[6:7], 3
	s_add_u32 s24, s4, s16
	s_addc_u32 s25, s5, s17
	s_add_u32 s1, 0x150, s1
	s_addc_u32 s3, 0, 0
	v_add_co_u32_e32 v1, vcc, s1, v1
	s_cmp_lg_u64 vcc, 0
	v_readfirstlane_b32 s4, v1
	s_addc_u32 s1, s3, 0x4ec4eb
	s_mul_hi_u32 s5, s4, 0xfffffcc0
	s_mul_i32 s3, s1, 0xfffffcc0
	s_sub_i32 s5, s5, s4
	s_add_i32 s5, s5, s3
	s_mul_i32 s21, s4, 0xfffffcc0
	s_mul_hi_u32 s3, s4, s5
	s_mul_i32 s20, s4, s5
	s_mul_hi_u32 s4, s4, s21
	s_add_u32 s4, s4, s20
	s_addc_u32 s3, 0, s3
	s_mul_hi_u32 s22, s1, s21
	s_mul_i32 s21, s1, s21
	s_add_u32 s4, s4, s21
	s_mul_hi_u32 s20, s1, s5
	s_addc_u32 s3, s3, s22
	s_addc_u32 s4, s20, 0
	s_mul_i32 s5, s1, s5
	s_add_u32 s3, s3, s5
	s_addc_u32 s4, 0, s4
	v_add_co_u32_e32 v1, vcc, s3, v1
	s_cmp_lg_u64 vcc, 0
	s_addc_u32 s1, s1, s4
	v_readfirstlane_b32 s5, v1
	s_mul_i32 s4, s10, s1
	s_mul_hi_u32 s20, s10, s5
	s_mul_hi_u32 s3, s10, s1
	s_add_u32 s4, s20, s4
	s_addc_u32 s3, 0, s3
	s_mul_hi_u32 s21, s11, s5
	s_mul_i32 s5, s11, s5
	s_add_u32 s4, s4, s5
	s_mul_hi_u32 s20, s11, s1
	s_addc_u32 s3, s3, s21
	s_addc_u32 s4, s20, 0
	s_mul_i32 s1, s11, s1
	s_add_u32 s1, s3, s1
	s_addc_u32 s3, 0, s4
	s_add_u32 s4, s1, 1
	s_addc_u32 s5, s3, 0
	s_add_u32 s20, s1, 2
	s_mul_i32 s22, s3, 0x340
	s_mul_hi_u32 s23, s1, 0x340
	s_addc_u32 s21, s3, 0
	s_add_i32 s23, s23, s22
	s_mul_i32 s22, s1, 0x340
	v_mov_b32_e32 v1, s22
	v_sub_co_u32_e32 v1, vcc, s10, v1
	s_movk_i32 s0, 0x340
	s_cmp_lg_u64 vcc, 0
	s_subb_u32 s22, s11, s23
	v_subrev_co_u32_e32 v2, vcc, s0, v1
	s_cmp_lg_u64 vcc, 0
	s_subb_u32 s0, s22, 0
	v_readfirstlane_b32 s23, v2
	s_cmpk_gt_u32 s23, 0x33f
	s_cselect_b32 s23, -1, 0
	s_cmp_eq_u32 s0, 0
	s_cselect_b32 s0, s23, -1
	s_cmp_lg_u32 s0, 0
	s_cselect_b32 s0, s20, s4
	s_cselect_b32 s4, s21, s5
	v_readfirstlane_b32 s5, v1
	s_cmpk_gt_u32 s5, 0x33f
	s_cselect_b32 s5, -1, 0
	s_cmp_eq_u32 s22, 0
	s_cselect_b32 s5, s5, -1
	s_cmp_lg_u32 s5, 0
	s_cselect_b32 s3, s4, s3
	s_cselect_b32 s4, s0, s1
	s_mul_i32 s0, s3, 0x340
	s_mul_hi_u32 s1, s4, 0x340
	s_add_i32 s1, s1, s0
	s_mul_i32 s0, s4, 0x340
	s_sub_u32 s0, s10, s0
	s_subb_u32 s1, s11, s1
	s_cmp_lg_u64 s[0:1], 0
	s_cselect_b64 s[0:1], -1, 0
	v_cndmask_b32_e64 v1, 0, 1, s[0:1]
	s_mul_i32 s6, s2, 0x340
	v_readfirstlane_b32 s0, v1
	s_add_u32 s4, s4, s0
	s_addc_u32 s5, s3, 0
	s_add_u32 s22, s18, s2
	s_addc_u32 s23, s19, 0
	s_add_u32 s2, s4, -1
	s_addc_u32 s3, s5, -1
	v_mov_b64_e32 v[2:3], s[2:3]
	v_cmp_ge_u64_e64 s[0:1], s[22:23], v[2:3]
	s_mov_b32 s7, 0
	s_mov_b64 s[18:19], -1
	s_and_b64 vcc, exec, s[0:1]
	s_mul_i32 s11, s2, 0xfffffcc0
	s_cbranch_vccz .LBB298_28
; %bb.1:
	s_add_i32 s26, s11, s10
	s_lshl_b64 s[18:19], s[6:7], 3
	s_add_u32 s18, s24, s18
	s_addc_u32 s19, s25, s19
	v_cmp_gt_u32_e32 vcc, s26, v0
                                        ; implicit-def: $vgpr2_vgpr3_vgpr4_vgpr5_vgpr6_vgpr7_vgpr8_vgpr9_vgpr10_vgpr11_vgpr12_vgpr13_vgpr14_vgpr15_vgpr16_vgpr17_vgpr18_vgpr19_vgpr20_vgpr21_vgpr22_vgpr23_vgpr24_vgpr25_vgpr26_vgpr27_vgpr28_vgpr29_vgpr30_vgpr31_vgpr32_vgpr33
	s_and_saveexec_b64 s[20:21], vcc
	s_cbranch_execz .LBB298_3
; %bb.2:
	v_lshlrev_b32_e32 v1, 3, v0
	global_load_dwordx2 v[2:3], v1, s[18:19]
.LBB298_3:
	s_or_b64 exec, exec, s[20:21]
	v_or_b32_e32 v1, 64, v0
	v_cmp_gt_u32_e32 vcc, s26, v1
	s_and_saveexec_b64 s[20:21], vcc
	s_cbranch_execz .LBB298_5
; %bb.4:
	v_lshlrev_b32_e32 v1, 3, v0
	global_load_dwordx2 v[4:5], v1, s[18:19] offset:512
.LBB298_5:
	s_or_b64 exec, exec, s[20:21]
	v_or_b32_e32 v1, 0x80, v0
	v_cmp_gt_u32_e32 vcc, s26, v1
	s_and_saveexec_b64 s[20:21], vcc
	s_cbranch_execz .LBB298_7
; %bb.6:
	v_lshlrev_b32_e32 v1, 3, v0
	global_load_dwordx2 v[6:7], v1, s[18:19] offset:1024
.LBB298_7:
	s_or_b64 exec, exec, s[20:21]
	v_or_b32_e32 v1, 0xc0, v0
	v_cmp_gt_u32_e32 vcc, s26, v1
	s_and_saveexec_b64 s[20:21], vcc
	s_cbranch_execz .LBB298_9
; %bb.8:
	v_lshlrev_b32_e32 v1, 3, v0
	global_load_dwordx2 v[8:9], v1, s[18:19] offset:1536
.LBB298_9:
	s_or_b64 exec, exec, s[20:21]
	v_or_b32_e32 v1, 0x100, v0
	v_cmp_gt_u32_e32 vcc, s26, v1
	s_and_saveexec_b64 s[20:21], vcc
	s_cbranch_execz .LBB298_11
; %bb.10:
	v_lshlrev_b32_e32 v1, 3, v0
	global_load_dwordx2 v[10:11], v1, s[18:19] offset:2048
.LBB298_11:
	s_or_b64 exec, exec, s[20:21]
	v_or_b32_e32 v1, 0x140, v0
	v_cmp_gt_u32_e32 vcc, s26, v1
	s_and_saveexec_b64 s[20:21], vcc
	s_cbranch_execz .LBB298_13
; %bb.12:
	v_lshlrev_b32_e32 v1, 3, v0
	global_load_dwordx2 v[12:13], v1, s[18:19] offset:2560
.LBB298_13:
	s_or_b64 exec, exec, s[20:21]
	v_or_b32_e32 v1, 0x180, v0
	v_cmp_gt_u32_e32 vcc, s26, v1
	s_and_saveexec_b64 s[20:21], vcc
	s_cbranch_execz .LBB298_15
; %bb.14:
	v_lshlrev_b32_e32 v1, 3, v0
	global_load_dwordx2 v[14:15], v1, s[18:19] offset:3072
.LBB298_15:
	s_or_b64 exec, exec, s[20:21]
	v_or_b32_e32 v1, 0x1c0, v0
	v_cmp_gt_u32_e32 vcc, s26, v1
	s_and_saveexec_b64 s[20:21], vcc
	s_cbranch_execz .LBB298_17
; %bb.16:
	v_lshlrev_b32_e32 v1, 3, v0
	global_load_dwordx2 v[16:17], v1, s[18:19] offset:3584
.LBB298_17:
	s_or_b64 exec, exec, s[20:21]
	v_or_b32_e32 v1, 0x200, v0
	v_cmp_gt_u32_e32 vcc, s26, v1
	s_and_saveexec_b64 s[20:21], vcc
	s_cbranch_execz .LBB298_19
; %bb.18:
	v_lshlrev_b32_e32 v1, 3, v1
	global_load_dwordx2 v[18:19], v1, s[18:19]
.LBB298_19:
	s_or_b64 exec, exec, s[20:21]
	v_or_b32_e32 v1, 0x240, v0
	v_cmp_gt_u32_e32 vcc, s26, v1
	s_and_saveexec_b64 s[20:21], vcc
	s_cbranch_execz .LBB298_21
; %bb.20:
	v_lshlrev_b32_e32 v1, 3, v1
	global_load_dwordx2 v[20:21], v1, s[18:19]
.LBB298_21:
	;; [unrolled: 9-line block ×5, first 2 shown]
	s_or_b64 exec, exec, s[20:21]
	v_lshlrev_b32_e32 v1, 3, v0
	s_mov_b64 s[18:19], 0
	s_waitcnt vmcnt(0)
	ds_write2st64_b64 v1, v[2:3], v[4:5] offset1:1
	ds_write2st64_b64 v1, v[6:7], v[8:9] offset0:2 offset1:3
	ds_write2st64_b64 v1, v[10:11], v[12:13] offset0:4 offset1:5
	;; [unrolled: 1-line block ×5, first 2 shown]
	ds_write_b64 v1, v[26:27] offset:6144
	s_waitcnt lgkmcnt(0)
	; wave barrier
.LBB298_28:
	s_and_b64 vcc, exec, s[18:19]
	v_lshlrev_b32_e32 v48, 3, v0
	s_cbranch_vccz .LBB298_30
; %bb.29:
	s_lshl_b64 s[18:19], s[6:7], 3
	s_add_u32 s18, s24, s18
	s_addc_u32 s19, s25, s19
	v_mov_b32_e32 v49, 0
	v_lshl_add_u64 v[2:3], s[18:19], 0, v[48:49]
	s_movk_i32 s7, 0x1000
	v_add_co_u32_e32 v2, vcc, s7, v2
	global_load_dwordx2 v[4:5], v48, s[18:19]
	global_load_dwordx2 v[6:7], v48, s[18:19] offset:512
	global_load_dwordx2 v[8:9], v48, s[18:19] offset:1024
	;; [unrolled: 1-line block ×7, first 2 shown]
	v_addc_co_u32_e32 v3, vcc, 0, v3, vcc
	global_load_dwordx2 v[20:21], v[2:3], off
	global_load_dwordx2 v[22:23], v[2:3], off offset:512
	global_load_dwordx2 v[24:25], v[2:3], off offset:1024
	;; [unrolled: 1-line block ×4, first 2 shown]
	s_waitcnt vmcnt(11)
	ds_write2st64_b64 v48, v[4:5], v[6:7] offset1:1
	s_waitcnt vmcnt(9)
	ds_write2st64_b64 v48, v[8:9], v[10:11] offset0:2 offset1:3
	s_waitcnt vmcnt(7)
	ds_write2st64_b64 v48, v[12:13], v[14:15] offset0:4 offset1:5
	s_waitcnt vmcnt(5)
	ds_write2st64_b64 v48, v[16:17], v[18:19] offset0:6 offset1:7
	s_waitcnt vmcnt(3)
	ds_write2st64_b64 v48, v[20:21], v[22:23] offset0:8 offset1:9
	s_waitcnt vmcnt(1)
	ds_write2st64_b64 v48, v[24:25], v[26:27] offset0:10 offset1:11
	s_waitcnt vmcnt(0)
	ds_write_b64 v48, v[28:29] offset:6144
	s_waitcnt lgkmcnt(0)
	; wave barrier
.LBB298_30:
	v_mul_u32_u24_e32 v1, 13, v0
	v_lshlrev_b32_e32 v1, 3, v1
	s_waitcnt lgkmcnt(0)
	ds_read2_b64 v[2:5], v1 offset1:1
	ds_read2_b64 v[6:9], v1 offset0:2 offset1:3
	ds_read2_b64 v[10:13], v1 offset0:4 offset1:5
	;; [unrolled: 1-line block ×5, first 2 shown]
	ds_read_b64 v[44:45], v1 offset:96
	s_cmp_eq_u64 s[22:23], 0
	s_mov_b64 s[18:19], 0
	s_waitcnt lgkmcnt(0)
	; wave barrier
	s_waitcnt lgkmcnt(0)
	s_cbranch_scc1 .LBB298_39
; %bb.31:
	s_mov_b32 s7, 0
	s_lshl_b64 s[20:21], s[6:7], 3
	s_add_u32 s7, s24, s20
	s_addc_u32 s21, s25, s21
	s_add_u32 s20, s7, -8
	s_addc_u32 s21, s21, -1
	s_load_dwordx2 s[20:21], s[20:21], 0x0
	s_cmp_lg_u64 s[22:23], s[2:3]
	s_cbranch_scc0 .LBB298_40
; %bb.32:
	v_mul_lo_u32 v1, v25, s12
	v_mul_lo_u32 v28, v24, s13
	v_mad_u64_u32 v[26:27], s[24:25], v24, s12, 0
	v_mov_b64_e32 v[46:47], 0
	v_cmp_lt_i64_e64 s[2:3], s[12:13], 1
	v_add3_u32 v27, v27, v28, v1
	v_cmp_gt_i64_e64 s[18:19], s[12:13], 0
	s_and_b64 vcc, exec, s[2:3]
	v_lshl_add_u64 v[26:27], s[14:15], 0, v[26:27]
	v_mov_b64_e32 v[50:51], v[46:47]
	ds_write_b64 v48, v[44:45]
	s_cbranch_vccnz .LBB298_44
; %bb.33:
	v_mov_b64_e32 v[28:29], s[14:15]
	v_mad_u64_u32 v[28:29], s[2:3], v44, s12, v[28:29]
	v_mul_lo_u32 v1, v44, s13
	v_mul_lo_u32 v30, v45, s12
	v_add3_u32 v29, v30, v29, v1
	global_load_ubyte v1, v[28:29], off
	global_load_ubyte v30, v[26:27], off
	v_mov_b64_e32 v[50:51], 1
	s_waitcnt vmcnt(0)
	v_cmp_eq_u16_e32 vcc, v1, v30
	s_and_saveexec_b64 s[2:3], vcc
	s_cbranch_execz .LBB298_43
; %bb.34:
	s_mov_b64 s[28:29], 1
	s_mov_b64 s[24:25], 0
                                        ; implicit-def: $sgpr26_sgpr27
	s_branch .LBB298_37
.LBB298_35:                             ;   in Loop: Header=BB298_37 Depth=1
	v_lshl_add_u64 v[30:31], v[28:29], 0, s[28:29]
	v_lshl_add_u64 v[32:33], v[26:27], 0, s[28:29]
	global_load_ubyte v1, v[30:31], off
	global_load_ubyte v34, v[32:33], off
	s_add_u32 s30, s28, 1
	s_addc_u32 s31, s29, 0
	s_andn2_b64 s[26:27], s[26:27], exec
	s_waitcnt vmcnt(0)
	v_cmp_ne_u16_e32 vcc, v1, v34
	s_and_b64 s[34:35], vcc, exec
	s_or_b64 s[26:27], s[26:27], s[34:35]
.LBB298_36:                             ;   in Loop: Header=BB298_37 Depth=1
	s_and_b64 s[34:35], exec, s[26:27]
	s_or_b64 s[24:25], s[34:35], s[24:25]
	v_mov_b64_e32 v[30:31], s[28:29]
	s_mov_b64 s[28:29], s[30:31]
	s_andn2_b64 exec, exec, s[24:25]
	s_cbranch_execz .LBB298_42
.LBB298_37:                             ; =>This Inner Loop Header: Depth=1
	s_or_b64 s[26:27], s[26:27], exec
	s_cmp_eq_u64 s[12:13], s[28:29]
	s_cbranch_scc0 .LBB298_35
; %bb.38:                               ;   in Loop: Header=BB298_37 Depth=1
                                        ; implicit-def: $sgpr30_sgpr31
	s_mov_b64 s[28:29], s[12:13]
	s_branch .LBB298_36
.LBB298_39:
                                        ; implicit-def: $vgpr26_vgpr27_vgpr28_vgpr29
                                        ; implicit-def: $sgpr24_sgpr25
                                        ; implicit-def: $vgpr50_vgpr51
                                        ; implicit-def: $vgpr52_vgpr53
                                        ; implicit-def: $vgpr46_vgpr47
                                        ; implicit-def: $vgpr70_vgpr71
                                        ; implicit-def: $vgpr68_vgpr69
                                        ; implicit-def: $vgpr66_vgpr67
                                        ; implicit-def: $vgpr64_vgpr65
                                        ; implicit-def: $vgpr62_vgpr63
                                        ; implicit-def: $vgpr60_vgpr61
                                        ; implicit-def: $vgpr58_vgpr59
                                        ; implicit-def: $vgpr56_vgpr57
                                        ; implicit-def: $vgpr54_vgpr55
                                        ; implicit-def: $vgpr72_vgpr73
                                        ; implicit-def: $vgpr82_vgpr83
                                        ; implicit-def: $vgpr74_vgpr75
                                        ; implicit-def: $vgpr76_vgpr77
                                        ; implicit-def: $vgpr78_vgpr79
                                        ; implicit-def: $vgpr80_vgpr81
                                        ; implicit-def: $vgpr28_vgpr29_vgpr30_vgpr31
                                        ; implicit-def: $vgpr32_vgpr33_vgpr34_vgpr35
                                        ; implicit-def: $vgpr36_vgpr37_vgpr38_vgpr39
                                        ; implicit-def: $vgpr40_vgpr41_vgpr42_vgpr43
	s_cbranch_execnz .LBB298_303
	s_branch .LBB298_572
.LBB298_40:
                                        ; implicit-def: $sgpr24_sgpr25
                                        ; implicit-def: $vgpr50_vgpr51
                                        ; implicit-def: $vgpr52_vgpr53
                                        ; implicit-def: $vgpr46_vgpr47
                                        ; implicit-def: $vgpr70_vgpr71
                                        ; implicit-def: $vgpr68_vgpr69
                                        ; implicit-def: $vgpr66_vgpr67
                                        ; implicit-def: $vgpr64_vgpr65
                                        ; implicit-def: $vgpr62_vgpr63
                                        ; implicit-def: $vgpr60_vgpr61
                                        ; implicit-def: $vgpr58_vgpr59
                                        ; implicit-def: $vgpr56_vgpr57
                                        ; implicit-def: $vgpr54_vgpr55
	s_cbranch_execnz .LBB298_156
.LBB298_41:
                                        ; implicit-def: $vgpr26_vgpr27_vgpr28_vgpr29
                                        ; implicit-def: $vgpr72_vgpr73
                                        ; implicit-def: $vgpr82_vgpr83
                                        ; implicit-def: $vgpr74_vgpr75
                                        ; implicit-def: $vgpr76_vgpr77
                                        ; implicit-def: $vgpr78_vgpr79
                                        ; implicit-def: $vgpr80_vgpr81
                                        ; implicit-def: $vgpr32_vgpr33_vgpr34_vgpr35
                                        ; implicit-def: $vgpr36_vgpr37_vgpr38_vgpr39
                                        ; implicit-def: $vgpr40_vgpr41_vgpr42_vgpr43
                                        ; implicit-def: $vgpr28_vgpr29_vgpr30_vgpr31
	s_branch .LBB298_572
.LBB298_42:
	s_or_b64 exec, exec, s[24:25]
	v_cmp_gt_i64_e32 vcc, s[12:13], v[30:31]
	s_mov_b32 s7, 0
	v_mov_b32_e32 v51, s7
	v_cndmask_b32_e64 v50, 0, 1, vcc
.LBB298_43:
	s_or_b64 exec, exec, s[2:3]
.LBB298_44:
	v_mul_lo_u32 v1, v23, s12
	v_mul_lo_u32 v30, v22, s13
	v_mad_u64_u32 v[28:29], s[2:3], v22, s12, 0
	v_add3_u32 v29, v29, v30, v1
	v_cndmask_b32_e64 v1, 0, 1, s[18:19]
	v_cmp_ne_u32_e64 s[2:3], 1, v1
	s_andn2_b64 vcc, exec, s[18:19]
	v_lshl_add_u64 v[28:29], s[14:15], 0, v[28:29]
	v_mov_b64_e32 v[52:53], v[46:47]
	s_cbranch_vccnz .LBB298_53
; %bb.45:
	global_load_ubyte v1, v[26:27], off
	global_load_ubyte v30, v[28:29], off
	v_mov_b64_e32 v[52:53], 1
	s_waitcnt vmcnt(0)
	v_cmp_eq_u16_e32 vcc, v1, v30
	s_and_saveexec_b64 s[18:19], vcc
	s_cbranch_execz .LBB298_52
; %bb.46:
	s_mov_b64 s[28:29], 1
	s_mov_b64 s[24:25], 0
                                        ; implicit-def: $sgpr26_sgpr27
	s_branch .LBB298_49
.LBB298_47:                             ;   in Loop: Header=BB298_49 Depth=1
	v_lshl_add_u64 v[30:31], v[26:27], 0, s[28:29]
	v_lshl_add_u64 v[32:33], v[28:29], 0, s[28:29]
	global_load_ubyte v1, v[30:31], off
	global_load_ubyte v34, v[32:33], off
	s_add_u32 s30, s28, 1
	s_addc_u32 s31, s29, 0
	s_andn2_b64 s[26:27], s[26:27], exec
	s_waitcnt vmcnt(0)
	v_cmp_ne_u16_e32 vcc, v1, v34
	s_and_b64 s[34:35], vcc, exec
	s_or_b64 s[26:27], s[26:27], s[34:35]
.LBB298_48:                             ;   in Loop: Header=BB298_49 Depth=1
	s_and_b64 s[34:35], exec, s[26:27]
	s_or_b64 s[24:25], s[34:35], s[24:25]
	v_mov_b64_e32 v[30:31], s[28:29]
	s_mov_b64 s[28:29], s[30:31]
	s_andn2_b64 exec, exec, s[24:25]
	s_cbranch_execz .LBB298_51
.LBB298_49:                             ; =>This Inner Loop Header: Depth=1
	s_or_b64 s[26:27], s[26:27], exec
	s_cmp_eq_u64 s[12:13], s[28:29]
	s_cbranch_scc0 .LBB298_47
; %bb.50:                               ;   in Loop: Header=BB298_49 Depth=1
                                        ; implicit-def: $sgpr30_sgpr31
	s_mov_b64 s[28:29], s[12:13]
	s_branch .LBB298_48
.LBB298_51:
	s_or_b64 exec, exec, s[24:25]
	v_cmp_gt_i64_e32 vcc, s[12:13], v[30:31]
	s_mov_b32 s7, 0
	v_mov_b32_e32 v53, s7
	v_cndmask_b32_e64 v52, 0, 1, vcc
.LBB298_52:
	s_or_b64 exec, exec, s[18:19]
.LBB298_53:
	v_mul_lo_u32 v1, v21, s12
	v_mul_lo_u32 v30, v20, s13
	v_mad_u64_u32 v[26:27], s[18:19], v20, s12, 0
	v_add3_u32 v27, v27, v30, v1
	s_and_b64 vcc, exec, s[2:3]
	v_lshl_add_u64 v[26:27], s[14:15], 0, v[26:27]
	s_cbranch_vccnz .LBB298_62
; %bb.54:
	global_load_ubyte v1, v[28:29], off
	global_load_ubyte v30, v[26:27], off
	v_mov_b64_e32 v[46:47], 1
	s_waitcnt vmcnt(0)
	v_cmp_eq_u16_e32 vcc, v1, v30
	s_and_saveexec_b64 s[18:19], vcc
	s_cbranch_execz .LBB298_61
; %bb.55:
	s_mov_b64 s[28:29], 1
	s_mov_b64 s[24:25], 0
                                        ; implicit-def: $sgpr26_sgpr27
	s_branch .LBB298_58
.LBB298_56:                             ;   in Loop: Header=BB298_58 Depth=1
	v_lshl_add_u64 v[30:31], v[28:29], 0, s[28:29]
	v_lshl_add_u64 v[32:33], v[26:27], 0, s[28:29]
	global_load_ubyte v1, v[30:31], off
	global_load_ubyte v34, v[32:33], off
	s_add_u32 s30, s28, 1
	s_addc_u32 s31, s29, 0
	s_andn2_b64 s[26:27], s[26:27], exec
	s_waitcnt vmcnt(0)
	v_cmp_ne_u16_e32 vcc, v1, v34
	s_and_b64 s[34:35], vcc, exec
	s_or_b64 s[26:27], s[26:27], s[34:35]
.LBB298_57:                             ;   in Loop: Header=BB298_58 Depth=1
	s_and_b64 s[34:35], exec, s[26:27]
	s_or_b64 s[24:25], s[34:35], s[24:25]
	v_mov_b64_e32 v[30:31], s[28:29]
	s_mov_b64 s[28:29], s[30:31]
	s_andn2_b64 exec, exec, s[24:25]
	s_cbranch_execz .LBB298_60
.LBB298_58:                             ; =>This Inner Loop Header: Depth=1
	s_or_b64 s[26:27], s[26:27], exec
	s_cmp_eq_u64 s[12:13], s[28:29]
	s_cbranch_scc0 .LBB298_56
; %bb.59:                               ;   in Loop: Header=BB298_58 Depth=1
                                        ; implicit-def: $sgpr30_sgpr31
	s_mov_b64 s[28:29], s[12:13]
	s_branch .LBB298_57
.LBB298_60:
	s_or_b64 exec, exec, s[24:25]
	v_cmp_gt_i64_e32 vcc, s[12:13], v[30:31]
	s_mov_b32 s7, 0
	v_mov_b32_e32 v47, s7
	v_cndmask_b32_e64 v46, 0, 1, vcc
.LBB298_61:
	s_or_b64 exec, exec, s[18:19]
.LBB298_62:
	v_mul_lo_u32 v1, v19, s12
	v_mul_lo_u32 v30, v18, s13
	v_mad_u64_u32 v[28:29], s[18:19], v18, s12, 0
	v_add3_u32 v29, v29, v30, v1
	v_mov_b64_e32 v[56:57], 0
	s_and_b64 vcc, exec, s[2:3]
	v_lshl_add_u64 v[28:29], s[14:15], 0, v[28:29]
	v_mov_b64_e32 v[54:55], v[56:57]
	s_cbranch_vccnz .LBB298_71
; %bb.63:
	global_load_ubyte v1, v[26:27], off
	global_load_ubyte v30, v[28:29], off
	v_mov_b64_e32 v[54:55], 1
	s_waitcnt vmcnt(0)
	v_cmp_eq_u16_e32 vcc, v1, v30
	s_and_saveexec_b64 s[18:19], vcc
	s_cbranch_execz .LBB298_70
; %bb.64:
	s_mov_b64 s[28:29], 1
	s_mov_b64 s[24:25], 0
                                        ; implicit-def: $sgpr26_sgpr27
	s_branch .LBB298_67
.LBB298_65:                             ;   in Loop: Header=BB298_67 Depth=1
	v_lshl_add_u64 v[30:31], v[26:27], 0, s[28:29]
	v_lshl_add_u64 v[32:33], v[28:29], 0, s[28:29]
	global_load_ubyte v1, v[30:31], off
	global_load_ubyte v34, v[32:33], off
	s_add_u32 s30, s28, 1
	s_addc_u32 s31, s29, 0
	s_andn2_b64 s[26:27], s[26:27], exec
	s_waitcnt vmcnt(0)
	v_cmp_ne_u16_e32 vcc, v1, v34
	s_and_b64 s[34:35], vcc, exec
	s_or_b64 s[26:27], s[26:27], s[34:35]
.LBB298_66:                             ;   in Loop: Header=BB298_67 Depth=1
	s_and_b64 s[34:35], exec, s[26:27]
	s_or_b64 s[24:25], s[34:35], s[24:25]
	v_mov_b64_e32 v[30:31], s[28:29]
	s_mov_b64 s[28:29], s[30:31]
	s_andn2_b64 exec, exec, s[24:25]
	s_cbranch_execz .LBB298_69
.LBB298_67:                             ; =>This Inner Loop Header: Depth=1
	s_or_b64 s[26:27], s[26:27], exec
	s_cmp_eq_u64 s[12:13], s[28:29]
	s_cbranch_scc0 .LBB298_65
; %bb.68:                               ;   in Loop: Header=BB298_67 Depth=1
                                        ; implicit-def: $sgpr30_sgpr31
	s_mov_b64 s[28:29], s[12:13]
	s_branch .LBB298_66
.LBB298_69:
	s_or_b64 exec, exec, s[24:25]
	v_cmp_gt_i64_e32 vcc, s[12:13], v[30:31]
	s_mov_b32 s7, 0
	v_mov_b32_e32 v55, s7
	v_cndmask_b32_e64 v54, 0, 1, vcc
.LBB298_70:
	s_or_b64 exec, exec, s[18:19]
.LBB298_71:
	v_mul_lo_u32 v1, v17, s12
	v_mul_lo_u32 v30, v16, s13
	v_mad_u64_u32 v[26:27], s[18:19], v16, s12, 0
	v_add3_u32 v27, v27, v30, v1
	s_and_b64 vcc, exec, s[2:3]
	v_lshl_add_u64 v[26:27], s[14:15], 0, v[26:27]
	s_cbranch_vccnz .LBB298_80
; %bb.72:
	global_load_ubyte v1, v[28:29], off
	global_load_ubyte v30, v[26:27], off
	v_mov_b64_e32 v[56:57], 1
	s_waitcnt vmcnt(0)
	v_cmp_eq_u16_e32 vcc, v1, v30
	s_and_saveexec_b64 s[18:19], vcc
	s_cbranch_execz .LBB298_79
; %bb.73:
	s_mov_b64 s[28:29], 1
	s_mov_b64 s[24:25], 0
                                        ; implicit-def: $sgpr26_sgpr27
	s_branch .LBB298_76
.LBB298_74:                             ;   in Loop: Header=BB298_76 Depth=1
	v_lshl_add_u64 v[30:31], v[28:29], 0, s[28:29]
	v_lshl_add_u64 v[32:33], v[26:27], 0, s[28:29]
	global_load_ubyte v1, v[30:31], off
	global_load_ubyte v34, v[32:33], off
	s_add_u32 s30, s28, 1
	s_addc_u32 s31, s29, 0
	s_andn2_b64 s[26:27], s[26:27], exec
	s_waitcnt vmcnt(0)
	v_cmp_ne_u16_e32 vcc, v1, v34
	s_and_b64 s[34:35], vcc, exec
	s_or_b64 s[26:27], s[26:27], s[34:35]
.LBB298_75:                             ;   in Loop: Header=BB298_76 Depth=1
	s_and_b64 s[34:35], exec, s[26:27]
	s_or_b64 s[24:25], s[34:35], s[24:25]
	v_mov_b64_e32 v[30:31], s[28:29]
	s_mov_b64 s[28:29], s[30:31]
	s_andn2_b64 exec, exec, s[24:25]
	s_cbranch_execz .LBB298_78
.LBB298_76:                             ; =>This Inner Loop Header: Depth=1
	s_or_b64 s[26:27], s[26:27], exec
	s_cmp_eq_u64 s[12:13], s[28:29]
	s_cbranch_scc0 .LBB298_74
; %bb.77:                               ;   in Loop: Header=BB298_76 Depth=1
                                        ; implicit-def: $sgpr30_sgpr31
	s_mov_b64 s[28:29], s[12:13]
	s_branch .LBB298_75
.LBB298_78:
	s_or_b64 exec, exec, s[24:25]
	v_cmp_gt_i64_e32 vcc, s[12:13], v[30:31]
	s_mov_b32 s7, 0
	v_mov_b32_e32 v57, s7
	v_cndmask_b32_e64 v56, 0, 1, vcc
.LBB298_79:
	s_or_b64 exec, exec, s[18:19]
.LBB298_80:
	v_mul_lo_u32 v1, v15, s12
	v_mul_lo_u32 v30, v14, s13
	v_mad_u64_u32 v[28:29], s[18:19], v14, s12, 0
	v_add3_u32 v29, v29, v30, v1
	v_mov_b64_e32 v[60:61], 0
	s_and_b64 vcc, exec, s[2:3]
	v_lshl_add_u64 v[28:29], s[14:15], 0, v[28:29]
	v_mov_b64_e32 v[58:59], v[60:61]
	s_cbranch_vccnz .LBB298_89
; %bb.81:
	global_load_ubyte v1, v[26:27], off
	global_load_ubyte v30, v[28:29], off
	v_mov_b64_e32 v[58:59], 1
	s_waitcnt vmcnt(0)
	v_cmp_eq_u16_e32 vcc, v1, v30
	s_and_saveexec_b64 s[18:19], vcc
	s_cbranch_execz .LBB298_88
; %bb.82:
	s_mov_b64 s[28:29], 1
	s_mov_b64 s[24:25], 0
                                        ; implicit-def: $sgpr26_sgpr27
	s_branch .LBB298_85
.LBB298_83:                             ;   in Loop: Header=BB298_85 Depth=1
	v_lshl_add_u64 v[30:31], v[26:27], 0, s[28:29]
	v_lshl_add_u64 v[32:33], v[28:29], 0, s[28:29]
	global_load_ubyte v1, v[30:31], off
	global_load_ubyte v34, v[32:33], off
	s_add_u32 s30, s28, 1
	s_addc_u32 s31, s29, 0
	s_andn2_b64 s[26:27], s[26:27], exec
	s_waitcnt vmcnt(0)
	v_cmp_ne_u16_e32 vcc, v1, v34
	s_and_b64 s[34:35], vcc, exec
	s_or_b64 s[26:27], s[26:27], s[34:35]
.LBB298_84:                             ;   in Loop: Header=BB298_85 Depth=1
	s_and_b64 s[34:35], exec, s[26:27]
	s_or_b64 s[24:25], s[34:35], s[24:25]
	v_mov_b64_e32 v[30:31], s[28:29]
	s_mov_b64 s[28:29], s[30:31]
	s_andn2_b64 exec, exec, s[24:25]
	s_cbranch_execz .LBB298_87
.LBB298_85:                             ; =>This Inner Loop Header: Depth=1
	s_or_b64 s[26:27], s[26:27], exec
	s_cmp_eq_u64 s[12:13], s[28:29]
	s_cbranch_scc0 .LBB298_83
; %bb.86:                               ;   in Loop: Header=BB298_85 Depth=1
                                        ; implicit-def: $sgpr30_sgpr31
	s_mov_b64 s[28:29], s[12:13]
	s_branch .LBB298_84
.LBB298_87:
	s_or_b64 exec, exec, s[24:25]
	v_cmp_gt_i64_e32 vcc, s[12:13], v[30:31]
	s_mov_b32 s7, 0
	v_mov_b32_e32 v59, s7
	v_cndmask_b32_e64 v58, 0, 1, vcc
.LBB298_88:
	s_or_b64 exec, exec, s[18:19]
.LBB298_89:
	v_mul_lo_u32 v1, v13, s12
	v_mul_lo_u32 v30, v12, s13
	v_mad_u64_u32 v[26:27], s[18:19], v12, s12, 0
	v_add3_u32 v27, v27, v30, v1
	s_and_b64 vcc, exec, s[2:3]
	v_lshl_add_u64 v[26:27], s[14:15], 0, v[26:27]
	s_cbranch_vccnz .LBB298_98
; %bb.90:
	global_load_ubyte v1, v[28:29], off
	global_load_ubyte v30, v[26:27], off
	v_mov_b64_e32 v[60:61], 1
	s_waitcnt vmcnt(0)
	v_cmp_eq_u16_e32 vcc, v1, v30
	s_and_saveexec_b64 s[18:19], vcc
	s_cbranch_execz .LBB298_97
; %bb.91:
	s_mov_b64 s[28:29], 1
	s_mov_b64 s[24:25], 0
                                        ; implicit-def: $sgpr26_sgpr27
	s_branch .LBB298_94
.LBB298_92:                             ;   in Loop: Header=BB298_94 Depth=1
	v_lshl_add_u64 v[30:31], v[28:29], 0, s[28:29]
	v_lshl_add_u64 v[32:33], v[26:27], 0, s[28:29]
	global_load_ubyte v1, v[30:31], off
	global_load_ubyte v34, v[32:33], off
	s_add_u32 s30, s28, 1
	s_addc_u32 s31, s29, 0
	s_andn2_b64 s[26:27], s[26:27], exec
	s_waitcnt vmcnt(0)
	v_cmp_ne_u16_e32 vcc, v1, v34
	s_and_b64 s[34:35], vcc, exec
	s_or_b64 s[26:27], s[26:27], s[34:35]
.LBB298_93:                             ;   in Loop: Header=BB298_94 Depth=1
	s_and_b64 s[34:35], exec, s[26:27]
	s_or_b64 s[24:25], s[34:35], s[24:25]
	v_mov_b64_e32 v[30:31], s[28:29]
	s_mov_b64 s[28:29], s[30:31]
	s_andn2_b64 exec, exec, s[24:25]
	s_cbranch_execz .LBB298_96
.LBB298_94:                             ; =>This Inner Loop Header: Depth=1
	s_or_b64 s[26:27], s[26:27], exec
	s_cmp_eq_u64 s[12:13], s[28:29]
	s_cbranch_scc0 .LBB298_92
; %bb.95:                               ;   in Loop: Header=BB298_94 Depth=1
                                        ; implicit-def: $sgpr30_sgpr31
	s_mov_b64 s[28:29], s[12:13]
	s_branch .LBB298_93
.LBB298_96:
	s_or_b64 exec, exec, s[24:25]
	v_cmp_gt_i64_e32 vcc, s[12:13], v[30:31]
	s_mov_b32 s7, 0
	v_mov_b32_e32 v61, s7
	v_cndmask_b32_e64 v60, 0, 1, vcc
.LBB298_97:
	s_or_b64 exec, exec, s[18:19]
.LBB298_98:
	v_mul_lo_u32 v1, v11, s12
	v_mul_lo_u32 v30, v10, s13
	v_mad_u64_u32 v[28:29], s[18:19], v10, s12, 0
	v_add3_u32 v29, v29, v30, v1
	v_mov_b64_e32 v[64:65], 0
	s_and_b64 vcc, exec, s[2:3]
	v_lshl_add_u64 v[28:29], s[14:15], 0, v[28:29]
	v_mov_b64_e32 v[62:63], v[64:65]
	s_cbranch_vccnz .LBB298_107
; %bb.99:
	global_load_ubyte v1, v[26:27], off
	global_load_ubyte v30, v[28:29], off
	v_mov_b64_e32 v[62:63], 1
	s_waitcnt vmcnt(0)
	v_cmp_eq_u16_e32 vcc, v1, v30
	s_and_saveexec_b64 s[18:19], vcc
	s_cbranch_execz .LBB298_106
; %bb.100:
	s_mov_b64 s[28:29], 1
	s_mov_b64 s[24:25], 0
                                        ; implicit-def: $sgpr26_sgpr27
	s_branch .LBB298_103
.LBB298_101:                            ;   in Loop: Header=BB298_103 Depth=1
	v_lshl_add_u64 v[30:31], v[26:27], 0, s[28:29]
	v_lshl_add_u64 v[32:33], v[28:29], 0, s[28:29]
	global_load_ubyte v1, v[30:31], off
	global_load_ubyte v34, v[32:33], off
	s_add_u32 s30, s28, 1
	s_addc_u32 s31, s29, 0
	s_andn2_b64 s[26:27], s[26:27], exec
	s_waitcnt vmcnt(0)
	v_cmp_ne_u16_e32 vcc, v1, v34
	s_and_b64 s[34:35], vcc, exec
	s_or_b64 s[26:27], s[26:27], s[34:35]
.LBB298_102:                            ;   in Loop: Header=BB298_103 Depth=1
	s_and_b64 s[34:35], exec, s[26:27]
	s_or_b64 s[24:25], s[34:35], s[24:25]
	v_mov_b64_e32 v[30:31], s[28:29]
	s_mov_b64 s[28:29], s[30:31]
	s_andn2_b64 exec, exec, s[24:25]
	s_cbranch_execz .LBB298_105
.LBB298_103:                            ; =>This Inner Loop Header: Depth=1
	s_or_b64 s[26:27], s[26:27], exec
	s_cmp_eq_u64 s[12:13], s[28:29]
	s_cbranch_scc0 .LBB298_101
; %bb.104:                              ;   in Loop: Header=BB298_103 Depth=1
                                        ; implicit-def: $sgpr30_sgpr31
	s_mov_b64 s[28:29], s[12:13]
	s_branch .LBB298_102
.LBB298_105:
	s_or_b64 exec, exec, s[24:25]
	v_cmp_gt_i64_e32 vcc, s[12:13], v[30:31]
	s_mov_b32 s7, 0
	v_mov_b32_e32 v63, s7
	v_cndmask_b32_e64 v62, 0, 1, vcc
.LBB298_106:
	s_or_b64 exec, exec, s[18:19]
.LBB298_107:
	v_mul_lo_u32 v1, v9, s12
	v_mul_lo_u32 v30, v8, s13
	v_mad_u64_u32 v[26:27], s[18:19], v8, s12, 0
	v_add3_u32 v27, v27, v30, v1
	s_and_b64 vcc, exec, s[2:3]
	v_lshl_add_u64 v[26:27], s[14:15], 0, v[26:27]
	s_cbranch_vccnz .LBB298_116
; %bb.108:
	global_load_ubyte v1, v[28:29], off
	global_load_ubyte v30, v[26:27], off
	v_mov_b64_e32 v[64:65], 1
	s_waitcnt vmcnt(0)
	v_cmp_eq_u16_e32 vcc, v1, v30
	s_and_saveexec_b64 s[18:19], vcc
	s_cbranch_execz .LBB298_115
; %bb.109:
	s_mov_b64 s[28:29], 1
	s_mov_b64 s[24:25], 0
                                        ; implicit-def: $sgpr26_sgpr27
	s_branch .LBB298_112
.LBB298_110:                            ;   in Loop: Header=BB298_112 Depth=1
	v_lshl_add_u64 v[30:31], v[28:29], 0, s[28:29]
	v_lshl_add_u64 v[32:33], v[26:27], 0, s[28:29]
	global_load_ubyte v1, v[30:31], off
	global_load_ubyte v34, v[32:33], off
	s_add_u32 s30, s28, 1
	s_addc_u32 s31, s29, 0
	s_andn2_b64 s[26:27], s[26:27], exec
	s_waitcnt vmcnt(0)
	v_cmp_ne_u16_e32 vcc, v1, v34
	s_and_b64 s[34:35], vcc, exec
	s_or_b64 s[26:27], s[26:27], s[34:35]
.LBB298_111:                            ;   in Loop: Header=BB298_112 Depth=1
	s_and_b64 s[34:35], exec, s[26:27]
	s_or_b64 s[24:25], s[34:35], s[24:25]
	v_mov_b64_e32 v[30:31], s[28:29]
	s_mov_b64 s[28:29], s[30:31]
	s_andn2_b64 exec, exec, s[24:25]
	s_cbranch_execz .LBB298_114
.LBB298_112:                            ; =>This Inner Loop Header: Depth=1
	s_or_b64 s[26:27], s[26:27], exec
	s_cmp_eq_u64 s[12:13], s[28:29]
	s_cbranch_scc0 .LBB298_110
; %bb.113:                              ;   in Loop: Header=BB298_112 Depth=1
                                        ; implicit-def: $sgpr30_sgpr31
	s_mov_b64 s[28:29], s[12:13]
	s_branch .LBB298_111
.LBB298_114:
	s_or_b64 exec, exec, s[24:25]
	v_cmp_gt_i64_e32 vcc, s[12:13], v[30:31]
	s_mov_b32 s7, 0
	v_mov_b32_e32 v65, s7
	v_cndmask_b32_e64 v64, 0, 1, vcc
.LBB298_115:
	s_or_b64 exec, exec, s[18:19]
.LBB298_116:
	v_mul_lo_u32 v1, v7, s12
	v_mul_lo_u32 v30, v6, s13
	v_mad_u64_u32 v[28:29], s[18:19], v6, s12, 0
	v_add3_u32 v29, v29, v30, v1
	v_mov_b64_e32 v[68:69], 0
	s_and_b64 vcc, exec, s[2:3]
	v_lshl_add_u64 v[28:29], s[14:15], 0, v[28:29]
	v_mov_b64_e32 v[66:67], v[68:69]
	s_cbranch_vccnz .LBB298_125
; %bb.117:
	global_load_ubyte v1, v[26:27], off
	global_load_ubyte v30, v[28:29], off
	v_mov_b64_e32 v[66:67], 1
	s_waitcnt vmcnt(0)
	v_cmp_eq_u16_e32 vcc, v1, v30
	s_and_saveexec_b64 s[18:19], vcc
	s_cbranch_execz .LBB298_124
; %bb.118:
	s_mov_b64 s[28:29], 1
	s_mov_b64 s[24:25], 0
                                        ; implicit-def: $sgpr26_sgpr27
	s_branch .LBB298_121
.LBB298_119:                            ;   in Loop: Header=BB298_121 Depth=1
	v_lshl_add_u64 v[30:31], v[26:27], 0, s[28:29]
	v_lshl_add_u64 v[32:33], v[28:29], 0, s[28:29]
	global_load_ubyte v1, v[30:31], off
	global_load_ubyte v34, v[32:33], off
	s_add_u32 s30, s28, 1
	s_addc_u32 s31, s29, 0
	s_andn2_b64 s[26:27], s[26:27], exec
	s_waitcnt vmcnt(0)
	v_cmp_ne_u16_e32 vcc, v1, v34
	s_and_b64 s[34:35], vcc, exec
	s_or_b64 s[26:27], s[26:27], s[34:35]
.LBB298_120:                            ;   in Loop: Header=BB298_121 Depth=1
	s_and_b64 s[34:35], exec, s[26:27]
	s_or_b64 s[24:25], s[34:35], s[24:25]
	v_mov_b64_e32 v[30:31], s[28:29]
	s_mov_b64 s[28:29], s[30:31]
	s_andn2_b64 exec, exec, s[24:25]
	s_cbranch_execz .LBB298_123
.LBB298_121:                            ; =>This Inner Loop Header: Depth=1
	s_or_b64 s[26:27], s[26:27], exec
	s_cmp_eq_u64 s[12:13], s[28:29]
	s_cbranch_scc0 .LBB298_119
; %bb.122:                              ;   in Loop: Header=BB298_121 Depth=1
                                        ; implicit-def: $sgpr30_sgpr31
	s_mov_b64 s[28:29], s[12:13]
	s_branch .LBB298_120
.LBB298_123:
	s_or_b64 exec, exec, s[24:25]
	v_cmp_gt_i64_e32 vcc, s[12:13], v[30:31]
	s_mov_b32 s7, 0
	v_mov_b32_e32 v67, s7
	v_cndmask_b32_e64 v66, 0, 1, vcc
.LBB298_124:
	s_or_b64 exec, exec, s[18:19]
.LBB298_125:
	v_mul_lo_u32 v1, v5, s12
	v_mul_lo_u32 v30, v4, s13
	v_mad_u64_u32 v[26:27], s[18:19], v4, s12, 0
	v_add3_u32 v27, v27, v30, v1
	s_and_b64 vcc, exec, s[2:3]
	v_lshl_add_u64 v[26:27], s[14:15], 0, v[26:27]
	s_cbranch_vccnz .LBB298_134
; %bb.126:
	global_load_ubyte v1, v[28:29], off
	global_load_ubyte v30, v[26:27], off
	v_mov_b64_e32 v[68:69], 1
	s_waitcnt vmcnt(0)
	v_cmp_eq_u16_e32 vcc, v1, v30
	s_and_saveexec_b64 s[18:19], vcc
	s_cbranch_execz .LBB298_133
; %bb.127:
	s_mov_b64 s[28:29], 1
	s_mov_b64 s[24:25], 0
                                        ; implicit-def: $sgpr26_sgpr27
	s_branch .LBB298_130
.LBB298_128:                            ;   in Loop: Header=BB298_130 Depth=1
	v_lshl_add_u64 v[30:31], v[28:29], 0, s[28:29]
	v_lshl_add_u64 v[32:33], v[26:27], 0, s[28:29]
	global_load_ubyte v1, v[30:31], off
	global_load_ubyte v34, v[32:33], off
	s_add_u32 s30, s28, 1
	s_addc_u32 s31, s29, 0
	s_andn2_b64 s[26:27], s[26:27], exec
	s_waitcnt vmcnt(0)
	v_cmp_ne_u16_e32 vcc, v1, v34
	s_and_b64 s[34:35], vcc, exec
	s_or_b64 s[26:27], s[26:27], s[34:35]
.LBB298_129:                            ;   in Loop: Header=BB298_130 Depth=1
	s_and_b64 s[34:35], exec, s[26:27]
	s_or_b64 s[24:25], s[34:35], s[24:25]
	v_mov_b64_e32 v[30:31], s[28:29]
	s_mov_b64 s[28:29], s[30:31]
	s_andn2_b64 exec, exec, s[24:25]
	s_cbranch_execz .LBB298_132
.LBB298_130:                            ; =>This Inner Loop Header: Depth=1
	s_or_b64 s[26:27], s[26:27], exec
	s_cmp_eq_u64 s[12:13], s[28:29]
	s_cbranch_scc0 .LBB298_128
; %bb.131:                              ;   in Loop: Header=BB298_130 Depth=1
                                        ; implicit-def: $sgpr30_sgpr31
	s_mov_b64 s[28:29], s[12:13]
	s_branch .LBB298_129
.LBB298_132:
	s_or_b64 exec, exec, s[24:25]
	v_cmp_gt_i64_e32 vcc, s[12:13], v[30:31]
	s_mov_b32 s7, 0
	v_mov_b32_e32 v69, s7
	v_cndmask_b32_e64 v68, 0, 1, vcc
.LBB298_133:
	s_or_b64 exec, exec, s[18:19]
.LBB298_134:
	s_and_b64 vcc, exec, s[2:3]
	s_cbranch_vccnz .LBB298_141
; %bb.135:
	v_mov_b64_e32 v[28:29], s[14:15]
	v_mad_u64_u32 v[28:29], s[18:19], v2, s12, v[28:29]
	v_mul_lo_u32 v1, v2, s13
	v_mul_lo_u32 v30, v3, s12
	v_add3_u32 v29, v30, v29, v1
	global_load_ubyte v1, v[26:27], off
	global_load_ubyte v30, v[28:29], off
	v_mov_b64_e32 v[70:71], 1
	s_waitcnt vmcnt(0)
	v_cmp_eq_u16_e32 vcc, v1, v30
	s_and_saveexec_b64 s[18:19], vcc
	s_cbranch_execz .LBB298_143
; %bb.136:
	s_mov_b64 s[28:29], 1
	s_mov_b64 s[24:25], 0
                                        ; implicit-def: $sgpr26_sgpr27
	s_branch .LBB298_139
.LBB298_137:                            ;   in Loop: Header=BB298_139 Depth=1
	v_lshl_add_u64 v[30:31], v[26:27], 0, s[28:29]
	v_lshl_add_u64 v[32:33], v[28:29], 0, s[28:29]
	global_load_ubyte v1, v[30:31], off
	global_load_ubyte v34, v[32:33], off
	s_add_u32 s30, s28, 1
	s_addc_u32 s31, s29, 0
	s_andn2_b64 s[26:27], s[26:27], exec
	s_waitcnt vmcnt(0)
	v_cmp_ne_u16_e32 vcc, v1, v34
	s_and_b64 s[34:35], vcc, exec
	s_or_b64 s[26:27], s[26:27], s[34:35]
.LBB298_138:                            ;   in Loop: Header=BB298_139 Depth=1
	s_and_b64 s[34:35], exec, s[26:27]
	s_or_b64 s[24:25], s[34:35], s[24:25]
	v_mov_b64_e32 v[30:31], s[28:29]
	s_mov_b64 s[28:29], s[30:31]
	s_andn2_b64 exec, exec, s[24:25]
	s_cbranch_execz .LBB298_142
.LBB298_139:                            ; =>This Inner Loop Header: Depth=1
	s_or_b64 s[26:27], s[26:27], exec
	s_cmp_eq_u64 s[12:13], s[28:29]
	s_cbranch_scc0 .LBB298_137
; %bb.140:                              ;   in Loop: Header=BB298_139 Depth=1
                                        ; implicit-def: $sgpr30_sgpr31
	s_mov_b64 s[28:29], s[12:13]
	s_branch .LBB298_138
.LBB298_141:
	v_mov_b64_e32 v[70:71], 0
	s_branch .LBB298_144
.LBB298_142:
	s_or_b64 exec, exec, s[24:25]
	v_cmp_gt_i64_e32 vcc, s[12:13], v[30:31]
	s_mov_b32 s7, 0
	v_mov_b32_e32 v71, s7
	v_cndmask_b32_e64 v70, 0, 1, vcc
.LBB298_143:
	s_or_b64 exec, exec, s[18:19]
.LBB298_144:
	v_cmp_ne_u32_e32 vcc, 0, v0
	s_waitcnt lgkmcnt(0)
	v_mov_b64_e32 v[30:31], s[20:21]
	s_waitcnt lgkmcnt(0)
	; wave barrier
	s_and_saveexec_b64 s[18:19], vcc
	s_cbranch_execz .LBB298_146
; %bb.145:
	v_add_u32_e32 v1, -8, v48
	ds_read_b64 v[30:31], v1
.LBB298_146:
	s_or_b64 exec, exec, s[18:19]
	s_mov_b64 s[26:27], 0
	s_and_b64 vcc, exec, s[2:3]
	s_mov_b64 s[24:25], 0
	s_cbranch_vccnz .LBB298_155
; %bb.147:
	v_mov_b64_e32 v[28:29], s[14:15]
	v_mad_u64_u32 v[26:27], s[2:3], v2, s12, v[28:29]
	v_mul_lo_u32 v1, v2, s13
	v_mul_lo_u32 v32, v3, s12
	v_add3_u32 v27, v32, v27, v1
	s_waitcnt lgkmcnt(0)
	v_mad_u64_u32 v[28:29], s[2:3], v30, s12, v[28:29]
	v_mul_lo_u32 v1, v30, s13
	v_mul_lo_u32 v30, v31, s12
	v_add3_u32 v29, v30, v29, v1
	global_load_ubyte v1, v[26:27], off
	global_load_ubyte v30, v[28:29], off
	s_mov_b64 s[24:25], -1
	s_waitcnt vmcnt(0)
	v_cmp_eq_u16_e32 vcc, v1, v30
	s_and_saveexec_b64 s[2:3], vcc
	s_cbranch_execz .LBB298_154
; %bb.148:
	s_mov_b64 s[28:29], 1
	s_mov_b64 s[18:19], 0
                                        ; implicit-def: $sgpr24_sgpr25
	s_branch .LBB298_151
.LBB298_149:                            ;   in Loop: Header=BB298_151 Depth=1
	v_lshl_add_u64 v[30:31], v[26:27], 0, s[28:29]
	v_lshl_add_u64 v[32:33], v[28:29], 0, s[28:29]
	global_load_ubyte v1, v[30:31], off
	global_load_ubyte v34, v[32:33], off
	s_add_u32 s30, s28, 1
	s_addc_u32 s31, s29, 0
	s_andn2_b64 s[24:25], s[24:25], exec
	s_waitcnt vmcnt(0)
	v_cmp_ne_u16_e32 vcc, v1, v34
	s_and_b64 s[34:35], vcc, exec
	s_or_b64 s[24:25], s[24:25], s[34:35]
.LBB298_150:                            ;   in Loop: Header=BB298_151 Depth=1
	s_and_b64 s[34:35], exec, s[24:25]
	s_or_b64 s[18:19], s[34:35], s[18:19]
	v_mov_b64_e32 v[30:31], s[28:29]
	s_mov_b64 s[28:29], s[30:31]
	s_andn2_b64 exec, exec, s[18:19]
	s_cbranch_execz .LBB298_153
.LBB298_151:                            ; =>This Inner Loop Header: Depth=1
	s_or_b64 s[24:25], s[24:25], exec
	s_cmp_eq_u64 s[12:13], s[28:29]
	s_cbranch_scc0 .LBB298_149
; %bb.152:                              ;   in Loop: Header=BB298_151 Depth=1
                                        ; implicit-def: $sgpr30_sgpr31
	s_mov_b64 s[28:29], s[12:13]
	s_branch .LBB298_150
.LBB298_153:
	s_or_b64 exec, exec, s[18:19]
	v_cmp_gt_i64_e32 vcc, s[12:13], v[30:31]
	s_orn2_b64 s[24:25], vcc, exec
.LBB298_154:
	s_or_b64 exec, exec, s[2:3]
.LBB298_155:
	s_mov_b64 s[18:19], -1
	s_and_b64 vcc, exec, s[26:27]
	s_cbranch_vccz .LBB298_41
.LBB298_156:
	s_mul_i32 s7, s22, 0xfffffcc0
	s_add_i32 s7, s7, s10
	v_mad_u32_u24 v26, v0, 13, 12
	v_cmp_gt_i64_e64 s[2:3], s[12:13], 0
	v_cmp_gt_u32_e32 vcc, s7, v26
	v_mul_u32_u24_e32 v1, 13, v0
	v_cndmask_b32_e64 v26, 0, 1, s[2:3]
	v_cmp_ne_u32_e64 s[2:3], 1, v26
	v_mov_b64_e32 v[50:51], v[44:45]
	ds_write_b64 v48, v[44:45]
	s_and_saveexec_b64 s[22:23], vcc
	s_cbranch_execz .LBB298_167
; %bb.157:
	s_and_b64 vcc, exec, s[2:3]
	s_cbranch_vccnz .LBB298_164
; %bb.158:
	v_mov_b64_e32 v[28:29], s[14:15]
	v_mad_u64_u32 v[26:27], s[24:25], v44, s12, v[28:29]
	s_waitcnt lgkmcnt(0)
	v_mul_lo_u32 v30, v44, s13
	v_mul_lo_u32 v31, v45, s12
	v_add3_u32 v27, v31, v27, v30
	v_mad_u64_u32 v[28:29], s[24:25], v24, s12, v[28:29]
	v_mul_lo_u32 v30, v24, s13
	v_mul_lo_u32 v31, v25, s12
	v_add3_u32 v29, v31, v29, v30
	global_load_ubyte v30, v[26:27], off
	global_load_ubyte v31, v[28:29], off
	v_mov_b64_e32 v[50:51], 1
	s_waitcnt vmcnt(0)
	v_cmp_eq_u16_e32 vcc, v30, v31
	s_and_saveexec_b64 s[24:25], vcc
	s_cbranch_execz .LBB298_166
; %bb.159:
	s_mov_b64 s[30:31], 1
	s_mov_b64 s[26:27], 0
                                        ; implicit-def: $sgpr28_sgpr29
	s_branch .LBB298_162
.LBB298_160:                            ;   in Loop: Header=BB298_162 Depth=1
	v_lshl_add_u64 v[30:31], v[26:27], 0, s[30:31]
	v_lshl_add_u64 v[32:33], v[28:29], 0, s[30:31]
	global_load_ubyte v34, v[30:31], off
	global_load_ubyte v35, v[32:33], off
	s_add_u32 s34, s30, 1
	s_addc_u32 s35, s31, 0
	s_andn2_b64 s[28:29], s[28:29], exec
	s_waitcnt vmcnt(0)
	v_cmp_ne_u16_e32 vcc, v34, v35
	s_and_b64 s[36:37], vcc, exec
	s_or_b64 s[28:29], s[28:29], s[36:37]
.LBB298_161:                            ;   in Loop: Header=BB298_162 Depth=1
	s_and_b64 s[36:37], exec, s[28:29]
	s_or_b64 s[26:27], s[36:37], s[26:27]
	v_mov_b64_e32 v[30:31], s[30:31]
	s_mov_b64 s[30:31], s[34:35]
	s_andn2_b64 exec, exec, s[26:27]
	s_cbranch_execz .LBB298_165
.LBB298_162:                            ; =>This Inner Loop Header: Depth=1
	s_or_b64 s[28:29], s[28:29], exec
	s_cmp_eq_u64 s[12:13], s[30:31]
	s_cbranch_scc0 .LBB298_160
; %bb.163:                              ;   in Loop: Header=BB298_162 Depth=1
                                        ; implicit-def: $sgpr34_sgpr35
	s_mov_b64 s[30:31], s[12:13]
	s_branch .LBB298_161
.LBB298_164:
	v_mov_b64_e32 v[50:51], 0
	s_branch .LBB298_167
.LBB298_165:
	s_or_b64 exec, exec, s[26:27]
	v_cmp_gt_i64_e32 vcc, s[12:13], v[30:31]
	s_mov_b32 s26, 0
	v_mov_b32_e32 v51, s26
	v_cndmask_b32_e64 v50, 0, 1, vcc
.LBB298_166:
	s_or_b64 exec, exec, s[24:25]
.LBB298_167:
	s_or_b64 exec, exec, s[22:23]
	v_add_u32_e32 v26, 11, v1
	v_cmp_gt_u32_e32 vcc, s7, v26
	v_mov_b64_e32 v[52:53], v[24:25]
	s_and_saveexec_b64 s[22:23], vcc
	s_cbranch_execz .LBB298_178
; %bb.168:
	s_and_b64 vcc, exec, s[2:3]
	s_cbranch_vccnz .LBB298_175
; %bb.169:
	v_mov_b64_e32 v[28:29], s[14:15]
	v_mad_u64_u32 v[26:27], s[24:25], v24, s12, v[28:29]
	s_waitcnt lgkmcnt(0)
	v_mul_lo_u32 v30, v24, s13
	v_mul_lo_u32 v31, v25, s12
	v_add3_u32 v27, v31, v27, v30
	v_mad_u64_u32 v[28:29], s[24:25], v22, s12, v[28:29]
	v_mul_lo_u32 v30, v22, s13
	v_mul_lo_u32 v31, v23, s12
	v_add3_u32 v29, v31, v29, v30
	global_load_ubyte v30, v[26:27], off
	global_load_ubyte v31, v[28:29], off
	v_mov_b64_e32 v[52:53], 1
	s_waitcnt vmcnt(0)
	v_cmp_eq_u16_e32 vcc, v30, v31
	s_and_saveexec_b64 s[24:25], vcc
	s_cbranch_execz .LBB298_177
; %bb.170:
	s_mov_b64 s[30:31], 1
	s_mov_b64 s[26:27], 0
                                        ; implicit-def: $sgpr28_sgpr29
	s_branch .LBB298_173
.LBB298_171:                            ;   in Loop: Header=BB298_173 Depth=1
	v_lshl_add_u64 v[30:31], v[26:27], 0, s[30:31]
	v_lshl_add_u64 v[32:33], v[28:29], 0, s[30:31]
	global_load_ubyte v34, v[30:31], off
	global_load_ubyte v35, v[32:33], off
	s_add_u32 s34, s30, 1
	s_addc_u32 s35, s31, 0
	s_andn2_b64 s[28:29], s[28:29], exec
	s_waitcnt vmcnt(0)
	v_cmp_ne_u16_e32 vcc, v34, v35
	s_and_b64 s[36:37], vcc, exec
	s_or_b64 s[28:29], s[28:29], s[36:37]
.LBB298_172:                            ;   in Loop: Header=BB298_173 Depth=1
	s_and_b64 s[36:37], exec, s[28:29]
	s_or_b64 s[26:27], s[36:37], s[26:27]
	v_mov_b64_e32 v[30:31], s[30:31]
	s_mov_b64 s[30:31], s[34:35]
	s_andn2_b64 exec, exec, s[26:27]
	s_cbranch_execz .LBB298_176
.LBB298_173:                            ; =>This Inner Loop Header: Depth=1
	s_or_b64 s[28:29], s[28:29], exec
	s_cmp_eq_u64 s[12:13], s[30:31]
	s_cbranch_scc0 .LBB298_171
; %bb.174:                              ;   in Loop: Header=BB298_173 Depth=1
                                        ; implicit-def: $sgpr34_sgpr35
	s_mov_b64 s[30:31], s[12:13]
	s_branch .LBB298_172
.LBB298_175:
	v_mov_b64_e32 v[52:53], 0
	s_branch .LBB298_178
.LBB298_176:
	s_or_b64 exec, exec, s[26:27]
	v_cmp_gt_i64_e32 vcc, s[12:13], v[30:31]
	s_mov_b32 s26, 0
	v_mov_b32_e32 v53, s26
	v_cndmask_b32_e64 v52, 0, 1, vcc
.LBB298_177:
	s_or_b64 exec, exec, s[24:25]
.LBB298_178:
	s_or_b64 exec, exec, s[22:23]
	v_add_u32_e32 v26, 10, v1
	v_cmp_gt_u32_e32 vcc, s7, v26
	v_mov_b64_e32 v[46:47], v[22:23]
	s_and_saveexec_b64 s[22:23], vcc
	s_cbranch_execz .LBB298_189
; %bb.179:
	s_and_b64 vcc, exec, s[2:3]
	s_cbranch_vccnz .LBB298_186
; %bb.180:
	v_mov_b64_e32 v[28:29], s[14:15]
	v_mad_u64_u32 v[26:27], s[24:25], v22, s12, v[28:29]
	s_waitcnt lgkmcnt(0)
	v_mul_lo_u32 v30, v22, s13
	v_mul_lo_u32 v31, v23, s12
	v_add3_u32 v27, v31, v27, v30
	v_mad_u64_u32 v[28:29], s[24:25], v20, s12, v[28:29]
	v_mul_lo_u32 v30, v20, s13
	v_mul_lo_u32 v31, v21, s12
	v_add3_u32 v29, v31, v29, v30
	global_load_ubyte v30, v[26:27], off
	global_load_ubyte v31, v[28:29], off
	v_mov_b64_e32 v[46:47], 1
	s_waitcnt vmcnt(0)
	v_cmp_eq_u16_e32 vcc, v30, v31
	s_and_saveexec_b64 s[24:25], vcc
	s_cbranch_execz .LBB298_188
; %bb.181:
	s_mov_b64 s[30:31], 1
	s_mov_b64 s[26:27], 0
                                        ; implicit-def: $sgpr28_sgpr29
	s_branch .LBB298_184
.LBB298_182:                            ;   in Loop: Header=BB298_184 Depth=1
	v_lshl_add_u64 v[30:31], v[26:27], 0, s[30:31]
	v_lshl_add_u64 v[32:33], v[28:29], 0, s[30:31]
	global_load_ubyte v34, v[30:31], off
	global_load_ubyte v35, v[32:33], off
	s_add_u32 s34, s30, 1
	s_addc_u32 s35, s31, 0
	s_andn2_b64 s[28:29], s[28:29], exec
	s_waitcnt vmcnt(0)
	v_cmp_ne_u16_e32 vcc, v34, v35
	s_and_b64 s[36:37], vcc, exec
	s_or_b64 s[28:29], s[28:29], s[36:37]
.LBB298_183:                            ;   in Loop: Header=BB298_184 Depth=1
	s_and_b64 s[36:37], exec, s[28:29]
	s_or_b64 s[26:27], s[36:37], s[26:27]
	v_mov_b64_e32 v[30:31], s[30:31]
	s_mov_b64 s[30:31], s[34:35]
	s_andn2_b64 exec, exec, s[26:27]
	s_cbranch_execz .LBB298_187
.LBB298_184:                            ; =>This Inner Loop Header: Depth=1
	s_or_b64 s[28:29], s[28:29], exec
	s_cmp_eq_u64 s[12:13], s[30:31]
	s_cbranch_scc0 .LBB298_182
; %bb.185:                              ;   in Loop: Header=BB298_184 Depth=1
                                        ; implicit-def: $sgpr34_sgpr35
	s_mov_b64 s[30:31], s[12:13]
	s_branch .LBB298_183
.LBB298_186:
	v_mov_b64_e32 v[46:47], 0
	s_branch .LBB298_189
.LBB298_187:
	s_or_b64 exec, exec, s[26:27]
	v_cmp_gt_i64_e32 vcc, s[12:13], v[30:31]
	s_mov_b32 s26, 0
	v_mov_b32_e32 v47, s26
	v_cndmask_b32_e64 v46, 0, 1, vcc
.LBB298_188:
	s_or_b64 exec, exec, s[24:25]
.LBB298_189:
	s_or_b64 exec, exec, s[22:23]
	v_add_u32_e32 v26, 9, v1
	v_cmp_gt_u32_e32 vcc, s7, v26
	v_mov_b64_e32 v[54:55], v[20:21]
	s_and_saveexec_b64 s[22:23], vcc
	s_cbranch_execz .LBB298_200
; %bb.190:
	s_and_b64 vcc, exec, s[2:3]
	s_cbranch_vccnz .LBB298_197
; %bb.191:
	v_mov_b64_e32 v[28:29], s[14:15]
	v_mad_u64_u32 v[26:27], s[24:25], v20, s12, v[28:29]
	s_waitcnt lgkmcnt(0)
	v_mul_lo_u32 v30, v20, s13
	v_mul_lo_u32 v31, v21, s12
	v_add3_u32 v27, v31, v27, v30
	v_mad_u64_u32 v[28:29], s[24:25], v18, s12, v[28:29]
	v_mul_lo_u32 v30, v18, s13
	v_mul_lo_u32 v31, v19, s12
	v_add3_u32 v29, v31, v29, v30
	global_load_ubyte v30, v[26:27], off
	global_load_ubyte v31, v[28:29], off
	v_mov_b64_e32 v[54:55], 1
	s_waitcnt vmcnt(0)
	v_cmp_eq_u16_e32 vcc, v30, v31
	s_and_saveexec_b64 s[24:25], vcc
	s_cbranch_execz .LBB298_199
; %bb.192:
	s_mov_b64 s[30:31], 1
	s_mov_b64 s[26:27], 0
                                        ; implicit-def: $sgpr28_sgpr29
	s_branch .LBB298_195
.LBB298_193:                            ;   in Loop: Header=BB298_195 Depth=1
	v_lshl_add_u64 v[30:31], v[26:27], 0, s[30:31]
	v_lshl_add_u64 v[32:33], v[28:29], 0, s[30:31]
	global_load_ubyte v34, v[30:31], off
	global_load_ubyte v35, v[32:33], off
	s_add_u32 s34, s30, 1
	s_addc_u32 s35, s31, 0
	s_andn2_b64 s[28:29], s[28:29], exec
	s_waitcnt vmcnt(0)
	v_cmp_ne_u16_e32 vcc, v34, v35
	s_and_b64 s[36:37], vcc, exec
	s_or_b64 s[28:29], s[28:29], s[36:37]
.LBB298_194:                            ;   in Loop: Header=BB298_195 Depth=1
	s_and_b64 s[36:37], exec, s[28:29]
	s_or_b64 s[26:27], s[36:37], s[26:27]
	v_mov_b64_e32 v[30:31], s[30:31]
	s_mov_b64 s[30:31], s[34:35]
	s_andn2_b64 exec, exec, s[26:27]
	s_cbranch_execz .LBB298_198
.LBB298_195:                            ; =>This Inner Loop Header: Depth=1
	s_or_b64 s[28:29], s[28:29], exec
	s_cmp_eq_u64 s[12:13], s[30:31]
	s_cbranch_scc0 .LBB298_193
; %bb.196:                              ;   in Loop: Header=BB298_195 Depth=1
                                        ; implicit-def: $sgpr34_sgpr35
	s_mov_b64 s[30:31], s[12:13]
	s_branch .LBB298_194
.LBB298_197:
	v_mov_b64_e32 v[54:55], 0
	s_branch .LBB298_200
.LBB298_198:
	s_or_b64 exec, exec, s[26:27]
	v_cmp_gt_i64_e32 vcc, s[12:13], v[30:31]
	s_mov_b32 s26, 0
	v_mov_b32_e32 v55, s26
	v_cndmask_b32_e64 v54, 0, 1, vcc
.LBB298_199:
	s_or_b64 exec, exec, s[24:25]
.LBB298_200:
	s_or_b64 exec, exec, s[22:23]
	v_add_u32_e32 v26, 8, v1
	v_cmp_gt_u32_e32 vcc, s7, v26
	v_mov_b64_e32 v[56:57], v[18:19]
	s_and_saveexec_b64 s[22:23], vcc
	s_cbranch_execz .LBB298_211
; %bb.201:
	s_and_b64 vcc, exec, s[2:3]
	s_cbranch_vccnz .LBB298_208
; %bb.202:
	v_mov_b64_e32 v[28:29], s[14:15]
	v_mad_u64_u32 v[26:27], s[24:25], v18, s12, v[28:29]
	s_waitcnt lgkmcnt(0)
	v_mul_lo_u32 v30, v18, s13
	v_mul_lo_u32 v31, v19, s12
	v_add3_u32 v27, v31, v27, v30
	v_mad_u64_u32 v[28:29], s[24:25], v16, s12, v[28:29]
	v_mul_lo_u32 v30, v16, s13
	v_mul_lo_u32 v31, v17, s12
	v_add3_u32 v29, v31, v29, v30
	global_load_ubyte v30, v[26:27], off
	global_load_ubyte v31, v[28:29], off
	v_mov_b64_e32 v[56:57], 1
	s_waitcnt vmcnt(0)
	v_cmp_eq_u16_e32 vcc, v30, v31
	s_and_saveexec_b64 s[24:25], vcc
	s_cbranch_execz .LBB298_210
; %bb.203:
	s_mov_b64 s[30:31], 1
	s_mov_b64 s[26:27], 0
                                        ; implicit-def: $sgpr28_sgpr29
	s_branch .LBB298_206
.LBB298_204:                            ;   in Loop: Header=BB298_206 Depth=1
	v_lshl_add_u64 v[30:31], v[26:27], 0, s[30:31]
	v_lshl_add_u64 v[32:33], v[28:29], 0, s[30:31]
	global_load_ubyte v34, v[30:31], off
	global_load_ubyte v35, v[32:33], off
	s_add_u32 s34, s30, 1
	s_addc_u32 s35, s31, 0
	s_andn2_b64 s[28:29], s[28:29], exec
	s_waitcnt vmcnt(0)
	v_cmp_ne_u16_e32 vcc, v34, v35
	s_and_b64 s[36:37], vcc, exec
	s_or_b64 s[28:29], s[28:29], s[36:37]
.LBB298_205:                            ;   in Loop: Header=BB298_206 Depth=1
	s_and_b64 s[36:37], exec, s[28:29]
	s_or_b64 s[26:27], s[36:37], s[26:27]
	v_mov_b64_e32 v[30:31], s[30:31]
	s_mov_b64 s[30:31], s[34:35]
	s_andn2_b64 exec, exec, s[26:27]
	s_cbranch_execz .LBB298_209
.LBB298_206:                            ; =>This Inner Loop Header: Depth=1
	s_or_b64 s[28:29], s[28:29], exec
	s_cmp_eq_u64 s[12:13], s[30:31]
	s_cbranch_scc0 .LBB298_204
; %bb.207:                              ;   in Loop: Header=BB298_206 Depth=1
                                        ; implicit-def: $sgpr34_sgpr35
	s_mov_b64 s[30:31], s[12:13]
	s_branch .LBB298_205
.LBB298_208:
	v_mov_b64_e32 v[56:57], 0
	s_branch .LBB298_211
.LBB298_209:
	s_or_b64 exec, exec, s[26:27]
	v_cmp_gt_i64_e32 vcc, s[12:13], v[30:31]
	s_mov_b32 s26, 0
	v_mov_b32_e32 v57, s26
	v_cndmask_b32_e64 v56, 0, 1, vcc
.LBB298_210:
	s_or_b64 exec, exec, s[24:25]
.LBB298_211:
	s_or_b64 exec, exec, s[22:23]
	v_add_u32_e32 v26, 7, v1
	v_cmp_gt_u32_e32 vcc, s7, v26
	v_mov_b64_e32 v[58:59], v[16:17]
	s_and_saveexec_b64 s[22:23], vcc
	s_cbranch_execz .LBB298_222
; %bb.212:
	s_and_b64 vcc, exec, s[2:3]
	s_cbranch_vccnz .LBB298_219
; %bb.213:
	v_mov_b64_e32 v[28:29], s[14:15]
	v_mad_u64_u32 v[26:27], s[24:25], v16, s12, v[28:29]
	s_waitcnt lgkmcnt(0)
	v_mul_lo_u32 v30, v16, s13
	v_mul_lo_u32 v31, v17, s12
	v_add3_u32 v27, v31, v27, v30
	v_mad_u64_u32 v[28:29], s[24:25], v14, s12, v[28:29]
	v_mul_lo_u32 v30, v14, s13
	v_mul_lo_u32 v31, v15, s12
	v_add3_u32 v29, v31, v29, v30
	global_load_ubyte v30, v[26:27], off
	global_load_ubyte v31, v[28:29], off
	v_mov_b64_e32 v[58:59], 1
	s_waitcnt vmcnt(0)
	v_cmp_eq_u16_e32 vcc, v30, v31
	s_and_saveexec_b64 s[24:25], vcc
	s_cbranch_execz .LBB298_221
; %bb.214:
	s_mov_b64 s[30:31], 1
	s_mov_b64 s[26:27], 0
                                        ; implicit-def: $sgpr28_sgpr29
	s_branch .LBB298_217
.LBB298_215:                            ;   in Loop: Header=BB298_217 Depth=1
	v_lshl_add_u64 v[30:31], v[26:27], 0, s[30:31]
	v_lshl_add_u64 v[32:33], v[28:29], 0, s[30:31]
	global_load_ubyte v34, v[30:31], off
	global_load_ubyte v35, v[32:33], off
	s_add_u32 s34, s30, 1
	s_addc_u32 s35, s31, 0
	s_andn2_b64 s[28:29], s[28:29], exec
	s_waitcnt vmcnt(0)
	v_cmp_ne_u16_e32 vcc, v34, v35
	s_and_b64 s[36:37], vcc, exec
	s_or_b64 s[28:29], s[28:29], s[36:37]
.LBB298_216:                            ;   in Loop: Header=BB298_217 Depth=1
	s_and_b64 s[36:37], exec, s[28:29]
	s_or_b64 s[26:27], s[36:37], s[26:27]
	v_mov_b64_e32 v[30:31], s[30:31]
	s_mov_b64 s[30:31], s[34:35]
	s_andn2_b64 exec, exec, s[26:27]
	s_cbranch_execz .LBB298_220
.LBB298_217:                            ; =>This Inner Loop Header: Depth=1
	s_or_b64 s[28:29], s[28:29], exec
	s_cmp_eq_u64 s[12:13], s[30:31]
	s_cbranch_scc0 .LBB298_215
; %bb.218:                              ;   in Loop: Header=BB298_217 Depth=1
                                        ; implicit-def: $sgpr34_sgpr35
	s_mov_b64 s[30:31], s[12:13]
	s_branch .LBB298_216
.LBB298_219:
	v_mov_b64_e32 v[58:59], 0
	s_branch .LBB298_222
.LBB298_220:
	s_or_b64 exec, exec, s[26:27]
	v_cmp_gt_i64_e32 vcc, s[12:13], v[30:31]
	s_mov_b32 s26, 0
	v_mov_b32_e32 v59, s26
	v_cndmask_b32_e64 v58, 0, 1, vcc
.LBB298_221:
	s_or_b64 exec, exec, s[24:25]
.LBB298_222:
	s_or_b64 exec, exec, s[22:23]
	v_add_u32_e32 v26, 6, v1
	v_cmp_gt_u32_e32 vcc, s7, v26
	v_mov_b64_e32 v[60:61], v[14:15]
	s_and_saveexec_b64 s[22:23], vcc
	s_cbranch_execz .LBB298_233
; %bb.223:
	s_and_b64 vcc, exec, s[2:3]
	s_cbranch_vccnz .LBB298_230
; %bb.224:
	v_mov_b64_e32 v[28:29], s[14:15]
	v_mad_u64_u32 v[26:27], s[24:25], v14, s12, v[28:29]
	s_waitcnt lgkmcnt(0)
	v_mul_lo_u32 v30, v14, s13
	v_mul_lo_u32 v31, v15, s12
	v_add3_u32 v27, v31, v27, v30
	v_mad_u64_u32 v[28:29], s[24:25], v12, s12, v[28:29]
	v_mul_lo_u32 v30, v12, s13
	v_mul_lo_u32 v31, v13, s12
	v_add3_u32 v29, v31, v29, v30
	global_load_ubyte v30, v[26:27], off
	global_load_ubyte v31, v[28:29], off
	v_mov_b64_e32 v[60:61], 1
	s_waitcnt vmcnt(0)
	v_cmp_eq_u16_e32 vcc, v30, v31
	s_and_saveexec_b64 s[24:25], vcc
	s_cbranch_execz .LBB298_232
; %bb.225:
	s_mov_b64 s[30:31], 1
	s_mov_b64 s[26:27], 0
                                        ; implicit-def: $sgpr28_sgpr29
	s_branch .LBB298_228
.LBB298_226:                            ;   in Loop: Header=BB298_228 Depth=1
	v_lshl_add_u64 v[30:31], v[26:27], 0, s[30:31]
	v_lshl_add_u64 v[32:33], v[28:29], 0, s[30:31]
	global_load_ubyte v34, v[30:31], off
	global_load_ubyte v35, v[32:33], off
	s_add_u32 s34, s30, 1
	s_addc_u32 s35, s31, 0
	s_andn2_b64 s[28:29], s[28:29], exec
	s_waitcnt vmcnt(0)
	v_cmp_ne_u16_e32 vcc, v34, v35
	s_and_b64 s[36:37], vcc, exec
	s_or_b64 s[28:29], s[28:29], s[36:37]
.LBB298_227:                            ;   in Loop: Header=BB298_228 Depth=1
	s_and_b64 s[36:37], exec, s[28:29]
	s_or_b64 s[26:27], s[36:37], s[26:27]
	v_mov_b64_e32 v[30:31], s[30:31]
	s_mov_b64 s[30:31], s[34:35]
	s_andn2_b64 exec, exec, s[26:27]
	s_cbranch_execz .LBB298_231
.LBB298_228:                            ; =>This Inner Loop Header: Depth=1
	s_or_b64 s[28:29], s[28:29], exec
	s_cmp_eq_u64 s[12:13], s[30:31]
	s_cbranch_scc0 .LBB298_226
; %bb.229:                              ;   in Loop: Header=BB298_228 Depth=1
                                        ; implicit-def: $sgpr34_sgpr35
	s_mov_b64 s[30:31], s[12:13]
	s_branch .LBB298_227
.LBB298_230:
	v_mov_b64_e32 v[60:61], 0
	s_branch .LBB298_233
.LBB298_231:
	s_or_b64 exec, exec, s[26:27]
	v_cmp_gt_i64_e32 vcc, s[12:13], v[30:31]
	s_mov_b32 s26, 0
	v_mov_b32_e32 v61, s26
	v_cndmask_b32_e64 v60, 0, 1, vcc
.LBB298_232:
	s_or_b64 exec, exec, s[24:25]
.LBB298_233:
	s_or_b64 exec, exec, s[22:23]
	v_add_u32_e32 v26, 5, v1
	v_cmp_gt_u32_e32 vcc, s7, v26
	v_mov_b64_e32 v[62:63], v[12:13]
	s_and_saveexec_b64 s[22:23], vcc
	s_cbranch_execz .LBB298_244
; %bb.234:
	s_and_b64 vcc, exec, s[2:3]
	s_cbranch_vccnz .LBB298_241
; %bb.235:
	v_mov_b64_e32 v[28:29], s[14:15]
	v_mad_u64_u32 v[26:27], s[24:25], v12, s12, v[28:29]
	s_waitcnt lgkmcnt(0)
	v_mul_lo_u32 v30, v12, s13
	v_mul_lo_u32 v31, v13, s12
	v_add3_u32 v27, v31, v27, v30
	v_mad_u64_u32 v[28:29], s[24:25], v10, s12, v[28:29]
	v_mul_lo_u32 v30, v10, s13
	v_mul_lo_u32 v31, v11, s12
	v_add3_u32 v29, v31, v29, v30
	global_load_ubyte v30, v[26:27], off
	global_load_ubyte v31, v[28:29], off
	v_mov_b64_e32 v[62:63], 1
	s_waitcnt vmcnt(0)
	v_cmp_eq_u16_e32 vcc, v30, v31
	s_and_saveexec_b64 s[24:25], vcc
	s_cbranch_execz .LBB298_243
; %bb.236:
	s_mov_b64 s[30:31], 1
	s_mov_b64 s[26:27], 0
                                        ; implicit-def: $sgpr28_sgpr29
	s_branch .LBB298_239
.LBB298_237:                            ;   in Loop: Header=BB298_239 Depth=1
	v_lshl_add_u64 v[30:31], v[26:27], 0, s[30:31]
	v_lshl_add_u64 v[32:33], v[28:29], 0, s[30:31]
	global_load_ubyte v34, v[30:31], off
	global_load_ubyte v35, v[32:33], off
	s_add_u32 s34, s30, 1
	s_addc_u32 s35, s31, 0
	s_andn2_b64 s[28:29], s[28:29], exec
	s_waitcnt vmcnt(0)
	v_cmp_ne_u16_e32 vcc, v34, v35
	s_and_b64 s[36:37], vcc, exec
	s_or_b64 s[28:29], s[28:29], s[36:37]
.LBB298_238:                            ;   in Loop: Header=BB298_239 Depth=1
	s_and_b64 s[36:37], exec, s[28:29]
	s_or_b64 s[26:27], s[36:37], s[26:27]
	v_mov_b64_e32 v[30:31], s[30:31]
	s_mov_b64 s[30:31], s[34:35]
	s_andn2_b64 exec, exec, s[26:27]
	s_cbranch_execz .LBB298_242
.LBB298_239:                            ; =>This Inner Loop Header: Depth=1
	s_or_b64 s[28:29], s[28:29], exec
	s_cmp_eq_u64 s[12:13], s[30:31]
	s_cbranch_scc0 .LBB298_237
; %bb.240:                              ;   in Loop: Header=BB298_239 Depth=1
                                        ; implicit-def: $sgpr34_sgpr35
	s_mov_b64 s[30:31], s[12:13]
	s_branch .LBB298_238
.LBB298_241:
	v_mov_b64_e32 v[62:63], 0
	s_branch .LBB298_244
.LBB298_242:
	s_or_b64 exec, exec, s[26:27]
	v_cmp_gt_i64_e32 vcc, s[12:13], v[30:31]
	s_mov_b32 s26, 0
	v_mov_b32_e32 v63, s26
	v_cndmask_b32_e64 v62, 0, 1, vcc
.LBB298_243:
	s_or_b64 exec, exec, s[24:25]
.LBB298_244:
	s_or_b64 exec, exec, s[22:23]
	v_add_u32_e32 v26, 4, v1
	v_cmp_gt_u32_e32 vcc, s7, v26
	v_mov_b64_e32 v[64:65], v[10:11]
	s_and_saveexec_b64 s[22:23], vcc
	s_cbranch_execz .LBB298_255
; %bb.245:
	s_and_b64 vcc, exec, s[2:3]
	s_cbranch_vccnz .LBB298_252
; %bb.246:
	v_mov_b64_e32 v[28:29], s[14:15]
	v_mad_u64_u32 v[26:27], s[24:25], v10, s12, v[28:29]
	s_waitcnt lgkmcnt(0)
	v_mul_lo_u32 v30, v10, s13
	v_mul_lo_u32 v31, v11, s12
	v_add3_u32 v27, v31, v27, v30
	v_mad_u64_u32 v[28:29], s[24:25], v8, s12, v[28:29]
	v_mul_lo_u32 v30, v8, s13
	v_mul_lo_u32 v31, v9, s12
	v_add3_u32 v29, v31, v29, v30
	global_load_ubyte v30, v[26:27], off
	global_load_ubyte v31, v[28:29], off
	v_mov_b64_e32 v[64:65], 1
	s_waitcnt vmcnt(0)
	v_cmp_eq_u16_e32 vcc, v30, v31
	s_and_saveexec_b64 s[24:25], vcc
	s_cbranch_execz .LBB298_254
; %bb.247:
	s_mov_b64 s[30:31], 1
	s_mov_b64 s[26:27], 0
                                        ; implicit-def: $sgpr28_sgpr29
	s_branch .LBB298_250
.LBB298_248:                            ;   in Loop: Header=BB298_250 Depth=1
	v_lshl_add_u64 v[30:31], v[26:27], 0, s[30:31]
	v_lshl_add_u64 v[32:33], v[28:29], 0, s[30:31]
	global_load_ubyte v34, v[30:31], off
	global_load_ubyte v35, v[32:33], off
	s_add_u32 s34, s30, 1
	s_addc_u32 s35, s31, 0
	s_andn2_b64 s[28:29], s[28:29], exec
	s_waitcnt vmcnt(0)
	v_cmp_ne_u16_e32 vcc, v34, v35
	s_and_b64 s[36:37], vcc, exec
	s_or_b64 s[28:29], s[28:29], s[36:37]
.LBB298_249:                            ;   in Loop: Header=BB298_250 Depth=1
	s_and_b64 s[36:37], exec, s[28:29]
	s_or_b64 s[26:27], s[36:37], s[26:27]
	v_mov_b64_e32 v[30:31], s[30:31]
	s_mov_b64 s[30:31], s[34:35]
	s_andn2_b64 exec, exec, s[26:27]
	s_cbranch_execz .LBB298_253
.LBB298_250:                            ; =>This Inner Loop Header: Depth=1
	s_or_b64 s[28:29], s[28:29], exec
	s_cmp_eq_u64 s[12:13], s[30:31]
	s_cbranch_scc0 .LBB298_248
; %bb.251:                              ;   in Loop: Header=BB298_250 Depth=1
                                        ; implicit-def: $sgpr34_sgpr35
	s_mov_b64 s[30:31], s[12:13]
	s_branch .LBB298_249
.LBB298_252:
	v_mov_b64_e32 v[64:65], 0
	s_branch .LBB298_255
.LBB298_253:
	s_or_b64 exec, exec, s[26:27]
	v_cmp_gt_i64_e32 vcc, s[12:13], v[30:31]
	s_mov_b32 s26, 0
	v_mov_b32_e32 v65, s26
	v_cndmask_b32_e64 v64, 0, 1, vcc
.LBB298_254:
	s_or_b64 exec, exec, s[24:25]
.LBB298_255:
	s_or_b64 exec, exec, s[22:23]
	v_add_u32_e32 v26, 3, v1
	v_cmp_gt_u32_e32 vcc, s7, v26
	v_mov_b64_e32 v[66:67], v[8:9]
	s_and_saveexec_b64 s[22:23], vcc
	s_cbranch_execz .LBB298_266
; %bb.256:
	s_and_b64 vcc, exec, s[2:3]
	s_cbranch_vccnz .LBB298_263
; %bb.257:
	v_mov_b64_e32 v[28:29], s[14:15]
	v_mad_u64_u32 v[26:27], s[24:25], v8, s12, v[28:29]
	s_waitcnt lgkmcnt(0)
	v_mul_lo_u32 v30, v8, s13
	v_mul_lo_u32 v31, v9, s12
	v_add3_u32 v27, v31, v27, v30
	v_mad_u64_u32 v[28:29], s[24:25], v6, s12, v[28:29]
	v_mul_lo_u32 v30, v6, s13
	v_mul_lo_u32 v31, v7, s12
	v_add3_u32 v29, v31, v29, v30
	global_load_ubyte v30, v[26:27], off
	global_load_ubyte v31, v[28:29], off
	v_mov_b64_e32 v[66:67], 1
	s_waitcnt vmcnt(0)
	v_cmp_eq_u16_e32 vcc, v30, v31
	s_and_saveexec_b64 s[24:25], vcc
	s_cbranch_execz .LBB298_265
; %bb.258:
	s_mov_b64 s[30:31], 1
	s_mov_b64 s[26:27], 0
                                        ; implicit-def: $sgpr28_sgpr29
	s_branch .LBB298_261
.LBB298_259:                            ;   in Loop: Header=BB298_261 Depth=1
	v_lshl_add_u64 v[30:31], v[26:27], 0, s[30:31]
	v_lshl_add_u64 v[32:33], v[28:29], 0, s[30:31]
	global_load_ubyte v34, v[30:31], off
	global_load_ubyte v35, v[32:33], off
	s_add_u32 s34, s30, 1
	s_addc_u32 s35, s31, 0
	s_andn2_b64 s[28:29], s[28:29], exec
	s_waitcnt vmcnt(0)
	v_cmp_ne_u16_e32 vcc, v34, v35
	s_and_b64 s[36:37], vcc, exec
	s_or_b64 s[28:29], s[28:29], s[36:37]
.LBB298_260:                            ;   in Loop: Header=BB298_261 Depth=1
	s_and_b64 s[36:37], exec, s[28:29]
	s_or_b64 s[26:27], s[36:37], s[26:27]
	v_mov_b64_e32 v[30:31], s[30:31]
	s_mov_b64 s[30:31], s[34:35]
	s_andn2_b64 exec, exec, s[26:27]
	s_cbranch_execz .LBB298_264
.LBB298_261:                            ; =>This Inner Loop Header: Depth=1
	s_or_b64 s[28:29], s[28:29], exec
	s_cmp_eq_u64 s[12:13], s[30:31]
	s_cbranch_scc0 .LBB298_259
; %bb.262:                              ;   in Loop: Header=BB298_261 Depth=1
                                        ; implicit-def: $sgpr34_sgpr35
	s_mov_b64 s[30:31], s[12:13]
	s_branch .LBB298_260
.LBB298_263:
	v_mov_b64_e32 v[66:67], 0
	s_branch .LBB298_266
.LBB298_264:
	s_or_b64 exec, exec, s[26:27]
	v_cmp_gt_i64_e32 vcc, s[12:13], v[30:31]
	s_mov_b32 s26, 0
	v_mov_b32_e32 v67, s26
	v_cndmask_b32_e64 v66, 0, 1, vcc
.LBB298_265:
	s_or_b64 exec, exec, s[24:25]
.LBB298_266:
	s_or_b64 exec, exec, s[22:23]
	v_add_u32_e32 v26, 2, v1
	v_cmp_gt_u32_e32 vcc, s7, v26
	v_mov_b64_e32 v[68:69], v[6:7]
	s_and_saveexec_b64 s[22:23], vcc
	s_cbranch_execz .LBB298_277
; %bb.267:
	s_and_b64 vcc, exec, s[2:3]
	s_cbranch_vccnz .LBB298_274
; %bb.268:
	v_mov_b64_e32 v[28:29], s[14:15]
	v_mad_u64_u32 v[26:27], s[24:25], v6, s12, v[28:29]
	s_waitcnt lgkmcnt(0)
	v_mul_lo_u32 v30, v6, s13
	v_mul_lo_u32 v31, v7, s12
	v_add3_u32 v27, v31, v27, v30
	v_mad_u64_u32 v[28:29], s[24:25], v4, s12, v[28:29]
	v_mul_lo_u32 v30, v4, s13
	v_mul_lo_u32 v31, v5, s12
	v_add3_u32 v29, v31, v29, v30
	global_load_ubyte v30, v[26:27], off
	global_load_ubyte v31, v[28:29], off
	v_mov_b64_e32 v[68:69], 1
	s_waitcnt vmcnt(0)
	v_cmp_eq_u16_e32 vcc, v30, v31
	s_and_saveexec_b64 s[24:25], vcc
	s_cbranch_execz .LBB298_276
; %bb.269:
	s_mov_b64 s[30:31], 1
	s_mov_b64 s[26:27], 0
                                        ; implicit-def: $sgpr28_sgpr29
	s_branch .LBB298_272
.LBB298_270:                            ;   in Loop: Header=BB298_272 Depth=1
	v_lshl_add_u64 v[30:31], v[26:27], 0, s[30:31]
	v_lshl_add_u64 v[32:33], v[28:29], 0, s[30:31]
	global_load_ubyte v34, v[30:31], off
	global_load_ubyte v35, v[32:33], off
	s_add_u32 s34, s30, 1
	s_addc_u32 s35, s31, 0
	s_andn2_b64 s[28:29], s[28:29], exec
	s_waitcnt vmcnt(0)
	v_cmp_ne_u16_e32 vcc, v34, v35
	s_and_b64 s[36:37], vcc, exec
	s_or_b64 s[28:29], s[28:29], s[36:37]
.LBB298_271:                            ;   in Loop: Header=BB298_272 Depth=1
	s_and_b64 s[36:37], exec, s[28:29]
	s_or_b64 s[26:27], s[36:37], s[26:27]
	v_mov_b64_e32 v[30:31], s[30:31]
	s_mov_b64 s[30:31], s[34:35]
	s_andn2_b64 exec, exec, s[26:27]
	s_cbranch_execz .LBB298_275
.LBB298_272:                            ; =>This Inner Loop Header: Depth=1
	s_or_b64 s[28:29], s[28:29], exec
	s_cmp_eq_u64 s[12:13], s[30:31]
	s_cbranch_scc0 .LBB298_270
; %bb.273:                              ;   in Loop: Header=BB298_272 Depth=1
                                        ; implicit-def: $sgpr34_sgpr35
	s_mov_b64 s[30:31], s[12:13]
	s_branch .LBB298_271
.LBB298_274:
	v_mov_b64_e32 v[68:69], 0
	s_branch .LBB298_277
.LBB298_275:
	s_or_b64 exec, exec, s[26:27]
	v_cmp_gt_i64_e32 vcc, s[12:13], v[30:31]
	s_mov_b32 s26, 0
	v_mov_b32_e32 v69, s26
	v_cndmask_b32_e64 v68, 0, 1, vcc
.LBB298_276:
	s_or_b64 exec, exec, s[24:25]
.LBB298_277:
	s_or_b64 exec, exec, s[22:23]
	v_add_u32_e32 v26, 1, v1
	v_cmp_gt_u32_e32 vcc, s7, v26
	v_mov_b64_e32 v[70:71], v[4:5]
	s_and_saveexec_b64 s[22:23], vcc
	s_cbranch_execz .LBB298_288
; %bb.278:
	s_and_b64 vcc, exec, s[2:3]
	s_cbranch_vccnz .LBB298_285
; %bb.279:
	v_mov_b64_e32 v[28:29], s[14:15]
	v_mad_u64_u32 v[26:27], s[24:25], v4, s12, v[28:29]
	s_waitcnt lgkmcnt(0)
	v_mul_lo_u32 v30, v4, s13
	v_mul_lo_u32 v31, v5, s12
	v_add3_u32 v27, v31, v27, v30
	v_mad_u64_u32 v[28:29], s[24:25], v2, s12, v[28:29]
	v_mul_lo_u32 v30, v2, s13
	v_mul_lo_u32 v31, v3, s12
	v_add3_u32 v29, v31, v29, v30
	global_load_ubyte v30, v[26:27], off
	global_load_ubyte v31, v[28:29], off
	v_mov_b64_e32 v[70:71], 1
	s_waitcnt vmcnt(0)
	v_cmp_eq_u16_e32 vcc, v30, v31
	s_and_saveexec_b64 s[24:25], vcc
	s_cbranch_execz .LBB298_287
; %bb.280:
	s_mov_b64 s[30:31], 1
	s_mov_b64 s[26:27], 0
                                        ; implicit-def: $sgpr28_sgpr29
	s_branch .LBB298_283
.LBB298_281:                            ;   in Loop: Header=BB298_283 Depth=1
	v_lshl_add_u64 v[30:31], v[26:27], 0, s[30:31]
	v_lshl_add_u64 v[32:33], v[28:29], 0, s[30:31]
	global_load_ubyte v34, v[30:31], off
	global_load_ubyte v35, v[32:33], off
	s_add_u32 s34, s30, 1
	s_addc_u32 s35, s31, 0
	s_andn2_b64 s[28:29], s[28:29], exec
	s_waitcnt vmcnt(0)
	v_cmp_ne_u16_e32 vcc, v34, v35
	s_and_b64 s[36:37], vcc, exec
	s_or_b64 s[28:29], s[28:29], s[36:37]
.LBB298_282:                            ;   in Loop: Header=BB298_283 Depth=1
	s_and_b64 s[36:37], exec, s[28:29]
	s_or_b64 s[26:27], s[36:37], s[26:27]
	v_mov_b64_e32 v[30:31], s[30:31]
	s_mov_b64 s[30:31], s[34:35]
	s_andn2_b64 exec, exec, s[26:27]
	s_cbranch_execz .LBB298_286
.LBB298_283:                            ; =>This Inner Loop Header: Depth=1
	s_or_b64 s[28:29], s[28:29], exec
	s_cmp_eq_u64 s[12:13], s[30:31]
	s_cbranch_scc0 .LBB298_281
; %bb.284:                              ;   in Loop: Header=BB298_283 Depth=1
                                        ; implicit-def: $sgpr34_sgpr35
	s_mov_b64 s[30:31], s[12:13]
	s_branch .LBB298_282
.LBB298_285:
	v_mov_b64_e32 v[70:71], 0
	s_branch .LBB298_288
.LBB298_286:
	s_or_b64 exec, exec, s[26:27]
	v_cmp_gt_i64_e32 vcc, s[12:13], v[30:31]
	s_mov_b32 s26, 0
	v_mov_b32_e32 v71, s26
	v_cndmask_b32_e64 v70, 0, 1, vcc
.LBB298_287:
	s_or_b64 exec, exec, s[24:25]
.LBB298_288:
	s_or_b64 exec, exec, s[22:23]
	v_cmp_ne_u32_e32 vcc, 0, v0
	s_waitcnt lgkmcnt(0)
	v_mov_b64_e32 v[30:31], s[20:21]
	s_waitcnt lgkmcnt(0)
	; wave barrier
	s_and_saveexec_b64 s[20:21], vcc
	s_cbranch_execz .LBB298_290
; %bb.289:
	v_add_u32_e32 v26, -8, v48
	ds_read_b64 v[30:31], v26
.LBB298_290:
	s_or_b64 exec, exec, s[20:21]
	v_cmp_gt_u32_e32 vcc, s7, v1
                                        ; implicit-def: $sgpr24_sgpr25
	s_and_saveexec_b64 s[20:21], vcc
	s_cbranch_execz .LBB298_302
; %bb.291:
	s_and_b64 vcc, exec, s[2:3]
	s_cbranch_vccnz .LBB298_298
; %bb.292:
	v_mov_b64_e32 v[28:29], s[14:15]
	v_mad_u64_u32 v[26:27], s[2:3], v2, s12, v[28:29]
	v_mul_lo_u32 v1, v2, s13
	v_mul_lo_u32 v32, v3, s12
	v_add3_u32 v27, v32, v27, v1
	s_waitcnt lgkmcnt(0)
	v_mad_u64_u32 v[28:29], s[2:3], v30, s12, v[28:29]
	v_mul_lo_u32 v1, v30, s13
	v_mul_lo_u32 v30, v31, s12
	v_add3_u32 v29, v30, v29, v1
	global_load_ubyte v1, v[26:27], off
	global_load_ubyte v30, v[28:29], off
	s_mov_b64 s[22:23], -1
	s_waitcnt vmcnt(0)
	v_cmp_eq_u16_e32 vcc, v1, v30
	s_and_saveexec_b64 s[2:3], vcc
	s_cbranch_execz .LBB298_300
; %bb.293:
	s_mov_b64 s[26:27], 1
	s_mov_b64 s[22:23], 0
                                        ; implicit-def: $sgpr24_sgpr25
	s_branch .LBB298_296
.LBB298_294:                            ;   in Loop: Header=BB298_296 Depth=1
	v_lshl_add_u64 v[30:31], v[26:27], 0, s[26:27]
	v_lshl_add_u64 v[32:33], v[28:29], 0, s[26:27]
	global_load_ubyte v1, v[30:31], off
	global_load_ubyte v34, v[32:33], off
	s_add_u32 s28, s26, 1
	s_addc_u32 s29, s27, 0
	s_andn2_b64 s[24:25], s[24:25], exec
	s_waitcnt vmcnt(0)
	v_cmp_ne_u16_e32 vcc, v1, v34
	s_and_b64 s[30:31], vcc, exec
	s_or_b64 s[24:25], s[24:25], s[30:31]
.LBB298_295:                            ;   in Loop: Header=BB298_296 Depth=1
	s_and_b64 s[30:31], exec, s[24:25]
	s_or_b64 s[22:23], s[30:31], s[22:23]
	v_mov_b64_e32 v[30:31], s[26:27]
	s_mov_b64 s[26:27], s[28:29]
	s_andn2_b64 exec, exec, s[22:23]
	s_cbranch_execz .LBB298_299
.LBB298_296:                            ; =>This Inner Loop Header: Depth=1
	s_or_b64 s[24:25], s[24:25], exec
	s_cmp_eq_u64 s[12:13], s[26:27]
	s_cbranch_scc0 .LBB298_294
; %bb.297:                              ;   in Loop: Header=BB298_296 Depth=1
                                        ; implicit-def: $sgpr28_sgpr29
	s_mov_b64 s[26:27], s[12:13]
	s_branch .LBB298_295
.LBB298_298:
	s_mov_b64 s[22:23], 0
	s_branch .LBB298_301
.LBB298_299:
	s_or_b64 exec, exec, s[22:23]
	v_cmp_gt_i64_e32 vcc, s[12:13], v[30:31]
	s_orn2_b64 s[22:23], vcc, exec
.LBB298_300:
	s_or_b64 exec, exec, s[2:3]
.LBB298_301:
	s_and_b64 s[24:25], s[22:23], exec
	s_or_b64 s[18:19], s[18:19], exec
.LBB298_302:
	s_or_b64 exec, exec, s[20:21]
	v_mov_b64_e32 v[72:73], v[52:53]
	v_mov_b64_e32 v[26:27], v[46:47]
	;; [unrolled: 1-line block ×10, first 2 shown]
	s_waitcnt lgkmcnt(0)
	v_mov_b64_e32 v[30:31], v[54:55]
	s_branch .LBB298_572
.LBB298_303:
	s_cmp_lg_u64 s[4:5], 1
	s_cbranch_scc0 .LBB298_311
; %bb.304:
	v_mul_lo_u32 v1, v25, s12
	v_mul_lo_u32 v28, v24, s13
	s_waitcnt lgkmcnt(0)
	v_mad_u64_u32 v[26:27], s[20:21], v24, s12, 0
	v_mov_b64_e32 v[46:47], 0
	v_cmp_lt_i64_e64 s[2:3], s[12:13], 1
	v_add3_u32 v27, v27, v28, v1
	v_cmp_gt_i64_e64 s[4:5], s[12:13], 0
	s_and_b64 vcc, exec, s[2:3]
	v_lshl_add_u64 v[26:27], s[14:15], 0, v[26:27]
	v_mov_b64_e32 v[50:51], v[46:47]
	ds_write_b64 v48, v[44:45]
	s_cbranch_vccnz .LBB298_314
; %bb.305:
	v_mov_b64_e32 v[28:29], s[14:15]
	v_mad_u64_u32 v[28:29], s[2:3], v44, s12, v[28:29]
	v_mul_lo_u32 v1, v44, s13
	v_mul_lo_u32 v30, v45, s12
	v_add3_u32 v29, v30, v29, v1
	global_load_ubyte v1, v[28:29], off
	global_load_ubyte v30, v[26:27], off
	v_mov_b64_e32 v[50:51], 1
	s_waitcnt vmcnt(0)
	v_cmp_eq_u16_e32 vcc, v1, v30
	s_and_saveexec_b64 s[2:3], vcc
	s_cbranch_execz .LBB298_313
; %bb.306:
	s_mov_b64 s[24:25], 1
	s_mov_b64 s[20:21], 0
                                        ; implicit-def: $sgpr22_sgpr23
	s_branch .LBB298_309
.LBB298_307:                            ;   in Loop: Header=BB298_309 Depth=1
	v_lshl_add_u64 v[30:31], v[28:29], 0, s[24:25]
	v_lshl_add_u64 v[32:33], v[26:27], 0, s[24:25]
	global_load_ubyte v1, v[30:31], off
	global_load_ubyte v34, v[32:33], off
	s_add_u32 s26, s24, 1
	s_addc_u32 s27, s25, 0
	s_andn2_b64 s[22:23], s[22:23], exec
	s_waitcnt vmcnt(0)
	v_cmp_ne_u16_e32 vcc, v1, v34
	s_and_b64 s[28:29], vcc, exec
	s_or_b64 s[22:23], s[22:23], s[28:29]
.LBB298_308:                            ;   in Loop: Header=BB298_309 Depth=1
	s_and_b64 s[28:29], exec, s[22:23]
	s_or_b64 s[20:21], s[28:29], s[20:21]
	v_mov_b64_e32 v[30:31], s[24:25]
	s_mov_b64 s[24:25], s[26:27]
	s_andn2_b64 exec, exec, s[20:21]
	s_cbranch_execz .LBB298_312
.LBB298_309:                            ; =>This Inner Loop Header: Depth=1
	s_or_b64 s[22:23], s[22:23], exec
	s_cmp_eq_u64 s[12:13], s[24:25]
	s_cbranch_scc0 .LBB298_307
; %bb.310:                              ;   in Loop: Header=BB298_309 Depth=1
                                        ; implicit-def: $sgpr26_sgpr27
	s_mov_b64 s[24:25], s[12:13]
	s_branch .LBB298_308
.LBB298_311:
                                        ; implicit-def: $vgpr26_vgpr27_vgpr28_vgpr29
                                        ; implicit-def: $sgpr24_sgpr25
                                        ; implicit-def: $vgpr50_vgpr51
                                        ; implicit-def: $vgpr52_vgpr53
                                        ; implicit-def: $vgpr46_vgpr47
                                        ; implicit-def: $vgpr70_vgpr71
                                        ; implicit-def: $vgpr68_vgpr69
                                        ; implicit-def: $vgpr66_vgpr67
                                        ; implicit-def: $vgpr64_vgpr65
                                        ; implicit-def: $vgpr62_vgpr63
                                        ; implicit-def: $vgpr60_vgpr61
                                        ; implicit-def: $vgpr58_vgpr59
                                        ; implicit-def: $vgpr56_vgpr57
                                        ; implicit-def: $vgpr54_vgpr55
                                        ; implicit-def: $vgpr72_vgpr73
                                        ; implicit-def: $vgpr82_vgpr83
                                        ; implicit-def: $vgpr74_vgpr75
                                        ; implicit-def: $vgpr76_vgpr77
                                        ; implicit-def: $vgpr78_vgpr79
                                        ; implicit-def: $vgpr80_vgpr81
                                        ; implicit-def: $vgpr28_vgpr29_vgpr30_vgpr31
                                        ; implicit-def: $vgpr32_vgpr33_vgpr34_vgpr35
                                        ; implicit-def: $vgpr36_vgpr37_vgpr38_vgpr39
                                        ; implicit-def: $vgpr40_vgpr41_vgpr42_vgpr43
	s_cbranch_execnz .LBB298_427
	s_branch .LBB298_572
.LBB298_312:
	s_or_b64 exec, exec, s[20:21]
	v_cmp_gt_i64_e32 vcc, s[12:13], v[30:31]
	s_mov_b32 s7, 0
	v_mov_b32_e32 v51, s7
	v_cndmask_b32_e64 v50, 0, 1, vcc
.LBB298_313:
	s_or_b64 exec, exec, s[2:3]
.LBB298_314:
	v_mul_lo_u32 v1, v23, s12
	v_mul_lo_u32 v30, v22, s13
	v_mad_u64_u32 v[28:29], s[2:3], v22, s12, 0
	v_add3_u32 v29, v29, v30, v1
	v_cndmask_b32_e64 v1, 0, 1, s[4:5]
	v_cmp_ne_u32_e64 s[2:3], 1, v1
	s_andn2_b64 vcc, exec, s[4:5]
	v_lshl_add_u64 v[28:29], s[14:15], 0, v[28:29]
	v_mov_b64_e32 v[52:53], v[46:47]
	s_cbranch_vccnz .LBB298_323
; %bb.315:
	global_load_ubyte v1, v[26:27], off
	global_load_ubyte v30, v[28:29], off
	v_mov_b64_e32 v[52:53], 1
	s_waitcnt vmcnt(0)
	v_cmp_eq_u16_e32 vcc, v1, v30
	s_and_saveexec_b64 s[4:5], vcc
	s_cbranch_execz .LBB298_322
; %bb.316:
	s_mov_b64 s[24:25], 1
	s_mov_b64 s[20:21], 0
                                        ; implicit-def: $sgpr22_sgpr23
	s_branch .LBB298_319
.LBB298_317:                            ;   in Loop: Header=BB298_319 Depth=1
	v_lshl_add_u64 v[30:31], v[26:27], 0, s[24:25]
	v_lshl_add_u64 v[32:33], v[28:29], 0, s[24:25]
	global_load_ubyte v1, v[30:31], off
	global_load_ubyte v34, v[32:33], off
	s_add_u32 s26, s24, 1
	s_addc_u32 s27, s25, 0
	s_andn2_b64 s[22:23], s[22:23], exec
	s_waitcnt vmcnt(0)
	v_cmp_ne_u16_e32 vcc, v1, v34
	s_and_b64 s[28:29], vcc, exec
	s_or_b64 s[22:23], s[22:23], s[28:29]
.LBB298_318:                            ;   in Loop: Header=BB298_319 Depth=1
	s_and_b64 s[28:29], exec, s[22:23]
	s_or_b64 s[20:21], s[28:29], s[20:21]
	v_mov_b64_e32 v[30:31], s[24:25]
	s_mov_b64 s[24:25], s[26:27]
	s_andn2_b64 exec, exec, s[20:21]
	s_cbranch_execz .LBB298_321
.LBB298_319:                            ; =>This Inner Loop Header: Depth=1
	s_or_b64 s[22:23], s[22:23], exec
	s_cmp_eq_u64 s[12:13], s[24:25]
	s_cbranch_scc0 .LBB298_317
; %bb.320:                              ;   in Loop: Header=BB298_319 Depth=1
                                        ; implicit-def: $sgpr26_sgpr27
	s_mov_b64 s[24:25], s[12:13]
	s_branch .LBB298_318
.LBB298_321:
	s_or_b64 exec, exec, s[20:21]
	v_cmp_gt_i64_e32 vcc, s[12:13], v[30:31]
	s_mov_b32 s7, 0
	v_mov_b32_e32 v53, s7
	v_cndmask_b32_e64 v52, 0, 1, vcc
.LBB298_322:
	s_or_b64 exec, exec, s[4:5]
.LBB298_323:
	v_mul_lo_u32 v1, v21, s12
	v_mul_lo_u32 v30, v20, s13
	v_mad_u64_u32 v[26:27], s[4:5], v20, s12, 0
	v_add3_u32 v27, v27, v30, v1
	s_and_b64 vcc, exec, s[2:3]
	v_lshl_add_u64 v[26:27], s[14:15], 0, v[26:27]
	s_cbranch_vccnz .LBB298_332
; %bb.324:
	global_load_ubyte v1, v[28:29], off
	global_load_ubyte v30, v[26:27], off
	v_mov_b64_e32 v[46:47], 1
	s_waitcnt vmcnt(0)
	v_cmp_eq_u16_e32 vcc, v1, v30
	s_and_saveexec_b64 s[4:5], vcc
	s_cbranch_execz .LBB298_331
; %bb.325:
	s_mov_b64 s[24:25], 1
	s_mov_b64 s[20:21], 0
                                        ; implicit-def: $sgpr22_sgpr23
	s_branch .LBB298_328
.LBB298_326:                            ;   in Loop: Header=BB298_328 Depth=1
	v_lshl_add_u64 v[30:31], v[28:29], 0, s[24:25]
	v_lshl_add_u64 v[32:33], v[26:27], 0, s[24:25]
	global_load_ubyte v1, v[30:31], off
	global_load_ubyte v34, v[32:33], off
	s_add_u32 s26, s24, 1
	s_addc_u32 s27, s25, 0
	s_andn2_b64 s[22:23], s[22:23], exec
	s_waitcnt vmcnt(0)
	v_cmp_ne_u16_e32 vcc, v1, v34
	s_and_b64 s[28:29], vcc, exec
	s_or_b64 s[22:23], s[22:23], s[28:29]
.LBB298_327:                            ;   in Loop: Header=BB298_328 Depth=1
	s_and_b64 s[28:29], exec, s[22:23]
	s_or_b64 s[20:21], s[28:29], s[20:21]
	v_mov_b64_e32 v[30:31], s[24:25]
	s_mov_b64 s[24:25], s[26:27]
	s_andn2_b64 exec, exec, s[20:21]
	s_cbranch_execz .LBB298_330
.LBB298_328:                            ; =>This Inner Loop Header: Depth=1
	s_or_b64 s[22:23], s[22:23], exec
	s_cmp_eq_u64 s[12:13], s[24:25]
	s_cbranch_scc0 .LBB298_326
; %bb.329:                              ;   in Loop: Header=BB298_328 Depth=1
                                        ; implicit-def: $sgpr26_sgpr27
	s_mov_b64 s[24:25], s[12:13]
	s_branch .LBB298_327
.LBB298_330:
	s_or_b64 exec, exec, s[20:21]
	v_cmp_gt_i64_e32 vcc, s[12:13], v[30:31]
	s_mov_b32 s7, 0
	v_mov_b32_e32 v47, s7
	v_cndmask_b32_e64 v46, 0, 1, vcc
.LBB298_331:
	s_or_b64 exec, exec, s[4:5]
.LBB298_332:
	v_mul_lo_u32 v1, v19, s12
	v_mul_lo_u32 v30, v18, s13
	v_mad_u64_u32 v[28:29], s[4:5], v18, s12, 0
	v_add3_u32 v29, v29, v30, v1
	v_mov_b64_e32 v[56:57], 0
	s_and_b64 vcc, exec, s[2:3]
	v_lshl_add_u64 v[28:29], s[14:15], 0, v[28:29]
	v_mov_b64_e32 v[54:55], v[56:57]
	s_cbranch_vccnz .LBB298_341
; %bb.333:
	global_load_ubyte v1, v[26:27], off
	global_load_ubyte v30, v[28:29], off
	v_mov_b64_e32 v[54:55], 1
	s_waitcnt vmcnt(0)
	v_cmp_eq_u16_e32 vcc, v1, v30
	s_and_saveexec_b64 s[4:5], vcc
	s_cbranch_execz .LBB298_340
; %bb.334:
	s_mov_b64 s[24:25], 1
	s_mov_b64 s[20:21], 0
                                        ; implicit-def: $sgpr22_sgpr23
	s_branch .LBB298_337
.LBB298_335:                            ;   in Loop: Header=BB298_337 Depth=1
	v_lshl_add_u64 v[30:31], v[26:27], 0, s[24:25]
	v_lshl_add_u64 v[32:33], v[28:29], 0, s[24:25]
	global_load_ubyte v1, v[30:31], off
	global_load_ubyte v34, v[32:33], off
	s_add_u32 s26, s24, 1
	s_addc_u32 s27, s25, 0
	s_andn2_b64 s[22:23], s[22:23], exec
	s_waitcnt vmcnt(0)
	v_cmp_ne_u16_e32 vcc, v1, v34
	s_and_b64 s[28:29], vcc, exec
	s_or_b64 s[22:23], s[22:23], s[28:29]
.LBB298_336:                            ;   in Loop: Header=BB298_337 Depth=1
	s_and_b64 s[28:29], exec, s[22:23]
	s_or_b64 s[20:21], s[28:29], s[20:21]
	v_mov_b64_e32 v[30:31], s[24:25]
	s_mov_b64 s[24:25], s[26:27]
	s_andn2_b64 exec, exec, s[20:21]
	s_cbranch_execz .LBB298_339
.LBB298_337:                            ; =>This Inner Loop Header: Depth=1
	s_or_b64 s[22:23], s[22:23], exec
	s_cmp_eq_u64 s[12:13], s[24:25]
	s_cbranch_scc0 .LBB298_335
; %bb.338:                              ;   in Loop: Header=BB298_337 Depth=1
                                        ; implicit-def: $sgpr26_sgpr27
	s_mov_b64 s[24:25], s[12:13]
	s_branch .LBB298_336
.LBB298_339:
	s_or_b64 exec, exec, s[20:21]
	v_cmp_gt_i64_e32 vcc, s[12:13], v[30:31]
	s_mov_b32 s7, 0
	v_mov_b32_e32 v55, s7
	v_cndmask_b32_e64 v54, 0, 1, vcc
.LBB298_340:
	s_or_b64 exec, exec, s[4:5]
.LBB298_341:
	v_mul_lo_u32 v1, v17, s12
	v_mul_lo_u32 v30, v16, s13
	v_mad_u64_u32 v[26:27], s[4:5], v16, s12, 0
	v_add3_u32 v27, v27, v30, v1
	s_and_b64 vcc, exec, s[2:3]
	v_lshl_add_u64 v[26:27], s[14:15], 0, v[26:27]
	s_cbranch_vccnz .LBB298_350
; %bb.342:
	global_load_ubyte v1, v[28:29], off
	global_load_ubyte v30, v[26:27], off
	v_mov_b64_e32 v[56:57], 1
	s_waitcnt vmcnt(0)
	v_cmp_eq_u16_e32 vcc, v1, v30
	s_and_saveexec_b64 s[4:5], vcc
	s_cbranch_execz .LBB298_349
; %bb.343:
	s_mov_b64 s[24:25], 1
	s_mov_b64 s[20:21], 0
                                        ; implicit-def: $sgpr22_sgpr23
	s_branch .LBB298_346
.LBB298_344:                            ;   in Loop: Header=BB298_346 Depth=1
	v_lshl_add_u64 v[30:31], v[28:29], 0, s[24:25]
	v_lshl_add_u64 v[32:33], v[26:27], 0, s[24:25]
	global_load_ubyte v1, v[30:31], off
	global_load_ubyte v34, v[32:33], off
	s_add_u32 s26, s24, 1
	s_addc_u32 s27, s25, 0
	s_andn2_b64 s[22:23], s[22:23], exec
	s_waitcnt vmcnt(0)
	v_cmp_ne_u16_e32 vcc, v1, v34
	s_and_b64 s[28:29], vcc, exec
	s_or_b64 s[22:23], s[22:23], s[28:29]
.LBB298_345:                            ;   in Loop: Header=BB298_346 Depth=1
	s_and_b64 s[28:29], exec, s[22:23]
	s_or_b64 s[20:21], s[28:29], s[20:21]
	v_mov_b64_e32 v[30:31], s[24:25]
	s_mov_b64 s[24:25], s[26:27]
	s_andn2_b64 exec, exec, s[20:21]
	s_cbranch_execz .LBB298_348
.LBB298_346:                            ; =>This Inner Loop Header: Depth=1
	s_or_b64 s[22:23], s[22:23], exec
	s_cmp_eq_u64 s[12:13], s[24:25]
	s_cbranch_scc0 .LBB298_344
; %bb.347:                              ;   in Loop: Header=BB298_346 Depth=1
                                        ; implicit-def: $sgpr26_sgpr27
	s_mov_b64 s[24:25], s[12:13]
	s_branch .LBB298_345
.LBB298_348:
	s_or_b64 exec, exec, s[20:21]
	v_cmp_gt_i64_e32 vcc, s[12:13], v[30:31]
	s_mov_b32 s7, 0
	v_mov_b32_e32 v57, s7
	v_cndmask_b32_e64 v56, 0, 1, vcc
.LBB298_349:
	s_or_b64 exec, exec, s[4:5]
.LBB298_350:
	v_mul_lo_u32 v1, v15, s12
	v_mul_lo_u32 v30, v14, s13
	v_mad_u64_u32 v[28:29], s[4:5], v14, s12, 0
	v_add3_u32 v29, v29, v30, v1
	v_mov_b64_e32 v[60:61], 0
	s_and_b64 vcc, exec, s[2:3]
	v_lshl_add_u64 v[28:29], s[14:15], 0, v[28:29]
	v_mov_b64_e32 v[58:59], v[60:61]
	s_cbranch_vccnz .LBB298_359
; %bb.351:
	global_load_ubyte v1, v[26:27], off
	global_load_ubyte v30, v[28:29], off
	v_mov_b64_e32 v[58:59], 1
	s_waitcnt vmcnt(0)
	v_cmp_eq_u16_e32 vcc, v1, v30
	s_and_saveexec_b64 s[4:5], vcc
	s_cbranch_execz .LBB298_358
; %bb.352:
	s_mov_b64 s[24:25], 1
	s_mov_b64 s[20:21], 0
                                        ; implicit-def: $sgpr22_sgpr23
	s_branch .LBB298_355
.LBB298_353:                            ;   in Loop: Header=BB298_355 Depth=1
	v_lshl_add_u64 v[30:31], v[26:27], 0, s[24:25]
	v_lshl_add_u64 v[32:33], v[28:29], 0, s[24:25]
	global_load_ubyte v1, v[30:31], off
	global_load_ubyte v34, v[32:33], off
	s_add_u32 s26, s24, 1
	s_addc_u32 s27, s25, 0
	s_andn2_b64 s[22:23], s[22:23], exec
	s_waitcnt vmcnt(0)
	v_cmp_ne_u16_e32 vcc, v1, v34
	s_and_b64 s[28:29], vcc, exec
	s_or_b64 s[22:23], s[22:23], s[28:29]
.LBB298_354:                            ;   in Loop: Header=BB298_355 Depth=1
	s_and_b64 s[28:29], exec, s[22:23]
	s_or_b64 s[20:21], s[28:29], s[20:21]
	v_mov_b64_e32 v[30:31], s[24:25]
	s_mov_b64 s[24:25], s[26:27]
	s_andn2_b64 exec, exec, s[20:21]
	s_cbranch_execz .LBB298_357
.LBB298_355:                            ; =>This Inner Loop Header: Depth=1
	s_or_b64 s[22:23], s[22:23], exec
	s_cmp_eq_u64 s[12:13], s[24:25]
	s_cbranch_scc0 .LBB298_353
; %bb.356:                              ;   in Loop: Header=BB298_355 Depth=1
                                        ; implicit-def: $sgpr26_sgpr27
	s_mov_b64 s[24:25], s[12:13]
	s_branch .LBB298_354
.LBB298_357:
	s_or_b64 exec, exec, s[20:21]
	v_cmp_gt_i64_e32 vcc, s[12:13], v[30:31]
	s_mov_b32 s7, 0
	v_mov_b32_e32 v59, s7
	v_cndmask_b32_e64 v58, 0, 1, vcc
.LBB298_358:
	s_or_b64 exec, exec, s[4:5]
.LBB298_359:
	v_mul_lo_u32 v1, v13, s12
	v_mul_lo_u32 v30, v12, s13
	v_mad_u64_u32 v[26:27], s[4:5], v12, s12, 0
	v_add3_u32 v27, v27, v30, v1
	s_and_b64 vcc, exec, s[2:3]
	v_lshl_add_u64 v[26:27], s[14:15], 0, v[26:27]
	s_cbranch_vccnz .LBB298_368
; %bb.360:
	global_load_ubyte v1, v[28:29], off
	global_load_ubyte v30, v[26:27], off
	v_mov_b64_e32 v[60:61], 1
	s_waitcnt vmcnt(0)
	v_cmp_eq_u16_e32 vcc, v1, v30
	s_and_saveexec_b64 s[4:5], vcc
	s_cbranch_execz .LBB298_367
; %bb.361:
	s_mov_b64 s[24:25], 1
	s_mov_b64 s[20:21], 0
                                        ; implicit-def: $sgpr22_sgpr23
	s_branch .LBB298_364
.LBB298_362:                            ;   in Loop: Header=BB298_364 Depth=1
	v_lshl_add_u64 v[30:31], v[28:29], 0, s[24:25]
	v_lshl_add_u64 v[32:33], v[26:27], 0, s[24:25]
	global_load_ubyte v1, v[30:31], off
	global_load_ubyte v34, v[32:33], off
	s_add_u32 s26, s24, 1
	s_addc_u32 s27, s25, 0
	s_andn2_b64 s[22:23], s[22:23], exec
	s_waitcnt vmcnt(0)
	v_cmp_ne_u16_e32 vcc, v1, v34
	s_and_b64 s[28:29], vcc, exec
	s_or_b64 s[22:23], s[22:23], s[28:29]
.LBB298_363:                            ;   in Loop: Header=BB298_364 Depth=1
	s_and_b64 s[28:29], exec, s[22:23]
	s_or_b64 s[20:21], s[28:29], s[20:21]
	v_mov_b64_e32 v[30:31], s[24:25]
	s_mov_b64 s[24:25], s[26:27]
	s_andn2_b64 exec, exec, s[20:21]
	s_cbranch_execz .LBB298_366
.LBB298_364:                            ; =>This Inner Loop Header: Depth=1
	s_or_b64 s[22:23], s[22:23], exec
	s_cmp_eq_u64 s[12:13], s[24:25]
	s_cbranch_scc0 .LBB298_362
; %bb.365:                              ;   in Loop: Header=BB298_364 Depth=1
                                        ; implicit-def: $sgpr26_sgpr27
	s_mov_b64 s[24:25], s[12:13]
	s_branch .LBB298_363
.LBB298_366:
	s_or_b64 exec, exec, s[20:21]
	v_cmp_gt_i64_e32 vcc, s[12:13], v[30:31]
	s_mov_b32 s7, 0
	v_mov_b32_e32 v61, s7
	v_cndmask_b32_e64 v60, 0, 1, vcc
.LBB298_367:
	s_or_b64 exec, exec, s[4:5]
.LBB298_368:
	v_mul_lo_u32 v1, v11, s12
	v_mul_lo_u32 v30, v10, s13
	v_mad_u64_u32 v[28:29], s[4:5], v10, s12, 0
	v_add3_u32 v29, v29, v30, v1
	v_mov_b64_e32 v[64:65], 0
	s_and_b64 vcc, exec, s[2:3]
	v_lshl_add_u64 v[28:29], s[14:15], 0, v[28:29]
	v_mov_b64_e32 v[62:63], v[64:65]
	s_cbranch_vccnz .LBB298_377
; %bb.369:
	global_load_ubyte v1, v[26:27], off
	global_load_ubyte v30, v[28:29], off
	v_mov_b64_e32 v[62:63], 1
	s_waitcnt vmcnt(0)
	v_cmp_eq_u16_e32 vcc, v1, v30
	s_and_saveexec_b64 s[4:5], vcc
	s_cbranch_execz .LBB298_376
; %bb.370:
	s_mov_b64 s[24:25], 1
	s_mov_b64 s[20:21], 0
                                        ; implicit-def: $sgpr22_sgpr23
	s_branch .LBB298_373
.LBB298_371:                            ;   in Loop: Header=BB298_373 Depth=1
	v_lshl_add_u64 v[30:31], v[26:27], 0, s[24:25]
	v_lshl_add_u64 v[32:33], v[28:29], 0, s[24:25]
	global_load_ubyte v1, v[30:31], off
	global_load_ubyte v34, v[32:33], off
	s_add_u32 s26, s24, 1
	s_addc_u32 s27, s25, 0
	s_andn2_b64 s[22:23], s[22:23], exec
	s_waitcnt vmcnt(0)
	v_cmp_ne_u16_e32 vcc, v1, v34
	s_and_b64 s[28:29], vcc, exec
	s_or_b64 s[22:23], s[22:23], s[28:29]
.LBB298_372:                            ;   in Loop: Header=BB298_373 Depth=1
	s_and_b64 s[28:29], exec, s[22:23]
	s_or_b64 s[20:21], s[28:29], s[20:21]
	v_mov_b64_e32 v[30:31], s[24:25]
	s_mov_b64 s[24:25], s[26:27]
	s_andn2_b64 exec, exec, s[20:21]
	s_cbranch_execz .LBB298_375
.LBB298_373:                            ; =>This Inner Loop Header: Depth=1
	s_or_b64 s[22:23], s[22:23], exec
	s_cmp_eq_u64 s[12:13], s[24:25]
	s_cbranch_scc0 .LBB298_371
; %bb.374:                              ;   in Loop: Header=BB298_373 Depth=1
                                        ; implicit-def: $sgpr26_sgpr27
	s_mov_b64 s[24:25], s[12:13]
	s_branch .LBB298_372
.LBB298_375:
	s_or_b64 exec, exec, s[20:21]
	v_cmp_gt_i64_e32 vcc, s[12:13], v[30:31]
	s_mov_b32 s7, 0
	v_mov_b32_e32 v63, s7
	v_cndmask_b32_e64 v62, 0, 1, vcc
.LBB298_376:
	s_or_b64 exec, exec, s[4:5]
.LBB298_377:
	v_mul_lo_u32 v1, v9, s12
	v_mul_lo_u32 v30, v8, s13
	v_mad_u64_u32 v[26:27], s[4:5], v8, s12, 0
	v_add3_u32 v27, v27, v30, v1
	s_and_b64 vcc, exec, s[2:3]
	v_lshl_add_u64 v[26:27], s[14:15], 0, v[26:27]
	s_cbranch_vccnz .LBB298_386
; %bb.378:
	global_load_ubyte v1, v[28:29], off
	global_load_ubyte v30, v[26:27], off
	v_mov_b64_e32 v[64:65], 1
	s_waitcnt vmcnt(0)
	v_cmp_eq_u16_e32 vcc, v1, v30
	s_and_saveexec_b64 s[4:5], vcc
	s_cbranch_execz .LBB298_385
; %bb.379:
	s_mov_b64 s[24:25], 1
	s_mov_b64 s[20:21], 0
                                        ; implicit-def: $sgpr22_sgpr23
	s_branch .LBB298_382
.LBB298_380:                            ;   in Loop: Header=BB298_382 Depth=1
	v_lshl_add_u64 v[30:31], v[28:29], 0, s[24:25]
	v_lshl_add_u64 v[32:33], v[26:27], 0, s[24:25]
	global_load_ubyte v1, v[30:31], off
	global_load_ubyte v34, v[32:33], off
	s_add_u32 s26, s24, 1
	s_addc_u32 s27, s25, 0
	s_andn2_b64 s[22:23], s[22:23], exec
	s_waitcnt vmcnt(0)
	v_cmp_ne_u16_e32 vcc, v1, v34
	s_and_b64 s[28:29], vcc, exec
	s_or_b64 s[22:23], s[22:23], s[28:29]
.LBB298_381:                            ;   in Loop: Header=BB298_382 Depth=1
	s_and_b64 s[28:29], exec, s[22:23]
	s_or_b64 s[20:21], s[28:29], s[20:21]
	v_mov_b64_e32 v[30:31], s[24:25]
	s_mov_b64 s[24:25], s[26:27]
	s_andn2_b64 exec, exec, s[20:21]
	s_cbranch_execz .LBB298_384
.LBB298_382:                            ; =>This Inner Loop Header: Depth=1
	s_or_b64 s[22:23], s[22:23], exec
	s_cmp_eq_u64 s[12:13], s[24:25]
	s_cbranch_scc0 .LBB298_380
; %bb.383:                              ;   in Loop: Header=BB298_382 Depth=1
                                        ; implicit-def: $sgpr26_sgpr27
	s_mov_b64 s[24:25], s[12:13]
	s_branch .LBB298_381
.LBB298_384:
	s_or_b64 exec, exec, s[20:21]
	v_cmp_gt_i64_e32 vcc, s[12:13], v[30:31]
	s_mov_b32 s7, 0
	v_mov_b32_e32 v65, s7
	v_cndmask_b32_e64 v64, 0, 1, vcc
.LBB298_385:
	s_or_b64 exec, exec, s[4:5]
.LBB298_386:
	v_mul_lo_u32 v1, v7, s12
	v_mul_lo_u32 v30, v6, s13
	v_mad_u64_u32 v[28:29], s[4:5], v6, s12, 0
	v_add3_u32 v29, v29, v30, v1
	v_mov_b64_e32 v[68:69], 0
	s_and_b64 vcc, exec, s[2:3]
	v_lshl_add_u64 v[28:29], s[14:15], 0, v[28:29]
	v_mov_b64_e32 v[66:67], v[68:69]
	s_cbranch_vccnz .LBB298_395
; %bb.387:
	global_load_ubyte v1, v[26:27], off
	global_load_ubyte v30, v[28:29], off
	v_mov_b64_e32 v[66:67], 1
	s_waitcnt vmcnt(0)
	v_cmp_eq_u16_e32 vcc, v1, v30
	s_and_saveexec_b64 s[4:5], vcc
	s_cbranch_execz .LBB298_394
; %bb.388:
	s_mov_b64 s[24:25], 1
	s_mov_b64 s[20:21], 0
                                        ; implicit-def: $sgpr22_sgpr23
	s_branch .LBB298_391
.LBB298_389:                            ;   in Loop: Header=BB298_391 Depth=1
	v_lshl_add_u64 v[30:31], v[26:27], 0, s[24:25]
	v_lshl_add_u64 v[32:33], v[28:29], 0, s[24:25]
	global_load_ubyte v1, v[30:31], off
	global_load_ubyte v34, v[32:33], off
	s_add_u32 s26, s24, 1
	s_addc_u32 s27, s25, 0
	s_andn2_b64 s[22:23], s[22:23], exec
	s_waitcnt vmcnt(0)
	v_cmp_ne_u16_e32 vcc, v1, v34
	s_and_b64 s[28:29], vcc, exec
	s_or_b64 s[22:23], s[22:23], s[28:29]
.LBB298_390:                            ;   in Loop: Header=BB298_391 Depth=1
	s_and_b64 s[28:29], exec, s[22:23]
	s_or_b64 s[20:21], s[28:29], s[20:21]
	v_mov_b64_e32 v[30:31], s[24:25]
	s_mov_b64 s[24:25], s[26:27]
	s_andn2_b64 exec, exec, s[20:21]
	s_cbranch_execz .LBB298_393
.LBB298_391:                            ; =>This Inner Loop Header: Depth=1
	s_or_b64 s[22:23], s[22:23], exec
	s_cmp_eq_u64 s[12:13], s[24:25]
	s_cbranch_scc0 .LBB298_389
; %bb.392:                              ;   in Loop: Header=BB298_391 Depth=1
                                        ; implicit-def: $sgpr26_sgpr27
	s_mov_b64 s[24:25], s[12:13]
	s_branch .LBB298_390
.LBB298_393:
	s_or_b64 exec, exec, s[20:21]
	v_cmp_gt_i64_e32 vcc, s[12:13], v[30:31]
	s_mov_b32 s7, 0
	v_mov_b32_e32 v67, s7
	v_cndmask_b32_e64 v66, 0, 1, vcc
.LBB298_394:
	s_or_b64 exec, exec, s[4:5]
.LBB298_395:
	v_mul_lo_u32 v1, v5, s12
	v_mul_lo_u32 v30, v4, s13
	v_mad_u64_u32 v[26:27], s[4:5], v4, s12, 0
	v_add3_u32 v27, v27, v30, v1
	s_and_b64 vcc, exec, s[2:3]
	v_lshl_add_u64 v[26:27], s[14:15], 0, v[26:27]
	s_cbranch_vccnz .LBB298_404
; %bb.396:
	global_load_ubyte v1, v[28:29], off
	global_load_ubyte v30, v[26:27], off
	v_mov_b64_e32 v[68:69], 1
	s_waitcnt vmcnt(0)
	v_cmp_eq_u16_e32 vcc, v1, v30
	s_and_saveexec_b64 s[4:5], vcc
	s_cbranch_execz .LBB298_403
; %bb.397:
	s_mov_b64 s[24:25], 1
	s_mov_b64 s[20:21], 0
                                        ; implicit-def: $sgpr22_sgpr23
	s_branch .LBB298_400
.LBB298_398:                            ;   in Loop: Header=BB298_400 Depth=1
	v_lshl_add_u64 v[30:31], v[28:29], 0, s[24:25]
	v_lshl_add_u64 v[32:33], v[26:27], 0, s[24:25]
	global_load_ubyte v1, v[30:31], off
	global_load_ubyte v34, v[32:33], off
	s_add_u32 s26, s24, 1
	s_addc_u32 s27, s25, 0
	s_andn2_b64 s[22:23], s[22:23], exec
	s_waitcnt vmcnt(0)
	v_cmp_ne_u16_e32 vcc, v1, v34
	s_and_b64 s[28:29], vcc, exec
	s_or_b64 s[22:23], s[22:23], s[28:29]
.LBB298_399:                            ;   in Loop: Header=BB298_400 Depth=1
	s_and_b64 s[28:29], exec, s[22:23]
	s_or_b64 s[20:21], s[28:29], s[20:21]
	v_mov_b64_e32 v[30:31], s[24:25]
	s_mov_b64 s[24:25], s[26:27]
	s_andn2_b64 exec, exec, s[20:21]
	s_cbranch_execz .LBB298_402
.LBB298_400:                            ; =>This Inner Loop Header: Depth=1
	s_or_b64 s[22:23], s[22:23], exec
	s_cmp_eq_u64 s[12:13], s[24:25]
	s_cbranch_scc0 .LBB298_398
; %bb.401:                              ;   in Loop: Header=BB298_400 Depth=1
                                        ; implicit-def: $sgpr26_sgpr27
	s_mov_b64 s[24:25], s[12:13]
	s_branch .LBB298_399
.LBB298_402:
	s_or_b64 exec, exec, s[20:21]
	v_cmp_gt_i64_e32 vcc, s[12:13], v[30:31]
	s_mov_b32 s7, 0
	v_mov_b32_e32 v69, s7
	v_cndmask_b32_e64 v68, 0, 1, vcc
.LBB298_403:
	s_or_b64 exec, exec, s[4:5]
.LBB298_404:
	s_and_b64 vcc, exec, s[2:3]
	s_cbranch_vccnz .LBB298_411
; %bb.405:
	v_mov_b64_e32 v[28:29], s[14:15]
	v_mad_u64_u32 v[28:29], s[4:5], v2, s12, v[28:29]
	v_mul_lo_u32 v1, v2, s13
	v_mul_lo_u32 v30, v3, s12
	v_add3_u32 v29, v30, v29, v1
	global_load_ubyte v1, v[26:27], off
	global_load_ubyte v30, v[28:29], off
	v_mov_b64_e32 v[70:71], 1
	s_waitcnt vmcnt(0)
	v_cmp_eq_u16_e32 vcc, v1, v30
	s_and_saveexec_b64 s[4:5], vcc
	s_cbranch_execz .LBB298_413
; %bb.406:
	s_mov_b64 s[24:25], 1
	s_mov_b64 s[20:21], 0
                                        ; implicit-def: $sgpr22_sgpr23
	s_branch .LBB298_409
.LBB298_407:                            ;   in Loop: Header=BB298_409 Depth=1
	v_lshl_add_u64 v[30:31], v[26:27], 0, s[24:25]
	v_lshl_add_u64 v[32:33], v[28:29], 0, s[24:25]
	global_load_ubyte v1, v[30:31], off
	global_load_ubyte v34, v[32:33], off
	s_add_u32 s26, s24, 1
	s_addc_u32 s27, s25, 0
	s_andn2_b64 s[22:23], s[22:23], exec
	s_waitcnt vmcnt(0)
	v_cmp_ne_u16_e32 vcc, v1, v34
	s_and_b64 s[28:29], vcc, exec
	s_or_b64 s[22:23], s[22:23], s[28:29]
.LBB298_408:                            ;   in Loop: Header=BB298_409 Depth=1
	s_and_b64 s[28:29], exec, s[22:23]
	s_or_b64 s[20:21], s[28:29], s[20:21]
	v_mov_b64_e32 v[30:31], s[24:25]
	s_mov_b64 s[24:25], s[26:27]
	s_andn2_b64 exec, exec, s[20:21]
	s_cbranch_execz .LBB298_412
.LBB298_409:                            ; =>This Inner Loop Header: Depth=1
	s_or_b64 s[22:23], s[22:23], exec
	s_cmp_eq_u64 s[12:13], s[24:25]
	s_cbranch_scc0 .LBB298_407
; %bb.410:                              ;   in Loop: Header=BB298_409 Depth=1
                                        ; implicit-def: $sgpr26_sgpr27
	s_mov_b64 s[24:25], s[12:13]
	s_branch .LBB298_408
.LBB298_411:
	v_mov_b64_e32 v[70:71], 0
	s_branch .LBB298_414
.LBB298_412:
	s_or_b64 exec, exec, s[20:21]
	v_cmp_gt_i64_e32 vcc, s[12:13], v[30:31]
	s_mov_b32 s7, 0
	v_mov_b32_e32 v71, s7
	v_cndmask_b32_e64 v70, 0, 1, vcc
.LBB298_413:
	s_or_b64 exec, exec, s[4:5]
.LBB298_414:
	v_cmp_ne_u32_e32 vcc, 0, v0
	s_waitcnt lgkmcnt(0)
	; wave barrier
	s_waitcnt lgkmcnt(0)
                                        ; implicit-def: $sgpr24_sgpr25
	s_and_saveexec_b64 s[4:5], vcc
	s_cbranch_execz .LBB298_426
; %bb.415:
	s_and_b64 vcc, exec, s[2:3]
	s_cbranch_vccnz .LBB298_422
; %bb.416:
	v_add_u32_e32 v1, -8, v48
	ds_read_b64 v[28:29], v1
	v_mov_b64_e32 v[30:31], s[14:15]
	v_mad_u64_u32 v[26:27], s[2:3], v2, s12, v[30:31]
	v_mul_lo_u32 v1, v2, s13
	v_mul_lo_u32 v32, v3, s12
	v_add3_u32 v27, v32, v27, v1
	s_waitcnt lgkmcnt(0)
	v_mul_lo_u32 v1, v28, s13
	v_mul_lo_u32 v32, v29, s12
	v_mad_u64_u32 v[28:29], s[2:3], v28, s12, v[30:31]
	v_add3_u32 v29, v32, v29, v1
	global_load_ubyte v1, v[26:27], off
	global_load_ubyte v30, v[28:29], off
	s_mov_b64 s[20:21], -1
	s_waitcnt vmcnt(0)
	v_cmp_eq_u16_e32 vcc, v1, v30
	s_and_saveexec_b64 s[2:3], vcc
	s_cbranch_execz .LBB298_424
; %bb.417:
	s_mov_b64 s[24:25], 1
	s_mov_b64 s[20:21], 0
                                        ; implicit-def: $sgpr22_sgpr23
	s_branch .LBB298_420
.LBB298_418:                            ;   in Loop: Header=BB298_420 Depth=1
	v_lshl_add_u64 v[30:31], v[26:27], 0, s[24:25]
	v_lshl_add_u64 v[32:33], v[28:29], 0, s[24:25]
	global_load_ubyte v1, v[30:31], off
	global_load_ubyte v34, v[32:33], off
	s_add_u32 s26, s24, 1
	s_addc_u32 s27, s25, 0
	s_andn2_b64 s[22:23], s[22:23], exec
	s_waitcnt vmcnt(0)
	v_cmp_ne_u16_e32 vcc, v1, v34
	s_and_b64 s[28:29], vcc, exec
	s_or_b64 s[22:23], s[22:23], s[28:29]
.LBB298_419:                            ;   in Loop: Header=BB298_420 Depth=1
	s_and_b64 s[28:29], exec, s[22:23]
	s_or_b64 s[20:21], s[28:29], s[20:21]
	v_mov_b64_e32 v[30:31], s[24:25]
	s_mov_b64 s[24:25], s[26:27]
	s_andn2_b64 exec, exec, s[20:21]
	s_cbranch_execz .LBB298_423
.LBB298_420:                            ; =>This Inner Loop Header: Depth=1
	s_or_b64 s[22:23], s[22:23], exec
	s_cmp_eq_u64 s[12:13], s[24:25]
	s_cbranch_scc0 .LBB298_418
; %bb.421:                              ;   in Loop: Header=BB298_420 Depth=1
                                        ; implicit-def: $sgpr26_sgpr27
	s_mov_b64 s[24:25], s[12:13]
	s_branch .LBB298_419
.LBB298_422:
	s_mov_b64 s[20:21], 0
	s_branch .LBB298_425
.LBB298_423:
	s_or_b64 exec, exec, s[20:21]
	v_cmp_gt_i64_e32 vcc, s[12:13], v[30:31]
	s_orn2_b64 s[20:21], vcc, exec
.LBB298_424:
	s_or_b64 exec, exec, s[2:3]
.LBB298_425:
	s_and_b64 s[24:25], s[20:21], exec
	s_or_b64 s[18:19], s[18:19], exec
.LBB298_426:
	s_or_b64 exec, exec, s[4:5]
	v_mov_b64_e32 v[72:73], v[52:53]
	v_mov_b64_e32 v[26:27], v[46:47]
	;; [unrolled: 1-line block ×11, first 2 shown]
	s_branch .LBB298_572
.LBB298_427:
	v_mad_u32_u24 v26, v0, 13, 12
	v_cmp_gt_i64_e64 s[2:3], s[12:13], 0
	v_cmp_gt_u32_e32 vcc, s10, v26
	v_mul_u32_u24_e32 v1, 13, v0
	v_cndmask_b32_e64 v26, 0, 1, s[2:3]
	v_cmp_ne_u32_e64 s[2:3], 1, v26
	ds_write_b64 v48, v[44:45]
	s_and_saveexec_b64 s[4:5], vcc
	s_cbranch_execz .LBB298_438
; %bb.428:
	s_and_b64 vcc, exec, s[2:3]
	s_cbranch_vccnz .LBB298_435
; %bb.429:
	v_mov_b64_e32 v[28:29], s[14:15]
	s_waitcnt lgkmcnt(0)
	v_mad_u64_u32 v[26:27], s[20:21], v44, s12, v[28:29]
	v_mul_lo_u32 v30, v44, s13
	v_mul_lo_u32 v31, v45, s12
	v_add3_u32 v27, v31, v27, v30
	v_mad_u64_u32 v[28:29], s[20:21], v24, s12, v[28:29]
	v_mul_lo_u32 v30, v24, s13
	v_mul_lo_u32 v31, v25, s12
	v_add3_u32 v29, v31, v29, v30
	global_load_ubyte v30, v[26:27], off
	global_load_ubyte v31, v[28:29], off
	v_mov_b64_e32 v[44:45], 1
	s_waitcnt vmcnt(0)
	v_cmp_eq_u16_e32 vcc, v30, v31
	s_and_saveexec_b64 s[20:21], vcc
	s_cbranch_execz .LBB298_437
; %bb.430:
	s_mov_b64 s[26:27], 1
	s_mov_b64 s[22:23], 0
                                        ; implicit-def: $sgpr24_sgpr25
	s_branch .LBB298_433
.LBB298_431:                            ;   in Loop: Header=BB298_433 Depth=1
	v_lshl_add_u64 v[30:31], v[26:27], 0, s[26:27]
	v_lshl_add_u64 v[32:33], v[28:29], 0, s[26:27]
	global_load_ubyte v34, v[30:31], off
	global_load_ubyte v35, v[32:33], off
	s_add_u32 s28, s26, 1
	s_addc_u32 s29, s27, 0
	s_andn2_b64 s[24:25], s[24:25], exec
	s_waitcnt vmcnt(0)
	v_cmp_ne_u16_e32 vcc, v34, v35
	s_and_b64 s[30:31], vcc, exec
	s_or_b64 s[24:25], s[24:25], s[30:31]
.LBB298_432:                            ;   in Loop: Header=BB298_433 Depth=1
	s_and_b64 s[30:31], exec, s[24:25]
	s_or_b64 s[22:23], s[30:31], s[22:23]
	v_mov_b64_e32 v[30:31], s[26:27]
	s_mov_b64 s[26:27], s[28:29]
	s_andn2_b64 exec, exec, s[22:23]
	s_cbranch_execz .LBB298_436
.LBB298_433:                            ; =>This Inner Loop Header: Depth=1
	s_or_b64 s[24:25], s[24:25], exec
	s_cmp_eq_u64 s[12:13], s[26:27]
	s_cbranch_scc0 .LBB298_431
; %bb.434:                              ;   in Loop: Header=BB298_433 Depth=1
                                        ; implicit-def: $sgpr28_sgpr29
	s_mov_b64 s[26:27], s[12:13]
	s_branch .LBB298_432
.LBB298_435:
	v_mov_b64_e32 v[44:45], 0
	s_branch .LBB298_438
.LBB298_436:
	s_or_b64 exec, exec, s[22:23]
	v_cmp_gt_i64_e32 vcc, s[12:13], v[30:31]
	s_mov_b32 s7, 0
	v_mov_b32_e32 v45, s7
	v_cndmask_b32_e64 v44, 0, 1, vcc
.LBB298_437:
	s_or_b64 exec, exec, s[20:21]
.LBB298_438:
	s_or_b64 exec, exec, s[4:5]
	v_add_u32_e32 v26, 11, v1
	v_cmp_gt_u32_e32 vcc, s10, v26
	s_and_saveexec_b64 s[4:5], vcc
	s_cbranch_execz .LBB298_449
; %bb.439:
	s_and_b64 vcc, exec, s[2:3]
	s_cbranch_vccnz .LBB298_446
; %bb.440:
	v_mov_b64_e32 v[28:29], s[14:15]
	s_waitcnt lgkmcnt(0)
	v_mad_u64_u32 v[26:27], s[20:21], v24, s12, v[28:29]
	v_mul_lo_u32 v24, v24, s13
	v_mul_lo_u32 v25, v25, s12
	v_add3_u32 v27, v25, v27, v24
	v_mad_u64_u32 v[28:29], s[20:21], v22, s12, v[28:29]
	v_mul_lo_u32 v24, v22, s13
	v_mul_lo_u32 v25, v23, s12
	v_add3_u32 v29, v25, v29, v24
	global_load_ubyte v24, v[26:27], off
	global_load_ubyte v25, v[28:29], off
	s_waitcnt vmcnt(0)
	v_cmp_eq_u16_e32 vcc, v24, v25
	v_mov_b64_e32 v[24:25], 1
	s_and_saveexec_b64 s[20:21], vcc
	s_cbranch_execz .LBB298_448
; %bb.441:
	s_mov_b64 s[26:27], 1
	s_mov_b64 s[22:23], 0
                                        ; implicit-def: $sgpr24_sgpr25
	s_branch .LBB298_444
.LBB298_442:                            ;   in Loop: Header=BB298_444 Depth=1
	v_lshl_add_u64 v[24:25], v[26:27], 0, s[26:27]
	v_lshl_add_u64 v[30:31], v[28:29], 0, s[26:27]
	global_load_ubyte v32, v[24:25], off
	global_load_ubyte v33, v[30:31], off
	s_add_u32 s28, s26, 1
	s_addc_u32 s29, s27, 0
	s_andn2_b64 s[24:25], s[24:25], exec
	s_waitcnt vmcnt(0)
	v_cmp_ne_u16_e32 vcc, v32, v33
	s_and_b64 s[30:31], vcc, exec
	s_or_b64 s[24:25], s[24:25], s[30:31]
.LBB298_443:                            ;   in Loop: Header=BB298_444 Depth=1
	s_and_b64 s[30:31], exec, s[24:25]
	s_or_b64 s[22:23], s[30:31], s[22:23]
	v_mov_b64_e32 v[24:25], s[26:27]
	s_mov_b64 s[26:27], s[28:29]
	s_andn2_b64 exec, exec, s[22:23]
	s_cbranch_execz .LBB298_447
.LBB298_444:                            ; =>This Inner Loop Header: Depth=1
	s_or_b64 s[24:25], s[24:25], exec
	s_cmp_eq_u64 s[12:13], s[26:27]
	s_cbranch_scc0 .LBB298_442
; %bb.445:                              ;   in Loop: Header=BB298_444 Depth=1
                                        ; implicit-def: $sgpr28_sgpr29
	s_mov_b64 s[26:27], s[12:13]
	s_branch .LBB298_443
.LBB298_446:
	v_mov_b64_e32 v[24:25], 0
	s_branch .LBB298_449
.LBB298_447:
	s_or_b64 exec, exec, s[22:23]
	v_cmp_gt_i64_e32 vcc, s[12:13], v[24:25]
	s_mov_b32 s7, 0
	v_mov_b32_e32 v25, s7
	v_cndmask_b32_e64 v24, 0, 1, vcc
.LBB298_448:
	s_or_b64 exec, exec, s[20:21]
.LBB298_449:
	s_or_b64 exec, exec, s[4:5]
	v_add_u32_e32 v26, 10, v1
	v_cmp_gt_u32_e32 vcc, s10, v26
	s_and_saveexec_b64 s[4:5], vcc
	s_cbranch_execz .LBB298_460
; %bb.450:
	s_and_b64 vcc, exec, s[2:3]
	s_cbranch_vccnz .LBB298_457
; %bb.451:
	v_mov_b64_e32 v[28:29], s[14:15]
	s_waitcnt lgkmcnt(0)
	v_mad_u64_u32 v[26:27], s[20:21], v22, s12, v[28:29]
	v_mul_lo_u32 v22, v22, s13
	v_mul_lo_u32 v23, v23, s12
	v_add3_u32 v27, v23, v27, v22
	v_mad_u64_u32 v[28:29], s[20:21], v20, s12, v[28:29]
	v_mul_lo_u32 v22, v20, s13
	v_mul_lo_u32 v23, v21, s12
	v_add3_u32 v29, v23, v29, v22
	global_load_ubyte v22, v[26:27], off
	global_load_ubyte v23, v[28:29], off
	s_waitcnt vmcnt(0)
	v_cmp_eq_u16_e32 vcc, v22, v23
	v_mov_b64_e32 v[22:23], 1
	s_and_saveexec_b64 s[20:21], vcc
	s_cbranch_execz .LBB298_459
; %bb.452:
	s_mov_b64 s[26:27], 1
	s_mov_b64 s[22:23], 0
                                        ; implicit-def: $sgpr24_sgpr25
	s_branch .LBB298_455
.LBB298_453:                            ;   in Loop: Header=BB298_455 Depth=1
	v_lshl_add_u64 v[22:23], v[26:27], 0, s[26:27]
	v_lshl_add_u64 v[30:31], v[28:29], 0, s[26:27]
	global_load_ubyte v32, v[22:23], off
	global_load_ubyte v33, v[30:31], off
	s_add_u32 s28, s26, 1
	s_addc_u32 s29, s27, 0
	s_andn2_b64 s[24:25], s[24:25], exec
	s_waitcnt vmcnt(0)
	v_cmp_ne_u16_e32 vcc, v32, v33
	s_and_b64 s[30:31], vcc, exec
	s_or_b64 s[24:25], s[24:25], s[30:31]
.LBB298_454:                            ;   in Loop: Header=BB298_455 Depth=1
	s_and_b64 s[30:31], exec, s[24:25]
	s_or_b64 s[22:23], s[30:31], s[22:23]
	v_mov_b64_e32 v[22:23], s[26:27]
	s_mov_b64 s[26:27], s[28:29]
	s_andn2_b64 exec, exec, s[22:23]
	s_cbranch_execz .LBB298_458
.LBB298_455:                            ; =>This Inner Loop Header: Depth=1
	s_or_b64 s[24:25], s[24:25], exec
	s_cmp_eq_u64 s[12:13], s[26:27]
	s_cbranch_scc0 .LBB298_453
; %bb.456:                              ;   in Loop: Header=BB298_455 Depth=1
                                        ; implicit-def: $sgpr28_sgpr29
	s_mov_b64 s[26:27], s[12:13]
	s_branch .LBB298_454
.LBB298_457:
	v_mov_b64_e32 v[22:23], 0
	s_branch .LBB298_460
.LBB298_458:
	s_or_b64 exec, exec, s[22:23]
	v_cmp_gt_i64_e32 vcc, s[12:13], v[22:23]
	s_mov_b32 s7, 0
	v_mov_b32_e32 v23, s7
	v_cndmask_b32_e64 v22, 0, 1, vcc
.LBB298_459:
	s_or_b64 exec, exec, s[20:21]
.LBB298_460:
	s_or_b64 exec, exec, s[4:5]
	v_add_u32_e32 v26, 9, v1
	v_cmp_gt_u32_e32 vcc, s10, v26
	s_and_saveexec_b64 s[4:5], vcc
	s_cbranch_execz .LBB298_471
; %bb.461:
	s_and_b64 vcc, exec, s[2:3]
	s_cbranch_vccnz .LBB298_468
; %bb.462:
	v_mov_b64_e32 v[28:29], s[14:15]
	s_waitcnt lgkmcnt(0)
	v_mad_u64_u32 v[26:27], s[20:21], v20, s12, v[28:29]
	v_mul_lo_u32 v20, v20, s13
	v_mul_lo_u32 v21, v21, s12
	v_add3_u32 v27, v21, v27, v20
	v_mad_u64_u32 v[28:29], s[20:21], v18, s12, v[28:29]
	v_mul_lo_u32 v20, v18, s13
	v_mul_lo_u32 v21, v19, s12
	v_add3_u32 v29, v21, v29, v20
	global_load_ubyte v20, v[26:27], off
	global_load_ubyte v21, v[28:29], off
	s_waitcnt vmcnt(0)
	v_cmp_eq_u16_e32 vcc, v20, v21
	v_mov_b64_e32 v[20:21], 1
	s_and_saveexec_b64 s[20:21], vcc
	s_cbranch_execz .LBB298_470
; %bb.463:
	s_mov_b64 s[26:27], 1
	s_mov_b64 s[22:23], 0
                                        ; implicit-def: $sgpr24_sgpr25
	s_branch .LBB298_466
.LBB298_464:                            ;   in Loop: Header=BB298_466 Depth=1
	v_lshl_add_u64 v[20:21], v[26:27], 0, s[26:27]
	v_lshl_add_u64 v[30:31], v[28:29], 0, s[26:27]
	global_load_ubyte v32, v[20:21], off
	global_load_ubyte v33, v[30:31], off
	s_add_u32 s28, s26, 1
	s_addc_u32 s29, s27, 0
	s_andn2_b64 s[24:25], s[24:25], exec
	s_waitcnt vmcnt(0)
	v_cmp_ne_u16_e32 vcc, v32, v33
	s_and_b64 s[30:31], vcc, exec
	s_or_b64 s[24:25], s[24:25], s[30:31]
.LBB298_465:                            ;   in Loop: Header=BB298_466 Depth=1
	s_and_b64 s[30:31], exec, s[24:25]
	s_or_b64 s[22:23], s[30:31], s[22:23]
	v_mov_b64_e32 v[20:21], s[26:27]
	s_mov_b64 s[26:27], s[28:29]
	s_andn2_b64 exec, exec, s[22:23]
	s_cbranch_execz .LBB298_469
.LBB298_466:                            ; =>This Inner Loop Header: Depth=1
	s_or_b64 s[24:25], s[24:25], exec
	s_cmp_eq_u64 s[12:13], s[26:27]
	s_cbranch_scc0 .LBB298_464
; %bb.467:                              ;   in Loop: Header=BB298_466 Depth=1
                                        ; implicit-def: $sgpr28_sgpr29
	s_mov_b64 s[26:27], s[12:13]
	s_branch .LBB298_465
.LBB298_468:
	v_mov_b64_e32 v[20:21], 0
	s_branch .LBB298_471
.LBB298_469:
	s_or_b64 exec, exec, s[22:23]
	v_cmp_gt_i64_e32 vcc, s[12:13], v[20:21]
	s_mov_b32 s7, 0
	v_mov_b32_e32 v21, s7
	v_cndmask_b32_e64 v20, 0, 1, vcc
.LBB298_470:
	s_or_b64 exec, exec, s[20:21]
.LBB298_471:
	s_or_b64 exec, exec, s[4:5]
	v_add_u32_e32 v26, 8, v1
	v_cmp_gt_u32_e32 vcc, s10, v26
	s_and_saveexec_b64 s[4:5], vcc
	s_cbranch_execz .LBB298_482
; %bb.472:
	s_and_b64 vcc, exec, s[2:3]
	s_cbranch_vccnz .LBB298_479
; %bb.473:
	v_mov_b64_e32 v[28:29], s[14:15]
	s_waitcnt lgkmcnt(0)
	v_mad_u64_u32 v[26:27], s[20:21], v18, s12, v[28:29]
	v_mul_lo_u32 v18, v18, s13
	v_mul_lo_u32 v19, v19, s12
	v_add3_u32 v27, v19, v27, v18
	v_mad_u64_u32 v[28:29], s[20:21], v16, s12, v[28:29]
	v_mul_lo_u32 v18, v16, s13
	v_mul_lo_u32 v19, v17, s12
	v_add3_u32 v29, v19, v29, v18
	global_load_ubyte v18, v[26:27], off
	global_load_ubyte v19, v[28:29], off
	s_waitcnt vmcnt(0)
	v_cmp_eq_u16_e32 vcc, v18, v19
	v_mov_b64_e32 v[18:19], 1
	s_and_saveexec_b64 s[20:21], vcc
	s_cbranch_execz .LBB298_481
; %bb.474:
	s_mov_b64 s[26:27], 1
	s_mov_b64 s[22:23], 0
                                        ; implicit-def: $sgpr24_sgpr25
	s_branch .LBB298_477
.LBB298_475:                            ;   in Loop: Header=BB298_477 Depth=1
	v_lshl_add_u64 v[18:19], v[26:27], 0, s[26:27]
	v_lshl_add_u64 v[30:31], v[28:29], 0, s[26:27]
	global_load_ubyte v32, v[18:19], off
	global_load_ubyte v33, v[30:31], off
	s_add_u32 s28, s26, 1
	s_addc_u32 s29, s27, 0
	s_andn2_b64 s[24:25], s[24:25], exec
	s_waitcnt vmcnt(0)
	v_cmp_ne_u16_e32 vcc, v32, v33
	s_and_b64 s[30:31], vcc, exec
	s_or_b64 s[24:25], s[24:25], s[30:31]
.LBB298_476:                            ;   in Loop: Header=BB298_477 Depth=1
	s_and_b64 s[30:31], exec, s[24:25]
	s_or_b64 s[22:23], s[30:31], s[22:23]
	v_mov_b64_e32 v[18:19], s[26:27]
	s_mov_b64 s[26:27], s[28:29]
	s_andn2_b64 exec, exec, s[22:23]
	s_cbranch_execz .LBB298_480
.LBB298_477:                            ; =>This Inner Loop Header: Depth=1
	s_or_b64 s[24:25], s[24:25], exec
	s_cmp_eq_u64 s[12:13], s[26:27]
	s_cbranch_scc0 .LBB298_475
; %bb.478:                              ;   in Loop: Header=BB298_477 Depth=1
                                        ; implicit-def: $sgpr28_sgpr29
	s_mov_b64 s[26:27], s[12:13]
	s_branch .LBB298_476
.LBB298_479:
	v_mov_b64_e32 v[18:19], 0
	s_branch .LBB298_482
.LBB298_480:
	s_or_b64 exec, exec, s[22:23]
	v_cmp_gt_i64_e32 vcc, s[12:13], v[18:19]
	s_mov_b32 s7, 0
	v_mov_b32_e32 v19, s7
	v_cndmask_b32_e64 v18, 0, 1, vcc
.LBB298_481:
	s_or_b64 exec, exec, s[20:21]
.LBB298_482:
	s_or_b64 exec, exec, s[4:5]
	v_add_u32_e32 v26, 7, v1
	v_cmp_gt_u32_e32 vcc, s10, v26
	s_and_saveexec_b64 s[4:5], vcc
	s_cbranch_execz .LBB298_493
; %bb.483:
	s_and_b64 vcc, exec, s[2:3]
	s_cbranch_vccnz .LBB298_490
; %bb.484:
	v_mov_b64_e32 v[28:29], s[14:15]
	s_waitcnt lgkmcnt(0)
	v_mad_u64_u32 v[26:27], s[20:21], v16, s12, v[28:29]
	v_mul_lo_u32 v16, v16, s13
	v_mul_lo_u32 v17, v17, s12
	v_add3_u32 v27, v17, v27, v16
	v_mad_u64_u32 v[28:29], s[20:21], v14, s12, v[28:29]
	v_mul_lo_u32 v16, v14, s13
	v_mul_lo_u32 v17, v15, s12
	v_add3_u32 v29, v17, v29, v16
	global_load_ubyte v16, v[26:27], off
	global_load_ubyte v17, v[28:29], off
	s_waitcnt vmcnt(0)
	v_cmp_eq_u16_e32 vcc, v16, v17
	v_mov_b64_e32 v[16:17], 1
	s_and_saveexec_b64 s[20:21], vcc
	s_cbranch_execz .LBB298_492
; %bb.485:
	s_mov_b64 s[26:27], 1
	s_mov_b64 s[22:23], 0
                                        ; implicit-def: $sgpr24_sgpr25
	s_branch .LBB298_488
.LBB298_486:                            ;   in Loop: Header=BB298_488 Depth=1
	v_lshl_add_u64 v[16:17], v[26:27], 0, s[26:27]
	v_lshl_add_u64 v[30:31], v[28:29], 0, s[26:27]
	global_load_ubyte v32, v[16:17], off
	global_load_ubyte v33, v[30:31], off
	s_add_u32 s28, s26, 1
	s_addc_u32 s29, s27, 0
	s_andn2_b64 s[24:25], s[24:25], exec
	s_waitcnt vmcnt(0)
	v_cmp_ne_u16_e32 vcc, v32, v33
	s_and_b64 s[30:31], vcc, exec
	s_or_b64 s[24:25], s[24:25], s[30:31]
.LBB298_487:                            ;   in Loop: Header=BB298_488 Depth=1
	s_and_b64 s[30:31], exec, s[24:25]
	s_or_b64 s[22:23], s[30:31], s[22:23]
	v_mov_b64_e32 v[16:17], s[26:27]
	s_mov_b64 s[26:27], s[28:29]
	s_andn2_b64 exec, exec, s[22:23]
	s_cbranch_execz .LBB298_491
.LBB298_488:                            ; =>This Inner Loop Header: Depth=1
	s_or_b64 s[24:25], s[24:25], exec
	s_cmp_eq_u64 s[12:13], s[26:27]
	s_cbranch_scc0 .LBB298_486
; %bb.489:                              ;   in Loop: Header=BB298_488 Depth=1
                                        ; implicit-def: $sgpr28_sgpr29
	s_mov_b64 s[26:27], s[12:13]
	s_branch .LBB298_487
.LBB298_490:
	v_mov_b64_e32 v[16:17], 0
	s_branch .LBB298_493
.LBB298_491:
	s_or_b64 exec, exec, s[22:23]
	v_cmp_gt_i64_e32 vcc, s[12:13], v[16:17]
	s_mov_b32 s7, 0
	v_mov_b32_e32 v17, s7
	v_cndmask_b32_e64 v16, 0, 1, vcc
.LBB298_492:
	s_or_b64 exec, exec, s[20:21]
.LBB298_493:
	s_or_b64 exec, exec, s[4:5]
	v_add_u32_e32 v26, 6, v1
	v_cmp_gt_u32_e32 vcc, s10, v26
	s_and_saveexec_b64 s[4:5], vcc
	s_cbranch_execz .LBB298_504
; %bb.494:
	s_and_b64 vcc, exec, s[2:3]
	s_cbranch_vccnz .LBB298_501
; %bb.495:
	v_mov_b64_e32 v[28:29], s[14:15]
	s_waitcnt lgkmcnt(0)
	v_mad_u64_u32 v[26:27], s[20:21], v14, s12, v[28:29]
	v_mul_lo_u32 v14, v14, s13
	v_mul_lo_u32 v15, v15, s12
	v_add3_u32 v27, v15, v27, v14
	v_mad_u64_u32 v[28:29], s[20:21], v12, s12, v[28:29]
	v_mul_lo_u32 v14, v12, s13
	v_mul_lo_u32 v15, v13, s12
	v_add3_u32 v29, v15, v29, v14
	global_load_ubyte v14, v[26:27], off
	global_load_ubyte v15, v[28:29], off
	s_waitcnt vmcnt(0)
	v_cmp_eq_u16_e32 vcc, v14, v15
	v_mov_b64_e32 v[14:15], 1
	s_and_saveexec_b64 s[20:21], vcc
	s_cbranch_execz .LBB298_503
; %bb.496:
	s_mov_b64 s[26:27], 1
	s_mov_b64 s[22:23], 0
                                        ; implicit-def: $sgpr24_sgpr25
	s_branch .LBB298_499
.LBB298_497:                            ;   in Loop: Header=BB298_499 Depth=1
	v_lshl_add_u64 v[14:15], v[26:27], 0, s[26:27]
	v_lshl_add_u64 v[30:31], v[28:29], 0, s[26:27]
	global_load_ubyte v32, v[14:15], off
	global_load_ubyte v33, v[30:31], off
	s_add_u32 s28, s26, 1
	s_addc_u32 s29, s27, 0
	s_andn2_b64 s[24:25], s[24:25], exec
	s_waitcnt vmcnt(0)
	v_cmp_ne_u16_e32 vcc, v32, v33
	s_and_b64 s[30:31], vcc, exec
	s_or_b64 s[24:25], s[24:25], s[30:31]
.LBB298_498:                            ;   in Loop: Header=BB298_499 Depth=1
	s_and_b64 s[30:31], exec, s[24:25]
	s_or_b64 s[22:23], s[30:31], s[22:23]
	v_mov_b64_e32 v[14:15], s[26:27]
	s_mov_b64 s[26:27], s[28:29]
	s_andn2_b64 exec, exec, s[22:23]
	s_cbranch_execz .LBB298_502
.LBB298_499:                            ; =>This Inner Loop Header: Depth=1
	s_or_b64 s[24:25], s[24:25], exec
	s_cmp_eq_u64 s[12:13], s[26:27]
	s_cbranch_scc0 .LBB298_497
; %bb.500:                              ;   in Loop: Header=BB298_499 Depth=1
                                        ; implicit-def: $sgpr28_sgpr29
	s_mov_b64 s[26:27], s[12:13]
	s_branch .LBB298_498
.LBB298_501:
	v_mov_b64_e32 v[14:15], 0
	s_branch .LBB298_504
.LBB298_502:
	s_or_b64 exec, exec, s[22:23]
	v_cmp_gt_i64_e32 vcc, s[12:13], v[14:15]
	s_mov_b32 s7, 0
	v_mov_b32_e32 v15, s7
	v_cndmask_b32_e64 v14, 0, 1, vcc
.LBB298_503:
	s_or_b64 exec, exec, s[20:21]
.LBB298_504:
	s_or_b64 exec, exec, s[4:5]
	v_add_u32_e32 v26, 5, v1
	v_cmp_gt_u32_e32 vcc, s10, v26
	s_and_saveexec_b64 s[4:5], vcc
	s_cbranch_execz .LBB298_515
; %bb.505:
	s_and_b64 vcc, exec, s[2:3]
	s_cbranch_vccnz .LBB298_512
; %bb.506:
	v_mov_b64_e32 v[28:29], s[14:15]
	s_waitcnt lgkmcnt(0)
	v_mad_u64_u32 v[26:27], s[20:21], v12, s12, v[28:29]
	v_mul_lo_u32 v12, v12, s13
	v_mul_lo_u32 v13, v13, s12
	v_add3_u32 v27, v13, v27, v12
	v_mad_u64_u32 v[28:29], s[20:21], v10, s12, v[28:29]
	v_mul_lo_u32 v12, v10, s13
	v_mul_lo_u32 v13, v11, s12
	v_add3_u32 v29, v13, v29, v12
	global_load_ubyte v12, v[26:27], off
	global_load_ubyte v13, v[28:29], off
	s_waitcnt vmcnt(0)
	v_cmp_eq_u16_e32 vcc, v12, v13
	v_mov_b64_e32 v[12:13], 1
	s_and_saveexec_b64 s[20:21], vcc
	s_cbranch_execz .LBB298_514
; %bb.507:
	s_mov_b64 s[26:27], 1
	s_mov_b64 s[22:23], 0
                                        ; implicit-def: $sgpr24_sgpr25
	s_branch .LBB298_510
.LBB298_508:                            ;   in Loop: Header=BB298_510 Depth=1
	v_lshl_add_u64 v[12:13], v[26:27], 0, s[26:27]
	v_lshl_add_u64 v[30:31], v[28:29], 0, s[26:27]
	global_load_ubyte v32, v[12:13], off
	global_load_ubyte v33, v[30:31], off
	s_add_u32 s28, s26, 1
	s_addc_u32 s29, s27, 0
	s_andn2_b64 s[24:25], s[24:25], exec
	s_waitcnt vmcnt(0)
	v_cmp_ne_u16_e32 vcc, v32, v33
	s_and_b64 s[30:31], vcc, exec
	s_or_b64 s[24:25], s[24:25], s[30:31]
.LBB298_509:                            ;   in Loop: Header=BB298_510 Depth=1
	s_and_b64 s[30:31], exec, s[24:25]
	s_or_b64 s[22:23], s[30:31], s[22:23]
	v_mov_b64_e32 v[12:13], s[26:27]
	s_mov_b64 s[26:27], s[28:29]
	s_andn2_b64 exec, exec, s[22:23]
	s_cbranch_execz .LBB298_513
.LBB298_510:                            ; =>This Inner Loop Header: Depth=1
	s_or_b64 s[24:25], s[24:25], exec
	s_cmp_eq_u64 s[12:13], s[26:27]
	s_cbranch_scc0 .LBB298_508
; %bb.511:                              ;   in Loop: Header=BB298_510 Depth=1
                                        ; implicit-def: $sgpr28_sgpr29
	s_mov_b64 s[26:27], s[12:13]
	s_branch .LBB298_509
.LBB298_512:
	v_mov_b64_e32 v[12:13], 0
	s_branch .LBB298_515
.LBB298_513:
	s_or_b64 exec, exec, s[22:23]
	v_cmp_gt_i64_e32 vcc, s[12:13], v[12:13]
	s_mov_b32 s7, 0
	v_mov_b32_e32 v13, s7
	v_cndmask_b32_e64 v12, 0, 1, vcc
.LBB298_514:
	s_or_b64 exec, exec, s[20:21]
.LBB298_515:
	s_or_b64 exec, exec, s[4:5]
	v_add_u32_e32 v26, 4, v1
	v_cmp_gt_u32_e32 vcc, s10, v26
	s_and_saveexec_b64 s[4:5], vcc
	s_cbranch_execz .LBB298_526
; %bb.516:
	s_and_b64 vcc, exec, s[2:3]
	s_cbranch_vccnz .LBB298_523
; %bb.517:
	v_mov_b64_e32 v[28:29], s[14:15]
	s_waitcnt lgkmcnt(0)
	v_mad_u64_u32 v[26:27], s[20:21], v10, s12, v[28:29]
	v_mul_lo_u32 v10, v10, s13
	v_mul_lo_u32 v11, v11, s12
	v_add3_u32 v27, v11, v27, v10
	v_mad_u64_u32 v[28:29], s[20:21], v8, s12, v[28:29]
	v_mul_lo_u32 v10, v8, s13
	v_mul_lo_u32 v11, v9, s12
	v_add3_u32 v29, v11, v29, v10
	global_load_ubyte v10, v[26:27], off
	global_load_ubyte v11, v[28:29], off
	s_waitcnt vmcnt(0)
	v_cmp_eq_u16_e32 vcc, v10, v11
	v_mov_b64_e32 v[10:11], 1
	s_and_saveexec_b64 s[20:21], vcc
	s_cbranch_execz .LBB298_525
; %bb.518:
	s_mov_b64 s[26:27], 1
	s_mov_b64 s[22:23], 0
                                        ; implicit-def: $sgpr24_sgpr25
	s_branch .LBB298_521
.LBB298_519:                            ;   in Loop: Header=BB298_521 Depth=1
	v_lshl_add_u64 v[10:11], v[26:27], 0, s[26:27]
	v_lshl_add_u64 v[30:31], v[28:29], 0, s[26:27]
	global_load_ubyte v32, v[10:11], off
	global_load_ubyte v33, v[30:31], off
	s_add_u32 s28, s26, 1
	s_addc_u32 s29, s27, 0
	s_andn2_b64 s[24:25], s[24:25], exec
	s_waitcnt vmcnt(0)
	v_cmp_ne_u16_e32 vcc, v32, v33
	s_and_b64 s[30:31], vcc, exec
	s_or_b64 s[24:25], s[24:25], s[30:31]
.LBB298_520:                            ;   in Loop: Header=BB298_521 Depth=1
	s_and_b64 s[30:31], exec, s[24:25]
	s_or_b64 s[22:23], s[30:31], s[22:23]
	v_mov_b64_e32 v[10:11], s[26:27]
	s_mov_b64 s[26:27], s[28:29]
	s_andn2_b64 exec, exec, s[22:23]
	s_cbranch_execz .LBB298_524
.LBB298_521:                            ; =>This Inner Loop Header: Depth=1
	s_or_b64 s[24:25], s[24:25], exec
	s_cmp_eq_u64 s[12:13], s[26:27]
	s_cbranch_scc0 .LBB298_519
; %bb.522:                              ;   in Loop: Header=BB298_521 Depth=1
                                        ; implicit-def: $sgpr28_sgpr29
	s_mov_b64 s[26:27], s[12:13]
	s_branch .LBB298_520
.LBB298_523:
	v_mov_b64_e32 v[10:11], 0
	s_branch .LBB298_526
.LBB298_524:
	s_or_b64 exec, exec, s[22:23]
	v_cmp_gt_i64_e32 vcc, s[12:13], v[10:11]
	s_mov_b32 s7, 0
	v_mov_b32_e32 v11, s7
	v_cndmask_b32_e64 v10, 0, 1, vcc
.LBB298_525:
	s_or_b64 exec, exec, s[20:21]
.LBB298_526:
	s_or_b64 exec, exec, s[4:5]
	v_add_u32_e32 v26, 3, v1
	v_cmp_gt_u32_e32 vcc, s10, v26
	s_and_saveexec_b64 s[4:5], vcc
	s_cbranch_execz .LBB298_537
; %bb.527:
	s_and_b64 vcc, exec, s[2:3]
	s_cbranch_vccnz .LBB298_534
; %bb.528:
	v_mov_b64_e32 v[28:29], s[14:15]
	s_waitcnt lgkmcnt(0)
	v_mad_u64_u32 v[26:27], s[20:21], v8, s12, v[28:29]
	v_mul_lo_u32 v8, v8, s13
	v_mul_lo_u32 v9, v9, s12
	v_add3_u32 v27, v9, v27, v8
	v_mad_u64_u32 v[28:29], s[20:21], v6, s12, v[28:29]
	v_mul_lo_u32 v8, v6, s13
	v_mul_lo_u32 v9, v7, s12
	v_add3_u32 v29, v9, v29, v8
	global_load_ubyte v8, v[26:27], off
	global_load_ubyte v9, v[28:29], off
	s_waitcnt vmcnt(0)
	v_cmp_eq_u16_e32 vcc, v8, v9
	v_mov_b64_e32 v[8:9], 1
	s_and_saveexec_b64 s[20:21], vcc
	s_cbranch_execz .LBB298_536
; %bb.529:
	s_mov_b64 s[26:27], 1
	s_mov_b64 s[22:23], 0
                                        ; implicit-def: $sgpr24_sgpr25
	s_branch .LBB298_532
.LBB298_530:                            ;   in Loop: Header=BB298_532 Depth=1
	v_lshl_add_u64 v[8:9], v[26:27], 0, s[26:27]
	v_lshl_add_u64 v[30:31], v[28:29], 0, s[26:27]
	global_load_ubyte v32, v[8:9], off
	global_load_ubyte v33, v[30:31], off
	s_add_u32 s28, s26, 1
	s_addc_u32 s29, s27, 0
	s_andn2_b64 s[24:25], s[24:25], exec
	s_waitcnt vmcnt(0)
	v_cmp_ne_u16_e32 vcc, v32, v33
	s_and_b64 s[30:31], vcc, exec
	s_or_b64 s[24:25], s[24:25], s[30:31]
.LBB298_531:                            ;   in Loop: Header=BB298_532 Depth=1
	s_and_b64 s[30:31], exec, s[24:25]
	s_or_b64 s[22:23], s[30:31], s[22:23]
	v_mov_b64_e32 v[8:9], s[26:27]
	s_mov_b64 s[26:27], s[28:29]
	s_andn2_b64 exec, exec, s[22:23]
	s_cbranch_execz .LBB298_535
.LBB298_532:                            ; =>This Inner Loop Header: Depth=1
	s_or_b64 s[24:25], s[24:25], exec
	s_cmp_eq_u64 s[12:13], s[26:27]
	s_cbranch_scc0 .LBB298_530
; %bb.533:                              ;   in Loop: Header=BB298_532 Depth=1
                                        ; implicit-def: $sgpr28_sgpr29
	s_mov_b64 s[26:27], s[12:13]
	s_branch .LBB298_531
.LBB298_534:
	v_mov_b64_e32 v[8:9], 0
	s_branch .LBB298_537
.LBB298_535:
	s_or_b64 exec, exec, s[22:23]
	v_cmp_gt_i64_e32 vcc, s[12:13], v[8:9]
	s_mov_b32 s7, 0
	v_mov_b32_e32 v9, s7
	v_cndmask_b32_e64 v8, 0, 1, vcc
.LBB298_536:
	s_or_b64 exec, exec, s[20:21]
.LBB298_537:
	s_or_b64 exec, exec, s[4:5]
	v_add_u32_e32 v26, 2, v1
	v_cmp_gt_u32_e32 vcc, s10, v26
	s_and_saveexec_b64 s[4:5], vcc
	s_cbranch_execz .LBB298_548
; %bb.538:
	s_and_b64 vcc, exec, s[2:3]
	s_cbranch_vccnz .LBB298_545
; %bb.539:
	v_mov_b64_e32 v[28:29], s[14:15]
	s_waitcnt lgkmcnt(0)
	v_mad_u64_u32 v[26:27], s[20:21], v6, s12, v[28:29]
	v_mul_lo_u32 v6, v6, s13
	v_mul_lo_u32 v7, v7, s12
	v_add3_u32 v27, v7, v27, v6
	v_mad_u64_u32 v[28:29], s[20:21], v4, s12, v[28:29]
	v_mul_lo_u32 v6, v4, s13
	v_mul_lo_u32 v7, v5, s12
	v_add3_u32 v29, v7, v29, v6
	global_load_ubyte v6, v[26:27], off
	global_load_ubyte v7, v[28:29], off
	s_waitcnt vmcnt(0)
	v_cmp_eq_u16_e32 vcc, v6, v7
	v_mov_b64_e32 v[6:7], 1
	s_and_saveexec_b64 s[20:21], vcc
	s_cbranch_execz .LBB298_547
; %bb.540:
	s_mov_b64 s[26:27], 1
	s_mov_b64 s[22:23], 0
                                        ; implicit-def: $sgpr24_sgpr25
	s_branch .LBB298_543
.LBB298_541:                            ;   in Loop: Header=BB298_543 Depth=1
	v_lshl_add_u64 v[6:7], v[26:27], 0, s[26:27]
	v_lshl_add_u64 v[30:31], v[28:29], 0, s[26:27]
	global_load_ubyte v32, v[6:7], off
	global_load_ubyte v33, v[30:31], off
	s_add_u32 s28, s26, 1
	s_addc_u32 s29, s27, 0
	s_andn2_b64 s[24:25], s[24:25], exec
	s_waitcnt vmcnt(0)
	v_cmp_ne_u16_e32 vcc, v32, v33
	s_and_b64 s[30:31], vcc, exec
	s_or_b64 s[24:25], s[24:25], s[30:31]
.LBB298_542:                            ;   in Loop: Header=BB298_543 Depth=1
	s_and_b64 s[30:31], exec, s[24:25]
	s_or_b64 s[22:23], s[30:31], s[22:23]
	v_mov_b64_e32 v[6:7], s[26:27]
	s_mov_b64 s[26:27], s[28:29]
	s_andn2_b64 exec, exec, s[22:23]
	s_cbranch_execz .LBB298_546
.LBB298_543:                            ; =>This Inner Loop Header: Depth=1
	s_or_b64 s[24:25], s[24:25], exec
	s_cmp_eq_u64 s[12:13], s[26:27]
	s_cbranch_scc0 .LBB298_541
; %bb.544:                              ;   in Loop: Header=BB298_543 Depth=1
                                        ; implicit-def: $sgpr28_sgpr29
	s_mov_b64 s[26:27], s[12:13]
	s_branch .LBB298_542
.LBB298_545:
	v_mov_b64_e32 v[6:7], 0
	s_branch .LBB298_548
.LBB298_546:
	s_or_b64 exec, exec, s[22:23]
	v_cmp_gt_i64_e32 vcc, s[12:13], v[6:7]
	s_mov_b32 s7, 0
	v_mov_b32_e32 v7, s7
	v_cndmask_b32_e64 v6, 0, 1, vcc
.LBB298_547:
	s_or_b64 exec, exec, s[20:21]
.LBB298_548:
	s_or_b64 exec, exec, s[4:5]
	v_add_u32_e32 v26, 1, v1
	v_cmp_gt_u32_e32 vcc, s10, v26
	s_and_saveexec_b64 s[4:5], vcc
	s_cbranch_execz .LBB298_559
; %bb.549:
	s_and_b64 vcc, exec, s[2:3]
	s_cbranch_vccnz .LBB298_556
; %bb.550:
	v_mov_b64_e32 v[28:29], s[14:15]
	s_waitcnt lgkmcnt(0)
	v_mad_u64_u32 v[26:27], s[20:21], v4, s12, v[28:29]
	v_mul_lo_u32 v4, v4, s13
	v_mul_lo_u32 v5, v5, s12
	v_add3_u32 v27, v5, v27, v4
	v_mad_u64_u32 v[28:29], s[20:21], v2, s12, v[28:29]
	v_mul_lo_u32 v4, v2, s13
	v_mul_lo_u32 v5, v3, s12
	v_add3_u32 v29, v5, v29, v4
	global_load_ubyte v4, v[26:27], off
	global_load_ubyte v5, v[28:29], off
	s_waitcnt vmcnt(0)
	v_cmp_eq_u16_e32 vcc, v4, v5
	v_mov_b64_e32 v[4:5], 1
	s_and_saveexec_b64 s[20:21], vcc
	s_cbranch_execz .LBB298_558
; %bb.551:
	s_mov_b64 s[26:27], 1
	s_mov_b64 s[22:23], 0
                                        ; implicit-def: $sgpr24_sgpr25
	s_branch .LBB298_554
.LBB298_552:                            ;   in Loop: Header=BB298_554 Depth=1
	v_lshl_add_u64 v[4:5], v[26:27], 0, s[26:27]
	v_lshl_add_u64 v[30:31], v[28:29], 0, s[26:27]
	global_load_ubyte v32, v[4:5], off
	global_load_ubyte v33, v[30:31], off
	s_add_u32 s28, s26, 1
	s_addc_u32 s29, s27, 0
	s_andn2_b64 s[24:25], s[24:25], exec
	s_waitcnt vmcnt(0)
	v_cmp_ne_u16_e32 vcc, v32, v33
	s_and_b64 s[30:31], vcc, exec
	s_or_b64 s[24:25], s[24:25], s[30:31]
.LBB298_553:                            ;   in Loop: Header=BB298_554 Depth=1
	s_and_b64 s[30:31], exec, s[24:25]
	s_or_b64 s[22:23], s[30:31], s[22:23]
	v_mov_b64_e32 v[4:5], s[26:27]
	s_mov_b64 s[26:27], s[28:29]
	s_andn2_b64 exec, exec, s[22:23]
	s_cbranch_execz .LBB298_557
.LBB298_554:                            ; =>This Inner Loop Header: Depth=1
	s_or_b64 s[24:25], s[24:25], exec
	s_cmp_eq_u64 s[12:13], s[26:27]
	s_cbranch_scc0 .LBB298_552
; %bb.555:                              ;   in Loop: Header=BB298_554 Depth=1
                                        ; implicit-def: $sgpr28_sgpr29
	s_mov_b64 s[26:27], s[12:13]
	s_branch .LBB298_553
.LBB298_556:
	v_mov_b64_e32 v[4:5], 0
	s_branch .LBB298_559
.LBB298_557:
	s_or_b64 exec, exec, s[22:23]
	v_cmp_gt_i64_e32 vcc, s[12:13], v[4:5]
	s_mov_b32 s7, 0
	v_mov_b32_e32 v5, s7
	v_cndmask_b32_e64 v4, 0, 1, vcc
.LBB298_558:
	s_or_b64 exec, exec, s[20:21]
.LBB298_559:
	s_or_b64 exec, exec, s[4:5]
	v_cmp_ne_u32_e32 vcc, 0, v0
	v_cmp_gt_u32_e64 s[4:5], s10, v1
	s_waitcnt lgkmcnt(0)
	s_and_b64 s[20:21], vcc, s[4:5]
	s_waitcnt lgkmcnt(0)
	; wave barrier
	s_waitcnt lgkmcnt(0)
                                        ; implicit-def: $sgpr24_sgpr25
	s_and_saveexec_b64 s[4:5], s[20:21]
	s_cbranch_execz .LBB298_571
; %bb.560:
	s_and_b64 vcc, exec, s[2:3]
	s_cbranch_vccnz .LBB298_567
; %bb.561:
	v_add_u32_e32 v1, -8, v48
	ds_read_b64 v[28:29], v1
	v_mov_b64_e32 v[30:31], s[14:15]
	v_mad_u64_u32 v[26:27], s[2:3], v2, s12, v[30:31]
	v_mul_lo_u32 v1, v2, s13
	v_mul_lo_u32 v2, v3, s12
	v_add3_u32 v27, v2, v27, v1
	s_waitcnt lgkmcnt(0)
	v_mul_lo_u32 v1, v28, s13
	v_mul_lo_u32 v29, v29, s12
	v_mad_u64_u32 v[2:3], s[2:3], v28, s12, v[30:31]
	v_add3_u32 v3, v29, v3, v1
	global_load_ubyte v1, v[26:27], off
	global_load_ubyte v28, v[2:3], off
	s_mov_b64 s[14:15], -1
	s_waitcnt vmcnt(0)
	v_cmp_eq_u16_e32 vcc, v1, v28
	s_and_saveexec_b64 s[2:3], vcc
	s_cbranch_execz .LBB298_569
; %bb.562:
	s_mov_b64 s[22:23], 1
	s_mov_b64 s[14:15], 0
                                        ; implicit-def: $sgpr20_sgpr21
	s_branch .LBB298_565
.LBB298_563:                            ;   in Loop: Header=BB298_565 Depth=1
	v_lshl_add_u64 v[28:29], v[26:27], 0, s[22:23]
	v_lshl_add_u64 v[30:31], v[2:3], 0, s[22:23]
	global_load_ubyte v1, v[28:29], off
	global_load_ubyte v32, v[30:31], off
	s_add_u32 s24, s22, 1
	s_addc_u32 s25, s23, 0
	s_andn2_b64 s[20:21], s[20:21], exec
	s_waitcnt vmcnt(0)
	v_cmp_ne_u16_e32 vcc, v1, v32
	s_and_b64 s[26:27], vcc, exec
	s_or_b64 s[20:21], s[20:21], s[26:27]
.LBB298_564:                            ;   in Loop: Header=BB298_565 Depth=1
	s_and_b64 s[26:27], exec, s[20:21]
	s_or_b64 s[14:15], s[26:27], s[14:15]
	v_mov_b64_e32 v[28:29], s[22:23]
	s_mov_b64 s[22:23], s[24:25]
	s_andn2_b64 exec, exec, s[14:15]
	s_cbranch_execz .LBB298_568
.LBB298_565:                            ; =>This Inner Loop Header: Depth=1
	s_or_b64 s[20:21], s[20:21], exec
	s_cmp_eq_u64 s[12:13], s[22:23]
	s_cbranch_scc0 .LBB298_563
; %bb.566:                              ;   in Loop: Header=BB298_565 Depth=1
                                        ; implicit-def: $sgpr24_sgpr25
	s_mov_b64 s[22:23], s[12:13]
	s_branch .LBB298_564
.LBB298_567:
	s_mov_b64 s[14:15], 0
	s_branch .LBB298_570
.LBB298_568:
	s_or_b64 exec, exec, s[14:15]
	v_cmp_gt_i64_e32 vcc, s[12:13], v[28:29]
	s_orn2_b64 s[14:15], vcc, exec
.LBB298_569:
	s_or_b64 exec, exec, s[2:3]
.LBB298_570:
	s_and_b64 s[24:25], s[14:15], exec
	s_or_b64 s[18:19], s[18:19], exec
.LBB298_571:
	s_or_b64 exec, exec, s[4:5]
	v_mov_b64_e32 v[50:51], v[44:45]
	v_mov_b64_e32 v[52:53], v[24:25]
	;; [unrolled: 1-line block ×23, first 2 shown]
.LBB298_572:
	s_and_saveexec_b64 s[2:3], s[18:19]
	s_cbranch_execz .LBB298_574
; %bb.573:
	s_mov_b32 s4, 0
	v_cndmask_b32_e64 v2, 0, 1, s[24:25]
	v_mov_b32_e32 v3, s4
	s_waitcnt lgkmcnt(0)
	v_mov_b64_e32 v[30:31], v[54:55]
	v_mov_b64_e32 v[80:81], v[56:57]
	;; [unrolled: 1-line block ×11, first 2 shown]
.LBB298_574:
	s_or_b64 exec, exec, s[2:3]
	s_add_u32 s4, s8, s16
	s_addc_u32 s5, s9, s17
	s_and_b64 vcc, exec, s[0:1]
	s_waitcnt lgkmcnt(0)
	; wave barrier
	s_waitcnt lgkmcnt(0)
	s_cbranch_vccz .LBB298_600
; %bb.575:
	s_movk_i32 s2, 0x68
	v_mul_u32_u24_e32 v1, 0x68, v0
	v_mov_b32_e32 v4, v82
	v_mov_b32_e32 v5, v83
	v_mul_i32_i24_e32 v28, 0xffffffa0, v0
	ds_write2_b64 v1, v[2:3], v[4:5] offset1:1
	ds_write2_b64 v1, v[74:75], v[42:43] offset0:2 offset1:3
	ds_write2_b64 v1, v[76:77], v[38:39] offset0:4 offset1:5
	;; [unrolled: 1-line block ×5, first 2 shown]
	ds_write_b64 v1, v[50:51] offset:96
	v_mad_u32_u24 v4, v0, s2, v28
	s_waitcnt lgkmcnt(0)
	; wave barrier
	s_waitcnt lgkmcnt(0)
	ds_read2st64_b64 v[44:47], v4 offset0:1 offset1:2
	ds_read2st64_b64 v[20:23], v4 offset0:3 offset1:4
	;; [unrolled: 1-line block ×6, first 2 shown]
	s_mov_b32 s7, 0
	s_add_i32 s11, s11, s10
	s_lshl_b64 s[0:1], s[6:7], 3
	s_add_u32 s0, s4, s0
	s_addc_u32 s1, s5, s1
	v_mov_b32_e32 v49, 0
	v_lshl_add_u64 v[24:25], s[0:1], 0, v[48:49]
	v_cmp_gt_u32_e32 vcc, s11, v0
	s_and_saveexec_b64 s[0:1], vcc
	s_cbranch_execz .LBB298_577
; %bb.576:
	v_add_u32_e32 v1, v1, v28
	ds_read_b64 v[28:29], v1
	s_waitcnt lgkmcnt(0)
	global_store_dwordx2 v[24:25], v[28:29], off
.LBB298_577:
	s_or_b64 exec, exec, s[0:1]
	v_or_b32_e32 v1, 64, v0
	v_cmp_gt_u32_e32 vcc, s11, v1
	s_and_saveexec_b64 s[0:1], vcc
	s_cbranch_execz .LBB298_579
; %bb.578:
	s_waitcnt lgkmcnt(5)
	global_store_dwordx2 v[24:25], v[44:45], off offset:512
.LBB298_579:
	s_or_b64 exec, exec, s[0:1]
	v_or_b32_e32 v1, 0x80, v0
	v_cmp_gt_u32_e32 vcc, s11, v1
	s_and_saveexec_b64 s[0:1], vcc
	s_cbranch_execz .LBB298_581
; %bb.580:
	s_waitcnt lgkmcnt(5)
	global_store_dwordx2 v[24:25], v[46:47], off offset:1024
.LBB298_581:
	;; [unrolled: 9-line block ×7, first 2 shown]
	s_or_b64 exec, exec, s[0:1]
	v_or_b32_e32 v1, 0x200, v0
	v_cmp_gt_u32_e32 vcc, s11, v1
	s_and_saveexec_b64 s[0:1], vcc
	s_cbranch_execz .LBB298_593
; %bb.592:
	s_waitcnt lgkmcnt(2)
	v_add_co_u32_e32 v12, vcc, 0x1000, v24
	s_nop 1
	v_addc_co_u32_e32 v13, vcc, 0, v25, vcc
	global_store_dwordx2 v[12:13], v[14:15], off
.LBB298_593:
	s_or_b64 exec, exec, s[0:1]
	v_or_b32_e32 v1, 0x240, v0
	v_cmp_gt_u32_e32 vcc, s11, v1
	s_and_saveexec_b64 s[0:1], vcc
	s_cbranch_execz .LBB298_595
; %bb.594:
	s_waitcnt lgkmcnt(2)
	v_add_co_u32_e32 v12, vcc, 0x1000, v24
	s_nop 1
	v_addc_co_u32_e32 v13, vcc, 0, v25, vcc
	s_waitcnt lgkmcnt(1)
	global_store_dwordx2 v[12:13], v[8:9], off offset:512
.LBB298_595:
	s_or_b64 exec, exec, s[0:1]
	v_or_b32_e32 v1, 0x280, v0
	v_cmp_gt_u32_e32 vcc, s11, v1
	s_and_saveexec_b64 s[0:1], vcc
	s_cbranch_execz .LBB298_597
; %bb.596:
	s_waitcnt lgkmcnt(1)
	v_add_co_u32_e32 v8, vcc, 0x1000, v24
	s_nop 1
	v_addc_co_u32_e32 v9, vcc, 0, v25, vcc
	global_store_dwordx2 v[8:9], v[10:11], off offset:1024
.LBB298_597:
	s_or_b64 exec, exec, s[0:1]
	v_or_b32_e32 v1, 0x2c0, v0
	v_cmp_gt_u32_e32 vcc, s11, v1
	s_and_saveexec_b64 s[0:1], vcc
	s_cbranch_execz .LBB298_599
; %bb.598:
	s_waitcnt lgkmcnt(1)
	v_add_co_u32_e32 v8, vcc, 0x1000, v24
	s_nop 1
	v_addc_co_u32_e32 v9, vcc, 0, v25, vcc
	s_waitcnt lgkmcnt(0)
	global_store_dwordx2 v[8:9], v[4:5], off offset:1536
.LBB298_599:
	s_or_b64 exec, exec, s[0:1]
	v_or_b32_e32 v1, 0x300, v0
	v_cmp_gt_u32_e64 s[0:1], s11, v1
	s_branch .LBB298_602
.LBB298_600:
	s_mov_b64 s[0:1], 0
                                        ; implicit-def: $vgpr6_vgpr7
                                        ; implicit-def: $vgpr24_vgpr25
	s_cbranch_execz .LBB298_602
; %bb.601:
	s_mov_b32 s7, 0
	s_lshl_b64 s[2:3], s[6:7], 3
	v_mul_u32_u24_e32 v1, 0x68, v0
	s_add_u32 s2, s4, s2
	s_movk_i32 s4, 0x68
	ds_write2_b64 v1, v[2:3], v[82:83] offset1:1
	ds_write2_b64 v1, v[74:75], v[42:43] offset0:2 offset1:3
	ds_write2_b64 v1, v[76:77], v[38:39] offset0:4 offset1:5
	;; [unrolled: 1-line block ×5, first 2 shown]
	ds_write_b64 v1, v[50:51] offset:96
	v_mul_i32_i24_e32 v1, 0xffffffa0, v0
	s_waitcnt lgkmcnt(7)
	v_mad_u32_u24 v4, v0, s4, v1
	s_addc_u32 s3, s5, s3
	s_waitcnt lgkmcnt(0)
	; wave barrier
	s_waitcnt lgkmcnt(0)
	ds_read2st64_b64 v[0:3], v4 offset1:1
	ds_read2st64_b64 v[8:11], v4 offset0:2 offset1:3
	ds_read2st64_b64 v[12:15], v4 offset0:4 offset1:5
	;; [unrolled: 1-line block ×5, first 2 shown]
	ds_read_b64 v[6:7], v4 offset:6144
	v_mov_b32_e32 v49, 0
	v_lshl_add_u64 v[24:25], s[2:3], 0, v[48:49]
	s_waitcnt lgkmcnt(6)
	global_store_dwordx2 v48, v[0:1], s[2:3]
	global_store_dwordx2 v48, v[2:3], s[2:3] offset:512
	s_waitcnt lgkmcnt(5)
	global_store_dwordx2 v48, v[8:9], s[2:3] offset:1024
	global_store_dwordx2 v48, v[10:11], s[2:3] offset:1536
	s_waitcnt lgkmcnt(4)
	global_store_dwordx2 v48, v[12:13], s[2:3] offset:2048
	;; [unrolled: 3-line block ×3, first 2 shown]
	global_store_dwordx2 v48, v[18:19], s[2:3] offset:3584
	v_add_co_u32_e32 v0, vcc, 0x1000, v24
	s_or_b64 s[0:1], s[0:1], exec
	s_nop 0
	v_addc_co_u32_e32 v1, vcc, 0, v25, vcc
	s_waitcnt lgkmcnt(2)
	global_store_dwordx2 v[0:1], v[20:21], off
	global_store_dwordx2 v[0:1], v[22:23], off offset:512
	s_waitcnt lgkmcnt(1)
	global_store_dwordx2 v[0:1], v[26:27], off offset:1024
	global_store_dwordx2 v[0:1], v[28:29], off offset:1536
.LBB298_602:
	s_and_saveexec_b64 s[2:3], s[0:1]
	s_cbranch_execnz .LBB298_604
; %bb.603:
	s_endpgm
.LBB298_604:
	v_add_co_u32_e32 v0, vcc, 0x1000, v24
	s_nop 1
	v_addc_co_u32_e32 v1, vcc, 0, v25, vcc
	s_waitcnt lgkmcnt(0)
	global_store_dwordx2 v[0:1], v[6:7], off offset:2048
	s_endpgm
	.section	.rodata,"a",@progbits
	.p2align	6, 0x0
	.amdhsa_kernel _ZN7rocprim17ROCPRIM_400000_NS6detail17trampoline_kernelINS0_14default_configENS1_35adjacent_difference_config_selectorILb0ElEEZNS1_24adjacent_difference_implIS3_Lb0ELb0EPlS7_ZN2at6native12_GLOBAL__N_124unique_dim_cuda_templateIaEESt5tupleIJNS8_6TensorESD_SD_EERKSD_lbbbEUlllE1_EE10hipError_tPvRmT2_T3_mT4_P12ihipStream_tbEUlT_E_NS1_11comp_targetILNS1_3genE5ELNS1_11target_archE942ELNS1_3gpuE9ELNS1_3repE0EEENS1_30default_config_static_selectorELNS0_4arch9wavefront6targetE1EEEvT1_
		.amdhsa_group_segment_fixed_size 6656
		.amdhsa_private_segment_fixed_size 0
		.amdhsa_kernarg_size 64
		.amdhsa_user_sgpr_count 2
		.amdhsa_user_sgpr_dispatch_ptr 0
		.amdhsa_user_sgpr_queue_ptr 0
		.amdhsa_user_sgpr_kernarg_segment_ptr 1
		.amdhsa_user_sgpr_dispatch_id 0
		.amdhsa_user_sgpr_kernarg_preload_length 0
		.amdhsa_user_sgpr_kernarg_preload_offset 0
		.amdhsa_user_sgpr_private_segment_size 0
		.amdhsa_uses_dynamic_stack 0
		.amdhsa_enable_private_segment 0
		.amdhsa_system_sgpr_workgroup_id_x 1
		.amdhsa_system_sgpr_workgroup_id_y 0
		.amdhsa_system_sgpr_workgroup_id_z 0
		.amdhsa_system_sgpr_workgroup_info 0
		.amdhsa_system_vgpr_workitem_id 0
		.amdhsa_next_free_vgpr 84
		.amdhsa_next_free_sgpr 38
		.amdhsa_accum_offset 84
		.amdhsa_reserve_vcc 1
		.amdhsa_float_round_mode_32 0
		.amdhsa_float_round_mode_16_64 0
		.amdhsa_float_denorm_mode_32 3
		.amdhsa_float_denorm_mode_16_64 3
		.amdhsa_dx10_clamp 1
		.amdhsa_ieee_mode 1
		.amdhsa_fp16_overflow 0
		.amdhsa_tg_split 0
		.amdhsa_exception_fp_ieee_invalid_op 0
		.amdhsa_exception_fp_denorm_src 0
		.amdhsa_exception_fp_ieee_div_zero 0
		.amdhsa_exception_fp_ieee_overflow 0
		.amdhsa_exception_fp_ieee_underflow 0
		.amdhsa_exception_fp_ieee_inexact 0
		.amdhsa_exception_int_div_zero 0
	.end_amdhsa_kernel
	.section	.text._ZN7rocprim17ROCPRIM_400000_NS6detail17trampoline_kernelINS0_14default_configENS1_35adjacent_difference_config_selectorILb0ElEEZNS1_24adjacent_difference_implIS3_Lb0ELb0EPlS7_ZN2at6native12_GLOBAL__N_124unique_dim_cuda_templateIaEESt5tupleIJNS8_6TensorESD_SD_EERKSD_lbbbEUlllE1_EE10hipError_tPvRmT2_T3_mT4_P12ihipStream_tbEUlT_E_NS1_11comp_targetILNS1_3genE5ELNS1_11target_archE942ELNS1_3gpuE9ELNS1_3repE0EEENS1_30default_config_static_selectorELNS0_4arch9wavefront6targetE1EEEvT1_,"axG",@progbits,_ZN7rocprim17ROCPRIM_400000_NS6detail17trampoline_kernelINS0_14default_configENS1_35adjacent_difference_config_selectorILb0ElEEZNS1_24adjacent_difference_implIS3_Lb0ELb0EPlS7_ZN2at6native12_GLOBAL__N_124unique_dim_cuda_templateIaEESt5tupleIJNS8_6TensorESD_SD_EERKSD_lbbbEUlllE1_EE10hipError_tPvRmT2_T3_mT4_P12ihipStream_tbEUlT_E_NS1_11comp_targetILNS1_3genE5ELNS1_11target_archE942ELNS1_3gpuE9ELNS1_3repE0EEENS1_30default_config_static_selectorELNS0_4arch9wavefront6targetE1EEEvT1_,comdat
.Lfunc_end298:
	.size	_ZN7rocprim17ROCPRIM_400000_NS6detail17trampoline_kernelINS0_14default_configENS1_35adjacent_difference_config_selectorILb0ElEEZNS1_24adjacent_difference_implIS3_Lb0ELb0EPlS7_ZN2at6native12_GLOBAL__N_124unique_dim_cuda_templateIaEESt5tupleIJNS8_6TensorESD_SD_EERKSD_lbbbEUlllE1_EE10hipError_tPvRmT2_T3_mT4_P12ihipStream_tbEUlT_E_NS1_11comp_targetILNS1_3genE5ELNS1_11target_archE942ELNS1_3gpuE9ELNS1_3repE0EEENS1_30default_config_static_selectorELNS0_4arch9wavefront6targetE1EEEvT1_, .Lfunc_end298-_ZN7rocprim17ROCPRIM_400000_NS6detail17trampoline_kernelINS0_14default_configENS1_35adjacent_difference_config_selectorILb0ElEEZNS1_24adjacent_difference_implIS3_Lb0ELb0EPlS7_ZN2at6native12_GLOBAL__N_124unique_dim_cuda_templateIaEESt5tupleIJNS8_6TensorESD_SD_EERKSD_lbbbEUlllE1_EE10hipError_tPvRmT2_T3_mT4_P12ihipStream_tbEUlT_E_NS1_11comp_targetILNS1_3genE5ELNS1_11target_archE942ELNS1_3gpuE9ELNS1_3repE0EEENS1_30default_config_static_selectorELNS0_4arch9wavefront6targetE1EEEvT1_
                                        ; -- End function
	.section	.AMDGPU.csdata,"",@progbits
; Kernel info:
; codeLenInByte = 16840
; NumSgprs: 44
; NumVgprs: 84
; NumAgprs: 0
; TotalNumVgprs: 84
; ScratchSize: 0
; MemoryBound: 0
; FloatMode: 240
; IeeeMode: 1
; LDSByteSize: 6656 bytes/workgroup (compile time only)
; SGPRBlocks: 5
; VGPRBlocks: 10
; NumSGPRsForWavesPerEU: 44
; NumVGPRsForWavesPerEU: 84
; AccumOffset: 84
; Occupancy: 3
; WaveLimiterHint : 1
; COMPUTE_PGM_RSRC2:SCRATCH_EN: 0
; COMPUTE_PGM_RSRC2:USER_SGPR: 2
; COMPUTE_PGM_RSRC2:TRAP_HANDLER: 0
; COMPUTE_PGM_RSRC2:TGID_X_EN: 1
; COMPUTE_PGM_RSRC2:TGID_Y_EN: 0
; COMPUTE_PGM_RSRC2:TGID_Z_EN: 0
; COMPUTE_PGM_RSRC2:TIDIG_COMP_CNT: 0
; COMPUTE_PGM_RSRC3_GFX90A:ACCUM_OFFSET: 20
; COMPUTE_PGM_RSRC3_GFX90A:TG_SPLIT: 0
	.section	.text._ZN7rocprim17ROCPRIM_400000_NS6detail17trampoline_kernelINS0_14default_configENS1_35adjacent_difference_config_selectorILb0ElEEZNS1_24adjacent_difference_implIS3_Lb0ELb0EPlS7_ZN2at6native12_GLOBAL__N_124unique_dim_cuda_templateIaEESt5tupleIJNS8_6TensorESD_SD_EERKSD_lbbbEUlllE1_EE10hipError_tPvRmT2_T3_mT4_P12ihipStream_tbEUlT_E_NS1_11comp_targetILNS1_3genE4ELNS1_11target_archE910ELNS1_3gpuE8ELNS1_3repE0EEENS1_30default_config_static_selectorELNS0_4arch9wavefront6targetE1EEEvT1_,"axG",@progbits,_ZN7rocprim17ROCPRIM_400000_NS6detail17trampoline_kernelINS0_14default_configENS1_35adjacent_difference_config_selectorILb0ElEEZNS1_24adjacent_difference_implIS3_Lb0ELb0EPlS7_ZN2at6native12_GLOBAL__N_124unique_dim_cuda_templateIaEESt5tupleIJNS8_6TensorESD_SD_EERKSD_lbbbEUlllE1_EE10hipError_tPvRmT2_T3_mT4_P12ihipStream_tbEUlT_E_NS1_11comp_targetILNS1_3genE4ELNS1_11target_archE910ELNS1_3gpuE8ELNS1_3repE0EEENS1_30default_config_static_selectorELNS0_4arch9wavefront6targetE1EEEvT1_,comdat
	.globl	_ZN7rocprim17ROCPRIM_400000_NS6detail17trampoline_kernelINS0_14default_configENS1_35adjacent_difference_config_selectorILb0ElEEZNS1_24adjacent_difference_implIS3_Lb0ELb0EPlS7_ZN2at6native12_GLOBAL__N_124unique_dim_cuda_templateIaEESt5tupleIJNS8_6TensorESD_SD_EERKSD_lbbbEUlllE1_EE10hipError_tPvRmT2_T3_mT4_P12ihipStream_tbEUlT_E_NS1_11comp_targetILNS1_3genE4ELNS1_11target_archE910ELNS1_3gpuE8ELNS1_3repE0EEENS1_30default_config_static_selectorELNS0_4arch9wavefront6targetE1EEEvT1_ ; -- Begin function _ZN7rocprim17ROCPRIM_400000_NS6detail17trampoline_kernelINS0_14default_configENS1_35adjacent_difference_config_selectorILb0ElEEZNS1_24adjacent_difference_implIS3_Lb0ELb0EPlS7_ZN2at6native12_GLOBAL__N_124unique_dim_cuda_templateIaEESt5tupleIJNS8_6TensorESD_SD_EERKSD_lbbbEUlllE1_EE10hipError_tPvRmT2_T3_mT4_P12ihipStream_tbEUlT_E_NS1_11comp_targetILNS1_3genE4ELNS1_11target_archE910ELNS1_3gpuE8ELNS1_3repE0EEENS1_30default_config_static_selectorELNS0_4arch9wavefront6targetE1EEEvT1_
	.p2align	8
	.type	_ZN7rocprim17ROCPRIM_400000_NS6detail17trampoline_kernelINS0_14default_configENS1_35adjacent_difference_config_selectorILb0ElEEZNS1_24adjacent_difference_implIS3_Lb0ELb0EPlS7_ZN2at6native12_GLOBAL__N_124unique_dim_cuda_templateIaEESt5tupleIJNS8_6TensorESD_SD_EERKSD_lbbbEUlllE1_EE10hipError_tPvRmT2_T3_mT4_P12ihipStream_tbEUlT_E_NS1_11comp_targetILNS1_3genE4ELNS1_11target_archE910ELNS1_3gpuE8ELNS1_3repE0EEENS1_30default_config_static_selectorELNS0_4arch9wavefront6targetE1EEEvT1_,@function
_ZN7rocprim17ROCPRIM_400000_NS6detail17trampoline_kernelINS0_14default_configENS1_35adjacent_difference_config_selectorILb0ElEEZNS1_24adjacent_difference_implIS3_Lb0ELb0EPlS7_ZN2at6native12_GLOBAL__N_124unique_dim_cuda_templateIaEESt5tupleIJNS8_6TensorESD_SD_EERKSD_lbbbEUlllE1_EE10hipError_tPvRmT2_T3_mT4_P12ihipStream_tbEUlT_E_NS1_11comp_targetILNS1_3genE4ELNS1_11target_archE910ELNS1_3gpuE8ELNS1_3repE0EEENS1_30default_config_static_selectorELNS0_4arch9wavefront6targetE1EEEvT1_: ; @_ZN7rocprim17ROCPRIM_400000_NS6detail17trampoline_kernelINS0_14default_configENS1_35adjacent_difference_config_selectorILb0ElEEZNS1_24adjacent_difference_implIS3_Lb0ELb0EPlS7_ZN2at6native12_GLOBAL__N_124unique_dim_cuda_templateIaEESt5tupleIJNS8_6TensorESD_SD_EERKSD_lbbbEUlllE1_EE10hipError_tPvRmT2_T3_mT4_P12ihipStream_tbEUlT_E_NS1_11comp_targetILNS1_3genE4ELNS1_11target_archE910ELNS1_3gpuE8ELNS1_3repE0EEENS1_30default_config_static_selectorELNS0_4arch9wavefront6targetE1EEEvT1_
; %bb.0:
	.section	.rodata,"a",@progbits
	.p2align	6, 0x0
	.amdhsa_kernel _ZN7rocprim17ROCPRIM_400000_NS6detail17trampoline_kernelINS0_14default_configENS1_35adjacent_difference_config_selectorILb0ElEEZNS1_24adjacent_difference_implIS3_Lb0ELb0EPlS7_ZN2at6native12_GLOBAL__N_124unique_dim_cuda_templateIaEESt5tupleIJNS8_6TensorESD_SD_EERKSD_lbbbEUlllE1_EE10hipError_tPvRmT2_T3_mT4_P12ihipStream_tbEUlT_E_NS1_11comp_targetILNS1_3genE4ELNS1_11target_archE910ELNS1_3gpuE8ELNS1_3repE0EEENS1_30default_config_static_selectorELNS0_4arch9wavefront6targetE1EEEvT1_
		.amdhsa_group_segment_fixed_size 0
		.amdhsa_private_segment_fixed_size 0
		.amdhsa_kernarg_size 64
		.amdhsa_user_sgpr_count 2
		.amdhsa_user_sgpr_dispatch_ptr 0
		.amdhsa_user_sgpr_queue_ptr 0
		.amdhsa_user_sgpr_kernarg_segment_ptr 1
		.amdhsa_user_sgpr_dispatch_id 0
		.amdhsa_user_sgpr_kernarg_preload_length 0
		.amdhsa_user_sgpr_kernarg_preload_offset 0
		.amdhsa_user_sgpr_private_segment_size 0
		.amdhsa_uses_dynamic_stack 0
		.amdhsa_enable_private_segment 0
		.amdhsa_system_sgpr_workgroup_id_x 1
		.amdhsa_system_sgpr_workgroup_id_y 0
		.amdhsa_system_sgpr_workgroup_id_z 0
		.amdhsa_system_sgpr_workgroup_info 0
		.amdhsa_system_vgpr_workitem_id 0
		.amdhsa_next_free_vgpr 1
		.amdhsa_next_free_sgpr 0
		.amdhsa_accum_offset 4
		.amdhsa_reserve_vcc 0
		.amdhsa_float_round_mode_32 0
		.amdhsa_float_round_mode_16_64 0
		.amdhsa_float_denorm_mode_32 3
		.amdhsa_float_denorm_mode_16_64 3
		.amdhsa_dx10_clamp 1
		.amdhsa_ieee_mode 1
		.amdhsa_fp16_overflow 0
		.amdhsa_tg_split 0
		.amdhsa_exception_fp_ieee_invalid_op 0
		.amdhsa_exception_fp_denorm_src 0
		.amdhsa_exception_fp_ieee_div_zero 0
		.amdhsa_exception_fp_ieee_overflow 0
		.amdhsa_exception_fp_ieee_underflow 0
		.amdhsa_exception_fp_ieee_inexact 0
		.amdhsa_exception_int_div_zero 0
	.end_amdhsa_kernel
	.section	.text._ZN7rocprim17ROCPRIM_400000_NS6detail17trampoline_kernelINS0_14default_configENS1_35adjacent_difference_config_selectorILb0ElEEZNS1_24adjacent_difference_implIS3_Lb0ELb0EPlS7_ZN2at6native12_GLOBAL__N_124unique_dim_cuda_templateIaEESt5tupleIJNS8_6TensorESD_SD_EERKSD_lbbbEUlllE1_EE10hipError_tPvRmT2_T3_mT4_P12ihipStream_tbEUlT_E_NS1_11comp_targetILNS1_3genE4ELNS1_11target_archE910ELNS1_3gpuE8ELNS1_3repE0EEENS1_30default_config_static_selectorELNS0_4arch9wavefront6targetE1EEEvT1_,"axG",@progbits,_ZN7rocprim17ROCPRIM_400000_NS6detail17trampoline_kernelINS0_14default_configENS1_35adjacent_difference_config_selectorILb0ElEEZNS1_24adjacent_difference_implIS3_Lb0ELb0EPlS7_ZN2at6native12_GLOBAL__N_124unique_dim_cuda_templateIaEESt5tupleIJNS8_6TensorESD_SD_EERKSD_lbbbEUlllE1_EE10hipError_tPvRmT2_T3_mT4_P12ihipStream_tbEUlT_E_NS1_11comp_targetILNS1_3genE4ELNS1_11target_archE910ELNS1_3gpuE8ELNS1_3repE0EEENS1_30default_config_static_selectorELNS0_4arch9wavefront6targetE1EEEvT1_,comdat
.Lfunc_end299:
	.size	_ZN7rocprim17ROCPRIM_400000_NS6detail17trampoline_kernelINS0_14default_configENS1_35adjacent_difference_config_selectorILb0ElEEZNS1_24adjacent_difference_implIS3_Lb0ELb0EPlS7_ZN2at6native12_GLOBAL__N_124unique_dim_cuda_templateIaEESt5tupleIJNS8_6TensorESD_SD_EERKSD_lbbbEUlllE1_EE10hipError_tPvRmT2_T3_mT4_P12ihipStream_tbEUlT_E_NS1_11comp_targetILNS1_3genE4ELNS1_11target_archE910ELNS1_3gpuE8ELNS1_3repE0EEENS1_30default_config_static_selectorELNS0_4arch9wavefront6targetE1EEEvT1_, .Lfunc_end299-_ZN7rocprim17ROCPRIM_400000_NS6detail17trampoline_kernelINS0_14default_configENS1_35adjacent_difference_config_selectorILb0ElEEZNS1_24adjacent_difference_implIS3_Lb0ELb0EPlS7_ZN2at6native12_GLOBAL__N_124unique_dim_cuda_templateIaEESt5tupleIJNS8_6TensorESD_SD_EERKSD_lbbbEUlllE1_EE10hipError_tPvRmT2_T3_mT4_P12ihipStream_tbEUlT_E_NS1_11comp_targetILNS1_3genE4ELNS1_11target_archE910ELNS1_3gpuE8ELNS1_3repE0EEENS1_30default_config_static_selectorELNS0_4arch9wavefront6targetE1EEEvT1_
                                        ; -- End function
	.section	.AMDGPU.csdata,"",@progbits
; Kernel info:
; codeLenInByte = 0
; NumSgprs: 6
; NumVgprs: 0
; NumAgprs: 0
; TotalNumVgprs: 0
; ScratchSize: 0
; MemoryBound: 0
; FloatMode: 240
; IeeeMode: 1
; LDSByteSize: 0 bytes/workgroup (compile time only)
; SGPRBlocks: 0
; VGPRBlocks: 0
; NumSGPRsForWavesPerEU: 6
; NumVGPRsForWavesPerEU: 1
; AccumOffset: 4
; Occupancy: 8
; WaveLimiterHint : 0
; COMPUTE_PGM_RSRC2:SCRATCH_EN: 0
; COMPUTE_PGM_RSRC2:USER_SGPR: 2
; COMPUTE_PGM_RSRC2:TRAP_HANDLER: 0
; COMPUTE_PGM_RSRC2:TGID_X_EN: 1
; COMPUTE_PGM_RSRC2:TGID_Y_EN: 0
; COMPUTE_PGM_RSRC2:TGID_Z_EN: 0
; COMPUTE_PGM_RSRC2:TIDIG_COMP_CNT: 0
; COMPUTE_PGM_RSRC3_GFX90A:ACCUM_OFFSET: 0
; COMPUTE_PGM_RSRC3_GFX90A:TG_SPLIT: 0
	.section	.text._ZN7rocprim17ROCPRIM_400000_NS6detail17trampoline_kernelINS0_14default_configENS1_35adjacent_difference_config_selectorILb0ElEEZNS1_24adjacent_difference_implIS3_Lb0ELb0EPlS7_ZN2at6native12_GLOBAL__N_124unique_dim_cuda_templateIaEESt5tupleIJNS8_6TensorESD_SD_EERKSD_lbbbEUlllE1_EE10hipError_tPvRmT2_T3_mT4_P12ihipStream_tbEUlT_E_NS1_11comp_targetILNS1_3genE3ELNS1_11target_archE908ELNS1_3gpuE7ELNS1_3repE0EEENS1_30default_config_static_selectorELNS0_4arch9wavefront6targetE1EEEvT1_,"axG",@progbits,_ZN7rocprim17ROCPRIM_400000_NS6detail17trampoline_kernelINS0_14default_configENS1_35adjacent_difference_config_selectorILb0ElEEZNS1_24adjacent_difference_implIS3_Lb0ELb0EPlS7_ZN2at6native12_GLOBAL__N_124unique_dim_cuda_templateIaEESt5tupleIJNS8_6TensorESD_SD_EERKSD_lbbbEUlllE1_EE10hipError_tPvRmT2_T3_mT4_P12ihipStream_tbEUlT_E_NS1_11comp_targetILNS1_3genE3ELNS1_11target_archE908ELNS1_3gpuE7ELNS1_3repE0EEENS1_30default_config_static_selectorELNS0_4arch9wavefront6targetE1EEEvT1_,comdat
	.globl	_ZN7rocprim17ROCPRIM_400000_NS6detail17trampoline_kernelINS0_14default_configENS1_35adjacent_difference_config_selectorILb0ElEEZNS1_24adjacent_difference_implIS3_Lb0ELb0EPlS7_ZN2at6native12_GLOBAL__N_124unique_dim_cuda_templateIaEESt5tupleIJNS8_6TensorESD_SD_EERKSD_lbbbEUlllE1_EE10hipError_tPvRmT2_T3_mT4_P12ihipStream_tbEUlT_E_NS1_11comp_targetILNS1_3genE3ELNS1_11target_archE908ELNS1_3gpuE7ELNS1_3repE0EEENS1_30default_config_static_selectorELNS0_4arch9wavefront6targetE1EEEvT1_ ; -- Begin function _ZN7rocprim17ROCPRIM_400000_NS6detail17trampoline_kernelINS0_14default_configENS1_35adjacent_difference_config_selectorILb0ElEEZNS1_24adjacent_difference_implIS3_Lb0ELb0EPlS7_ZN2at6native12_GLOBAL__N_124unique_dim_cuda_templateIaEESt5tupleIJNS8_6TensorESD_SD_EERKSD_lbbbEUlllE1_EE10hipError_tPvRmT2_T3_mT4_P12ihipStream_tbEUlT_E_NS1_11comp_targetILNS1_3genE3ELNS1_11target_archE908ELNS1_3gpuE7ELNS1_3repE0EEENS1_30default_config_static_selectorELNS0_4arch9wavefront6targetE1EEEvT1_
	.p2align	8
	.type	_ZN7rocprim17ROCPRIM_400000_NS6detail17trampoline_kernelINS0_14default_configENS1_35adjacent_difference_config_selectorILb0ElEEZNS1_24adjacent_difference_implIS3_Lb0ELb0EPlS7_ZN2at6native12_GLOBAL__N_124unique_dim_cuda_templateIaEESt5tupleIJNS8_6TensorESD_SD_EERKSD_lbbbEUlllE1_EE10hipError_tPvRmT2_T3_mT4_P12ihipStream_tbEUlT_E_NS1_11comp_targetILNS1_3genE3ELNS1_11target_archE908ELNS1_3gpuE7ELNS1_3repE0EEENS1_30default_config_static_selectorELNS0_4arch9wavefront6targetE1EEEvT1_,@function
_ZN7rocprim17ROCPRIM_400000_NS6detail17trampoline_kernelINS0_14default_configENS1_35adjacent_difference_config_selectorILb0ElEEZNS1_24adjacent_difference_implIS3_Lb0ELb0EPlS7_ZN2at6native12_GLOBAL__N_124unique_dim_cuda_templateIaEESt5tupleIJNS8_6TensorESD_SD_EERKSD_lbbbEUlllE1_EE10hipError_tPvRmT2_T3_mT4_P12ihipStream_tbEUlT_E_NS1_11comp_targetILNS1_3genE3ELNS1_11target_archE908ELNS1_3gpuE7ELNS1_3repE0EEENS1_30default_config_static_selectorELNS0_4arch9wavefront6targetE1EEEvT1_: ; @_ZN7rocprim17ROCPRIM_400000_NS6detail17trampoline_kernelINS0_14default_configENS1_35adjacent_difference_config_selectorILb0ElEEZNS1_24adjacent_difference_implIS3_Lb0ELb0EPlS7_ZN2at6native12_GLOBAL__N_124unique_dim_cuda_templateIaEESt5tupleIJNS8_6TensorESD_SD_EERKSD_lbbbEUlllE1_EE10hipError_tPvRmT2_T3_mT4_P12ihipStream_tbEUlT_E_NS1_11comp_targetILNS1_3genE3ELNS1_11target_archE908ELNS1_3gpuE7ELNS1_3repE0EEENS1_30default_config_static_selectorELNS0_4arch9wavefront6targetE1EEEvT1_
; %bb.0:
	.section	.rodata,"a",@progbits
	.p2align	6, 0x0
	.amdhsa_kernel _ZN7rocprim17ROCPRIM_400000_NS6detail17trampoline_kernelINS0_14default_configENS1_35adjacent_difference_config_selectorILb0ElEEZNS1_24adjacent_difference_implIS3_Lb0ELb0EPlS7_ZN2at6native12_GLOBAL__N_124unique_dim_cuda_templateIaEESt5tupleIJNS8_6TensorESD_SD_EERKSD_lbbbEUlllE1_EE10hipError_tPvRmT2_T3_mT4_P12ihipStream_tbEUlT_E_NS1_11comp_targetILNS1_3genE3ELNS1_11target_archE908ELNS1_3gpuE7ELNS1_3repE0EEENS1_30default_config_static_selectorELNS0_4arch9wavefront6targetE1EEEvT1_
		.amdhsa_group_segment_fixed_size 0
		.amdhsa_private_segment_fixed_size 0
		.amdhsa_kernarg_size 64
		.amdhsa_user_sgpr_count 2
		.amdhsa_user_sgpr_dispatch_ptr 0
		.amdhsa_user_sgpr_queue_ptr 0
		.amdhsa_user_sgpr_kernarg_segment_ptr 1
		.amdhsa_user_sgpr_dispatch_id 0
		.amdhsa_user_sgpr_kernarg_preload_length 0
		.amdhsa_user_sgpr_kernarg_preload_offset 0
		.amdhsa_user_sgpr_private_segment_size 0
		.amdhsa_uses_dynamic_stack 0
		.amdhsa_enable_private_segment 0
		.amdhsa_system_sgpr_workgroup_id_x 1
		.amdhsa_system_sgpr_workgroup_id_y 0
		.amdhsa_system_sgpr_workgroup_id_z 0
		.amdhsa_system_sgpr_workgroup_info 0
		.amdhsa_system_vgpr_workitem_id 0
		.amdhsa_next_free_vgpr 1
		.amdhsa_next_free_sgpr 0
		.amdhsa_accum_offset 4
		.amdhsa_reserve_vcc 0
		.amdhsa_float_round_mode_32 0
		.amdhsa_float_round_mode_16_64 0
		.amdhsa_float_denorm_mode_32 3
		.amdhsa_float_denorm_mode_16_64 3
		.amdhsa_dx10_clamp 1
		.amdhsa_ieee_mode 1
		.amdhsa_fp16_overflow 0
		.amdhsa_tg_split 0
		.amdhsa_exception_fp_ieee_invalid_op 0
		.amdhsa_exception_fp_denorm_src 0
		.amdhsa_exception_fp_ieee_div_zero 0
		.amdhsa_exception_fp_ieee_overflow 0
		.amdhsa_exception_fp_ieee_underflow 0
		.amdhsa_exception_fp_ieee_inexact 0
		.amdhsa_exception_int_div_zero 0
	.end_amdhsa_kernel
	.section	.text._ZN7rocprim17ROCPRIM_400000_NS6detail17trampoline_kernelINS0_14default_configENS1_35adjacent_difference_config_selectorILb0ElEEZNS1_24adjacent_difference_implIS3_Lb0ELb0EPlS7_ZN2at6native12_GLOBAL__N_124unique_dim_cuda_templateIaEESt5tupleIJNS8_6TensorESD_SD_EERKSD_lbbbEUlllE1_EE10hipError_tPvRmT2_T3_mT4_P12ihipStream_tbEUlT_E_NS1_11comp_targetILNS1_3genE3ELNS1_11target_archE908ELNS1_3gpuE7ELNS1_3repE0EEENS1_30default_config_static_selectorELNS0_4arch9wavefront6targetE1EEEvT1_,"axG",@progbits,_ZN7rocprim17ROCPRIM_400000_NS6detail17trampoline_kernelINS0_14default_configENS1_35adjacent_difference_config_selectorILb0ElEEZNS1_24adjacent_difference_implIS3_Lb0ELb0EPlS7_ZN2at6native12_GLOBAL__N_124unique_dim_cuda_templateIaEESt5tupleIJNS8_6TensorESD_SD_EERKSD_lbbbEUlllE1_EE10hipError_tPvRmT2_T3_mT4_P12ihipStream_tbEUlT_E_NS1_11comp_targetILNS1_3genE3ELNS1_11target_archE908ELNS1_3gpuE7ELNS1_3repE0EEENS1_30default_config_static_selectorELNS0_4arch9wavefront6targetE1EEEvT1_,comdat
.Lfunc_end300:
	.size	_ZN7rocprim17ROCPRIM_400000_NS6detail17trampoline_kernelINS0_14default_configENS1_35adjacent_difference_config_selectorILb0ElEEZNS1_24adjacent_difference_implIS3_Lb0ELb0EPlS7_ZN2at6native12_GLOBAL__N_124unique_dim_cuda_templateIaEESt5tupleIJNS8_6TensorESD_SD_EERKSD_lbbbEUlllE1_EE10hipError_tPvRmT2_T3_mT4_P12ihipStream_tbEUlT_E_NS1_11comp_targetILNS1_3genE3ELNS1_11target_archE908ELNS1_3gpuE7ELNS1_3repE0EEENS1_30default_config_static_selectorELNS0_4arch9wavefront6targetE1EEEvT1_, .Lfunc_end300-_ZN7rocprim17ROCPRIM_400000_NS6detail17trampoline_kernelINS0_14default_configENS1_35adjacent_difference_config_selectorILb0ElEEZNS1_24adjacent_difference_implIS3_Lb0ELb0EPlS7_ZN2at6native12_GLOBAL__N_124unique_dim_cuda_templateIaEESt5tupleIJNS8_6TensorESD_SD_EERKSD_lbbbEUlllE1_EE10hipError_tPvRmT2_T3_mT4_P12ihipStream_tbEUlT_E_NS1_11comp_targetILNS1_3genE3ELNS1_11target_archE908ELNS1_3gpuE7ELNS1_3repE0EEENS1_30default_config_static_selectorELNS0_4arch9wavefront6targetE1EEEvT1_
                                        ; -- End function
	.section	.AMDGPU.csdata,"",@progbits
; Kernel info:
; codeLenInByte = 0
; NumSgprs: 6
; NumVgprs: 0
; NumAgprs: 0
; TotalNumVgprs: 0
; ScratchSize: 0
; MemoryBound: 0
; FloatMode: 240
; IeeeMode: 1
; LDSByteSize: 0 bytes/workgroup (compile time only)
; SGPRBlocks: 0
; VGPRBlocks: 0
; NumSGPRsForWavesPerEU: 6
; NumVGPRsForWavesPerEU: 1
; AccumOffset: 4
; Occupancy: 8
; WaveLimiterHint : 0
; COMPUTE_PGM_RSRC2:SCRATCH_EN: 0
; COMPUTE_PGM_RSRC2:USER_SGPR: 2
; COMPUTE_PGM_RSRC2:TRAP_HANDLER: 0
; COMPUTE_PGM_RSRC2:TGID_X_EN: 1
; COMPUTE_PGM_RSRC2:TGID_Y_EN: 0
; COMPUTE_PGM_RSRC2:TGID_Z_EN: 0
; COMPUTE_PGM_RSRC2:TIDIG_COMP_CNT: 0
; COMPUTE_PGM_RSRC3_GFX90A:ACCUM_OFFSET: 0
; COMPUTE_PGM_RSRC3_GFX90A:TG_SPLIT: 0
	.section	.text._ZN7rocprim17ROCPRIM_400000_NS6detail17trampoline_kernelINS0_14default_configENS1_35adjacent_difference_config_selectorILb0ElEEZNS1_24adjacent_difference_implIS3_Lb0ELb0EPlS7_ZN2at6native12_GLOBAL__N_124unique_dim_cuda_templateIaEESt5tupleIJNS8_6TensorESD_SD_EERKSD_lbbbEUlllE1_EE10hipError_tPvRmT2_T3_mT4_P12ihipStream_tbEUlT_E_NS1_11comp_targetILNS1_3genE2ELNS1_11target_archE906ELNS1_3gpuE6ELNS1_3repE0EEENS1_30default_config_static_selectorELNS0_4arch9wavefront6targetE1EEEvT1_,"axG",@progbits,_ZN7rocprim17ROCPRIM_400000_NS6detail17trampoline_kernelINS0_14default_configENS1_35adjacent_difference_config_selectorILb0ElEEZNS1_24adjacent_difference_implIS3_Lb0ELb0EPlS7_ZN2at6native12_GLOBAL__N_124unique_dim_cuda_templateIaEESt5tupleIJNS8_6TensorESD_SD_EERKSD_lbbbEUlllE1_EE10hipError_tPvRmT2_T3_mT4_P12ihipStream_tbEUlT_E_NS1_11comp_targetILNS1_3genE2ELNS1_11target_archE906ELNS1_3gpuE6ELNS1_3repE0EEENS1_30default_config_static_selectorELNS0_4arch9wavefront6targetE1EEEvT1_,comdat
	.globl	_ZN7rocprim17ROCPRIM_400000_NS6detail17trampoline_kernelINS0_14default_configENS1_35adjacent_difference_config_selectorILb0ElEEZNS1_24adjacent_difference_implIS3_Lb0ELb0EPlS7_ZN2at6native12_GLOBAL__N_124unique_dim_cuda_templateIaEESt5tupleIJNS8_6TensorESD_SD_EERKSD_lbbbEUlllE1_EE10hipError_tPvRmT2_T3_mT4_P12ihipStream_tbEUlT_E_NS1_11comp_targetILNS1_3genE2ELNS1_11target_archE906ELNS1_3gpuE6ELNS1_3repE0EEENS1_30default_config_static_selectorELNS0_4arch9wavefront6targetE1EEEvT1_ ; -- Begin function _ZN7rocprim17ROCPRIM_400000_NS6detail17trampoline_kernelINS0_14default_configENS1_35adjacent_difference_config_selectorILb0ElEEZNS1_24adjacent_difference_implIS3_Lb0ELb0EPlS7_ZN2at6native12_GLOBAL__N_124unique_dim_cuda_templateIaEESt5tupleIJNS8_6TensorESD_SD_EERKSD_lbbbEUlllE1_EE10hipError_tPvRmT2_T3_mT4_P12ihipStream_tbEUlT_E_NS1_11comp_targetILNS1_3genE2ELNS1_11target_archE906ELNS1_3gpuE6ELNS1_3repE0EEENS1_30default_config_static_selectorELNS0_4arch9wavefront6targetE1EEEvT1_
	.p2align	8
	.type	_ZN7rocprim17ROCPRIM_400000_NS6detail17trampoline_kernelINS0_14default_configENS1_35adjacent_difference_config_selectorILb0ElEEZNS1_24adjacent_difference_implIS3_Lb0ELb0EPlS7_ZN2at6native12_GLOBAL__N_124unique_dim_cuda_templateIaEESt5tupleIJNS8_6TensorESD_SD_EERKSD_lbbbEUlllE1_EE10hipError_tPvRmT2_T3_mT4_P12ihipStream_tbEUlT_E_NS1_11comp_targetILNS1_3genE2ELNS1_11target_archE906ELNS1_3gpuE6ELNS1_3repE0EEENS1_30default_config_static_selectorELNS0_4arch9wavefront6targetE1EEEvT1_,@function
_ZN7rocprim17ROCPRIM_400000_NS6detail17trampoline_kernelINS0_14default_configENS1_35adjacent_difference_config_selectorILb0ElEEZNS1_24adjacent_difference_implIS3_Lb0ELb0EPlS7_ZN2at6native12_GLOBAL__N_124unique_dim_cuda_templateIaEESt5tupleIJNS8_6TensorESD_SD_EERKSD_lbbbEUlllE1_EE10hipError_tPvRmT2_T3_mT4_P12ihipStream_tbEUlT_E_NS1_11comp_targetILNS1_3genE2ELNS1_11target_archE906ELNS1_3gpuE6ELNS1_3repE0EEENS1_30default_config_static_selectorELNS0_4arch9wavefront6targetE1EEEvT1_: ; @_ZN7rocprim17ROCPRIM_400000_NS6detail17trampoline_kernelINS0_14default_configENS1_35adjacent_difference_config_selectorILb0ElEEZNS1_24adjacent_difference_implIS3_Lb0ELb0EPlS7_ZN2at6native12_GLOBAL__N_124unique_dim_cuda_templateIaEESt5tupleIJNS8_6TensorESD_SD_EERKSD_lbbbEUlllE1_EE10hipError_tPvRmT2_T3_mT4_P12ihipStream_tbEUlT_E_NS1_11comp_targetILNS1_3genE2ELNS1_11target_archE906ELNS1_3gpuE6ELNS1_3repE0EEENS1_30default_config_static_selectorELNS0_4arch9wavefront6targetE1EEEvT1_
; %bb.0:
	.section	.rodata,"a",@progbits
	.p2align	6, 0x0
	.amdhsa_kernel _ZN7rocprim17ROCPRIM_400000_NS6detail17trampoline_kernelINS0_14default_configENS1_35adjacent_difference_config_selectorILb0ElEEZNS1_24adjacent_difference_implIS3_Lb0ELb0EPlS7_ZN2at6native12_GLOBAL__N_124unique_dim_cuda_templateIaEESt5tupleIJNS8_6TensorESD_SD_EERKSD_lbbbEUlllE1_EE10hipError_tPvRmT2_T3_mT4_P12ihipStream_tbEUlT_E_NS1_11comp_targetILNS1_3genE2ELNS1_11target_archE906ELNS1_3gpuE6ELNS1_3repE0EEENS1_30default_config_static_selectorELNS0_4arch9wavefront6targetE1EEEvT1_
		.amdhsa_group_segment_fixed_size 0
		.amdhsa_private_segment_fixed_size 0
		.amdhsa_kernarg_size 64
		.amdhsa_user_sgpr_count 2
		.amdhsa_user_sgpr_dispatch_ptr 0
		.amdhsa_user_sgpr_queue_ptr 0
		.amdhsa_user_sgpr_kernarg_segment_ptr 1
		.amdhsa_user_sgpr_dispatch_id 0
		.amdhsa_user_sgpr_kernarg_preload_length 0
		.amdhsa_user_sgpr_kernarg_preload_offset 0
		.amdhsa_user_sgpr_private_segment_size 0
		.amdhsa_uses_dynamic_stack 0
		.amdhsa_enable_private_segment 0
		.amdhsa_system_sgpr_workgroup_id_x 1
		.amdhsa_system_sgpr_workgroup_id_y 0
		.amdhsa_system_sgpr_workgroup_id_z 0
		.amdhsa_system_sgpr_workgroup_info 0
		.amdhsa_system_vgpr_workitem_id 0
		.amdhsa_next_free_vgpr 1
		.amdhsa_next_free_sgpr 0
		.amdhsa_accum_offset 4
		.amdhsa_reserve_vcc 0
		.amdhsa_float_round_mode_32 0
		.amdhsa_float_round_mode_16_64 0
		.amdhsa_float_denorm_mode_32 3
		.amdhsa_float_denorm_mode_16_64 3
		.amdhsa_dx10_clamp 1
		.amdhsa_ieee_mode 1
		.amdhsa_fp16_overflow 0
		.amdhsa_tg_split 0
		.amdhsa_exception_fp_ieee_invalid_op 0
		.amdhsa_exception_fp_denorm_src 0
		.amdhsa_exception_fp_ieee_div_zero 0
		.amdhsa_exception_fp_ieee_overflow 0
		.amdhsa_exception_fp_ieee_underflow 0
		.amdhsa_exception_fp_ieee_inexact 0
		.amdhsa_exception_int_div_zero 0
	.end_amdhsa_kernel
	.section	.text._ZN7rocprim17ROCPRIM_400000_NS6detail17trampoline_kernelINS0_14default_configENS1_35adjacent_difference_config_selectorILb0ElEEZNS1_24adjacent_difference_implIS3_Lb0ELb0EPlS7_ZN2at6native12_GLOBAL__N_124unique_dim_cuda_templateIaEESt5tupleIJNS8_6TensorESD_SD_EERKSD_lbbbEUlllE1_EE10hipError_tPvRmT2_T3_mT4_P12ihipStream_tbEUlT_E_NS1_11comp_targetILNS1_3genE2ELNS1_11target_archE906ELNS1_3gpuE6ELNS1_3repE0EEENS1_30default_config_static_selectorELNS0_4arch9wavefront6targetE1EEEvT1_,"axG",@progbits,_ZN7rocprim17ROCPRIM_400000_NS6detail17trampoline_kernelINS0_14default_configENS1_35adjacent_difference_config_selectorILb0ElEEZNS1_24adjacent_difference_implIS3_Lb0ELb0EPlS7_ZN2at6native12_GLOBAL__N_124unique_dim_cuda_templateIaEESt5tupleIJNS8_6TensorESD_SD_EERKSD_lbbbEUlllE1_EE10hipError_tPvRmT2_T3_mT4_P12ihipStream_tbEUlT_E_NS1_11comp_targetILNS1_3genE2ELNS1_11target_archE906ELNS1_3gpuE6ELNS1_3repE0EEENS1_30default_config_static_selectorELNS0_4arch9wavefront6targetE1EEEvT1_,comdat
.Lfunc_end301:
	.size	_ZN7rocprim17ROCPRIM_400000_NS6detail17trampoline_kernelINS0_14default_configENS1_35adjacent_difference_config_selectorILb0ElEEZNS1_24adjacent_difference_implIS3_Lb0ELb0EPlS7_ZN2at6native12_GLOBAL__N_124unique_dim_cuda_templateIaEESt5tupleIJNS8_6TensorESD_SD_EERKSD_lbbbEUlllE1_EE10hipError_tPvRmT2_T3_mT4_P12ihipStream_tbEUlT_E_NS1_11comp_targetILNS1_3genE2ELNS1_11target_archE906ELNS1_3gpuE6ELNS1_3repE0EEENS1_30default_config_static_selectorELNS0_4arch9wavefront6targetE1EEEvT1_, .Lfunc_end301-_ZN7rocprim17ROCPRIM_400000_NS6detail17trampoline_kernelINS0_14default_configENS1_35adjacent_difference_config_selectorILb0ElEEZNS1_24adjacent_difference_implIS3_Lb0ELb0EPlS7_ZN2at6native12_GLOBAL__N_124unique_dim_cuda_templateIaEESt5tupleIJNS8_6TensorESD_SD_EERKSD_lbbbEUlllE1_EE10hipError_tPvRmT2_T3_mT4_P12ihipStream_tbEUlT_E_NS1_11comp_targetILNS1_3genE2ELNS1_11target_archE906ELNS1_3gpuE6ELNS1_3repE0EEENS1_30default_config_static_selectorELNS0_4arch9wavefront6targetE1EEEvT1_
                                        ; -- End function
	.section	.AMDGPU.csdata,"",@progbits
; Kernel info:
; codeLenInByte = 0
; NumSgprs: 6
; NumVgprs: 0
; NumAgprs: 0
; TotalNumVgprs: 0
; ScratchSize: 0
; MemoryBound: 0
; FloatMode: 240
; IeeeMode: 1
; LDSByteSize: 0 bytes/workgroup (compile time only)
; SGPRBlocks: 0
; VGPRBlocks: 0
; NumSGPRsForWavesPerEU: 6
; NumVGPRsForWavesPerEU: 1
; AccumOffset: 4
; Occupancy: 8
; WaveLimiterHint : 0
; COMPUTE_PGM_RSRC2:SCRATCH_EN: 0
; COMPUTE_PGM_RSRC2:USER_SGPR: 2
; COMPUTE_PGM_RSRC2:TRAP_HANDLER: 0
; COMPUTE_PGM_RSRC2:TGID_X_EN: 1
; COMPUTE_PGM_RSRC2:TGID_Y_EN: 0
; COMPUTE_PGM_RSRC2:TGID_Z_EN: 0
; COMPUTE_PGM_RSRC2:TIDIG_COMP_CNT: 0
; COMPUTE_PGM_RSRC3_GFX90A:ACCUM_OFFSET: 0
; COMPUTE_PGM_RSRC3_GFX90A:TG_SPLIT: 0
	.section	.text._ZN7rocprim17ROCPRIM_400000_NS6detail17trampoline_kernelINS0_14default_configENS1_35adjacent_difference_config_selectorILb0ElEEZNS1_24adjacent_difference_implIS3_Lb0ELb0EPlS7_ZN2at6native12_GLOBAL__N_124unique_dim_cuda_templateIaEESt5tupleIJNS8_6TensorESD_SD_EERKSD_lbbbEUlllE1_EE10hipError_tPvRmT2_T3_mT4_P12ihipStream_tbEUlT_E_NS1_11comp_targetILNS1_3genE9ELNS1_11target_archE1100ELNS1_3gpuE3ELNS1_3repE0EEENS1_30default_config_static_selectorELNS0_4arch9wavefront6targetE1EEEvT1_,"axG",@progbits,_ZN7rocprim17ROCPRIM_400000_NS6detail17trampoline_kernelINS0_14default_configENS1_35adjacent_difference_config_selectorILb0ElEEZNS1_24adjacent_difference_implIS3_Lb0ELb0EPlS7_ZN2at6native12_GLOBAL__N_124unique_dim_cuda_templateIaEESt5tupleIJNS8_6TensorESD_SD_EERKSD_lbbbEUlllE1_EE10hipError_tPvRmT2_T3_mT4_P12ihipStream_tbEUlT_E_NS1_11comp_targetILNS1_3genE9ELNS1_11target_archE1100ELNS1_3gpuE3ELNS1_3repE0EEENS1_30default_config_static_selectorELNS0_4arch9wavefront6targetE1EEEvT1_,comdat
	.globl	_ZN7rocprim17ROCPRIM_400000_NS6detail17trampoline_kernelINS0_14default_configENS1_35adjacent_difference_config_selectorILb0ElEEZNS1_24adjacent_difference_implIS3_Lb0ELb0EPlS7_ZN2at6native12_GLOBAL__N_124unique_dim_cuda_templateIaEESt5tupleIJNS8_6TensorESD_SD_EERKSD_lbbbEUlllE1_EE10hipError_tPvRmT2_T3_mT4_P12ihipStream_tbEUlT_E_NS1_11comp_targetILNS1_3genE9ELNS1_11target_archE1100ELNS1_3gpuE3ELNS1_3repE0EEENS1_30default_config_static_selectorELNS0_4arch9wavefront6targetE1EEEvT1_ ; -- Begin function _ZN7rocprim17ROCPRIM_400000_NS6detail17trampoline_kernelINS0_14default_configENS1_35adjacent_difference_config_selectorILb0ElEEZNS1_24adjacent_difference_implIS3_Lb0ELb0EPlS7_ZN2at6native12_GLOBAL__N_124unique_dim_cuda_templateIaEESt5tupleIJNS8_6TensorESD_SD_EERKSD_lbbbEUlllE1_EE10hipError_tPvRmT2_T3_mT4_P12ihipStream_tbEUlT_E_NS1_11comp_targetILNS1_3genE9ELNS1_11target_archE1100ELNS1_3gpuE3ELNS1_3repE0EEENS1_30default_config_static_selectorELNS0_4arch9wavefront6targetE1EEEvT1_
	.p2align	8
	.type	_ZN7rocprim17ROCPRIM_400000_NS6detail17trampoline_kernelINS0_14default_configENS1_35adjacent_difference_config_selectorILb0ElEEZNS1_24adjacent_difference_implIS3_Lb0ELb0EPlS7_ZN2at6native12_GLOBAL__N_124unique_dim_cuda_templateIaEESt5tupleIJNS8_6TensorESD_SD_EERKSD_lbbbEUlllE1_EE10hipError_tPvRmT2_T3_mT4_P12ihipStream_tbEUlT_E_NS1_11comp_targetILNS1_3genE9ELNS1_11target_archE1100ELNS1_3gpuE3ELNS1_3repE0EEENS1_30default_config_static_selectorELNS0_4arch9wavefront6targetE1EEEvT1_,@function
_ZN7rocprim17ROCPRIM_400000_NS6detail17trampoline_kernelINS0_14default_configENS1_35adjacent_difference_config_selectorILb0ElEEZNS1_24adjacent_difference_implIS3_Lb0ELb0EPlS7_ZN2at6native12_GLOBAL__N_124unique_dim_cuda_templateIaEESt5tupleIJNS8_6TensorESD_SD_EERKSD_lbbbEUlllE1_EE10hipError_tPvRmT2_T3_mT4_P12ihipStream_tbEUlT_E_NS1_11comp_targetILNS1_3genE9ELNS1_11target_archE1100ELNS1_3gpuE3ELNS1_3repE0EEENS1_30default_config_static_selectorELNS0_4arch9wavefront6targetE1EEEvT1_: ; @_ZN7rocprim17ROCPRIM_400000_NS6detail17trampoline_kernelINS0_14default_configENS1_35adjacent_difference_config_selectorILb0ElEEZNS1_24adjacent_difference_implIS3_Lb0ELb0EPlS7_ZN2at6native12_GLOBAL__N_124unique_dim_cuda_templateIaEESt5tupleIJNS8_6TensorESD_SD_EERKSD_lbbbEUlllE1_EE10hipError_tPvRmT2_T3_mT4_P12ihipStream_tbEUlT_E_NS1_11comp_targetILNS1_3genE9ELNS1_11target_archE1100ELNS1_3gpuE3ELNS1_3repE0EEENS1_30default_config_static_selectorELNS0_4arch9wavefront6targetE1EEEvT1_
; %bb.0:
	.section	.rodata,"a",@progbits
	.p2align	6, 0x0
	.amdhsa_kernel _ZN7rocprim17ROCPRIM_400000_NS6detail17trampoline_kernelINS0_14default_configENS1_35adjacent_difference_config_selectorILb0ElEEZNS1_24adjacent_difference_implIS3_Lb0ELb0EPlS7_ZN2at6native12_GLOBAL__N_124unique_dim_cuda_templateIaEESt5tupleIJNS8_6TensorESD_SD_EERKSD_lbbbEUlllE1_EE10hipError_tPvRmT2_T3_mT4_P12ihipStream_tbEUlT_E_NS1_11comp_targetILNS1_3genE9ELNS1_11target_archE1100ELNS1_3gpuE3ELNS1_3repE0EEENS1_30default_config_static_selectorELNS0_4arch9wavefront6targetE1EEEvT1_
		.amdhsa_group_segment_fixed_size 0
		.amdhsa_private_segment_fixed_size 0
		.amdhsa_kernarg_size 64
		.amdhsa_user_sgpr_count 2
		.amdhsa_user_sgpr_dispatch_ptr 0
		.amdhsa_user_sgpr_queue_ptr 0
		.amdhsa_user_sgpr_kernarg_segment_ptr 1
		.amdhsa_user_sgpr_dispatch_id 0
		.amdhsa_user_sgpr_kernarg_preload_length 0
		.amdhsa_user_sgpr_kernarg_preload_offset 0
		.amdhsa_user_sgpr_private_segment_size 0
		.amdhsa_uses_dynamic_stack 0
		.amdhsa_enable_private_segment 0
		.amdhsa_system_sgpr_workgroup_id_x 1
		.amdhsa_system_sgpr_workgroup_id_y 0
		.amdhsa_system_sgpr_workgroup_id_z 0
		.amdhsa_system_sgpr_workgroup_info 0
		.amdhsa_system_vgpr_workitem_id 0
		.amdhsa_next_free_vgpr 1
		.amdhsa_next_free_sgpr 0
		.amdhsa_accum_offset 4
		.amdhsa_reserve_vcc 0
		.amdhsa_float_round_mode_32 0
		.amdhsa_float_round_mode_16_64 0
		.amdhsa_float_denorm_mode_32 3
		.amdhsa_float_denorm_mode_16_64 3
		.amdhsa_dx10_clamp 1
		.amdhsa_ieee_mode 1
		.amdhsa_fp16_overflow 0
		.amdhsa_tg_split 0
		.amdhsa_exception_fp_ieee_invalid_op 0
		.amdhsa_exception_fp_denorm_src 0
		.amdhsa_exception_fp_ieee_div_zero 0
		.amdhsa_exception_fp_ieee_overflow 0
		.amdhsa_exception_fp_ieee_underflow 0
		.amdhsa_exception_fp_ieee_inexact 0
		.amdhsa_exception_int_div_zero 0
	.end_amdhsa_kernel
	.section	.text._ZN7rocprim17ROCPRIM_400000_NS6detail17trampoline_kernelINS0_14default_configENS1_35adjacent_difference_config_selectorILb0ElEEZNS1_24adjacent_difference_implIS3_Lb0ELb0EPlS7_ZN2at6native12_GLOBAL__N_124unique_dim_cuda_templateIaEESt5tupleIJNS8_6TensorESD_SD_EERKSD_lbbbEUlllE1_EE10hipError_tPvRmT2_T3_mT4_P12ihipStream_tbEUlT_E_NS1_11comp_targetILNS1_3genE9ELNS1_11target_archE1100ELNS1_3gpuE3ELNS1_3repE0EEENS1_30default_config_static_selectorELNS0_4arch9wavefront6targetE1EEEvT1_,"axG",@progbits,_ZN7rocprim17ROCPRIM_400000_NS6detail17trampoline_kernelINS0_14default_configENS1_35adjacent_difference_config_selectorILb0ElEEZNS1_24adjacent_difference_implIS3_Lb0ELb0EPlS7_ZN2at6native12_GLOBAL__N_124unique_dim_cuda_templateIaEESt5tupleIJNS8_6TensorESD_SD_EERKSD_lbbbEUlllE1_EE10hipError_tPvRmT2_T3_mT4_P12ihipStream_tbEUlT_E_NS1_11comp_targetILNS1_3genE9ELNS1_11target_archE1100ELNS1_3gpuE3ELNS1_3repE0EEENS1_30default_config_static_selectorELNS0_4arch9wavefront6targetE1EEEvT1_,comdat
.Lfunc_end302:
	.size	_ZN7rocprim17ROCPRIM_400000_NS6detail17trampoline_kernelINS0_14default_configENS1_35adjacent_difference_config_selectorILb0ElEEZNS1_24adjacent_difference_implIS3_Lb0ELb0EPlS7_ZN2at6native12_GLOBAL__N_124unique_dim_cuda_templateIaEESt5tupleIJNS8_6TensorESD_SD_EERKSD_lbbbEUlllE1_EE10hipError_tPvRmT2_T3_mT4_P12ihipStream_tbEUlT_E_NS1_11comp_targetILNS1_3genE9ELNS1_11target_archE1100ELNS1_3gpuE3ELNS1_3repE0EEENS1_30default_config_static_selectorELNS0_4arch9wavefront6targetE1EEEvT1_, .Lfunc_end302-_ZN7rocprim17ROCPRIM_400000_NS6detail17trampoline_kernelINS0_14default_configENS1_35adjacent_difference_config_selectorILb0ElEEZNS1_24adjacent_difference_implIS3_Lb0ELb0EPlS7_ZN2at6native12_GLOBAL__N_124unique_dim_cuda_templateIaEESt5tupleIJNS8_6TensorESD_SD_EERKSD_lbbbEUlllE1_EE10hipError_tPvRmT2_T3_mT4_P12ihipStream_tbEUlT_E_NS1_11comp_targetILNS1_3genE9ELNS1_11target_archE1100ELNS1_3gpuE3ELNS1_3repE0EEENS1_30default_config_static_selectorELNS0_4arch9wavefront6targetE1EEEvT1_
                                        ; -- End function
	.section	.AMDGPU.csdata,"",@progbits
; Kernel info:
; codeLenInByte = 0
; NumSgprs: 6
; NumVgprs: 0
; NumAgprs: 0
; TotalNumVgprs: 0
; ScratchSize: 0
; MemoryBound: 0
; FloatMode: 240
; IeeeMode: 1
; LDSByteSize: 0 bytes/workgroup (compile time only)
; SGPRBlocks: 0
; VGPRBlocks: 0
; NumSGPRsForWavesPerEU: 6
; NumVGPRsForWavesPerEU: 1
; AccumOffset: 4
; Occupancy: 8
; WaveLimiterHint : 0
; COMPUTE_PGM_RSRC2:SCRATCH_EN: 0
; COMPUTE_PGM_RSRC2:USER_SGPR: 2
; COMPUTE_PGM_RSRC2:TRAP_HANDLER: 0
; COMPUTE_PGM_RSRC2:TGID_X_EN: 1
; COMPUTE_PGM_RSRC2:TGID_Y_EN: 0
; COMPUTE_PGM_RSRC2:TGID_Z_EN: 0
; COMPUTE_PGM_RSRC2:TIDIG_COMP_CNT: 0
; COMPUTE_PGM_RSRC3_GFX90A:ACCUM_OFFSET: 0
; COMPUTE_PGM_RSRC3_GFX90A:TG_SPLIT: 0
	.section	.text._ZN7rocprim17ROCPRIM_400000_NS6detail17trampoline_kernelINS0_14default_configENS1_35adjacent_difference_config_selectorILb0ElEEZNS1_24adjacent_difference_implIS3_Lb0ELb0EPlS7_ZN2at6native12_GLOBAL__N_124unique_dim_cuda_templateIaEESt5tupleIJNS8_6TensorESD_SD_EERKSD_lbbbEUlllE1_EE10hipError_tPvRmT2_T3_mT4_P12ihipStream_tbEUlT_E_NS1_11comp_targetILNS1_3genE8ELNS1_11target_archE1030ELNS1_3gpuE2ELNS1_3repE0EEENS1_30default_config_static_selectorELNS0_4arch9wavefront6targetE1EEEvT1_,"axG",@progbits,_ZN7rocprim17ROCPRIM_400000_NS6detail17trampoline_kernelINS0_14default_configENS1_35adjacent_difference_config_selectorILb0ElEEZNS1_24adjacent_difference_implIS3_Lb0ELb0EPlS7_ZN2at6native12_GLOBAL__N_124unique_dim_cuda_templateIaEESt5tupleIJNS8_6TensorESD_SD_EERKSD_lbbbEUlllE1_EE10hipError_tPvRmT2_T3_mT4_P12ihipStream_tbEUlT_E_NS1_11comp_targetILNS1_3genE8ELNS1_11target_archE1030ELNS1_3gpuE2ELNS1_3repE0EEENS1_30default_config_static_selectorELNS0_4arch9wavefront6targetE1EEEvT1_,comdat
	.globl	_ZN7rocprim17ROCPRIM_400000_NS6detail17trampoline_kernelINS0_14default_configENS1_35adjacent_difference_config_selectorILb0ElEEZNS1_24adjacent_difference_implIS3_Lb0ELb0EPlS7_ZN2at6native12_GLOBAL__N_124unique_dim_cuda_templateIaEESt5tupleIJNS8_6TensorESD_SD_EERKSD_lbbbEUlllE1_EE10hipError_tPvRmT2_T3_mT4_P12ihipStream_tbEUlT_E_NS1_11comp_targetILNS1_3genE8ELNS1_11target_archE1030ELNS1_3gpuE2ELNS1_3repE0EEENS1_30default_config_static_selectorELNS0_4arch9wavefront6targetE1EEEvT1_ ; -- Begin function _ZN7rocprim17ROCPRIM_400000_NS6detail17trampoline_kernelINS0_14default_configENS1_35adjacent_difference_config_selectorILb0ElEEZNS1_24adjacent_difference_implIS3_Lb0ELb0EPlS7_ZN2at6native12_GLOBAL__N_124unique_dim_cuda_templateIaEESt5tupleIJNS8_6TensorESD_SD_EERKSD_lbbbEUlllE1_EE10hipError_tPvRmT2_T3_mT4_P12ihipStream_tbEUlT_E_NS1_11comp_targetILNS1_3genE8ELNS1_11target_archE1030ELNS1_3gpuE2ELNS1_3repE0EEENS1_30default_config_static_selectorELNS0_4arch9wavefront6targetE1EEEvT1_
	.p2align	8
	.type	_ZN7rocprim17ROCPRIM_400000_NS6detail17trampoline_kernelINS0_14default_configENS1_35adjacent_difference_config_selectorILb0ElEEZNS1_24adjacent_difference_implIS3_Lb0ELb0EPlS7_ZN2at6native12_GLOBAL__N_124unique_dim_cuda_templateIaEESt5tupleIJNS8_6TensorESD_SD_EERKSD_lbbbEUlllE1_EE10hipError_tPvRmT2_T3_mT4_P12ihipStream_tbEUlT_E_NS1_11comp_targetILNS1_3genE8ELNS1_11target_archE1030ELNS1_3gpuE2ELNS1_3repE0EEENS1_30default_config_static_selectorELNS0_4arch9wavefront6targetE1EEEvT1_,@function
_ZN7rocprim17ROCPRIM_400000_NS6detail17trampoline_kernelINS0_14default_configENS1_35adjacent_difference_config_selectorILb0ElEEZNS1_24adjacent_difference_implIS3_Lb0ELb0EPlS7_ZN2at6native12_GLOBAL__N_124unique_dim_cuda_templateIaEESt5tupleIJNS8_6TensorESD_SD_EERKSD_lbbbEUlllE1_EE10hipError_tPvRmT2_T3_mT4_P12ihipStream_tbEUlT_E_NS1_11comp_targetILNS1_3genE8ELNS1_11target_archE1030ELNS1_3gpuE2ELNS1_3repE0EEENS1_30default_config_static_selectorELNS0_4arch9wavefront6targetE1EEEvT1_: ; @_ZN7rocprim17ROCPRIM_400000_NS6detail17trampoline_kernelINS0_14default_configENS1_35adjacent_difference_config_selectorILb0ElEEZNS1_24adjacent_difference_implIS3_Lb0ELb0EPlS7_ZN2at6native12_GLOBAL__N_124unique_dim_cuda_templateIaEESt5tupleIJNS8_6TensorESD_SD_EERKSD_lbbbEUlllE1_EE10hipError_tPvRmT2_T3_mT4_P12ihipStream_tbEUlT_E_NS1_11comp_targetILNS1_3genE8ELNS1_11target_archE1030ELNS1_3gpuE2ELNS1_3repE0EEENS1_30default_config_static_selectorELNS0_4arch9wavefront6targetE1EEEvT1_
; %bb.0:
	.section	.rodata,"a",@progbits
	.p2align	6, 0x0
	.amdhsa_kernel _ZN7rocprim17ROCPRIM_400000_NS6detail17trampoline_kernelINS0_14default_configENS1_35adjacent_difference_config_selectorILb0ElEEZNS1_24adjacent_difference_implIS3_Lb0ELb0EPlS7_ZN2at6native12_GLOBAL__N_124unique_dim_cuda_templateIaEESt5tupleIJNS8_6TensorESD_SD_EERKSD_lbbbEUlllE1_EE10hipError_tPvRmT2_T3_mT4_P12ihipStream_tbEUlT_E_NS1_11comp_targetILNS1_3genE8ELNS1_11target_archE1030ELNS1_3gpuE2ELNS1_3repE0EEENS1_30default_config_static_selectorELNS0_4arch9wavefront6targetE1EEEvT1_
		.amdhsa_group_segment_fixed_size 0
		.amdhsa_private_segment_fixed_size 0
		.amdhsa_kernarg_size 64
		.amdhsa_user_sgpr_count 2
		.amdhsa_user_sgpr_dispatch_ptr 0
		.amdhsa_user_sgpr_queue_ptr 0
		.amdhsa_user_sgpr_kernarg_segment_ptr 1
		.amdhsa_user_sgpr_dispatch_id 0
		.amdhsa_user_sgpr_kernarg_preload_length 0
		.amdhsa_user_sgpr_kernarg_preload_offset 0
		.amdhsa_user_sgpr_private_segment_size 0
		.amdhsa_uses_dynamic_stack 0
		.amdhsa_enable_private_segment 0
		.amdhsa_system_sgpr_workgroup_id_x 1
		.amdhsa_system_sgpr_workgroup_id_y 0
		.amdhsa_system_sgpr_workgroup_id_z 0
		.amdhsa_system_sgpr_workgroup_info 0
		.amdhsa_system_vgpr_workitem_id 0
		.amdhsa_next_free_vgpr 1
		.amdhsa_next_free_sgpr 0
		.amdhsa_accum_offset 4
		.amdhsa_reserve_vcc 0
		.amdhsa_float_round_mode_32 0
		.amdhsa_float_round_mode_16_64 0
		.amdhsa_float_denorm_mode_32 3
		.amdhsa_float_denorm_mode_16_64 3
		.amdhsa_dx10_clamp 1
		.amdhsa_ieee_mode 1
		.amdhsa_fp16_overflow 0
		.amdhsa_tg_split 0
		.amdhsa_exception_fp_ieee_invalid_op 0
		.amdhsa_exception_fp_denorm_src 0
		.amdhsa_exception_fp_ieee_div_zero 0
		.amdhsa_exception_fp_ieee_overflow 0
		.amdhsa_exception_fp_ieee_underflow 0
		.amdhsa_exception_fp_ieee_inexact 0
		.amdhsa_exception_int_div_zero 0
	.end_amdhsa_kernel
	.section	.text._ZN7rocprim17ROCPRIM_400000_NS6detail17trampoline_kernelINS0_14default_configENS1_35adjacent_difference_config_selectorILb0ElEEZNS1_24adjacent_difference_implIS3_Lb0ELb0EPlS7_ZN2at6native12_GLOBAL__N_124unique_dim_cuda_templateIaEESt5tupleIJNS8_6TensorESD_SD_EERKSD_lbbbEUlllE1_EE10hipError_tPvRmT2_T3_mT4_P12ihipStream_tbEUlT_E_NS1_11comp_targetILNS1_3genE8ELNS1_11target_archE1030ELNS1_3gpuE2ELNS1_3repE0EEENS1_30default_config_static_selectorELNS0_4arch9wavefront6targetE1EEEvT1_,"axG",@progbits,_ZN7rocprim17ROCPRIM_400000_NS6detail17trampoline_kernelINS0_14default_configENS1_35adjacent_difference_config_selectorILb0ElEEZNS1_24adjacent_difference_implIS3_Lb0ELb0EPlS7_ZN2at6native12_GLOBAL__N_124unique_dim_cuda_templateIaEESt5tupleIJNS8_6TensorESD_SD_EERKSD_lbbbEUlllE1_EE10hipError_tPvRmT2_T3_mT4_P12ihipStream_tbEUlT_E_NS1_11comp_targetILNS1_3genE8ELNS1_11target_archE1030ELNS1_3gpuE2ELNS1_3repE0EEENS1_30default_config_static_selectorELNS0_4arch9wavefront6targetE1EEEvT1_,comdat
.Lfunc_end303:
	.size	_ZN7rocprim17ROCPRIM_400000_NS6detail17trampoline_kernelINS0_14default_configENS1_35adjacent_difference_config_selectorILb0ElEEZNS1_24adjacent_difference_implIS3_Lb0ELb0EPlS7_ZN2at6native12_GLOBAL__N_124unique_dim_cuda_templateIaEESt5tupleIJNS8_6TensorESD_SD_EERKSD_lbbbEUlllE1_EE10hipError_tPvRmT2_T3_mT4_P12ihipStream_tbEUlT_E_NS1_11comp_targetILNS1_3genE8ELNS1_11target_archE1030ELNS1_3gpuE2ELNS1_3repE0EEENS1_30default_config_static_selectorELNS0_4arch9wavefront6targetE1EEEvT1_, .Lfunc_end303-_ZN7rocprim17ROCPRIM_400000_NS6detail17trampoline_kernelINS0_14default_configENS1_35adjacent_difference_config_selectorILb0ElEEZNS1_24adjacent_difference_implIS3_Lb0ELb0EPlS7_ZN2at6native12_GLOBAL__N_124unique_dim_cuda_templateIaEESt5tupleIJNS8_6TensorESD_SD_EERKSD_lbbbEUlllE1_EE10hipError_tPvRmT2_T3_mT4_P12ihipStream_tbEUlT_E_NS1_11comp_targetILNS1_3genE8ELNS1_11target_archE1030ELNS1_3gpuE2ELNS1_3repE0EEENS1_30default_config_static_selectorELNS0_4arch9wavefront6targetE1EEEvT1_
                                        ; -- End function
	.section	.AMDGPU.csdata,"",@progbits
; Kernel info:
; codeLenInByte = 0
; NumSgprs: 6
; NumVgprs: 0
; NumAgprs: 0
; TotalNumVgprs: 0
; ScratchSize: 0
; MemoryBound: 0
; FloatMode: 240
; IeeeMode: 1
; LDSByteSize: 0 bytes/workgroup (compile time only)
; SGPRBlocks: 0
; VGPRBlocks: 0
; NumSGPRsForWavesPerEU: 6
; NumVGPRsForWavesPerEU: 1
; AccumOffset: 4
; Occupancy: 8
; WaveLimiterHint : 0
; COMPUTE_PGM_RSRC2:SCRATCH_EN: 0
; COMPUTE_PGM_RSRC2:USER_SGPR: 2
; COMPUTE_PGM_RSRC2:TRAP_HANDLER: 0
; COMPUTE_PGM_RSRC2:TGID_X_EN: 1
; COMPUTE_PGM_RSRC2:TGID_Y_EN: 0
; COMPUTE_PGM_RSRC2:TGID_Z_EN: 0
; COMPUTE_PGM_RSRC2:TIDIG_COMP_CNT: 0
; COMPUTE_PGM_RSRC3_GFX90A:ACCUM_OFFSET: 0
; COMPUTE_PGM_RSRC3_GFX90A:TG_SPLIT: 0
	.section	.text._ZN7rocprim17ROCPRIM_400000_NS6detail17trampoline_kernelINS0_14default_configENS1_25transform_config_selectorIlLb0EEEZNS1_14transform_implILb0ES3_S5_NS0_18transform_iteratorINS0_17counting_iteratorImlEEZNS1_24adjacent_difference_implIS3_Lb1ELb0EPlSB_ZN2at6native12_GLOBAL__N_124unique_dim_cuda_templateIaEESt5tupleIJNSC_6TensorESH_SH_EERKSH_lbbbEUlllE1_EE10hipError_tPvRmT2_T3_mT4_P12ihipStream_tbEUlmE_lEESB_NS0_8identityIvEEEESM_SP_SQ_mSR_ST_bEUlT_E_NS1_11comp_targetILNS1_3genE0ELNS1_11target_archE4294967295ELNS1_3gpuE0ELNS1_3repE0EEENS1_30default_config_static_selectorELNS0_4arch9wavefront6targetE1EEEvT1_,"axG",@progbits,_ZN7rocprim17ROCPRIM_400000_NS6detail17trampoline_kernelINS0_14default_configENS1_25transform_config_selectorIlLb0EEEZNS1_14transform_implILb0ES3_S5_NS0_18transform_iteratorINS0_17counting_iteratorImlEEZNS1_24adjacent_difference_implIS3_Lb1ELb0EPlSB_ZN2at6native12_GLOBAL__N_124unique_dim_cuda_templateIaEESt5tupleIJNSC_6TensorESH_SH_EERKSH_lbbbEUlllE1_EE10hipError_tPvRmT2_T3_mT4_P12ihipStream_tbEUlmE_lEESB_NS0_8identityIvEEEESM_SP_SQ_mSR_ST_bEUlT_E_NS1_11comp_targetILNS1_3genE0ELNS1_11target_archE4294967295ELNS1_3gpuE0ELNS1_3repE0EEENS1_30default_config_static_selectorELNS0_4arch9wavefront6targetE1EEEvT1_,comdat
	.globl	_ZN7rocprim17ROCPRIM_400000_NS6detail17trampoline_kernelINS0_14default_configENS1_25transform_config_selectorIlLb0EEEZNS1_14transform_implILb0ES3_S5_NS0_18transform_iteratorINS0_17counting_iteratorImlEEZNS1_24adjacent_difference_implIS3_Lb1ELb0EPlSB_ZN2at6native12_GLOBAL__N_124unique_dim_cuda_templateIaEESt5tupleIJNSC_6TensorESH_SH_EERKSH_lbbbEUlllE1_EE10hipError_tPvRmT2_T3_mT4_P12ihipStream_tbEUlmE_lEESB_NS0_8identityIvEEEESM_SP_SQ_mSR_ST_bEUlT_E_NS1_11comp_targetILNS1_3genE0ELNS1_11target_archE4294967295ELNS1_3gpuE0ELNS1_3repE0EEENS1_30default_config_static_selectorELNS0_4arch9wavefront6targetE1EEEvT1_ ; -- Begin function _ZN7rocprim17ROCPRIM_400000_NS6detail17trampoline_kernelINS0_14default_configENS1_25transform_config_selectorIlLb0EEEZNS1_14transform_implILb0ES3_S5_NS0_18transform_iteratorINS0_17counting_iteratorImlEEZNS1_24adjacent_difference_implIS3_Lb1ELb0EPlSB_ZN2at6native12_GLOBAL__N_124unique_dim_cuda_templateIaEESt5tupleIJNSC_6TensorESH_SH_EERKSH_lbbbEUlllE1_EE10hipError_tPvRmT2_T3_mT4_P12ihipStream_tbEUlmE_lEESB_NS0_8identityIvEEEESM_SP_SQ_mSR_ST_bEUlT_E_NS1_11comp_targetILNS1_3genE0ELNS1_11target_archE4294967295ELNS1_3gpuE0ELNS1_3repE0EEENS1_30default_config_static_selectorELNS0_4arch9wavefront6targetE1EEEvT1_
	.p2align	8
	.type	_ZN7rocprim17ROCPRIM_400000_NS6detail17trampoline_kernelINS0_14default_configENS1_25transform_config_selectorIlLb0EEEZNS1_14transform_implILb0ES3_S5_NS0_18transform_iteratorINS0_17counting_iteratorImlEEZNS1_24adjacent_difference_implIS3_Lb1ELb0EPlSB_ZN2at6native12_GLOBAL__N_124unique_dim_cuda_templateIaEESt5tupleIJNSC_6TensorESH_SH_EERKSH_lbbbEUlllE1_EE10hipError_tPvRmT2_T3_mT4_P12ihipStream_tbEUlmE_lEESB_NS0_8identityIvEEEESM_SP_SQ_mSR_ST_bEUlT_E_NS1_11comp_targetILNS1_3genE0ELNS1_11target_archE4294967295ELNS1_3gpuE0ELNS1_3repE0EEENS1_30default_config_static_selectorELNS0_4arch9wavefront6targetE1EEEvT1_,@function
_ZN7rocprim17ROCPRIM_400000_NS6detail17trampoline_kernelINS0_14default_configENS1_25transform_config_selectorIlLb0EEEZNS1_14transform_implILb0ES3_S5_NS0_18transform_iteratorINS0_17counting_iteratorImlEEZNS1_24adjacent_difference_implIS3_Lb1ELb0EPlSB_ZN2at6native12_GLOBAL__N_124unique_dim_cuda_templateIaEESt5tupleIJNSC_6TensorESH_SH_EERKSH_lbbbEUlllE1_EE10hipError_tPvRmT2_T3_mT4_P12ihipStream_tbEUlmE_lEESB_NS0_8identityIvEEEESM_SP_SQ_mSR_ST_bEUlT_E_NS1_11comp_targetILNS1_3genE0ELNS1_11target_archE4294967295ELNS1_3gpuE0ELNS1_3repE0EEENS1_30default_config_static_selectorELNS0_4arch9wavefront6targetE1EEEvT1_: ; @_ZN7rocprim17ROCPRIM_400000_NS6detail17trampoline_kernelINS0_14default_configENS1_25transform_config_selectorIlLb0EEEZNS1_14transform_implILb0ES3_S5_NS0_18transform_iteratorINS0_17counting_iteratorImlEEZNS1_24adjacent_difference_implIS3_Lb1ELb0EPlSB_ZN2at6native12_GLOBAL__N_124unique_dim_cuda_templateIaEESt5tupleIJNSC_6TensorESH_SH_EERKSH_lbbbEUlllE1_EE10hipError_tPvRmT2_T3_mT4_P12ihipStream_tbEUlmE_lEESB_NS0_8identityIvEEEESM_SP_SQ_mSR_ST_bEUlT_E_NS1_11comp_targetILNS1_3genE0ELNS1_11target_archE4294967295ELNS1_3gpuE0ELNS1_3repE0EEENS1_30default_config_static_selectorELNS0_4arch9wavefront6targetE1EEEvT1_
; %bb.0:
	.section	.rodata,"a",@progbits
	.p2align	6, 0x0
	.amdhsa_kernel _ZN7rocprim17ROCPRIM_400000_NS6detail17trampoline_kernelINS0_14default_configENS1_25transform_config_selectorIlLb0EEEZNS1_14transform_implILb0ES3_S5_NS0_18transform_iteratorINS0_17counting_iteratorImlEEZNS1_24adjacent_difference_implIS3_Lb1ELb0EPlSB_ZN2at6native12_GLOBAL__N_124unique_dim_cuda_templateIaEESt5tupleIJNSC_6TensorESH_SH_EERKSH_lbbbEUlllE1_EE10hipError_tPvRmT2_T3_mT4_P12ihipStream_tbEUlmE_lEESB_NS0_8identityIvEEEESM_SP_SQ_mSR_ST_bEUlT_E_NS1_11comp_targetILNS1_3genE0ELNS1_11target_archE4294967295ELNS1_3gpuE0ELNS1_3repE0EEENS1_30default_config_static_selectorELNS0_4arch9wavefront6targetE1EEEvT1_
		.amdhsa_group_segment_fixed_size 0
		.amdhsa_private_segment_fixed_size 0
		.amdhsa_kernarg_size 56
		.amdhsa_user_sgpr_count 2
		.amdhsa_user_sgpr_dispatch_ptr 0
		.amdhsa_user_sgpr_queue_ptr 0
		.amdhsa_user_sgpr_kernarg_segment_ptr 1
		.amdhsa_user_sgpr_dispatch_id 0
		.amdhsa_user_sgpr_kernarg_preload_length 0
		.amdhsa_user_sgpr_kernarg_preload_offset 0
		.amdhsa_user_sgpr_private_segment_size 0
		.amdhsa_uses_dynamic_stack 0
		.amdhsa_enable_private_segment 0
		.amdhsa_system_sgpr_workgroup_id_x 1
		.amdhsa_system_sgpr_workgroup_id_y 0
		.amdhsa_system_sgpr_workgroup_id_z 0
		.amdhsa_system_sgpr_workgroup_info 0
		.amdhsa_system_vgpr_workitem_id 0
		.amdhsa_next_free_vgpr 1
		.amdhsa_next_free_sgpr 0
		.amdhsa_accum_offset 4
		.amdhsa_reserve_vcc 0
		.amdhsa_float_round_mode_32 0
		.amdhsa_float_round_mode_16_64 0
		.amdhsa_float_denorm_mode_32 3
		.amdhsa_float_denorm_mode_16_64 3
		.amdhsa_dx10_clamp 1
		.amdhsa_ieee_mode 1
		.amdhsa_fp16_overflow 0
		.amdhsa_tg_split 0
		.amdhsa_exception_fp_ieee_invalid_op 0
		.amdhsa_exception_fp_denorm_src 0
		.amdhsa_exception_fp_ieee_div_zero 0
		.amdhsa_exception_fp_ieee_overflow 0
		.amdhsa_exception_fp_ieee_underflow 0
		.amdhsa_exception_fp_ieee_inexact 0
		.amdhsa_exception_int_div_zero 0
	.end_amdhsa_kernel
	.section	.text._ZN7rocprim17ROCPRIM_400000_NS6detail17trampoline_kernelINS0_14default_configENS1_25transform_config_selectorIlLb0EEEZNS1_14transform_implILb0ES3_S5_NS0_18transform_iteratorINS0_17counting_iteratorImlEEZNS1_24adjacent_difference_implIS3_Lb1ELb0EPlSB_ZN2at6native12_GLOBAL__N_124unique_dim_cuda_templateIaEESt5tupleIJNSC_6TensorESH_SH_EERKSH_lbbbEUlllE1_EE10hipError_tPvRmT2_T3_mT4_P12ihipStream_tbEUlmE_lEESB_NS0_8identityIvEEEESM_SP_SQ_mSR_ST_bEUlT_E_NS1_11comp_targetILNS1_3genE0ELNS1_11target_archE4294967295ELNS1_3gpuE0ELNS1_3repE0EEENS1_30default_config_static_selectorELNS0_4arch9wavefront6targetE1EEEvT1_,"axG",@progbits,_ZN7rocprim17ROCPRIM_400000_NS6detail17trampoline_kernelINS0_14default_configENS1_25transform_config_selectorIlLb0EEEZNS1_14transform_implILb0ES3_S5_NS0_18transform_iteratorINS0_17counting_iteratorImlEEZNS1_24adjacent_difference_implIS3_Lb1ELb0EPlSB_ZN2at6native12_GLOBAL__N_124unique_dim_cuda_templateIaEESt5tupleIJNSC_6TensorESH_SH_EERKSH_lbbbEUlllE1_EE10hipError_tPvRmT2_T3_mT4_P12ihipStream_tbEUlmE_lEESB_NS0_8identityIvEEEESM_SP_SQ_mSR_ST_bEUlT_E_NS1_11comp_targetILNS1_3genE0ELNS1_11target_archE4294967295ELNS1_3gpuE0ELNS1_3repE0EEENS1_30default_config_static_selectorELNS0_4arch9wavefront6targetE1EEEvT1_,comdat
.Lfunc_end304:
	.size	_ZN7rocprim17ROCPRIM_400000_NS6detail17trampoline_kernelINS0_14default_configENS1_25transform_config_selectorIlLb0EEEZNS1_14transform_implILb0ES3_S5_NS0_18transform_iteratorINS0_17counting_iteratorImlEEZNS1_24adjacent_difference_implIS3_Lb1ELb0EPlSB_ZN2at6native12_GLOBAL__N_124unique_dim_cuda_templateIaEESt5tupleIJNSC_6TensorESH_SH_EERKSH_lbbbEUlllE1_EE10hipError_tPvRmT2_T3_mT4_P12ihipStream_tbEUlmE_lEESB_NS0_8identityIvEEEESM_SP_SQ_mSR_ST_bEUlT_E_NS1_11comp_targetILNS1_3genE0ELNS1_11target_archE4294967295ELNS1_3gpuE0ELNS1_3repE0EEENS1_30default_config_static_selectorELNS0_4arch9wavefront6targetE1EEEvT1_, .Lfunc_end304-_ZN7rocprim17ROCPRIM_400000_NS6detail17trampoline_kernelINS0_14default_configENS1_25transform_config_selectorIlLb0EEEZNS1_14transform_implILb0ES3_S5_NS0_18transform_iteratorINS0_17counting_iteratorImlEEZNS1_24adjacent_difference_implIS3_Lb1ELb0EPlSB_ZN2at6native12_GLOBAL__N_124unique_dim_cuda_templateIaEESt5tupleIJNSC_6TensorESH_SH_EERKSH_lbbbEUlllE1_EE10hipError_tPvRmT2_T3_mT4_P12ihipStream_tbEUlmE_lEESB_NS0_8identityIvEEEESM_SP_SQ_mSR_ST_bEUlT_E_NS1_11comp_targetILNS1_3genE0ELNS1_11target_archE4294967295ELNS1_3gpuE0ELNS1_3repE0EEENS1_30default_config_static_selectorELNS0_4arch9wavefront6targetE1EEEvT1_
                                        ; -- End function
	.section	.AMDGPU.csdata,"",@progbits
; Kernel info:
; codeLenInByte = 0
; NumSgprs: 6
; NumVgprs: 0
; NumAgprs: 0
; TotalNumVgprs: 0
; ScratchSize: 0
; MemoryBound: 0
; FloatMode: 240
; IeeeMode: 1
; LDSByteSize: 0 bytes/workgroup (compile time only)
; SGPRBlocks: 0
; VGPRBlocks: 0
; NumSGPRsForWavesPerEU: 6
; NumVGPRsForWavesPerEU: 1
; AccumOffset: 4
; Occupancy: 8
; WaveLimiterHint : 0
; COMPUTE_PGM_RSRC2:SCRATCH_EN: 0
; COMPUTE_PGM_RSRC2:USER_SGPR: 2
; COMPUTE_PGM_RSRC2:TRAP_HANDLER: 0
; COMPUTE_PGM_RSRC2:TGID_X_EN: 1
; COMPUTE_PGM_RSRC2:TGID_Y_EN: 0
; COMPUTE_PGM_RSRC2:TGID_Z_EN: 0
; COMPUTE_PGM_RSRC2:TIDIG_COMP_CNT: 0
; COMPUTE_PGM_RSRC3_GFX90A:ACCUM_OFFSET: 0
; COMPUTE_PGM_RSRC3_GFX90A:TG_SPLIT: 0
	.section	.text._ZN7rocprim17ROCPRIM_400000_NS6detail17trampoline_kernelINS0_14default_configENS1_25transform_config_selectorIlLb0EEEZNS1_14transform_implILb0ES3_S5_NS0_18transform_iteratorINS0_17counting_iteratorImlEEZNS1_24adjacent_difference_implIS3_Lb1ELb0EPlSB_ZN2at6native12_GLOBAL__N_124unique_dim_cuda_templateIaEESt5tupleIJNSC_6TensorESH_SH_EERKSH_lbbbEUlllE1_EE10hipError_tPvRmT2_T3_mT4_P12ihipStream_tbEUlmE_lEESB_NS0_8identityIvEEEESM_SP_SQ_mSR_ST_bEUlT_E_NS1_11comp_targetILNS1_3genE5ELNS1_11target_archE942ELNS1_3gpuE9ELNS1_3repE0EEENS1_30default_config_static_selectorELNS0_4arch9wavefront6targetE1EEEvT1_,"axG",@progbits,_ZN7rocprim17ROCPRIM_400000_NS6detail17trampoline_kernelINS0_14default_configENS1_25transform_config_selectorIlLb0EEEZNS1_14transform_implILb0ES3_S5_NS0_18transform_iteratorINS0_17counting_iteratorImlEEZNS1_24adjacent_difference_implIS3_Lb1ELb0EPlSB_ZN2at6native12_GLOBAL__N_124unique_dim_cuda_templateIaEESt5tupleIJNSC_6TensorESH_SH_EERKSH_lbbbEUlllE1_EE10hipError_tPvRmT2_T3_mT4_P12ihipStream_tbEUlmE_lEESB_NS0_8identityIvEEEESM_SP_SQ_mSR_ST_bEUlT_E_NS1_11comp_targetILNS1_3genE5ELNS1_11target_archE942ELNS1_3gpuE9ELNS1_3repE0EEENS1_30default_config_static_selectorELNS0_4arch9wavefront6targetE1EEEvT1_,comdat
	.globl	_ZN7rocprim17ROCPRIM_400000_NS6detail17trampoline_kernelINS0_14default_configENS1_25transform_config_selectorIlLb0EEEZNS1_14transform_implILb0ES3_S5_NS0_18transform_iteratorINS0_17counting_iteratorImlEEZNS1_24adjacent_difference_implIS3_Lb1ELb0EPlSB_ZN2at6native12_GLOBAL__N_124unique_dim_cuda_templateIaEESt5tupleIJNSC_6TensorESH_SH_EERKSH_lbbbEUlllE1_EE10hipError_tPvRmT2_T3_mT4_P12ihipStream_tbEUlmE_lEESB_NS0_8identityIvEEEESM_SP_SQ_mSR_ST_bEUlT_E_NS1_11comp_targetILNS1_3genE5ELNS1_11target_archE942ELNS1_3gpuE9ELNS1_3repE0EEENS1_30default_config_static_selectorELNS0_4arch9wavefront6targetE1EEEvT1_ ; -- Begin function _ZN7rocprim17ROCPRIM_400000_NS6detail17trampoline_kernelINS0_14default_configENS1_25transform_config_selectorIlLb0EEEZNS1_14transform_implILb0ES3_S5_NS0_18transform_iteratorINS0_17counting_iteratorImlEEZNS1_24adjacent_difference_implIS3_Lb1ELb0EPlSB_ZN2at6native12_GLOBAL__N_124unique_dim_cuda_templateIaEESt5tupleIJNSC_6TensorESH_SH_EERKSH_lbbbEUlllE1_EE10hipError_tPvRmT2_T3_mT4_P12ihipStream_tbEUlmE_lEESB_NS0_8identityIvEEEESM_SP_SQ_mSR_ST_bEUlT_E_NS1_11comp_targetILNS1_3genE5ELNS1_11target_archE942ELNS1_3gpuE9ELNS1_3repE0EEENS1_30default_config_static_selectorELNS0_4arch9wavefront6targetE1EEEvT1_
	.p2align	8
	.type	_ZN7rocprim17ROCPRIM_400000_NS6detail17trampoline_kernelINS0_14default_configENS1_25transform_config_selectorIlLb0EEEZNS1_14transform_implILb0ES3_S5_NS0_18transform_iteratorINS0_17counting_iteratorImlEEZNS1_24adjacent_difference_implIS3_Lb1ELb0EPlSB_ZN2at6native12_GLOBAL__N_124unique_dim_cuda_templateIaEESt5tupleIJNSC_6TensorESH_SH_EERKSH_lbbbEUlllE1_EE10hipError_tPvRmT2_T3_mT4_P12ihipStream_tbEUlmE_lEESB_NS0_8identityIvEEEESM_SP_SQ_mSR_ST_bEUlT_E_NS1_11comp_targetILNS1_3genE5ELNS1_11target_archE942ELNS1_3gpuE9ELNS1_3repE0EEENS1_30default_config_static_selectorELNS0_4arch9wavefront6targetE1EEEvT1_,@function
_ZN7rocprim17ROCPRIM_400000_NS6detail17trampoline_kernelINS0_14default_configENS1_25transform_config_selectorIlLb0EEEZNS1_14transform_implILb0ES3_S5_NS0_18transform_iteratorINS0_17counting_iteratorImlEEZNS1_24adjacent_difference_implIS3_Lb1ELb0EPlSB_ZN2at6native12_GLOBAL__N_124unique_dim_cuda_templateIaEESt5tupleIJNSC_6TensorESH_SH_EERKSH_lbbbEUlllE1_EE10hipError_tPvRmT2_T3_mT4_P12ihipStream_tbEUlmE_lEESB_NS0_8identityIvEEEESM_SP_SQ_mSR_ST_bEUlT_E_NS1_11comp_targetILNS1_3genE5ELNS1_11target_archE942ELNS1_3gpuE9ELNS1_3repE0EEENS1_30default_config_static_selectorELNS0_4arch9wavefront6targetE1EEEvT1_: ; @_ZN7rocprim17ROCPRIM_400000_NS6detail17trampoline_kernelINS0_14default_configENS1_25transform_config_selectorIlLb0EEEZNS1_14transform_implILb0ES3_S5_NS0_18transform_iteratorINS0_17counting_iteratorImlEEZNS1_24adjacent_difference_implIS3_Lb1ELb0EPlSB_ZN2at6native12_GLOBAL__N_124unique_dim_cuda_templateIaEESt5tupleIJNSC_6TensorESH_SH_EERKSH_lbbbEUlllE1_EE10hipError_tPvRmT2_T3_mT4_P12ihipStream_tbEUlmE_lEESB_NS0_8identityIvEEEESM_SP_SQ_mSR_ST_bEUlT_E_NS1_11comp_targetILNS1_3genE5ELNS1_11target_archE942ELNS1_3gpuE9ELNS1_3repE0EEENS1_30default_config_static_selectorELNS0_4arch9wavefront6targetE1EEEvT1_
; %bb.0:
	s_load_dwordx4 s[8:11], s[0:1], 0x18
	s_load_dwordx2 s[12:13], s[0:1], 0x28
	s_load_dwordx4 s[4:7], s[0:1], 0x0
	s_load_dword s14, s[0:1], 0x10
	s_load_dword s3, s[0:1], 0x38
	s_waitcnt lgkmcnt(0)
	s_lshl_b64 s[0:1], s[8:9], 3
	s_add_u32 s11, s12, s0
	s_addc_u32 s16, s13, s1
	s_lshl_b32 s12, s2, 10
	s_add_i32 s3, s3, -1
	s_add_u32 s0, s4, s12
	s_addc_u32 s1, s5, 0
	s_add_u32 s4, s0, s8
	s_addc_u32 s5, s1, s9
	s_mov_b32 s13, 0
	s_cmp_lg_u32 s2, s3
	v_lshlrev_b32_e32 v6, 3, v0
	s_cbranch_scc0 .LBB305_2
; %bb.1:
	v_mov_b32_e32 v1, 0
	v_lshl_add_u64 v[2:3], s[4:5], 0, v[0:1]
	v_mad_u64_u32 v[4:5], s[0:1], v2, s14, 0
	v_mov_b32_e32 v2, v5
	v_mad_u64_u32 v[2:3], s[0:1], v3, s14, v[2:3]
	s_mov_b32 s15, s13
	v_mov_b32_e32 v5, v2
	v_lshl_add_u64 v[2:3], v[4:5], 3, s[6:7]
	s_lshl_b64 s[0:1], s[14:15], 12
	global_load_dwordx2 v[10:11], v[2:3], off
	v_lshl_add_u64 v[2:3], v[2:3], 0, s[0:1]
	global_load_dwordx2 v[4:5], v[2:3], off
	s_lshl_b64 s[2:3], s[12:13], 3
	s_add_u32 s2, s11, s2
	v_mov_b32_e32 v7, v1
	s_addc_u32 s3, s16, s3
	v_lshl_add_u64 v[8:9], s[2:3], 0, v[6:7]
	s_waitcnt vmcnt(1)
	global_store_dwordx2 v6, v[10:11], s[2:3]
	s_mov_b64 s[2:3], -1
	s_cbranch_execz .LBB305_3
	s_branch .LBB305_12
.LBB305_2:
	s_mov_b64 s[2:3], 0
                                        ; implicit-def: $vgpr4_vgpr5
                                        ; implicit-def: $vgpr8_vgpr9
.LBB305_3:
	s_sub_i32 s8, s10, s12
	v_cmp_gt_u32_e32 vcc, s8, v0
                                        ; implicit-def: $vgpr2_vgpr3_vgpr4_vgpr5
	s_and_saveexec_b64 s[0:1], vcc
	s_cbranch_execz .LBB305_5
; %bb.4:
	v_mov_b32_e32 v1, 0
	v_lshl_add_u64 v[2:3], s[4:5], 0, v[0:1]
	s_waitcnt vmcnt(1)
	v_mad_u64_u32 v[4:5], s[18:19], v2, s14, 0
	v_mov_b32_e32 v2, v5
	v_mad_u64_u32 v[2:3], s[18:19], v3, s14, v[2:3]
	v_mov_b32_e32 v5, v2
	v_lshl_add_u64 v[2:3], v[4:5], 3, s[6:7]
	global_load_dwordx2 v[2:3], v[2:3], off
.LBB305_5:
	s_or_b64 exec, exec, s[0:1]
	v_or_b32_e32 v0, 0x200, v0
	v_cmp_gt_u32_e64 s[0:1], s8, v0
	s_and_saveexec_b64 s[8:9], s[0:1]
	s_cbranch_execz .LBB305_7
; %bb.6:
	v_mov_b32_e32 v1, 0
	v_lshl_add_u64 v[0:1], s[4:5], 0, v[0:1]
	s_waitcnt vmcnt(1)
	v_mad_u64_u32 v[4:5], s[4:5], v0, s14, 0
	v_mov_b32_e32 v0, v5
	v_mad_u64_u32 v[0:1], s[4:5], v1, s14, v[0:1]
	v_mov_b32_e32 v5, v0
	v_lshl_add_u64 v[0:1], v[4:5], 3, s[6:7]
	global_load_dwordx2 v[4:5], v[0:1], off
.LBB305_7:
	s_or_b64 exec, exec, s[8:9]
	s_lshl_b64 s[4:5], s[12:13], 3
	s_add_u32 s4, s11, s4
	s_addc_u32 s5, s16, s5
	v_mov_b32_e32 v7, 0
	v_lshl_add_u64 v[8:9], s[4:5], 0, v[6:7]
	s_and_saveexec_b64 s[4:5], vcc
	s_cbranch_execz .LBB305_9
; %bb.8:
	s_waitcnt vmcnt(0)
	global_store_dwordx2 v[8:9], v[2:3], off
.LBB305_9:
	s_or_b64 exec, exec, s[4:5]
	s_and_saveexec_b64 s[4:5], s[0:1]
; %bb.10:
	s_or_b64 s[2:3], s[2:3], exec
; %bb.11:
	s_or_b64 exec, exec, s[4:5]
.LBB305_12:
	s_and_saveexec_b64 s[0:1], s[2:3]
	s_cbranch_execnz .LBB305_14
; %bb.13:
	s_endpgm
.LBB305_14:
	v_add_co_u32_e32 v0, vcc, 0x1000, v8
	s_nop 1
	v_addc_co_u32_e32 v1, vcc, 0, v9, vcc
	s_waitcnt vmcnt(0)
	global_store_dwordx2 v[0:1], v[4:5], off
	s_endpgm
	.section	.rodata,"a",@progbits
	.p2align	6, 0x0
	.amdhsa_kernel _ZN7rocprim17ROCPRIM_400000_NS6detail17trampoline_kernelINS0_14default_configENS1_25transform_config_selectorIlLb0EEEZNS1_14transform_implILb0ES3_S5_NS0_18transform_iteratorINS0_17counting_iteratorImlEEZNS1_24adjacent_difference_implIS3_Lb1ELb0EPlSB_ZN2at6native12_GLOBAL__N_124unique_dim_cuda_templateIaEESt5tupleIJNSC_6TensorESH_SH_EERKSH_lbbbEUlllE1_EE10hipError_tPvRmT2_T3_mT4_P12ihipStream_tbEUlmE_lEESB_NS0_8identityIvEEEESM_SP_SQ_mSR_ST_bEUlT_E_NS1_11comp_targetILNS1_3genE5ELNS1_11target_archE942ELNS1_3gpuE9ELNS1_3repE0EEENS1_30default_config_static_selectorELNS0_4arch9wavefront6targetE1EEEvT1_
		.amdhsa_group_segment_fixed_size 0
		.amdhsa_private_segment_fixed_size 0
		.amdhsa_kernarg_size 312
		.amdhsa_user_sgpr_count 2
		.amdhsa_user_sgpr_dispatch_ptr 0
		.amdhsa_user_sgpr_queue_ptr 0
		.amdhsa_user_sgpr_kernarg_segment_ptr 1
		.amdhsa_user_sgpr_dispatch_id 0
		.amdhsa_user_sgpr_kernarg_preload_length 0
		.amdhsa_user_sgpr_kernarg_preload_offset 0
		.amdhsa_user_sgpr_private_segment_size 0
		.amdhsa_uses_dynamic_stack 0
		.amdhsa_enable_private_segment 0
		.amdhsa_system_sgpr_workgroup_id_x 1
		.amdhsa_system_sgpr_workgroup_id_y 0
		.amdhsa_system_sgpr_workgroup_id_z 0
		.amdhsa_system_sgpr_workgroup_info 0
		.amdhsa_system_vgpr_workitem_id 0
		.amdhsa_next_free_vgpr 12
		.amdhsa_next_free_sgpr 20
		.amdhsa_accum_offset 12
		.amdhsa_reserve_vcc 1
		.amdhsa_float_round_mode_32 0
		.amdhsa_float_round_mode_16_64 0
		.amdhsa_float_denorm_mode_32 3
		.amdhsa_float_denorm_mode_16_64 3
		.amdhsa_dx10_clamp 1
		.amdhsa_ieee_mode 1
		.amdhsa_fp16_overflow 0
		.amdhsa_tg_split 0
		.amdhsa_exception_fp_ieee_invalid_op 0
		.amdhsa_exception_fp_denorm_src 0
		.amdhsa_exception_fp_ieee_div_zero 0
		.amdhsa_exception_fp_ieee_overflow 0
		.amdhsa_exception_fp_ieee_underflow 0
		.amdhsa_exception_fp_ieee_inexact 0
		.amdhsa_exception_int_div_zero 0
	.end_amdhsa_kernel
	.section	.text._ZN7rocprim17ROCPRIM_400000_NS6detail17trampoline_kernelINS0_14default_configENS1_25transform_config_selectorIlLb0EEEZNS1_14transform_implILb0ES3_S5_NS0_18transform_iteratorINS0_17counting_iteratorImlEEZNS1_24adjacent_difference_implIS3_Lb1ELb0EPlSB_ZN2at6native12_GLOBAL__N_124unique_dim_cuda_templateIaEESt5tupleIJNSC_6TensorESH_SH_EERKSH_lbbbEUlllE1_EE10hipError_tPvRmT2_T3_mT4_P12ihipStream_tbEUlmE_lEESB_NS0_8identityIvEEEESM_SP_SQ_mSR_ST_bEUlT_E_NS1_11comp_targetILNS1_3genE5ELNS1_11target_archE942ELNS1_3gpuE9ELNS1_3repE0EEENS1_30default_config_static_selectorELNS0_4arch9wavefront6targetE1EEEvT1_,"axG",@progbits,_ZN7rocprim17ROCPRIM_400000_NS6detail17trampoline_kernelINS0_14default_configENS1_25transform_config_selectorIlLb0EEEZNS1_14transform_implILb0ES3_S5_NS0_18transform_iteratorINS0_17counting_iteratorImlEEZNS1_24adjacent_difference_implIS3_Lb1ELb0EPlSB_ZN2at6native12_GLOBAL__N_124unique_dim_cuda_templateIaEESt5tupleIJNSC_6TensorESH_SH_EERKSH_lbbbEUlllE1_EE10hipError_tPvRmT2_T3_mT4_P12ihipStream_tbEUlmE_lEESB_NS0_8identityIvEEEESM_SP_SQ_mSR_ST_bEUlT_E_NS1_11comp_targetILNS1_3genE5ELNS1_11target_archE942ELNS1_3gpuE9ELNS1_3repE0EEENS1_30default_config_static_selectorELNS0_4arch9wavefront6targetE1EEEvT1_,comdat
.Lfunc_end305:
	.size	_ZN7rocprim17ROCPRIM_400000_NS6detail17trampoline_kernelINS0_14default_configENS1_25transform_config_selectorIlLb0EEEZNS1_14transform_implILb0ES3_S5_NS0_18transform_iteratorINS0_17counting_iteratorImlEEZNS1_24adjacent_difference_implIS3_Lb1ELb0EPlSB_ZN2at6native12_GLOBAL__N_124unique_dim_cuda_templateIaEESt5tupleIJNSC_6TensorESH_SH_EERKSH_lbbbEUlllE1_EE10hipError_tPvRmT2_T3_mT4_P12ihipStream_tbEUlmE_lEESB_NS0_8identityIvEEEESM_SP_SQ_mSR_ST_bEUlT_E_NS1_11comp_targetILNS1_3genE5ELNS1_11target_archE942ELNS1_3gpuE9ELNS1_3repE0EEENS1_30default_config_static_selectorELNS0_4arch9wavefront6targetE1EEEvT1_, .Lfunc_end305-_ZN7rocprim17ROCPRIM_400000_NS6detail17trampoline_kernelINS0_14default_configENS1_25transform_config_selectorIlLb0EEEZNS1_14transform_implILb0ES3_S5_NS0_18transform_iteratorINS0_17counting_iteratorImlEEZNS1_24adjacent_difference_implIS3_Lb1ELb0EPlSB_ZN2at6native12_GLOBAL__N_124unique_dim_cuda_templateIaEESt5tupleIJNSC_6TensorESH_SH_EERKSH_lbbbEUlllE1_EE10hipError_tPvRmT2_T3_mT4_P12ihipStream_tbEUlmE_lEESB_NS0_8identityIvEEEESM_SP_SQ_mSR_ST_bEUlT_E_NS1_11comp_targetILNS1_3genE5ELNS1_11target_archE942ELNS1_3gpuE9ELNS1_3repE0EEENS1_30default_config_static_selectorELNS0_4arch9wavefront6targetE1EEEvT1_
                                        ; -- End function
	.section	.AMDGPU.csdata,"",@progbits
; Kernel info:
; codeLenInByte = 488
; NumSgprs: 26
; NumVgprs: 12
; NumAgprs: 0
; TotalNumVgprs: 12
; ScratchSize: 0
; MemoryBound: 0
; FloatMode: 240
; IeeeMode: 1
; LDSByteSize: 0 bytes/workgroup (compile time only)
; SGPRBlocks: 3
; VGPRBlocks: 1
; NumSGPRsForWavesPerEU: 26
; NumVGPRsForWavesPerEU: 12
; AccumOffset: 12
; Occupancy: 8
; WaveLimiterHint : 0
; COMPUTE_PGM_RSRC2:SCRATCH_EN: 0
; COMPUTE_PGM_RSRC2:USER_SGPR: 2
; COMPUTE_PGM_RSRC2:TRAP_HANDLER: 0
; COMPUTE_PGM_RSRC2:TGID_X_EN: 1
; COMPUTE_PGM_RSRC2:TGID_Y_EN: 0
; COMPUTE_PGM_RSRC2:TGID_Z_EN: 0
; COMPUTE_PGM_RSRC2:TIDIG_COMP_CNT: 0
; COMPUTE_PGM_RSRC3_GFX90A:ACCUM_OFFSET: 2
; COMPUTE_PGM_RSRC3_GFX90A:TG_SPLIT: 0
	.section	.text._ZN7rocprim17ROCPRIM_400000_NS6detail17trampoline_kernelINS0_14default_configENS1_25transform_config_selectorIlLb0EEEZNS1_14transform_implILb0ES3_S5_NS0_18transform_iteratorINS0_17counting_iteratorImlEEZNS1_24adjacent_difference_implIS3_Lb1ELb0EPlSB_ZN2at6native12_GLOBAL__N_124unique_dim_cuda_templateIaEESt5tupleIJNSC_6TensorESH_SH_EERKSH_lbbbEUlllE1_EE10hipError_tPvRmT2_T3_mT4_P12ihipStream_tbEUlmE_lEESB_NS0_8identityIvEEEESM_SP_SQ_mSR_ST_bEUlT_E_NS1_11comp_targetILNS1_3genE4ELNS1_11target_archE910ELNS1_3gpuE8ELNS1_3repE0EEENS1_30default_config_static_selectorELNS0_4arch9wavefront6targetE1EEEvT1_,"axG",@progbits,_ZN7rocprim17ROCPRIM_400000_NS6detail17trampoline_kernelINS0_14default_configENS1_25transform_config_selectorIlLb0EEEZNS1_14transform_implILb0ES3_S5_NS0_18transform_iteratorINS0_17counting_iteratorImlEEZNS1_24adjacent_difference_implIS3_Lb1ELb0EPlSB_ZN2at6native12_GLOBAL__N_124unique_dim_cuda_templateIaEESt5tupleIJNSC_6TensorESH_SH_EERKSH_lbbbEUlllE1_EE10hipError_tPvRmT2_T3_mT4_P12ihipStream_tbEUlmE_lEESB_NS0_8identityIvEEEESM_SP_SQ_mSR_ST_bEUlT_E_NS1_11comp_targetILNS1_3genE4ELNS1_11target_archE910ELNS1_3gpuE8ELNS1_3repE0EEENS1_30default_config_static_selectorELNS0_4arch9wavefront6targetE1EEEvT1_,comdat
	.globl	_ZN7rocprim17ROCPRIM_400000_NS6detail17trampoline_kernelINS0_14default_configENS1_25transform_config_selectorIlLb0EEEZNS1_14transform_implILb0ES3_S5_NS0_18transform_iteratorINS0_17counting_iteratorImlEEZNS1_24adjacent_difference_implIS3_Lb1ELb0EPlSB_ZN2at6native12_GLOBAL__N_124unique_dim_cuda_templateIaEESt5tupleIJNSC_6TensorESH_SH_EERKSH_lbbbEUlllE1_EE10hipError_tPvRmT2_T3_mT4_P12ihipStream_tbEUlmE_lEESB_NS0_8identityIvEEEESM_SP_SQ_mSR_ST_bEUlT_E_NS1_11comp_targetILNS1_3genE4ELNS1_11target_archE910ELNS1_3gpuE8ELNS1_3repE0EEENS1_30default_config_static_selectorELNS0_4arch9wavefront6targetE1EEEvT1_ ; -- Begin function _ZN7rocprim17ROCPRIM_400000_NS6detail17trampoline_kernelINS0_14default_configENS1_25transform_config_selectorIlLb0EEEZNS1_14transform_implILb0ES3_S5_NS0_18transform_iteratorINS0_17counting_iteratorImlEEZNS1_24adjacent_difference_implIS3_Lb1ELb0EPlSB_ZN2at6native12_GLOBAL__N_124unique_dim_cuda_templateIaEESt5tupleIJNSC_6TensorESH_SH_EERKSH_lbbbEUlllE1_EE10hipError_tPvRmT2_T3_mT4_P12ihipStream_tbEUlmE_lEESB_NS0_8identityIvEEEESM_SP_SQ_mSR_ST_bEUlT_E_NS1_11comp_targetILNS1_3genE4ELNS1_11target_archE910ELNS1_3gpuE8ELNS1_3repE0EEENS1_30default_config_static_selectorELNS0_4arch9wavefront6targetE1EEEvT1_
	.p2align	8
	.type	_ZN7rocprim17ROCPRIM_400000_NS6detail17trampoline_kernelINS0_14default_configENS1_25transform_config_selectorIlLb0EEEZNS1_14transform_implILb0ES3_S5_NS0_18transform_iteratorINS0_17counting_iteratorImlEEZNS1_24adjacent_difference_implIS3_Lb1ELb0EPlSB_ZN2at6native12_GLOBAL__N_124unique_dim_cuda_templateIaEESt5tupleIJNSC_6TensorESH_SH_EERKSH_lbbbEUlllE1_EE10hipError_tPvRmT2_T3_mT4_P12ihipStream_tbEUlmE_lEESB_NS0_8identityIvEEEESM_SP_SQ_mSR_ST_bEUlT_E_NS1_11comp_targetILNS1_3genE4ELNS1_11target_archE910ELNS1_3gpuE8ELNS1_3repE0EEENS1_30default_config_static_selectorELNS0_4arch9wavefront6targetE1EEEvT1_,@function
_ZN7rocprim17ROCPRIM_400000_NS6detail17trampoline_kernelINS0_14default_configENS1_25transform_config_selectorIlLb0EEEZNS1_14transform_implILb0ES3_S5_NS0_18transform_iteratorINS0_17counting_iteratorImlEEZNS1_24adjacent_difference_implIS3_Lb1ELb0EPlSB_ZN2at6native12_GLOBAL__N_124unique_dim_cuda_templateIaEESt5tupleIJNSC_6TensorESH_SH_EERKSH_lbbbEUlllE1_EE10hipError_tPvRmT2_T3_mT4_P12ihipStream_tbEUlmE_lEESB_NS0_8identityIvEEEESM_SP_SQ_mSR_ST_bEUlT_E_NS1_11comp_targetILNS1_3genE4ELNS1_11target_archE910ELNS1_3gpuE8ELNS1_3repE0EEENS1_30default_config_static_selectorELNS0_4arch9wavefront6targetE1EEEvT1_: ; @_ZN7rocprim17ROCPRIM_400000_NS6detail17trampoline_kernelINS0_14default_configENS1_25transform_config_selectorIlLb0EEEZNS1_14transform_implILb0ES3_S5_NS0_18transform_iteratorINS0_17counting_iteratorImlEEZNS1_24adjacent_difference_implIS3_Lb1ELb0EPlSB_ZN2at6native12_GLOBAL__N_124unique_dim_cuda_templateIaEESt5tupleIJNSC_6TensorESH_SH_EERKSH_lbbbEUlllE1_EE10hipError_tPvRmT2_T3_mT4_P12ihipStream_tbEUlmE_lEESB_NS0_8identityIvEEEESM_SP_SQ_mSR_ST_bEUlT_E_NS1_11comp_targetILNS1_3genE4ELNS1_11target_archE910ELNS1_3gpuE8ELNS1_3repE0EEENS1_30default_config_static_selectorELNS0_4arch9wavefront6targetE1EEEvT1_
; %bb.0:
	.section	.rodata,"a",@progbits
	.p2align	6, 0x0
	.amdhsa_kernel _ZN7rocprim17ROCPRIM_400000_NS6detail17trampoline_kernelINS0_14default_configENS1_25transform_config_selectorIlLb0EEEZNS1_14transform_implILb0ES3_S5_NS0_18transform_iteratorINS0_17counting_iteratorImlEEZNS1_24adjacent_difference_implIS3_Lb1ELb0EPlSB_ZN2at6native12_GLOBAL__N_124unique_dim_cuda_templateIaEESt5tupleIJNSC_6TensorESH_SH_EERKSH_lbbbEUlllE1_EE10hipError_tPvRmT2_T3_mT4_P12ihipStream_tbEUlmE_lEESB_NS0_8identityIvEEEESM_SP_SQ_mSR_ST_bEUlT_E_NS1_11comp_targetILNS1_3genE4ELNS1_11target_archE910ELNS1_3gpuE8ELNS1_3repE0EEENS1_30default_config_static_selectorELNS0_4arch9wavefront6targetE1EEEvT1_
		.amdhsa_group_segment_fixed_size 0
		.amdhsa_private_segment_fixed_size 0
		.amdhsa_kernarg_size 56
		.amdhsa_user_sgpr_count 2
		.amdhsa_user_sgpr_dispatch_ptr 0
		.amdhsa_user_sgpr_queue_ptr 0
		.amdhsa_user_sgpr_kernarg_segment_ptr 1
		.amdhsa_user_sgpr_dispatch_id 0
		.amdhsa_user_sgpr_kernarg_preload_length 0
		.amdhsa_user_sgpr_kernarg_preload_offset 0
		.amdhsa_user_sgpr_private_segment_size 0
		.amdhsa_uses_dynamic_stack 0
		.amdhsa_enable_private_segment 0
		.amdhsa_system_sgpr_workgroup_id_x 1
		.amdhsa_system_sgpr_workgroup_id_y 0
		.amdhsa_system_sgpr_workgroup_id_z 0
		.amdhsa_system_sgpr_workgroup_info 0
		.amdhsa_system_vgpr_workitem_id 0
		.amdhsa_next_free_vgpr 1
		.amdhsa_next_free_sgpr 0
		.amdhsa_accum_offset 4
		.amdhsa_reserve_vcc 0
		.amdhsa_float_round_mode_32 0
		.amdhsa_float_round_mode_16_64 0
		.amdhsa_float_denorm_mode_32 3
		.amdhsa_float_denorm_mode_16_64 3
		.amdhsa_dx10_clamp 1
		.amdhsa_ieee_mode 1
		.amdhsa_fp16_overflow 0
		.amdhsa_tg_split 0
		.amdhsa_exception_fp_ieee_invalid_op 0
		.amdhsa_exception_fp_denorm_src 0
		.amdhsa_exception_fp_ieee_div_zero 0
		.amdhsa_exception_fp_ieee_overflow 0
		.amdhsa_exception_fp_ieee_underflow 0
		.amdhsa_exception_fp_ieee_inexact 0
		.amdhsa_exception_int_div_zero 0
	.end_amdhsa_kernel
	.section	.text._ZN7rocprim17ROCPRIM_400000_NS6detail17trampoline_kernelINS0_14default_configENS1_25transform_config_selectorIlLb0EEEZNS1_14transform_implILb0ES3_S5_NS0_18transform_iteratorINS0_17counting_iteratorImlEEZNS1_24adjacent_difference_implIS3_Lb1ELb0EPlSB_ZN2at6native12_GLOBAL__N_124unique_dim_cuda_templateIaEESt5tupleIJNSC_6TensorESH_SH_EERKSH_lbbbEUlllE1_EE10hipError_tPvRmT2_T3_mT4_P12ihipStream_tbEUlmE_lEESB_NS0_8identityIvEEEESM_SP_SQ_mSR_ST_bEUlT_E_NS1_11comp_targetILNS1_3genE4ELNS1_11target_archE910ELNS1_3gpuE8ELNS1_3repE0EEENS1_30default_config_static_selectorELNS0_4arch9wavefront6targetE1EEEvT1_,"axG",@progbits,_ZN7rocprim17ROCPRIM_400000_NS6detail17trampoline_kernelINS0_14default_configENS1_25transform_config_selectorIlLb0EEEZNS1_14transform_implILb0ES3_S5_NS0_18transform_iteratorINS0_17counting_iteratorImlEEZNS1_24adjacent_difference_implIS3_Lb1ELb0EPlSB_ZN2at6native12_GLOBAL__N_124unique_dim_cuda_templateIaEESt5tupleIJNSC_6TensorESH_SH_EERKSH_lbbbEUlllE1_EE10hipError_tPvRmT2_T3_mT4_P12ihipStream_tbEUlmE_lEESB_NS0_8identityIvEEEESM_SP_SQ_mSR_ST_bEUlT_E_NS1_11comp_targetILNS1_3genE4ELNS1_11target_archE910ELNS1_3gpuE8ELNS1_3repE0EEENS1_30default_config_static_selectorELNS0_4arch9wavefront6targetE1EEEvT1_,comdat
.Lfunc_end306:
	.size	_ZN7rocprim17ROCPRIM_400000_NS6detail17trampoline_kernelINS0_14default_configENS1_25transform_config_selectorIlLb0EEEZNS1_14transform_implILb0ES3_S5_NS0_18transform_iteratorINS0_17counting_iteratorImlEEZNS1_24adjacent_difference_implIS3_Lb1ELb0EPlSB_ZN2at6native12_GLOBAL__N_124unique_dim_cuda_templateIaEESt5tupleIJNSC_6TensorESH_SH_EERKSH_lbbbEUlllE1_EE10hipError_tPvRmT2_T3_mT4_P12ihipStream_tbEUlmE_lEESB_NS0_8identityIvEEEESM_SP_SQ_mSR_ST_bEUlT_E_NS1_11comp_targetILNS1_3genE4ELNS1_11target_archE910ELNS1_3gpuE8ELNS1_3repE0EEENS1_30default_config_static_selectorELNS0_4arch9wavefront6targetE1EEEvT1_, .Lfunc_end306-_ZN7rocprim17ROCPRIM_400000_NS6detail17trampoline_kernelINS0_14default_configENS1_25transform_config_selectorIlLb0EEEZNS1_14transform_implILb0ES3_S5_NS0_18transform_iteratorINS0_17counting_iteratorImlEEZNS1_24adjacent_difference_implIS3_Lb1ELb0EPlSB_ZN2at6native12_GLOBAL__N_124unique_dim_cuda_templateIaEESt5tupleIJNSC_6TensorESH_SH_EERKSH_lbbbEUlllE1_EE10hipError_tPvRmT2_T3_mT4_P12ihipStream_tbEUlmE_lEESB_NS0_8identityIvEEEESM_SP_SQ_mSR_ST_bEUlT_E_NS1_11comp_targetILNS1_3genE4ELNS1_11target_archE910ELNS1_3gpuE8ELNS1_3repE0EEENS1_30default_config_static_selectorELNS0_4arch9wavefront6targetE1EEEvT1_
                                        ; -- End function
	.section	.AMDGPU.csdata,"",@progbits
; Kernel info:
; codeLenInByte = 0
; NumSgprs: 6
; NumVgprs: 0
; NumAgprs: 0
; TotalNumVgprs: 0
; ScratchSize: 0
; MemoryBound: 0
; FloatMode: 240
; IeeeMode: 1
; LDSByteSize: 0 bytes/workgroup (compile time only)
; SGPRBlocks: 0
; VGPRBlocks: 0
; NumSGPRsForWavesPerEU: 6
; NumVGPRsForWavesPerEU: 1
; AccumOffset: 4
; Occupancy: 8
; WaveLimiterHint : 0
; COMPUTE_PGM_RSRC2:SCRATCH_EN: 0
; COMPUTE_PGM_RSRC2:USER_SGPR: 2
; COMPUTE_PGM_RSRC2:TRAP_HANDLER: 0
; COMPUTE_PGM_RSRC2:TGID_X_EN: 1
; COMPUTE_PGM_RSRC2:TGID_Y_EN: 0
; COMPUTE_PGM_RSRC2:TGID_Z_EN: 0
; COMPUTE_PGM_RSRC2:TIDIG_COMP_CNT: 0
; COMPUTE_PGM_RSRC3_GFX90A:ACCUM_OFFSET: 0
; COMPUTE_PGM_RSRC3_GFX90A:TG_SPLIT: 0
	.section	.text._ZN7rocprim17ROCPRIM_400000_NS6detail17trampoline_kernelINS0_14default_configENS1_25transform_config_selectorIlLb0EEEZNS1_14transform_implILb0ES3_S5_NS0_18transform_iteratorINS0_17counting_iteratorImlEEZNS1_24adjacent_difference_implIS3_Lb1ELb0EPlSB_ZN2at6native12_GLOBAL__N_124unique_dim_cuda_templateIaEESt5tupleIJNSC_6TensorESH_SH_EERKSH_lbbbEUlllE1_EE10hipError_tPvRmT2_T3_mT4_P12ihipStream_tbEUlmE_lEESB_NS0_8identityIvEEEESM_SP_SQ_mSR_ST_bEUlT_E_NS1_11comp_targetILNS1_3genE3ELNS1_11target_archE908ELNS1_3gpuE7ELNS1_3repE0EEENS1_30default_config_static_selectorELNS0_4arch9wavefront6targetE1EEEvT1_,"axG",@progbits,_ZN7rocprim17ROCPRIM_400000_NS6detail17trampoline_kernelINS0_14default_configENS1_25transform_config_selectorIlLb0EEEZNS1_14transform_implILb0ES3_S5_NS0_18transform_iteratorINS0_17counting_iteratorImlEEZNS1_24adjacent_difference_implIS3_Lb1ELb0EPlSB_ZN2at6native12_GLOBAL__N_124unique_dim_cuda_templateIaEESt5tupleIJNSC_6TensorESH_SH_EERKSH_lbbbEUlllE1_EE10hipError_tPvRmT2_T3_mT4_P12ihipStream_tbEUlmE_lEESB_NS0_8identityIvEEEESM_SP_SQ_mSR_ST_bEUlT_E_NS1_11comp_targetILNS1_3genE3ELNS1_11target_archE908ELNS1_3gpuE7ELNS1_3repE0EEENS1_30default_config_static_selectorELNS0_4arch9wavefront6targetE1EEEvT1_,comdat
	.globl	_ZN7rocprim17ROCPRIM_400000_NS6detail17trampoline_kernelINS0_14default_configENS1_25transform_config_selectorIlLb0EEEZNS1_14transform_implILb0ES3_S5_NS0_18transform_iteratorINS0_17counting_iteratorImlEEZNS1_24adjacent_difference_implIS3_Lb1ELb0EPlSB_ZN2at6native12_GLOBAL__N_124unique_dim_cuda_templateIaEESt5tupleIJNSC_6TensorESH_SH_EERKSH_lbbbEUlllE1_EE10hipError_tPvRmT2_T3_mT4_P12ihipStream_tbEUlmE_lEESB_NS0_8identityIvEEEESM_SP_SQ_mSR_ST_bEUlT_E_NS1_11comp_targetILNS1_3genE3ELNS1_11target_archE908ELNS1_3gpuE7ELNS1_3repE0EEENS1_30default_config_static_selectorELNS0_4arch9wavefront6targetE1EEEvT1_ ; -- Begin function _ZN7rocprim17ROCPRIM_400000_NS6detail17trampoline_kernelINS0_14default_configENS1_25transform_config_selectorIlLb0EEEZNS1_14transform_implILb0ES3_S5_NS0_18transform_iteratorINS0_17counting_iteratorImlEEZNS1_24adjacent_difference_implIS3_Lb1ELb0EPlSB_ZN2at6native12_GLOBAL__N_124unique_dim_cuda_templateIaEESt5tupleIJNSC_6TensorESH_SH_EERKSH_lbbbEUlllE1_EE10hipError_tPvRmT2_T3_mT4_P12ihipStream_tbEUlmE_lEESB_NS0_8identityIvEEEESM_SP_SQ_mSR_ST_bEUlT_E_NS1_11comp_targetILNS1_3genE3ELNS1_11target_archE908ELNS1_3gpuE7ELNS1_3repE0EEENS1_30default_config_static_selectorELNS0_4arch9wavefront6targetE1EEEvT1_
	.p2align	8
	.type	_ZN7rocprim17ROCPRIM_400000_NS6detail17trampoline_kernelINS0_14default_configENS1_25transform_config_selectorIlLb0EEEZNS1_14transform_implILb0ES3_S5_NS0_18transform_iteratorINS0_17counting_iteratorImlEEZNS1_24adjacent_difference_implIS3_Lb1ELb0EPlSB_ZN2at6native12_GLOBAL__N_124unique_dim_cuda_templateIaEESt5tupleIJNSC_6TensorESH_SH_EERKSH_lbbbEUlllE1_EE10hipError_tPvRmT2_T3_mT4_P12ihipStream_tbEUlmE_lEESB_NS0_8identityIvEEEESM_SP_SQ_mSR_ST_bEUlT_E_NS1_11comp_targetILNS1_3genE3ELNS1_11target_archE908ELNS1_3gpuE7ELNS1_3repE0EEENS1_30default_config_static_selectorELNS0_4arch9wavefront6targetE1EEEvT1_,@function
_ZN7rocprim17ROCPRIM_400000_NS6detail17trampoline_kernelINS0_14default_configENS1_25transform_config_selectorIlLb0EEEZNS1_14transform_implILb0ES3_S5_NS0_18transform_iteratorINS0_17counting_iteratorImlEEZNS1_24adjacent_difference_implIS3_Lb1ELb0EPlSB_ZN2at6native12_GLOBAL__N_124unique_dim_cuda_templateIaEESt5tupleIJNSC_6TensorESH_SH_EERKSH_lbbbEUlllE1_EE10hipError_tPvRmT2_T3_mT4_P12ihipStream_tbEUlmE_lEESB_NS0_8identityIvEEEESM_SP_SQ_mSR_ST_bEUlT_E_NS1_11comp_targetILNS1_3genE3ELNS1_11target_archE908ELNS1_3gpuE7ELNS1_3repE0EEENS1_30default_config_static_selectorELNS0_4arch9wavefront6targetE1EEEvT1_: ; @_ZN7rocprim17ROCPRIM_400000_NS6detail17trampoline_kernelINS0_14default_configENS1_25transform_config_selectorIlLb0EEEZNS1_14transform_implILb0ES3_S5_NS0_18transform_iteratorINS0_17counting_iteratorImlEEZNS1_24adjacent_difference_implIS3_Lb1ELb0EPlSB_ZN2at6native12_GLOBAL__N_124unique_dim_cuda_templateIaEESt5tupleIJNSC_6TensorESH_SH_EERKSH_lbbbEUlllE1_EE10hipError_tPvRmT2_T3_mT4_P12ihipStream_tbEUlmE_lEESB_NS0_8identityIvEEEESM_SP_SQ_mSR_ST_bEUlT_E_NS1_11comp_targetILNS1_3genE3ELNS1_11target_archE908ELNS1_3gpuE7ELNS1_3repE0EEENS1_30default_config_static_selectorELNS0_4arch9wavefront6targetE1EEEvT1_
; %bb.0:
	.section	.rodata,"a",@progbits
	.p2align	6, 0x0
	.amdhsa_kernel _ZN7rocprim17ROCPRIM_400000_NS6detail17trampoline_kernelINS0_14default_configENS1_25transform_config_selectorIlLb0EEEZNS1_14transform_implILb0ES3_S5_NS0_18transform_iteratorINS0_17counting_iteratorImlEEZNS1_24adjacent_difference_implIS3_Lb1ELb0EPlSB_ZN2at6native12_GLOBAL__N_124unique_dim_cuda_templateIaEESt5tupleIJNSC_6TensorESH_SH_EERKSH_lbbbEUlllE1_EE10hipError_tPvRmT2_T3_mT4_P12ihipStream_tbEUlmE_lEESB_NS0_8identityIvEEEESM_SP_SQ_mSR_ST_bEUlT_E_NS1_11comp_targetILNS1_3genE3ELNS1_11target_archE908ELNS1_3gpuE7ELNS1_3repE0EEENS1_30default_config_static_selectorELNS0_4arch9wavefront6targetE1EEEvT1_
		.amdhsa_group_segment_fixed_size 0
		.amdhsa_private_segment_fixed_size 0
		.amdhsa_kernarg_size 56
		.amdhsa_user_sgpr_count 2
		.amdhsa_user_sgpr_dispatch_ptr 0
		.amdhsa_user_sgpr_queue_ptr 0
		.amdhsa_user_sgpr_kernarg_segment_ptr 1
		.amdhsa_user_sgpr_dispatch_id 0
		.amdhsa_user_sgpr_kernarg_preload_length 0
		.amdhsa_user_sgpr_kernarg_preload_offset 0
		.amdhsa_user_sgpr_private_segment_size 0
		.amdhsa_uses_dynamic_stack 0
		.amdhsa_enable_private_segment 0
		.amdhsa_system_sgpr_workgroup_id_x 1
		.amdhsa_system_sgpr_workgroup_id_y 0
		.amdhsa_system_sgpr_workgroup_id_z 0
		.amdhsa_system_sgpr_workgroup_info 0
		.amdhsa_system_vgpr_workitem_id 0
		.amdhsa_next_free_vgpr 1
		.amdhsa_next_free_sgpr 0
		.amdhsa_accum_offset 4
		.amdhsa_reserve_vcc 0
		.amdhsa_float_round_mode_32 0
		.amdhsa_float_round_mode_16_64 0
		.amdhsa_float_denorm_mode_32 3
		.amdhsa_float_denorm_mode_16_64 3
		.amdhsa_dx10_clamp 1
		.amdhsa_ieee_mode 1
		.amdhsa_fp16_overflow 0
		.amdhsa_tg_split 0
		.amdhsa_exception_fp_ieee_invalid_op 0
		.amdhsa_exception_fp_denorm_src 0
		.amdhsa_exception_fp_ieee_div_zero 0
		.amdhsa_exception_fp_ieee_overflow 0
		.amdhsa_exception_fp_ieee_underflow 0
		.amdhsa_exception_fp_ieee_inexact 0
		.amdhsa_exception_int_div_zero 0
	.end_amdhsa_kernel
	.section	.text._ZN7rocprim17ROCPRIM_400000_NS6detail17trampoline_kernelINS0_14default_configENS1_25transform_config_selectorIlLb0EEEZNS1_14transform_implILb0ES3_S5_NS0_18transform_iteratorINS0_17counting_iteratorImlEEZNS1_24adjacent_difference_implIS3_Lb1ELb0EPlSB_ZN2at6native12_GLOBAL__N_124unique_dim_cuda_templateIaEESt5tupleIJNSC_6TensorESH_SH_EERKSH_lbbbEUlllE1_EE10hipError_tPvRmT2_T3_mT4_P12ihipStream_tbEUlmE_lEESB_NS0_8identityIvEEEESM_SP_SQ_mSR_ST_bEUlT_E_NS1_11comp_targetILNS1_3genE3ELNS1_11target_archE908ELNS1_3gpuE7ELNS1_3repE0EEENS1_30default_config_static_selectorELNS0_4arch9wavefront6targetE1EEEvT1_,"axG",@progbits,_ZN7rocprim17ROCPRIM_400000_NS6detail17trampoline_kernelINS0_14default_configENS1_25transform_config_selectorIlLb0EEEZNS1_14transform_implILb0ES3_S5_NS0_18transform_iteratorINS0_17counting_iteratorImlEEZNS1_24adjacent_difference_implIS3_Lb1ELb0EPlSB_ZN2at6native12_GLOBAL__N_124unique_dim_cuda_templateIaEESt5tupleIJNSC_6TensorESH_SH_EERKSH_lbbbEUlllE1_EE10hipError_tPvRmT2_T3_mT4_P12ihipStream_tbEUlmE_lEESB_NS0_8identityIvEEEESM_SP_SQ_mSR_ST_bEUlT_E_NS1_11comp_targetILNS1_3genE3ELNS1_11target_archE908ELNS1_3gpuE7ELNS1_3repE0EEENS1_30default_config_static_selectorELNS0_4arch9wavefront6targetE1EEEvT1_,comdat
.Lfunc_end307:
	.size	_ZN7rocprim17ROCPRIM_400000_NS6detail17trampoline_kernelINS0_14default_configENS1_25transform_config_selectorIlLb0EEEZNS1_14transform_implILb0ES3_S5_NS0_18transform_iteratorINS0_17counting_iteratorImlEEZNS1_24adjacent_difference_implIS3_Lb1ELb0EPlSB_ZN2at6native12_GLOBAL__N_124unique_dim_cuda_templateIaEESt5tupleIJNSC_6TensorESH_SH_EERKSH_lbbbEUlllE1_EE10hipError_tPvRmT2_T3_mT4_P12ihipStream_tbEUlmE_lEESB_NS0_8identityIvEEEESM_SP_SQ_mSR_ST_bEUlT_E_NS1_11comp_targetILNS1_3genE3ELNS1_11target_archE908ELNS1_3gpuE7ELNS1_3repE0EEENS1_30default_config_static_selectorELNS0_4arch9wavefront6targetE1EEEvT1_, .Lfunc_end307-_ZN7rocprim17ROCPRIM_400000_NS6detail17trampoline_kernelINS0_14default_configENS1_25transform_config_selectorIlLb0EEEZNS1_14transform_implILb0ES3_S5_NS0_18transform_iteratorINS0_17counting_iteratorImlEEZNS1_24adjacent_difference_implIS3_Lb1ELb0EPlSB_ZN2at6native12_GLOBAL__N_124unique_dim_cuda_templateIaEESt5tupleIJNSC_6TensorESH_SH_EERKSH_lbbbEUlllE1_EE10hipError_tPvRmT2_T3_mT4_P12ihipStream_tbEUlmE_lEESB_NS0_8identityIvEEEESM_SP_SQ_mSR_ST_bEUlT_E_NS1_11comp_targetILNS1_3genE3ELNS1_11target_archE908ELNS1_3gpuE7ELNS1_3repE0EEENS1_30default_config_static_selectorELNS0_4arch9wavefront6targetE1EEEvT1_
                                        ; -- End function
	.section	.AMDGPU.csdata,"",@progbits
; Kernel info:
; codeLenInByte = 0
; NumSgprs: 6
; NumVgprs: 0
; NumAgprs: 0
; TotalNumVgprs: 0
; ScratchSize: 0
; MemoryBound: 0
; FloatMode: 240
; IeeeMode: 1
; LDSByteSize: 0 bytes/workgroup (compile time only)
; SGPRBlocks: 0
; VGPRBlocks: 0
; NumSGPRsForWavesPerEU: 6
; NumVGPRsForWavesPerEU: 1
; AccumOffset: 4
; Occupancy: 8
; WaveLimiterHint : 0
; COMPUTE_PGM_RSRC2:SCRATCH_EN: 0
; COMPUTE_PGM_RSRC2:USER_SGPR: 2
; COMPUTE_PGM_RSRC2:TRAP_HANDLER: 0
; COMPUTE_PGM_RSRC2:TGID_X_EN: 1
; COMPUTE_PGM_RSRC2:TGID_Y_EN: 0
; COMPUTE_PGM_RSRC2:TGID_Z_EN: 0
; COMPUTE_PGM_RSRC2:TIDIG_COMP_CNT: 0
; COMPUTE_PGM_RSRC3_GFX90A:ACCUM_OFFSET: 0
; COMPUTE_PGM_RSRC3_GFX90A:TG_SPLIT: 0
	.section	.text._ZN7rocprim17ROCPRIM_400000_NS6detail17trampoline_kernelINS0_14default_configENS1_25transform_config_selectorIlLb0EEEZNS1_14transform_implILb0ES3_S5_NS0_18transform_iteratorINS0_17counting_iteratorImlEEZNS1_24adjacent_difference_implIS3_Lb1ELb0EPlSB_ZN2at6native12_GLOBAL__N_124unique_dim_cuda_templateIaEESt5tupleIJNSC_6TensorESH_SH_EERKSH_lbbbEUlllE1_EE10hipError_tPvRmT2_T3_mT4_P12ihipStream_tbEUlmE_lEESB_NS0_8identityIvEEEESM_SP_SQ_mSR_ST_bEUlT_E_NS1_11comp_targetILNS1_3genE2ELNS1_11target_archE906ELNS1_3gpuE6ELNS1_3repE0EEENS1_30default_config_static_selectorELNS0_4arch9wavefront6targetE1EEEvT1_,"axG",@progbits,_ZN7rocprim17ROCPRIM_400000_NS6detail17trampoline_kernelINS0_14default_configENS1_25transform_config_selectorIlLb0EEEZNS1_14transform_implILb0ES3_S5_NS0_18transform_iteratorINS0_17counting_iteratorImlEEZNS1_24adjacent_difference_implIS3_Lb1ELb0EPlSB_ZN2at6native12_GLOBAL__N_124unique_dim_cuda_templateIaEESt5tupleIJNSC_6TensorESH_SH_EERKSH_lbbbEUlllE1_EE10hipError_tPvRmT2_T3_mT4_P12ihipStream_tbEUlmE_lEESB_NS0_8identityIvEEEESM_SP_SQ_mSR_ST_bEUlT_E_NS1_11comp_targetILNS1_3genE2ELNS1_11target_archE906ELNS1_3gpuE6ELNS1_3repE0EEENS1_30default_config_static_selectorELNS0_4arch9wavefront6targetE1EEEvT1_,comdat
	.globl	_ZN7rocprim17ROCPRIM_400000_NS6detail17trampoline_kernelINS0_14default_configENS1_25transform_config_selectorIlLb0EEEZNS1_14transform_implILb0ES3_S5_NS0_18transform_iteratorINS0_17counting_iteratorImlEEZNS1_24adjacent_difference_implIS3_Lb1ELb0EPlSB_ZN2at6native12_GLOBAL__N_124unique_dim_cuda_templateIaEESt5tupleIJNSC_6TensorESH_SH_EERKSH_lbbbEUlllE1_EE10hipError_tPvRmT2_T3_mT4_P12ihipStream_tbEUlmE_lEESB_NS0_8identityIvEEEESM_SP_SQ_mSR_ST_bEUlT_E_NS1_11comp_targetILNS1_3genE2ELNS1_11target_archE906ELNS1_3gpuE6ELNS1_3repE0EEENS1_30default_config_static_selectorELNS0_4arch9wavefront6targetE1EEEvT1_ ; -- Begin function _ZN7rocprim17ROCPRIM_400000_NS6detail17trampoline_kernelINS0_14default_configENS1_25transform_config_selectorIlLb0EEEZNS1_14transform_implILb0ES3_S5_NS0_18transform_iteratorINS0_17counting_iteratorImlEEZNS1_24adjacent_difference_implIS3_Lb1ELb0EPlSB_ZN2at6native12_GLOBAL__N_124unique_dim_cuda_templateIaEESt5tupleIJNSC_6TensorESH_SH_EERKSH_lbbbEUlllE1_EE10hipError_tPvRmT2_T3_mT4_P12ihipStream_tbEUlmE_lEESB_NS0_8identityIvEEEESM_SP_SQ_mSR_ST_bEUlT_E_NS1_11comp_targetILNS1_3genE2ELNS1_11target_archE906ELNS1_3gpuE6ELNS1_3repE0EEENS1_30default_config_static_selectorELNS0_4arch9wavefront6targetE1EEEvT1_
	.p2align	8
	.type	_ZN7rocprim17ROCPRIM_400000_NS6detail17trampoline_kernelINS0_14default_configENS1_25transform_config_selectorIlLb0EEEZNS1_14transform_implILb0ES3_S5_NS0_18transform_iteratorINS0_17counting_iteratorImlEEZNS1_24adjacent_difference_implIS3_Lb1ELb0EPlSB_ZN2at6native12_GLOBAL__N_124unique_dim_cuda_templateIaEESt5tupleIJNSC_6TensorESH_SH_EERKSH_lbbbEUlllE1_EE10hipError_tPvRmT2_T3_mT4_P12ihipStream_tbEUlmE_lEESB_NS0_8identityIvEEEESM_SP_SQ_mSR_ST_bEUlT_E_NS1_11comp_targetILNS1_3genE2ELNS1_11target_archE906ELNS1_3gpuE6ELNS1_3repE0EEENS1_30default_config_static_selectorELNS0_4arch9wavefront6targetE1EEEvT1_,@function
_ZN7rocprim17ROCPRIM_400000_NS6detail17trampoline_kernelINS0_14default_configENS1_25transform_config_selectorIlLb0EEEZNS1_14transform_implILb0ES3_S5_NS0_18transform_iteratorINS0_17counting_iteratorImlEEZNS1_24adjacent_difference_implIS3_Lb1ELb0EPlSB_ZN2at6native12_GLOBAL__N_124unique_dim_cuda_templateIaEESt5tupleIJNSC_6TensorESH_SH_EERKSH_lbbbEUlllE1_EE10hipError_tPvRmT2_T3_mT4_P12ihipStream_tbEUlmE_lEESB_NS0_8identityIvEEEESM_SP_SQ_mSR_ST_bEUlT_E_NS1_11comp_targetILNS1_3genE2ELNS1_11target_archE906ELNS1_3gpuE6ELNS1_3repE0EEENS1_30default_config_static_selectorELNS0_4arch9wavefront6targetE1EEEvT1_: ; @_ZN7rocprim17ROCPRIM_400000_NS6detail17trampoline_kernelINS0_14default_configENS1_25transform_config_selectorIlLb0EEEZNS1_14transform_implILb0ES3_S5_NS0_18transform_iteratorINS0_17counting_iteratorImlEEZNS1_24adjacent_difference_implIS3_Lb1ELb0EPlSB_ZN2at6native12_GLOBAL__N_124unique_dim_cuda_templateIaEESt5tupleIJNSC_6TensorESH_SH_EERKSH_lbbbEUlllE1_EE10hipError_tPvRmT2_T3_mT4_P12ihipStream_tbEUlmE_lEESB_NS0_8identityIvEEEESM_SP_SQ_mSR_ST_bEUlT_E_NS1_11comp_targetILNS1_3genE2ELNS1_11target_archE906ELNS1_3gpuE6ELNS1_3repE0EEENS1_30default_config_static_selectorELNS0_4arch9wavefront6targetE1EEEvT1_
; %bb.0:
	.section	.rodata,"a",@progbits
	.p2align	6, 0x0
	.amdhsa_kernel _ZN7rocprim17ROCPRIM_400000_NS6detail17trampoline_kernelINS0_14default_configENS1_25transform_config_selectorIlLb0EEEZNS1_14transform_implILb0ES3_S5_NS0_18transform_iteratorINS0_17counting_iteratorImlEEZNS1_24adjacent_difference_implIS3_Lb1ELb0EPlSB_ZN2at6native12_GLOBAL__N_124unique_dim_cuda_templateIaEESt5tupleIJNSC_6TensorESH_SH_EERKSH_lbbbEUlllE1_EE10hipError_tPvRmT2_T3_mT4_P12ihipStream_tbEUlmE_lEESB_NS0_8identityIvEEEESM_SP_SQ_mSR_ST_bEUlT_E_NS1_11comp_targetILNS1_3genE2ELNS1_11target_archE906ELNS1_3gpuE6ELNS1_3repE0EEENS1_30default_config_static_selectorELNS0_4arch9wavefront6targetE1EEEvT1_
		.amdhsa_group_segment_fixed_size 0
		.amdhsa_private_segment_fixed_size 0
		.amdhsa_kernarg_size 56
		.amdhsa_user_sgpr_count 2
		.amdhsa_user_sgpr_dispatch_ptr 0
		.amdhsa_user_sgpr_queue_ptr 0
		.amdhsa_user_sgpr_kernarg_segment_ptr 1
		.amdhsa_user_sgpr_dispatch_id 0
		.amdhsa_user_sgpr_kernarg_preload_length 0
		.amdhsa_user_sgpr_kernarg_preload_offset 0
		.amdhsa_user_sgpr_private_segment_size 0
		.amdhsa_uses_dynamic_stack 0
		.amdhsa_enable_private_segment 0
		.amdhsa_system_sgpr_workgroup_id_x 1
		.amdhsa_system_sgpr_workgroup_id_y 0
		.amdhsa_system_sgpr_workgroup_id_z 0
		.amdhsa_system_sgpr_workgroup_info 0
		.amdhsa_system_vgpr_workitem_id 0
		.amdhsa_next_free_vgpr 1
		.amdhsa_next_free_sgpr 0
		.amdhsa_accum_offset 4
		.amdhsa_reserve_vcc 0
		.amdhsa_float_round_mode_32 0
		.amdhsa_float_round_mode_16_64 0
		.amdhsa_float_denorm_mode_32 3
		.amdhsa_float_denorm_mode_16_64 3
		.amdhsa_dx10_clamp 1
		.amdhsa_ieee_mode 1
		.amdhsa_fp16_overflow 0
		.amdhsa_tg_split 0
		.amdhsa_exception_fp_ieee_invalid_op 0
		.amdhsa_exception_fp_denorm_src 0
		.amdhsa_exception_fp_ieee_div_zero 0
		.amdhsa_exception_fp_ieee_overflow 0
		.amdhsa_exception_fp_ieee_underflow 0
		.amdhsa_exception_fp_ieee_inexact 0
		.amdhsa_exception_int_div_zero 0
	.end_amdhsa_kernel
	.section	.text._ZN7rocprim17ROCPRIM_400000_NS6detail17trampoline_kernelINS0_14default_configENS1_25transform_config_selectorIlLb0EEEZNS1_14transform_implILb0ES3_S5_NS0_18transform_iteratorINS0_17counting_iteratorImlEEZNS1_24adjacent_difference_implIS3_Lb1ELb0EPlSB_ZN2at6native12_GLOBAL__N_124unique_dim_cuda_templateIaEESt5tupleIJNSC_6TensorESH_SH_EERKSH_lbbbEUlllE1_EE10hipError_tPvRmT2_T3_mT4_P12ihipStream_tbEUlmE_lEESB_NS0_8identityIvEEEESM_SP_SQ_mSR_ST_bEUlT_E_NS1_11comp_targetILNS1_3genE2ELNS1_11target_archE906ELNS1_3gpuE6ELNS1_3repE0EEENS1_30default_config_static_selectorELNS0_4arch9wavefront6targetE1EEEvT1_,"axG",@progbits,_ZN7rocprim17ROCPRIM_400000_NS6detail17trampoline_kernelINS0_14default_configENS1_25transform_config_selectorIlLb0EEEZNS1_14transform_implILb0ES3_S5_NS0_18transform_iteratorINS0_17counting_iteratorImlEEZNS1_24adjacent_difference_implIS3_Lb1ELb0EPlSB_ZN2at6native12_GLOBAL__N_124unique_dim_cuda_templateIaEESt5tupleIJNSC_6TensorESH_SH_EERKSH_lbbbEUlllE1_EE10hipError_tPvRmT2_T3_mT4_P12ihipStream_tbEUlmE_lEESB_NS0_8identityIvEEEESM_SP_SQ_mSR_ST_bEUlT_E_NS1_11comp_targetILNS1_3genE2ELNS1_11target_archE906ELNS1_3gpuE6ELNS1_3repE0EEENS1_30default_config_static_selectorELNS0_4arch9wavefront6targetE1EEEvT1_,comdat
.Lfunc_end308:
	.size	_ZN7rocprim17ROCPRIM_400000_NS6detail17trampoline_kernelINS0_14default_configENS1_25transform_config_selectorIlLb0EEEZNS1_14transform_implILb0ES3_S5_NS0_18transform_iteratorINS0_17counting_iteratorImlEEZNS1_24adjacent_difference_implIS3_Lb1ELb0EPlSB_ZN2at6native12_GLOBAL__N_124unique_dim_cuda_templateIaEESt5tupleIJNSC_6TensorESH_SH_EERKSH_lbbbEUlllE1_EE10hipError_tPvRmT2_T3_mT4_P12ihipStream_tbEUlmE_lEESB_NS0_8identityIvEEEESM_SP_SQ_mSR_ST_bEUlT_E_NS1_11comp_targetILNS1_3genE2ELNS1_11target_archE906ELNS1_3gpuE6ELNS1_3repE0EEENS1_30default_config_static_selectorELNS0_4arch9wavefront6targetE1EEEvT1_, .Lfunc_end308-_ZN7rocprim17ROCPRIM_400000_NS6detail17trampoline_kernelINS0_14default_configENS1_25transform_config_selectorIlLb0EEEZNS1_14transform_implILb0ES3_S5_NS0_18transform_iteratorINS0_17counting_iteratorImlEEZNS1_24adjacent_difference_implIS3_Lb1ELb0EPlSB_ZN2at6native12_GLOBAL__N_124unique_dim_cuda_templateIaEESt5tupleIJNSC_6TensorESH_SH_EERKSH_lbbbEUlllE1_EE10hipError_tPvRmT2_T3_mT4_P12ihipStream_tbEUlmE_lEESB_NS0_8identityIvEEEESM_SP_SQ_mSR_ST_bEUlT_E_NS1_11comp_targetILNS1_3genE2ELNS1_11target_archE906ELNS1_3gpuE6ELNS1_3repE0EEENS1_30default_config_static_selectorELNS0_4arch9wavefront6targetE1EEEvT1_
                                        ; -- End function
	.section	.AMDGPU.csdata,"",@progbits
; Kernel info:
; codeLenInByte = 0
; NumSgprs: 6
; NumVgprs: 0
; NumAgprs: 0
; TotalNumVgprs: 0
; ScratchSize: 0
; MemoryBound: 0
; FloatMode: 240
; IeeeMode: 1
; LDSByteSize: 0 bytes/workgroup (compile time only)
; SGPRBlocks: 0
; VGPRBlocks: 0
; NumSGPRsForWavesPerEU: 6
; NumVGPRsForWavesPerEU: 1
; AccumOffset: 4
; Occupancy: 8
; WaveLimiterHint : 0
; COMPUTE_PGM_RSRC2:SCRATCH_EN: 0
; COMPUTE_PGM_RSRC2:USER_SGPR: 2
; COMPUTE_PGM_RSRC2:TRAP_HANDLER: 0
; COMPUTE_PGM_RSRC2:TGID_X_EN: 1
; COMPUTE_PGM_RSRC2:TGID_Y_EN: 0
; COMPUTE_PGM_RSRC2:TGID_Z_EN: 0
; COMPUTE_PGM_RSRC2:TIDIG_COMP_CNT: 0
; COMPUTE_PGM_RSRC3_GFX90A:ACCUM_OFFSET: 0
; COMPUTE_PGM_RSRC3_GFX90A:TG_SPLIT: 0
	.section	.text._ZN7rocprim17ROCPRIM_400000_NS6detail17trampoline_kernelINS0_14default_configENS1_25transform_config_selectorIlLb0EEEZNS1_14transform_implILb0ES3_S5_NS0_18transform_iteratorINS0_17counting_iteratorImlEEZNS1_24adjacent_difference_implIS3_Lb1ELb0EPlSB_ZN2at6native12_GLOBAL__N_124unique_dim_cuda_templateIaEESt5tupleIJNSC_6TensorESH_SH_EERKSH_lbbbEUlllE1_EE10hipError_tPvRmT2_T3_mT4_P12ihipStream_tbEUlmE_lEESB_NS0_8identityIvEEEESM_SP_SQ_mSR_ST_bEUlT_E_NS1_11comp_targetILNS1_3genE10ELNS1_11target_archE1201ELNS1_3gpuE5ELNS1_3repE0EEENS1_30default_config_static_selectorELNS0_4arch9wavefront6targetE1EEEvT1_,"axG",@progbits,_ZN7rocprim17ROCPRIM_400000_NS6detail17trampoline_kernelINS0_14default_configENS1_25transform_config_selectorIlLb0EEEZNS1_14transform_implILb0ES3_S5_NS0_18transform_iteratorINS0_17counting_iteratorImlEEZNS1_24adjacent_difference_implIS3_Lb1ELb0EPlSB_ZN2at6native12_GLOBAL__N_124unique_dim_cuda_templateIaEESt5tupleIJNSC_6TensorESH_SH_EERKSH_lbbbEUlllE1_EE10hipError_tPvRmT2_T3_mT4_P12ihipStream_tbEUlmE_lEESB_NS0_8identityIvEEEESM_SP_SQ_mSR_ST_bEUlT_E_NS1_11comp_targetILNS1_3genE10ELNS1_11target_archE1201ELNS1_3gpuE5ELNS1_3repE0EEENS1_30default_config_static_selectorELNS0_4arch9wavefront6targetE1EEEvT1_,comdat
	.globl	_ZN7rocprim17ROCPRIM_400000_NS6detail17trampoline_kernelINS0_14default_configENS1_25transform_config_selectorIlLb0EEEZNS1_14transform_implILb0ES3_S5_NS0_18transform_iteratorINS0_17counting_iteratorImlEEZNS1_24adjacent_difference_implIS3_Lb1ELb0EPlSB_ZN2at6native12_GLOBAL__N_124unique_dim_cuda_templateIaEESt5tupleIJNSC_6TensorESH_SH_EERKSH_lbbbEUlllE1_EE10hipError_tPvRmT2_T3_mT4_P12ihipStream_tbEUlmE_lEESB_NS0_8identityIvEEEESM_SP_SQ_mSR_ST_bEUlT_E_NS1_11comp_targetILNS1_3genE10ELNS1_11target_archE1201ELNS1_3gpuE5ELNS1_3repE0EEENS1_30default_config_static_selectorELNS0_4arch9wavefront6targetE1EEEvT1_ ; -- Begin function _ZN7rocprim17ROCPRIM_400000_NS6detail17trampoline_kernelINS0_14default_configENS1_25transform_config_selectorIlLb0EEEZNS1_14transform_implILb0ES3_S5_NS0_18transform_iteratorINS0_17counting_iteratorImlEEZNS1_24adjacent_difference_implIS3_Lb1ELb0EPlSB_ZN2at6native12_GLOBAL__N_124unique_dim_cuda_templateIaEESt5tupleIJNSC_6TensorESH_SH_EERKSH_lbbbEUlllE1_EE10hipError_tPvRmT2_T3_mT4_P12ihipStream_tbEUlmE_lEESB_NS0_8identityIvEEEESM_SP_SQ_mSR_ST_bEUlT_E_NS1_11comp_targetILNS1_3genE10ELNS1_11target_archE1201ELNS1_3gpuE5ELNS1_3repE0EEENS1_30default_config_static_selectorELNS0_4arch9wavefront6targetE1EEEvT1_
	.p2align	8
	.type	_ZN7rocprim17ROCPRIM_400000_NS6detail17trampoline_kernelINS0_14default_configENS1_25transform_config_selectorIlLb0EEEZNS1_14transform_implILb0ES3_S5_NS0_18transform_iteratorINS0_17counting_iteratorImlEEZNS1_24adjacent_difference_implIS3_Lb1ELb0EPlSB_ZN2at6native12_GLOBAL__N_124unique_dim_cuda_templateIaEESt5tupleIJNSC_6TensorESH_SH_EERKSH_lbbbEUlllE1_EE10hipError_tPvRmT2_T3_mT4_P12ihipStream_tbEUlmE_lEESB_NS0_8identityIvEEEESM_SP_SQ_mSR_ST_bEUlT_E_NS1_11comp_targetILNS1_3genE10ELNS1_11target_archE1201ELNS1_3gpuE5ELNS1_3repE0EEENS1_30default_config_static_selectorELNS0_4arch9wavefront6targetE1EEEvT1_,@function
_ZN7rocprim17ROCPRIM_400000_NS6detail17trampoline_kernelINS0_14default_configENS1_25transform_config_selectorIlLb0EEEZNS1_14transform_implILb0ES3_S5_NS0_18transform_iteratorINS0_17counting_iteratorImlEEZNS1_24adjacent_difference_implIS3_Lb1ELb0EPlSB_ZN2at6native12_GLOBAL__N_124unique_dim_cuda_templateIaEESt5tupleIJNSC_6TensorESH_SH_EERKSH_lbbbEUlllE1_EE10hipError_tPvRmT2_T3_mT4_P12ihipStream_tbEUlmE_lEESB_NS0_8identityIvEEEESM_SP_SQ_mSR_ST_bEUlT_E_NS1_11comp_targetILNS1_3genE10ELNS1_11target_archE1201ELNS1_3gpuE5ELNS1_3repE0EEENS1_30default_config_static_selectorELNS0_4arch9wavefront6targetE1EEEvT1_: ; @_ZN7rocprim17ROCPRIM_400000_NS6detail17trampoline_kernelINS0_14default_configENS1_25transform_config_selectorIlLb0EEEZNS1_14transform_implILb0ES3_S5_NS0_18transform_iteratorINS0_17counting_iteratorImlEEZNS1_24adjacent_difference_implIS3_Lb1ELb0EPlSB_ZN2at6native12_GLOBAL__N_124unique_dim_cuda_templateIaEESt5tupleIJNSC_6TensorESH_SH_EERKSH_lbbbEUlllE1_EE10hipError_tPvRmT2_T3_mT4_P12ihipStream_tbEUlmE_lEESB_NS0_8identityIvEEEESM_SP_SQ_mSR_ST_bEUlT_E_NS1_11comp_targetILNS1_3genE10ELNS1_11target_archE1201ELNS1_3gpuE5ELNS1_3repE0EEENS1_30default_config_static_selectorELNS0_4arch9wavefront6targetE1EEEvT1_
; %bb.0:
	.section	.rodata,"a",@progbits
	.p2align	6, 0x0
	.amdhsa_kernel _ZN7rocprim17ROCPRIM_400000_NS6detail17trampoline_kernelINS0_14default_configENS1_25transform_config_selectorIlLb0EEEZNS1_14transform_implILb0ES3_S5_NS0_18transform_iteratorINS0_17counting_iteratorImlEEZNS1_24adjacent_difference_implIS3_Lb1ELb0EPlSB_ZN2at6native12_GLOBAL__N_124unique_dim_cuda_templateIaEESt5tupleIJNSC_6TensorESH_SH_EERKSH_lbbbEUlllE1_EE10hipError_tPvRmT2_T3_mT4_P12ihipStream_tbEUlmE_lEESB_NS0_8identityIvEEEESM_SP_SQ_mSR_ST_bEUlT_E_NS1_11comp_targetILNS1_3genE10ELNS1_11target_archE1201ELNS1_3gpuE5ELNS1_3repE0EEENS1_30default_config_static_selectorELNS0_4arch9wavefront6targetE1EEEvT1_
		.amdhsa_group_segment_fixed_size 0
		.amdhsa_private_segment_fixed_size 0
		.amdhsa_kernarg_size 56
		.amdhsa_user_sgpr_count 2
		.amdhsa_user_sgpr_dispatch_ptr 0
		.amdhsa_user_sgpr_queue_ptr 0
		.amdhsa_user_sgpr_kernarg_segment_ptr 1
		.amdhsa_user_sgpr_dispatch_id 0
		.amdhsa_user_sgpr_kernarg_preload_length 0
		.amdhsa_user_sgpr_kernarg_preload_offset 0
		.amdhsa_user_sgpr_private_segment_size 0
		.amdhsa_uses_dynamic_stack 0
		.amdhsa_enable_private_segment 0
		.amdhsa_system_sgpr_workgroup_id_x 1
		.amdhsa_system_sgpr_workgroup_id_y 0
		.amdhsa_system_sgpr_workgroup_id_z 0
		.amdhsa_system_sgpr_workgroup_info 0
		.amdhsa_system_vgpr_workitem_id 0
		.amdhsa_next_free_vgpr 1
		.amdhsa_next_free_sgpr 0
		.amdhsa_accum_offset 4
		.amdhsa_reserve_vcc 0
		.amdhsa_float_round_mode_32 0
		.amdhsa_float_round_mode_16_64 0
		.amdhsa_float_denorm_mode_32 3
		.amdhsa_float_denorm_mode_16_64 3
		.amdhsa_dx10_clamp 1
		.amdhsa_ieee_mode 1
		.amdhsa_fp16_overflow 0
		.amdhsa_tg_split 0
		.amdhsa_exception_fp_ieee_invalid_op 0
		.amdhsa_exception_fp_denorm_src 0
		.amdhsa_exception_fp_ieee_div_zero 0
		.amdhsa_exception_fp_ieee_overflow 0
		.amdhsa_exception_fp_ieee_underflow 0
		.amdhsa_exception_fp_ieee_inexact 0
		.amdhsa_exception_int_div_zero 0
	.end_amdhsa_kernel
	.section	.text._ZN7rocprim17ROCPRIM_400000_NS6detail17trampoline_kernelINS0_14default_configENS1_25transform_config_selectorIlLb0EEEZNS1_14transform_implILb0ES3_S5_NS0_18transform_iteratorINS0_17counting_iteratorImlEEZNS1_24adjacent_difference_implIS3_Lb1ELb0EPlSB_ZN2at6native12_GLOBAL__N_124unique_dim_cuda_templateIaEESt5tupleIJNSC_6TensorESH_SH_EERKSH_lbbbEUlllE1_EE10hipError_tPvRmT2_T3_mT4_P12ihipStream_tbEUlmE_lEESB_NS0_8identityIvEEEESM_SP_SQ_mSR_ST_bEUlT_E_NS1_11comp_targetILNS1_3genE10ELNS1_11target_archE1201ELNS1_3gpuE5ELNS1_3repE0EEENS1_30default_config_static_selectorELNS0_4arch9wavefront6targetE1EEEvT1_,"axG",@progbits,_ZN7rocprim17ROCPRIM_400000_NS6detail17trampoline_kernelINS0_14default_configENS1_25transform_config_selectorIlLb0EEEZNS1_14transform_implILb0ES3_S5_NS0_18transform_iteratorINS0_17counting_iteratorImlEEZNS1_24adjacent_difference_implIS3_Lb1ELb0EPlSB_ZN2at6native12_GLOBAL__N_124unique_dim_cuda_templateIaEESt5tupleIJNSC_6TensorESH_SH_EERKSH_lbbbEUlllE1_EE10hipError_tPvRmT2_T3_mT4_P12ihipStream_tbEUlmE_lEESB_NS0_8identityIvEEEESM_SP_SQ_mSR_ST_bEUlT_E_NS1_11comp_targetILNS1_3genE10ELNS1_11target_archE1201ELNS1_3gpuE5ELNS1_3repE0EEENS1_30default_config_static_selectorELNS0_4arch9wavefront6targetE1EEEvT1_,comdat
.Lfunc_end309:
	.size	_ZN7rocprim17ROCPRIM_400000_NS6detail17trampoline_kernelINS0_14default_configENS1_25transform_config_selectorIlLb0EEEZNS1_14transform_implILb0ES3_S5_NS0_18transform_iteratorINS0_17counting_iteratorImlEEZNS1_24adjacent_difference_implIS3_Lb1ELb0EPlSB_ZN2at6native12_GLOBAL__N_124unique_dim_cuda_templateIaEESt5tupleIJNSC_6TensorESH_SH_EERKSH_lbbbEUlllE1_EE10hipError_tPvRmT2_T3_mT4_P12ihipStream_tbEUlmE_lEESB_NS0_8identityIvEEEESM_SP_SQ_mSR_ST_bEUlT_E_NS1_11comp_targetILNS1_3genE10ELNS1_11target_archE1201ELNS1_3gpuE5ELNS1_3repE0EEENS1_30default_config_static_selectorELNS0_4arch9wavefront6targetE1EEEvT1_, .Lfunc_end309-_ZN7rocprim17ROCPRIM_400000_NS6detail17trampoline_kernelINS0_14default_configENS1_25transform_config_selectorIlLb0EEEZNS1_14transform_implILb0ES3_S5_NS0_18transform_iteratorINS0_17counting_iteratorImlEEZNS1_24adjacent_difference_implIS3_Lb1ELb0EPlSB_ZN2at6native12_GLOBAL__N_124unique_dim_cuda_templateIaEESt5tupleIJNSC_6TensorESH_SH_EERKSH_lbbbEUlllE1_EE10hipError_tPvRmT2_T3_mT4_P12ihipStream_tbEUlmE_lEESB_NS0_8identityIvEEEESM_SP_SQ_mSR_ST_bEUlT_E_NS1_11comp_targetILNS1_3genE10ELNS1_11target_archE1201ELNS1_3gpuE5ELNS1_3repE0EEENS1_30default_config_static_selectorELNS0_4arch9wavefront6targetE1EEEvT1_
                                        ; -- End function
	.section	.AMDGPU.csdata,"",@progbits
; Kernel info:
; codeLenInByte = 0
; NumSgprs: 6
; NumVgprs: 0
; NumAgprs: 0
; TotalNumVgprs: 0
; ScratchSize: 0
; MemoryBound: 0
; FloatMode: 240
; IeeeMode: 1
; LDSByteSize: 0 bytes/workgroup (compile time only)
; SGPRBlocks: 0
; VGPRBlocks: 0
; NumSGPRsForWavesPerEU: 6
; NumVGPRsForWavesPerEU: 1
; AccumOffset: 4
; Occupancy: 8
; WaveLimiterHint : 0
; COMPUTE_PGM_RSRC2:SCRATCH_EN: 0
; COMPUTE_PGM_RSRC2:USER_SGPR: 2
; COMPUTE_PGM_RSRC2:TRAP_HANDLER: 0
; COMPUTE_PGM_RSRC2:TGID_X_EN: 1
; COMPUTE_PGM_RSRC2:TGID_Y_EN: 0
; COMPUTE_PGM_RSRC2:TGID_Z_EN: 0
; COMPUTE_PGM_RSRC2:TIDIG_COMP_CNT: 0
; COMPUTE_PGM_RSRC3_GFX90A:ACCUM_OFFSET: 0
; COMPUTE_PGM_RSRC3_GFX90A:TG_SPLIT: 0
	.section	.text._ZN7rocprim17ROCPRIM_400000_NS6detail17trampoline_kernelINS0_14default_configENS1_25transform_config_selectorIlLb0EEEZNS1_14transform_implILb0ES3_S5_NS0_18transform_iteratorINS0_17counting_iteratorImlEEZNS1_24adjacent_difference_implIS3_Lb1ELb0EPlSB_ZN2at6native12_GLOBAL__N_124unique_dim_cuda_templateIaEESt5tupleIJNSC_6TensorESH_SH_EERKSH_lbbbEUlllE1_EE10hipError_tPvRmT2_T3_mT4_P12ihipStream_tbEUlmE_lEESB_NS0_8identityIvEEEESM_SP_SQ_mSR_ST_bEUlT_E_NS1_11comp_targetILNS1_3genE10ELNS1_11target_archE1200ELNS1_3gpuE4ELNS1_3repE0EEENS1_30default_config_static_selectorELNS0_4arch9wavefront6targetE1EEEvT1_,"axG",@progbits,_ZN7rocprim17ROCPRIM_400000_NS6detail17trampoline_kernelINS0_14default_configENS1_25transform_config_selectorIlLb0EEEZNS1_14transform_implILb0ES3_S5_NS0_18transform_iteratorINS0_17counting_iteratorImlEEZNS1_24adjacent_difference_implIS3_Lb1ELb0EPlSB_ZN2at6native12_GLOBAL__N_124unique_dim_cuda_templateIaEESt5tupleIJNSC_6TensorESH_SH_EERKSH_lbbbEUlllE1_EE10hipError_tPvRmT2_T3_mT4_P12ihipStream_tbEUlmE_lEESB_NS0_8identityIvEEEESM_SP_SQ_mSR_ST_bEUlT_E_NS1_11comp_targetILNS1_3genE10ELNS1_11target_archE1200ELNS1_3gpuE4ELNS1_3repE0EEENS1_30default_config_static_selectorELNS0_4arch9wavefront6targetE1EEEvT1_,comdat
	.globl	_ZN7rocprim17ROCPRIM_400000_NS6detail17trampoline_kernelINS0_14default_configENS1_25transform_config_selectorIlLb0EEEZNS1_14transform_implILb0ES3_S5_NS0_18transform_iteratorINS0_17counting_iteratorImlEEZNS1_24adjacent_difference_implIS3_Lb1ELb0EPlSB_ZN2at6native12_GLOBAL__N_124unique_dim_cuda_templateIaEESt5tupleIJNSC_6TensorESH_SH_EERKSH_lbbbEUlllE1_EE10hipError_tPvRmT2_T3_mT4_P12ihipStream_tbEUlmE_lEESB_NS0_8identityIvEEEESM_SP_SQ_mSR_ST_bEUlT_E_NS1_11comp_targetILNS1_3genE10ELNS1_11target_archE1200ELNS1_3gpuE4ELNS1_3repE0EEENS1_30default_config_static_selectorELNS0_4arch9wavefront6targetE1EEEvT1_ ; -- Begin function _ZN7rocprim17ROCPRIM_400000_NS6detail17trampoline_kernelINS0_14default_configENS1_25transform_config_selectorIlLb0EEEZNS1_14transform_implILb0ES3_S5_NS0_18transform_iteratorINS0_17counting_iteratorImlEEZNS1_24adjacent_difference_implIS3_Lb1ELb0EPlSB_ZN2at6native12_GLOBAL__N_124unique_dim_cuda_templateIaEESt5tupleIJNSC_6TensorESH_SH_EERKSH_lbbbEUlllE1_EE10hipError_tPvRmT2_T3_mT4_P12ihipStream_tbEUlmE_lEESB_NS0_8identityIvEEEESM_SP_SQ_mSR_ST_bEUlT_E_NS1_11comp_targetILNS1_3genE10ELNS1_11target_archE1200ELNS1_3gpuE4ELNS1_3repE0EEENS1_30default_config_static_selectorELNS0_4arch9wavefront6targetE1EEEvT1_
	.p2align	8
	.type	_ZN7rocprim17ROCPRIM_400000_NS6detail17trampoline_kernelINS0_14default_configENS1_25transform_config_selectorIlLb0EEEZNS1_14transform_implILb0ES3_S5_NS0_18transform_iteratorINS0_17counting_iteratorImlEEZNS1_24adjacent_difference_implIS3_Lb1ELb0EPlSB_ZN2at6native12_GLOBAL__N_124unique_dim_cuda_templateIaEESt5tupleIJNSC_6TensorESH_SH_EERKSH_lbbbEUlllE1_EE10hipError_tPvRmT2_T3_mT4_P12ihipStream_tbEUlmE_lEESB_NS0_8identityIvEEEESM_SP_SQ_mSR_ST_bEUlT_E_NS1_11comp_targetILNS1_3genE10ELNS1_11target_archE1200ELNS1_3gpuE4ELNS1_3repE0EEENS1_30default_config_static_selectorELNS0_4arch9wavefront6targetE1EEEvT1_,@function
_ZN7rocprim17ROCPRIM_400000_NS6detail17trampoline_kernelINS0_14default_configENS1_25transform_config_selectorIlLb0EEEZNS1_14transform_implILb0ES3_S5_NS0_18transform_iteratorINS0_17counting_iteratorImlEEZNS1_24adjacent_difference_implIS3_Lb1ELb0EPlSB_ZN2at6native12_GLOBAL__N_124unique_dim_cuda_templateIaEESt5tupleIJNSC_6TensorESH_SH_EERKSH_lbbbEUlllE1_EE10hipError_tPvRmT2_T3_mT4_P12ihipStream_tbEUlmE_lEESB_NS0_8identityIvEEEESM_SP_SQ_mSR_ST_bEUlT_E_NS1_11comp_targetILNS1_3genE10ELNS1_11target_archE1200ELNS1_3gpuE4ELNS1_3repE0EEENS1_30default_config_static_selectorELNS0_4arch9wavefront6targetE1EEEvT1_: ; @_ZN7rocprim17ROCPRIM_400000_NS6detail17trampoline_kernelINS0_14default_configENS1_25transform_config_selectorIlLb0EEEZNS1_14transform_implILb0ES3_S5_NS0_18transform_iteratorINS0_17counting_iteratorImlEEZNS1_24adjacent_difference_implIS3_Lb1ELb0EPlSB_ZN2at6native12_GLOBAL__N_124unique_dim_cuda_templateIaEESt5tupleIJNSC_6TensorESH_SH_EERKSH_lbbbEUlllE1_EE10hipError_tPvRmT2_T3_mT4_P12ihipStream_tbEUlmE_lEESB_NS0_8identityIvEEEESM_SP_SQ_mSR_ST_bEUlT_E_NS1_11comp_targetILNS1_3genE10ELNS1_11target_archE1200ELNS1_3gpuE4ELNS1_3repE0EEENS1_30default_config_static_selectorELNS0_4arch9wavefront6targetE1EEEvT1_
; %bb.0:
	.section	.rodata,"a",@progbits
	.p2align	6, 0x0
	.amdhsa_kernel _ZN7rocprim17ROCPRIM_400000_NS6detail17trampoline_kernelINS0_14default_configENS1_25transform_config_selectorIlLb0EEEZNS1_14transform_implILb0ES3_S5_NS0_18transform_iteratorINS0_17counting_iteratorImlEEZNS1_24adjacent_difference_implIS3_Lb1ELb0EPlSB_ZN2at6native12_GLOBAL__N_124unique_dim_cuda_templateIaEESt5tupleIJNSC_6TensorESH_SH_EERKSH_lbbbEUlllE1_EE10hipError_tPvRmT2_T3_mT4_P12ihipStream_tbEUlmE_lEESB_NS0_8identityIvEEEESM_SP_SQ_mSR_ST_bEUlT_E_NS1_11comp_targetILNS1_3genE10ELNS1_11target_archE1200ELNS1_3gpuE4ELNS1_3repE0EEENS1_30default_config_static_selectorELNS0_4arch9wavefront6targetE1EEEvT1_
		.amdhsa_group_segment_fixed_size 0
		.amdhsa_private_segment_fixed_size 0
		.amdhsa_kernarg_size 56
		.amdhsa_user_sgpr_count 2
		.amdhsa_user_sgpr_dispatch_ptr 0
		.amdhsa_user_sgpr_queue_ptr 0
		.amdhsa_user_sgpr_kernarg_segment_ptr 1
		.amdhsa_user_sgpr_dispatch_id 0
		.amdhsa_user_sgpr_kernarg_preload_length 0
		.amdhsa_user_sgpr_kernarg_preload_offset 0
		.amdhsa_user_sgpr_private_segment_size 0
		.amdhsa_uses_dynamic_stack 0
		.amdhsa_enable_private_segment 0
		.amdhsa_system_sgpr_workgroup_id_x 1
		.amdhsa_system_sgpr_workgroup_id_y 0
		.amdhsa_system_sgpr_workgroup_id_z 0
		.amdhsa_system_sgpr_workgroup_info 0
		.amdhsa_system_vgpr_workitem_id 0
		.amdhsa_next_free_vgpr 1
		.amdhsa_next_free_sgpr 0
		.amdhsa_accum_offset 4
		.amdhsa_reserve_vcc 0
		.amdhsa_float_round_mode_32 0
		.amdhsa_float_round_mode_16_64 0
		.amdhsa_float_denorm_mode_32 3
		.amdhsa_float_denorm_mode_16_64 3
		.amdhsa_dx10_clamp 1
		.amdhsa_ieee_mode 1
		.amdhsa_fp16_overflow 0
		.amdhsa_tg_split 0
		.amdhsa_exception_fp_ieee_invalid_op 0
		.amdhsa_exception_fp_denorm_src 0
		.amdhsa_exception_fp_ieee_div_zero 0
		.amdhsa_exception_fp_ieee_overflow 0
		.amdhsa_exception_fp_ieee_underflow 0
		.amdhsa_exception_fp_ieee_inexact 0
		.amdhsa_exception_int_div_zero 0
	.end_amdhsa_kernel
	.section	.text._ZN7rocprim17ROCPRIM_400000_NS6detail17trampoline_kernelINS0_14default_configENS1_25transform_config_selectorIlLb0EEEZNS1_14transform_implILb0ES3_S5_NS0_18transform_iteratorINS0_17counting_iteratorImlEEZNS1_24adjacent_difference_implIS3_Lb1ELb0EPlSB_ZN2at6native12_GLOBAL__N_124unique_dim_cuda_templateIaEESt5tupleIJNSC_6TensorESH_SH_EERKSH_lbbbEUlllE1_EE10hipError_tPvRmT2_T3_mT4_P12ihipStream_tbEUlmE_lEESB_NS0_8identityIvEEEESM_SP_SQ_mSR_ST_bEUlT_E_NS1_11comp_targetILNS1_3genE10ELNS1_11target_archE1200ELNS1_3gpuE4ELNS1_3repE0EEENS1_30default_config_static_selectorELNS0_4arch9wavefront6targetE1EEEvT1_,"axG",@progbits,_ZN7rocprim17ROCPRIM_400000_NS6detail17trampoline_kernelINS0_14default_configENS1_25transform_config_selectorIlLb0EEEZNS1_14transform_implILb0ES3_S5_NS0_18transform_iteratorINS0_17counting_iteratorImlEEZNS1_24adjacent_difference_implIS3_Lb1ELb0EPlSB_ZN2at6native12_GLOBAL__N_124unique_dim_cuda_templateIaEESt5tupleIJNSC_6TensorESH_SH_EERKSH_lbbbEUlllE1_EE10hipError_tPvRmT2_T3_mT4_P12ihipStream_tbEUlmE_lEESB_NS0_8identityIvEEEESM_SP_SQ_mSR_ST_bEUlT_E_NS1_11comp_targetILNS1_3genE10ELNS1_11target_archE1200ELNS1_3gpuE4ELNS1_3repE0EEENS1_30default_config_static_selectorELNS0_4arch9wavefront6targetE1EEEvT1_,comdat
.Lfunc_end310:
	.size	_ZN7rocprim17ROCPRIM_400000_NS6detail17trampoline_kernelINS0_14default_configENS1_25transform_config_selectorIlLb0EEEZNS1_14transform_implILb0ES3_S5_NS0_18transform_iteratorINS0_17counting_iteratorImlEEZNS1_24adjacent_difference_implIS3_Lb1ELb0EPlSB_ZN2at6native12_GLOBAL__N_124unique_dim_cuda_templateIaEESt5tupleIJNSC_6TensorESH_SH_EERKSH_lbbbEUlllE1_EE10hipError_tPvRmT2_T3_mT4_P12ihipStream_tbEUlmE_lEESB_NS0_8identityIvEEEESM_SP_SQ_mSR_ST_bEUlT_E_NS1_11comp_targetILNS1_3genE10ELNS1_11target_archE1200ELNS1_3gpuE4ELNS1_3repE0EEENS1_30default_config_static_selectorELNS0_4arch9wavefront6targetE1EEEvT1_, .Lfunc_end310-_ZN7rocprim17ROCPRIM_400000_NS6detail17trampoline_kernelINS0_14default_configENS1_25transform_config_selectorIlLb0EEEZNS1_14transform_implILb0ES3_S5_NS0_18transform_iteratorINS0_17counting_iteratorImlEEZNS1_24adjacent_difference_implIS3_Lb1ELb0EPlSB_ZN2at6native12_GLOBAL__N_124unique_dim_cuda_templateIaEESt5tupleIJNSC_6TensorESH_SH_EERKSH_lbbbEUlllE1_EE10hipError_tPvRmT2_T3_mT4_P12ihipStream_tbEUlmE_lEESB_NS0_8identityIvEEEESM_SP_SQ_mSR_ST_bEUlT_E_NS1_11comp_targetILNS1_3genE10ELNS1_11target_archE1200ELNS1_3gpuE4ELNS1_3repE0EEENS1_30default_config_static_selectorELNS0_4arch9wavefront6targetE1EEEvT1_
                                        ; -- End function
	.section	.AMDGPU.csdata,"",@progbits
; Kernel info:
; codeLenInByte = 0
; NumSgprs: 6
; NumVgprs: 0
; NumAgprs: 0
; TotalNumVgprs: 0
; ScratchSize: 0
; MemoryBound: 0
; FloatMode: 240
; IeeeMode: 1
; LDSByteSize: 0 bytes/workgroup (compile time only)
; SGPRBlocks: 0
; VGPRBlocks: 0
; NumSGPRsForWavesPerEU: 6
; NumVGPRsForWavesPerEU: 1
; AccumOffset: 4
; Occupancy: 8
; WaveLimiterHint : 0
; COMPUTE_PGM_RSRC2:SCRATCH_EN: 0
; COMPUTE_PGM_RSRC2:USER_SGPR: 2
; COMPUTE_PGM_RSRC2:TRAP_HANDLER: 0
; COMPUTE_PGM_RSRC2:TGID_X_EN: 1
; COMPUTE_PGM_RSRC2:TGID_Y_EN: 0
; COMPUTE_PGM_RSRC2:TGID_Z_EN: 0
; COMPUTE_PGM_RSRC2:TIDIG_COMP_CNT: 0
; COMPUTE_PGM_RSRC3_GFX90A:ACCUM_OFFSET: 0
; COMPUTE_PGM_RSRC3_GFX90A:TG_SPLIT: 0
	.section	.text._ZN7rocprim17ROCPRIM_400000_NS6detail17trampoline_kernelINS0_14default_configENS1_25transform_config_selectorIlLb0EEEZNS1_14transform_implILb0ES3_S5_NS0_18transform_iteratorINS0_17counting_iteratorImlEEZNS1_24adjacent_difference_implIS3_Lb1ELb0EPlSB_ZN2at6native12_GLOBAL__N_124unique_dim_cuda_templateIaEESt5tupleIJNSC_6TensorESH_SH_EERKSH_lbbbEUlllE1_EE10hipError_tPvRmT2_T3_mT4_P12ihipStream_tbEUlmE_lEESB_NS0_8identityIvEEEESM_SP_SQ_mSR_ST_bEUlT_E_NS1_11comp_targetILNS1_3genE9ELNS1_11target_archE1100ELNS1_3gpuE3ELNS1_3repE0EEENS1_30default_config_static_selectorELNS0_4arch9wavefront6targetE1EEEvT1_,"axG",@progbits,_ZN7rocprim17ROCPRIM_400000_NS6detail17trampoline_kernelINS0_14default_configENS1_25transform_config_selectorIlLb0EEEZNS1_14transform_implILb0ES3_S5_NS0_18transform_iteratorINS0_17counting_iteratorImlEEZNS1_24adjacent_difference_implIS3_Lb1ELb0EPlSB_ZN2at6native12_GLOBAL__N_124unique_dim_cuda_templateIaEESt5tupleIJNSC_6TensorESH_SH_EERKSH_lbbbEUlllE1_EE10hipError_tPvRmT2_T3_mT4_P12ihipStream_tbEUlmE_lEESB_NS0_8identityIvEEEESM_SP_SQ_mSR_ST_bEUlT_E_NS1_11comp_targetILNS1_3genE9ELNS1_11target_archE1100ELNS1_3gpuE3ELNS1_3repE0EEENS1_30default_config_static_selectorELNS0_4arch9wavefront6targetE1EEEvT1_,comdat
	.globl	_ZN7rocprim17ROCPRIM_400000_NS6detail17trampoline_kernelINS0_14default_configENS1_25transform_config_selectorIlLb0EEEZNS1_14transform_implILb0ES3_S5_NS0_18transform_iteratorINS0_17counting_iteratorImlEEZNS1_24adjacent_difference_implIS3_Lb1ELb0EPlSB_ZN2at6native12_GLOBAL__N_124unique_dim_cuda_templateIaEESt5tupleIJNSC_6TensorESH_SH_EERKSH_lbbbEUlllE1_EE10hipError_tPvRmT2_T3_mT4_P12ihipStream_tbEUlmE_lEESB_NS0_8identityIvEEEESM_SP_SQ_mSR_ST_bEUlT_E_NS1_11comp_targetILNS1_3genE9ELNS1_11target_archE1100ELNS1_3gpuE3ELNS1_3repE0EEENS1_30default_config_static_selectorELNS0_4arch9wavefront6targetE1EEEvT1_ ; -- Begin function _ZN7rocprim17ROCPRIM_400000_NS6detail17trampoline_kernelINS0_14default_configENS1_25transform_config_selectorIlLb0EEEZNS1_14transform_implILb0ES3_S5_NS0_18transform_iteratorINS0_17counting_iteratorImlEEZNS1_24adjacent_difference_implIS3_Lb1ELb0EPlSB_ZN2at6native12_GLOBAL__N_124unique_dim_cuda_templateIaEESt5tupleIJNSC_6TensorESH_SH_EERKSH_lbbbEUlllE1_EE10hipError_tPvRmT2_T3_mT4_P12ihipStream_tbEUlmE_lEESB_NS0_8identityIvEEEESM_SP_SQ_mSR_ST_bEUlT_E_NS1_11comp_targetILNS1_3genE9ELNS1_11target_archE1100ELNS1_3gpuE3ELNS1_3repE0EEENS1_30default_config_static_selectorELNS0_4arch9wavefront6targetE1EEEvT1_
	.p2align	8
	.type	_ZN7rocprim17ROCPRIM_400000_NS6detail17trampoline_kernelINS0_14default_configENS1_25transform_config_selectorIlLb0EEEZNS1_14transform_implILb0ES3_S5_NS0_18transform_iteratorINS0_17counting_iteratorImlEEZNS1_24adjacent_difference_implIS3_Lb1ELb0EPlSB_ZN2at6native12_GLOBAL__N_124unique_dim_cuda_templateIaEESt5tupleIJNSC_6TensorESH_SH_EERKSH_lbbbEUlllE1_EE10hipError_tPvRmT2_T3_mT4_P12ihipStream_tbEUlmE_lEESB_NS0_8identityIvEEEESM_SP_SQ_mSR_ST_bEUlT_E_NS1_11comp_targetILNS1_3genE9ELNS1_11target_archE1100ELNS1_3gpuE3ELNS1_3repE0EEENS1_30default_config_static_selectorELNS0_4arch9wavefront6targetE1EEEvT1_,@function
_ZN7rocprim17ROCPRIM_400000_NS6detail17trampoline_kernelINS0_14default_configENS1_25transform_config_selectorIlLb0EEEZNS1_14transform_implILb0ES3_S5_NS0_18transform_iteratorINS0_17counting_iteratorImlEEZNS1_24adjacent_difference_implIS3_Lb1ELb0EPlSB_ZN2at6native12_GLOBAL__N_124unique_dim_cuda_templateIaEESt5tupleIJNSC_6TensorESH_SH_EERKSH_lbbbEUlllE1_EE10hipError_tPvRmT2_T3_mT4_P12ihipStream_tbEUlmE_lEESB_NS0_8identityIvEEEESM_SP_SQ_mSR_ST_bEUlT_E_NS1_11comp_targetILNS1_3genE9ELNS1_11target_archE1100ELNS1_3gpuE3ELNS1_3repE0EEENS1_30default_config_static_selectorELNS0_4arch9wavefront6targetE1EEEvT1_: ; @_ZN7rocprim17ROCPRIM_400000_NS6detail17trampoline_kernelINS0_14default_configENS1_25transform_config_selectorIlLb0EEEZNS1_14transform_implILb0ES3_S5_NS0_18transform_iteratorINS0_17counting_iteratorImlEEZNS1_24adjacent_difference_implIS3_Lb1ELb0EPlSB_ZN2at6native12_GLOBAL__N_124unique_dim_cuda_templateIaEESt5tupleIJNSC_6TensorESH_SH_EERKSH_lbbbEUlllE1_EE10hipError_tPvRmT2_T3_mT4_P12ihipStream_tbEUlmE_lEESB_NS0_8identityIvEEEESM_SP_SQ_mSR_ST_bEUlT_E_NS1_11comp_targetILNS1_3genE9ELNS1_11target_archE1100ELNS1_3gpuE3ELNS1_3repE0EEENS1_30default_config_static_selectorELNS0_4arch9wavefront6targetE1EEEvT1_
; %bb.0:
	.section	.rodata,"a",@progbits
	.p2align	6, 0x0
	.amdhsa_kernel _ZN7rocprim17ROCPRIM_400000_NS6detail17trampoline_kernelINS0_14default_configENS1_25transform_config_selectorIlLb0EEEZNS1_14transform_implILb0ES3_S5_NS0_18transform_iteratorINS0_17counting_iteratorImlEEZNS1_24adjacent_difference_implIS3_Lb1ELb0EPlSB_ZN2at6native12_GLOBAL__N_124unique_dim_cuda_templateIaEESt5tupleIJNSC_6TensorESH_SH_EERKSH_lbbbEUlllE1_EE10hipError_tPvRmT2_T3_mT4_P12ihipStream_tbEUlmE_lEESB_NS0_8identityIvEEEESM_SP_SQ_mSR_ST_bEUlT_E_NS1_11comp_targetILNS1_3genE9ELNS1_11target_archE1100ELNS1_3gpuE3ELNS1_3repE0EEENS1_30default_config_static_selectorELNS0_4arch9wavefront6targetE1EEEvT1_
		.amdhsa_group_segment_fixed_size 0
		.amdhsa_private_segment_fixed_size 0
		.amdhsa_kernarg_size 56
		.amdhsa_user_sgpr_count 2
		.amdhsa_user_sgpr_dispatch_ptr 0
		.amdhsa_user_sgpr_queue_ptr 0
		.amdhsa_user_sgpr_kernarg_segment_ptr 1
		.amdhsa_user_sgpr_dispatch_id 0
		.amdhsa_user_sgpr_kernarg_preload_length 0
		.amdhsa_user_sgpr_kernarg_preload_offset 0
		.amdhsa_user_sgpr_private_segment_size 0
		.amdhsa_uses_dynamic_stack 0
		.amdhsa_enable_private_segment 0
		.amdhsa_system_sgpr_workgroup_id_x 1
		.amdhsa_system_sgpr_workgroup_id_y 0
		.amdhsa_system_sgpr_workgroup_id_z 0
		.amdhsa_system_sgpr_workgroup_info 0
		.amdhsa_system_vgpr_workitem_id 0
		.amdhsa_next_free_vgpr 1
		.amdhsa_next_free_sgpr 0
		.amdhsa_accum_offset 4
		.amdhsa_reserve_vcc 0
		.amdhsa_float_round_mode_32 0
		.amdhsa_float_round_mode_16_64 0
		.amdhsa_float_denorm_mode_32 3
		.amdhsa_float_denorm_mode_16_64 3
		.amdhsa_dx10_clamp 1
		.amdhsa_ieee_mode 1
		.amdhsa_fp16_overflow 0
		.amdhsa_tg_split 0
		.amdhsa_exception_fp_ieee_invalid_op 0
		.amdhsa_exception_fp_denorm_src 0
		.amdhsa_exception_fp_ieee_div_zero 0
		.amdhsa_exception_fp_ieee_overflow 0
		.amdhsa_exception_fp_ieee_underflow 0
		.amdhsa_exception_fp_ieee_inexact 0
		.amdhsa_exception_int_div_zero 0
	.end_amdhsa_kernel
	.section	.text._ZN7rocprim17ROCPRIM_400000_NS6detail17trampoline_kernelINS0_14default_configENS1_25transform_config_selectorIlLb0EEEZNS1_14transform_implILb0ES3_S5_NS0_18transform_iteratorINS0_17counting_iteratorImlEEZNS1_24adjacent_difference_implIS3_Lb1ELb0EPlSB_ZN2at6native12_GLOBAL__N_124unique_dim_cuda_templateIaEESt5tupleIJNSC_6TensorESH_SH_EERKSH_lbbbEUlllE1_EE10hipError_tPvRmT2_T3_mT4_P12ihipStream_tbEUlmE_lEESB_NS0_8identityIvEEEESM_SP_SQ_mSR_ST_bEUlT_E_NS1_11comp_targetILNS1_3genE9ELNS1_11target_archE1100ELNS1_3gpuE3ELNS1_3repE0EEENS1_30default_config_static_selectorELNS0_4arch9wavefront6targetE1EEEvT1_,"axG",@progbits,_ZN7rocprim17ROCPRIM_400000_NS6detail17trampoline_kernelINS0_14default_configENS1_25transform_config_selectorIlLb0EEEZNS1_14transform_implILb0ES3_S5_NS0_18transform_iteratorINS0_17counting_iteratorImlEEZNS1_24adjacent_difference_implIS3_Lb1ELb0EPlSB_ZN2at6native12_GLOBAL__N_124unique_dim_cuda_templateIaEESt5tupleIJNSC_6TensorESH_SH_EERKSH_lbbbEUlllE1_EE10hipError_tPvRmT2_T3_mT4_P12ihipStream_tbEUlmE_lEESB_NS0_8identityIvEEEESM_SP_SQ_mSR_ST_bEUlT_E_NS1_11comp_targetILNS1_3genE9ELNS1_11target_archE1100ELNS1_3gpuE3ELNS1_3repE0EEENS1_30default_config_static_selectorELNS0_4arch9wavefront6targetE1EEEvT1_,comdat
.Lfunc_end311:
	.size	_ZN7rocprim17ROCPRIM_400000_NS6detail17trampoline_kernelINS0_14default_configENS1_25transform_config_selectorIlLb0EEEZNS1_14transform_implILb0ES3_S5_NS0_18transform_iteratorINS0_17counting_iteratorImlEEZNS1_24adjacent_difference_implIS3_Lb1ELb0EPlSB_ZN2at6native12_GLOBAL__N_124unique_dim_cuda_templateIaEESt5tupleIJNSC_6TensorESH_SH_EERKSH_lbbbEUlllE1_EE10hipError_tPvRmT2_T3_mT4_P12ihipStream_tbEUlmE_lEESB_NS0_8identityIvEEEESM_SP_SQ_mSR_ST_bEUlT_E_NS1_11comp_targetILNS1_3genE9ELNS1_11target_archE1100ELNS1_3gpuE3ELNS1_3repE0EEENS1_30default_config_static_selectorELNS0_4arch9wavefront6targetE1EEEvT1_, .Lfunc_end311-_ZN7rocprim17ROCPRIM_400000_NS6detail17trampoline_kernelINS0_14default_configENS1_25transform_config_selectorIlLb0EEEZNS1_14transform_implILb0ES3_S5_NS0_18transform_iteratorINS0_17counting_iteratorImlEEZNS1_24adjacent_difference_implIS3_Lb1ELb0EPlSB_ZN2at6native12_GLOBAL__N_124unique_dim_cuda_templateIaEESt5tupleIJNSC_6TensorESH_SH_EERKSH_lbbbEUlllE1_EE10hipError_tPvRmT2_T3_mT4_P12ihipStream_tbEUlmE_lEESB_NS0_8identityIvEEEESM_SP_SQ_mSR_ST_bEUlT_E_NS1_11comp_targetILNS1_3genE9ELNS1_11target_archE1100ELNS1_3gpuE3ELNS1_3repE0EEENS1_30default_config_static_selectorELNS0_4arch9wavefront6targetE1EEEvT1_
                                        ; -- End function
	.section	.AMDGPU.csdata,"",@progbits
; Kernel info:
; codeLenInByte = 0
; NumSgprs: 6
; NumVgprs: 0
; NumAgprs: 0
; TotalNumVgprs: 0
; ScratchSize: 0
; MemoryBound: 0
; FloatMode: 240
; IeeeMode: 1
; LDSByteSize: 0 bytes/workgroup (compile time only)
; SGPRBlocks: 0
; VGPRBlocks: 0
; NumSGPRsForWavesPerEU: 6
; NumVGPRsForWavesPerEU: 1
; AccumOffset: 4
; Occupancy: 8
; WaveLimiterHint : 0
; COMPUTE_PGM_RSRC2:SCRATCH_EN: 0
; COMPUTE_PGM_RSRC2:USER_SGPR: 2
; COMPUTE_PGM_RSRC2:TRAP_HANDLER: 0
; COMPUTE_PGM_RSRC2:TGID_X_EN: 1
; COMPUTE_PGM_RSRC2:TGID_Y_EN: 0
; COMPUTE_PGM_RSRC2:TGID_Z_EN: 0
; COMPUTE_PGM_RSRC2:TIDIG_COMP_CNT: 0
; COMPUTE_PGM_RSRC3_GFX90A:ACCUM_OFFSET: 0
; COMPUTE_PGM_RSRC3_GFX90A:TG_SPLIT: 0
	.section	.text._ZN7rocprim17ROCPRIM_400000_NS6detail17trampoline_kernelINS0_14default_configENS1_25transform_config_selectorIlLb0EEEZNS1_14transform_implILb0ES3_S5_NS0_18transform_iteratorINS0_17counting_iteratorImlEEZNS1_24adjacent_difference_implIS3_Lb1ELb0EPlSB_ZN2at6native12_GLOBAL__N_124unique_dim_cuda_templateIaEESt5tupleIJNSC_6TensorESH_SH_EERKSH_lbbbEUlllE1_EE10hipError_tPvRmT2_T3_mT4_P12ihipStream_tbEUlmE_lEESB_NS0_8identityIvEEEESM_SP_SQ_mSR_ST_bEUlT_E_NS1_11comp_targetILNS1_3genE8ELNS1_11target_archE1030ELNS1_3gpuE2ELNS1_3repE0EEENS1_30default_config_static_selectorELNS0_4arch9wavefront6targetE1EEEvT1_,"axG",@progbits,_ZN7rocprim17ROCPRIM_400000_NS6detail17trampoline_kernelINS0_14default_configENS1_25transform_config_selectorIlLb0EEEZNS1_14transform_implILb0ES3_S5_NS0_18transform_iteratorINS0_17counting_iteratorImlEEZNS1_24adjacent_difference_implIS3_Lb1ELb0EPlSB_ZN2at6native12_GLOBAL__N_124unique_dim_cuda_templateIaEESt5tupleIJNSC_6TensorESH_SH_EERKSH_lbbbEUlllE1_EE10hipError_tPvRmT2_T3_mT4_P12ihipStream_tbEUlmE_lEESB_NS0_8identityIvEEEESM_SP_SQ_mSR_ST_bEUlT_E_NS1_11comp_targetILNS1_3genE8ELNS1_11target_archE1030ELNS1_3gpuE2ELNS1_3repE0EEENS1_30default_config_static_selectorELNS0_4arch9wavefront6targetE1EEEvT1_,comdat
	.globl	_ZN7rocprim17ROCPRIM_400000_NS6detail17trampoline_kernelINS0_14default_configENS1_25transform_config_selectorIlLb0EEEZNS1_14transform_implILb0ES3_S5_NS0_18transform_iteratorINS0_17counting_iteratorImlEEZNS1_24adjacent_difference_implIS3_Lb1ELb0EPlSB_ZN2at6native12_GLOBAL__N_124unique_dim_cuda_templateIaEESt5tupleIJNSC_6TensorESH_SH_EERKSH_lbbbEUlllE1_EE10hipError_tPvRmT2_T3_mT4_P12ihipStream_tbEUlmE_lEESB_NS0_8identityIvEEEESM_SP_SQ_mSR_ST_bEUlT_E_NS1_11comp_targetILNS1_3genE8ELNS1_11target_archE1030ELNS1_3gpuE2ELNS1_3repE0EEENS1_30default_config_static_selectorELNS0_4arch9wavefront6targetE1EEEvT1_ ; -- Begin function _ZN7rocprim17ROCPRIM_400000_NS6detail17trampoline_kernelINS0_14default_configENS1_25transform_config_selectorIlLb0EEEZNS1_14transform_implILb0ES3_S5_NS0_18transform_iteratorINS0_17counting_iteratorImlEEZNS1_24adjacent_difference_implIS3_Lb1ELb0EPlSB_ZN2at6native12_GLOBAL__N_124unique_dim_cuda_templateIaEESt5tupleIJNSC_6TensorESH_SH_EERKSH_lbbbEUlllE1_EE10hipError_tPvRmT2_T3_mT4_P12ihipStream_tbEUlmE_lEESB_NS0_8identityIvEEEESM_SP_SQ_mSR_ST_bEUlT_E_NS1_11comp_targetILNS1_3genE8ELNS1_11target_archE1030ELNS1_3gpuE2ELNS1_3repE0EEENS1_30default_config_static_selectorELNS0_4arch9wavefront6targetE1EEEvT1_
	.p2align	8
	.type	_ZN7rocprim17ROCPRIM_400000_NS6detail17trampoline_kernelINS0_14default_configENS1_25transform_config_selectorIlLb0EEEZNS1_14transform_implILb0ES3_S5_NS0_18transform_iteratorINS0_17counting_iteratorImlEEZNS1_24adjacent_difference_implIS3_Lb1ELb0EPlSB_ZN2at6native12_GLOBAL__N_124unique_dim_cuda_templateIaEESt5tupleIJNSC_6TensorESH_SH_EERKSH_lbbbEUlllE1_EE10hipError_tPvRmT2_T3_mT4_P12ihipStream_tbEUlmE_lEESB_NS0_8identityIvEEEESM_SP_SQ_mSR_ST_bEUlT_E_NS1_11comp_targetILNS1_3genE8ELNS1_11target_archE1030ELNS1_3gpuE2ELNS1_3repE0EEENS1_30default_config_static_selectorELNS0_4arch9wavefront6targetE1EEEvT1_,@function
_ZN7rocprim17ROCPRIM_400000_NS6detail17trampoline_kernelINS0_14default_configENS1_25transform_config_selectorIlLb0EEEZNS1_14transform_implILb0ES3_S5_NS0_18transform_iteratorINS0_17counting_iteratorImlEEZNS1_24adjacent_difference_implIS3_Lb1ELb0EPlSB_ZN2at6native12_GLOBAL__N_124unique_dim_cuda_templateIaEESt5tupleIJNSC_6TensorESH_SH_EERKSH_lbbbEUlllE1_EE10hipError_tPvRmT2_T3_mT4_P12ihipStream_tbEUlmE_lEESB_NS0_8identityIvEEEESM_SP_SQ_mSR_ST_bEUlT_E_NS1_11comp_targetILNS1_3genE8ELNS1_11target_archE1030ELNS1_3gpuE2ELNS1_3repE0EEENS1_30default_config_static_selectorELNS0_4arch9wavefront6targetE1EEEvT1_: ; @_ZN7rocprim17ROCPRIM_400000_NS6detail17trampoline_kernelINS0_14default_configENS1_25transform_config_selectorIlLb0EEEZNS1_14transform_implILb0ES3_S5_NS0_18transform_iteratorINS0_17counting_iteratorImlEEZNS1_24adjacent_difference_implIS3_Lb1ELb0EPlSB_ZN2at6native12_GLOBAL__N_124unique_dim_cuda_templateIaEESt5tupleIJNSC_6TensorESH_SH_EERKSH_lbbbEUlllE1_EE10hipError_tPvRmT2_T3_mT4_P12ihipStream_tbEUlmE_lEESB_NS0_8identityIvEEEESM_SP_SQ_mSR_ST_bEUlT_E_NS1_11comp_targetILNS1_3genE8ELNS1_11target_archE1030ELNS1_3gpuE2ELNS1_3repE0EEENS1_30default_config_static_selectorELNS0_4arch9wavefront6targetE1EEEvT1_
; %bb.0:
	.section	.rodata,"a",@progbits
	.p2align	6, 0x0
	.amdhsa_kernel _ZN7rocprim17ROCPRIM_400000_NS6detail17trampoline_kernelINS0_14default_configENS1_25transform_config_selectorIlLb0EEEZNS1_14transform_implILb0ES3_S5_NS0_18transform_iteratorINS0_17counting_iteratorImlEEZNS1_24adjacent_difference_implIS3_Lb1ELb0EPlSB_ZN2at6native12_GLOBAL__N_124unique_dim_cuda_templateIaEESt5tupleIJNSC_6TensorESH_SH_EERKSH_lbbbEUlllE1_EE10hipError_tPvRmT2_T3_mT4_P12ihipStream_tbEUlmE_lEESB_NS0_8identityIvEEEESM_SP_SQ_mSR_ST_bEUlT_E_NS1_11comp_targetILNS1_3genE8ELNS1_11target_archE1030ELNS1_3gpuE2ELNS1_3repE0EEENS1_30default_config_static_selectorELNS0_4arch9wavefront6targetE1EEEvT1_
		.amdhsa_group_segment_fixed_size 0
		.amdhsa_private_segment_fixed_size 0
		.amdhsa_kernarg_size 56
		.amdhsa_user_sgpr_count 2
		.amdhsa_user_sgpr_dispatch_ptr 0
		.amdhsa_user_sgpr_queue_ptr 0
		.amdhsa_user_sgpr_kernarg_segment_ptr 1
		.amdhsa_user_sgpr_dispatch_id 0
		.amdhsa_user_sgpr_kernarg_preload_length 0
		.amdhsa_user_sgpr_kernarg_preload_offset 0
		.amdhsa_user_sgpr_private_segment_size 0
		.amdhsa_uses_dynamic_stack 0
		.amdhsa_enable_private_segment 0
		.amdhsa_system_sgpr_workgroup_id_x 1
		.amdhsa_system_sgpr_workgroup_id_y 0
		.amdhsa_system_sgpr_workgroup_id_z 0
		.amdhsa_system_sgpr_workgroup_info 0
		.amdhsa_system_vgpr_workitem_id 0
		.amdhsa_next_free_vgpr 1
		.amdhsa_next_free_sgpr 0
		.amdhsa_accum_offset 4
		.amdhsa_reserve_vcc 0
		.amdhsa_float_round_mode_32 0
		.amdhsa_float_round_mode_16_64 0
		.amdhsa_float_denorm_mode_32 3
		.amdhsa_float_denorm_mode_16_64 3
		.amdhsa_dx10_clamp 1
		.amdhsa_ieee_mode 1
		.amdhsa_fp16_overflow 0
		.amdhsa_tg_split 0
		.amdhsa_exception_fp_ieee_invalid_op 0
		.amdhsa_exception_fp_denorm_src 0
		.amdhsa_exception_fp_ieee_div_zero 0
		.amdhsa_exception_fp_ieee_overflow 0
		.amdhsa_exception_fp_ieee_underflow 0
		.amdhsa_exception_fp_ieee_inexact 0
		.amdhsa_exception_int_div_zero 0
	.end_amdhsa_kernel
	.section	.text._ZN7rocprim17ROCPRIM_400000_NS6detail17trampoline_kernelINS0_14default_configENS1_25transform_config_selectorIlLb0EEEZNS1_14transform_implILb0ES3_S5_NS0_18transform_iteratorINS0_17counting_iteratorImlEEZNS1_24adjacent_difference_implIS3_Lb1ELb0EPlSB_ZN2at6native12_GLOBAL__N_124unique_dim_cuda_templateIaEESt5tupleIJNSC_6TensorESH_SH_EERKSH_lbbbEUlllE1_EE10hipError_tPvRmT2_T3_mT4_P12ihipStream_tbEUlmE_lEESB_NS0_8identityIvEEEESM_SP_SQ_mSR_ST_bEUlT_E_NS1_11comp_targetILNS1_3genE8ELNS1_11target_archE1030ELNS1_3gpuE2ELNS1_3repE0EEENS1_30default_config_static_selectorELNS0_4arch9wavefront6targetE1EEEvT1_,"axG",@progbits,_ZN7rocprim17ROCPRIM_400000_NS6detail17trampoline_kernelINS0_14default_configENS1_25transform_config_selectorIlLb0EEEZNS1_14transform_implILb0ES3_S5_NS0_18transform_iteratorINS0_17counting_iteratorImlEEZNS1_24adjacent_difference_implIS3_Lb1ELb0EPlSB_ZN2at6native12_GLOBAL__N_124unique_dim_cuda_templateIaEESt5tupleIJNSC_6TensorESH_SH_EERKSH_lbbbEUlllE1_EE10hipError_tPvRmT2_T3_mT4_P12ihipStream_tbEUlmE_lEESB_NS0_8identityIvEEEESM_SP_SQ_mSR_ST_bEUlT_E_NS1_11comp_targetILNS1_3genE8ELNS1_11target_archE1030ELNS1_3gpuE2ELNS1_3repE0EEENS1_30default_config_static_selectorELNS0_4arch9wavefront6targetE1EEEvT1_,comdat
.Lfunc_end312:
	.size	_ZN7rocprim17ROCPRIM_400000_NS6detail17trampoline_kernelINS0_14default_configENS1_25transform_config_selectorIlLb0EEEZNS1_14transform_implILb0ES3_S5_NS0_18transform_iteratorINS0_17counting_iteratorImlEEZNS1_24adjacent_difference_implIS3_Lb1ELb0EPlSB_ZN2at6native12_GLOBAL__N_124unique_dim_cuda_templateIaEESt5tupleIJNSC_6TensorESH_SH_EERKSH_lbbbEUlllE1_EE10hipError_tPvRmT2_T3_mT4_P12ihipStream_tbEUlmE_lEESB_NS0_8identityIvEEEESM_SP_SQ_mSR_ST_bEUlT_E_NS1_11comp_targetILNS1_3genE8ELNS1_11target_archE1030ELNS1_3gpuE2ELNS1_3repE0EEENS1_30default_config_static_selectorELNS0_4arch9wavefront6targetE1EEEvT1_, .Lfunc_end312-_ZN7rocprim17ROCPRIM_400000_NS6detail17trampoline_kernelINS0_14default_configENS1_25transform_config_selectorIlLb0EEEZNS1_14transform_implILb0ES3_S5_NS0_18transform_iteratorINS0_17counting_iteratorImlEEZNS1_24adjacent_difference_implIS3_Lb1ELb0EPlSB_ZN2at6native12_GLOBAL__N_124unique_dim_cuda_templateIaEESt5tupleIJNSC_6TensorESH_SH_EERKSH_lbbbEUlllE1_EE10hipError_tPvRmT2_T3_mT4_P12ihipStream_tbEUlmE_lEESB_NS0_8identityIvEEEESM_SP_SQ_mSR_ST_bEUlT_E_NS1_11comp_targetILNS1_3genE8ELNS1_11target_archE1030ELNS1_3gpuE2ELNS1_3repE0EEENS1_30default_config_static_selectorELNS0_4arch9wavefront6targetE1EEEvT1_
                                        ; -- End function
	.section	.AMDGPU.csdata,"",@progbits
; Kernel info:
; codeLenInByte = 0
; NumSgprs: 6
; NumVgprs: 0
; NumAgprs: 0
; TotalNumVgprs: 0
; ScratchSize: 0
; MemoryBound: 0
; FloatMode: 240
; IeeeMode: 1
; LDSByteSize: 0 bytes/workgroup (compile time only)
; SGPRBlocks: 0
; VGPRBlocks: 0
; NumSGPRsForWavesPerEU: 6
; NumVGPRsForWavesPerEU: 1
; AccumOffset: 4
; Occupancy: 8
; WaveLimiterHint : 0
; COMPUTE_PGM_RSRC2:SCRATCH_EN: 0
; COMPUTE_PGM_RSRC2:USER_SGPR: 2
; COMPUTE_PGM_RSRC2:TRAP_HANDLER: 0
; COMPUTE_PGM_RSRC2:TGID_X_EN: 1
; COMPUTE_PGM_RSRC2:TGID_Y_EN: 0
; COMPUTE_PGM_RSRC2:TGID_Z_EN: 0
; COMPUTE_PGM_RSRC2:TIDIG_COMP_CNT: 0
; COMPUTE_PGM_RSRC3_GFX90A:ACCUM_OFFSET: 0
; COMPUTE_PGM_RSRC3_GFX90A:TG_SPLIT: 0
	.section	.text._ZN7rocprim17ROCPRIM_400000_NS6detail17trampoline_kernelINS0_14default_configENS1_35adjacent_difference_config_selectorILb1ElEEZNS1_24adjacent_difference_implIS3_Lb1ELb0EPlS7_ZN2at6native12_GLOBAL__N_124unique_dim_cuda_templateIaEESt5tupleIJNS8_6TensorESD_SD_EERKSD_lbbbEUlllE1_EE10hipError_tPvRmT2_T3_mT4_P12ihipStream_tbEUlT_E_NS1_11comp_targetILNS1_3genE0ELNS1_11target_archE4294967295ELNS1_3gpuE0ELNS1_3repE0EEENS1_30default_config_static_selectorELNS0_4arch9wavefront6targetE1EEEvT1_,"axG",@progbits,_ZN7rocprim17ROCPRIM_400000_NS6detail17trampoline_kernelINS0_14default_configENS1_35adjacent_difference_config_selectorILb1ElEEZNS1_24adjacent_difference_implIS3_Lb1ELb0EPlS7_ZN2at6native12_GLOBAL__N_124unique_dim_cuda_templateIaEESt5tupleIJNS8_6TensorESD_SD_EERKSD_lbbbEUlllE1_EE10hipError_tPvRmT2_T3_mT4_P12ihipStream_tbEUlT_E_NS1_11comp_targetILNS1_3genE0ELNS1_11target_archE4294967295ELNS1_3gpuE0ELNS1_3repE0EEENS1_30default_config_static_selectorELNS0_4arch9wavefront6targetE1EEEvT1_,comdat
	.globl	_ZN7rocprim17ROCPRIM_400000_NS6detail17trampoline_kernelINS0_14default_configENS1_35adjacent_difference_config_selectorILb1ElEEZNS1_24adjacent_difference_implIS3_Lb1ELb0EPlS7_ZN2at6native12_GLOBAL__N_124unique_dim_cuda_templateIaEESt5tupleIJNS8_6TensorESD_SD_EERKSD_lbbbEUlllE1_EE10hipError_tPvRmT2_T3_mT4_P12ihipStream_tbEUlT_E_NS1_11comp_targetILNS1_3genE0ELNS1_11target_archE4294967295ELNS1_3gpuE0ELNS1_3repE0EEENS1_30default_config_static_selectorELNS0_4arch9wavefront6targetE1EEEvT1_ ; -- Begin function _ZN7rocprim17ROCPRIM_400000_NS6detail17trampoline_kernelINS0_14default_configENS1_35adjacent_difference_config_selectorILb1ElEEZNS1_24adjacent_difference_implIS3_Lb1ELb0EPlS7_ZN2at6native12_GLOBAL__N_124unique_dim_cuda_templateIaEESt5tupleIJNS8_6TensorESD_SD_EERKSD_lbbbEUlllE1_EE10hipError_tPvRmT2_T3_mT4_P12ihipStream_tbEUlT_E_NS1_11comp_targetILNS1_3genE0ELNS1_11target_archE4294967295ELNS1_3gpuE0ELNS1_3repE0EEENS1_30default_config_static_selectorELNS0_4arch9wavefront6targetE1EEEvT1_
	.p2align	8
	.type	_ZN7rocprim17ROCPRIM_400000_NS6detail17trampoline_kernelINS0_14default_configENS1_35adjacent_difference_config_selectorILb1ElEEZNS1_24adjacent_difference_implIS3_Lb1ELb0EPlS7_ZN2at6native12_GLOBAL__N_124unique_dim_cuda_templateIaEESt5tupleIJNS8_6TensorESD_SD_EERKSD_lbbbEUlllE1_EE10hipError_tPvRmT2_T3_mT4_P12ihipStream_tbEUlT_E_NS1_11comp_targetILNS1_3genE0ELNS1_11target_archE4294967295ELNS1_3gpuE0ELNS1_3repE0EEENS1_30default_config_static_selectorELNS0_4arch9wavefront6targetE1EEEvT1_,@function
_ZN7rocprim17ROCPRIM_400000_NS6detail17trampoline_kernelINS0_14default_configENS1_35adjacent_difference_config_selectorILb1ElEEZNS1_24adjacent_difference_implIS3_Lb1ELb0EPlS7_ZN2at6native12_GLOBAL__N_124unique_dim_cuda_templateIaEESt5tupleIJNS8_6TensorESD_SD_EERKSD_lbbbEUlllE1_EE10hipError_tPvRmT2_T3_mT4_P12ihipStream_tbEUlT_E_NS1_11comp_targetILNS1_3genE0ELNS1_11target_archE4294967295ELNS1_3gpuE0ELNS1_3repE0EEENS1_30default_config_static_selectorELNS0_4arch9wavefront6targetE1EEEvT1_: ; @_ZN7rocprim17ROCPRIM_400000_NS6detail17trampoline_kernelINS0_14default_configENS1_35adjacent_difference_config_selectorILb1ElEEZNS1_24adjacent_difference_implIS3_Lb1ELb0EPlS7_ZN2at6native12_GLOBAL__N_124unique_dim_cuda_templateIaEESt5tupleIJNS8_6TensorESD_SD_EERKSD_lbbbEUlllE1_EE10hipError_tPvRmT2_T3_mT4_P12ihipStream_tbEUlT_E_NS1_11comp_targetILNS1_3genE0ELNS1_11target_archE4294967295ELNS1_3gpuE0ELNS1_3repE0EEENS1_30default_config_static_selectorELNS0_4arch9wavefront6targetE1EEEvT1_
; %bb.0:
	.section	.rodata,"a",@progbits
	.p2align	6, 0x0
	.amdhsa_kernel _ZN7rocprim17ROCPRIM_400000_NS6detail17trampoline_kernelINS0_14default_configENS1_35adjacent_difference_config_selectorILb1ElEEZNS1_24adjacent_difference_implIS3_Lb1ELb0EPlS7_ZN2at6native12_GLOBAL__N_124unique_dim_cuda_templateIaEESt5tupleIJNS8_6TensorESD_SD_EERKSD_lbbbEUlllE1_EE10hipError_tPvRmT2_T3_mT4_P12ihipStream_tbEUlT_E_NS1_11comp_targetILNS1_3genE0ELNS1_11target_archE4294967295ELNS1_3gpuE0ELNS1_3repE0EEENS1_30default_config_static_selectorELNS0_4arch9wavefront6targetE1EEEvT1_
		.amdhsa_group_segment_fixed_size 0
		.amdhsa_private_segment_fixed_size 0
		.amdhsa_kernarg_size 64
		.amdhsa_user_sgpr_count 2
		.amdhsa_user_sgpr_dispatch_ptr 0
		.amdhsa_user_sgpr_queue_ptr 0
		.amdhsa_user_sgpr_kernarg_segment_ptr 1
		.amdhsa_user_sgpr_dispatch_id 0
		.amdhsa_user_sgpr_kernarg_preload_length 0
		.amdhsa_user_sgpr_kernarg_preload_offset 0
		.amdhsa_user_sgpr_private_segment_size 0
		.amdhsa_uses_dynamic_stack 0
		.amdhsa_enable_private_segment 0
		.amdhsa_system_sgpr_workgroup_id_x 1
		.amdhsa_system_sgpr_workgroup_id_y 0
		.amdhsa_system_sgpr_workgroup_id_z 0
		.amdhsa_system_sgpr_workgroup_info 0
		.amdhsa_system_vgpr_workitem_id 0
		.amdhsa_next_free_vgpr 1
		.amdhsa_next_free_sgpr 0
		.amdhsa_accum_offset 4
		.amdhsa_reserve_vcc 0
		.amdhsa_float_round_mode_32 0
		.amdhsa_float_round_mode_16_64 0
		.amdhsa_float_denorm_mode_32 3
		.amdhsa_float_denorm_mode_16_64 3
		.amdhsa_dx10_clamp 1
		.amdhsa_ieee_mode 1
		.amdhsa_fp16_overflow 0
		.amdhsa_tg_split 0
		.amdhsa_exception_fp_ieee_invalid_op 0
		.amdhsa_exception_fp_denorm_src 0
		.amdhsa_exception_fp_ieee_div_zero 0
		.amdhsa_exception_fp_ieee_overflow 0
		.amdhsa_exception_fp_ieee_underflow 0
		.amdhsa_exception_fp_ieee_inexact 0
		.amdhsa_exception_int_div_zero 0
	.end_amdhsa_kernel
	.section	.text._ZN7rocprim17ROCPRIM_400000_NS6detail17trampoline_kernelINS0_14default_configENS1_35adjacent_difference_config_selectorILb1ElEEZNS1_24adjacent_difference_implIS3_Lb1ELb0EPlS7_ZN2at6native12_GLOBAL__N_124unique_dim_cuda_templateIaEESt5tupleIJNS8_6TensorESD_SD_EERKSD_lbbbEUlllE1_EE10hipError_tPvRmT2_T3_mT4_P12ihipStream_tbEUlT_E_NS1_11comp_targetILNS1_3genE0ELNS1_11target_archE4294967295ELNS1_3gpuE0ELNS1_3repE0EEENS1_30default_config_static_selectorELNS0_4arch9wavefront6targetE1EEEvT1_,"axG",@progbits,_ZN7rocprim17ROCPRIM_400000_NS6detail17trampoline_kernelINS0_14default_configENS1_35adjacent_difference_config_selectorILb1ElEEZNS1_24adjacent_difference_implIS3_Lb1ELb0EPlS7_ZN2at6native12_GLOBAL__N_124unique_dim_cuda_templateIaEESt5tupleIJNS8_6TensorESD_SD_EERKSD_lbbbEUlllE1_EE10hipError_tPvRmT2_T3_mT4_P12ihipStream_tbEUlT_E_NS1_11comp_targetILNS1_3genE0ELNS1_11target_archE4294967295ELNS1_3gpuE0ELNS1_3repE0EEENS1_30default_config_static_selectorELNS0_4arch9wavefront6targetE1EEEvT1_,comdat
.Lfunc_end313:
	.size	_ZN7rocprim17ROCPRIM_400000_NS6detail17trampoline_kernelINS0_14default_configENS1_35adjacent_difference_config_selectorILb1ElEEZNS1_24adjacent_difference_implIS3_Lb1ELb0EPlS7_ZN2at6native12_GLOBAL__N_124unique_dim_cuda_templateIaEESt5tupleIJNS8_6TensorESD_SD_EERKSD_lbbbEUlllE1_EE10hipError_tPvRmT2_T3_mT4_P12ihipStream_tbEUlT_E_NS1_11comp_targetILNS1_3genE0ELNS1_11target_archE4294967295ELNS1_3gpuE0ELNS1_3repE0EEENS1_30default_config_static_selectorELNS0_4arch9wavefront6targetE1EEEvT1_, .Lfunc_end313-_ZN7rocprim17ROCPRIM_400000_NS6detail17trampoline_kernelINS0_14default_configENS1_35adjacent_difference_config_selectorILb1ElEEZNS1_24adjacent_difference_implIS3_Lb1ELb0EPlS7_ZN2at6native12_GLOBAL__N_124unique_dim_cuda_templateIaEESt5tupleIJNS8_6TensorESD_SD_EERKSD_lbbbEUlllE1_EE10hipError_tPvRmT2_T3_mT4_P12ihipStream_tbEUlT_E_NS1_11comp_targetILNS1_3genE0ELNS1_11target_archE4294967295ELNS1_3gpuE0ELNS1_3repE0EEENS1_30default_config_static_selectorELNS0_4arch9wavefront6targetE1EEEvT1_
                                        ; -- End function
	.section	.AMDGPU.csdata,"",@progbits
; Kernel info:
; codeLenInByte = 0
; NumSgprs: 6
; NumVgprs: 0
; NumAgprs: 0
; TotalNumVgprs: 0
; ScratchSize: 0
; MemoryBound: 0
; FloatMode: 240
; IeeeMode: 1
; LDSByteSize: 0 bytes/workgroup (compile time only)
; SGPRBlocks: 0
; VGPRBlocks: 0
; NumSGPRsForWavesPerEU: 6
; NumVGPRsForWavesPerEU: 1
; AccumOffset: 4
; Occupancy: 8
; WaveLimiterHint : 0
; COMPUTE_PGM_RSRC2:SCRATCH_EN: 0
; COMPUTE_PGM_RSRC2:USER_SGPR: 2
; COMPUTE_PGM_RSRC2:TRAP_HANDLER: 0
; COMPUTE_PGM_RSRC2:TGID_X_EN: 1
; COMPUTE_PGM_RSRC2:TGID_Y_EN: 0
; COMPUTE_PGM_RSRC2:TGID_Z_EN: 0
; COMPUTE_PGM_RSRC2:TIDIG_COMP_CNT: 0
; COMPUTE_PGM_RSRC3_GFX90A:ACCUM_OFFSET: 0
; COMPUTE_PGM_RSRC3_GFX90A:TG_SPLIT: 0
	.section	.text._ZN7rocprim17ROCPRIM_400000_NS6detail17trampoline_kernelINS0_14default_configENS1_35adjacent_difference_config_selectorILb1ElEEZNS1_24adjacent_difference_implIS3_Lb1ELb0EPlS7_ZN2at6native12_GLOBAL__N_124unique_dim_cuda_templateIaEESt5tupleIJNS8_6TensorESD_SD_EERKSD_lbbbEUlllE1_EE10hipError_tPvRmT2_T3_mT4_P12ihipStream_tbEUlT_E_NS1_11comp_targetILNS1_3genE10ELNS1_11target_archE1201ELNS1_3gpuE5ELNS1_3repE0EEENS1_30default_config_static_selectorELNS0_4arch9wavefront6targetE1EEEvT1_,"axG",@progbits,_ZN7rocprim17ROCPRIM_400000_NS6detail17trampoline_kernelINS0_14default_configENS1_35adjacent_difference_config_selectorILb1ElEEZNS1_24adjacent_difference_implIS3_Lb1ELb0EPlS7_ZN2at6native12_GLOBAL__N_124unique_dim_cuda_templateIaEESt5tupleIJNS8_6TensorESD_SD_EERKSD_lbbbEUlllE1_EE10hipError_tPvRmT2_T3_mT4_P12ihipStream_tbEUlT_E_NS1_11comp_targetILNS1_3genE10ELNS1_11target_archE1201ELNS1_3gpuE5ELNS1_3repE0EEENS1_30default_config_static_selectorELNS0_4arch9wavefront6targetE1EEEvT1_,comdat
	.globl	_ZN7rocprim17ROCPRIM_400000_NS6detail17trampoline_kernelINS0_14default_configENS1_35adjacent_difference_config_selectorILb1ElEEZNS1_24adjacent_difference_implIS3_Lb1ELb0EPlS7_ZN2at6native12_GLOBAL__N_124unique_dim_cuda_templateIaEESt5tupleIJNS8_6TensorESD_SD_EERKSD_lbbbEUlllE1_EE10hipError_tPvRmT2_T3_mT4_P12ihipStream_tbEUlT_E_NS1_11comp_targetILNS1_3genE10ELNS1_11target_archE1201ELNS1_3gpuE5ELNS1_3repE0EEENS1_30default_config_static_selectorELNS0_4arch9wavefront6targetE1EEEvT1_ ; -- Begin function _ZN7rocprim17ROCPRIM_400000_NS6detail17trampoline_kernelINS0_14default_configENS1_35adjacent_difference_config_selectorILb1ElEEZNS1_24adjacent_difference_implIS3_Lb1ELb0EPlS7_ZN2at6native12_GLOBAL__N_124unique_dim_cuda_templateIaEESt5tupleIJNS8_6TensorESD_SD_EERKSD_lbbbEUlllE1_EE10hipError_tPvRmT2_T3_mT4_P12ihipStream_tbEUlT_E_NS1_11comp_targetILNS1_3genE10ELNS1_11target_archE1201ELNS1_3gpuE5ELNS1_3repE0EEENS1_30default_config_static_selectorELNS0_4arch9wavefront6targetE1EEEvT1_
	.p2align	8
	.type	_ZN7rocprim17ROCPRIM_400000_NS6detail17trampoline_kernelINS0_14default_configENS1_35adjacent_difference_config_selectorILb1ElEEZNS1_24adjacent_difference_implIS3_Lb1ELb0EPlS7_ZN2at6native12_GLOBAL__N_124unique_dim_cuda_templateIaEESt5tupleIJNS8_6TensorESD_SD_EERKSD_lbbbEUlllE1_EE10hipError_tPvRmT2_T3_mT4_P12ihipStream_tbEUlT_E_NS1_11comp_targetILNS1_3genE10ELNS1_11target_archE1201ELNS1_3gpuE5ELNS1_3repE0EEENS1_30default_config_static_selectorELNS0_4arch9wavefront6targetE1EEEvT1_,@function
_ZN7rocprim17ROCPRIM_400000_NS6detail17trampoline_kernelINS0_14default_configENS1_35adjacent_difference_config_selectorILb1ElEEZNS1_24adjacent_difference_implIS3_Lb1ELb0EPlS7_ZN2at6native12_GLOBAL__N_124unique_dim_cuda_templateIaEESt5tupleIJNS8_6TensorESD_SD_EERKSD_lbbbEUlllE1_EE10hipError_tPvRmT2_T3_mT4_P12ihipStream_tbEUlT_E_NS1_11comp_targetILNS1_3genE10ELNS1_11target_archE1201ELNS1_3gpuE5ELNS1_3repE0EEENS1_30default_config_static_selectorELNS0_4arch9wavefront6targetE1EEEvT1_: ; @_ZN7rocprim17ROCPRIM_400000_NS6detail17trampoline_kernelINS0_14default_configENS1_35adjacent_difference_config_selectorILb1ElEEZNS1_24adjacent_difference_implIS3_Lb1ELb0EPlS7_ZN2at6native12_GLOBAL__N_124unique_dim_cuda_templateIaEESt5tupleIJNS8_6TensorESD_SD_EERKSD_lbbbEUlllE1_EE10hipError_tPvRmT2_T3_mT4_P12ihipStream_tbEUlT_E_NS1_11comp_targetILNS1_3genE10ELNS1_11target_archE1201ELNS1_3gpuE5ELNS1_3repE0EEENS1_30default_config_static_selectorELNS0_4arch9wavefront6targetE1EEEvT1_
; %bb.0:
	.section	.rodata,"a",@progbits
	.p2align	6, 0x0
	.amdhsa_kernel _ZN7rocprim17ROCPRIM_400000_NS6detail17trampoline_kernelINS0_14default_configENS1_35adjacent_difference_config_selectorILb1ElEEZNS1_24adjacent_difference_implIS3_Lb1ELb0EPlS7_ZN2at6native12_GLOBAL__N_124unique_dim_cuda_templateIaEESt5tupleIJNS8_6TensorESD_SD_EERKSD_lbbbEUlllE1_EE10hipError_tPvRmT2_T3_mT4_P12ihipStream_tbEUlT_E_NS1_11comp_targetILNS1_3genE10ELNS1_11target_archE1201ELNS1_3gpuE5ELNS1_3repE0EEENS1_30default_config_static_selectorELNS0_4arch9wavefront6targetE1EEEvT1_
		.amdhsa_group_segment_fixed_size 0
		.amdhsa_private_segment_fixed_size 0
		.amdhsa_kernarg_size 64
		.amdhsa_user_sgpr_count 2
		.amdhsa_user_sgpr_dispatch_ptr 0
		.amdhsa_user_sgpr_queue_ptr 0
		.amdhsa_user_sgpr_kernarg_segment_ptr 1
		.amdhsa_user_sgpr_dispatch_id 0
		.amdhsa_user_sgpr_kernarg_preload_length 0
		.amdhsa_user_sgpr_kernarg_preload_offset 0
		.amdhsa_user_sgpr_private_segment_size 0
		.amdhsa_uses_dynamic_stack 0
		.amdhsa_enable_private_segment 0
		.amdhsa_system_sgpr_workgroup_id_x 1
		.amdhsa_system_sgpr_workgroup_id_y 0
		.amdhsa_system_sgpr_workgroup_id_z 0
		.amdhsa_system_sgpr_workgroup_info 0
		.amdhsa_system_vgpr_workitem_id 0
		.amdhsa_next_free_vgpr 1
		.amdhsa_next_free_sgpr 0
		.amdhsa_accum_offset 4
		.amdhsa_reserve_vcc 0
		.amdhsa_float_round_mode_32 0
		.amdhsa_float_round_mode_16_64 0
		.amdhsa_float_denorm_mode_32 3
		.amdhsa_float_denorm_mode_16_64 3
		.amdhsa_dx10_clamp 1
		.amdhsa_ieee_mode 1
		.amdhsa_fp16_overflow 0
		.amdhsa_tg_split 0
		.amdhsa_exception_fp_ieee_invalid_op 0
		.amdhsa_exception_fp_denorm_src 0
		.amdhsa_exception_fp_ieee_div_zero 0
		.amdhsa_exception_fp_ieee_overflow 0
		.amdhsa_exception_fp_ieee_underflow 0
		.amdhsa_exception_fp_ieee_inexact 0
		.amdhsa_exception_int_div_zero 0
	.end_amdhsa_kernel
	.section	.text._ZN7rocprim17ROCPRIM_400000_NS6detail17trampoline_kernelINS0_14default_configENS1_35adjacent_difference_config_selectorILb1ElEEZNS1_24adjacent_difference_implIS3_Lb1ELb0EPlS7_ZN2at6native12_GLOBAL__N_124unique_dim_cuda_templateIaEESt5tupleIJNS8_6TensorESD_SD_EERKSD_lbbbEUlllE1_EE10hipError_tPvRmT2_T3_mT4_P12ihipStream_tbEUlT_E_NS1_11comp_targetILNS1_3genE10ELNS1_11target_archE1201ELNS1_3gpuE5ELNS1_3repE0EEENS1_30default_config_static_selectorELNS0_4arch9wavefront6targetE1EEEvT1_,"axG",@progbits,_ZN7rocprim17ROCPRIM_400000_NS6detail17trampoline_kernelINS0_14default_configENS1_35adjacent_difference_config_selectorILb1ElEEZNS1_24adjacent_difference_implIS3_Lb1ELb0EPlS7_ZN2at6native12_GLOBAL__N_124unique_dim_cuda_templateIaEESt5tupleIJNS8_6TensorESD_SD_EERKSD_lbbbEUlllE1_EE10hipError_tPvRmT2_T3_mT4_P12ihipStream_tbEUlT_E_NS1_11comp_targetILNS1_3genE10ELNS1_11target_archE1201ELNS1_3gpuE5ELNS1_3repE0EEENS1_30default_config_static_selectorELNS0_4arch9wavefront6targetE1EEEvT1_,comdat
.Lfunc_end314:
	.size	_ZN7rocprim17ROCPRIM_400000_NS6detail17trampoline_kernelINS0_14default_configENS1_35adjacent_difference_config_selectorILb1ElEEZNS1_24adjacent_difference_implIS3_Lb1ELb0EPlS7_ZN2at6native12_GLOBAL__N_124unique_dim_cuda_templateIaEESt5tupleIJNS8_6TensorESD_SD_EERKSD_lbbbEUlllE1_EE10hipError_tPvRmT2_T3_mT4_P12ihipStream_tbEUlT_E_NS1_11comp_targetILNS1_3genE10ELNS1_11target_archE1201ELNS1_3gpuE5ELNS1_3repE0EEENS1_30default_config_static_selectorELNS0_4arch9wavefront6targetE1EEEvT1_, .Lfunc_end314-_ZN7rocprim17ROCPRIM_400000_NS6detail17trampoline_kernelINS0_14default_configENS1_35adjacent_difference_config_selectorILb1ElEEZNS1_24adjacent_difference_implIS3_Lb1ELb0EPlS7_ZN2at6native12_GLOBAL__N_124unique_dim_cuda_templateIaEESt5tupleIJNS8_6TensorESD_SD_EERKSD_lbbbEUlllE1_EE10hipError_tPvRmT2_T3_mT4_P12ihipStream_tbEUlT_E_NS1_11comp_targetILNS1_3genE10ELNS1_11target_archE1201ELNS1_3gpuE5ELNS1_3repE0EEENS1_30default_config_static_selectorELNS0_4arch9wavefront6targetE1EEEvT1_
                                        ; -- End function
	.section	.AMDGPU.csdata,"",@progbits
; Kernel info:
; codeLenInByte = 0
; NumSgprs: 6
; NumVgprs: 0
; NumAgprs: 0
; TotalNumVgprs: 0
; ScratchSize: 0
; MemoryBound: 0
; FloatMode: 240
; IeeeMode: 1
; LDSByteSize: 0 bytes/workgroup (compile time only)
; SGPRBlocks: 0
; VGPRBlocks: 0
; NumSGPRsForWavesPerEU: 6
; NumVGPRsForWavesPerEU: 1
; AccumOffset: 4
; Occupancy: 8
; WaveLimiterHint : 0
; COMPUTE_PGM_RSRC2:SCRATCH_EN: 0
; COMPUTE_PGM_RSRC2:USER_SGPR: 2
; COMPUTE_PGM_RSRC2:TRAP_HANDLER: 0
; COMPUTE_PGM_RSRC2:TGID_X_EN: 1
; COMPUTE_PGM_RSRC2:TGID_Y_EN: 0
; COMPUTE_PGM_RSRC2:TGID_Z_EN: 0
; COMPUTE_PGM_RSRC2:TIDIG_COMP_CNT: 0
; COMPUTE_PGM_RSRC3_GFX90A:ACCUM_OFFSET: 0
; COMPUTE_PGM_RSRC3_GFX90A:TG_SPLIT: 0
	.section	.text._ZN7rocprim17ROCPRIM_400000_NS6detail17trampoline_kernelINS0_14default_configENS1_35adjacent_difference_config_selectorILb1ElEEZNS1_24adjacent_difference_implIS3_Lb1ELb0EPlS7_ZN2at6native12_GLOBAL__N_124unique_dim_cuda_templateIaEESt5tupleIJNS8_6TensorESD_SD_EERKSD_lbbbEUlllE1_EE10hipError_tPvRmT2_T3_mT4_P12ihipStream_tbEUlT_E_NS1_11comp_targetILNS1_3genE5ELNS1_11target_archE942ELNS1_3gpuE9ELNS1_3repE0EEENS1_30default_config_static_selectorELNS0_4arch9wavefront6targetE1EEEvT1_,"axG",@progbits,_ZN7rocprim17ROCPRIM_400000_NS6detail17trampoline_kernelINS0_14default_configENS1_35adjacent_difference_config_selectorILb1ElEEZNS1_24adjacent_difference_implIS3_Lb1ELb0EPlS7_ZN2at6native12_GLOBAL__N_124unique_dim_cuda_templateIaEESt5tupleIJNS8_6TensorESD_SD_EERKSD_lbbbEUlllE1_EE10hipError_tPvRmT2_T3_mT4_P12ihipStream_tbEUlT_E_NS1_11comp_targetILNS1_3genE5ELNS1_11target_archE942ELNS1_3gpuE9ELNS1_3repE0EEENS1_30default_config_static_selectorELNS0_4arch9wavefront6targetE1EEEvT1_,comdat
	.globl	_ZN7rocprim17ROCPRIM_400000_NS6detail17trampoline_kernelINS0_14default_configENS1_35adjacent_difference_config_selectorILb1ElEEZNS1_24adjacent_difference_implIS3_Lb1ELb0EPlS7_ZN2at6native12_GLOBAL__N_124unique_dim_cuda_templateIaEESt5tupleIJNS8_6TensorESD_SD_EERKSD_lbbbEUlllE1_EE10hipError_tPvRmT2_T3_mT4_P12ihipStream_tbEUlT_E_NS1_11comp_targetILNS1_3genE5ELNS1_11target_archE942ELNS1_3gpuE9ELNS1_3repE0EEENS1_30default_config_static_selectorELNS0_4arch9wavefront6targetE1EEEvT1_ ; -- Begin function _ZN7rocprim17ROCPRIM_400000_NS6detail17trampoline_kernelINS0_14default_configENS1_35adjacent_difference_config_selectorILb1ElEEZNS1_24adjacent_difference_implIS3_Lb1ELb0EPlS7_ZN2at6native12_GLOBAL__N_124unique_dim_cuda_templateIaEESt5tupleIJNS8_6TensorESD_SD_EERKSD_lbbbEUlllE1_EE10hipError_tPvRmT2_T3_mT4_P12ihipStream_tbEUlT_E_NS1_11comp_targetILNS1_3genE5ELNS1_11target_archE942ELNS1_3gpuE9ELNS1_3repE0EEENS1_30default_config_static_selectorELNS0_4arch9wavefront6targetE1EEEvT1_
	.p2align	8
	.type	_ZN7rocprim17ROCPRIM_400000_NS6detail17trampoline_kernelINS0_14default_configENS1_35adjacent_difference_config_selectorILb1ElEEZNS1_24adjacent_difference_implIS3_Lb1ELb0EPlS7_ZN2at6native12_GLOBAL__N_124unique_dim_cuda_templateIaEESt5tupleIJNS8_6TensorESD_SD_EERKSD_lbbbEUlllE1_EE10hipError_tPvRmT2_T3_mT4_P12ihipStream_tbEUlT_E_NS1_11comp_targetILNS1_3genE5ELNS1_11target_archE942ELNS1_3gpuE9ELNS1_3repE0EEENS1_30default_config_static_selectorELNS0_4arch9wavefront6targetE1EEEvT1_,@function
_ZN7rocprim17ROCPRIM_400000_NS6detail17trampoline_kernelINS0_14default_configENS1_35adjacent_difference_config_selectorILb1ElEEZNS1_24adjacent_difference_implIS3_Lb1ELb0EPlS7_ZN2at6native12_GLOBAL__N_124unique_dim_cuda_templateIaEESt5tupleIJNS8_6TensorESD_SD_EERKSD_lbbbEUlllE1_EE10hipError_tPvRmT2_T3_mT4_P12ihipStream_tbEUlT_E_NS1_11comp_targetILNS1_3genE5ELNS1_11target_archE942ELNS1_3gpuE9ELNS1_3repE0EEENS1_30default_config_static_selectorELNS0_4arch9wavefront6targetE1EEEvT1_: ; @_ZN7rocprim17ROCPRIM_400000_NS6detail17trampoline_kernelINS0_14default_configENS1_35adjacent_difference_config_selectorILb1ElEEZNS1_24adjacent_difference_implIS3_Lb1ELb0EPlS7_ZN2at6native12_GLOBAL__N_124unique_dim_cuda_templateIaEESt5tupleIJNS8_6TensorESD_SD_EERKSD_lbbbEUlllE1_EE10hipError_tPvRmT2_T3_mT4_P12ihipStream_tbEUlT_E_NS1_11comp_targetILNS1_3genE5ELNS1_11target_archE942ELNS1_3gpuE9ELNS1_3repE0EEENS1_30default_config_static_selectorELNS0_4arch9wavefront6targetE1EEEvT1_
; %bb.0:
	s_load_dwordx16 s[4:19], s[0:1], 0x0
	s_mov_b32 s1, 0x545d15a0
	v_bfrev_b32_e32 v1, 4
	s_movk_i32 s0, 0xb00
	s_mul_i32 s20, s2, 0xb00
	s_waitcnt lgkmcnt(0)
	s_lshl_b64 s[6:7], s[6:7], 3
	s_add_u32 s30, s4, s6
	s_addc_u32 s31, s5, s7
	s_add_u32 s1, 0x74, s1
	s_addc_u32 s4, 0, 0
	v_add_co_u32_e32 v1, vcc, s1, v1
	s_cmp_lg_u64 vcc, 0
	v_readfirstlane_b32 s5, v1
	s_addc_u32 s1, s4, 0x1745d1
	s_mul_hi_u32 s21, s5, 0xfffff500
	s_mul_i32 s4, s1, 0xfffff500
	s_sub_i32 s21, s21, s5
	s_add_i32 s21, s21, s4
	s_mul_i32 s23, s5, 0xfffff500
	s_mul_hi_u32 s4, s5, s21
	s_mul_i32 s22, s5, s21
	s_mul_hi_u32 s5, s5, s23
	s_add_u32 s5, s5, s22
	s_addc_u32 s4, 0, s4
	s_mul_hi_u32 s24, s1, s23
	s_mul_i32 s23, s1, s23
	s_add_u32 s5, s5, s23
	s_mul_hi_u32 s22, s1, s21
	s_addc_u32 s4, s4, s24
	s_addc_u32 s5, s22, 0
	s_mul_i32 s21, s1, s21
	s_add_u32 s4, s4, s21
	s_addc_u32 s5, 0, s5
	v_add_co_u32_e32 v1, vcc, s4, v1
	s_cmp_lg_u64 vcc, 0
	s_addc_u32 s1, s1, s5
	v_readfirstlane_b32 s21, v1
	s_mul_i32 s5, s10, s1
	s_mul_hi_u32 s22, s10, s21
	s_mul_hi_u32 s4, s10, s1
	s_add_u32 s5, s22, s5
	s_addc_u32 s4, 0, s4
	s_mul_hi_u32 s23, s11, s21
	s_mul_i32 s21, s11, s21
	s_add_u32 s5, s5, s21
	s_mul_hi_u32 s22, s11, s1
	s_addc_u32 s4, s4, s23
	s_addc_u32 s5, s22, 0
	s_mul_i32 s1, s11, s1
	s_add_u32 s1, s4, s1
	s_addc_u32 s4, 0, s5
	s_add_u32 s5, s1, 1
	s_addc_u32 s21, s4, 0
	s_add_u32 s22, s1, 2
	s_mul_i32 s24, s4, 0xb00
	s_mul_hi_u32 s25, s1, 0xb00
	s_addc_u32 s23, s4, 0
	s_add_i32 s25, s25, s24
	s_mul_i32 s24, s1, 0xb00
	v_mov_b32_e32 v1, s24
	v_sub_co_u32_e32 v1, vcc, s10, v1
	s_cmp_lg_u64 vcc, 0
	s_subb_u32 s24, s11, s25
	v_subrev_co_u32_e32 v2, vcc, s0, v1
	s_cmp_lg_u64 vcc, 0
	s_subb_u32 s0, s24, 0
	v_readfirstlane_b32 s25, v2
	s_cmpk_gt_u32 s25, 0xaff
	s_cselect_b32 s25, -1, 0
	s_cmp_eq_u32 s0, 0
	s_cselect_b32 s0, s25, -1
	s_cmp_lg_u32 s0, 0
	s_cselect_b32 s0, s22, s5
	s_cselect_b32 s5, s23, s21
	v_readfirstlane_b32 s21, v1
	s_cmpk_gt_u32 s21, 0xaff
	s_cselect_b32 s21, -1, 0
	s_cmp_eq_u32 s24, 0
	s_cselect_b32 s21, s21, -1
	s_cmp_lg_u32 s21, 0
	s_cselect_b32 s5, s5, s4
	s_cselect_b32 s4, s0, s1
	s_mul_i32 s0, s5, 0xb00
	s_mul_hi_u32 s1, s4, 0xb00
	s_add_i32 s1, s1, s0
	s_mul_i32 s0, s4, 0xb00
	s_sub_u32 s0, s10, s0
	s_subb_u32 s1, s11, s1
	s_cmp_lg_u64 s[0:1], 0
	s_cselect_b64 s[0:1], -1, 0
	v_cndmask_b32_e64 v1, 0, 1, s[0:1]
	s_mov_b32 s3, 0
	v_readfirstlane_b32 s0, v1
	s_add_u32 s4, s4, s0
	s_addc_u32 s5, s5, 0
	s_add_u32 s24, s18, s2
	s_addc_u32 s25, s19, 0
	s_add_u32 s26, s4, -1
	s_addc_u32 s27, s5, -1
	v_mov_b64_e32 v[2:3], s[26:27]
	v_cmp_ge_u64_e64 s[0:1], s[24:25], v[2:3]
	s_mov_b64 s[22:23], -1
	s_and_b64 vcc, exec, s[0:1]
	s_mul_i32 s11, s26, 0xfffff500
	s_cbranch_vccz .LBB315_24
; %bb.1:
	s_mov_b32 s21, s3
	s_add_i32 s33, s11, s10
	s_lshl_b64 s[22:23], s[20:21], 3
	s_add_u32 s22, s30, s22
	s_addc_u32 s23, s31, s23
	v_cmp_gt_u32_e32 vcc, s33, v0
                                        ; implicit-def: $vgpr2_vgpr3_vgpr4_vgpr5_vgpr6_vgpr7_vgpr8_vgpr9_vgpr10_vgpr11_vgpr12_vgpr13_vgpr14_vgpr15_vgpr16_vgpr17_vgpr18_vgpr19_vgpr20_vgpr21_vgpr22_vgpr23_vgpr24_vgpr25_vgpr26_vgpr27_vgpr28_vgpr29_vgpr30_vgpr31_vgpr32_vgpr33
	s_and_saveexec_b64 s[28:29], vcc
	s_cbranch_execz .LBB315_3
; %bb.2:
	v_lshlrev_b32_e32 v1, 3, v0
	global_load_dwordx2 v[2:3], v1, s[22:23]
.LBB315_3:
	s_or_b64 exec, exec, s[28:29]
	v_or_b32_e32 v1, 0x100, v0
	v_cmp_gt_u32_e32 vcc, s33, v1
	s_and_saveexec_b64 s[28:29], vcc
	s_cbranch_execz .LBB315_5
; %bb.4:
	v_lshlrev_b32_e32 v1, 3, v0
	global_load_dwordx2 v[4:5], v1, s[22:23] offset:2048
.LBB315_5:
	s_or_b64 exec, exec, s[28:29]
	v_or_b32_e32 v1, 0x200, v0
	v_cmp_gt_u32_e32 vcc, s33, v1
	s_and_saveexec_b64 s[28:29], vcc
	s_cbranch_execz .LBB315_7
; %bb.6:
	v_lshlrev_b32_e32 v1, 3, v1
	global_load_dwordx2 v[6:7], v1, s[22:23]
.LBB315_7:
	s_or_b64 exec, exec, s[28:29]
	v_or_b32_e32 v1, 0x300, v0
	v_cmp_gt_u32_e32 vcc, s33, v1
	s_and_saveexec_b64 s[28:29], vcc
	s_cbranch_execz .LBB315_9
; %bb.8:
	v_lshlrev_b32_e32 v1, 3, v1
	global_load_dwordx2 v[8:9], v1, s[22:23]
.LBB315_9:
	;; [unrolled: 9-line block ×9, first 2 shown]
	s_or_b64 exec, exec, s[28:29]
	v_lshlrev_b32_e32 v1, 3, v0
	s_mov_b64 s[22:23], 0
	s_waitcnt vmcnt(0)
	ds_write2st64_b64 v1, v[2:3], v[4:5] offset1:4
	ds_write2st64_b64 v1, v[6:7], v[8:9] offset0:8 offset1:12
	ds_write2st64_b64 v1, v[10:11], v[12:13] offset0:16 offset1:20
	;; [unrolled: 1-line block ×4, first 2 shown]
	ds_write_b64 v1, v[22:23] offset:20480
	s_waitcnt lgkmcnt(0)
	s_barrier
.LBB315_24:
	s_and_b64 vcc, exec, s[22:23]
	v_lshlrev_b32_e32 v40, 3, v0
	s_cbranch_vccz .LBB315_26
; %bb.25:
	s_mov_b32 s21, 0
	s_lshl_b64 s[22:23], s[20:21], 3
	s_add_u32 s22, s30, s22
	s_addc_u32 s23, s31, s23
	v_mov_b32_e32 v41, 0
	v_lshl_add_u64 v[2:3], s[22:23], 0, v[40:41]
	v_add_co_u32_e32 v8, vcc, 0x1000, v2
	global_load_dwordx2 v[4:5], v40, s[22:23]
	global_load_dwordx2 v[6:7], v40, s[22:23] offset:2048
	v_addc_co_u32_e32 v9, vcc, 0, v3, vcc
	v_add_co_u32_e32 v10, vcc, 0x2000, v2
	s_nop 1
	v_addc_co_u32_e32 v11, vcc, 0, v3, vcc
	global_load_dwordx2 v[12:13], v[8:9], off
	global_load_dwordx2 v[14:15], v[8:9], off offset:2048
	global_load_dwordx2 v[16:17], v[10:11], off
	global_load_dwordx2 v[18:19], v[10:11], off offset:2048
	v_add_co_u32_e32 v8, vcc, 0x3000, v2
	s_nop 1
	v_addc_co_u32_e32 v9, vcc, 0, v3, vcc
	v_add_co_u32_e32 v10, vcc, 0x4000, v2
	s_nop 1
	v_addc_co_u32_e32 v11, vcc, 0, v3, vcc
	global_load_dwordx2 v[20:21], v[8:9], off
	global_load_dwordx2 v[22:23], v[8:9], off offset:2048
	global_load_dwordx2 v[24:25], v[10:11], off
	global_load_dwordx2 v[26:27], v[10:11], off offset:2048
	v_add_co_u32_e32 v2, vcc, 0x5000, v2
	s_nop 1
	v_addc_co_u32_e32 v3, vcc, 0, v3, vcc
	global_load_dwordx2 v[2:3], v[2:3], off
	s_waitcnt vmcnt(9)
	ds_write2st64_b64 v40, v[4:5], v[6:7] offset1:4
	s_waitcnt vmcnt(7)
	ds_write2st64_b64 v40, v[12:13], v[14:15] offset0:8 offset1:12
	s_waitcnt vmcnt(5)
	ds_write2st64_b64 v40, v[16:17], v[18:19] offset0:16 offset1:20
	;; [unrolled: 2-line block ×4, first 2 shown]
	s_waitcnt vmcnt(0)
	ds_write_b64 v40, v[2:3] offset:20480
	s_waitcnt lgkmcnt(0)
	s_barrier
.LBB315_26:
	v_mul_u32_u24_e32 v1, 11, v0
	v_lshlrev_b32_e32 v1, 3, v1
	ds_read2_b64 v[2:5], v1 offset1:1
	ds_read2_b64 v[6:9], v1 offset0:2 offset1:3
	ds_read2_b64 v[10:13], v1 offset0:4 offset1:5
	;; [unrolled: 1-line block ×4, first 2 shown]
	ds_read_b64 v[36:37], v1 offset:80
	s_cmp_eq_u64 s[24:25], 0
	s_mov_b64 s[22:23], 0
	s_waitcnt lgkmcnt(0)
	s_barrier
	s_cbranch_scc1 .LBB315_35
; %bb.27:
	s_lshl_b64 s[18:19], s[18:19], 3
	s_add_u32 s16, s16, s18
	s_addc_u32 s17, s17, s19
	s_lshl_b64 s[2:3], s[2:3], 3
	s_add_u32 s2, s16, s2
	s_addc_u32 s3, s17, s3
	s_add_u32 s2, s2, -8
	s_addc_u32 s3, s3, -1
	s_load_dwordx2 s[16:17], s[2:3], 0x0
	s_cmp_lg_u64 s[24:25], s[26:27]
	s_cbranch_scc0 .LBB315_36
; %bb.28:
	v_mul_lo_u32 v1, v21, s12
	v_mul_lo_u32 v24, v20, s13
	v_mad_u64_u32 v[22:23], s[22:23], v20, s12, 0
	v_mov_b64_e32 v[38:39], 0
	v_cmp_lt_i64_e64 s[2:3], s[12:13], 1
	v_add3_u32 v23, v23, v24, v1
	v_cmp_gt_i64_e64 s[18:19], s[12:13], 0
	s_and_b64 vcc, exec, s[2:3]
	v_lshl_add_u64 v[22:23], s[14:15], 0, v[22:23]
	v_mov_b64_e32 v[42:43], v[38:39]
	ds_write_b64 v40, v[36:37]
	s_cbranch_vccnz .LBB315_40
; %bb.29:
	v_mov_b64_e32 v[24:25], s[14:15]
	v_mad_u64_u32 v[24:25], s[2:3], v36, s12, v[24:25]
	v_mul_lo_u32 v1, v36, s13
	v_mul_lo_u32 v26, v37, s12
	v_add3_u32 v25, v26, v25, v1
	global_load_ubyte v1, v[24:25], off
	global_load_ubyte v26, v[22:23], off
	v_mov_b64_e32 v[42:43], 1
	s_waitcnt vmcnt(0)
	v_cmp_eq_u16_e32 vcc, v1, v26
	s_and_saveexec_b64 s[2:3], vcc
	s_cbranch_execz .LBB315_39
; %bb.30:
	s_mov_b64 s[28:29], 1
	s_mov_b64 s[22:23], 0
                                        ; implicit-def: $sgpr26_sgpr27
	s_branch .LBB315_33
.LBB315_31:                             ;   in Loop: Header=BB315_33 Depth=1
	v_lshl_add_u64 v[26:27], v[24:25], 0, s[28:29]
	v_lshl_add_u64 v[28:29], v[22:23], 0, s[28:29]
	global_load_ubyte v1, v[26:27], off
	global_load_ubyte v30, v[28:29], off
	s_add_u32 s30, s28, 1
	s_addc_u32 s31, s29, 0
	s_andn2_b64 s[26:27], s[26:27], exec
	s_waitcnt vmcnt(0)
	v_cmp_ne_u16_e32 vcc, v1, v30
	s_and_b64 s[34:35], vcc, exec
	s_or_b64 s[26:27], s[26:27], s[34:35]
.LBB315_32:                             ;   in Loop: Header=BB315_33 Depth=1
	s_and_b64 s[34:35], exec, s[26:27]
	s_or_b64 s[22:23], s[34:35], s[22:23]
	v_mov_b64_e32 v[26:27], s[28:29]
	s_mov_b64 s[28:29], s[30:31]
	s_andn2_b64 exec, exec, s[22:23]
	s_cbranch_execz .LBB315_38
.LBB315_33:                             ; =>This Inner Loop Header: Depth=1
	s_or_b64 s[26:27], s[26:27], exec
	s_cmp_eq_u64 s[12:13], s[28:29]
	s_cbranch_scc0 .LBB315_31
; %bb.34:                               ;   in Loop: Header=BB315_33 Depth=1
                                        ; implicit-def: $sgpr30_sgpr31
	s_mov_b64 s[28:29], s[12:13]
	s_branch .LBB315_32
.LBB315_35:
                                        ; implicit-def: $vgpr22_vgpr23_vgpr24_vgpr25
                                        ; implicit-def: $sgpr18_sgpr19
                                        ; implicit-def: $vgpr42_vgpr43
                                        ; implicit-def: $vgpr44_vgpr45
                                        ; implicit-def: $vgpr38_vgpr39
                                        ; implicit-def: $vgpr58_vgpr59
                                        ; implicit-def: $vgpr56_vgpr57
                                        ; implicit-def: $vgpr54_vgpr55
                                        ; implicit-def: $vgpr52_vgpr53
                                        ; implicit-def: $vgpr50_vgpr51
                                        ; implicit-def: $vgpr48_vgpr49
                                        ; implicit-def: $vgpr46_vgpr47
                                        ; implicit-def: $vgpr60_vgpr61
                                        ; implicit-def: $vgpr68_vgpr69
                                        ; implicit-def: $vgpr62_vgpr63
                                        ; implicit-def: $vgpr64_vgpr65
                                        ; implicit-def: $vgpr66_vgpr67
                                        ; implicit-def: $vgpr24_vgpr25_vgpr26_vgpr27
                                        ; implicit-def: $vgpr28_vgpr29_vgpr30_vgpr31
                                        ; implicit-def: $vgpr32_vgpr33_vgpr34_vgpr35
	s_cbranch_execnz .LBB315_259
	s_branch .LBB315_488
.LBB315_36:
                                        ; implicit-def: $sgpr18_sgpr19
                                        ; implicit-def: $vgpr42_vgpr43
                                        ; implicit-def: $vgpr44_vgpr45
                                        ; implicit-def: $vgpr38_vgpr39
                                        ; implicit-def: $vgpr58_vgpr59
                                        ; implicit-def: $vgpr56_vgpr57
                                        ; implicit-def: $vgpr54_vgpr55
                                        ; implicit-def: $vgpr52_vgpr53
                                        ; implicit-def: $vgpr50_vgpr51
                                        ; implicit-def: $vgpr48_vgpr49
                                        ; implicit-def: $vgpr46_vgpr47
	s_cbranch_execnz .LBB315_134
.LBB315_37:
                                        ; implicit-def: $vgpr22_vgpr23_vgpr24_vgpr25
                                        ; implicit-def: $vgpr60_vgpr61
                                        ; implicit-def: $vgpr68_vgpr69
                                        ; implicit-def: $vgpr62_vgpr63
                                        ; implicit-def: $vgpr64_vgpr65
                                        ; implicit-def: $vgpr66_vgpr67
                                        ; implicit-def: $vgpr28_vgpr29_vgpr30_vgpr31
                                        ; implicit-def: $vgpr32_vgpr33_vgpr34_vgpr35
                                        ; implicit-def: $vgpr24_vgpr25_vgpr26_vgpr27
	s_branch .LBB315_488
.LBB315_38:
	s_or_b64 exec, exec, s[22:23]
	v_cmp_gt_i64_e32 vcc, s[12:13], v[26:27]
	s_mov_b32 s21, 0
	v_mov_b32_e32 v43, s21
	v_cndmask_b32_e64 v42, 0, 1, vcc
.LBB315_39:
	s_or_b64 exec, exec, s[2:3]
.LBB315_40:
	v_mul_lo_u32 v1, v19, s12
	v_mul_lo_u32 v26, v18, s13
	v_mad_u64_u32 v[24:25], s[2:3], v18, s12, 0
	v_add3_u32 v25, v25, v26, v1
	v_cndmask_b32_e64 v1, 0, 1, s[18:19]
	v_cmp_ne_u32_e64 s[2:3], 1, v1
	s_andn2_b64 vcc, exec, s[18:19]
	v_lshl_add_u64 v[24:25], s[14:15], 0, v[24:25]
	v_mov_b64_e32 v[44:45], v[38:39]
	s_cbranch_vccnz .LBB315_49
; %bb.41:
	global_load_ubyte v1, v[22:23], off
	global_load_ubyte v26, v[24:25], off
	v_mov_b64_e32 v[44:45], 1
	s_waitcnt vmcnt(0)
	v_cmp_eq_u16_e32 vcc, v1, v26
	s_and_saveexec_b64 s[18:19], vcc
	s_cbranch_execz .LBB315_48
; %bb.42:
	s_mov_b64 s[28:29], 1
	s_mov_b64 s[22:23], 0
                                        ; implicit-def: $sgpr26_sgpr27
	s_branch .LBB315_45
.LBB315_43:                             ;   in Loop: Header=BB315_45 Depth=1
	v_lshl_add_u64 v[26:27], v[22:23], 0, s[28:29]
	v_lshl_add_u64 v[28:29], v[24:25], 0, s[28:29]
	global_load_ubyte v1, v[26:27], off
	global_load_ubyte v30, v[28:29], off
	s_add_u32 s30, s28, 1
	s_addc_u32 s31, s29, 0
	s_andn2_b64 s[26:27], s[26:27], exec
	s_waitcnt vmcnt(0)
	v_cmp_ne_u16_e32 vcc, v1, v30
	s_and_b64 s[34:35], vcc, exec
	s_or_b64 s[26:27], s[26:27], s[34:35]
.LBB315_44:                             ;   in Loop: Header=BB315_45 Depth=1
	s_and_b64 s[34:35], exec, s[26:27]
	s_or_b64 s[22:23], s[34:35], s[22:23]
	v_mov_b64_e32 v[26:27], s[28:29]
	s_mov_b64 s[28:29], s[30:31]
	s_andn2_b64 exec, exec, s[22:23]
	s_cbranch_execz .LBB315_47
.LBB315_45:                             ; =>This Inner Loop Header: Depth=1
	s_or_b64 s[26:27], s[26:27], exec
	s_cmp_eq_u64 s[12:13], s[28:29]
	s_cbranch_scc0 .LBB315_43
; %bb.46:                               ;   in Loop: Header=BB315_45 Depth=1
                                        ; implicit-def: $sgpr30_sgpr31
	s_mov_b64 s[28:29], s[12:13]
	s_branch .LBB315_44
.LBB315_47:
	s_or_b64 exec, exec, s[22:23]
	v_cmp_gt_i64_e32 vcc, s[12:13], v[26:27]
	s_mov_b32 s21, 0
	v_mov_b32_e32 v45, s21
	v_cndmask_b32_e64 v44, 0, 1, vcc
.LBB315_48:
	s_or_b64 exec, exec, s[18:19]
.LBB315_49:
	v_mul_lo_u32 v1, v17, s12
	v_mul_lo_u32 v26, v16, s13
	v_mad_u64_u32 v[22:23], s[18:19], v16, s12, 0
	v_add3_u32 v23, v23, v26, v1
	s_and_b64 vcc, exec, s[2:3]
	v_lshl_add_u64 v[22:23], s[14:15], 0, v[22:23]
	s_cbranch_vccnz .LBB315_58
; %bb.50:
	global_load_ubyte v1, v[24:25], off
	global_load_ubyte v26, v[22:23], off
	v_mov_b64_e32 v[38:39], 1
	s_waitcnt vmcnt(0)
	v_cmp_eq_u16_e32 vcc, v1, v26
	s_and_saveexec_b64 s[18:19], vcc
	s_cbranch_execz .LBB315_57
; %bb.51:
	s_mov_b64 s[28:29], 1
	s_mov_b64 s[22:23], 0
                                        ; implicit-def: $sgpr26_sgpr27
	s_branch .LBB315_54
.LBB315_52:                             ;   in Loop: Header=BB315_54 Depth=1
	v_lshl_add_u64 v[26:27], v[24:25], 0, s[28:29]
	v_lshl_add_u64 v[28:29], v[22:23], 0, s[28:29]
	global_load_ubyte v1, v[26:27], off
	global_load_ubyte v30, v[28:29], off
	s_add_u32 s30, s28, 1
	s_addc_u32 s31, s29, 0
	s_andn2_b64 s[26:27], s[26:27], exec
	s_waitcnt vmcnt(0)
	v_cmp_ne_u16_e32 vcc, v1, v30
	s_and_b64 s[34:35], vcc, exec
	s_or_b64 s[26:27], s[26:27], s[34:35]
.LBB315_53:                             ;   in Loop: Header=BB315_54 Depth=1
	s_and_b64 s[34:35], exec, s[26:27]
	s_or_b64 s[22:23], s[34:35], s[22:23]
	v_mov_b64_e32 v[26:27], s[28:29]
	s_mov_b64 s[28:29], s[30:31]
	s_andn2_b64 exec, exec, s[22:23]
	s_cbranch_execz .LBB315_56
.LBB315_54:                             ; =>This Inner Loop Header: Depth=1
	s_or_b64 s[26:27], s[26:27], exec
	s_cmp_eq_u64 s[12:13], s[28:29]
	s_cbranch_scc0 .LBB315_52
; %bb.55:                               ;   in Loop: Header=BB315_54 Depth=1
                                        ; implicit-def: $sgpr30_sgpr31
	s_mov_b64 s[28:29], s[12:13]
	s_branch .LBB315_53
.LBB315_56:
	s_or_b64 exec, exec, s[22:23]
	v_cmp_gt_i64_e32 vcc, s[12:13], v[26:27]
	s_mov_b32 s21, 0
	v_mov_b32_e32 v39, s21
	v_cndmask_b32_e64 v38, 0, 1, vcc
.LBB315_57:
	s_or_b64 exec, exec, s[18:19]
.LBB315_58:
	v_mul_lo_u32 v1, v15, s12
	v_mul_lo_u32 v26, v14, s13
	v_mad_u64_u32 v[24:25], s[18:19], v14, s12, 0
	v_add3_u32 v25, v25, v26, v1
	v_mov_b64_e32 v[48:49], 0
	s_and_b64 vcc, exec, s[2:3]
	v_lshl_add_u64 v[24:25], s[14:15], 0, v[24:25]
	v_mov_b64_e32 v[46:47], v[48:49]
	s_cbranch_vccnz .LBB315_67
; %bb.59:
	global_load_ubyte v1, v[22:23], off
	global_load_ubyte v26, v[24:25], off
	v_mov_b64_e32 v[46:47], 1
	s_waitcnt vmcnt(0)
	v_cmp_eq_u16_e32 vcc, v1, v26
	s_and_saveexec_b64 s[18:19], vcc
	s_cbranch_execz .LBB315_66
; %bb.60:
	s_mov_b64 s[28:29], 1
	s_mov_b64 s[22:23], 0
                                        ; implicit-def: $sgpr26_sgpr27
	s_branch .LBB315_63
.LBB315_61:                             ;   in Loop: Header=BB315_63 Depth=1
	v_lshl_add_u64 v[26:27], v[22:23], 0, s[28:29]
	v_lshl_add_u64 v[28:29], v[24:25], 0, s[28:29]
	global_load_ubyte v1, v[26:27], off
	global_load_ubyte v30, v[28:29], off
	s_add_u32 s30, s28, 1
	s_addc_u32 s31, s29, 0
	s_andn2_b64 s[26:27], s[26:27], exec
	s_waitcnt vmcnt(0)
	v_cmp_ne_u16_e32 vcc, v1, v30
	s_and_b64 s[34:35], vcc, exec
	s_or_b64 s[26:27], s[26:27], s[34:35]
.LBB315_62:                             ;   in Loop: Header=BB315_63 Depth=1
	s_and_b64 s[34:35], exec, s[26:27]
	s_or_b64 s[22:23], s[34:35], s[22:23]
	v_mov_b64_e32 v[26:27], s[28:29]
	s_mov_b64 s[28:29], s[30:31]
	s_andn2_b64 exec, exec, s[22:23]
	s_cbranch_execz .LBB315_65
.LBB315_63:                             ; =>This Inner Loop Header: Depth=1
	s_or_b64 s[26:27], s[26:27], exec
	s_cmp_eq_u64 s[12:13], s[28:29]
	s_cbranch_scc0 .LBB315_61
; %bb.64:                               ;   in Loop: Header=BB315_63 Depth=1
                                        ; implicit-def: $sgpr30_sgpr31
	s_mov_b64 s[28:29], s[12:13]
	s_branch .LBB315_62
.LBB315_65:
	s_or_b64 exec, exec, s[22:23]
	v_cmp_gt_i64_e32 vcc, s[12:13], v[26:27]
	s_mov_b32 s21, 0
	v_mov_b32_e32 v47, s21
	v_cndmask_b32_e64 v46, 0, 1, vcc
.LBB315_66:
	s_or_b64 exec, exec, s[18:19]
.LBB315_67:
	v_mul_lo_u32 v1, v13, s12
	v_mul_lo_u32 v26, v12, s13
	v_mad_u64_u32 v[22:23], s[18:19], v12, s12, 0
	v_add3_u32 v23, v23, v26, v1
	s_and_b64 vcc, exec, s[2:3]
	v_lshl_add_u64 v[22:23], s[14:15], 0, v[22:23]
	s_cbranch_vccnz .LBB315_76
; %bb.68:
	global_load_ubyte v1, v[24:25], off
	global_load_ubyte v26, v[22:23], off
	v_mov_b64_e32 v[48:49], 1
	s_waitcnt vmcnt(0)
	v_cmp_eq_u16_e32 vcc, v1, v26
	s_and_saveexec_b64 s[18:19], vcc
	s_cbranch_execz .LBB315_75
; %bb.69:
	s_mov_b64 s[28:29], 1
	s_mov_b64 s[22:23], 0
                                        ; implicit-def: $sgpr26_sgpr27
	s_branch .LBB315_72
.LBB315_70:                             ;   in Loop: Header=BB315_72 Depth=1
	v_lshl_add_u64 v[26:27], v[24:25], 0, s[28:29]
	v_lshl_add_u64 v[28:29], v[22:23], 0, s[28:29]
	global_load_ubyte v1, v[26:27], off
	global_load_ubyte v30, v[28:29], off
	s_add_u32 s30, s28, 1
	s_addc_u32 s31, s29, 0
	s_andn2_b64 s[26:27], s[26:27], exec
	s_waitcnt vmcnt(0)
	v_cmp_ne_u16_e32 vcc, v1, v30
	s_and_b64 s[34:35], vcc, exec
	s_or_b64 s[26:27], s[26:27], s[34:35]
.LBB315_71:                             ;   in Loop: Header=BB315_72 Depth=1
	s_and_b64 s[34:35], exec, s[26:27]
	s_or_b64 s[22:23], s[34:35], s[22:23]
	v_mov_b64_e32 v[26:27], s[28:29]
	s_mov_b64 s[28:29], s[30:31]
	s_andn2_b64 exec, exec, s[22:23]
	s_cbranch_execz .LBB315_74
.LBB315_72:                             ; =>This Inner Loop Header: Depth=1
	s_or_b64 s[26:27], s[26:27], exec
	s_cmp_eq_u64 s[12:13], s[28:29]
	s_cbranch_scc0 .LBB315_70
; %bb.73:                               ;   in Loop: Header=BB315_72 Depth=1
                                        ; implicit-def: $sgpr30_sgpr31
	s_mov_b64 s[28:29], s[12:13]
	s_branch .LBB315_71
.LBB315_74:
	s_or_b64 exec, exec, s[22:23]
	v_cmp_gt_i64_e32 vcc, s[12:13], v[26:27]
	s_mov_b32 s21, 0
	v_mov_b32_e32 v49, s21
	v_cndmask_b32_e64 v48, 0, 1, vcc
.LBB315_75:
	s_or_b64 exec, exec, s[18:19]
.LBB315_76:
	v_mul_lo_u32 v1, v11, s12
	v_mul_lo_u32 v26, v10, s13
	v_mad_u64_u32 v[24:25], s[18:19], v10, s12, 0
	v_add3_u32 v25, v25, v26, v1
	v_mov_b64_e32 v[52:53], 0
	s_and_b64 vcc, exec, s[2:3]
	v_lshl_add_u64 v[24:25], s[14:15], 0, v[24:25]
	v_mov_b64_e32 v[50:51], v[52:53]
	s_cbranch_vccnz .LBB315_85
; %bb.77:
	global_load_ubyte v1, v[22:23], off
	global_load_ubyte v26, v[24:25], off
	v_mov_b64_e32 v[50:51], 1
	s_waitcnt vmcnt(0)
	v_cmp_eq_u16_e32 vcc, v1, v26
	s_and_saveexec_b64 s[18:19], vcc
	s_cbranch_execz .LBB315_84
; %bb.78:
	s_mov_b64 s[28:29], 1
	s_mov_b64 s[22:23], 0
                                        ; implicit-def: $sgpr26_sgpr27
	s_branch .LBB315_81
.LBB315_79:                             ;   in Loop: Header=BB315_81 Depth=1
	v_lshl_add_u64 v[26:27], v[22:23], 0, s[28:29]
	v_lshl_add_u64 v[28:29], v[24:25], 0, s[28:29]
	global_load_ubyte v1, v[26:27], off
	global_load_ubyte v30, v[28:29], off
	s_add_u32 s30, s28, 1
	s_addc_u32 s31, s29, 0
	s_andn2_b64 s[26:27], s[26:27], exec
	s_waitcnt vmcnt(0)
	v_cmp_ne_u16_e32 vcc, v1, v30
	s_and_b64 s[34:35], vcc, exec
	s_or_b64 s[26:27], s[26:27], s[34:35]
.LBB315_80:                             ;   in Loop: Header=BB315_81 Depth=1
	s_and_b64 s[34:35], exec, s[26:27]
	s_or_b64 s[22:23], s[34:35], s[22:23]
	v_mov_b64_e32 v[26:27], s[28:29]
	s_mov_b64 s[28:29], s[30:31]
	s_andn2_b64 exec, exec, s[22:23]
	s_cbranch_execz .LBB315_83
.LBB315_81:                             ; =>This Inner Loop Header: Depth=1
	s_or_b64 s[26:27], s[26:27], exec
	s_cmp_eq_u64 s[12:13], s[28:29]
	s_cbranch_scc0 .LBB315_79
; %bb.82:                               ;   in Loop: Header=BB315_81 Depth=1
                                        ; implicit-def: $sgpr30_sgpr31
	s_mov_b64 s[28:29], s[12:13]
	s_branch .LBB315_80
.LBB315_83:
	s_or_b64 exec, exec, s[22:23]
	v_cmp_gt_i64_e32 vcc, s[12:13], v[26:27]
	s_mov_b32 s21, 0
	v_mov_b32_e32 v51, s21
	v_cndmask_b32_e64 v50, 0, 1, vcc
.LBB315_84:
	s_or_b64 exec, exec, s[18:19]
.LBB315_85:
	v_mul_lo_u32 v1, v9, s12
	v_mul_lo_u32 v26, v8, s13
	v_mad_u64_u32 v[22:23], s[18:19], v8, s12, 0
	v_add3_u32 v23, v23, v26, v1
	s_and_b64 vcc, exec, s[2:3]
	v_lshl_add_u64 v[22:23], s[14:15], 0, v[22:23]
	s_cbranch_vccnz .LBB315_94
; %bb.86:
	global_load_ubyte v1, v[24:25], off
	global_load_ubyte v26, v[22:23], off
	v_mov_b64_e32 v[52:53], 1
	s_waitcnt vmcnt(0)
	v_cmp_eq_u16_e32 vcc, v1, v26
	s_and_saveexec_b64 s[18:19], vcc
	s_cbranch_execz .LBB315_93
; %bb.87:
	s_mov_b64 s[28:29], 1
	s_mov_b64 s[22:23], 0
                                        ; implicit-def: $sgpr26_sgpr27
	s_branch .LBB315_90
.LBB315_88:                             ;   in Loop: Header=BB315_90 Depth=1
	v_lshl_add_u64 v[26:27], v[24:25], 0, s[28:29]
	v_lshl_add_u64 v[28:29], v[22:23], 0, s[28:29]
	global_load_ubyte v1, v[26:27], off
	global_load_ubyte v30, v[28:29], off
	s_add_u32 s30, s28, 1
	s_addc_u32 s31, s29, 0
	s_andn2_b64 s[26:27], s[26:27], exec
	s_waitcnt vmcnt(0)
	v_cmp_ne_u16_e32 vcc, v1, v30
	s_and_b64 s[34:35], vcc, exec
	s_or_b64 s[26:27], s[26:27], s[34:35]
.LBB315_89:                             ;   in Loop: Header=BB315_90 Depth=1
	s_and_b64 s[34:35], exec, s[26:27]
	s_or_b64 s[22:23], s[34:35], s[22:23]
	v_mov_b64_e32 v[26:27], s[28:29]
	s_mov_b64 s[28:29], s[30:31]
	s_andn2_b64 exec, exec, s[22:23]
	s_cbranch_execz .LBB315_92
.LBB315_90:                             ; =>This Inner Loop Header: Depth=1
	s_or_b64 s[26:27], s[26:27], exec
	s_cmp_eq_u64 s[12:13], s[28:29]
	s_cbranch_scc0 .LBB315_88
; %bb.91:                               ;   in Loop: Header=BB315_90 Depth=1
                                        ; implicit-def: $sgpr30_sgpr31
	s_mov_b64 s[28:29], s[12:13]
	s_branch .LBB315_89
.LBB315_92:
	s_or_b64 exec, exec, s[22:23]
	v_cmp_gt_i64_e32 vcc, s[12:13], v[26:27]
	s_mov_b32 s21, 0
	v_mov_b32_e32 v53, s21
	v_cndmask_b32_e64 v52, 0, 1, vcc
.LBB315_93:
	s_or_b64 exec, exec, s[18:19]
.LBB315_94:
	v_mul_lo_u32 v1, v7, s12
	v_mul_lo_u32 v26, v6, s13
	v_mad_u64_u32 v[24:25], s[18:19], v6, s12, 0
	v_add3_u32 v25, v25, v26, v1
	v_mov_b64_e32 v[56:57], 0
	s_and_b64 vcc, exec, s[2:3]
	v_lshl_add_u64 v[24:25], s[14:15], 0, v[24:25]
	v_mov_b64_e32 v[54:55], v[56:57]
	s_cbranch_vccnz .LBB315_103
; %bb.95:
	global_load_ubyte v1, v[22:23], off
	global_load_ubyte v26, v[24:25], off
	v_mov_b64_e32 v[54:55], 1
	s_waitcnt vmcnt(0)
	v_cmp_eq_u16_e32 vcc, v1, v26
	s_and_saveexec_b64 s[18:19], vcc
	s_cbranch_execz .LBB315_102
; %bb.96:
	s_mov_b64 s[28:29], 1
	s_mov_b64 s[22:23], 0
                                        ; implicit-def: $sgpr26_sgpr27
	s_branch .LBB315_99
.LBB315_97:                             ;   in Loop: Header=BB315_99 Depth=1
	v_lshl_add_u64 v[26:27], v[22:23], 0, s[28:29]
	v_lshl_add_u64 v[28:29], v[24:25], 0, s[28:29]
	global_load_ubyte v1, v[26:27], off
	global_load_ubyte v30, v[28:29], off
	s_add_u32 s30, s28, 1
	s_addc_u32 s31, s29, 0
	s_andn2_b64 s[26:27], s[26:27], exec
	s_waitcnt vmcnt(0)
	v_cmp_ne_u16_e32 vcc, v1, v30
	s_and_b64 s[34:35], vcc, exec
	s_or_b64 s[26:27], s[26:27], s[34:35]
.LBB315_98:                             ;   in Loop: Header=BB315_99 Depth=1
	s_and_b64 s[34:35], exec, s[26:27]
	s_or_b64 s[22:23], s[34:35], s[22:23]
	v_mov_b64_e32 v[26:27], s[28:29]
	s_mov_b64 s[28:29], s[30:31]
	s_andn2_b64 exec, exec, s[22:23]
	s_cbranch_execz .LBB315_101
.LBB315_99:                             ; =>This Inner Loop Header: Depth=1
	s_or_b64 s[26:27], s[26:27], exec
	s_cmp_eq_u64 s[12:13], s[28:29]
	s_cbranch_scc0 .LBB315_97
; %bb.100:                              ;   in Loop: Header=BB315_99 Depth=1
                                        ; implicit-def: $sgpr30_sgpr31
	s_mov_b64 s[28:29], s[12:13]
	s_branch .LBB315_98
.LBB315_101:
	s_or_b64 exec, exec, s[22:23]
	v_cmp_gt_i64_e32 vcc, s[12:13], v[26:27]
	s_mov_b32 s21, 0
	v_mov_b32_e32 v55, s21
	v_cndmask_b32_e64 v54, 0, 1, vcc
.LBB315_102:
	s_or_b64 exec, exec, s[18:19]
.LBB315_103:
	v_mul_lo_u32 v1, v5, s12
	v_mul_lo_u32 v26, v4, s13
	v_mad_u64_u32 v[22:23], s[18:19], v4, s12, 0
	v_add3_u32 v23, v23, v26, v1
	s_and_b64 vcc, exec, s[2:3]
	v_lshl_add_u64 v[22:23], s[14:15], 0, v[22:23]
	s_cbranch_vccnz .LBB315_112
; %bb.104:
	global_load_ubyte v1, v[24:25], off
	global_load_ubyte v26, v[22:23], off
	v_mov_b64_e32 v[56:57], 1
	s_waitcnt vmcnt(0)
	v_cmp_eq_u16_e32 vcc, v1, v26
	s_and_saveexec_b64 s[18:19], vcc
	s_cbranch_execz .LBB315_111
; %bb.105:
	s_mov_b64 s[28:29], 1
	s_mov_b64 s[22:23], 0
                                        ; implicit-def: $sgpr26_sgpr27
	s_branch .LBB315_108
.LBB315_106:                            ;   in Loop: Header=BB315_108 Depth=1
	v_lshl_add_u64 v[26:27], v[24:25], 0, s[28:29]
	v_lshl_add_u64 v[28:29], v[22:23], 0, s[28:29]
	global_load_ubyte v1, v[26:27], off
	global_load_ubyte v30, v[28:29], off
	s_add_u32 s30, s28, 1
	s_addc_u32 s31, s29, 0
	s_andn2_b64 s[26:27], s[26:27], exec
	s_waitcnt vmcnt(0)
	v_cmp_ne_u16_e32 vcc, v1, v30
	s_and_b64 s[34:35], vcc, exec
	s_or_b64 s[26:27], s[26:27], s[34:35]
.LBB315_107:                            ;   in Loop: Header=BB315_108 Depth=1
	s_and_b64 s[34:35], exec, s[26:27]
	s_or_b64 s[22:23], s[34:35], s[22:23]
	v_mov_b64_e32 v[26:27], s[28:29]
	s_mov_b64 s[28:29], s[30:31]
	s_andn2_b64 exec, exec, s[22:23]
	s_cbranch_execz .LBB315_110
.LBB315_108:                            ; =>This Inner Loop Header: Depth=1
	s_or_b64 s[26:27], s[26:27], exec
	s_cmp_eq_u64 s[12:13], s[28:29]
	s_cbranch_scc0 .LBB315_106
; %bb.109:                              ;   in Loop: Header=BB315_108 Depth=1
                                        ; implicit-def: $sgpr30_sgpr31
	s_mov_b64 s[28:29], s[12:13]
	s_branch .LBB315_107
.LBB315_110:
	s_or_b64 exec, exec, s[22:23]
	v_cmp_gt_i64_e32 vcc, s[12:13], v[26:27]
	s_mov_b32 s21, 0
	v_mov_b32_e32 v57, s21
	v_cndmask_b32_e64 v56, 0, 1, vcc
.LBB315_111:
	s_or_b64 exec, exec, s[18:19]
.LBB315_112:
	s_and_b64 vcc, exec, s[2:3]
	s_cbranch_vccnz .LBB315_119
; %bb.113:
	v_mov_b64_e32 v[24:25], s[14:15]
	v_mad_u64_u32 v[24:25], s[18:19], v2, s12, v[24:25]
	v_mul_lo_u32 v1, v2, s13
	v_mul_lo_u32 v26, v3, s12
	v_add3_u32 v25, v26, v25, v1
	global_load_ubyte v1, v[22:23], off
	global_load_ubyte v26, v[24:25], off
	v_mov_b64_e32 v[58:59], 1
	s_waitcnt vmcnt(0)
	v_cmp_eq_u16_e32 vcc, v1, v26
	s_and_saveexec_b64 s[18:19], vcc
	s_cbranch_execz .LBB315_121
; %bb.114:
	s_mov_b64 s[28:29], 1
	s_mov_b64 s[22:23], 0
                                        ; implicit-def: $sgpr26_sgpr27
	s_branch .LBB315_117
.LBB315_115:                            ;   in Loop: Header=BB315_117 Depth=1
	v_lshl_add_u64 v[26:27], v[22:23], 0, s[28:29]
	v_lshl_add_u64 v[28:29], v[24:25], 0, s[28:29]
	global_load_ubyte v1, v[26:27], off
	global_load_ubyte v30, v[28:29], off
	s_add_u32 s30, s28, 1
	s_addc_u32 s31, s29, 0
	s_andn2_b64 s[26:27], s[26:27], exec
	s_waitcnt vmcnt(0)
	v_cmp_ne_u16_e32 vcc, v1, v30
	s_and_b64 s[34:35], vcc, exec
	s_or_b64 s[26:27], s[26:27], s[34:35]
.LBB315_116:                            ;   in Loop: Header=BB315_117 Depth=1
	s_and_b64 s[34:35], exec, s[26:27]
	s_or_b64 s[22:23], s[34:35], s[22:23]
	v_mov_b64_e32 v[26:27], s[28:29]
	s_mov_b64 s[28:29], s[30:31]
	s_andn2_b64 exec, exec, s[22:23]
	s_cbranch_execz .LBB315_120
.LBB315_117:                            ; =>This Inner Loop Header: Depth=1
	s_or_b64 s[26:27], s[26:27], exec
	s_cmp_eq_u64 s[12:13], s[28:29]
	s_cbranch_scc0 .LBB315_115
; %bb.118:                              ;   in Loop: Header=BB315_117 Depth=1
                                        ; implicit-def: $sgpr30_sgpr31
	s_mov_b64 s[28:29], s[12:13]
	s_branch .LBB315_116
.LBB315_119:
	v_mov_b64_e32 v[58:59], 0
	s_branch .LBB315_122
.LBB315_120:
	s_or_b64 exec, exec, s[22:23]
	v_cmp_gt_i64_e32 vcc, s[12:13], v[26:27]
	s_mov_b32 s21, 0
	v_mov_b32_e32 v59, s21
	v_cndmask_b32_e64 v58, 0, 1, vcc
.LBB315_121:
	s_or_b64 exec, exec, s[18:19]
.LBB315_122:
	v_cmp_ne_u32_e32 vcc, 0, v0
	s_waitcnt lgkmcnt(0)
	v_mov_b64_e32 v[26:27], s[16:17]
	s_barrier
	s_and_saveexec_b64 s[18:19], vcc
	s_cbranch_execz .LBB315_124
; %bb.123:
	v_add_u32_e32 v1, -8, v40
	ds_read_b64 v[26:27], v1
.LBB315_124:
	s_or_b64 exec, exec, s[18:19]
	s_mov_b64 s[26:27], 0
	s_and_b64 vcc, exec, s[2:3]
	s_mov_b64 s[18:19], 0
	s_cbranch_vccnz .LBB315_133
; %bb.125:
	v_mov_b64_e32 v[24:25], s[14:15]
	v_mad_u64_u32 v[22:23], s[2:3], v2, s12, v[24:25]
	v_mul_lo_u32 v1, v2, s13
	v_mul_lo_u32 v28, v3, s12
	v_add3_u32 v23, v28, v23, v1
	s_waitcnt lgkmcnt(0)
	v_mad_u64_u32 v[24:25], s[2:3], v26, s12, v[24:25]
	v_mul_lo_u32 v1, v26, s13
	v_mul_lo_u32 v26, v27, s12
	v_add3_u32 v25, v26, v25, v1
	global_load_ubyte v1, v[22:23], off
	global_load_ubyte v26, v[24:25], off
	s_mov_b64 s[18:19], -1
	s_waitcnt vmcnt(0)
	v_cmp_eq_u16_e32 vcc, v1, v26
	s_and_saveexec_b64 s[2:3], vcc
	s_cbranch_execz .LBB315_132
; %bb.126:
	s_mov_b64 s[28:29], 1
	s_mov_b64 s[18:19], 0
                                        ; implicit-def: $sgpr22_sgpr23
	s_branch .LBB315_129
.LBB315_127:                            ;   in Loop: Header=BB315_129 Depth=1
	v_lshl_add_u64 v[26:27], v[22:23], 0, s[28:29]
	v_lshl_add_u64 v[28:29], v[24:25], 0, s[28:29]
	global_load_ubyte v1, v[26:27], off
	global_load_ubyte v30, v[28:29], off
	s_add_u32 s30, s28, 1
	s_addc_u32 s31, s29, 0
	s_andn2_b64 s[22:23], s[22:23], exec
	s_waitcnt vmcnt(0)
	v_cmp_ne_u16_e32 vcc, v1, v30
	s_and_b64 s[34:35], vcc, exec
	s_or_b64 s[22:23], s[22:23], s[34:35]
.LBB315_128:                            ;   in Loop: Header=BB315_129 Depth=1
	s_and_b64 s[34:35], exec, s[22:23]
	s_or_b64 s[18:19], s[34:35], s[18:19]
	v_mov_b64_e32 v[26:27], s[28:29]
	s_mov_b64 s[28:29], s[30:31]
	s_andn2_b64 exec, exec, s[18:19]
	s_cbranch_execz .LBB315_131
.LBB315_129:                            ; =>This Inner Loop Header: Depth=1
	s_or_b64 s[22:23], s[22:23], exec
	s_cmp_eq_u64 s[12:13], s[28:29]
	s_cbranch_scc0 .LBB315_127
; %bb.130:                              ;   in Loop: Header=BB315_129 Depth=1
                                        ; implicit-def: $sgpr30_sgpr31
	s_mov_b64 s[28:29], s[12:13]
	s_branch .LBB315_128
.LBB315_131:
	s_or_b64 exec, exec, s[18:19]
	v_cmp_gt_i64_e32 vcc, s[12:13], v[26:27]
	s_orn2_b64 s[18:19], vcc, exec
.LBB315_132:
	s_or_b64 exec, exec, s[2:3]
.LBB315_133:
	s_mov_b64 s[22:23], -1
	s_and_b64 vcc, exec, s[26:27]
	s_cbranch_vccz .LBB315_37
.LBB315_134:
	s_mul_i32 s21, s24, 0xfffff500
	s_add_i32 s21, s21, s10
	v_mad_u32_u24 v22, v0, 11, 10
	v_cmp_gt_i64_e64 s[2:3], s[12:13], 0
	v_cmp_gt_u32_e32 vcc, s21, v22
	v_mul_u32_u24_e32 v1, 11, v0
	v_cndmask_b32_e64 v22, 0, 1, s[2:3]
	v_cmp_ne_u32_e64 s[2:3], 1, v22
	v_mov_b64_e32 v[42:43], v[36:37]
	ds_write_b64 v40, v[36:37]
	s_and_saveexec_b64 s[18:19], vcc
	s_cbranch_execz .LBB315_145
; %bb.135:
	s_and_b64 vcc, exec, s[2:3]
	s_cbranch_vccnz .LBB315_142
; %bb.136:
	v_mov_b64_e32 v[24:25], s[14:15]
	v_mad_u64_u32 v[22:23], s[24:25], v36, s12, v[24:25]
	s_waitcnt lgkmcnt(0)
	v_mul_lo_u32 v26, v36, s13
	v_mul_lo_u32 v27, v37, s12
	v_add3_u32 v23, v27, v23, v26
	v_mad_u64_u32 v[24:25], s[24:25], v20, s12, v[24:25]
	v_mul_lo_u32 v26, v20, s13
	v_mul_lo_u32 v27, v21, s12
	v_add3_u32 v25, v27, v25, v26
	global_load_ubyte v26, v[22:23], off
	global_load_ubyte v27, v[24:25], off
	v_mov_b64_e32 v[42:43], 1
	s_waitcnt vmcnt(0)
	v_cmp_eq_u16_e32 vcc, v26, v27
	s_and_saveexec_b64 s[24:25], vcc
	s_cbranch_execz .LBB315_144
; %bb.137:
	s_mov_b64 s[30:31], 1
	s_mov_b64 s[26:27], 0
                                        ; implicit-def: $sgpr28_sgpr29
	s_branch .LBB315_140
.LBB315_138:                            ;   in Loop: Header=BB315_140 Depth=1
	v_lshl_add_u64 v[26:27], v[22:23], 0, s[30:31]
	v_lshl_add_u64 v[28:29], v[24:25], 0, s[30:31]
	global_load_ubyte v30, v[26:27], off
	global_load_ubyte v31, v[28:29], off
	s_add_u32 s34, s30, 1
	s_addc_u32 s35, s31, 0
	s_andn2_b64 s[28:29], s[28:29], exec
	s_waitcnt vmcnt(0)
	v_cmp_ne_u16_e32 vcc, v30, v31
	s_and_b64 s[36:37], vcc, exec
	s_or_b64 s[28:29], s[28:29], s[36:37]
.LBB315_139:                            ;   in Loop: Header=BB315_140 Depth=1
	s_and_b64 s[36:37], exec, s[28:29]
	s_or_b64 s[26:27], s[36:37], s[26:27]
	v_mov_b64_e32 v[26:27], s[30:31]
	s_mov_b64 s[30:31], s[34:35]
	s_andn2_b64 exec, exec, s[26:27]
	s_cbranch_execz .LBB315_143
.LBB315_140:                            ; =>This Inner Loop Header: Depth=1
	s_or_b64 s[28:29], s[28:29], exec
	s_cmp_eq_u64 s[12:13], s[30:31]
	s_cbranch_scc0 .LBB315_138
; %bb.141:                              ;   in Loop: Header=BB315_140 Depth=1
                                        ; implicit-def: $sgpr34_sgpr35
	s_mov_b64 s[30:31], s[12:13]
	s_branch .LBB315_139
.LBB315_142:
	v_mov_b64_e32 v[42:43], 0
	s_branch .LBB315_145
.LBB315_143:
	s_or_b64 exec, exec, s[26:27]
	v_cmp_gt_i64_e32 vcc, s[12:13], v[26:27]
	s_mov_b32 s26, 0
	v_mov_b32_e32 v43, s26
	v_cndmask_b32_e64 v42, 0, 1, vcc
.LBB315_144:
	s_or_b64 exec, exec, s[24:25]
.LBB315_145:
	s_or_b64 exec, exec, s[18:19]
	v_add_u32_e32 v22, 9, v1
	v_cmp_gt_u32_e32 vcc, s21, v22
	v_mov_b64_e32 v[44:45], v[20:21]
	s_and_saveexec_b64 s[18:19], vcc
	s_cbranch_execz .LBB315_156
; %bb.146:
	s_and_b64 vcc, exec, s[2:3]
	s_cbranch_vccnz .LBB315_153
; %bb.147:
	v_mov_b64_e32 v[24:25], s[14:15]
	v_mad_u64_u32 v[22:23], s[24:25], v20, s12, v[24:25]
	s_waitcnt lgkmcnt(0)
	v_mul_lo_u32 v26, v20, s13
	v_mul_lo_u32 v27, v21, s12
	v_add3_u32 v23, v27, v23, v26
	v_mad_u64_u32 v[24:25], s[24:25], v18, s12, v[24:25]
	v_mul_lo_u32 v26, v18, s13
	v_mul_lo_u32 v27, v19, s12
	v_add3_u32 v25, v27, v25, v26
	global_load_ubyte v26, v[22:23], off
	global_load_ubyte v27, v[24:25], off
	v_mov_b64_e32 v[44:45], 1
	s_waitcnt vmcnt(0)
	v_cmp_eq_u16_e32 vcc, v26, v27
	s_and_saveexec_b64 s[24:25], vcc
	s_cbranch_execz .LBB315_155
; %bb.148:
	s_mov_b64 s[30:31], 1
	s_mov_b64 s[26:27], 0
                                        ; implicit-def: $sgpr28_sgpr29
	s_branch .LBB315_151
.LBB315_149:                            ;   in Loop: Header=BB315_151 Depth=1
	v_lshl_add_u64 v[26:27], v[22:23], 0, s[30:31]
	v_lshl_add_u64 v[28:29], v[24:25], 0, s[30:31]
	global_load_ubyte v30, v[26:27], off
	global_load_ubyte v31, v[28:29], off
	s_add_u32 s34, s30, 1
	s_addc_u32 s35, s31, 0
	s_andn2_b64 s[28:29], s[28:29], exec
	s_waitcnt vmcnt(0)
	v_cmp_ne_u16_e32 vcc, v30, v31
	s_and_b64 s[36:37], vcc, exec
	s_or_b64 s[28:29], s[28:29], s[36:37]
.LBB315_150:                            ;   in Loop: Header=BB315_151 Depth=1
	s_and_b64 s[36:37], exec, s[28:29]
	s_or_b64 s[26:27], s[36:37], s[26:27]
	v_mov_b64_e32 v[26:27], s[30:31]
	s_mov_b64 s[30:31], s[34:35]
	s_andn2_b64 exec, exec, s[26:27]
	s_cbranch_execz .LBB315_154
.LBB315_151:                            ; =>This Inner Loop Header: Depth=1
	s_or_b64 s[28:29], s[28:29], exec
	s_cmp_eq_u64 s[12:13], s[30:31]
	s_cbranch_scc0 .LBB315_149
; %bb.152:                              ;   in Loop: Header=BB315_151 Depth=1
                                        ; implicit-def: $sgpr34_sgpr35
	s_mov_b64 s[30:31], s[12:13]
	s_branch .LBB315_150
.LBB315_153:
	v_mov_b64_e32 v[44:45], 0
	s_branch .LBB315_156
.LBB315_154:
	s_or_b64 exec, exec, s[26:27]
	v_cmp_gt_i64_e32 vcc, s[12:13], v[26:27]
	s_mov_b32 s26, 0
	v_mov_b32_e32 v45, s26
	v_cndmask_b32_e64 v44, 0, 1, vcc
.LBB315_155:
	s_or_b64 exec, exec, s[24:25]
.LBB315_156:
	s_or_b64 exec, exec, s[18:19]
	v_add_u32_e32 v22, 8, v1
	v_cmp_gt_u32_e32 vcc, s21, v22
	v_mov_b64_e32 v[38:39], v[18:19]
	s_and_saveexec_b64 s[18:19], vcc
	s_cbranch_execz .LBB315_167
; %bb.157:
	s_and_b64 vcc, exec, s[2:3]
	s_cbranch_vccnz .LBB315_164
; %bb.158:
	v_mov_b64_e32 v[24:25], s[14:15]
	v_mad_u64_u32 v[22:23], s[24:25], v18, s12, v[24:25]
	s_waitcnt lgkmcnt(0)
	v_mul_lo_u32 v26, v18, s13
	v_mul_lo_u32 v27, v19, s12
	v_add3_u32 v23, v27, v23, v26
	v_mad_u64_u32 v[24:25], s[24:25], v16, s12, v[24:25]
	v_mul_lo_u32 v26, v16, s13
	v_mul_lo_u32 v27, v17, s12
	v_add3_u32 v25, v27, v25, v26
	global_load_ubyte v26, v[22:23], off
	global_load_ubyte v27, v[24:25], off
	v_mov_b64_e32 v[38:39], 1
	s_waitcnt vmcnt(0)
	v_cmp_eq_u16_e32 vcc, v26, v27
	s_and_saveexec_b64 s[24:25], vcc
	s_cbranch_execz .LBB315_166
; %bb.159:
	s_mov_b64 s[30:31], 1
	s_mov_b64 s[26:27], 0
                                        ; implicit-def: $sgpr28_sgpr29
	s_branch .LBB315_162
.LBB315_160:                            ;   in Loop: Header=BB315_162 Depth=1
	v_lshl_add_u64 v[26:27], v[22:23], 0, s[30:31]
	v_lshl_add_u64 v[28:29], v[24:25], 0, s[30:31]
	global_load_ubyte v30, v[26:27], off
	global_load_ubyte v31, v[28:29], off
	s_add_u32 s34, s30, 1
	s_addc_u32 s35, s31, 0
	s_andn2_b64 s[28:29], s[28:29], exec
	s_waitcnt vmcnt(0)
	v_cmp_ne_u16_e32 vcc, v30, v31
	s_and_b64 s[36:37], vcc, exec
	s_or_b64 s[28:29], s[28:29], s[36:37]
.LBB315_161:                            ;   in Loop: Header=BB315_162 Depth=1
	s_and_b64 s[36:37], exec, s[28:29]
	s_or_b64 s[26:27], s[36:37], s[26:27]
	v_mov_b64_e32 v[26:27], s[30:31]
	s_mov_b64 s[30:31], s[34:35]
	s_andn2_b64 exec, exec, s[26:27]
	s_cbranch_execz .LBB315_165
.LBB315_162:                            ; =>This Inner Loop Header: Depth=1
	s_or_b64 s[28:29], s[28:29], exec
	s_cmp_eq_u64 s[12:13], s[30:31]
	s_cbranch_scc0 .LBB315_160
; %bb.163:                              ;   in Loop: Header=BB315_162 Depth=1
                                        ; implicit-def: $sgpr34_sgpr35
	s_mov_b64 s[30:31], s[12:13]
	s_branch .LBB315_161
.LBB315_164:
	v_mov_b64_e32 v[38:39], 0
	s_branch .LBB315_167
.LBB315_165:
	s_or_b64 exec, exec, s[26:27]
	v_cmp_gt_i64_e32 vcc, s[12:13], v[26:27]
	s_mov_b32 s26, 0
	v_mov_b32_e32 v39, s26
	v_cndmask_b32_e64 v38, 0, 1, vcc
.LBB315_166:
	s_or_b64 exec, exec, s[24:25]
.LBB315_167:
	s_or_b64 exec, exec, s[18:19]
	v_add_u32_e32 v22, 7, v1
	v_cmp_gt_u32_e32 vcc, s21, v22
	v_mov_b64_e32 v[46:47], v[16:17]
	s_and_saveexec_b64 s[18:19], vcc
	s_cbranch_execz .LBB315_178
; %bb.168:
	s_and_b64 vcc, exec, s[2:3]
	s_cbranch_vccnz .LBB315_175
; %bb.169:
	v_mov_b64_e32 v[24:25], s[14:15]
	v_mad_u64_u32 v[22:23], s[24:25], v16, s12, v[24:25]
	s_waitcnt lgkmcnt(0)
	v_mul_lo_u32 v26, v16, s13
	v_mul_lo_u32 v27, v17, s12
	v_add3_u32 v23, v27, v23, v26
	v_mad_u64_u32 v[24:25], s[24:25], v14, s12, v[24:25]
	v_mul_lo_u32 v26, v14, s13
	v_mul_lo_u32 v27, v15, s12
	v_add3_u32 v25, v27, v25, v26
	global_load_ubyte v26, v[22:23], off
	global_load_ubyte v27, v[24:25], off
	v_mov_b64_e32 v[46:47], 1
	s_waitcnt vmcnt(0)
	v_cmp_eq_u16_e32 vcc, v26, v27
	s_and_saveexec_b64 s[24:25], vcc
	s_cbranch_execz .LBB315_177
; %bb.170:
	s_mov_b64 s[30:31], 1
	s_mov_b64 s[26:27], 0
                                        ; implicit-def: $sgpr28_sgpr29
	s_branch .LBB315_173
.LBB315_171:                            ;   in Loop: Header=BB315_173 Depth=1
	v_lshl_add_u64 v[26:27], v[22:23], 0, s[30:31]
	v_lshl_add_u64 v[28:29], v[24:25], 0, s[30:31]
	global_load_ubyte v30, v[26:27], off
	global_load_ubyte v31, v[28:29], off
	s_add_u32 s34, s30, 1
	s_addc_u32 s35, s31, 0
	s_andn2_b64 s[28:29], s[28:29], exec
	s_waitcnt vmcnt(0)
	v_cmp_ne_u16_e32 vcc, v30, v31
	s_and_b64 s[36:37], vcc, exec
	s_or_b64 s[28:29], s[28:29], s[36:37]
.LBB315_172:                            ;   in Loop: Header=BB315_173 Depth=1
	s_and_b64 s[36:37], exec, s[28:29]
	s_or_b64 s[26:27], s[36:37], s[26:27]
	v_mov_b64_e32 v[26:27], s[30:31]
	s_mov_b64 s[30:31], s[34:35]
	s_andn2_b64 exec, exec, s[26:27]
	s_cbranch_execz .LBB315_176
.LBB315_173:                            ; =>This Inner Loop Header: Depth=1
	s_or_b64 s[28:29], s[28:29], exec
	s_cmp_eq_u64 s[12:13], s[30:31]
	s_cbranch_scc0 .LBB315_171
; %bb.174:                              ;   in Loop: Header=BB315_173 Depth=1
                                        ; implicit-def: $sgpr34_sgpr35
	s_mov_b64 s[30:31], s[12:13]
	s_branch .LBB315_172
.LBB315_175:
	v_mov_b64_e32 v[46:47], 0
	s_branch .LBB315_178
.LBB315_176:
	s_or_b64 exec, exec, s[26:27]
	v_cmp_gt_i64_e32 vcc, s[12:13], v[26:27]
	s_mov_b32 s26, 0
	v_mov_b32_e32 v47, s26
	v_cndmask_b32_e64 v46, 0, 1, vcc
.LBB315_177:
	s_or_b64 exec, exec, s[24:25]
.LBB315_178:
	s_or_b64 exec, exec, s[18:19]
	v_add_u32_e32 v22, 6, v1
	v_cmp_gt_u32_e32 vcc, s21, v22
	v_mov_b64_e32 v[48:49], v[14:15]
	s_and_saveexec_b64 s[18:19], vcc
	s_cbranch_execz .LBB315_189
; %bb.179:
	s_and_b64 vcc, exec, s[2:3]
	s_cbranch_vccnz .LBB315_186
; %bb.180:
	v_mov_b64_e32 v[24:25], s[14:15]
	v_mad_u64_u32 v[22:23], s[24:25], v14, s12, v[24:25]
	s_waitcnt lgkmcnt(0)
	v_mul_lo_u32 v26, v14, s13
	v_mul_lo_u32 v27, v15, s12
	v_add3_u32 v23, v27, v23, v26
	v_mad_u64_u32 v[24:25], s[24:25], v12, s12, v[24:25]
	v_mul_lo_u32 v26, v12, s13
	v_mul_lo_u32 v27, v13, s12
	v_add3_u32 v25, v27, v25, v26
	global_load_ubyte v26, v[22:23], off
	global_load_ubyte v27, v[24:25], off
	v_mov_b64_e32 v[48:49], 1
	s_waitcnt vmcnt(0)
	v_cmp_eq_u16_e32 vcc, v26, v27
	s_and_saveexec_b64 s[24:25], vcc
	s_cbranch_execz .LBB315_188
; %bb.181:
	s_mov_b64 s[30:31], 1
	s_mov_b64 s[26:27], 0
                                        ; implicit-def: $sgpr28_sgpr29
	s_branch .LBB315_184
.LBB315_182:                            ;   in Loop: Header=BB315_184 Depth=1
	v_lshl_add_u64 v[26:27], v[22:23], 0, s[30:31]
	v_lshl_add_u64 v[28:29], v[24:25], 0, s[30:31]
	global_load_ubyte v30, v[26:27], off
	global_load_ubyte v31, v[28:29], off
	s_add_u32 s34, s30, 1
	s_addc_u32 s35, s31, 0
	s_andn2_b64 s[28:29], s[28:29], exec
	s_waitcnt vmcnt(0)
	v_cmp_ne_u16_e32 vcc, v30, v31
	s_and_b64 s[36:37], vcc, exec
	s_or_b64 s[28:29], s[28:29], s[36:37]
.LBB315_183:                            ;   in Loop: Header=BB315_184 Depth=1
	s_and_b64 s[36:37], exec, s[28:29]
	s_or_b64 s[26:27], s[36:37], s[26:27]
	v_mov_b64_e32 v[26:27], s[30:31]
	s_mov_b64 s[30:31], s[34:35]
	s_andn2_b64 exec, exec, s[26:27]
	s_cbranch_execz .LBB315_187
.LBB315_184:                            ; =>This Inner Loop Header: Depth=1
	s_or_b64 s[28:29], s[28:29], exec
	s_cmp_eq_u64 s[12:13], s[30:31]
	s_cbranch_scc0 .LBB315_182
; %bb.185:                              ;   in Loop: Header=BB315_184 Depth=1
                                        ; implicit-def: $sgpr34_sgpr35
	s_mov_b64 s[30:31], s[12:13]
	s_branch .LBB315_183
.LBB315_186:
	v_mov_b64_e32 v[48:49], 0
	s_branch .LBB315_189
.LBB315_187:
	s_or_b64 exec, exec, s[26:27]
	v_cmp_gt_i64_e32 vcc, s[12:13], v[26:27]
	s_mov_b32 s26, 0
	v_mov_b32_e32 v49, s26
	v_cndmask_b32_e64 v48, 0, 1, vcc
.LBB315_188:
	s_or_b64 exec, exec, s[24:25]
.LBB315_189:
	s_or_b64 exec, exec, s[18:19]
	v_add_u32_e32 v22, 5, v1
	v_cmp_gt_u32_e32 vcc, s21, v22
	v_mov_b64_e32 v[50:51], v[12:13]
	s_and_saveexec_b64 s[18:19], vcc
	s_cbranch_execz .LBB315_200
; %bb.190:
	s_and_b64 vcc, exec, s[2:3]
	s_cbranch_vccnz .LBB315_197
; %bb.191:
	v_mov_b64_e32 v[24:25], s[14:15]
	v_mad_u64_u32 v[22:23], s[24:25], v12, s12, v[24:25]
	s_waitcnt lgkmcnt(0)
	v_mul_lo_u32 v26, v12, s13
	v_mul_lo_u32 v27, v13, s12
	v_add3_u32 v23, v27, v23, v26
	v_mad_u64_u32 v[24:25], s[24:25], v10, s12, v[24:25]
	v_mul_lo_u32 v26, v10, s13
	v_mul_lo_u32 v27, v11, s12
	v_add3_u32 v25, v27, v25, v26
	global_load_ubyte v26, v[22:23], off
	global_load_ubyte v27, v[24:25], off
	v_mov_b64_e32 v[50:51], 1
	s_waitcnt vmcnt(0)
	v_cmp_eq_u16_e32 vcc, v26, v27
	s_and_saveexec_b64 s[24:25], vcc
	s_cbranch_execz .LBB315_199
; %bb.192:
	s_mov_b64 s[30:31], 1
	s_mov_b64 s[26:27], 0
                                        ; implicit-def: $sgpr28_sgpr29
	s_branch .LBB315_195
.LBB315_193:                            ;   in Loop: Header=BB315_195 Depth=1
	v_lshl_add_u64 v[26:27], v[22:23], 0, s[30:31]
	v_lshl_add_u64 v[28:29], v[24:25], 0, s[30:31]
	global_load_ubyte v30, v[26:27], off
	global_load_ubyte v31, v[28:29], off
	s_add_u32 s34, s30, 1
	s_addc_u32 s35, s31, 0
	s_andn2_b64 s[28:29], s[28:29], exec
	s_waitcnt vmcnt(0)
	v_cmp_ne_u16_e32 vcc, v30, v31
	s_and_b64 s[36:37], vcc, exec
	s_or_b64 s[28:29], s[28:29], s[36:37]
.LBB315_194:                            ;   in Loop: Header=BB315_195 Depth=1
	s_and_b64 s[36:37], exec, s[28:29]
	s_or_b64 s[26:27], s[36:37], s[26:27]
	v_mov_b64_e32 v[26:27], s[30:31]
	s_mov_b64 s[30:31], s[34:35]
	s_andn2_b64 exec, exec, s[26:27]
	s_cbranch_execz .LBB315_198
.LBB315_195:                            ; =>This Inner Loop Header: Depth=1
	s_or_b64 s[28:29], s[28:29], exec
	s_cmp_eq_u64 s[12:13], s[30:31]
	s_cbranch_scc0 .LBB315_193
; %bb.196:                              ;   in Loop: Header=BB315_195 Depth=1
                                        ; implicit-def: $sgpr34_sgpr35
	s_mov_b64 s[30:31], s[12:13]
	s_branch .LBB315_194
.LBB315_197:
	v_mov_b64_e32 v[50:51], 0
	s_branch .LBB315_200
.LBB315_198:
	s_or_b64 exec, exec, s[26:27]
	v_cmp_gt_i64_e32 vcc, s[12:13], v[26:27]
	s_mov_b32 s26, 0
	v_mov_b32_e32 v51, s26
	v_cndmask_b32_e64 v50, 0, 1, vcc
.LBB315_199:
	s_or_b64 exec, exec, s[24:25]
.LBB315_200:
	s_or_b64 exec, exec, s[18:19]
	v_add_u32_e32 v22, 4, v1
	v_cmp_gt_u32_e32 vcc, s21, v22
	v_mov_b64_e32 v[52:53], v[10:11]
	s_and_saveexec_b64 s[18:19], vcc
	s_cbranch_execz .LBB315_211
; %bb.201:
	s_and_b64 vcc, exec, s[2:3]
	s_cbranch_vccnz .LBB315_208
; %bb.202:
	v_mov_b64_e32 v[24:25], s[14:15]
	v_mad_u64_u32 v[22:23], s[24:25], v10, s12, v[24:25]
	s_waitcnt lgkmcnt(0)
	v_mul_lo_u32 v26, v10, s13
	v_mul_lo_u32 v27, v11, s12
	v_add3_u32 v23, v27, v23, v26
	v_mad_u64_u32 v[24:25], s[24:25], v8, s12, v[24:25]
	v_mul_lo_u32 v26, v8, s13
	v_mul_lo_u32 v27, v9, s12
	v_add3_u32 v25, v27, v25, v26
	global_load_ubyte v26, v[22:23], off
	global_load_ubyte v27, v[24:25], off
	v_mov_b64_e32 v[52:53], 1
	s_waitcnt vmcnt(0)
	v_cmp_eq_u16_e32 vcc, v26, v27
	s_and_saveexec_b64 s[24:25], vcc
	s_cbranch_execz .LBB315_210
; %bb.203:
	s_mov_b64 s[30:31], 1
	s_mov_b64 s[26:27], 0
                                        ; implicit-def: $sgpr28_sgpr29
	s_branch .LBB315_206
.LBB315_204:                            ;   in Loop: Header=BB315_206 Depth=1
	v_lshl_add_u64 v[26:27], v[22:23], 0, s[30:31]
	v_lshl_add_u64 v[28:29], v[24:25], 0, s[30:31]
	global_load_ubyte v30, v[26:27], off
	global_load_ubyte v31, v[28:29], off
	s_add_u32 s34, s30, 1
	s_addc_u32 s35, s31, 0
	s_andn2_b64 s[28:29], s[28:29], exec
	s_waitcnt vmcnt(0)
	v_cmp_ne_u16_e32 vcc, v30, v31
	s_and_b64 s[36:37], vcc, exec
	s_or_b64 s[28:29], s[28:29], s[36:37]
.LBB315_205:                            ;   in Loop: Header=BB315_206 Depth=1
	s_and_b64 s[36:37], exec, s[28:29]
	s_or_b64 s[26:27], s[36:37], s[26:27]
	v_mov_b64_e32 v[26:27], s[30:31]
	s_mov_b64 s[30:31], s[34:35]
	s_andn2_b64 exec, exec, s[26:27]
	s_cbranch_execz .LBB315_209
.LBB315_206:                            ; =>This Inner Loop Header: Depth=1
	s_or_b64 s[28:29], s[28:29], exec
	s_cmp_eq_u64 s[12:13], s[30:31]
	s_cbranch_scc0 .LBB315_204
; %bb.207:                              ;   in Loop: Header=BB315_206 Depth=1
                                        ; implicit-def: $sgpr34_sgpr35
	s_mov_b64 s[30:31], s[12:13]
	s_branch .LBB315_205
.LBB315_208:
	v_mov_b64_e32 v[52:53], 0
	s_branch .LBB315_211
.LBB315_209:
	s_or_b64 exec, exec, s[26:27]
	v_cmp_gt_i64_e32 vcc, s[12:13], v[26:27]
	s_mov_b32 s26, 0
	v_mov_b32_e32 v53, s26
	v_cndmask_b32_e64 v52, 0, 1, vcc
.LBB315_210:
	s_or_b64 exec, exec, s[24:25]
.LBB315_211:
	s_or_b64 exec, exec, s[18:19]
	v_add_u32_e32 v22, 3, v1
	v_cmp_gt_u32_e32 vcc, s21, v22
	v_mov_b64_e32 v[54:55], v[8:9]
	s_and_saveexec_b64 s[18:19], vcc
	s_cbranch_execz .LBB315_222
; %bb.212:
	s_and_b64 vcc, exec, s[2:3]
	s_cbranch_vccnz .LBB315_219
; %bb.213:
	v_mov_b64_e32 v[24:25], s[14:15]
	v_mad_u64_u32 v[22:23], s[24:25], v8, s12, v[24:25]
	s_waitcnt lgkmcnt(0)
	v_mul_lo_u32 v26, v8, s13
	v_mul_lo_u32 v27, v9, s12
	v_add3_u32 v23, v27, v23, v26
	v_mad_u64_u32 v[24:25], s[24:25], v6, s12, v[24:25]
	v_mul_lo_u32 v26, v6, s13
	v_mul_lo_u32 v27, v7, s12
	v_add3_u32 v25, v27, v25, v26
	global_load_ubyte v26, v[22:23], off
	global_load_ubyte v27, v[24:25], off
	v_mov_b64_e32 v[54:55], 1
	s_waitcnt vmcnt(0)
	v_cmp_eq_u16_e32 vcc, v26, v27
	s_and_saveexec_b64 s[24:25], vcc
	s_cbranch_execz .LBB315_221
; %bb.214:
	s_mov_b64 s[30:31], 1
	s_mov_b64 s[26:27], 0
                                        ; implicit-def: $sgpr28_sgpr29
	s_branch .LBB315_217
.LBB315_215:                            ;   in Loop: Header=BB315_217 Depth=1
	v_lshl_add_u64 v[26:27], v[22:23], 0, s[30:31]
	v_lshl_add_u64 v[28:29], v[24:25], 0, s[30:31]
	global_load_ubyte v30, v[26:27], off
	global_load_ubyte v31, v[28:29], off
	s_add_u32 s34, s30, 1
	s_addc_u32 s35, s31, 0
	s_andn2_b64 s[28:29], s[28:29], exec
	s_waitcnt vmcnt(0)
	v_cmp_ne_u16_e32 vcc, v30, v31
	s_and_b64 s[36:37], vcc, exec
	s_or_b64 s[28:29], s[28:29], s[36:37]
.LBB315_216:                            ;   in Loop: Header=BB315_217 Depth=1
	s_and_b64 s[36:37], exec, s[28:29]
	s_or_b64 s[26:27], s[36:37], s[26:27]
	v_mov_b64_e32 v[26:27], s[30:31]
	s_mov_b64 s[30:31], s[34:35]
	s_andn2_b64 exec, exec, s[26:27]
	s_cbranch_execz .LBB315_220
.LBB315_217:                            ; =>This Inner Loop Header: Depth=1
	s_or_b64 s[28:29], s[28:29], exec
	s_cmp_eq_u64 s[12:13], s[30:31]
	s_cbranch_scc0 .LBB315_215
; %bb.218:                              ;   in Loop: Header=BB315_217 Depth=1
                                        ; implicit-def: $sgpr34_sgpr35
	s_mov_b64 s[30:31], s[12:13]
	s_branch .LBB315_216
.LBB315_219:
	v_mov_b64_e32 v[54:55], 0
	s_branch .LBB315_222
.LBB315_220:
	s_or_b64 exec, exec, s[26:27]
	v_cmp_gt_i64_e32 vcc, s[12:13], v[26:27]
	s_mov_b32 s26, 0
	v_mov_b32_e32 v55, s26
	v_cndmask_b32_e64 v54, 0, 1, vcc
.LBB315_221:
	s_or_b64 exec, exec, s[24:25]
.LBB315_222:
	s_or_b64 exec, exec, s[18:19]
	v_add_u32_e32 v22, 2, v1
	v_cmp_gt_u32_e32 vcc, s21, v22
	v_mov_b64_e32 v[56:57], v[6:7]
	s_and_saveexec_b64 s[18:19], vcc
	s_cbranch_execz .LBB315_233
; %bb.223:
	s_and_b64 vcc, exec, s[2:3]
	s_cbranch_vccnz .LBB315_230
; %bb.224:
	v_mov_b64_e32 v[24:25], s[14:15]
	v_mad_u64_u32 v[22:23], s[24:25], v6, s12, v[24:25]
	s_waitcnt lgkmcnt(0)
	v_mul_lo_u32 v26, v6, s13
	v_mul_lo_u32 v27, v7, s12
	v_add3_u32 v23, v27, v23, v26
	v_mad_u64_u32 v[24:25], s[24:25], v4, s12, v[24:25]
	v_mul_lo_u32 v26, v4, s13
	v_mul_lo_u32 v27, v5, s12
	v_add3_u32 v25, v27, v25, v26
	global_load_ubyte v26, v[22:23], off
	global_load_ubyte v27, v[24:25], off
	v_mov_b64_e32 v[56:57], 1
	s_waitcnt vmcnt(0)
	v_cmp_eq_u16_e32 vcc, v26, v27
	s_and_saveexec_b64 s[24:25], vcc
	s_cbranch_execz .LBB315_232
; %bb.225:
	s_mov_b64 s[30:31], 1
	s_mov_b64 s[26:27], 0
                                        ; implicit-def: $sgpr28_sgpr29
	s_branch .LBB315_228
.LBB315_226:                            ;   in Loop: Header=BB315_228 Depth=1
	v_lshl_add_u64 v[26:27], v[22:23], 0, s[30:31]
	v_lshl_add_u64 v[28:29], v[24:25], 0, s[30:31]
	global_load_ubyte v30, v[26:27], off
	global_load_ubyte v31, v[28:29], off
	s_add_u32 s34, s30, 1
	s_addc_u32 s35, s31, 0
	s_andn2_b64 s[28:29], s[28:29], exec
	s_waitcnt vmcnt(0)
	v_cmp_ne_u16_e32 vcc, v30, v31
	s_and_b64 s[36:37], vcc, exec
	s_or_b64 s[28:29], s[28:29], s[36:37]
.LBB315_227:                            ;   in Loop: Header=BB315_228 Depth=1
	s_and_b64 s[36:37], exec, s[28:29]
	s_or_b64 s[26:27], s[36:37], s[26:27]
	v_mov_b64_e32 v[26:27], s[30:31]
	s_mov_b64 s[30:31], s[34:35]
	s_andn2_b64 exec, exec, s[26:27]
	s_cbranch_execz .LBB315_231
.LBB315_228:                            ; =>This Inner Loop Header: Depth=1
	s_or_b64 s[28:29], s[28:29], exec
	s_cmp_eq_u64 s[12:13], s[30:31]
	s_cbranch_scc0 .LBB315_226
; %bb.229:                              ;   in Loop: Header=BB315_228 Depth=1
                                        ; implicit-def: $sgpr34_sgpr35
	s_mov_b64 s[30:31], s[12:13]
	s_branch .LBB315_227
.LBB315_230:
	v_mov_b64_e32 v[56:57], 0
	s_branch .LBB315_233
.LBB315_231:
	s_or_b64 exec, exec, s[26:27]
	v_cmp_gt_i64_e32 vcc, s[12:13], v[26:27]
	s_mov_b32 s26, 0
	v_mov_b32_e32 v57, s26
	v_cndmask_b32_e64 v56, 0, 1, vcc
.LBB315_232:
	s_or_b64 exec, exec, s[24:25]
.LBB315_233:
	s_or_b64 exec, exec, s[18:19]
	v_add_u32_e32 v22, 1, v1
	v_cmp_gt_u32_e32 vcc, s21, v22
	v_mov_b64_e32 v[58:59], v[4:5]
	s_and_saveexec_b64 s[18:19], vcc
	s_cbranch_execz .LBB315_244
; %bb.234:
	s_and_b64 vcc, exec, s[2:3]
	s_cbranch_vccnz .LBB315_241
; %bb.235:
	v_mov_b64_e32 v[24:25], s[14:15]
	v_mad_u64_u32 v[22:23], s[24:25], v4, s12, v[24:25]
	s_waitcnt lgkmcnt(0)
	v_mul_lo_u32 v26, v4, s13
	v_mul_lo_u32 v27, v5, s12
	v_add3_u32 v23, v27, v23, v26
	v_mad_u64_u32 v[24:25], s[24:25], v2, s12, v[24:25]
	v_mul_lo_u32 v26, v2, s13
	v_mul_lo_u32 v27, v3, s12
	v_add3_u32 v25, v27, v25, v26
	global_load_ubyte v26, v[22:23], off
	global_load_ubyte v27, v[24:25], off
	v_mov_b64_e32 v[58:59], 1
	s_waitcnt vmcnt(0)
	v_cmp_eq_u16_e32 vcc, v26, v27
	s_and_saveexec_b64 s[24:25], vcc
	s_cbranch_execz .LBB315_243
; %bb.236:
	s_mov_b64 s[30:31], 1
	s_mov_b64 s[26:27], 0
                                        ; implicit-def: $sgpr28_sgpr29
	s_branch .LBB315_239
.LBB315_237:                            ;   in Loop: Header=BB315_239 Depth=1
	v_lshl_add_u64 v[26:27], v[22:23], 0, s[30:31]
	v_lshl_add_u64 v[28:29], v[24:25], 0, s[30:31]
	global_load_ubyte v30, v[26:27], off
	global_load_ubyte v31, v[28:29], off
	s_add_u32 s34, s30, 1
	s_addc_u32 s35, s31, 0
	s_andn2_b64 s[28:29], s[28:29], exec
	s_waitcnt vmcnt(0)
	v_cmp_ne_u16_e32 vcc, v30, v31
	s_and_b64 s[36:37], vcc, exec
	s_or_b64 s[28:29], s[28:29], s[36:37]
.LBB315_238:                            ;   in Loop: Header=BB315_239 Depth=1
	s_and_b64 s[36:37], exec, s[28:29]
	s_or_b64 s[26:27], s[36:37], s[26:27]
	v_mov_b64_e32 v[26:27], s[30:31]
	s_mov_b64 s[30:31], s[34:35]
	s_andn2_b64 exec, exec, s[26:27]
	s_cbranch_execz .LBB315_242
.LBB315_239:                            ; =>This Inner Loop Header: Depth=1
	s_or_b64 s[28:29], s[28:29], exec
	s_cmp_eq_u64 s[12:13], s[30:31]
	s_cbranch_scc0 .LBB315_237
; %bb.240:                              ;   in Loop: Header=BB315_239 Depth=1
                                        ; implicit-def: $sgpr34_sgpr35
	s_mov_b64 s[30:31], s[12:13]
	s_branch .LBB315_238
.LBB315_241:
	v_mov_b64_e32 v[58:59], 0
	s_branch .LBB315_244
.LBB315_242:
	s_or_b64 exec, exec, s[26:27]
	v_cmp_gt_i64_e32 vcc, s[12:13], v[26:27]
	s_mov_b32 s26, 0
	v_mov_b32_e32 v59, s26
	v_cndmask_b32_e64 v58, 0, 1, vcc
.LBB315_243:
	s_or_b64 exec, exec, s[24:25]
.LBB315_244:
	s_or_b64 exec, exec, s[18:19]
	v_cmp_ne_u32_e32 vcc, 0, v0
	s_waitcnt lgkmcnt(0)
	v_mov_b64_e32 v[26:27], s[16:17]
	s_barrier
	s_and_saveexec_b64 s[16:17], vcc
	s_cbranch_execz .LBB315_246
; %bb.245:
	v_add_u32_e32 v22, -8, v40
	ds_read_b64 v[26:27], v22
.LBB315_246:
	s_or_b64 exec, exec, s[16:17]
	v_cmp_gt_u32_e32 vcc, s21, v1
                                        ; implicit-def: $sgpr18_sgpr19
	s_and_saveexec_b64 s[16:17], vcc
	s_cbranch_execz .LBB315_258
; %bb.247:
	s_and_b64 vcc, exec, s[2:3]
	s_cbranch_vccnz .LBB315_254
; %bb.248:
	v_mov_b64_e32 v[24:25], s[14:15]
	v_mad_u64_u32 v[22:23], s[2:3], v2, s12, v[24:25]
	v_mul_lo_u32 v1, v2, s13
	v_mul_lo_u32 v28, v3, s12
	v_add3_u32 v23, v28, v23, v1
	s_waitcnt lgkmcnt(0)
	v_mad_u64_u32 v[24:25], s[2:3], v26, s12, v[24:25]
	v_mul_lo_u32 v1, v26, s13
	v_mul_lo_u32 v26, v27, s12
	v_add3_u32 v25, v26, v25, v1
	global_load_ubyte v1, v[22:23], off
	global_load_ubyte v26, v[24:25], off
	s_mov_b64 s[18:19], -1
	s_waitcnt vmcnt(0)
	v_cmp_eq_u16_e32 vcc, v1, v26
	s_and_saveexec_b64 s[2:3], vcc
	s_cbranch_execz .LBB315_256
; %bb.249:
	s_mov_b64 s[26:27], 1
	s_mov_b64 s[18:19], 0
                                        ; implicit-def: $sgpr24_sgpr25
	s_branch .LBB315_252
.LBB315_250:                            ;   in Loop: Header=BB315_252 Depth=1
	v_lshl_add_u64 v[26:27], v[22:23], 0, s[26:27]
	v_lshl_add_u64 v[28:29], v[24:25], 0, s[26:27]
	global_load_ubyte v1, v[26:27], off
	global_load_ubyte v30, v[28:29], off
	s_add_u32 s28, s26, 1
	s_addc_u32 s29, s27, 0
	s_andn2_b64 s[24:25], s[24:25], exec
	s_waitcnt vmcnt(0)
	v_cmp_ne_u16_e32 vcc, v1, v30
	s_and_b64 s[30:31], vcc, exec
	s_or_b64 s[24:25], s[24:25], s[30:31]
.LBB315_251:                            ;   in Loop: Header=BB315_252 Depth=1
	s_and_b64 s[30:31], exec, s[24:25]
	s_or_b64 s[18:19], s[30:31], s[18:19]
	v_mov_b64_e32 v[26:27], s[26:27]
	s_mov_b64 s[26:27], s[28:29]
	s_andn2_b64 exec, exec, s[18:19]
	s_cbranch_execz .LBB315_255
.LBB315_252:                            ; =>This Inner Loop Header: Depth=1
	s_or_b64 s[24:25], s[24:25], exec
	s_cmp_eq_u64 s[12:13], s[26:27]
	s_cbranch_scc0 .LBB315_250
; %bb.253:                              ;   in Loop: Header=BB315_252 Depth=1
                                        ; implicit-def: $sgpr28_sgpr29
	s_mov_b64 s[26:27], s[12:13]
	s_branch .LBB315_251
.LBB315_254:
	s_mov_b64 s[18:19], 0
	s_branch .LBB315_257
.LBB315_255:
	s_or_b64 exec, exec, s[18:19]
	v_cmp_gt_i64_e32 vcc, s[12:13], v[26:27]
	s_orn2_b64 s[18:19], vcc, exec
.LBB315_256:
	s_or_b64 exec, exec, s[2:3]
.LBB315_257:
	s_and_b64 s[18:19], s[18:19], exec
	s_or_b64 s[22:23], s[22:23], exec
.LBB315_258:
	s_or_b64 exec, exec, s[16:17]
	v_mov_b64_e32 v[60:61], v[44:45]
	v_mov_b64_e32 v[22:23], v[38:39]
	;; [unrolled: 1-line block ×8, first 2 shown]
	s_waitcnt lgkmcnt(0)
	v_mov_b64_e32 v[26:27], v[46:47]
	s_branch .LBB315_488
.LBB315_259:
	s_cmp_lg_u64 s[4:5], 1
	s_cbranch_scc0 .LBB315_267
; %bb.260:
	v_mul_lo_u32 v1, v21, s12
	v_mul_lo_u32 v24, v20, s13
	s_waitcnt lgkmcnt(0)
	v_mad_u64_u32 v[22:23], s[16:17], v20, s12, 0
	v_mov_b64_e32 v[38:39], 0
	v_cmp_lt_i64_e64 s[2:3], s[12:13], 1
	v_add3_u32 v23, v23, v24, v1
	v_cmp_gt_i64_e64 s[4:5], s[12:13], 0
	s_and_b64 vcc, exec, s[2:3]
	v_lshl_add_u64 v[22:23], s[14:15], 0, v[22:23]
	v_mov_b64_e32 v[42:43], v[38:39]
	ds_write_b64 v40, v[36:37]
	s_cbranch_vccnz .LBB315_270
; %bb.261:
	v_mov_b64_e32 v[24:25], s[14:15]
	v_mad_u64_u32 v[24:25], s[2:3], v36, s12, v[24:25]
	v_mul_lo_u32 v1, v36, s13
	v_mul_lo_u32 v26, v37, s12
	v_add3_u32 v25, v26, v25, v1
	global_load_ubyte v1, v[24:25], off
	global_load_ubyte v26, v[22:23], off
	v_mov_b64_e32 v[42:43], 1
	s_waitcnt vmcnt(0)
	v_cmp_eq_u16_e32 vcc, v1, v26
	s_and_saveexec_b64 s[2:3], vcc
	s_cbranch_execz .LBB315_269
; %bb.262:
	s_mov_b64 s[24:25], 1
	s_mov_b64 s[16:17], 0
                                        ; implicit-def: $sgpr18_sgpr19
	s_branch .LBB315_265
.LBB315_263:                            ;   in Loop: Header=BB315_265 Depth=1
	v_lshl_add_u64 v[26:27], v[24:25], 0, s[24:25]
	v_lshl_add_u64 v[28:29], v[22:23], 0, s[24:25]
	global_load_ubyte v1, v[26:27], off
	global_load_ubyte v30, v[28:29], off
	s_add_u32 s26, s24, 1
	s_addc_u32 s27, s25, 0
	s_andn2_b64 s[18:19], s[18:19], exec
	s_waitcnt vmcnt(0)
	v_cmp_ne_u16_e32 vcc, v1, v30
	s_and_b64 s[28:29], vcc, exec
	s_or_b64 s[18:19], s[18:19], s[28:29]
.LBB315_264:                            ;   in Loop: Header=BB315_265 Depth=1
	s_and_b64 s[28:29], exec, s[18:19]
	s_or_b64 s[16:17], s[28:29], s[16:17]
	v_mov_b64_e32 v[26:27], s[24:25]
	s_mov_b64 s[24:25], s[26:27]
	s_andn2_b64 exec, exec, s[16:17]
	s_cbranch_execz .LBB315_268
.LBB315_265:                            ; =>This Inner Loop Header: Depth=1
	s_or_b64 s[18:19], s[18:19], exec
	s_cmp_eq_u64 s[12:13], s[24:25]
	s_cbranch_scc0 .LBB315_263
; %bb.266:                              ;   in Loop: Header=BB315_265 Depth=1
                                        ; implicit-def: $sgpr26_sgpr27
	s_mov_b64 s[24:25], s[12:13]
	s_branch .LBB315_264
.LBB315_267:
                                        ; implicit-def: $vgpr22_vgpr23_vgpr24_vgpr25
                                        ; implicit-def: $sgpr18_sgpr19
                                        ; implicit-def: $vgpr42_vgpr43
                                        ; implicit-def: $vgpr44_vgpr45
                                        ; implicit-def: $vgpr38_vgpr39
                                        ; implicit-def: $vgpr58_vgpr59
                                        ; implicit-def: $vgpr56_vgpr57
                                        ; implicit-def: $vgpr54_vgpr55
                                        ; implicit-def: $vgpr52_vgpr53
                                        ; implicit-def: $vgpr50_vgpr51
                                        ; implicit-def: $vgpr48_vgpr49
                                        ; implicit-def: $vgpr46_vgpr47
                                        ; implicit-def: $vgpr60_vgpr61
                                        ; implicit-def: $vgpr68_vgpr69
                                        ; implicit-def: $vgpr62_vgpr63
                                        ; implicit-def: $vgpr64_vgpr65
                                        ; implicit-def: $vgpr66_vgpr67
                                        ; implicit-def: $vgpr24_vgpr25_vgpr26_vgpr27
                                        ; implicit-def: $vgpr28_vgpr29_vgpr30_vgpr31
                                        ; implicit-def: $vgpr32_vgpr33_vgpr34_vgpr35
	s_cbranch_execnz .LBB315_365
	s_branch .LBB315_488
.LBB315_268:
	s_or_b64 exec, exec, s[16:17]
	v_cmp_gt_i64_e32 vcc, s[12:13], v[26:27]
	s_mov_b32 s16, 0
	v_mov_b32_e32 v43, s16
	v_cndmask_b32_e64 v42, 0, 1, vcc
.LBB315_269:
	s_or_b64 exec, exec, s[2:3]
.LBB315_270:
	v_mul_lo_u32 v1, v19, s12
	v_mul_lo_u32 v26, v18, s13
	v_mad_u64_u32 v[24:25], s[2:3], v18, s12, 0
	v_add3_u32 v25, v25, v26, v1
	v_cndmask_b32_e64 v1, 0, 1, s[4:5]
	v_cmp_ne_u32_e64 s[2:3], 1, v1
	s_andn2_b64 vcc, exec, s[4:5]
	v_lshl_add_u64 v[24:25], s[14:15], 0, v[24:25]
	v_mov_b64_e32 v[44:45], v[38:39]
	s_cbranch_vccnz .LBB315_279
; %bb.271:
	global_load_ubyte v1, v[22:23], off
	global_load_ubyte v26, v[24:25], off
	v_mov_b64_e32 v[44:45], 1
	s_waitcnt vmcnt(0)
	v_cmp_eq_u16_e32 vcc, v1, v26
	s_and_saveexec_b64 s[4:5], vcc
	s_cbranch_execz .LBB315_278
; %bb.272:
	s_mov_b64 s[24:25], 1
	s_mov_b64 s[16:17], 0
                                        ; implicit-def: $sgpr18_sgpr19
	s_branch .LBB315_275
.LBB315_273:                            ;   in Loop: Header=BB315_275 Depth=1
	v_lshl_add_u64 v[26:27], v[22:23], 0, s[24:25]
	v_lshl_add_u64 v[28:29], v[24:25], 0, s[24:25]
	global_load_ubyte v1, v[26:27], off
	global_load_ubyte v30, v[28:29], off
	s_add_u32 s26, s24, 1
	s_addc_u32 s27, s25, 0
	s_andn2_b64 s[18:19], s[18:19], exec
	s_waitcnt vmcnt(0)
	v_cmp_ne_u16_e32 vcc, v1, v30
	s_and_b64 s[28:29], vcc, exec
	s_or_b64 s[18:19], s[18:19], s[28:29]
.LBB315_274:                            ;   in Loop: Header=BB315_275 Depth=1
	s_and_b64 s[28:29], exec, s[18:19]
	s_or_b64 s[16:17], s[28:29], s[16:17]
	v_mov_b64_e32 v[26:27], s[24:25]
	s_mov_b64 s[24:25], s[26:27]
	s_andn2_b64 exec, exec, s[16:17]
	s_cbranch_execz .LBB315_277
.LBB315_275:                            ; =>This Inner Loop Header: Depth=1
	s_or_b64 s[18:19], s[18:19], exec
	s_cmp_eq_u64 s[12:13], s[24:25]
	s_cbranch_scc0 .LBB315_273
; %bb.276:                              ;   in Loop: Header=BB315_275 Depth=1
                                        ; implicit-def: $sgpr26_sgpr27
	s_mov_b64 s[24:25], s[12:13]
	s_branch .LBB315_274
.LBB315_277:
	s_or_b64 exec, exec, s[16:17]
	v_cmp_gt_i64_e32 vcc, s[12:13], v[26:27]
	s_mov_b32 s16, 0
	v_mov_b32_e32 v45, s16
	v_cndmask_b32_e64 v44, 0, 1, vcc
.LBB315_278:
	s_or_b64 exec, exec, s[4:5]
.LBB315_279:
	v_mul_lo_u32 v1, v17, s12
	v_mul_lo_u32 v26, v16, s13
	v_mad_u64_u32 v[22:23], s[4:5], v16, s12, 0
	v_add3_u32 v23, v23, v26, v1
	s_and_b64 vcc, exec, s[2:3]
	v_lshl_add_u64 v[22:23], s[14:15], 0, v[22:23]
	s_cbranch_vccnz .LBB315_288
; %bb.280:
	global_load_ubyte v1, v[24:25], off
	global_load_ubyte v26, v[22:23], off
	v_mov_b64_e32 v[38:39], 1
	s_waitcnt vmcnt(0)
	v_cmp_eq_u16_e32 vcc, v1, v26
	s_and_saveexec_b64 s[4:5], vcc
	s_cbranch_execz .LBB315_287
; %bb.281:
	s_mov_b64 s[24:25], 1
	s_mov_b64 s[16:17], 0
                                        ; implicit-def: $sgpr18_sgpr19
	s_branch .LBB315_284
.LBB315_282:                            ;   in Loop: Header=BB315_284 Depth=1
	v_lshl_add_u64 v[26:27], v[24:25], 0, s[24:25]
	v_lshl_add_u64 v[28:29], v[22:23], 0, s[24:25]
	global_load_ubyte v1, v[26:27], off
	global_load_ubyte v30, v[28:29], off
	s_add_u32 s26, s24, 1
	s_addc_u32 s27, s25, 0
	s_andn2_b64 s[18:19], s[18:19], exec
	s_waitcnt vmcnt(0)
	v_cmp_ne_u16_e32 vcc, v1, v30
	s_and_b64 s[28:29], vcc, exec
	s_or_b64 s[18:19], s[18:19], s[28:29]
.LBB315_283:                            ;   in Loop: Header=BB315_284 Depth=1
	s_and_b64 s[28:29], exec, s[18:19]
	s_or_b64 s[16:17], s[28:29], s[16:17]
	v_mov_b64_e32 v[26:27], s[24:25]
	s_mov_b64 s[24:25], s[26:27]
	s_andn2_b64 exec, exec, s[16:17]
	s_cbranch_execz .LBB315_286
.LBB315_284:                            ; =>This Inner Loop Header: Depth=1
	s_or_b64 s[18:19], s[18:19], exec
	s_cmp_eq_u64 s[12:13], s[24:25]
	s_cbranch_scc0 .LBB315_282
; %bb.285:                              ;   in Loop: Header=BB315_284 Depth=1
                                        ; implicit-def: $sgpr26_sgpr27
	s_mov_b64 s[24:25], s[12:13]
	s_branch .LBB315_283
.LBB315_286:
	s_or_b64 exec, exec, s[16:17]
	v_cmp_gt_i64_e32 vcc, s[12:13], v[26:27]
	s_mov_b32 s16, 0
	v_mov_b32_e32 v39, s16
	v_cndmask_b32_e64 v38, 0, 1, vcc
.LBB315_287:
	s_or_b64 exec, exec, s[4:5]
.LBB315_288:
	v_mul_lo_u32 v1, v15, s12
	v_mul_lo_u32 v26, v14, s13
	v_mad_u64_u32 v[24:25], s[4:5], v14, s12, 0
	v_add3_u32 v25, v25, v26, v1
	v_mov_b64_e32 v[48:49], 0
	s_and_b64 vcc, exec, s[2:3]
	v_lshl_add_u64 v[24:25], s[14:15], 0, v[24:25]
	v_mov_b64_e32 v[46:47], v[48:49]
	s_cbranch_vccnz .LBB315_297
; %bb.289:
	global_load_ubyte v1, v[22:23], off
	global_load_ubyte v26, v[24:25], off
	v_mov_b64_e32 v[46:47], 1
	s_waitcnt vmcnt(0)
	v_cmp_eq_u16_e32 vcc, v1, v26
	s_and_saveexec_b64 s[4:5], vcc
	s_cbranch_execz .LBB315_296
; %bb.290:
	s_mov_b64 s[24:25], 1
	s_mov_b64 s[16:17], 0
                                        ; implicit-def: $sgpr18_sgpr19
	s_branch .LBB315_293
.LBB315_291:                            ;   in Loop: Header=BB315_293 Depth=1
	v_lshl_add_u64 v[26:27], v[22:23], 0, s[24:25]
	v_lshl_add_u64 v[28:29], v[24:25], 0, s[24:25]
	global_load_ubyte v1, v[26:27], off
	global_load_ubyte v30, v[28:29], off
	s_add_u32 s26, s24, 1
	s_addc_u32 s27, s25, 0
	s_andn2_b64 s[18:19], s[18:19], exec
	s_waitcnt vmcnt(0)
	v_cmp_ne_u16_e32 vcc, v1, v30
	s_and_b64 s[28:29], vcc, exec
	s_or_b64 s[18:19], s[18:19], s[28:29]
.LBB315_292:                            ;   in Loop: Header=BB315_293 Depth=1
	s_and_b64 s[28:29], exec, s[18:19]
	s_or_b64 s[16:17], s[28:29], s[16:17]
	v_mov_b64_e32 v[26:27], s[24:25]
	s_mov_b64 s[24:25], s[26:27]
	s_andn2_b64 exec, exec, s[16:17]
	s_cbranch_execz .LBB315_295
.LBB315_293:                            ; =>This Inner Loop Header: Depth=1
	s_or_b64 s[18:19], s[18:19], exec
	s_cmp_eq_u64 s[12:13], s[24:25]
	s_cbranch_scc0 .LBB315_291
; %bb.294:                              ;   in Loop: Header=BB315_293 Depth=1
                                        ; implicit-def: $sgpr26_sgpr27
	s_mov_b64 s[24:25], s[12:13]
	s_branch .LBB315_292
.LBB315_295:
	s_or_b64 exec, exec, s[16:17]
	v_cmp_gt_i64_e32 vcc, s[12:13], v[26:27]
	s_mov_b32 s16, 0
	v_mov_b32_e32 v47, s16
	v_cndmask_b32_e64 v46, 0, 1, vcc
.LBB315_296:
	s_or_b64 exec, exec, s[4:5]
.LBB315_297:
	v_mul_lo_u32 v1, v13, s12
	v_mul_lo_u32 v26, v12, s13
	v_mad_u64_u32 v[22:23], s[4:5], v12, s12, 0
	v_add3_u32 v23, v23, v26, v1
	s_and_b64 vcc, exec, s[2:3]
	v_lshl_add_u64 v[22:23], s[14:15], 0, v[22:23]
	s_cbranch_vccnz .LBB315_306
; %bb.298:
	global_load_ubyte v1, v[24:25], off
	global_load_ubyte v26, v[22:23], off
	v_mov_b64_e32 v[48:49], 1
	s_waitcnt vmcnt(0)
	v_cmp_eq_u16_e32 vcc, v1, v26
	s_and_saveexec_b64 s[4:5], vcc
	s_cbranch_execz .LBB315_305
; %bb.299:
	s_mov_b64 s[24:25], 1
	s_mov_b64 s[16:17], 0
                                        ; implicit-def: $sgpr18_sgpr19
	s_branch .LBB315_302
.LBB315_300:                            ;   in Loop: Header=BB315_302 Depth=1
	v_lshl_add_u64 v[26:27], v[24:25], 0, s[24:25]
	v_lshl_add_u64 v[28:29], v[22:23], 0, s[24:25]
	global_load_ubyte v1, v[26:27], off
	global_load_ubyte v30, v[28:29], off
	s_add_u32 s26, s24, 1
	s_addc_u32 s27, s25, 0
	s_andn2_b64 s[18:19], s[18:19], exec
	s_waitcnt vmcnt(0)
	v_cmp_ne_u16_e32 vcc, v1, v30
	s_and_b64 s[28:29], vcc, exec
	s_or_b64 s[18:19], s[18:19], s[28:29]
.LBB315_301:                            ;   in Loop: Header=BB315_302 Depth=1
	s_and_b64 s[28:29], exec, s[18:19]
	s_or_b64 s[16:17], s[28:29], s[16:17]
	v_mov_b64_e32 v[26:27], s[24:25]
	s_mov_b64 s[24:25], s[26:27]
	s_andn2_b64 exec, exec, s[16:17]
	s_cbranch_execz .LBB315_304
.LBB315_302:                            ; =>This Inner Loop Header: Depth=1
	s_or_b64 s[18:19], s[18:19], exec
	s_cmp_eq_u64 s[12:13], s[24:25]
	s_cbranch_scc0 .LBB315_300
; %bb.303:                              ;   in Loop: Header=BB315_302 Depth=1
                                        ; implicit-def: $sgpr26_sgpr27
	s_mov_b64 s[24:25], s[12:13]
	s_branch .LBB315_301
.LBB315_304:
	s_or_b64 exec, exec, s[16:17]
	v_cmp_gt_i64_e32 vcc, s[12:13], v[26:27]
	s_mov_b32 s16, 0
	v_mov_b32_e32 v49, s16
	v_cndmask_b32_e64 v48, 0, 1, vcc
.LBB315_305:
	s_or_b64 exec, exec, s[4:5]
.LBB315_306:
	v_mul_lo_u32 v1, v11, s12
	v_mul_lo_u32 v26, v10, s13
	v_mad_u64_u32 v[24:25], s[4:5], v10, s12, 0
	v_add3_u32 v25, v25, v26, v1
	v_mov_b64_e32 v[52:53], 0
	s_and_b64 vcc, exec, s[2:3]
	v_lshl_add_u64 v[24:25], s[14:15], 0, v[24:25]
	v_mov_b64_e32 v[50:51], v[52:53]
	s_cbranch_vccnz .LBB315_315
; %bb.307:
	global_load_ubyte v1, v[22:23], off
	global_load_ubyte v26, v[24:25], off
	v_mov_b64_e32 v[50:51], 1
	s_waitcnt vmcnt(0)
	v_cmp_eq_u16_e32 vcc, v1, v26
	s_and_saveexec_b64 s[4:5], vcc
	s_cbranch_execz .LBB315_314
; %bb.308:
	s_mov_b64 s[24:25], 1
	s_mov_b64 s[16:17], 0
                                        ; implicit-def: $sgpr18_sgpr19
	s_branch .LBB315_311
.LBB315_309:                            ;   in Loop: Header=BB315_311 Depth=1
	v_lshl_add_u64 v[26:27], v[22:23], 0, s[24:25]
	v_lshl_add_u64 v[28:29], v[24:25], 0, s[24:25]
	global_load_ubyte v1, v[26:27], off
	global_load_ubyte v30, v[28:29], off
	s_add_u32 s26, s24, 1
	s_addc_u32 s27, s25, 0
	s_andn2_b64 s[18:19], s[18:19], exec
	s_waitcnt vmcnt(0)
	v_cmp_ne_u16_e32 vcc, v1, v30
	s_and_b64 s[28:29], vcc, exec
	s_or_b64 s[18:19], s[18:19], s[28:29]
.LBB315_310:                            ;   in Loop: Header=BB315_311 Depth=1
	s_and_b64 s[28:29], exec, s[18:19]
	s_or_b64 s[16:17], s[28:29], s[16:17]
	v_mov_b64_e32 v[26:27], s[24:25]
	s_mov_b64 s[24:25], s[26:27]
	s_andn2_b64 exec, exec, s[16:17]
	s_cbranch_execz .LBB315_313
.LBB315_311:                            ; =>This Inner Loop Header: Depth=1
	s_or_b64 s[18:19], s[18:19], exec
	s_cmp_eq_u64 s[12:13], s[24:25]
	s_cbranch_scc0 .LBB315_309
; %bb.312:                              ;   in Loop: Header=BB315_311 Depth=1
                                        ; implicit-def: $sgpr26_sgpr27
	s_mov_b64 s[24:25], s[12:13]
	s_branch .LBB315_310
.LBB315_313:
	s_or_b64 exec, exec, s[16:17]
	v_cmp_gt_i64_e32 vcc, s[12:13], v[26:27]
	s_mov_b32 s16, 0
	v_mov_b32_e32 v51, s16
	v_cndmask_b32_e64 v50, 0, 1, vcc
.LBB315_314:
	s_or_b64 exec, exec, s[4:5]
.LBB315_315:
	v_mul_lo_u32 v1, v9, s12
	v_mul_lo_u32 v26, v8, s13
	v_mad_u64_u32 v[22:23], s[4:5], v8, s12, 0
	v_add3_u32 v23, v23, v26, v1
	s_and_b64 vcc, exec, s[2:3]
	v_lshl_add_u64 v[22:23], s[14:15], 0, v[22:23]
	s_cbranch_vccnz .LBB315_324
; %bb.316:
	global_load_ubyte v1, v[24:25], off
	global_load_ubyte v26, v[22:23], off
	v_mov_b64_e32 v[52:53], 1
	s_waitcnt vmcnt(0)
	v_cmp_eq_u16_e32 vcc, v1, v26
	s_and_saveexec_b64 s[4:5], vcc
	s_cbranch_execz .LBB315_323
; %bb.317:
	s_mov_b64 s[24:25], 1
	s_mov_b64 s[16:17], 0
                                        ; implicit-def: $sgpr18_sgpr19
	s_branch .LBB315_320
.LBB315_318:                            ;   in Loop: Header=BB315_320 Depth=1
	v_lshl_add_u64 v[26:27], v[24:25], 0, s[24:25]
	v_lshl_add_u64 v[28:29], v[22:23], 0, s[24:25]
	global_load_ubyte v1, v[26:27], off
	global_load_ubyte v30, v[28:29], off
	s_add_u32 s26, s24, 1
	s_addc_u32 s27, s25, 0
	s_andn2_b64 s[18:19], s[18:19], exec
	s_waitcnt vmcnt(0)
	v_cmp_ne_u16_e32 vcc, v1, v30
	s_and_b64 s[28:29], vcc, exec
	s_or_b64 s[18:19], s[18:19], s[28:29]
.LBB315_319:                            ;   in Loop: Header=BB315_320 Depth=1
	s_and_b64 s[28:29], exec, s[18:19]
	s_or_b64 s[16:17], s[28:29], s[16:17]
	v_mov_b64_e32 v[26:27], s[24:25]
	s_mov_b64 s[24:25], s[26:27]
	s_andn2_b64 exec, exec, s[16:17]
	s_cbranch_execz .LBB315_322
.LBB315_320:                            ; =>This Inner Loop Header: Depth=1
	s_or_b64 s[18:19], s[18:19], exec
	s_cmp_eq_u64 s[12:13], s[24:25]
	s_cbranch_scc0 .LBB315_318
; %bb.321:                              ;   in Loop: Header=BB315_320 Depth=1
                                        ; implicit-def: $sgpr26_sgpr27
	s_mov_b64 s[24:25], s[12:13]
	s_branch .LBB315_319
.LBB315_322:
	s_or_b64 exec, exec, s[16:17]
	v_cmp_gt_i64_e32 vcc, s[12:13], v[26:27]
	s_mov_b32 s16, 0
	v_mov_b32_e32 v53, s16
	v_cndmask_b32_e64 v52, 0, 1, vcc
.LBB315_323:
	s_or_b64 exec, exec, s[4:5]
.LBB315_324:
	v_mul_lo_u32 v1, v7, s12
	v_mul_lo_u32 v26, v6, s13
	v_mad_u64_u32 v[24:25], s[4:5], v6, s12, 0
	v_add3_u32 v25, v25, v26, v1
	v_mov_b64_e32 v[56:57], 0
	s_and_b64 vcc, exec, s[2:3]
	v_lshl_add_u64 v[24:25], s[14:15], 0, v[24:25]
	v_mov_b64_e32 v[54:55], v[56:57]
	s_cbranch_vccnz .LBB315_333
; %bb.325:
	global_load_ubyte v1, v[22:23], off
	global_load_ubyte v26, v[24:25], off
	v_mov_b64_e32 v[54:55], 1
	s_waitcnt vmcnt(0)
	v_cmp_eq_u16_e32 vcc, v1, v26
	s_and_saveexec_b64 s[4:5], vcc
	s_cbranch_execz .LBB315_332
; %bb.326:
	s_mov_b64 s[24:25], 1
	s_mov_b64 s[16:17], 0
                                        ; implicit-def: $sgpr18_sgpr19
	s_branch .LBB315_329
.LBB315_327:                            ;   in Loop: Header=BB315_329 Depth=1
	v_lshl_add_u64 v[26:27], v[22:23], 0, s[24:25]
	v_lshl_add_u64 v[28:29], v[24:25], 0, s[24:25]
	global_load_ubyte v1, v[26:27], off
	global_load_ubyte v30, v[28:29], off
	s_add_u32 s26, s24, 1
	s_addc_u32 s27, s25, 0
	s_andn2_b64 s[18:19], s[18:19], exec
	s_waitcnt vmcnt(0)
	v_cmp_ne_u16_e32 vcc, v1, v30
	s_and_b64 s[28:29], vcc, exec
	s_or_b64 s[18:19], s[18:19], s[28:29]
.LBB315_328:                            ;   in Loop: Header=BB315_329 Depth=1
	s_and_b64 s[28:29], exec, s[18:19]
	s_or_b64 s[16:17], s[28:29], s[16:17]
	v_mov_b64_e32 v[26:27], s[24:25]
	s_mov_b64 s[24:25], s[26:27]
	s_andn2_b64 exec, exec, s[16:17]
	s_cbranch_execz .LBB315_331
.LBB315_329:                            ; =>This Inner Loop Header: Depth=1
	s_or_b64 s[18:19], s[18:19], exec
	s_cmp_eq_u64 s[12:13], s[24:25]
	s_cbranch_scc0 .LBB315_327
; %bb.330:                              ;   in Loop: Header=BB315_329 Depth=1
                                        ; implicit-def: $sgpr26_sgpr27
	s_mov_b64 s[24:25], s[12:13]
	s_branch .LBB315_328
.LBB315_331:
	s_or_b64 exec, exec, s[16:17]
	v_cmp_gt_i64_e32 vcc, s[12:13], v[26:27]
	s_mov_b32 s16, 0
	v_mov_b32_e32 v55, s16
	v_cndmask_b32_e64 v54, 0, 1, vcc
.LBB315_332:
	s_or_b64 exec, exec, s[4:5]
.LBB315_333:
	v_mul_lo_u32 v1, v5, s12
	v_mul_lo_u32 v26, v4, s13
	v_mad_u64_u32 v[22:23], s[4:5], v4, s12, 0
	v_add3_u32 v23, v23, v26, v1
	s_and_b64 vcc, exec, s[2:3]
	v_lshl_add_u64 v[22:23], s[14:15], 0, v[22:23]
	s_cbranch_vccnz .LBB315_342
; %bb.334:
	global_load_ubyte v1, v[24:25], off
	global_load_ubyte v26, v[22:23], off
	v_mov_b64_e32 v[56:57], 1
	s_waitcnt vmcnt(0)
	v_cmp_eq_u16_e32 vcc, v1, v26
	s_and_saveexec_b64 s[4:5], vcc
	s_cbranch_execz .LBB315_341
; %bb.335:
	s_mov_b64 s[24:25], 1
	s_mov_b64 s[16:17], 0
                                        ; implicit-def: $sgpr18_sgpr19
	s_branch .LBB315_338
.LBB315_336:                            ;   in Loop: Header=BB315_338 Depth=1
	v_lshl_add_u64 v[26:27], v[24:25], 0, s[24:25]
	v_lshl_add_u64 v[28:29], v[22:23], 0, s[24:25]
	global_load_ubyte v1, v[26:27], off
	global_load_ubyte v30, v[28:29], off
	s_add_u32 s26, s24, 1
	s_addc_u32 s27, s25, 0
	s_andn2_b64 s[18:19], s[18:19], exec
	s_waitcnt vmcnt(0)
	v_cmp_ne_u16_e32 vcc, v1, v30
	s_and_b64 s[28:29], vcc, exec
	s_or_b64 s[18:19], s[18:19], s[28:29]
.LBB315_337:                            ;   in Loop: Header=BB315_338 Depth=1
	s_and_b64 s[28:29], exec, s[18:19]
	s_or_b64 s[16:17], s[28:29], s[16:17]
	v_mov_b64_e32 v[26:27], s[24:25]
	s_mov_b64 s[24:25], s[26:27]
	s_andn2_b64 exec, exec, s[16:17]
	s_cbranch_execz .LBB315_340
.LBB315_338:                            ; =>This Inner Loop Header: Depth=1
	s_or_b64 s[18:19], s[18:19], exec
	s_cmp_eq_u64 s[12:13], s[24:25]
	s_cbranch_scc0 .LBB315_336
; %bb.339:                              ;   in Loop: Header=BB315_338 Depth=1
                                        ; implicit-def: $sgpr26_sgpr27
	s_mov_b64 s[24:25], s[12:13]
	s_branch .LBB315_337
.LBB315_340:
	s_or_b64 exec, exec, s[16:17]
	v_cmp_gt_i64_e32 vcc, s[12:13], v[26:27]
	s_mov_b32 s16, 0
	v_mov_b32_e32 v57, s16
	v_cndmask_b32_e64 v56, 0, 1, vcc
.LBB315_341:
	s_or_b64 exec, exec, s[4:5]
.LBB315_342:
	s_and_b64 vcc, exec, s[2:3]
	s_cbranch_vccnz .LBB315_349
; %bb.343:
	v_mov_b64_e32 v[24:25], s[14:15]
	v_mad_u64_u32 v[24:25], s[4:5], v2, s12, v[24:25]
	v_mul_lo_u32 v1, v2, s13
	v_mul_lo_u32 v26, v3, s12
	v_add3_u32 v25, v26, v25, v1
	global_load_ubyte v1, v[22:23], off
	global_load_ubyte v26, v[24:25], off
	v_mov_b64_e32 v[58:59], 1
	s_waitcnt vmcnt(0)
	v_cmp_eq_u16_e32 vcc, v1, v26
	s_and_saveexec_b64 s[4:5], vcc
	s_cbranch_execz .LBB315_351
; %bb.344:
	s_mov_b64 s[24:25], 1
	s_mov_b64 s[16:17], 0
                                        ; implicit-def: $sgpr18_sgpr19
	s_branch .LBB315_347
.LBB315_345:                            ;   in Loop: Header=BB315_347 Depth=1
	v_lshl_add_u64 v[26:27], v[22:23], 0, s[24:25]
	v_lshl_add_u64 v[28:29], v[24:25], 0, s[24:25]
	global_load_ubyte v1, v[26:27], off
	global_load_ubyte v30, v[28:29], off
	s_add_u32 s26, s24, 1
	s_addc_u32 s27, s25, 0
	s_andn2_b64 s[18:19], s[18:19], exec
	s_waitcnt vmcnt(0)
	v_cmp_ne_u16_e32 vcc, v1, v30
	s_and_b64 s[28:29], vcc, exec
	s_or_b64 s[18:19], s[18:19], s[28:29]
.LBB315_346:                            ;   in Loop: Header=BB315_347 Depth=1
	s_and_b64 s[28:29], exec, s[18:19]
	s_or_b64 s[16:17], s[28:29], s[16:17]
	v_mov_b64_e32 v[26:27], s[24:25]
	s_mov_b64 s[24:25], s[26:27]
	s_andn2_b64 exec, exec, s[16:17]
	s_cbranch_execz .LBB315_350
.LBB315_347:                            ; =>This Inner Loop Header: Depth=1
	s_or_b64 s[18:19], s[18:19], exec
	s_cmp_eq_u64 s[12:13], s[24:25]
	s_cbranch_scc0 .LBB315_345
; %bb.348:                              ;   in Loop: Header=BB315_347 Depth=1
                                        ; implicit-def: $sgpr26_sgpr27
	s_mov_b64 s[24:25], s[12:13]
	s_branch .LBB315_346
.LBB315_349:
	v_mov_b64_e32 v[58:59], 0
	s_branch .LBB315_352
.LBB315_350:
	s_or_b64 exec, exec, s[16:17]
	v_cmp_gt_i64_e32 vcc, s[12:13], v[26:27]
	s_mov_b32 s16, 0
	v_mov_b32_e32 v59, s16
	v_cndmask_b32_e64 v58, 0, 1, vcc
.LBB315_351:
	s_or_b64 exec, exec, s[4:5]
.LBB315_352:
	v_cmp_ne_u32_e32 vcc, 0, v0
	s_waitcnt lgkmcnt(0)
	s_barrier
	s_waitcnt lgkmcnt(0)
                                        ; implicit-def: $sgpr18_sgpr19
	s_and_saveexec_b64 s[4:5], vcc
	s_cbranch_execz .LBB315_364
; %bb.353:
	s_and_b64 vcc, exec, s[2:3]
	s_cbranch_vccnz .LBB315_360
; %bb.354:
	v_add_u32_e32 v1, -8, v40
	ds_read_b64 v[24:25], v1
	v_mov_b64_e32 v[26:27], s[14:15]
	v_mad_u64_u32 v[22:23], s[2:3], v2, s12, v[26:27]
	v_mul_lo_u32 v1, v2, s13
	v_mul_lo_u32 v28, v3, s12
	v_add3_u32 v23, v28, v23, v1
	s_waitcnt lgkmcnt(0)
	v_mul_lo_u32 v1, v24, s13
	v_mul_lo_u32 v28, v25, s12
	v_mad_u64_u32 v[24:25], s[2:3], v24, s12, v[26:27]
	v_add3_u32 v25, v28, v25, v1
	global_load_ubyte v1, v[22:23], off
	global_load_ubyte v26, v[24:25], off
	s_mov_b64 s[16:17], -1
	s_waitcnt vmcnt(0)
	v_cmp_eq_u16_e32 vcc, v1, v26
	s_and_saveexec_b64 s[2:3], vcc
	s_cbranch_execz .LBB315_362
; %bb.355:
	s_mov_b64 s[24:25], 1
	s_mov_b64 s[16:17], 0
                                        ; implicit-def: $sgpr18_sgpr19
	s_branch .LBB315_358
.LBB315_356:                            ;   in Loop: Header=BB315_358 Depth=1
	v_lshl_add_u64 v[26:27], v[22:23], 0, s[24:25]
	v_lshl_add_u64 v[28:29], v[24:25], 0, s[24:25]
	global_load_ubyte v1, v[26:27], off
	global_load_ubyte v30, v[28:29], off
	s_add_u32 s26, s24, 1
	s_addc_u32 s27, s25, 0
	s_andn2_b64 s[18:19], s[18:19], exec
	s_waitcnt vmcnt(0)
	v_cmp_ne_u16_e32 vcc, v1, v30
	s_and_b64 s[28:29], vcc, exec
	s_or_b64 s[18:19], s[18:19], s[28:29]
.LBB315_357:                            ;   in Loop: Header=BB315_358 Depth=1
	s_and_b64 s[28:29], exec, s[18:19]
	s_or_b64 s[16:17], s[28:29], s[16:17]
	v_mov_b64_e32 v[26:27], s[24:25]
	s_mov_b64 s[24:25], s[26:27]
	s_andn2_b64 exec, exec, s[16:17]
	s_cbranch_execz .LBB315_361
.LBB315_358:                            ; =>This Inner Loop Header: Depth=1
	s_or_b64 s[18:19], s[18:19], exec
	s_cmp_eq_u64 s[12:13], s[24:25]
	s_cbranch_scc0 .LBB315_356
; %bb.359:                              ;   in Loop: Header=BB315_358 Depth=1
                                        ; implicit-def: $sgpr26_sgpr27
	s_mov_b64 s[24:25], s[12:13]
	s_branch .LBB315_357
.LBB315_360:
	s_mov_b64 s[16:17], 0
	s_branch .LBB315_363
.LBB315_361:
	s_or_b64 exec, exec, s[16:17]
	v_cmp_gt_i64_e32 vcc, s[12:13], v[26:27]
	s_orn2_b64 s[16:17], vcc, exec
.LBB315_362:
	s_or_b64 exec, exec, s[2:3]
.LBB315_363:
	s_and_b64 s[18:19], s[16:17], exec
	s_or_b64 s[22:23], s[22:23], exec
.LBB315_364:
	s_or_b64 exec, exec, s[4:5]
	v_mov_b64_e32 v[60:61], v[44:45]
	v_mov_b64_e32 v[22:23], v[38:39]
	v_mov_b64_e32 v[68:69], v[58:59]
	v_mov_b64_e32 v[62:63], v[56:57]
	v_mov_b64_e32 v[34:35], v[54:55]
	v_mov_b64_e32 v[64:65], v[52:53]
	v_mov_b64_e32 v[30:31], v[50:51]
	v_mov_b64_e32 v[66:67], v[48:49]
	v_mov_b64_e32 v[26:27], v[46:47]
	s_branch .LBB315_488
.LBB315_365:
	v_mad_u32_u24 v22, v0, 11, 10
	v_cmp_gt_i64_e64 s[2:3], s[12:13], 0
	v_cmp_gt_u32_e32 vcc, s10, v22
	v_mul_u32_u24_e32 v1, 11, v0
	v_cndmask_b32_e64 v22, 0, 1, s[2:3]
	v_cmp_ne_u32_e64 s[2:3], 1, v22
	ds_write_b64 v40, v[36:37]
	s_and_saveexec_b64 s[4:5], vcc
	s_cbranch_execz .LBB315_376
; %bb.366:
	s_and_b64 vcc, exec, s[2:3]
	s_cbranch_vccnz .LBB315_373
; %bb.367:
	v_mov_b64_e32 v[24:25], s[14:15]
	s_waitcnt lgkmcnt(0)
	v_mad_u64_u32 v[22:23], s[16:17], v36, s12, v[24:25]
	v_mul_lo_u32 v26, v36, s13
	v_mul_lo_u32 v27, v37, s12
	v_add3_u32 v23, v27, v23, v26
	v_mad_u64_u32 v[24:25], s[16:17], v20, s12, v[24:25]
	v_mul_lo_u32 v26, v20, s13
	v_mul_lo_u32 v27, v21, s12
	v_add3_u32 v25, v27, v25, v26
	global_load_ubyte v26, v[22:23], off
	global_load_ubyte v27, v[24:25], off
	v_mov_b64_e32 v[36:37], 1
	s_waitcnt vmcnt(0)
	v_cmp_eq_u16_e32 vcc, v26, v27
	s_and_saveexec_b64 s[16:17], vcc
	s_cbranch_execz .LBB315_375
; %bb.368:
	s_mov_b64 s[26:27], 1
	s_mov_b64 s[18:19], 0
                                        ; implicit-def: $sgpr24_sgpr25
	s_branch .LBB315_371
.LBB315_369:                            ;   in Loop: Header=BB315_371 Depth=1
	v_lshl_add_u64 v[26:27], v[22:23], 0, s[26:27]
	v_lshl_add_u64 v[28:29], v[24:25], 0, s[26:27]
	global_load_ubyte v30, v[26:27], off
	global_load_ubyte v31, v[28:29], off
	s_add_u32 s28, s26, 1
	s_addc_u32 s29, s27, 0
	s_andn2_b64 s[24:25], s[24:25], exec
	s_waitcnt vmcnt(0)
	v_cmp_ne_u16_e32 vcc, v30, v31
	s_and_b64 s[30:31], vcc, exec
	s_or_b64 s[24:25], s[24:25], s[30:31]
.LBB315_370:                            ;   in Loop: Header=BB315_371 Depth=1
	s_and_b64 s[30:31], exec, s[24:25]
	s_or_b64 s[18:19], s[30:31], s[18:19]
	v_mov_b64_e32 v[26:27], s[26:27]
	s_mov_b64 s[26:27], s[28:29]
	s_andn2_b64 exec, exec, s[18:19]
	s_cbranch_execz .LBB315_374
.LBB315_371:                            ; =>This Inner Loop Header: Depth=1
	s_or_b64 s[24:25], s[24:25], exec
	s_cmp_eq_u64 s[12:13], s[26:27]
	s_cbranch_scc0 .LBB315_369
; %bb.372:                              ;   in Loop: Header=BB315_371 Depth=1
                                        ; implicit-def: $sgpr28_sgpr29
	s_mov_b64 s[26:27], s[12:13]
	s_branch .LBB315_370
.LBB315_373:
	v_mov_b64_e32 v[36:37], 0
	s_branch .LBB315_376
.LBB315_374:
	s_or_b64 exec, exec, s[18:19]
	v_cmp_gt_i64_e32 vcc, s[12:13], v[26:27]
	s_mov_b32 s18, 0
	v_mov_b32_e32 v37, s18
	v_cndmask_b32_e64 v36, 0, 1, vcc
.LBB315_375:
	s_or_b64 exec, exec, s[16:17]
.LBB315_376:
	s_or_b64 exec, exec, s[4:5]
	v_add_u32_e32 v22, 9, v1
	v_cmp_gt_u32_e32 vcc, s10, v22
	s_and_saveexec_b64 s[4:5], vcc
	s_cbranch_execz .LBB315_387
; %bb.377:
	s_and_b64 vcc, exec, s[2:3]
	s_cbranch_vccnz .LBB315_384
; %bb.378:
	v_mov_b64_e32 v[24:25], s[14:15]
	s_waitcnt lgkmcnt(0)
	v_mad_u64_u32 v[22:23], s[16:17], v20, s12, v[24:25]
	v_mul_lo_u32 v20, v20, s13
	v_mul_lo_u32 v21, v21, s12
	v_add3_u32 v23, v21, v23, v20
	v_mad_u64_u32 v[24:25], s[16:17], v18, s12, v[24:25]
	v_mul_lo_u32 v20, v18, s13
	v_mul_lo_u32 v21, v19, s12
	v_add3_u32 v25, v21, v25, v20
	global_load_ubyte v20, v[22:23], off
	global_load_ubyte v21, v[24:25], off
	s_waitcnt vmcnt(0)
	v_cmp_eq_u16_e32 vcc, v20, v21
	v_mov_b64_e32 v[20:21], 1
	s_and_saveexec_b64 s[16:17], vcc
	s_cbranch_execz .LBB315_386
; %bb.379:
	s_mov_b64 s[26:27], 1
	s_mov_b64 s[18:19], 0
                                        ; implicit-def: $sgpr24_sgpr25
	s_branch .LBB315_382
.LBB315_380:                            ;   in Loop: Header=BB315_382 Depth=1
	v_lshl_add_u64 v[20:21], v[22:23], 0, s[26:27]
	v_lshl_add_u64 v[26:27], v[24:25], 0, s[26:27]
	global_load_ubyte v28, v[20:21], off
	global_load_ubyte v29, v[26:27], off
	s_add_u32 s28, s26, 1
	s_addc_u32 s29, s27, 0
	s_andn2_b64 s[24:25], s[24:25], exec
	s_waitcnt vmcnt(0)
	v_cmp_ne_u16_e32 vcc, v28, v29
	s_and_b64 s[30:31], vcc, exec
	s_or_b64 s[24:25], s[24:25], s[30:31]
.LBB315_381:                            ;   in Loop: Header=BB315_382 Depth=1
	s_and_b64 s[30:31], exec, s[24:25]
	s_or_b64 s[18:19], s[30:31], s[18:19]
	v_mov_b64_e32 v[20:21], s[26:27]
	s_mov_b64 s[26:27], s[28:29]
	s_andn2_b64 exec, exec, s[18:19]
	s_cbranch_execz .LBB315_385
.LBB315_382:                            ; =>This Inner Loop Header: Depth=1
	s_or_b64 s[24:25], s[24:25], exec
	s_cmp_eq_u64 s[12:13], s[26:27]
	s_cbranch_scc0 .LBB315_380
; %bb.383:                              ;   in Loop: Header=BB315_382 Depth=1
                                        ; implicit-def: $sgpr28_sgpr29
	s_mov_b64 s[26:27], s[12:13]
	s_branch .LBB315_381
.LBB315_384:
	v_mov_b64_e32 v[20:21], 0
	s_branch .LBB315_387
.LBB315_385:
	s_or_b64 exec, exec, s[18:19]
	v_cmp_gt_i64_e32 vcc, s[12:13], v[20:21]
	s_mov_b32 s18, 0
	v_mov_b32_e32 v21, s18
	v_cndmask_b32_e64 v20, 0, 1, vcc
.LBB315_386:
	s_or_b64 exec, exec, s[16:17]
.LBB315_387:
	s_or_b64 exec, exec, s[4:5]
	v_add_u32_e32 v22, 8, v1
	v_cmp_gt_u32_e32 vcc, s10, v22
	s_and_saveexec_b64 s[4:5], vcc
	s_cbranch_execz .LBB315_398
; %bb.388:
	s_and_b64 vcc, exec, s[2:3]
	s_cbranch_vccnz .LBB315_395
; %bb.389:
	v_mov_b64_e32 v[24:25], s[14:15]
	s_waitcnt lgkmcnt(0)
	v_mad_u64_u32 v[22:23], s[16:17], v18, s12, v[24:25]
	v_mul_lo_u32 v18, v18, s13
	v_mul_lo_u32 v19, v19, s12
	v_add3_u32 v23, v19, v23, v18
	v_mad_u64_u32 v[24:25], s[16:17], v16, s12, v[24:25]
	v_mul_lo_u32 v18, v16, s13
	v_mul_lo_u32 v19, v17, s12
	v_add3_u32 v25, v19, v25, v18
	global_load_ubyte v18, v[22:23], off
	global_load_ubyte v19, v[24:25], off
	s_waitcnt vmcnt(0)
	v_cmp_eq_u16_e32 vcc, v18, v19
	v_mov_b64_e32 v[18:19], 1
	s_and_saveexec_b64 s[16:17], vcc
	s_cbranch_execz .LBB315_397
; %bb.390:
	s_mov_b64 s[26:27], 1
	s_mov_b64 s[18:19], 0
                                        ; implicit-def: $sgpr24_sgpr25
	s_branch .LBB315_393
.LBB315_391:                            ;   in Loop: Header=BB315_393 Depth=1
	v_lshl_add_u64 v[18:19], v[22:23], 0, s[26:27]
	v_lshl_add_u64 v[26:27], v[24:25], 0, s[26:27]
	global_load_ubyte v28, v[18:19], off
	global_load_ubyte v29, v[26:27], off
	s_add_u32 s28, s26, 1
	s_addc_u32 s29, s27, 0
	s_andn2_b64 s[24:25], s[24:25], exec
	s_waitcnt vmcnt(0)
	v_cmp_ne_u16_e32 vcc, v28, v29
	s_and_b64 s[30:31], vcc, exec
	s_or_b64 s[24:25], s[24:25], s[30:31]
.LBB315_392:                            ;   in Loop: Header=BB315_393 Depth=1
	s_and_b64 s[30:31], exec, s[24:25]
	s_or_b64 s[18:19], s[30:31], s[18:19]
	v_mov_b64_e32 v[18:19], s[26:27]
	s_mov_b64 s[26:27], s[28:29]
	s_andn2_b64 exec, exec, s[18:19]
	s_cbranch_execz .LBB315_396
.LBB315_393:                            ; =>This Inner Loop Header: Depth=1
	s_or_b64 s[24:25], s[24:25], exec
	s_cmp_eq_u64 s[12:13], s[26:27]
	s_cbranch_scc0 .LBB315_391
; %bb.394:                              ;   in Loop: Header=BB315_393 Depth=1
                                        ; implicit-def: $sgpr28_sgpr29
	s_mov_b64 s[26:27], s[12:13]
	s_branch .LBB315_392
.LBB315_395:
	v_mov_b64_e32 v[18:19], 0
	s_branch .LBB315_398
.LBB315_396:
	s_or_b64 exec, exec, s[18:19]
	v_cmp_gt_i64_e32 vcc, s[12:13], v[18:19]
	s_mov_b32 s18, 0
	v_mov_b32_e32 v19, s18
	v_cndmask_b32_e64 v18, 0, 1, vcc
.LBB315_397:
	s_or_b64 exec, exec, s[16:17]
.LBB315_398:
	s_or_b64 exec, exec, s[4:5]
	v_add_u32_e32 v22, 7, v1
	v_cmp_gt_u32_e32 vcc, s10, v22
	s_and_saveexec_b64 s[4:5], vcc
	s_cbranch_execz .LBB315_409
; %bb.399:
	s_and_b64 vcc, exec, s[2:3]
	s_cbranch_vccnz .LBB315_406
; %bb.400:
	v_mov_b64_e32 v[24:25], s[14:15]
	s_waitcnt lgkmcnt(0)
	v_mad_u64_u32 v[22:23], s[16:17], v16, s12, v[24:25]
	v_mul_lo_u32 v16, v16, s13
	v_mul_lo_u32 v17, v17, s12
	v_add3_u32 v23, v17, v23, v16
	v_mad_u64_u32 v[24:25], s[16:17], v14, s12, v[24:25]
	v_mul_lo_u32 v16, v14, s13
	v_mul_lo_u32 v17, v15, s12
	v_add3_u32 v25, v17, v25, v16
	global_load_ubyte v16, v[22:23], off
	global_load_ubyte v17, v[24:25], off
	s_waitcnt vmcnt(0)
	v_cmp_eq_u16_e32 vcc, v16, v17
	v_mov_b64_e32 v[16:17], 1
	s_and_saveexec_b64 s[16:17], vcc
	s_cbranch_execz .LBB315_408
; %bb.401:
	s_mov_b64 s[26:27], 1
	s_mov_b64 s[18:19], 0
                                        ; implicit-def: $sgpr24_sgpr25
	s_branch .LBB315_404
.LBB315_402:                            ;   in Loop: Header=BB315_404 Depth=1
	v_lshl_add_u64 v[16:17], v[22:23], 0, s[26:27]
	v_lshl_add_u64 v[26:27], v[24:25], 0, s[26:27]
	global_load_ubyte v28, v[16:17], off
	global_load_ubyte v29, v[26:27], off
	s_add_u32 s28, s26, 1
	s_addc_u32 s29, s27, 0
	s_andn2_b64 s[24:25], s[24:25], exec
	s_waitcnt vmcnt(0)
	v_cmp_ne_u16_e32 vcc, v28, v29
	s_and_b64 s[30:31], vcc, exec
	s_or_b64 s[24:25], s[24:25], s[30:31]
.LBB315_403:                            ;   in Loop: Header=BB315_404 Depth=1
	s_and_b64 s[30:31], exec, s[24:25]
	s_or_b64 s[18:19], s[30:31], s[18:19]
	v_mov_b64_e32 v[16:17], s[26:27]
	s_mov_b64 s[26:27], s[28:29]
	s_andn2_b64 exec, exec, s[18:19]
	s_cbranch_execz .LBB315_407
.LBB315_404:                            ; =>This Inner Loop Header: Depth=1
	s_or_b64 s[24:25], s[24:25], exec
	s_cmp_eq_u64 s[12:13], s[26:27]
	s_cbranch_scc0 .LBB315_402
; %bb.405:                              ;   in Loop: Header=BB315_404 Depth=1
                                        ; implicit-def: $sgpr28_sgpr29
	s_mov_b64 s[26:27], s[12:13]
	s_branch .LBB315_403
.LBB315_406:
	v_mov_b64_e32 v[16:17], 0
	s_branch .LBB315_409
.LBB315_407:
	s_or_b64 exec, exec, s[18:19]
	v_cmp_gt_i64_e32 vcc, s[12:13], v[16:17]
	s_mov_b32 s18, 0
	v_mov_b32_e32 v17, s18
	v_cndmask_b32_e64 v16, 0, 1, vcc
.LBB315_408:
	s_or_b64 exec, exec, s[16:17]
.LBB315_409:
	s_or_b64 exec, exec, s[4:5]
	v_add_u32_e32 v22, 6, v1
	v_cmp_gt_u32_e32 vcc, s10, v22
	s_and_saveexec_b64 s[4:5], vcc
	s_cbranch_execz .LBB315_420
; %bb.410:
	s_and_b64 vcc, exec, s[2:3]
	s_cbranch_vccnz .LBB315_417
; %bb.411:
	v_mov_b64_e32 v[24:25], s[14:15]
	s_waitcnt lgkmcnt(0)
	v_mad_u64_u32 v[22:23], s[16:17], v14, s12, v[24:25]
	v_mul_lo_u32 v14, v14, s13
	v_mul_lo_u32 v15, v15, s12
	v_add3_u32 v23, v15, v23, v14
	v_mad_u64_u32 v[24:25], s[16:17], v12, s12, v[24:25]
	v_mul_lo_u32 v14, v12, s13
	v_mul_lo_u32 v15, v13, s12
	v_add3_u32 v25, v15, v25, v14
	global_load_ubyte v14, v[22:23], off
	global_load_ubyte v15, v[24:25], off
	s_waitcnt vmcnt(0)
	v_cmp_eq_u16_e32 vcc, v14, v15
	v_mov_b64_e32 v[14:15], 1
	s_and_saveexec_b64 s[16:17], vcc
	s_cbranch_execz .LBB315_419
; %bb.412:
	s_mov_b64 s[26:27], 1
	s_mov_b64 s[18:19], 0
                                        ; implicit-def: $sgpr24_sgpr25
	s_branch .LBB315_415
.LBB315_413:                            ;   in Loop: Header=BB315_415 Depth=1
	v_lshl_add_u64 v[14:15], v[22:23], 0, s[26:27]
	v_lshl_add_u64 v[26:27], v[24:25], 0, s[26:27]
	global_load_ubyte v28, v[14:15], off
	global_load_ubyte v29, v[26:27], off
	s_add_u32 s28, s26, 1
	s_addc_u32 s29, s27, 0
	s_andn2_b64 s[24:25], s[24:25], exec
	s_waitcnt vmcnt(0)
	v_cmp_ne_u16_e32 vcc, v28, v29
	s_and_b64 s[30:31], vcc, exec
	s_or_b64 s[24:25], s[24:25], s[30:31]
.LBB315_414:                            ;   in Loop: Header=BB315_415 Depth=1
	s_and_b64 s[30:31], exec, s[24:25]
	s_or_b64 s[18:19], s[30:31], s[18:19]
	v_mov_b64_e32 v[14:15], s[26:27]
	s_mov_b64 s[26:27], s[28:29]
	s_andn2_b64 exec, exec, s[18:19]
	s_cbranch_execz .LBB315_418
.LBB315_415:                            ; =>This Inner Loop Header: Depth=1
	s_or_b64 s[24:25], s[24:25], exec
	s_cmp_eq_u64 s[12:13], s[26:27]
	s_cbranch_scc0 .LBB315_413
; %bb.416:                              ;   in Loop: Header=BB315_415 Depth=1
                                        ; implicit-def: $sgpr28_sgpr29
	s_mov_b64 s[26:27], s[12:13]
	s_branch .LBB315_414
.LBB315_417:
	v_mov_b64_e32 v[14:15], 0
	s_branch .LBB315_420
.LBB315_418:
	s_or_b64 exec, exec, s[18:19]
	v_cmp_gt_i64_e32 vcc, s[12:13], v[14:15]
	s_mov_b32 s18, 0
	v_mov_b32_e32 v15, s18
	v_cndmask_b32_e64 v14, 0, 1, vcc
.LBB315_419:
	s_or_b64 exec, exec, s[16:17]
.LBB315_420:
	s_or_b64 exec, exec, s[4:5]
	v_add_u32_e32 v22, 5, v1
	v_cmp_gt_u32_e32 vcc, s10, v22
	s_and_saveexec_b64 s[4:5], vcc
	s_cbranch_execz .LBB315_431
; %bb.421:
	s_and_b64 vcc, exec, s[2:3]
	s_cbranch_vccnz .LBB315_428
; %bb.422:
	v_mov_b64_e32 v[24:25], s[14:15]
	s_waitcnt lgkmcnt(0)
	v_mad_u64_u32 v[22:23], s[16:17], v12, s12, v[24:25]
	v_mul_lo_u32 v12, v12, s13
	v_mul_lo_u32 v13, v13, s12
	v_add3_u32 v23, v13, v23, v12
	v_mad_u64_u32 v[24:25], s[16:17], v10, s12, v[24:25]
	v_mul_lo_u32 v12, v10, s13
	v_mul_lo_u32 v13, v11, s12
	v_add3_u32 v25, v13, v25, v12
	global_load_ubyte v12, v[22:23], off
	global_load_ubyte v13, v[24:25], off
	s_waitcnt vmcnt(0)
	v_cmp_eq_u16_e32 vcc, v12, v13
	v_mov_b64_e32 v[12:13], 1
	s_and_saveexec_b64 s[16:17], vcc
	s_cbranch_execz .LBB315_430
; %bb.423:
	s_mov_b64 s[26:27], 1
	s_mov_b64 s[18:19], 0
                                        ; implicit-def: $sgpr24_sgpr25
	s_branch .LBB315_426
.LBB315_424:                            ;   in Loop: Header=BB315_426 Depth=1
	v_lshl_add_u64 v[12:13], v[22:23], 0, s[26:27]
	v_lshl_add_u64 v[26:27], v[24:25], 0, s[26:27]
	global_load_ubyte v28, v[12:13], off
	global_load_ubyte v29, v[26:27], off
	s_add_u32 s28, s26, 1
	s_addc_u32 s29, s27, 0
	s_andn2_b64 s[24:25], s[24:25], exec
	s_waitcnt vmcnt(0)
	v_cmp_ne_u16_e32 vcc, v28, v29
	s_and_b64 s[30:31], vcc, exec
	s_or_b64 s[24:25], s[24:25], s[30:31]
.LBB315_425:                            ;   in Loop: Header=BB315_426 Depth=1
	s_and_b64 s[30:31], exec, s[24:25]
	s_or_b64 s[18:19], s[30:31], s[18:19]
	v_mov_b64_e32 v[12:13], s[26:27]
	s_mov_b64 s[26:27], s[28:29]
	s_andn2_b64 exec, exec, s[18:19]
	s_cbranch_execz .LBB315_429
.LBB315_426:                            ; =>This Inner Loop Header: Depth=1
	s_or_b64 s[24:25], s[24:25], exec
	s_cmp_eq_u64 s[12:13], s[26:27]
	s_cbranch_scc0 .LBB315_424
; %bb.427:                              ;   in Loop: Header=BB315_426 Depth=1
                                        ; implicit-def: $sgpr28_sgpr29
	s_mov_b64 s[26:27], s[12:13]
	s_branch .LBB315_425
.LBB315_428:
	v_mov_b64_e32 v[12:13], 0
	s_branch .LBB315_431
.LBB315_429:
	s_or_b64 exec, exec, s[18:19]
	v_cmp_gt_i64_e32 vcc, s[12:13], v[12:13]
	s_mov_b32 s18, 0
	v_mov_b32_e32 v13, s18
	v_cndmask_b32_e64 v12, 0, 1, vcc
.LBB315_430:
	s_or_b64 exec, exec, s[16:17]
.LBB315_431:
	s_or_b64 exec, exec, s[4:5]
	v_add_u32_e32 v22, 4, v1
	v_cmp_gt_u32_e32 vcc, s10, v22
	s_and_saveexec_b64 s[4:5], vcc
	s_cbranch_execz .LBB315_442
; %bb.432:
	s_and_b64 vcc, exec, s[2:3]
	s_cbranch_vccnz .LBB315_439
; %bb.433:
	v_mov_b64_e32 v[24:25], s[14:15]
	s_waitcnt lgkmcnt(0)
	v_mad_u64_u32 v[22:23], s[16:17], v10, s12, v[24:25]
	v_mul_lo_u32 v10, v10, s13
	v_mul_lo_u32 v11, v11, s12
	v_add3_u32 v23, v11, v23, v10
	v_mad_u64_u32 v[24:25], s[16:17], v8, s12, v[24:25]
	v_mul_lo_u32 v10, v8, s13
	v_mul_lo_u32 v11, v9, s12
	v_add3_u32 v25, v11, v25, v10
	global_load_ubyte v10, v[22:23], off
	global_load_ubyte v11, v[24:25], off
	s_waitcnt vmcnt(0)
	v_cmp_eq_u16_e32 vcc, v10, v11
	v_mov_b64_e32 v[10:11], 1
	s_and_saveexec_b64 s[16:17], vcc
	s_cbranch_execz .LBB315_441
; %bb.434:
	s_mov_b64 s[26:27], 1
	s_mov_b64 s[18:19], 0
                                        ; implicit-def: $sgpr24_sgpr25
	s_branch .LBB315_437
.LBB315_435:                            ;   in Loop: Header=BB315_437 Depth=1
	v_lshl_add_u64 v[10:11], v[22:23], 0, s[26:27]
	v_lshl_add_u64 v[26:27], v[24:25], 0, s[26:27]
	global_load_ubyte v28, v[10:11], off
	global_load_ubyte v29, v[26:27], off
	s_add_u32 s28, s26, 1
	s_addc_u32 s29, s27, 0
	s_andn2_b64 s[24:25], s[24:25], exec
	s_waitcnt vmcnt(0)
	v_cmp_ne_u16_e32 vcc, v28, v29
	s_and_b64 s[30:31], vcc, exec
	s_or_b64 s[24:25], s[24:25], s[30:31]
.LBB315_436:                            ;   in Loop: Header=BB315_437 Depth=1
	s_and_b64 s[30:31], exec, s[24:25]
	s_or_b64 s[18:19], s[30:31], s[18:19]
	v_mov_b64_e32 v[10:11], s[26:27]
	s_mov_b64 s[26:27], s[28:29]
	s_andn2_b64 exec, exec, s[18:19]
	s_cbranch_execz .LBB315_440
.LBB315_437:                            ; =>This Inner Loop Header: Depth=1
	s_or_b64 s[24:25], s[24:25], exec
	s_cmp_eq_u64 s[12:13], s[26:27]
	s_cbranch_scc0 .LBB315_435
; %bb.438:                              ;   in Loop: Header=BB315_437 Depth=1
                                        ; implicit-def: $sgpr28_sgpr29
	s_mov_b64 s[26:27], s[12:13]
	s_branch .LBB315_436
.LBB315_439:
	v_mov_b64_e32 v[10:11], 0
	s_branch .LBB315_442
.LBB315_440:
	s_or_b64 exec, exec, s[18:19]
	v_cmp_gt_i64_e32 vcc, s[12:13], v[10:11]
	s_mov_b32 s18, 0
	v_mov_b32_e32 v11, s18
	v_cndmask_b32_e64 v10, 0, 1, vcc
.LBB315_441:
	s_or_b64 exec, exec, s[16:17]
.LBB315_442:
	s_or_b64 exec, exec, s[4:5]
	v_add_u32_e32 v22, 3, v1
	v_cmp_gt_u32_e32 vcc, s10, v22
	s_and_saveexec_b64 s[4:5], vcc
	s_cbranch_execz .LBB315_453
; %bb.443:
	s_and_b64 vcc, exec, s[2:3]
	s_cbranch_vccnz .LBB315_450
; %bb.444:
	v_mov_b64_e32 v[24:25], s[14:15]
	s_waitcnt lgkmcnt(0)
	v_mad_u64_u32 v[22:23], s[16:17], v8, s12, v[24:25]
	v_mul_lo_u32 v8, v8, s13
	v_mul_lo_u32 v9, v9, s12
	v_add3_u32 v23, v9, v23, v8
	v_mad_u64_u32 v[24:25], s[16:17], v6, s12, v[24:25]
	v_mul_lo_u32 v8, v6, s13
	v_mul_lo_u32 v9, v7, s12
	v_add3_u32 v25, v9, v25, v8
	global_load_ubyte v8, v[22:23], off
	global_load_ubyte v9, v[24:25], off
	s_waitcnt vmcnt(0)
	v_cmp_eq_u16_e32 vcc, v8, v9
	v_mov_b64_e32 v[8:9], 1
	s_and_saveexec_b64 s[16:17], vcc
	s_cbranch_execz .LBB315_452
; %bb.445:
	s_mov_b64 s[26:27], 1
	s_mov_b64 s[18:19], 0
                                        ; implicit-def: $sgpr24_sgpr25
	s_branch .LBB315_448
.LBB315_446:                            ;   in Loop: Header=BB315_448 Depth=1
	v_lshl_add_u64 v[8:9], v[22:23], 0, s[26:27]
	v_lshl_add_u64 v[26:27], v[24:25], 0, s[26:27]
	global_load_ubyte v28, v[8:9], off
	global_load_ubyte v29, v[26:27], off
	s_add_u32 s28, s26, 1
	s_addc_u32 s29, s27, 0
	s_andn2_b64 s[24:25], s[24:25], exec
	s_waitcnt vmcnt(0)
	v_cmp_ne_u16_e32 vcc, v28, v29
	s_and_b64 s[30:31], vcc, exec
	s_or_b64 s[24:25], s[24:25], s[30:31]
.LBB315_447:                            ;   in Loop: Header=BB315_448 Depth=1
	s_and_b64 s[30:31], exec, s[24:25]
	s_or_b64 s[18:19], s[30:31], s[18:19]
	v_mov_b64_e32 v[8:9], s[26:27]
	s_mov_b64 s[26:27], s[28:29]
	s_andn2_b64 exec, exec, s[18:19]
	s_cbranch_execz .LBB315_451
.LBB315_448:                            ; =>This Inner Loop Header: Depth=1
	s_or_b64 s[24:25], s[24:25], exec
	s_cmp_eq_u64 s[12:13], s[26:27]
	s_cbranch_scc0 .LBB315_446
; %bb.449:                              ;   in Loop: Header=BB315_448 Depth=1
                                        ; implicit-def: $sgpr28_sgpr29
	s_mov_b64 s[26:27], s[12:13]
	s_branch .LBB315_447
.LBB315_450:
	v_mov_b64_e32 v[8:9], 0
	s_branch .LBB315_453
.LBB315_451:
	s_or_b64 exec, exec, s[18:19]
	v_cmp_gt_i64_e32 vcc, s[12:13], v[8:9]
	s_mov_b32 s18, 0
	v_mov_b32_e32 v9, s18
	v_cndmask_b32_e64 v8, 0, 1, vcc
.LBB315_452:
	s_or_b64 exec, exec, s[16:17]
.LBB315_453:
	s_or_b64 exec, exec, s[4:5]
	v_add_u32_e32 v22, 2, v1
	v_cmp_gt_u32_e32 vcc, s10, v22
	s_and_saveexec_b64 s[4:5], vcc
	s_cbranch_execz .LBB315_464
; %bb.454:
	s_and_b64 vcc, exec, s[2:3]
	s_cbranch_vccnz .LBB315_461
; %bb.455:
	v_mov_b64_e32 v[24:25], s[14:15]
	s_waitcnt lgkmcnt(0)
	v_mad_u64_u32 v[22:23], s[16:17], v6, s12, v[24:25]
	v_mul_lo_u32 v6, v6, s13
	v_mul_lo_u32 v7, v7, s12
	v_add3_u32 v23, v7, v23, v6
	v_mad_u64_u32 v[24:25], s[16:17], v4, s12, v[24:25]
	v_mul_lo_u32 v6, v4, s13
	v_mul_lo_u32 v7, v5, s12
	v_add3_u32 v25, v7, v25, v6
	global_load_ubyte v6, v[22:23], off
	global_load_ubyte v7, v[24:25], off
	s_waitcnt vmcnt(0)
	v_cmp_eq_u16_e32 vcc, v6, v7
	v_mov_b64_e32 v[6:7], 1
	s_and_saveexec_b64 s[16:17], vcc
	s_cbranch_execz .LBB315_463
; %bb.456:
	s_mov_b64 s[26:27], 1
	s_mov_b64 s[18:19], 0
                                        ; implicit-def: $sgpr24_sgpr25
	s_branch .LBB315_459
.LBB315_457:                            ;   in Loop: Header=BB315_459 Depth=1
	v_lshl_add_u64 v[6:7], v[22:23], 0, s[26:27]
	v_lshl_add_u64 v[26:27], v[24:25], 0, s[26:27]
	global_load_ubyte v28, v[6:7], off
	global_load_ubyte v29, v[26:27], off
	s_add_u32 s28, s26, 1
	s_addc_u32 s29, s27, 0
	s_andn2_b64 s[24:25], s[24:25], exec
	s_waitcnt vmcnt(0)
	v_cmp_ne_u16_e32 vcc, v28, v29
	s_and_b64 s[30:31], vcc, exec
	s_or_b64 s[24:25], s[24:25], s[30:31]
.LBB315_458:                            ;   in Loop: Header=BB315_459 Depth=1
	s_and_b64 s[30:31], exec, s[24:25]
	s_or_b64 s[18:19], s[30:31], s[18:19]
	v_mov_b64_e32 v[6:7], s[26:27]
	s_mov_b64 s[26:27], s[28:29]
	s_andn2_b64 exec, exec, s[18:19]
	s_cbranch_execz .LBB315_462
.LBB315_459:                            ; =>This Inner Loop Header: Depth=1
	s_or_b64 s[24:25], s[24:25], exec
	s_cmp_eq_u64 s[12:13], s[26:27]
	s_cbranch_scc0 .LBB315_457
; %bb.460:                              ;   in Loop: Header=BB315_459 Depth=1
                                        ; implicit-def: $sgpr28_sgpr29
	s_mov_b64 s[26:27], s[12:13]
	s_branch .LBB315_458
.LBB315_461:
	v_mov_b64_e32 v[6:7], 0
	s_branch .LBB315_464
.LBB315_462:
	s_or_b64 exec, exec, s[18:19]
	v_cmp_gt_i64_e32 vcc, s[12:13], v[6:7]
	s_mov_b32 s18, 0
	v_mov_b32_e32 v7, s18
	v_cndmask_b32_e64 v6, 0, 1, vcc
.LBB315_463:
	s_or_b64 exec, exec, s[16:17]
.LBB315_464:
	s_or_b64 exec, exec, s[4:5]
	v_add_u32_e32 v22, 1, v1
	v_cmp_gt_u32_e32 vcc, s10, v22
	s_and_saveexec_b64 s[4:5], vcc
	s_cbranch_execz .LBB315_475
; %bb.465:
	s_and_b64 vcc, exec, s[2:3]
	s_cbranch_vccnz .LBB315_472
; %bb.466:
	v_mov_b64_e32 v[24:25], s[14:15]
	s_waitcnt lgkmcnt(0)
	v_mad_u64_u32 v[22:23], s[16:17], v4, s12, v[24:25]
	v_mul_lo_u32 v4, v4, s13
	v_mul_lo_u32 v5, v5, s12
	v_add3_u32 v23, v5, v23, v4
	v_mad_u64_u32 v[24:25], s[16:17], v2, s12, v[24:25]
	v_mul_lo_u32 v4, v2, s13
	v_mul_lo_u32 v5, v3, s12
	v_add3_u32 v25, v5, v25, v4
	global_load_ubyte v4, v[22:23], off
	global_load_ubyte v5, v[24:25], off
	s_waitcnt vmcnt(0)
	v_cmp_eq_u16_e32 vcc, v4, v5
	v_mov_b64_e32 v[4:5], 1
	s_and_saveexec_b64 s[16:17], vcc
	s_cbranch_execz .LBB315_474
; %bb.467:
	s_mov_b64 s[26:27], 1
	s_mov_b64 s[18:19], 0
                                        ; implicit-def: $sgpr24_sgpr25
	s_branch .LBB315_470
.LBB315_468:                            ;   in Loop: Header=BB315_470 Depth=1
	v_lshl_add_u64 v[4:5], v[22:23], 0, s[26:27]
	v_lshl_add_u64 v[26:27], v[24:25], 0, s[26:27]
	global_load_ubyte v28, v[4:5], off
	global_load_ubyte v29, v[26:27], off
	s_add_u32 s28, s26, 1
	s_addc_u32 s29, s27, 0
	s_andn2_b64 s[24:25], s[24:25], exec
	s_waitcnt vmcnt(0)
	v_cmp_ne_u16_e32 vcc, v28, v29
	s_and_b64 s[30:31], vcc, exec
	s_or_b64 s[24:25], s[24:25], s[30:31]
.LBB315_469:                            ;   in Loop: Header=BB315_470 Depth=1
	s_and_b64 s[30:31], exec, s[24:25]
	s_or_b64 s[18:19], s[30:31], s[18:19]
	v_mov_b64_e32 v[4:5], s[26:27]
	s_mov_b64 s[26:27], s[28:29]
	s_andn2_b64 exec, exec, s[18:19]
	s_cbranch_execz .LBB315_473
.LBB315_470:                            ; =>This Inner Loop Header: Depth=1
	s_or_b64 s[24:25], s[24:25], exec
	s_cmp_eq_u64 s[12:13], s[26:27]
	s_cbranch_scc0 .LBB315_468
; %bb.471:                              ;   in Loop: Header=BB315_470 Depth=1
                                        ; implicit-def: $sgpr28_sgpr29
	s_mov_b64 s[26:27], s[12:13]
	s_branch .LBB315_469
.LBB315_472:
	v_mov_b64_e32 v[4:5], 0
	s_branch .LBB315_475
.LBB315_473:
	s_or_b64 exec, exec, s[18:19]
	v_cmp_gt_i64_e32 vcc, s[12:13], v[4:5]
	s_mov_b32 s18, 0
	v_mov_b32_e32 v5, s18
	v_cndmask_b32_e64 v4, 0, 1, vcc
.LBB315_474:
	s_or_b64 exec, exec, s[16:17]
.LBB315_475:
	s_or_b64 exec, exec, s[4:5]
	v_cmp_ne_u32_e32 vcc, 0, v0
	v_cmp_gt_u32_e64 s[4:5], s10, v1
	s_waitcnt lgkmcnt(0)
	s_and_b64 s[16:17], vcc, s[4:5]
	s_barrier
	s_waitcnt lgkmcnt(0)
                                        ; implicit-def: $sgpr18_sgpr19
	s_and_saveexec_b64 s[4:5], s[16:17]
	s_cbranch_execz .LBB315_487
; %bb.476:
	s_and_b64 vcc, exec, s[2:3]
	s_cbranch_vccnz .LBB315_483
; %bb.477:
	v_add_u32_e32 v1, -8, v40
	ds_read_b64 v[24:25], v1
	v_mov_b64_e32 v[26:27], s[14:15]
	v_mad_u64_u32 v[22:23], s[2:3], v2, s12, v[26:27]
	v_mul_lo_u32 v1, v2, s13
	v_mul_lo_u32 v2, v3, s12
	v_add3_u32 v23, v2, v23, v1
	s_waitcnt lgkmcnt(0)
	v_mul_lo_u32 v1, v24, s13
	v_mul_lo_u32 v25, v25, s12
	v_mad_u64_u32 v[2:3], s[2:3], v24, s12, v[26:27]
	v_add3_u32 v3, v25, v3, v1
	global_load_ubyte v1, v[22:23], off
	global_load_ubyte v24, v[2:3], off
	s_mov_b64 s[14:15], -1
	s_waitcnt vmcnt(0)
	v_cmp_eq_u16_e32 vcc, v1, v24
	s_and_saveexec_b64 s[2:3], vcc
	s_cbranch_execz .LBB315_485
; %bb.478:
	s_mov_b64 s[18:19], 1
	s_mov_b64 s[14:15], 0
                                        ; implicit-def: $sgpr16_sgpr17
	s_branch .LBB315_481
.LBB315_479:                            ;   in Loop: Header=BB315_481 Depth=1
	v_lshl_add_u64 v[24:25], v[22:23], 0, s[18:19]
	v_lshl_add_u64 v[26:27], v[2:3], 0, s[18:19]
	global_load_ubyte v1, v[24:25], off
	global_load_ubyte v28, v[26:27], off
	s_add_u32 s24, s18, 1
	s_addc_u32 s25, s19, 0
	s_andn2_b64 s[16:17], s[16:17], exec
	s_waitcnt vmcnt(0)
	v_cmp_ne_u16_e32 vcc, v1, v28
	s_and_b64 s[26:27], vcc, exec
	s_or_b64 s[16:17], s[16:17], s[26:27]
.LBB315_480:                            ;   in Loop: Header=BB315_481 Depth=1
	s_and_b64 s[26:27], exec, s[16:17]
	s_or_b64 s[14:15], s[26:27], s[14:15]
	v_mov_b64_e32 v[24:25], s[18:19]
	s_mov_b64 s[18:19], s[24:25]
	s_andn2_b64 exec, exec, s[14:15]
	s_cbranch_execz .LBB315_484
.LBB315_481:                            ; =>This Inner Loop Header: Depth=1
	s_or_b64 s[16:17], s[16:17], exec
	s_cmp_eq_u64 s[12:13], s[18:19]
	s_cbranch_scc0 .LBB315_479
; %bb.482:                              ;   in Loop: Header=BB315_481 Depth=1
                                        ; implicit-def: $sgpr24_sgpr25
	s_mov_b64 s[18:19], s[12:13]
	s_branch .LBB315_480
.LBB315_483:
	s_mov_b64 s[14:15], 0
	s_branch .LBB315_486
.LBB315_484:
	s_or_b64 exec, exec, s[14:15]
	v_cmp_gt_i64_e32 vcc, s[12:13], v[24:25]
	s_orn2_b64 s[14:15], vcc, exec
.LBB315_485:
	s_or_b64 exec, exec, s[2:3]
.LBB315_486:
	s_and_b64 s[18:19], s[14:15], exec
	s_or_b64 s[22:23], s[22:23], exec
.LBB315_487:
	s_or_b64 exec, exec, s[4:5]
	v_mov_b64_e32 v[42:43], v[36:37]
	v_mov_b64_e32 v[44:45], v[20:21]
	;; [unrolled: 1-line block ×19, first 2 shown]
.LBB315_488:
	s_and_saveexec_b64 s[2:3], s[22:23]
	s_cbranch_execz .LBB315_490
; %bb.489:
	s_mov_b32 s4, 0
	v_cndmask_b32_e64 v2, 0, 1, s[18:19]
	v_mov_b32_e32 v3, s4
	s_waitcnt lgkmcnt(0)
	v_mov_b64_e32 v[26:27], v[46:47]
	v_mov_b64_e32 v[66:67], v[48:49]
	v_mov_b64_e32 v[30:31], v[50:51]
	v_mov_b64_e32 v[64:65], v[52:53]
	v_mov_b64_e32 v[34:35], v[54:55]
	v_mov_b64_e32 v[62:63], v[56:57]
	v_mov_b64_e32 v[68:69], v[58:59]
	v_mov_b64_e32 v[22:23], v[38:39]
	v_mov_b64_e32 v[60:61], v[44:45]
.LBB315_490:
	s_or_b64 exec, exec, s[2:3]
	s_add_u32 s4, s8, s6
	s_addc_u32 s5, s9, s7
	s_and_b64 vcc, exec, s[0:1]
	s_waitcnt lgkmcnt(0)
	s_barrier
	s_cbranch_vccz .LBB315_512
; %bb.491:
	s_movk_i32 s2, 0x58
	v_mul_u32_u24_e32 v1, 0x58, v0
	v_mov_b32_e32 v4, v68
	v_mov_b32_e32 v5, v69
	v_mul_i32_i24_e32 v24, 0xffffffb0, v0
	ds_write2_b64 v1, v[2:3], v[4:5] offset1:1
	ds_write2_b64 v1, v[62:63], v[34:35] offset0:2 offset1:3
	ds_write2_b64 v1, v[64:65], v[30:31] offset0:4 offset1:5
	;; [unrolled: 1-line block ×4, first 2 shown]
	ds_write_b64 v1, v[42:43] offset:80
	v_mad_u32_u24 v4, v0, s2, v24
	s_waitcnt lgkmcnt(0)
	s_barrier
	ds_read2st64_b64 v[36:39], v4 offset0:4 offset1:8
	ds_read2st64_b64 v[16:19], v4 offset0:12 offset1:16
	;; [unrolled: 1-line block ×5, first 2 shown]
	s_mov_b32 s21, 0
	s_add_i32 s11, s11, s10
	s_lshl_b64 s[0:1], s[20:21], 3
	s_add_u32 s0, s4, s0
	s_addc_u32 s1, s5, s1
	v_mov_b32_e32 v41, 0
	v_lshl_add_u64 v[20:21], s[0:1], 0, v[40:41]
	v_cmp_gt_u32_e32 vcc, s11, v0
	s_and_saveexec_b64 s[0:1], vcc
	s_cbranch_execz .LBB315_493
; %bb.492:
	v_add_u32_e32 v1, v1, v24
	ds_read_b64 v[24:25], v1
	s_waitcnt lgkmcnt(0)
	global_store_dwordx2 v[20:21], v[24:25], off
.LBB315_493:
	s_or_b64 exec, exec, s[0:1]
	v_or_b32_e32 v1, 0x100, v0
	v_cmp_gt_u32_e32 vcc, s11, v1
	s_and_saveexec_b64 s[0:1], vcc
	s_cbranch_execz .LBB315_495
; %bb.494:
	s_waitcnt lgkmcnt(4)
	global_store_dwordx2 v[20:21], v[36:37], off offset:2048
.LBB315_495:
	s_or_b64 exec, exec, s[0:1]
	v_or_b32_e32 v1, 0x200, v0
	v_cmp_gt_u32_e32 vcc, s11, v1
	s_and_saveexec_b64 s[0:1], vcc
	s_cbranch_execz .LBB315_497
; %bb.496:
	v_add_co_u32_e32 v24, vcc, 0x1000, v20
	s_nop 1
	v_addc_co_u32_e32 v25, vcc, 0, v21, vcc
	s_waitcnt lgkmcnt(4)
	global_store_dwordx2 v[24:25], v[38:39], off
.LBB315_497:
	s_or_b64 exec, exec, s[0:1]
	v_or_b32_e32 v1, 0x300, v0
	v_cmp_gt_u32_e32 vcc, s11, v1
	s_and_saveexec_b64 s[0:1], vcc
	s_cbranch_execz .LBB315_499
; %bb.498:
	v_add_co_u32_e32 v24, vcc, 0x1000, v20
	s_nop 1
	v_addc_co_u32_e32 v25, vcc, 0, v21, vcc
	s_waitcnt lgkmcnt(3)
	global_store_dwordx2 v[24:25], v[16:17], off offset:2048
.LBB315_499:
	s_or_b64 exec, exec, s[0:1]
	v_or_b32_e32 v1, 0x400, v0
	v_cmp_gt_u32_e32 vcc, s11, v1
	s_and_saveexec_b64 s[0:1], vcc
	s_cbranch_execz .LBB315_501
; %bb.500:
	s_waitcnt lgkmcnt(3)
	v_add_co_u32_e32 v16, vcc, 0x2000, v20
	s_nop 1
	v_addc_co_u32_e32 v17, vcc, 0, v21, vcc
	global_store_dwordx2 v[16:17], v[18:19], off
.LBB315_501:
	s_or_b64 exec, exec, s[0:1]
	v_or_b32_e32 v1, 0x500, v0
	v_cmp_gt_u32_e32 vcc, s11, v1
	s_and_saveexec_b64 s[0:1], vcc
	s_cbranch_execz .LBB315_503
; %bb.502:
	s_waitcnt lgkmcnt(3)
	v_add_co_u32_e32 v16, vcc, 0x2000, v20
	s_nop 1
	v_addc_co_u32_e32 v17, vcc, 0, v21, vcc
	s_waitcnt lgkmcnt(2)
	global_store_dwordx2 v[16:17], v[12:13], off offset:2048
.LBB315_503:
	s_or_b64 exec, exec, s[0:1]
	v_or_b32_e32 v1, 0x600, v0
	v_cmp_gt_u32_e32 vcc, s11, v1
	s_and_saveexec_b64 s[0:1], vcc
	s_cbranch_execz .LBB315_505
; %bb.504:
	s_waitcnt lgkmcnt(2)
	v_add_co_u32_e32 v12, vcc, 0x3000, v20
	s_nop 1
	v_addc_co_u32_e32 v13, vcc, 0, v21, vcc
	global_store_dwordx2 v[12:13], v[14:15], off
.LBB315_505:
	s_or_b64 exec, exec, s[0:1]
	v_or_b32_e32 v1, 0x700, v0
	v_cmp_gt_u32_e32 vcc, s11, v1
	s_and_saveexec_b64 s[0:1], vcc
	s_cbranch_execz .LBB315_507
; %bb.506:
	s_waitcnt lgkmcnt(2)
	v_add_co_u32_e32 v12, vcc, 0x3000, v20
	s_nop 1
	v_addc_co_u32_e32 v13, vcc, 0, v21, vcc
	s_waitcnt lgkmcnt(1)
	global_store_dwordx2 v[12:13], v[8:9], off offset:2048
.LBB315_507:
	;; [unrolled: 25-line block ×3, first 2 shown]
	s_or_b64 exec, exec, s[0:1]
	v_or_b32_e32 v1, 0xa00, v0
	v_cmp_gt_u32_e64 s[0:1], s11, v1
	s_branch .LBB315_514
.LBB315_512:
	s_mov_b64 s[0:1], 0
                                        ; implicit-def: $vgpr6_vgpr7
                                        ; implicit-def: $vgpr20_vgpr21
	s_cbranch_execz .LBB315_514
; %bb.513:
	s_mov_b32 s21, 0
	s_lshl_b64 s[2:3], s[20:21], 3
	v_mul_u32_u24_e32 v1, 0x58, v0
	s_add_u32 s2, s4, s2
	s_movk_i32 s4, 0x58
	ds_write2_b64 v1, v[2:3], v[68:69] offset1:1
	ds_write2_b64 v1, v[62:63], v[34:35] offset0:2 offset1:3
	ds_write2_b64 v1, v[64:65], v[30:31] offset0:4 offset1:5
	;; [unrolled: 1-line block ×4, first 2 shown]
	ds_write_b64 v1, v[42:43] offset:80
	v_mul_i32_i24_e32 v1, 0xffffffb0, v0
	s_addc_u32 s3, s5, s3
	s_waitcnt lgkmcnt(6)
	v_mad_u32_u24 v4, v0, s4, v1
	v_mov_b32_e32 v41, 0
	s_waitcnt lgkmcnt(0)
	s_barrier
	ds_read2st64_b64 v[0:3], v4 offset1:4
	ds_read2st64_b64 v[8:11], v4 offset0:8 offset1:12
	ds_read2st64_b64 v[12:15], v4 offset0:16 offset1:20
	;; [unrolled: 1-line block ×4, first 2 shown]
	ds_read_b64 v[6:7], v4 offset:20480
	v_lshl_add_u64 v[20:21], s[2:3], 0, v[40:41]
	s_waitcnt lgkmcnt(5)
	global_store_dwordx2 v40, v[0:1], s[2:3]
	global_store_dwordx2 v40, v[2:3], s[2:3] offset:2048
	s_movk_i32 s2, 0x1000
	v_add_co_u32_e32 v0, vcc, s2, v20
	s_movk_i32 s2, 0x2000
	s_nop 0
	v_addc_co_u32_e32 v1, vcc, 0, v21, vcc
	v_add_co_u32_e32 v2, vcc, s2, v20
	s_or_b64 s[0:1], s[0:1], exec
	s_nop 0
	v_addc_co_u32_e32 v3, vcc, 0, v21, vcc
	s_waitcnt lgkmcnt(4)
	global_store_dwordx2 v[2:3], v[8:9], off offset:-4096
	global_store_dwordx2 v[0:1], v[10:11], off offset:2048
	s_waitcnt lgkmcnt(3)
	global_store_dwordx2 v[2:3], v[12:13], off
	global_store_dwordx2 v[2:3], v[14:15], off offset:2048
	v_add_co_u32_e32 v0, vcc, 0x3000, v20
	s_nop 1
	v_addc_co_u32_e32 v1, vcc, 0, v21, vcc
	s_waitcnt lgkmcnt(2)
	global_store_dwordx2 v[0:1], v[16:17], off
	global_store_dwordx2 v[0:1], v[18:19], off offset:2048
	v_add_co_u32_e32 v0, vcc, 0x4000, v20
	s_nop 1
	v_addc_co_u32_e32 v1, vcc, 0, v21, vcc
	s_waitcnt lgkmcnt(1)
	global_store_dwordx2 v[0:1], v[22:23], off
	global_store_dwordx2 v[0:1], v[24:25], off offset:2048
.LBB315_514:
	s_and_saveexec_b64 s[2:3], s[0:1]
	s_cbranch_execnz .LBB315_516
; %bb.515:
	s_endpgm
.LBB315_516:
	v_add_co_u32_e32 v0, vcc, 0x5000, v20
	s_nop 1
	v_addc_co_u32_e32 v1, vcc, 0, v21, vcc
	s_waitcnt lgkmcnt(0)
	global_store_dwordx2 v[0:1], v[6:7], off
	s_endpgm
	.section	.rodata,"a",@progbits
	.p2align	6, 0x0
	.amdhsa_kernel _ZN7rocprim17ROCPRIM_400000_NS6detail17trampoline_kernelINS0_14default_configENS1_35adjacent_difference_config_selectorILb1ElEEZNS1_24adjacent_difference_implIS3_Lb1ELb0EPlS7_ZN2at6native12_GLOBAL__N_124unique_dim_cuda_templateIaEESt5tupleIJNS8_6TensorESD_SD_EERKSD_lbbbEUlllE1_EE10hipError_tPvRmT2_T3_mT4_P12ihipStream_tbEUlT_E_NS1_11comp_targetILNS1_3genE5ELNS1_11target_archE942ELNS1_3gpuE9ELNS1_3repE0EEENS1_30default_config_static_selectorELNS0_4arch9wavefront6targetE1EEEvT1_
		.amdhsa_group_segment_fixed_size 22528
		.amdhsa_private_segment_fixed_size 0
		.amdhsa_kernarg_size 64
		.amdhsa_user_sgpr_count 2
		.amdhsa_user_sgpr_dispatch_ptr 0
		.amdhsa_user_sgpr_queue_ptr 0
		.amdhsa_user_sgpr_kernarg_segment_ptr 1
		.amdhsa_user_sgpr_dispatch_id 0
		.amdhsa_user_sgpr_kernarg_preload_length 0
		.amdhsa_user_sgpr_kernarg_preload_offset 0
		.amdhsa_user_sgpr_private_segment_size 0
		.amdhsa_uses_dynamic_stack 0
		.amdhsa_enable_private_segment 0
		.amdhsa_system_sgpr_workgroup_id_x 1
		.amdhsa_system_sgpr_workgroup_id_y 0
		.amdhsa_system_sgpr_workgroup_id_z 0
		.amdhsa_system_sgpr_workgroup_info 0
		.amdhsa_system_vgpr_workitem_id 0
		.amdhsa_next_free_vgpr 70
		.amdhsa_next_free_sgpr 38
		.amdhsa_accum_offset 72
		.amdhsa_reserve_vcc 1
		.amdhsa_float_round_mode_32 0
		.amdhsa_float_round_mode_16_64 0
		.amdhsa_float_denorm_mode_32 3
		.amdhsa_float_denorm_mode_16_64 3
		.amdhsa_dx10_clamp 1
		.amdhsa_ieee_mode 1
		.amdhsa_fp16_overflow 0
		.amdhsa_tg_split 0
		.amdhsa_exception_fp_ieee_invalid_op 0
		.amdhsa_exception_fp_denorm_src 0
		.amdhsa_exception_fp_ieee_div_zero 0
		.amdhsa_exception_fp_ieee_overflow 0
		.amdhsa_exception_fp_ieee_underflow 0
		.amdhsa_exception_fp_ieee_inexact 0
		.amdhsa_exception_int_div_zero 0
	.end_amdhsa_kernel
	.section	.text._ZN7rocprim17ROCPRIM_400000_NS6detail17trampoline_kernelINS0_14default_configENS1_35adjacent_difference_config_selectorILb1ElEEZNS1_24adjacent_difference_implIS3_Lb1ELb0EPlS7_ZN2at6native12_GLOBAL__N_124unique_dim_cuda_templateIaEESt5tupleIJNS8_6TensorESD_SD_EERKSD_lbbbEUlllE1_EE10hipError_tPvRmT2_T3_mT4_P12ihipStream_tbEUlT_E_NS1_11comp_targetILNS1_3genE5ELNS1_11target_archE942ELNS1_3gpuE9ELNS1_3repE0EEENS1_30default_config_static_selectorELNS0_4arch9wavefront6targetE1EEEvT1_,"axG",@progbits,_ZN7rocprim17ROCPRIM_400000_NS6detail17trampoline_kernelINS0_14default_configENS1_35adjacent_difference_config_selectorILb1ElEEZNS1_24adjacent_difference_implIS3_Lb1ELb0EPlS7_ZN2at6native12_GLOBAL__N_124unique_dim_cuda_templateIaEESt5tupleIJNS8_6TensorESD_SD_EERKSD_lbbbEUlllE1_EE10hipError_tPvRmT2_T3_mT4_P12ihipStream_tbEUlT_E_NS1_11comp_targetILNS1_3genE5ELNS1_11target_archE942ELNS1_3gpuE9ELNS1_3repE0EEENS1_30default_config_static_selectorELNS0_4arch9wavefront6targetE1EEEvT1_,comdat
.Lfunc_end315:
	.size	_ZN7rocprim17ROCPRIM_400000_NS6detail17trampoline_kernelINS0_14default_configENS1_35adjacent_difference_config_selectorILb1ElEEZNS1_24adjacent_difference_implIS3_Lb1ELb0EPlS7_ZN2at6native12_GLOBAL__N_124unique_dim_cuda_templateIaEESt5tupleIJNS8_6TensorESD_SD_EERKSD_lbbbEUlllE1_EE10hipError_tPvRmT2_T3_mT4_P12ihipStream_tbEUlT_E_NS1_11comp_targetILNS1_3genE5ELNS1_11target_archE942ELNS1_3gpuE9ELNS1_3repE0EEENS1_30default_config_static_selectorELNS0_4arch9wavefront6targetE1EEEvT1_, .Lfunc_end315-_ZN7rocprim17ROCPRIM_400000_NS6detail17trampoline_kernelINS0_14default_configENS1_35adjacent_difference_config_selectorILb1ElEEZNS1_24adjacent_difference_implIS3_Lb1ELb0EPlS7_ZN2at6native12_GLOBAL__N_124unique_dim_cuda_templateIaEESt5tupleIJNS8_6TensorESD_SD_EERKSD_lbbbEUlllE1_EE10hipError_tPvRmT2_T3_mT4_P12ihipStream_tbEUlT_E_NS1_11comp_targetILNS1_3genE5ELNS1_11target_archE942ELNS1_3gpuE9ELNS1_3repE0EEENS1_30default_config_static_selectorELNS0_4arch9wavefront6targetE1EEEvT1_
                                        ; -- End function
	.section	.AMDGPU.csdata,"",@progbits
; Kernel info:
; codeLenInByte = 14668
; NumSgprs: 44
; NumVgprs: 70
; NumAgprs: 0
; TotalNumVgprs: 70
; ScratchSize: 0
; MemoryBound: 0
; FloatMode: 240
; IeeeMode: 1
; LDSByteSize: 22528 bytes/workgroup (compile time only)
; SGPRBlocks: 5
; VGPRBlocks: 8
; NumSGPRsForWavesPerEU: 44
; NumVGPRsForWavesPerEU: 70
; AccumOffset: 72
; Occupancy: 2
; WaveLimiterHint : 1
; COMPUTE_PGM_RSRC2:SCRATCH_EN: 0
; COMPUTE_PGM_RSRC2:USER_SGPR: 2
; COMPUTE_PGM_RSRC2:TRAP_HANDLER: 0
; COMPUTE_PGM_RSRC2:TGID_X_EN: 1
; COMPUTE_PGM_RSRC2:TGID_Y_EN: 0
; COMPUTE_PGM_RSRC2:TGID_Z_EN: 0
; COMPUTE_PGM_RSRC2:TIDIG_COMP_CNT: 0
; COMPUTE_PGM_RSRC3_GFX90A:ACCUM_OFFSET: 17
; COMPUTE_PGM_RSRC3_GFX90A:TG_SPLIT: 0
	.section	.text._ZN7rocprim17ROCPRIM_400000_NS6detail17trampoline_kernelINS0_14default_configENS1_35adjacent_difference_config_selectorILb1ElEEZNS1_24adjacent_difference_implIS3_Lb1ELb0EPlS7_ZN2at6native12_GLOBAL__N_124unique_dim_cuda_templateIaEESt5tupleIJNS8_6TensorESD_SD_EERKSD_lbbbEUlllE1_EE10hipError_tPvRmT2_T3_mT4_P12ihipStream_tbEUlT_E_NS1_11comp_targetILNS1_3genE4ELNS1_11target_archE910ELNS1_3gpuE8ELNS1_3repE0EEENS1_30default_config_static_selectorELNS0_4arch9wavefront6targetE1EEEvT1_,"axG",@progbits,_ZN7rocprim17ROCPRIM_400000_NS6detail17trampoline_kernelINS0_14default_configENS1_35adjacent_difference_config_selectorILb1ElEEZNS1_24adjacent_difference_implIS3_Lb1ELb0EPlS7_ZN2at6native12_GLOBAL__N_124unique_dim_cuda_templateIaEESt5tupleIJNS8_6TensorESD_SD_EERKSD_lbbbEUlllE1_EE10hipError_tPvRmT2_T3_mT4_P12ihipStream_tbEUlT_E_NS1_11comp_targetILNS1_3genE4ELNS1_11target_archE910ELNS1_3gpuE8ELNS1_3repE0EEENS1_30default_config_static_selectorELNS0_4arch9wavefront6targetE1EEEvT1_,comdat
	.globl	_ZN7rocprim17ROCPRIM_400000_NS6detail17trampoline_kernelINS0_14default_configENS1_35adjacent_difference_config_selectorILb1ElEEZNS1_24adjacent_difference_implIS3_Lb1ELb0EPlS7_ZN2at6native12_GLOBAL__N_124unique_dim_cuda_templateIaEESt5tupleIJNS8_6TensorESD_SD_EERKSD_lbbbEUlllE1_EE10hipError_tPvRmT2_T3_mT4_P12ihipStream_tbEUlT_E_NS1_11comp_targetILNS1_3genE4ELNS1_11target_archE910ELNS1_3gpuE8ELNS1_3repE0EEENS1_30default_config_static_selectorELNS0_4arch9wavefront6targetE1EEEvT1_ ; -- Begin function _ZN7rocprim17ROCPRIM_400000_NS6detail17trampoline_kernelINS0_14default_configENS1_35adjacent_difference_config_selectorILb1ElEEZNS1_24adjacent_difference_implIS3_Lb1ELb0EPlS7_ZN2at6native12_GLOBAL__N_124unique_dim_cuda_templateIaEESt5tupleIJNS8_6TensorESD_SD_EERKSD_lbbbEUlllE1_EE10hipError_tPvRmT2_T3_mT4_P12ihipStream_tbEUlT_E_NS1_11comp_targetILNS1_3genE4ELNS1_11target_archE910ELNS1_3gpuE8ELNS1_3repE0EEENS1_30default_config_static_selectorELNS0_4arch9wavefront6targetE1EEEvT1_
	.p2align	8
	.type	_ZN7rocprim17ROCPRIM_400000_NS6detail17trampoline_kernelINS0_14default_configENS1_35adjacent_difference_config_selectorILb1ElEEZNS1_24adjacent_difference_implIS3_Lb1ELb0EPlS7_ZN2at6native12_GLOBAL__N_124unique_dim_cuda_templateIaEESt5tupleIJNS8_6TensorESD_SD_EERKSD_lbbbEUlllE1_EE10hipError_tPvRmT2_T3_mT4_P12ihipStream_tbEUlT_E_NS1_11comp_targetILNS1_3genE4ELNS1_11target_archE910ELNS1_3gpuE8ELNS1_3repE0EEENS1_30default_config_static_selectorELNS0_4arch9wavefront6targetE1EEEvT1_,@function
_ZN7rocprim17ROCPRIM_400000_NS6detail17trampoline_kernelINS0_14default_configENS1_35adjacent_difference_config_selectorILb1ElEEZNS1_24adjacent_difference_implIS3_Lb1ELb0EPlS7_ZN2at6native12_GLOBAL__N_124unique_dim_cuda_templateIaEESt5tupleIJNS8_6TensorESD_SD_EERKSD_lbbbEUlllE1_EE10hipError_tPvRmT2_T3_mT4_P12ihipStream_tbEUlT_E_NS1_11comp_targetILNS1_3genE4ELNS1_11target_archE910ELNS1_3gpuE8ELNS1_3repE0EEENS1_30default_config_static_selectorELNS0_4arch9wavefront6targetE1EEEvT1_: ; @_ZN7rocprim17ROCPRIM_400000_NS6detail17trampoline_kernelINS0_14default_configENS1_35adjacent_difference_config_selectorILb1ElEEZNS1_24adjacent_difference_implIS3_Lb1ELb0EPlS7_ZN2at6native12_GLOBAL__N_124unique_dim_cuda_templateIaEESt5tupleIJNS8_6TensorESD_SD_EERKSD_lbbbEUlllE1_EE10hipError_tPvRmT2_T3_mT4_P12ihipStream_tbEUlT_E_NS1_11comp_targetILNS1_3genE4ELNS1_11target_archE910ELNS1_3gpuE8ELNS1_3repE0EEENS1_30default_config_static_selectorELNS0_4arch9wavefront6targetE1EEEvT1_
; %bb.0:
	.section	.rodata,"a",@progbits
	.p2align	6, 0x0
	.amdhsa_kernel _ZN7rocprim17ROCPRIM_400000_NS6detail17trampoline_kernelINS0_14default_configENS1_35adjacent_difference_config_selectorILb1ElEEZNS1_24adjacent_difference_implIS3_Lb1ELb0EPlS7_ZN2at6native12_GLOBAL__N_124unique_dim_cuda_templateIaEESt5tupleIJNS8_6TensorESD_SD_EERKSD_lbbbEUlllE1_EE10hipError_tPvRmT2_T3_mT4_P12ihipStream_tbEUlT_E_NS1_11comp_targetILNS1_3genE4ELNS1_11target_archE910ELNS1_3gpuE8ELNS1_3repE0EEENS1_30default_config_static_selectorELNS0_4arch9wavefront6targetE1EEEvT1_
		.amdhsa_group_segment_fixed_size 0
		.amdhsa_private_segment_fixed_size 0
		.amdhsa_kernarg_size 64
		.amdhsa_user_sgpr_count 2
		.amdhsa_user_sgpr_dispatch_ptr 0
		.amdhsa_user_sgpr_queue_ptr 0
		.amdhsa_user_sgpr_kernarg_segment_ptr 1
		.amdhsa_user_sgpr_dispatch_id 0
		.amdhsa_user_sgpr_kernarg_preload_length 0
		.amdhsa_user_sgpr_kernarg_preload_offset 0
		.amdhsa_user_sgpr_private_segment_size 0
		.amdhsa_uses_dynamic_stack 0
		.amdhsa_enable_private_segment 0
		.amdhsa_system_sgpr_workgroup_id_x 1
		.amdhsa_system_sgpr_workgroup_id_y 0
		.amdhsa_system_sgpr_workgroup_id_z 0
		.amdhsa_system_sgpr_workgroup_info 0
		.amdhsa_system_vgpr_workitem_id 0
		.amdhsa_next_free_vgpr 1
		.amdhsa_next_free_sgpr 0
		.amdhsa_accum_offset 4
		.amdhsa_reserve_vcc 0
		.amdhsa_float_round_mode_32 0
		.amdhsa_float_round_mode_16_64 0
		.amdhsa_float_denorm_mode_32 3
		.amdhsa_float_denorm_mode_16_64 3
		.amdhsa_dx10_clamp 1
		.amdhsa_ieee_mode 1
		.amdhsa_fp16_overflow 0
		.amdhsa_tg_split 0
		.amdhsa_exception_fp_ieee_invalid_op 0
		.amdhsa_exception_fp_denorm_src 0
		.amdhsa_exception_fp_ieee_div_zero 0
		.amdhsa_exception_fp_ieee_overflow 0
		.amdhsa_exception_fp_ieee_underflow 0
		.amdhsa_exception_fp_ieee_inexact 0
		.amdhsa_exception_int_div_zero 0
	.end_amdhsa_kernel
	.section	.text._ZN7rocprim17ROCPRIM_400000_NS6detail17trampoline_kernelINS0_14default_configENS1_35adjacent_difference_config_selectorILb1ElEEZNS1_24adjacent_difference_implIS3_Lb1ELb0EPlS7_ZN2at6native12_GLOBAL__N_124unique_dim_cuda_templateIaEESt5tupleIJNS8_6TensorESD_SD_EERKSD_lbbbEUlllE1_EE10hipError_tPvRmT2_T3_mT4_P12ihipStream_tbEUlT_E_NS1_11comp_targetILNS1_3genE4ELNS1_11target_archE910ELNS1_3gpuE8ELNS1_3repE0EEENS1_30default_config_static_selectorELNS0_4arch9wavefront6targetE1EEEvT1_,"axG",@progbits,_ZN7rocprim17ROCPRIM_400000_NS6detail17trampoline_kernelINS0_14default_configENS1_35adjacent_difference_config_selectorILb1ElEEZNS1_24adjacent_difference_implIS3_Lb1ELb0EPlS7_ZN2at6native12_GLOBAL__N_124unique_dim_cuda_templateIaEESt5tupleIJNS8_6TensorESD_SD_EERKSD_lbbbEUlllE1_EE10hipError_tPvRmT2_T3_mT4_P12ihipStream_tbEUlT_E_NS1_11comp_targetILNS1_3genE4ELNS1_11target_archE910ELNS1_3gpuE8ELNS1_3repE0EEENS1_30default_config_static_selectorELNS0_4arch9wavefront6targetE1EEEvT1_,comdat
.Lfunc_end316:
	.size	_ZN7rocprim17ROCPRIM_400000_NS6detail17trampoline_kernelINS0_14default_configENS1_35adjacent_difference_config_selectorILb1ElEEZNS1_24adjacent_difference_implIS3_Lb1ELb0EPlS7_ZN2at6native12_GLOBAL__N_124unique_dim_cuda_templateIaEESt5tupleIJNS8_6TensorESD_SD_EERKSD_lbbbEUlllE1_EE10hipError_tPvRmT2_T3_mT4_P12ihipStream_tbEUlT_E_NS1_11comp_targetILNS1_3genE4ELNS1_11target_archE910ELNS1_3gpuE8ELNS1_3repE0EEENS1_30default_config_static_selectorELNS0_4arch9wavefront6targetE1EEEvT1_, .Lfunc_end316-_ZN7rocprim17ROCPRIM_400000_NS6detail17trampoline_kernelINS0_14default_configENS1_35adjacent_difference_config_selectorILb1ElEEZNS1_24adjacent_difference_implIS3_Lb1ELb0EPlS7_ZN2at6native12_GLOBAL__N_124unique_dim_cuda_templateIaEESt5tupleIJNS8_6TensorESD_SD_EERKSD_lbbbEUlllE1_EE10hipError_tPvRmT2_T3_mT4_P12ihipStream_tbEUlT_E_NS1_11comp_targetILNS1_3genE4ELNS1_11target_archE910ELNS1_3gpuE8ELNS1_3repE0EEENS1_30default_config_static_selectorELNS0_4arch9wavefront6targetE1EEEvT1_
                                        ; -- End function
	.section	.AMDGPU.csdata,"",@progbits
; Kernel info:
; codeLenInByte = 0
; NumSgprs: 6
; NumVgprs: 0
; NumAgprs: 0
; TotalNumVgprs: 0
; ScratchSize: 0
; MemoryBound: 0
; FloatMode: 240
; IeeeMode: 1
; LDSByteSize: 0 bytes/workgroup (compile time only)
; SGPRBlocks: 0
; VGPRBlocks: 0
; NumSGPRsForWavesPerEU: 6
; NumVGPRsForWavesPerEU: 1
; AccumOffset: 4
; Occupancy: 8
; WaveLimiterHint : 0
; COMPUTE_PGM_RSRC2:SCRATCH_EN: 0
; COMPUTE_PGM_RSRC2:USER_SGPR: 2
; COMPUTE_PGM_RSRC2:TRAP_HANDLER: 0
; COMPUTE_PGM_RSRC2:TGID_X_EN: 1
; COMPUTE_PGM_RSRC2:TGID_Y_EN: 0
; COMPUTE_PGM_RSRC2:TGID_Z_EN: 0
; COMPUTE_PGM_RSRC2:TIDIG_COMP_CNT: 0
; COMPUTE_PGM_RSRC3_GFX90A:ACCUM_OFFSET: 0
; COMPUTE_PGM_RSRC3_GFX90A:TG_SPLIT: 0
	.section	.text._ZN7rocprim17ROCPRIM_400000_NS6detail17trampoline_kernelINS0_14default_configENS1_35adjacent_difference_config_selectorILb1ElEEZNS1_24adjacent_difference_implIS3_Lb1ELb0EPlS7_ZN2at6native12_GLOBAL__N_124unique_dim_cuda_templateIaEESt5tupleIJNS8_6TensorESD_SD_EERKSD_lbbbEUlllE1_EE10hipError_tPvRmT2_T3_mT4_P12ihipStream_tbEUlT_E_NS1_11comp_targetILNS1_3genE3ELNS1_11target_archE908ELNS1_3gpuE7ELNS1_3repE0EEENS1_30default_config_static_selectorELNS0_4arch9wavefront6targetE1EEEvT1_,"axG",@progbits,_ZN7rocprim17ROCPRIM_400000_NS6detail17trampoline_kernelINS0_14default_configENS1_35adjacent_difference_config_selectorILb1ElEEZNS1_24adjacent_difference_implIS3_Lb1ELb0EPlS7_ZN2at6native12_GLOBAL__N_124unique_dim_cuda_templateIaEESt5tupleIJNS8_6TensorESD_SD_EERKSD_lbbbEUlllE1_EE10hipError_tPvRmT2_T3_mT4_P12ihipStream_tbEUlT_E_NS1_11comp_targetILNS1_3genE3ELNS1_11target_archE908ELNS1_3gpuE7ELNS1_3repE0EEENS1_30default_config_static_selectorELNS0_4arch9wavefront6targetE1EEEvT1_,comdat
	.globl	_ZN7rocprim17ROCPRIM_400000_NS6detail17trampoline_kernelINS0_14default_configENS1_35adjacent_difference_config_selectorILb1ElEEZNS1_24adjacent_difference_implIS3_Lb1ELb0EPlS7_ZN2at6native12_GLOBAL__N_124unique_dim_cuda_templateIaEESt5tupleIJNS8_6TensorESD_SD_EERKSD_lbbbEUlllE1_EE10hipError_tPvRmT2_T3_mT4_P12ihipStream_tbEUlT_E_NS1_11comp_targetILNS1_3genE3ELNS1_11target_archE908ELNS1_3gpuE7ELNS1_3repE0EEENS1_30default_config_static_selectorELNS0_4arch9wavefront6targetE1EEEvT1_ ; -- Begin function _ZN7rocprim17ROCPRIM_400000_NS6detail17trampoline_kernelINS0_14default_configENS1_35adjacent_difference_config_selectorILb1ElEEZNS1_24adjacent_difference_implIS3_Lb1ELb0EPlS7_ZN2at6native12_GLOBAL__N_124unique_dim_cuda_templateIaEESt5tupleIJNS8_6TensorESD_SD_EERKSD_lbbbEUlllE1_EE10hipError_tPvRmT2_T3_mT4_P12ihipStream_tbEUlT_E_NS1_11comp_targetILNS1_3genE3ELNS1_11target_archE908ELNS1_3gpuE7ELNS1_3repE0EEENS1_30default_config_static_selectorELNS0_4arch9wavefront6targetE1EEEvT1_
	.p2align	8
	.type	_ZN7rocprim17ROCPRIM_400000_NS6detail17trampoline_kernelINS0_14default_configENS1_35adjacent_difference_config_selectorILb1ElEEZNS1_24adjacent_difference_implIS3_Lb1ELb0EPlS7_ZN2at6native12_GLOBAL__N_124unique_dim_cuda_templateIaEESt5tupleIJNS8_6TensorESD_SD_EERKSD_lbbbEUlllE1_EE10hipError_tPvRmT2_T3_mT4_P12ihipStream_tbEUlT_E_NS1_11comp_targetILNS1_3genE3ELNS1_11target_archE908ELNS1_3gpuE7ELNS1_3repE0EEENS1_30default_config_static_selectorELNS0_4arch9wavefront6targetE1EEEvT1_,@function
_ZN7rocprim17ROCPRIM_400000_NS6detail17trampoline_kernelINS0_14default_configENS1_35adjacent_difference_config_selectorILb1ElEEZNS1_24adjacent_difference_implIS3_Lb1ELb0EPlS7_ZN2at6native12_GLOBAL__N_124unique_dim_cuda_templateIaEESt5tupleIJNS8_6TensorESD_SD_EERKSD_lbbbEUlllE1_EE10hipError_tPvRmT2_T3_mT4_P12ihipStream_tbEUlT_E_NS1_11comp_targetILNS1_3genE3ELNS1_11target_archE908ELNS1_3gpuE7ELNS1_3repE0EEENS1_30default_config_static_selectorELNS0_4arch9wavefront6targetE1EEEvT1_: ; @_ZN7rocprim17ROCPRIM_400000_NS6detail17trampoline_kernelINS0_14default_configENS1_35adjacent_difference_config_selectorILb1ElEEZNS1_24adjacent_difference_implIS3_Lb1ELb0EPlS7_ZN2at6native12_GLOBAL__N_124unique_dim_cuda_templateIaEESt5tupleIJNS8_6TensorESD_SD_EERKSD_lbbbEUlllE1_EE10hipError_tPvRmT2_T3_mT4_P12ihipStream_tbEUlT_E_NS1_11comp_targetILNS1_3genE3ELNS1_11target_archE908ELNS1_3gpuE7ELNS1_3repE0EEENS1_30default_config_static_selectorELNS0_4arch9wavefront6targetE1EEEvT1_
; %bb.0:
	.section	.rodata,"a",@progbits
	.p2align	6, 0x0
	.amdhsa_kernel _ZN7rocprim17ROCPRIM_400000_NS6detail17trampoline_kernelINS0_14default_configENS1_35adjacent_difference_config_selectorILb1ElEEZNS1_24adjacent_difference_implIS3_Lb1ELb0EPlS7_ZN2at6native12_GLOBAL__N_124unique_dim_cuda_templateIaEESt5tupleIJNS8_6TensorESD_SD_EERKSD_lbbbEUlllE1_EE10hipError_tPvRmT2_T3_mT4_P12ihipStream_tbEUlT_E_NS1_11comp_targetILNS1_3genE3ELNS1_11target_archE908ELNS1_3gpuE7ELNS1_3repE0EEENS1_30default_config_static_selectorELNS0_4arch9wavefront6targetE1EEEvT1_
		.amdhsa_group_segment_fixed_size 0
		.amdhsa_private_segment_fixed_size 0
		.amdhsa_kernarg_size 64
		.amdhsa_user_sgpr_count 2
		.amdhsa_user_sgpr_dispatch_ptr 0
		.amdhsa_user_sgpr_queue_ptr 0
		.amdhsa_user_sgpr_kernarg_segment_ptr 1
		.amdhsa_user_sgpr_dispatch_id 0
		.amdhsa_user_sgpr_kernarg_preload_length 0
		.amdhsa_user_sgpr_kernarg_preload_offset 0
		.amdhsa_user_sgpr_private_segment_size 0
		.amdhsa_uses_dynamic_stack 0
		.amdhsa_enable_private_segment 0
		.amdhsa_system_sgpr_workgroup_id_x 1
		.amdhsa_system_sgpr_workgroup_id_y 0
		.amdhsa_system_sgpr_workgroup_id_z 0
		.amdhsa_system_sgpr_workgroup_info 0
		.amdhsa_system_vgpr_workitem_id 0
		.amdhsa_next_free_vgpr 1
		.amdhsa_next_free_sgpr 0
		.amdhsa_accum_offset 4
		.amdhsa_reserve_vcc 0
		.amdhsa_float_round_mode_32 0
		.amdhsa_float_round_mode_16_64 0
		.amdhsa_float_denorm_mode_32 3
		.amdhsa_float_denorm_mode_16_64 3
		.amdhsa_dx10_clamp 1
		.amdhsa_ieee_mode 1
		.amdhsa_fp16_overflow 0
		.amdhsa_tg_split 0
		.amdhsa_exception_fp_ieee_invalid_op 0
		.amdhsa_exception_fp_denorm_src 0
		.amdhsa_exception_fp_ieee_div_zero 0
		.amdhsa_exception_fp_ieee_overflow 0
		.amdhsa_exception_fp_ieee_underflow 0
		.amdhsa_exception_fp_ieee_inexact 0
		.amdhsa_exception_int_div_zero 0
	.end_amdhsa_kernel
	.section	.text._ZN7rocprim17ROCPRIM_400000_NS6detail17trampoline_kernelINS0_14default_configENS1_35adjacent_difference_config_selectorILb1ElEEZNS1_24adjacent_difference_implIS3_Lb1ELb0EPlS7_ZN2at6native12_GLOBAL__N_124unique_dim_cuda_templateIaEESt5tupleIJNS8_6TensorESD_SD_EERKSD_lbbbEUlllE1_EE10hipError_tPvRmT2_T3_mT4_P12ihipStream_tbEUlT_E_NS1_11comp_targetILNS1_3genE3ELNS1_11target_archE908ELNS1_3gpuE7ELNS1_3repE0EEENS1_30default_config_static_selectorELNS0_4arch9wavefront6targetE1EEEvT1_,"axG",@progbits,_ZN7rocprim17ROCPRIM_400000_NS6detail17trampoline_kernelINS0_14default_configENS1_35adjacent_difference_config_selectorILb1ElEEZNS1_24adjacent_difference_implIS3_Lb1ELb0EPlS7_ZN2at6native12_GLOBAL__N_124unique_dim_cuda_templateIaEESt5tupleIJNS8_6TensorESD_SD_EERKSD_lbbbEUlllE1_EE10hipError_tPvRmT2_T3_mT4_P12ihipStream_tbEUlT_E_NS1_11comp_targetILNS1_3genE3ELNS1_11target_archE908ELNS1_3gpuE7ELNS1_3repE0EEENS1_30default_config_static_selectorELNS0_4arch9wavefront6targetE1EEEvT1_,comdat
.Lfunc_end317:
	.size	_ZN7rocprim17ROCPRIM_400000_NS6detail17trampoline_kernelINS0_14default_configENS1_35adjacent_difference_config_selectorILb1ElEEZNS1_24adjacent_difference_implIS3_Lb1ELb0EPlS7_ZN2at6native12_GLOBAL__N_124unique_dim_cuda_templateIaEESt5tupleIJNS8_6TensorESD_SD_EERKSD_lbbbEUlllE1_EE10hipError_tPvRmT2_T3_mT4_P12ihipStream_tbEUlT_E_NS1_11comp_targetILNS1_3genE3ELNS1_11target_archE908ELNS1_3gpuE7ELNS1_3repE0EEENS1_30default_config_static_selectorELNS0_4arch9wavefront6targetE1EEEvT1_, .Lfunc_end317-_ZN7rocprim17ROCPRIM_400000_NS6detail17trampoline_kernelINS0_14default_configENS1_35adjacent_difference_config_selectorILb1ElEEZNS1_24adjacent_difference_implIS3_Lb1ELb0EPlS7_ZN2at6native12_GLOBAL__N_124unique_dim_cuda_templateIaEESt5tupleIJNS8_6TensorESD_SD_EERKSD_lbbbEUlllE1_EE10hipError_tPvRmT2_T3_mT4_P12ihipStream_tbEUlT_E_NS1_11comp_targetILNS1_3genE3ELNS1_11target_archE908ELNS1_3gpuE7ELNS1_3repE0EEENS1_30default_config_static_selectorELNS0_4arch9wavefront6targetE1EEEvT1_
                                        ; -- End function
	.section	.AMDGPU.csdata,"",@progbits
; Kernel info:
; codeLenInByte = 0
; NumSgprs: 6
; NumVgprs: 0
; NumAgprs: 0
; TotalNumVgprs: 0
; ScratchSize: 0
; MemoryBound: 0
; FloatMode: 240
; IeeeMode: 1
; LDSByteSize: 0 bytes/workgroup (compile time only)
; SGPRBlocks: 0
; VGPRBlocks: 0
; NumSGPRsForWavesPerEU: 6
; NumVGPRsForWavesPerEU: 1
; AccumOffset: 4
; Occupancy: 8
; WaveLimiterHint : 0
; COMPUTE_PGM_RSRC2:SCRATCH_EN: 0
; COMPUTE_PGM_RSRC2:USER_SGPR: 2
; COMPUTE_PGM_RSRC2:TRAP_HANDLER: 0
; COMPUTE_PGM_RSRC2:TGID_X_EN: 1
; COMPUTE_PGM_RSRC2:TGID_Y_EN: 0
; COMPUTE_PGM_RSRC2:TGID_Z_EN: 0
; COMPUTE_PGM_RSRC2:TIDIG_COMP_CNT: 0
; COMPUTE_PGM_RSRC3_GFX90A:ACCUM_OFFSET: 0
; COMPUTE_PGM_RSRC3_GFX90A:TG_SPLIT: 0
	.section	.text._ZN7rocprim17ROCPRIM_400000_NS6detail17trampoline_kernelINS0_14default_configENS1_35adjacent_difference_config_selectorILb1ElEEZNS1_24adjacent_difference_implIS3_Lb1ELb0EPlS7_ZN2at6native12_GLOBAL__N_124unique_dim_cuda_templateIaEESt5tupleIJNS8_6TensorESD_SD_EERKSD_lbbbEUlllE1_EE10hipError_tPvRmT2_T3_mT4_P12ihipStream_tbEUlT_E_NS1_11comp_targetILNS1_3genE2ELNS1_11target_archE906ELNS1_3gpuE6ELNS1_3repE0EEENS1_30default_config_static_selectorELNS0_4arch9wavefront6targetE1EEEvT1_,"axG",@progbits,_ZN7rocprim17ROCPRIM_400000_NS6detail17trampoline_kernelINS0_14default_configENS1_35adjacent_difference_config_selectorILb1ElEEZNS1_24adjacent_difference_implIS3_Lb1ELb0EPlS7_ZN2at6native12_GLOBAL__N_124unique_dim_cuda_templateIaEESt5tupleIJNS8_6TensorESD_SD_EERKSD_lbbbEUlllE1_EE10hipError_tPvRmT2_T3_mT4_P12ihipStream_tbEUlT_E_NS1_11comp_targetILNS1_3genE2ELNS1_11target_archE906ELNS1_3gpuE6ELNS1_3repE0EEENS1_30default_config_static_selectorELNS0_4arch9wavefront6targetE1EEEvT1_,comdat
	.globl	_ZN7rocprim17ROCPRIM_400000_NS6detail17trampoline_kernelINS0_14default_configENS1_35adjacent_difference_config_selectorILb1ElEEZNS1_24adjacent_difference_implIS3_Lb1ELb0EPlS7_ZN2at6native12_GLOBAL__N_124unique_dim_cuda_templateIaEESt5tupleIJNS8_6TensorESD_SD_EERKSD_lbbbEUlllE1_EE10hipError_tPvRmT2_T3_mT4_P12ihipStream_tbEUlT_E_NS1_11comp_targetILNS1_3genE2ELNS1_11target_archE906ELNS1_3gpuE6ELNS1_3repE0EEENS1_30default_config_static_selectorELNS0_4arch9wavefront6targetE1EEEvT1_ ; -- Begin function _ZN7rocprim17ROCPRIM_400000_NS6detail17trampoline_kernelINS0_14default_configENS1_35adjacent_difference_config_selectorILb1ElEEZNS1_24adjacent_difference_implIS3_Lb1ELb0EPlS7_ZN2at6native12_GLOBAL__N_124unique_dim_cuda_templateIaEESt5tupleIJNS8_6TensorESD_SD_EERKSD_lbbbEUlllE1_EE10hipError_tPvRmT2_T3_mT4_P12ihipStream_tbEUlT_E_NS1_11comp_targetILNS1_3genE2ELNS1_11target_archE906ELNS1_3gpuE6ELNS1_3repE0EEENS1_30default_config_static_selectorELNS0_4arch9wavefront6targetE1EEEvT1_
	.p2align	8
	.type	_ZN7rocprim17ROCPRIM_400000_NS6detail17trampoline_kernelINS0_14default_configENS1_35adjacent_difference_config_selectorILb1ElEEZNS1_24adjacent_difference_implIS3_Lb1ELb0EPlS7_ZN2at6native12_GLOBAL__N_124unique_dim_cuda_templateIaEESt5tupleIJNS8_6TensorESD_SD_EERKSD_lbbbEUlllE1_EE10hipError_tPvRmT2_T3_mT4_P12ihipStream_tbEUlT_E_NS1_11comp_targetILNS1_3genE2ELNS1_11target_archE906ELNS1_3gpuE6ELNS1_3repE0EEENS1_30default_config_static_selectorELNS0_4arch9wavefront6targetE1EEEvT1_,@function
_ZN7rocprim17ROCPRIM_400000_NS6detail17trampoline_kernelINS0_14default_configENS1_35adjacent_difference_config_selectorILb1ElEEZNS1_24adjacent_difference_implIS3_Lb1ELb0EPlS7_ZN2at6native12_GLOBAL__N_124unique_dim_cuda_templateIaEESt5tupleIJNS8_6TensorESD_SD_EERKSD_lbbbEUlllE1_EE10hipError_tPvRmT2_T3_mT4_P12ihipStream_tbEUlT_E_NS1_11comp_targetILNS1_3genE2ELNS1_11target_archE906ELNS1_3gpuE6ELNS1_3repE0EEENS1_30default_config_static_selectorELNS0_4arch9wavefront6targetE1EEEvT1_: ; @_ZN7rocprim17ROCPRIM_400000_NS6detail17trampoline_kernelINS0_14default_configENS1_35adjacent_difference_config_selectorILb1ElEEZNS1_24adjacent_difference_implIS3_Lb1ELb0EPlS7_ZN2at6native12_GLOBAL__N_124unique_dim_cuda_templateIaEESt5tupleIJNS8_6TensorESD_SD_EERKSD_lbbbEUlllE1_EE10hipError_tPvRmT2_T3_mT4_P12ihipStream_tbEUlT_E_NS1_11comp_targetILNS1_3genE2ELNS1_11target_archE906ELNS1_3gpuE6ELNS1_3repE0EEENS1_30default_config_static_selectorELNS0_4arch9wavefront6targetE1EEEvT1_
; %bb.0:
	.section	.rodata,"a",@progbits
	.p2align	6, 0x0
	.amdhsa_kernel _ZN7rocprim17ROCPRIM_400000_NS6detail17trampoline_kernelINS0_14default_configENS1_35adjacent_difference_config_selectorILb1ElEEZNS1_24adjacent_difference_implIS3_Lb1ELb0EPlS7_ZN2at6native12_GLOBAL__N_124unique_dim_cuda_templateIaEESt5tupleIJNS8_6TensorESD_SD_EERKSD_lbbbEUlllE1_EE10hipError_tPvRmT2_T3_mT4_P12ihipStream_tbEUlT_E_NS1_11comp_targetILNS1_3genE2ELNS1_11target_archE906ELNS1_3gpuE6ELNS1_3repE0EEENS1_30default_config_static_selectorELNS0_4arch9wavefront6targetE1EEEvT1_
		.amdhsa_group_segment_fixed_size 0
		.amdhsa_private_segment_fixed_size 0
		.amdhsa_kernarg_size 64
		.amdhsa_user_sgpr_count 2
		.amdhsa_user_sgpr_dispatch_ptr 0
		.amdhsa_user_sgpr_queue_ptr 0
		.amdhsa_user_sgpr_kernarg_segment_ptr 1
		.amdhsa_user_sgpr_dispatch_id 0
		.amdhsa_user_sgpr_kernarg_preload_length 0
		.amdhsa_user_sgpr_kernarg_preload_offset 0
		.amdhsa_user_sgpr_private_segment_size 0
		.amdhsa_uses_dynamic_stack 0
		.amdhsa_enable_private_segment 0
		.amdhsa_system_sgpr_workgroup_id_x 1
		.amdhsa_system_sgpr_workgroup_id_y 0
		.amdhsa_system_sgpr_workgroup_id_z 0
		.amdhsa_system_sgpr_workgroup_info 0
		.amdhsa_system_vgpr_workitem_id 0
		.amdhsa_next_free_vgpr 1
		.amdhsa_next_free_sgpr 0
		.amdhsa_accum_offset 4
		.amdhsa_reserve_vcc 0
		.amdhsa_float_round_mode_32 0
		.amdhsa_float_round_mode_16_64 0
		.amdhsa_float_denorm_mode_32 3
		.amdhsa_float_denorm_mode_16_64 3
		.amdhsa_dx10_clamp 1
		.amdhsa_ieee_mode 1
		.amdhsa_fp16_overflow 0
		.amdhsa_tg_split 0
		.amdhsa_exception_fp_ieee_invalid_op 0
		.amdhsa_exception_fp_denorm_src 0
		.amdhsa_exception_fp_ieee_div_zero 0
		.amdhsa_exception_fp_ieee_overflow 0
		.amdhsa_exception_fp_ieee_underflow 0
		.amdhsa_exception_fp_ieee_inexact 0
		.amdhsa_exception_int_div_zero 0
	.end_amdhsa_kernel
	.section	.text._ZN7rocprim17ROCPRIM_400000_NS6detail17trampoline_kernelINS0_14default_configENS1_35adjacent_difference_config_selectorILb1ElEEZNS1_24adjacent_difference_implIS3_Lb1ELb0EPlS7_ZN2at6native12_GLOBAL__N_124unique_dim_cuda_templateIaEESt5tupleIJNS8_6TensorESD_SD_EERKSD_lbbbEUlllE1_EE10hipError_tPvRmT2_T3_mT4_P12ihipStream_tbEUlT_E_NS1_11comp_targetILNS1_3genE2ELNS1_11target_archE906ELNS1_3gpuE6ELNS1_3repE0EEENS1_30default_config_static_selectorELNS0_4arch9wavefront6targetE1EEEvT1_,"axG",@progbits,_ZN7rocprim17ROCPRIM_400000_NS6detail17trampoline_kernelINS0_14default_configENS1_35adjacent_difference_config_selectorILb1ElEEZNS1_24adjacent_difference_implIS3_Lb1ELb0EPlS7_ZN2at6native12_GLOBAL__N_124unique_dim_cuda_templateIaEESt5tupleIJNS8_6TensorESD_SD_EERKSD_lbbbEUlllE1_EE10hipError_tPvRmT2_T3_mT4_P12ihipStream_tbEUlT_E_NS1_11comp_targetILNS1_3genE2ELNS1_11target_archE906ELNS1_3gpuE6ELNS1_3repE0EEENS1_30default_config_static_selectorELNS0_4arch9wavefront6targetE1EEEvT1_,comdat
.Lfunc_end318:
	.size	_ZN7rocprim17ROCPRIM_400000_NS6detail17trampoline_kernelINS0_14default_configENS1_35adjacent_difference_config_selectorILb1ElEEZNS1_24adjacent_difference_implIS3_Lb1ELb0EPlS7_ZN2at6native12_GLOBAL__N_124unique_dim_cuda_templateIaEESt5tupleIJNS8_6TensorESD_SD_EERKSD_lbbbEUlllE1_EE10hipError_tPvRmT2_T3_mT4_P12ihipStream_tbEUlT_E_NS1_11comp_targetILNS1_3genE2ELNS1_11target_archE906ELNS1_3gpuE6ELNS1_3repE0EEENS1_30default_config_static_selectorELNS0_4arch9wavefront6targetE1EEEvT1_, .Lfunc_end318-_ZN7rocprim17ROCPRIM_400000_NS6detail17trampoline_kernelINS0_14default_configENS1_35adjacent_difference_config_selectorILb1ElEEZNS1_24adjacent_difference_implIS3_Lb1ELb0EPlS7_ZN2at6native12_GLOBAL__N_124unique_dim_cuda_templateIaEESt5tupleIJNS8_6TensorESD_SD_EERKSD_lbbbEUlllE1_EE10hipError_tPvRmT2_T3_mT4_P12ihipStream_tbEUlT_E_NS1_11comp_targetILNS1_3genE2ELNS1_11target_archE906ELNS1_3gpuE6ELNS1_3repE0EEENS1_30default_config_static_selectorELNS0_4arch9wavefront6targetE1EEEvT1_
                                        ; -- End function
	.section	.AMDGPU.csdata,"",@progbits
; Kernel info:
; codeLenInByte = 0
; NumSgprs: 6
; NumVgprs: 0
; NumAgprs: 0
; TotalNumVgprs: 0
; ScratchSize: 0
; MemoryBound: 0
; FloatMode: 240
; IeeeMode: 1
; LDSByteSize: 0 bytes/workgroup (compile time only)
; SGPRBlocks: 0
; VGPRBlocks: 0
; NumSGPRsForWavesPerEU: 6
; NumVGPRsForWavesPerEU: 1
; AccumOffset: 4
; Occupancy: 8
; WaveLimiterHint : 0
; COMPUTE_PGM_RSRC2:SCRATCH_EN: 0
; COMPUTE_PGM_RSRC2:USER_SGPR: 2
; COMPUTE_PGM_RSRC2:TRAP_HANDLER: 0
; COMPUTE_PGM_RSRC2:TGID_X_EN: 1
; COMPUTE_PGM_RSRC2:TGID_Y_EN: 0
; COMPUTE_PGM_RSRC2:TGID_Z_EN: 0
; COMPUTE_PGM_RSRC2:TIDIG_COMP_CNT: 0
; COMPUTE_PGM_RSRC3_GFX90A:ACCUM_OFFSET: 0
; COMPUTE_PGM_RSRC3_GFX90A:TG_SPLIT: 0
	.section	.text._ZN7rocprim17ROCPRIM_400000_NS6detail17trampoline_kernelINS0_14default_configENS1_35adjacent_difference_config_selectorILb1ElEEZNS1_24adjacent_difference_implIS3_Lb1ELb0EPlS7_ZN2at6native12_GLOBAL__N_124unique_dim_cuda_templateIaEESt5tupleIJNS8_6TensorESD_SD_EERKSD_lbbbEUlllE1_EE10hipError_tPvRmT2_T3_mT4_P12ihipStream_tbEUlT_E_NS1_11comp_targetILNS1_3genE9ELNS1_11target_archE1100ELNS1_3gpuE3ELNS1_3repE0EEENS1_30default_config_static_selectorELNS0_4arch9wavefront6targetE1EEEvT1_,"axG",@progbits,_ZN7rocprim17ROCPRIM_400000_NS6detail17trampoline_kernelINS0_14default_configENS1_35adjacent_difference_config_selectorILb1ElEEZNS1_24adjacent_difference_implIS3_Lb1ELb0EPlS7_ZN2at6native12_GLOBAL__N_124unique_dim_cuda_templateIaEESt5tupleIJNS8_6TensorESD_SD_EERKSD_lbbbEUlllE1_EE10hipError_tPvRmT2_T3_mT4_P12ihipStream_tbEUlT_E_NS1_11comp_targetILNS1_3genE9ELNS1_11target_archE1100ELNS1_3gpuE3ELNS1_3repE0EEENS1_30default_config_static_selectorELNS0_4arch9wavefront6targetE1EEEvT1_,comdat
	.globl	_ZN7rocprim17ROCPRIM_400000_NS6detail17trampoline_kernelINS0_14default_configENS1_35adjacent_difference_config_selectorILb1ElEEZNS1_24adjacent_difference_implIS3_Lb1ELb0EPlS7_ZN2at6native12_GLOBAL__N_124unique_dim_cuda_templateIaEESt5tupleIJNS8_6TensorESD_SD_EERKSD_lbbbEUlllE1_EE10hipError_tPvRmT2_T3_mT4_P12ihipStream_tbEUlT_E_NS1_11comp_targetILNS1_3genE9ELNS1_11target_archE1100ELNS1_3gpuE3ELNS1_3repE0EEENS1_30default_config_static_selectorELNS0_4arch9wavefront6targetE1EEEvT1_ ; -- Begin function _ZN7rocprim17ROCPRIM_400000_NS6detail17trampoline_kernelINS0_14default_configENS1_35adjacent_difference_config_selectorILb1ElEEZNS1_24adjacent_difference_implIS3_Lb1ELb0EPlS7_ZN2at6native12_GLOBAL__N_124unique_dim_cuda_templateIaEESt5tupleIJNS8_6TensorESD_SD_EERKSD_lbbbEUlllE1_EE10hipError_tPvRmT2_T3_mT4_P12ihipStream_tbEUlT_E_NS1_11comp_targetILNS1_3genE9ELNS1_11target_archE1100ELNS1_3gpuE3ELNS1_3repE0EEENS1_30default_config_static_selectorELNS0_4arch9wavefront6targetE1EEEvT1_
	.p2align	8
	.type	_ZN7rocprim17ROCPRIM_400000_NS6detail17trampoline_kernelINS0_14default_configENS1_35adjacent_difference_config_selectorILb1ElEEZNS1_24adjacent_difference_implIS3_Lb1ELb0EPlS7_ZN2at6native12_GLOBAL__N_124unique_dim_cuda_templateIaEESt5tupleIJNS8_6TensorESD_SD_EERKSD_lbbbEUlllE1_EE10hipError_tPvRmT2_T3_mT4_P12ihipStream_tbEUlT_E_NS1_11comp_targetILNS1_3genE9ELNS1_11target_archE1100ELNS1_3gpuE3ELNS1_3repE0EEENS1_30default_config_static_selectorELNS0_4arch9wavefront6targetE1EEEvT1_,@function
_ZN7rocprim17ROCPRIM_400000_NS6detail17trampoline_kernelINS0_14default_configENS1_35adjacent_difference_config_selectorILb1ElEEZNS1_24adjacent_difference_implIS3_Lb1ELb0EPlS7_ZN2at6native12_GLOBAL__N_124unique_dim_cuda_templateIaEESt5tupleIJNS8_6TensorESD_SD_EERKSD_lbbbEUlllE1_EE10hipError_tPvRmT2_T3_mT4_P12ihipStream_tbEUlT_E_NS1_11comp_targetILNS1_3genE9ELNS1_11target_archE1100ELNS1_3gpuE3ELNS1_3repE0EEENS1_30default_config_static_selectorELNS0_4arch9wavefront6targetE1EEEvT1_: ; @_ZN7rocprim17ROCPRIM_400000_NS6detail17trampoline_kernelINS0_14default_configENS1_35adjacent_difference_config_selectorILb1ElEEZNS1_24adjacent_difference_implIS3_Lb1ELb0EPlS7_ZN2at6native12_GLOBAL__N_124unique_dim_cuda_templateIaEESt5tupleIJNS8_6TensorESD_SD_EERKSD_lbbbEUlllE1_EE10hipError_tPvRmT2_T3_mT4_P12ihipStream_tbEUlT_E_NS1_11comp_targetILNS1_3genE9ELNS1_11target_archE1100ELNS1_3gpuE3ELNS1_3repE0EEENS1_30default_config_static_selectorELNS0_4arch9wavefront6targetE1EEEvT1_
; %bb.0:
	.section	.rodata,"a",@progbits
	.p2align	6, 0x0
	.amdhsa_kernel _ZN7rocprim17ROCPRIM_400000_NS6detail17trampoline_kernelINS0_14default_configENS1_35adjacent_difference_config_selectorILb1ElEEZNS1_24adjacent_difference_implIS3_Lb1ELb0EPlS7_ZN2at6native12_GLOBAL__N_124unique_dim_cuda_templateIaEESt5tupleIJNS8_6TensorESD_SD_EERKSD_lbbbEUlllE1_EE10hipError_tPvRmT2_T3_mT4_P12ihipStream_tbEUlT_E_NS1_11comp_targetILNS1_3genE9ELNS1_11target_archE1100ELNS1_3gpuE3ELNS1_3repE0EEENS1_30default_config_static_selectorELNS0_4arch9wavefront6targetE1EEEvT1_
		.amdhsa_group_segment_fixed_size 0
		.amdhsa_private_segment_fixed_size 0
		.amdhsa_kernarg_size 64
		.amdhsa_user_sgpr_count 2
		.amdhsa_user_sgpr_dispatch_ptr 0
		.amdhsa_user_sgpr_queue_ptr 0
		.amdhsa_user_sgpr_kernarg_segment_ptr 1
		.amdhsa_user_sgpr_dispatch_id 0
		.amdhsa_user_sgpr_kernarg_preload_length 0
		.amdhsa_user_sgpr_kernarg_preload_offset 0
		.amdhsa_user_sgpr_private_segment_size 0
		.amdhsa_uses_dynamic_stack 0
		.amdhsa_enable_private_segment 0
		.amdhsa_system_sgpr_workgroup_id_x 1
		.amdhsa_system_sgpr_workgroup_id_y 0
		.amdhsa_system_sgpr_workgroup_id_z 0
		.amdhsa_system_sgpr_workgroup_info 0
		.amdhsa_system_vgpr_workitem_id 0
		.amdhsa_next_free_vgpr 1
		.amdhsa_next_free_sgpr 0
		.amdhsa_accum_offset 4
		.amdhsa_reserve_vcc 0
		.amdhsa_float_round_mode_32 0
		.amdhsa_float_round_mode_16_64 0
		.amdhsa_float_denorm_mode_32 3
		.amdhsa_float_denorm_mode_16_64 3
		.amdhsa_dx10_clamp 1
		.amdhsa_ieee_mode 1
		.amdhsa_fp16_overflow 0
		.amdhsa_tg_split 0
		.amdhsa_exception_fp_ieee_invalid_op 0
		.amdhsa_exception_fp_denorm_src 0
		.amdhsa_exception_fp_ieee_div_zero 0
		.amdhsa_exception_fp_ieee_overflow 0
		.amdhsa_exception_fp_ieee_underflow 0
		.amdhsa_exception_fp_ieee_inexact 0
		.amdhsa_exception_int_div_zero 0
	.end_amdhsa_kernel
	.section	.text._ZN7rocprim17ROCPRIM_400000_NS6detail17trampoline_kernelINS0_14default_configENS1_35adjacent_difference_config_selectorILb1ElEEZNS1_24adjacent_difference_implIS3_Lb1ELb0EPlS7_ZN2at6native12_GLOBAL__N_124unique_dim_cuda_templateIaEESt5tupleIJNS8_6TensorESD_SD_EERKSD_lbbbEUlllE1_EE10hipError_tPvRmT2_T3_mT4_P12ihipStream_tbEUlT_E_NS1_11comp_targetILNS1_3genE9ELNS1_11target_archE1100ELNS1_3gpuE3ELNS1_3repE0EEENS1_30default_config_static_selectorELNS0_4arch9wavefront6targetE1EEEvT1_,"axG",@progbits,_ZN7rocprim17ROCPRIM_400000_NS6detail17trampoline_kernelINS0_14default_configENS1_35adjacent_difference_config_selectorILb1ElEEZNS1_24adjacent_difference_implIS3_Lb1ELb0EPlS7_ZN2at6native12_GLOBAL__N_124unique_dim_cuda_templateIaEESt5tupleIJNS8_6TensorESD_SD_EERKSD_lbbbEUlllE1_EE10hipError_tPvRmT2_T3_mT4_P12ihipStream_tbEUlT_E_NS1_11comp_targetILNS1_3genE9ELNS1_11target_archE1100ELNS1_3gpuE3ELNS1_3repE0EEENS1_30default_config_static_selectorELNS0_4arch9wavefront6targetE1EEEvT1_,comdat
.Lfunc_end319:
	.size	_ZN7rocprim17ROCPRIM_400000_NS6detail17trampoline_kernelINS0_14default_configENS1_35adjacent_difference_config_selectorILb1ElEEZNS1_24adjacent_difference_implIS3_Lb1ELb0EPlS7_ZN2at6native12_GLOBAL__N_124unique_dim_cuda_templateIaEESt5tupleIJNS8_6TensorESD_SD_EERKSD_lbbbEUlllE1_EE10hipError_tPvRmT2_T3_mT4_P12ihipStream_tbEUlT_E_NS1_11comp_targetILNS1_3genE9ELNS1_11target_archE1100ELNS1_3gpuE3ELNS1_3repE0EEENS1_30default_config_static_selectorELNS0_4arch9wavefront6targetE1EEEvT1_, .Lfunc_end319-_ZN7rocprim17ROCPRIM_400000_NS6detail17trampoline_kernelINS0_14default_configENS1_35adjacent_difference_config_selectorILb1ElEEZNS1_24adjacent_difference_implIS3_Lb1ELb0EPlS7_ZN2at6native12_GLOBAL__N_124unique_dim_cuda_templateIaEESt5tupleIJNS8_6TensorESD_SD_EERKSD_lbbbEUlllE1_EE10hipError_tPvRmT2_T3_mT4_P12ihipStream_tbEUlT_E_NS1_11comp_targetILNS1_3genE9ELNS1_11target_archE1100ELNS1_3gpuE3ELNS1_3repE0EEENS1_30default_config_static_selectorELNS0_4arch9wavefront6targetE1EEEvT1_
                                        ; -- End function
	.section	.AMDGPU.csdata,"",@progbits
; Kernel info:
; codeLenInByte = 0
; NumSgprs: 6
; NumVgprs: 0
; NumAgprs: 0
; TotalNumVgprs: 0
; ScratchSize: 0
; MemoryBound: 0
; FloatMode: 240
; IeeeMode: 1
; LDSByteSize: 0 bytes/workgroup (compile time only)
; SGPRBlocks: 0
; VGPRBlocks: 0
; NumSGPRsForWavesPerEU: 6
; NumVGPRsForWavesPerEU: 1
; AccumOffset: 4
; Occupancy: 8
; WaveLimiterHint : 0
; COMPUTE_PGM_RSRC2:SCRATCH_EN: 0
; COMPUTE_PGM_RSRC2:USER_SGPR: 2
; COMPUTE_PGM_RSRC2:TRAP_HANDLER: 0
; COMPUTE_PGM_RSRC2:TGID_X_EN: 1
; COMPUTE_PGM_RSRC2:TGID_Y_EN: 0
; COMPUTE_PGM_RSRC2:TGID_Z_EN: 0
; COMPUTE_PGM_RSRC2:TIDIG_COMP_CNT: 0
; COMPUTE_PGM_RSRC3_GFX90A:ACCUM_OFFSET: 0
; COMPUTE_PGM_RSRC3_GFX90A:TG_SPLIT: 0
	.section	.text._ZN7rocprim17ROCPRIM_400000_NS6detail17trampoline_kernelINS0_14default_configENS1_35adjacent_difference_config_selectorILb1ElEEZNS1_24adjacent_difference_implIS3_Lb1ELb0EPlS7_ZN2at6native12_GLOBAL__N_124unique_dim_cuda_templateIaEESt5tupleIJNS8_6TensorESD_SD_EERKSD_lbbbEUlllE1_EE10hipError_tPvRmT2_T3_mT4_P12ihipStream_tbEUlT_E_NS1_11comp_targetILNS1_3genE8ELNS1_11target_archE1030ELNS1_3gpuE2ELNS1_3repE0EEENS1_30default_config_static_selectorELNS0_4arch9wavefront6targetE1EEEvT1_,"axG",@progbits,_ZN7rocprim17ROCPRIM_400000_NS6detail17trampoline_kernelINS0_14default_configENS1_35adjacent_difference_config_selectorILb1ElEEZNS1_24adjacent_difference_implIS3_Lb1ELb0EPlS7_ZN2at6native12_GLOBAL__N_124unique_dim_cuda_templateIaEESt5tupleIJNS8_6TensorESD_SD_EERKSD_lbbbEUlllE1_EE10hipError_tPvRmT2_T3_mT4_P12ihipStream_tbEUlT_E_NS1_11comp_targetILNS1_3genE8ELNS1_11target_archE1030ELNS1_3gpuE2ELNS1_3repE0EEENS1_30default_config_static_selectorELNS0_4arch9wavefront6targetE1EEEvT1_,comdat
	.globl	_ZN7rocprim17ROCPRIM_400000_NS6detail17trampoline_kernelINS0_14default_configENS1_35adjacent_difference_config_selectorILb1ElEEZNS1_24adjacent_difference_implIS3_Lb1ELb0EPlS7_ZN2at6native12_GLOBAL__N_124unique_dim_cuda_templateIaEESt5tupleIJNS8_6TensorESD_SD_EERKSD_lbbbEUlllE1_EE10hipError_tPvRmT2_T3_mT4_P12ihipStream_tbEUlT_E_NS1_11comp_targetILNS1_3genE8ELNS1_11target_archE1030ELNS1_3gpuE2ELNS1_3repE0EEENS1_30default_config_static_selectorELNS0_4arch9wavefront6targetE1EEEvT1_ ; -- Begin function _ZN7rocprim17ROCPRIM_400000_NS6detail17trampoline_kernelINS0_14default_configENS1_35adjacent_difference_config_selectorILb1ElEEZNS1_24adjacent_difference_implIS3_Lb1ELb0EPlS7_ZN2at6native12_GLOBAL__N_124unique_dim_cuda_templateIaEESt5tupleIJNS8_6TensorESD_SD_EERKSD_lbbbEUlllE1_EE10hipError_tPvRmT2_T3_mT4_P12ihipStream_tbEUlT_E_NS1_11comp_targetILNS1_3genE8ELNS1_11target_archE1030ELNS1_3gpuE2ELNS1_3repE0EEENS1_30default_config_static_selectorELNS0_4arch9wavefront6targetE1EEEvT1_
	.p2align	8
	.type	_ZN7rocprim17ROCPRIM_400000_NS6detail17trampoline_kernelINS0_14default_configENS1_35adjacent_difference_config_selectorILb1ElEEZNS1_24adjacent_difference_implIS3_Lb1ELb0EPlS7_ZN2at6native12_GLOBAL__N_124unique_dim_cuda_templateIaEESt5tupleIJNS8_6TensorESD_SD_EERKSD_lbbbEUlllE1_EE10hipError_tPvRmT2_T3_mT4_P12ihipStream_tbEUlT_E_NS1_11comp_targetILNS1_3genE8ELNS1_11target_archE1030ELNS1_3gpuE2ELNS1_3repE0EEENS1_30default_config_static_selectorELNS0_4arch9wavefront6targetE1EEEvT1_,@function
_ZN7rocprim17ROCPRIM_400000_NS6detail17trampoline_kernelINS0_14default_configENS1_35adjacent_difference_config_selectorILb1ElEEZNS1_24adjacent_difference_implIS3_Lb1ELb0EPlS7_ZN2at6native12_GLOBAL__N_124unique_dim_cuda_templateIaEESt5tupleIJNS8_6TensorESD_SD_EERKSD_lbbbEUlllE1_EE10hipError_tPvRmT2_T3_mT4_P12ihipStream_tbEUlT_E_NS1_11comp_targetILNS1_3genE8ELNS1_11target_archE1030ELNS1_3gpuE2ELNS1_3repE0EEENS1_30default_config_static_selectorELNS0_4arch9wavefront6targetE1EEEvT1_: ; @_ZN7rocprim17ROCPRIM_400000_NS6detail17trampoline_kernelINS0_14default_configENS1_35adjacent_difference_config_selectorILb1ElEEZNS1_24adjacent_difference_implIS3_Lb1ELb0EPlS7_ZN2at6native12_GLOBAL__N_124unique_dim_cuda_templateIaEESt5tupleIJNS8_6TensorESD_SD_EERKSD_lbbbEUlllE1_EE10hipError_tPvRmT2_T3_mT4_P12ihipStream_tbEUlT_E_NS1_11comp_targetILNS1_3genE8ELNS1_11target_archE1030ELNS1_3gpuE2ELNS1_3repE0EEENS1_30default_config_static_selectorELNS0_4arch9wavefront6targetE1EEEvT1_
; %bb.0:
	.section	.rodata,"a",@progbits
	.p2align	6, 0x0
	.amdhsa_kernel _ZN7rocprim17ROCPRIM_400000_NS6detail17trampoline_kernelINS0_14default_configENS1_35adjacent_difference_config_selectorILb1ElEEZNS1_24adjacent_difference_implIS3_Lb1ELb0EPlS7_ZN2at6native12_GLOBAL__N_124unique_dim_cuda_templateIaEESt5tupleIJNS8_6TensorESD_SD_EERKSD_lbbbEUlllE1_EE10hipError_tPvRmT2_T3_mT4_P12ihipStream_tbEUlT_E_NS1_11comp_targetILNS1_3genE8ELNS1_11target_archE1030ELNS1_3gpuE2ELNS1_3repE0EEENS1_30default_config_static_selectorELNS0_4arch9wavefront6targetE1EEEvT1_
		.amdhsa_group_segment_fixed_size 0
		.amdhsa_private_segment_fixed_size 0
		.amdhsa_kernarg_size 64
		.amdhsa_user_sgpr_count 2
		.amdhsa_user_sgpr_dispatch_ptr 0
		.amdhsa_user_sgpr_queue_ptr 0
		.amdhsa_user_sgpr_kernarg_segment_ptr 1
		.amdhsa_user_sgpr_dispatch_id 0
		.amdhsa_user_sgpr_kernarg_preload_length 0
		.amdhsa_user_sgpr_kernarg_preload_offset 0
		.amdhsa_user_sgpr_private_segment_size 0
		.amdhsa_uses_dynamic_stack 0
		.amdhsa_enable_private_segment 0
		.amdhsa_system_sgpr_workgroup_id_x 1
		.amdhsa_system_sgpr_workgroup_id_y 0
		.amdhsa_system_sgpr_workgroup_id_z 0
		.amdhsa_system_sgpr_workgroup_info 0
		.amdhsa_system_vgpr_workitem_id 0
		.amdhsa_next_free_vgpr 1
		.amdhsa_next_free_sgpr 0
		.amdhsa_accum_offset 4
		.amdhsa_reserve_vcc 0
		.amdhsa_float_round_mode_32 0
		.amdhsa_float_round_mode_16_64 0
		.amdhsa_float_denorm_mode_32 3
		.amdhsa_float_denorm_mode_16_64 3
		.amdhsa_dx10_clamp 1
		.amdhsa_ieee_mode 1
		.amdhsa_fp16_overflow 0
		.amdhsa_tg_split 0
		.amdhsa_exception_fp_ieee_invalid_op 0
		.amdhsa_exception_fp_denorm_src 0
		.amdhsa_exception_fp_ieee_div_zero 0
		.amdhsa_exception_fp_ieee_overflow 0
		.amdhsa_exception_fp_ieee_underflow 0
		.amdhsa_exception_fp_ieee_inexact 0
		.amdhsa_exception_int_div_zero 0
	.end_amdhsa_kernel
	.section	.text._ZN7rocprim17ROCPRIM_400000_NS6detail17trampoline_kernelINS0_14default_configENS1_35adjacent_difference_config_selectorILb1ElEEZNS1_24adjacent_difference_implIS3_Lb1ELb0EPlS7_ZN2at6native12_GLOBAL__N_124unique_dim_cuda_templateIaEESt5tupleIJNS8_6TensorESD_SD_EERKSD_lbbbEUlllE1_EE10hipError_tPvRmT2_T3_mT4_P12ihipStream_tbEUlT_E_NS1_11comp_targetILNS1_3genE8ELNS1_11target_archE1030ELNS1_3gpuE2ELNS1_3repE0EEENS1_30default_config_static_selectorELNS0_4arch9wavefront6targetE1EEEvT1_,"axG",@progbits,_ZN7rocprim17ROCPRIM_400000_NS6detail17trampoline_kernelINS0_14default_configENS1_35adjacent_difference_config_selectorILb1ElEEZNS1_24adjacent_difference_implIS3_Lb1ELb0EPlS7_ZN2at6native12_GLOBAL__N_124unique_dim_cuda_templateIaEESt5tupleIJNS8_6TensorESD_SD_EERKSD_lbbbEUlllE1_EE10hipError_tPvRmT2_T3_mT4_P12ihipStream_tbEUlT_E_NS1_11comp_targetILNS1_3genE8ELNS1_11target_archE1030ELNS1_3gpuE2ELNS1_3repE0EEENS1_30default_config_static_selectorELNS0_4arch9wavefront6targetE1EEEvT1_,comdat
.Lfunc_end320:
	.size	_ZN7rocprim17ROCPRIM_400000_NS6detail17trampoline_kernelINS0_14default_configENS1_35adjacent_difference_config_selectorILb1ElEEZNS1_24adjacent_difference_implIS3_Lb1ELb0EPlS7_ZN2at6native12_GLOBAL__N_124unique_dim_cuda_templateIaEESt5tupleIJNS8_6TensorESD_SD_EERKSD_lbbbEUlllE1_EE10hipError_tPvRmT2_T3_mT4_P12ihipStream_tbEUlT_E_NS1_11comp_targetILNS1_3genE8ELNS1_11target_archE1030ELNS1_3gpuE2ELNS1_3repE0EEENS1_30default_config_static_selectorELNS0_4arch9wavefront6targetE1EEEvT1_, .Lfunc_end320-_ZN7rocprim17ROCPRIM_400000_NS6detail17trampoline_kernelINS0_14default_configENS1_35adjacent_difference_config_selectorILb1ElEEZNS1_24adjacent_difference_implIS3_Lb1ELb0EPlS7_ZN2at6native12_GLOBAL__N_124unique_dim_cuda_templateIaEESt5tupleIJNS8_6TensorESD_SD_EERKSD_lbbbEUlllE1_EE10hipError_tPvRmT2_T3_mT4_P12ihipStream_tbEUlT_E_NS1_11comp_targetILNS1_3genE8ELNS1_11target_archE1030ELNS1_3gpuE2ELNS1_3repE0EEENS1_30default_config_static_selectorELNS0_4arch9wavefront6targetE1EEEvT1_
                                        ; -- End function
	.section	.AMDGPU.csdata,"",@progbits
; Kernel info:
; codeLenInByte = 0
; NumSgprs: 6
; NumVgprs: 0
; NumAgprs: 0
; TotalNumVgprs: 0
; ScratchSize: 0
; MemoryBound: 0
; FloatMode: 240
; IeeeMode: 1
; LDSByteSize: 0 bytes/workgroup (compile time only)
; SGPRBlocks: 0
; VGPRBlocks: 0
; NumSGPRsForWavesPerEU: 6
; NumVGPRsForWavesPerEU: 1
; AccumOffset: 4
; Occupancy: 8
; WaveLimiterHint : 0
; COMPUTE_PGM_RSRC2:SCRATCH_EN: 0
; COMPUTE_PGM_RSRC2:USER_SGPR: 2
; COMPUTE_PGM_RSRC2:TRAP_HANDLER: 0
; COMPUTE_PGM_RSRC2:TGID_X_EN: 1
; COMPUTE_PGM_RSRC2:TGID_Y_EN: 0
; COMPUTE_PGM_RSRC2:TGID_Z_EN: 0
; COMPUTE_PGM_RSRC2:TIDIG_COMP_CNT: 0
; COMPUTE_PGM_RSRC3_GFX90A:ACCUM_OFFSET: 0
; COMPUTE_PGM_RSRC3_GFX90A:TG_SPLIT: 0
	.section	.text._ZN7rocprim17ROCPRIM_400000_NS6detail17trampoline_kernelINS0_14default_configENS1_25partition_config_selectorILNS1_17partition_subalgoE8ElNS0_10empty_typeEbEEZZNS1_14partition_implILS5_8ELb0ES3_jPlPS6_PKS6_NS0_5tupleIJS9_S6_EEENSD_IJSA_SA_EEENS0_18inequality_wrapperIZN2at6native12_GLOBAL__N_124unique_dim_cuda_templateIaEESt5tupleIJNSH_6TensorESM_SM_EERKSM_lbbbEUlllE0_EEPmJS6_EEE10hipError_tPvRmT3_T4_T5_T6_T7_T9_mT8_P12ihipStream_tbDpT10_ENKUlT_T0_E_clISt17integral_constantIbLb0EES1C_EEDaS17_S18_EUlS17_E_NS1_11comp_targetILNS1_3genE0ELNS1_11target_archE4294967295ELNS1_3gpuE0ELNS1_3repE0EEENS1_30default_config_static_selectorELNS0_4arch9wavefront6targetE1EEEvT1_,"axG",@progbits,_ZN7rocprim17ROCPRIM_400000_NS6detail17trampoline_kernelINS0_14default_configENS1_25partition_config_selectorILNS1_17partition_subalgoE8ElNS0_10empty_typeEbEEZZNS1_14partition_implILS5_8ELb0ES3_jPlPS6_PKS6_NS0_5tupleIJS9_S6_EEENSD_IJSA_SA_EEENS0_18inequality_wrapperIZN2at6native12_GLOBAL__N_124unique_dim_cuda_templateIaEESt5tupleIJNSH_6TensorESM_SM_EERKSM_lbbbEUlllE0_EEPmJS6_EEE10hipError_tPvRmT3_T4_T5_T6_T7_T9_mT8_P12ihipStream_tbDpT10_ENKUlT_T0_E_clISt17integral_constantIbLb0EES1C_EEDaS17_S18_EUlS17_E_NS1_11comp_targetILNS1_3genE0ELNS1_11target_archE4294967295ELNS1_3gpuE0ELNS1_3repE0EEENS1_30default_config_static_selectorELNS0_4arch9wavefront6targetE1EEEvT1_,comdat
	.globl	_ZN7rocprim17ROCPRIM_400000_NS6detail17trampoline_kernelINS0_14default_configENS1_25partition_config_selectorILNS1_17partition_subalgoE8ElNS0_10empty_typeEbEEZZNS1_14partition_implILS5_8ELb0ES3_jPlPS6_PKS6_NS0_5tupleIJS9_S6_EEENSD_IJSA_SA_EEENS0_18inequality_wrapperIZN2at6native12_GLOBAL__N_124unique_dim_cuda_templateIaEESt5tupleIJNSH_6TensorESM_SM_EERKSM_lbbbEUlllE0_EEPmJS6_EEE10hipError_tPvRmT3_T4_T5_T6_T7_T9_mT8_P12ihipStream_tbDpT10_ENKUlT_T0_E_clISt17integral_constantIbLb0EES1C_EEDaS17_S18_EUlS17_E_NS1_11comp_targetILNS1_3genE0ELNS1_11target_archE4294967295ELNS1_3gpuE0ELNS1_3repE0EEENS1_30default_config_static_selectorELNS0_4arch9wavefront6targetE1EEEvT1_ ; -- Begin function _ZN7rocprim17ROCPRIM_400000_NS6detail17trampoline_kernelINS0_14default_configENS1_25partition_config_selectorILNS1_17partition_subalgoE8ElNS0_10empty_typeEbEEZZNS1_14partition_implILS5_8ELb0ES3_jPlPS6_PKS6_NS0_5tupleIJS9_S6_EEENSD_IJSA_SA_EEENS0_18inequality_wrapperIZN2at6native12_GLOBAL__N_124unique_dim_cuda_templateIaEESt5tupleIJNSH_6TensorESM_SM_EERKSM_lbbbEUlllE0_EEPmJS6_EEE10hipError_tPvRmT3_T4_T5_T6_T7_T9_mT8_P12ihipStream_tbDpT10_ENKUlT_T0_E_clISt17integral_constantIbLb0EES1C_EEDaS17_S18_EUlS17_E_NS1_11comp_targetILNS1_3genE0ELNS1_11target_archE4294967295ELNS1_3gpuE0ELNS1_3repE0EEENS1_30default_config_static_selectorELNS0_4arch9wavefront6targetE1EEEvT1_
	.p2align	8
	.type	_ZN7rocprim17ROCPRIM_400000_NS6detail17trampoline_kernelINS0_14default_configENS1_25partition_config_selectorILNS1_17partition_subalgoE8ElNS0_10empty_typeEbEEZZNS1_14partition_implILS5_8ELb0ES3_jPlPS6_PKS6_NS0_5tupleIJS9_S6_EEENSD_IJSA_SA_EEENS0_18inequality_wrapperIZN2at6native12_GLOBAL__N_124unique_dim_cuda_templateIaEESt5tupleIJNSH_6TensorESM_SM_EERKSM_lbbbEUlllE0_EEPmJS6_EEE10hipError_tPvRmT3_T4_T5_T6_T7_T9_mT8_P12ihipStream_tbDpT10_ENKUlT_T0_E_clISt17integral_constantIbLb0EES1C_EEDaS17_S18_EUlS17_E_NS1_11comp_targetILNS1_3genE0ELNS1_11target_archE4294967295ELNS1_3gpuE0ELNS1_3repE0EEENS1_30default_config_static_selectorELNS0_4arch9wavefront6targetE1EEEvT1_,@function
_ZN7rocprim17ROCPRIM_400000_NS6detail17trampoline_kernelINS0_14default_configENS1_25partition_config_selectorILNS1_17partition_subalgoE8ElNS0_10empty_typeEbEEZZNS1_14partition_implILS5_8ELb0ES3_jPlPS6_PKS6_NS0_5tupleIJS9_S6_EEENSD_IJSA_SA_EEENS0_18inequality_wrapperIZN2at6native12_GLOBAL__N_124unique_dim_cuda_templateIaEESt5tupleIJNSH_6TensorESM_SM_EERKSM_lbbbEUlllE0_EEPmJS6_EEE10hipError_tPvRmT3_T4_T5_T6_T7_T9_mT8_P12ihipStream_tbDpT10_ENKUlT_T0_E_clISt17integral_constantIbLb0EES1C_EEDaS17_S18_EUlS17_E_NS1_11comp_targetILNS1_3genE0ELNS1_11target_archE4294967295ELNS1_3gpuE0ELNS1_3repE0EEENS1_30default_config_static_selectorELNS0_4arch9wavefront6targetE1EEEvT1_: ; @_ZN7rocprim17ROCPRIM_400000_NS6detail17trampoline_kernelINS0_14default_configENS1_25partition_config_selectorILNS1_17partition_subalgoE8ElNS0_10empty_typeEbEEZZNS1_14partition_implILS5_8ELb0ES3_jPlPS6_PKS6_NS0_5tupleIJS9_S6_EEENSD_IJSA_SA_EEENS0_18inequality_wrapperIZN2at6native12_GLOBAL__N_124unique_dim_cuda_templateIaEESt5tupleIJNSH_6TensorESM_SM_EERKSM_lbbbEUlllE0_EEPmJS6_EEE10hipError_tPvRmT3_T4_T5_T6_T7_T9_mT8_P12ihipStream_tbDpT10_ENKUlT_T0_E_clISt17integral_constantIbLb0EES1C_EEDaS17_S18_EUlS17_E_NS1_11comp_targetILNS1_3genE0ELNS1_11target_archE4294967295ELNS1_3gpuE0ELNS1_3repE0EEENS1_30default_config_static_selectorELNS0_4arch9wavefront6targetE1EEEvT1_
; %bb.0:
	.section	.rodata,"a",@progbits
	.p2align	6, 0x0
	.amdhsa_kernel _ZN7rocprim17ROCPRIM_400000_NS6detail17trampoline_kernelINS0_14default_configENS1_25partition_config_selectorILNS1_17partition_subalgoE8ElNS0_10empty_typeEbEEZZNS1_14partition_implILS5_8ELb0ES3_jPlPS6_PKS6_NS0_5tupleIJS9_S6_EEENSD_IJSA_SA_EEENS0_18inequality_wrapperIZN2at6native12_GLOBAL__N_124unique_dim_cuda_templateIaEESt5tupleIJNSH_6TensorESM_SM_EERKSM_lbbbEUlllE0_EEPmJS6_EEE10hipError_tPvRmT3_T4_T5_T6_T7_T9_mT8_P12ihipStream_tbDpT10_ENKUlT_T0_E_clISt17integral_constantIbLb0EES1C_EEDaS17_S18_EUlS17_E_NS1_11comp_targetILNS1_3genE0ELNS1_11target_archE4294967295ELNS1_3gpuE0ELNS1_3repE0EEENS1_30default_config_static_selectorELNS0_4arch9wavefront6targetE1EEEvT1_
		.amdhsa_group_segment_fixed_size 0
		.amdhsa_private_segment_fixed_size 0
		.amdhsa_kernarg_size 120
		.amdhsa_user_sgpr_count 2
		.amdhsa_user_sgpr_dispatch_ptr 0
		.amdhsa_user_sgpr_queue_ptr 0
		.amdhsa_user_sgpr_kernarg_segment_ptr 1
		.amdhsa_user_sgpr_dispatch_id 0
		.amdhsa_user_sgpr_kernarg_preload_length 0
		.amdhsa_user_sgpr_kernarg_preload_offset 0
		.amdhsa_user_sgpr_private_segment_size 0
		.amdhsa_uses_dynamic_stack 0
		.amdhsa_enable_private_segment 0
		.amdhsa_system_sgpr_workgroup_id_x 1
		.amdhsa_system_sgpr_workgroup_id_y 0
		.amdhsa_system_sgpr_workgroup_id_z 0
		.amdhsa_system_sgpr_workgroup_info 0
		.amdhsa_system_vgpr_workitem_id 0
		.amdhsa_next_free_vgpr 1
		.amdhsa_next_free_sgpr 0
		.amdhsa_accum_offset 4
		.amdhsa_reserve_vcc 0
		.amdhsa_float_round_mode_32 0
		.amdhsa_float_round_mode_16_64 0
		.amdhsa_float_denorm_mode_32 3
		.amdhsa_float_denorm_mode_16_64 3
		.amdhsa_dx10_clamp 1
		.amdhsa_ieee_mode 1
		.amdhsa_fp16_overflow 0
		.amdhsa_tg_split 0
		.amdhsa_exception_fp_ieee_invalid_op 0
		.amdhsa_exception_fp_denorm_src 0
		.amdhsa_exception_fp_ieee_div_zero 0
		.amdhsa_exception_fp_ieee_overflow 0
		.amdhsa_exception_fp_ieee_underflow 0
		.amdhsa_exception_fp_ieee_inexact 0
		.amdhsa_exception_int_div_zero 0
	.end_amdhsa_kernel
	.section	.text._ZN7rocprim17ROCPRIM_400000_NS6detail17trampoline_kernelINS0_14default_configENS1_25partition_config_selectorILNS1_17partition_subalgoE8ElNS0_10empty_typeEbEEZZNS1_14partition_implILS5_8ELb0ES3_jPlPS6_PKS6_NS0_5tupleIJS9_S6_EEENSD_IJSA_SA_EEENS0_18inequality_wrapperIZN2at6native12_GLOBAL__N_124unique_dim_cuda_templateIaEESt5tupleIJNSH_6TensorESM_SM_EERKSM_lbbbEUlllE0_EEPmJS6_EEE10hipError_tPvRmT3_T4_T5_T6_T7_T9_mT8_P12ihipStream_tbDpT10_ENKUlT_T0_E_clISt17integral_constantIbLb0EES1C_EEDaS17_S18_EUlS17_E_NS1_11comp_targetILNS1_3genE0ELNS1_11target_archE4294967295ELNS1_3gpuE0ELNS1_3repE0EEENS1_30default_config_static_selectorELNS0_4arch9wavefront6targetE1EEEvT1_,"axG",@progbits,_ZN7rocprim17ROCPRIM_400000_NS6detail17trampoline_kernelINS0_14default_configENS1_25partition_config_selectorILNS1_17partition_subalgoE8ElNS0_10empty_typeEbEEZZNS1_14partition_implILS5_8ELb0ES3_jPlPS6_PKS6_NS0_5tupleIJS9_S6_EEENSD_IJSA_SA_EEENS0_18inequality_wrapperIZN2at6native12_GLOBAL__N_124unique_dim_cuda_templateIaEESt5tupleIJNSH_6TensorESM_SM_EERKSM_lbbbEUlllE0_EEPmJS6_EEE10hipError_tPvRmT3_T4_T5_T6_T7_T9_mT8_P12ihipStream_tbDpT10_ENKUlT_T0_E_clISt17integral_constantIbLb0EES1C_EEDaS17_S18_EUlS17_E_NS1_11comp_targetILNS1_3genE0ELNS1_11target_archE4294967295ELNS1_3gpuE0ELNS1_3repE0EEENS1_30default_config_static_selectorELNS0_4arch9wavefront6targetE1EEEvT1_,comdat
.Lfunc_end321:
	.size	_ZN7rocprim17ROCPRIM_400000_NS6detail17trampoline_kernelINS0_14default_configENS1_25partition_config_selectorILNS1_17partition_subalgoE8ElNS0_10empty_typeEbEEZZNS1_14partition_implILS5_8ELb0ES3_jPlPS6_PKS6_NS0_5tupleIJS9_S6_EEENSD_IJSA_SA_EEENS0_18inequality_wrapperIZN2at6native12_GLOBAL__N_124unique_dim_cuda_templateIaEESt5tupleIJNSH_6TensorESM_SM_EERKSM_lbbbEUlllE0_EEPmJS6_EEE10hipError_tPvRmT3_T4_T5_T6_T7_T9_mT8_P12ihipStream_tbDpT10_ENKUlT_T0_E_clISt17integral_constantIbLb0EES1C_EEDaS17_S18_EUlS17_E_NS1_11comp_targetILNS1_3genE0ELNS1_11target_archE4294967295ELNS1_3gpuE0ELNS1_3repE0EEENS1_30default_config_static_selectorELNS0_4arch9wavefront6targetE1EEEvT1_, .Lfunc_end321-_ZN7rocprim17ROCPRIM_400000_NS6detail17trampoline_kernelINS0_14default_configENS1_25partition_config_selectorILNS1_17partition_subalgoE8ElNS0_10empty_typeEbEEZZNS1_14partition_implILS5_8ELb0ES3_jPlPS6_PKS6_NS0_5tupleIJS9_S6_EEENSD_IJSA_SA_EEENS0_18inequality_wrapperIZN2at6native12_GLOBAL__N_124unique_dim_cuda_templateIaEESt5tupleIJNSH_6TensorESM_SM_EERKSM_lbbbEUlllE0_EEPmJS6_EEE10hipError_tPvRmT3_T4_T5_T6_T7_T9_mT8_P12ihipStream_tbDpT10_ENKUlT_T0_E_clISt17integral_constantIbLb0EES1C_EEDaS17_S18_EUlS17_E_NS1_11comp_targetILNS1_3genE0ELNS1_11target_archE4294967295ELNS1_3gpuE0ELNS1_3repE0EEENS1_30default_config_static_selectorELNS0_4arch9wavefront6targetE1EEEvT1_
                                        ; -- End function
	.section	.AMDGPU.csdata,"",@progbits
; Kernel info:
; codeLenInByte = 0
; NumSgprs: 6
; NumVgprs: 0
; NumAgprs: 0
; TotalNumVgprs: 0
; ScratchSize: 0
; MemoryBound: 0
; FloatMode: 240
; IeeeMode: 1
; LDSByteSize: 0 bytes/workgroup (compile time only)
; SGPRBlocks: 0
; VGPRBlocks: 0
; NumSGPRsForWavesPerEU: 6
; NumVGPRsForWavesPerEU: 1
; AccumOffset: 4
; Occupancy: 8
; WaveLimiterHint : 0
; COMPUTE_PGM_RSRC2:SCRATCH_EN: 0
; COMPUTE_PGM_RSRC2:USER_SGPR: 2
; COMPUTE_PGM_RSRC2:TRAP_HANDLER: 0
; COMPUTE_PGM_RSRC2:TGID_X_EN: 1
; COMPUTE_PGM_RSRC2:TGID_Y_EN: 0
; COMPUTE_PGM_RSRC2:TGID_Z_EN: 0
; COMPUTE_PGM_RSRC2:TIDIG_COMP_CNT: 0
; COMPUTE_PGM_RSRC3_GFX90A:ACCUM_OFFSET: 0
; COMPUTE_PGM_RSRC3_GFX90A:TG_SPLIT: 0
	.section	.text._ZN7rocprim17ROCPRIM_400000_NS6detail17trampoline_kernelINS0_14default_configENS1_25partition_config_selectorILNS1_17partition_subalgoE8ElNS0_10empty_typeEbEEZZNS1_14partition_implILS5_8ELb0ES3_jPlPS6_PKS6_NS0_5tupleIJS9_S6_EEENSD_IJSA_SA_EEENS0_18inequality_wrapperIZN2at6native12_GLOBAL__N_124unique_dim_cuda_templateIaEESt5tupleIJNSH_6TensorESM_SM_EERKSM_lbbbEUlllE0_EEPmJS6_EEE10hipError_tPvRmT3_T4_T5_T6_T7_T9_mT8_P12ihipStream_tbDpT10_ENKUlT_T0_E_clISt17integral_constantIbLb0EES1C_EEDaS17_S18_EUlS17_E_NS1_11comp_targetILNS1_3genE5ELNS1_11target_archE942ELNS1_3gpuE9ELNS1_3repE0EEENS1_30default_config_static_selectorELNS0_4arch9wavefront6targetE1EEEvT1_,"axG",@progbits,_ZN7rocprim17ROCPRIM_400000_NS6detail17trampoline_kernelINS0_14default_configENS1_25partition_config_selectorILNS1_17partition_subalgoE8ElNS0_10empty_typeEbEEZZNS1_14partition_implILS5_8ELb0ES3_jPlPS6_PKS6_NS0_5tupleIJS9_S6_EEENSD_IJSA_SA_EEENS0_18inequality_wrapperIZN2at6native12_GLOBAL__N_124unique_dim_cuda_templateIaEESt5tupleIJNSH_6TensorESM_SM_EERKSM_lbbbEUlllE0_EEPmJS6_EEE10hipError_tPvRmT3_T4_T5_T6_T7_T9_mT8_P12ihipStream_tbDpT10_ENKUlT_T0_E_clISt17integral_constantIbLb0EES1C_EEDaS17_S18_EUlS17_E_NS1_11comp_targetILNS1_3genE5ELNS1_11target_archE942ELNS1_3gpuE9ELNS1_3repE0EEENS1_30default_config_static_selectorELNS0_4arch9wavefront6targetE1EEEvT1_,comdat
	.globl	_ZN7rocprim17ROCPRIM_400000_NS6detail17trampoline_kernelINS0_14default_configENS1_25partition_config_selectorILNS1_17partition_subalgoE8ElNS0_10empty_typeEbEEZZNS1_14partition_implILS5_8ELb0ES3_jPlPS6_PKS6_NS0_5tupleIJS9_S6_EEENSD_IJSA_SA_EEENS0_18inequality_wrapperIZN2at6native12_GLOBAL__N_124unique_dim_cuda_templateIaEESt5tupleIJNSH_6TensorESM_SM_EERKSM_lbbbEUlllE0_EEPmJS6_EEE10hipError_tPvRmT3_T4_T5_T6_T7_T9_mT8_P12ihipStream_tbDpT10_ENKUlT_T0_E_clISt17integral_constantIbLb0EES1C_EEDaS17_S18_EUlS17_E_NS1_11comp_targetILNS1_3genE5ELNS1_11target_archE942ELNS1_3gpuE9ELNS1_3repE0EEENS1_30default_config_static_selectorELNS0_4arch9wavefront6targetE1EEEvT1_ ; -- Begin function _ZN7rocprim17ROCPRIM_400000_NS6detail17trampoline_kernelINS0_14default_configENS1_25partition_config_selectorILNS1_17partition_subalgoE8ElNS0_10empty_typeEbEEZZNS1_14partition_implILS5_8ELb0ES3_jPlPS6_PKS6_NS0_5tupleIJS9_S6_EEENSD_IJSA_SA_EEENS0_18inequality_wrapperIZN2at6native12_GLOBAL__N_124unique_dim_cuda_templateIaEESt5tupleIJNSH_6TensorESM_SM_EERKSM_lbbbEUlllE0_EEPmJS6_EEE10hipError_tPvRmT3_T4_T5_T6_T7_T9_mT8_P12ihipStream_tbDpT10_ENKUlT_T0_E_clISt17integral_constantIbLb0EES1C_EEDaS17_S18_EUlS17_E_NS1_11comp_targetILNS1_3genE5ELNS1_11target_archE942ELNS1_3gpuE9ELNS1_3repE0EEENS1_30default_config_static_selectorELNS0_4arch9wavefront6targetE1EEEvT1_
	.p2align	8
	.type	_ZN7rocprim17ROCPRIM_400000_NS6detail17trampoline_kernelINS0_14default_configENS1_25partition_config_selectorILNS1_17partition_subalgoE8ElNS0_10empty_typeEbEEZZNS1_14partition_implILS5_8ELb0ES3_jPlPS6_PKS6_NS0_5tupleIJS9_S6_EEENSD_IJSA_SA_EEENS0_18inequality_wrapperIZN2at6native12_GLOBAL__N_124unique_dim_cuda_templateIaEESt5tupleIJNSH_6TensorESM_SM_EERKSM_lbbbEUlllE0_EEPmJS6_EEE10hipError_tPvRmT3_T4_T5_T6_T7_T9_mT8_P12ihipStream_tbDpT10_ENKUlT_T0_E_clISt17integral_constantIbLb0EES1C_EEDaS17_S18_EUlS17_E_NS1_11comp_targetILNS1_3genE5ELNS1_11target_archE942ELNS1_3gpuE9ELNS1_3repE0EEENS1_30default_config_static_selectorELNS0_4arch9wavefront6targetE1EEEvT1_,@function
_ZN7rocprim17ROCPRIM_400000_NS6detail17trampoline_kernelINS0_14default_configENS1_25partition_config_selectorILNS1_17partition_subalgoE8ElNS0_10empty_typeEbEEZZNS1_14partition_implILS5_8ELb0ES3_jPlPS6_PKS6_NS0_5tupleIJS9_S6_EEENSD_IJSA_SA_EEENS0_18inequality_wrapperIZN2at6native12_GLOBAL__N_124unique_dim_cuda_templateIaEESt5tupleIJNSH_6TensorESM_SM_EERKSM_lbbbEUlllE0_EEPmJS6_EEE10hipError_tPvRmT3_T4_T5_T6_T7_T9_mT8_P12ihipStream_tbDpT10_ENKUlT_T0_E_clISt17integral_constantIbLb0EES1C_EEDaS17_S18_EUlS17_E_NS1_11comp_targetILNS1_3genE5ELNS1_11target_archE942ELNS1_3gpuE9ELNS1_3repE0EEENS1_30default_config_static_selectorELNS0_4arch9wavefront6targetE1EEEvT1_: ; @_ZN7rocprim17ROCPRIM_400000_NS6detail17trampoline_kernelINS0_14default_configENS1_25partition_config_selectorILNS1_17partition_subalgoE8ElNS0_10empty_typeEbEEZZNS1_14partition_implILS5_8ELb0ES3_jPlPS6_PKS6_NS0_5tupleIJS9_S6_EEENSD_IJSA_SA_EEENS0_18inequality_wrapperIZN2at6native12_GLOBAL__N_124unique_dim_cuda_templateIaEESt5tupleIJNSH_6TensorESM_SM_EERKSM_lbbbEUlllE0_EEPmJS6_EEE10hipError_tPvRmT3_T4_T5_T6_T7_T9_mT8_P12ihipStream_tbDpT10_ENKUlT_T0_E_clISt17integral_constantIbLb0EES1C_EEDaS17_S18_EUlS17_E_NS1_11comp_targetILNS1_3genE5ELNS1_11target_archE942ELNS1_3gpuE9ELNS1_3repE0EEENS1_30default_config_static_selectorELNS0_4arch9wavefront6targetE1EEEvT1_
; %bb.0:
	s_load_dwordx8 s[20:27], s[0:1], 0x40
	s_load_dwordx4 s[4:7], s[0:1], 0x8
	s_load_dwordx4 s[28:31], s[0:1], 0x60
	s_load_dword s3, s[0:1], 0x70
	s_waitcnt lgkmcnt(0)
	v_mov_b32_e32 v2, s24
	s_lshl_b64 s[8:9], s[6:7], 3
	s_add_u32 s12, s4, s8
	s_mul_i32 s8, s3, 0xe00
	s_addc_u32 s13, s5, s9
	s_add_i32 s10, s3, -1
	s_add_i32 s3, s8, s6
	s_sub_i32 s3, s24, s3
	s_add_u32 s8, s6, s8
	s_addc_u32 s9, s7, 0
	v_mov_b32_e32 v3, s25
	s_cmp_eq_u32 s2, s10
	s_load_dwordx2 s[22:23], s[22:23], 0x0
	v_cmp_ge_u64_e32 vcc, s[8:9], v[2:3]
	s_cselect_b64 s[24:25], -1, 0
	s_mul_i32 s4, s2, 0xe00
	s_mov_b32 s5, 0
	s_and_b64 s[8:9], s[24:25], vcc
	s_xor_b64 s[34:35], s[8:9], -1
	s_lshl_b64 s[4:5], s[4:5], 3
	s_add_u32 s4, s12, s4
	s_mov_b64 s[10:11], -1
	s_addc_u32 s5, s13, s5
	s_and_b64 vcc, exec, s[34:35]
	s_cbranch_vccz .LBB322_2
; %bb.1:
	v_lshlrev_b32_e32 v2, 3, v0
	v_mov_b32_e32 v3, 0
	v_lshl_add_u64 v[4:5], s[4:5], 0, v[2:3]
	v_add_co_u32_e32 v8, vcc, 0x1000, v4
	global_load_dwordx2 v[6:7], v2, s[4:5]
	s_nop 0
	v_addc_co_u32_e32 v9, vcc, 0, v5, vcc
	v_add_co_u32_e32 v10, vcc, 0x2000, v4
	s_mov_b64 s[10:11], 0
	s_nop 0
	v_addc_co_u32_e32 v11, vcc, 0, v5, vcc
	v_add_co_u32_e32 v12, vcc, 0x3000, v4
	s_nop 1
	v_addc_co_u32_e32 v13, vcc, 0, v5, vcc
	v_add_co_u32_e32 v14, vcc, 0x4000, v4
	s_nop 1
	v_addc_co_u32_e32 v15, vcc, 0, v5, vcc
	global_load_dwordx2 v[16:17], v[8:9], off
	global_load_dwordx2 v[18:19], v[10:11], off
	;; [unrolled: 1-line block ×4, first 2 shown]
	v_add_co_u32_e32 v8, vcc, 0x5000, v4
	s_nop 1
	v_addc_co_u32_e32 v9, vcc, 0, v5, vcc
	v_add_co_u32_e32 v4, vcc, 0x6000, v4
	global_load_dwordx2 v[8:9], v[8:9], off
	s_nop 0
	v_addc_co_u32_e32 v5, vcc, 0, v5, vcc
	global_load_dwordx2 v[4:5], v[4:5], off
	s_waitcnt vmcnt(5)
	ds_write2st64_b64 v2, v[6:7], v[16:17] offset1:8
	s_waitcnt vmcnt(3)
	ds_write2st64_b64 v2, v[18:19], v[20:21] offset0:16 offset1:24
	s_waitcnt vmcnt(1)
	ds_write2st64_b64 v2, v[22:23], v[8:9] offset0:32 offset1:40
	s_waitcnt vmcnt(0)
	ds_write_b64 v2, v[4:5] offset:24576
	s_waitcnt lgkmcnt(0)
	s_barrier
.LBB322_2:
	s_andn2_b64 vcc, exec, s[10:11]
	s_addk_i32 s3, 0xe00
	s_cbranch_vccnz .LBB322_18
; %bb.3:
	v_cmp_gt_u32_e32 vcc, s3, v0
                                        ; implicit-def: $vgpr2_vgpr3_vgpr4_vgpr5_vgpr6_vgpr7_vgpr8_vgpr9_vgpr10_vgpr11_vgpr12_vgpr13_vgpr14_vgpr15_vgpr16_vgpr17
	s_and_saveexec_b64 s[10:11], vcc
	s_cbranch_execz .LBB322_5
; %bb.4:
	v_lshlrev_b32_e32 v1, 3, v0
	global_load_dwordx2 v[2:3], v1, s[4:5]
.LBB322_5:
	s_or_b64 exec, exec, s[10:11]
	v_or_b32_e32 v1, 0x200, v0
	v_cmp_gt_u32_e32 vcc, s3, v1
	s_and_saveexec_b64 s[10:11], vcc
	s_cbranch_execz .LBB322_7
; %bb.6:
	v_lshlrev_b32_e32 v1, 3, v1
	global_load_dwordx2 v[4:5], v1, s[4:5]
.LBB322_7:
	s_or_b64 exec, exec, s[10:11]
	v_or_b32_e32 v1, 0x400, v0
	v_cmp_gt_u32_e32 vcc, s3, v1
	;; [unrolled: 9-line block ×6, first 2 shown]
	s_and_saveexec_b64 s[10:11], vcc
	s_cbranch_execz .LBB322_17
; %bb.16:
	v_lshlrev_b32_e32 v1, 3, v1
	global_load_dwordx2 v[14:15], v1, s[4:5]
.LBB322_17:
	s_or_b64 exec, exec, s[10:11]
	v_lshlrev_b32_e32 v1, 3, v0
	s_waitcnt vmcnt(0)
	ds_write2st64_b64 v1, v[2:3], v[4:5] offset1:8
	ds_write2st64_b64 v1, v[6:7], v[8:9] offset0:16 offset1:24
	ds_write2st64_b64 v1, v[10:11], v[12:13] offset0:32 offset1:40
	ds_write_b64 v1, v[14:15] offset:24576
	s_waitcnt lgkmcnt(0)
	s_barrier
.LBB322_18:
	v_mul_u32_u24_e32 v1, 7, v0
	v_lshlrev_b32_e32 v22, 3, v1
	s_waitcnt lgkmcnt(0)
	ds_read2_b64 v[10:13], v22 offset1:1
	ds_read2_b64 v[6:9], v22 offset0:2 offset1:3
	ds_read2_b64 v[2:5], v22 offset0:4 offset1:5
	ds_read_b64 v[14:15], v22 offset:48
	s_cmp_lg_u32 s2, 0
	s_cselect_b64 s[16:17], -1, 0
	s_cmp_lg_u64 s[6:7], 0
	s_cselect_b64 s[6:7], -1, 0
	s_or_b64 s[6:7], s[16:17], s[6:7]
	v_mad_u32_u24 v25, v0, 7, 1
	v_mad_u32_u24 v24, v0, 7, 2
	;; [unrolled: 1-line block ×6, first 2 shown]
	s_mov_b64 s[10:11], 0
	s_and_b64 vcc, exec, s[6:7]
	v_cmp_gt_i64_e64 s[12:13], s[26:27], 0
	s_waitcnt lgkmcnt(0)
	s_barrier
	s_cbranch_vccz .LBB322_27
; %bb.19:
	s_add_u32 s4, s4, -8
	s_addc_u32 s5, s5, -1
	s_load_dwordx2 s[6:7], s[4:5], 0x0
	v_cndmask_b32_e64 v16, 0, 1, s[12:13]
	v_lshlrev_b32_e32 v23, 3, v0
	s_and_b64 vcc, exec, s[34:35]
	v_cmp_ne_u32_e64 s[4:5], 1, v16
	ds_write_b64 v23, v[14:15]
	s_cbranch_vccz .LBB322_29
; %bb.20:
	v_mul_lo_u32 v18, v5, s26
	v_mul_lo_u32 v19, v4, s27
	v_mad_u64_u32 v[16:17], s[12:13], v4, s26, 0
	v_add3_u32 v17, v17, v19, v18
	s_and_b64 vcc, exec, s[4:5]
	v_lshl_add_u64 v[16:17], s[28:29], 0, v[16:17]
	s_cbranch_vccnz .LBB322_32
; %bb.21:
	v_mov_b64_e32 v[18:19], s[28:29]
	v_mad_u64_u32 v[18:19], s[10:11], v14, s26, v[18:19]
	v_mul_lo_u32 v20, v14, s27
	v_mul_lo_u32 v21, v15, s26
	v_add3_u32 v19, v21, v19, v20
	global_load_ubyte v20, v[16:17], off
	global_load_ubyte v21, v[18:19], off
	s_mov_b64 s[10:11], -1
	s_waitcnt vmcnt(0)
	v_cmp_eq_u16_e32 vcc, v20, v21
	s_and_saveexec_b64 s[12:13], vcc
	s_cbranch_execz .LBB322_31
; %bb.22:
	s_mov_b64 s[18:19], 1
	s_mov_b64 s[10:11], 0
                                        ; implicit-def: $sgpr14_sgpr15
	s_branch .LBB322_25
.LBB322_23:                             ;   in Loop: Header=BB322_25 Depth=1
	v_lshl_add_u64 v[20:21], v[16:17], 0, s[18:19]
	v_lshl_add_u64 v[30:31], v[18:19], 0, s[18:19]
	global_load_ubyte v32, v[20:21], off
	global_load_ubyte v33, v[30:31], off
	s_add_u32 s36, s18, 1
	s_addc_u32 s37, s19, 0
	s_andn2_b64 s[14:15], s[14:15], exec
	s_waitcnt vmcnt(0)
	v_cmp_ne_u16_e32 vcc, v32, v33
	s_and_b64 s[38:39], vcc, exec
	s_or_b64 s[14:15], s[14:15], s[38:39]
.LBB322_24:                             ;   in Loop: Header=BB322_25 Depth=1
	s_and_b64 s[38:39], exec, s[14:15]
	s_or_b64 s[10:11], s[38:39], s[10:11]
	v_mov_b64_e32 v[20:21], s[18:19]
	s_mov_b64 s[18:19], s[36:37]
	s_andn2_b64 exec, exec, s[10:11]
	s_cbranch_execz .LBB322_30
.LBB322_25:                             ; =>This Inner Loop Header: Depth=1
	s_or_b64 s[14:15], s[14:15], exec
	s_cmp_eq_u64 s[26:27], s[18:19]
	s_cbranch_scc0 .LBB322_23
; %bb.26:                               ;   in Loop: Header=BB322_25 Depth=1
                                        ; implicit-def: $sgpr36_sgpr37
	s_mov_b64 s[18:19], s[26:27]
	s_branch .LBB322_24
.LBB322_27:
                                        ; implicit-def: $sgpr18_sgpr19
                                        ; implicit-def: $vgpr33
                                        ; implicit-def: $vgpr32
                                        ; implicit-def: $vgpr31
                                        ; implicit-def: $vgpr20
	s_branch .LBB322_170
.LBB322_28:
                                        ; implicit-def: $vgpr16_vgpr17
	s_branch .LBB322_318
.LBB322_29:
                                        ; implicit-def: $sgpr18_sgpr19
                                        ; implicit-def: $vgpr33
                                        ; implicit-def: $vgpr32
                                        ; implicit-def: $vgpr31
                                        ; implicit-def: $vgpr20
	s_cbranch_execnz .LBB322_89
	s_branch .LBB322_169
.LBB322_30:
	s_or_b64 exec, exec, s[10:11]
	v_cmp_gt_i64_e32 vcc, s[26:27], v[20:21]
	s_orn2_b64 s[10:11], vcc, exec
.LBB322_31:
	s_or_b64 exec, exec, s[12:13]
.LBB322_32:
	v_mul_lo_u32 v20, v3, s26
	v_mul_lo_u32 v21, v2, s27
	v_mad_u64_u32 v[18:19], s[12:13], v2, s26, 0
	v_add3_u32 v19, v19, v21, v20
	s_mov_b64 s[12:13], 0
	s_and_b64 vcc, exec, s[4:5]
	v_lshl_add_u64 v[18:19], s[28:29], 0, v[18:19]
	s_mov_b64 s[14:15], 0
	s_cbranch_vccnz .LBB322_41
; %bb.33:
	global_load_ubyte v20, v[18:19], off
	global_load_ubyte v21, v[16:17], off
	s_mov_b64 s[14:15], -1
	s_waitcnt vmcnt(0)
	v_cmp_eq_u16_e32 vcc, v20, v21
	s_and_saveexec_b64 s[18:19], vcc
	s_cbranch_execz .LBB322_40
; %bb.34:
	s_mov_b64 s[38:39], 1
	s_mov_b64 s[14:15], 0
                                        ; implicit-def: $sgpr36_sgpr37
	s_branch .LBB322_37
.LBB322_35:                             ;   in Loop: Header=BB322_37 Depth=1
	v_lshl_add_u64 v[20:21], v[18:19], 0, s[38:39]
	v_lshl_add_u64 v[30:31], v[16:17], 0, s[38:39]
	global_load_ubyte v32, v[20:21], off
	global_load_ubyte v33, v[30:31], off
	s_add_u32 s40, s38, 1
	s_addc_u32 s41, s39, 0
	s_andn2_b64 s[36:37], s[36:37], exec
	s_waitcnt vmcnt(0)
	v_cmp_ne_u16_e32 vcc, v32, v33
	s_and_b64 s[42:43], vcc, exec
	s_or_b64 s[36:37], s[36:37], s[42:43]
.LBB322_36:                             ;   in Loop: Header=BB322_37 Depth=1
	s_and_b64 s[42:43], exec, s[36:37]
	s_or_b64 s[14:15], s[42:43], s[14:15]
	v_mov_b64_e32 v[20:21], s[38:39]
	s_mov_b64 s[38:39], s[40:41]
	s_andn2_b64 exec, exec, s[14:15]
	s_cbranch_execz .LBB322_39
.LBB322_37:                             ; =>This Inner Loop Header: Depth=1
	s_or_b64 s[36:37], s[36:37], exec
	s_cmp_eq_u64 s[26:27], s[38:39]
	s_cbranch_scc0 .LBB322_35
; %bb.38:                               ;   in Loop: Header=BB322_37 Depth=1
                                        ; implicit-def: $sgpr40_sgpr41
	s_mov_b64 s[38:39], s[26:27]
	s_branch .LBB322_36
.LBB322_39:
	s_or_b64 exec, exec, s[14:15]
	v_cmp_gt_i64_e32 vcc, s[26:27], v[20:21]
	s_orn2_b64 s[14:15], vcc, exec
.LBB322_40:
	s_or_b64 exec, exec, s[18:19]
.LBB322_41:
	v_mul_lo_u32 v20, v9, s26
	v_mul_lo_u32 v21, v8, s27
	v_mad_u64_u32 v[16:17], s[18:19], v8, s26, 0
	v_add3_u32 v17, v17, v21, v20
	s_and_b64 vcc, exec, s[4:5]
	v_lshl_add_u64 v[16:17], s[28:29], 0, v[16:17]
	s_cbranch_vccnz .LBB322_50
; %bb.42:
	global_load_ubyte v20, v[16:17], off
	global_load_ubyte v21, v[18:19], off
	s_mov_b64 s[12:13], -1
	s_waitcnt vmcnt(0)
	v_cmp_eq_u16_e32 vcc, v20, v21
	s_and_saveexec_b64 s[18:19], vcc
	s_cbranch_execz .LBB322_49
; %bb.43:
	s_mov_b64 s[38:39], 1
	s_mov_b64 s[12:13], 0
                                        ; implicit-def: $sgpr36_sgpr37
	s_branch .LBB322_46
.LBB322_44:                             ;   in Loop: Header=BB322_46 Depth=1
	v_lshl_add_u64 v[20:21], v[16:17], 0, s[38:39]
	v_lshl_add_u64 v[30:31], v[18:19], 0, s[38:39]
	global_load_ubyte v32, v[20:21], off
	global_load_ubyte v33, v[30:31], off
	s_add_u32 s40, s38, 1
	s_addc_u32 s41, s39, 0
	s_andn2_b64 s[36:37], s[36:37], exec
	s_waitcnt vmcnt(0)
	v_cmp_ne_u16_e32 vcc, v32, v33
	s_and_b64 s[42:43], vcc, exec
	s_or_b64 s[36:37], s[36:37], s[42:43]
.LBB322_45:                             ;   in Loop: Header=BB322_46 Depth=1
	s_and_b64 s[42:43], exec, s[36:37]
	s_or_b64 s[12:13], s[42:43], s[12:13]
	v_mov_b64_e32 v[20:21], s[38:39]
	s_mov_b64 s[38:39], s[40:41]
	s_andn2_b64 exec, exec, s[12:13]
	s_cbranch_execz .LBB322_48
.LBB322_46:                             ; =>This Inner Loop Header: Depth=1
	s_or_b64 s[36:37], s[36:37], exec
	s_cmp_eq_u64 s[26:27], s[38:39]
	s_cbranch_scc0 .LBB322_44
; %bb.47:                               ;   in Loop: Header=BB322_46 Depth=1
                                        ; implicit-def: $sgpr40_sgpr41
	s_mov_b64 s[38:39], s[26:27]
	s_branch .LBB322_45
.LBB322_48:
	s_or_b64 exec, exec, s[12:13]
	v_cmp_gt_i64_e32 vcc, s[26:27], v[20:21]
	s_orn2_b64 s[12:13], vcc, exec
.LBB322_49:
	s_or_b64 exec, exec, s[18:19]
.LBB322_50:
	v_mul_lo_u32 v20, v7, s26
	v_mul_lo_u32 v21, v6, s27
	v_mad_u64_u32 v[18:19], s[18:19], v6, s26, 0
	v_add3_u32 v19, v19, v21, v20
	s_mov_b64 s[18:19], 0
	s_and_b64 vcc, exec, s[4:5]
	v_lshl_add_u64 v[20:21], s[28:29], 0, v[18:19]
	s_mov_b64 s[36:37], 0
	s_cbranch_vccnz .LBB322_59
; %bb.51:
	global_load_ubyte v18, v[20:21], off
	global_load_ubyte v19, v[16:17], off
	s_mov_b64 s[36:37], -1
	s_waitcnt vmcnt(0)
	v_cmp_eq_u16_e32 vcc, v18, v19
	s_and_saveexec_b64 s[38:39], vcc
	s_cbranch_execz .LBB322_58
; %bb.52:
	s_mov_b64 s[42:43], 1
	s_mov_b64 s[36:37], 0
                                        ; implicit-def: $sgpr40_sgpr41
	s_branch .LBB322_55
.LBB322_53:                             ;   in Loop: Header=BB322_55 Depth=1
	v_lshl_add_u64 v[18:19], v[20:21], 0, s[42:43]
	v_lshl_add_u64 v[30:31], v[16:17], 0, s[42:43]
	global_load_ubyte v32, v[18:19], off
	global_load_ubyte v33, v[30:31], off
	s_add_u32 s44, s42, 1
	s_addc_u32 s45, s43, 0
	s_andn2_b64 s[40:41], s[40:41], exec
	s_waitcnt vmcnt(0)
	v_cmp_ne_u16_e32 vcc, v32, v33
	s_and_b64 s[46:47], vcc, exec
	s_or_b64 s[40:41], s[40:41], s[46:47]
.LBB322_54:                             ;   in Loop: Header=BB322_55 Depth=1
	s_and_b64 s[46:47], exec, s[40:41]
	s_or_b64 s[36:37], s[46:47], s[36:37]
	v_mov_b64_e32 v[18:19], s[42:43]
	s_mov_b64 s[42:43], s[44:45]
	s_andn2_b64 exec, exec, s[36:37]
	s_cbranch_execz .LBB322_57
.LBB322_55:                             ; =>This Inner Loop Header: Depth=1
	s_or_b64 s[40:41], s[40:41], exec
	s_cmp_eq_u64 s[26:27], s[42:43]
	s_cbranch_scc0 .LBB322_53
; %bb.56:                               ;   in Loop: Header=BB322_55 Depth=1
                                        ; implicit-def: $sgpr44_sgpr45
	s_mov_b64 s[42:43], s[26:27]
	s_branch .LBB322_54
.LBB322_57:
	s_or_b64 exec, exec, s[36:37]
	v_cmp_gt_i64_e32 vcc, s[26:27], v[18:19]
	s_orn2_b64 s[36:37], vcc, exec
.LBB322_58:
	s_or_b64 exec, exec, s[38:39]
.LBB322_59:
	v_mul_lo_u32 v18, v13, s26
	v_mul_lo_u32 v19, v12, s27
	v_mad_u64_u32 v[16:17], s[38:39], v12, s26, 0
	v_add3_u32 v17, v17, v19, v18
	s_and_b64 vcc, exec, s[4:5]
	v_lshl_add_u64 v[18:19], s[28:29], 0, v[16:17]
	s_cbranch_vccnz .LBB322_68
; %bb.60:
	global_load_ubyte v16, v[18:19], off
	global_load_ubyte v17, v[20:21], off
	s_mov_b64 s[18:19], -1
	s_waitcnt vmcnt(0)
	v_cmp_eq_u16_e32 vcc, v16, v17
	s_and_saveexec_b64 s[38:39], vcc
	s_cbranch_execz .LBB322_67
; %bb.61:
	s_mov_b64 s[42:43], 1
	s_mov_b64 s[18:19], 0
                                        ; implicit-def: $sgpr40_sgpr41
	s_branch .LBB322_64
.LBB322_62:                             ;   in Loop: Header=BB322_64 Depth=1
	v_lshl_add_u64 v[16:17], v[18:19], 0, s[42:43]
	v_lshl_add_u64 v[30:31], v[20:21], 0, s[42:43]
	global_load_ubyte v32, v[16:17], off
	global_load_ubyte v33, v[30:31], off
	s_add_u32 s44, s42, 1
	s_addc_u32 s45, s43, 0
	s_andn2_b64 s[40:41], s[40:41], exec
	s_waitcnt vmcnt(0)
	v_cmp_ne_u16_e32 vcc, v32, v33
	s_and_b64 s[46:47], vcc, exec
	s_or_b64 s[40:41], s[40:41], s[46:47]
.LBB322_63:                             ;   in Loop: Header=BB322_64 Depth=1
	s_and_b64 s[46:47], exec, s[40:41]
	s_or_b64 s[18:19], s[46:47], s[18:19]
	v_mov_b64_e32 v[16:17], s[42:43]
	s_mov_b64 s[42:43], s[44:45]
	s_andn2_b64 exec, exec, s[18:19]
	s_cbranch_execz .LBB322_66
.LBB322_64:                             ; =>This Inner Loop Header: Depth=1
	s_or_b64 s[40:41], s[40:41], exec
	s_cmp_eq_u64 s[26:27], s[42:43]
	s_cbranch_scc0 .LBB322_62
; %bb.65:                               ;   in Loop: Header=BB322_64 Depth=1
                                        ; implicit-def: $sgpr44_sgpr45
	s_mov_b64 s[42:43], s[26:27]
	s_branch .LBB322_63
.LBB322_66:
	s_or_b64 exec, exec, s[18:19]
	v_cmp_gt_i64_e32 vcc, s[26:27], v[16:17]
	s_orn2_b64 s[18:19], vcc, exec
.LBB322_67:
	s_or_b64 exec, exec, s[38:39]
.LBB322_68:
	v_mul_lo_u32 v20, v11, s26
	v_mul_lo_u32 v21, v10, s27
	v_mad_u64_u32 v[16:17], s[38:39], v10, s26, 0
	v_add3_u32 v17, v17, v21, v20
	s_mov_b64 s[40:41], 0
	s_and_b64 vcc, exec, s[4:5]
	v_lshl_add_u64 v[16:17], s[28:29], 0, v[16:17]
	s_cbranch_vccnz .LBB322_77
; %bb.69:
	global_load_ubyte v20, v[16:17], off
	global_load_ubyte v21, v[18:19], off
	s_mov_b64 s[40:41], -1
	s_waitcnt vmcnt(0)
	v_cmp_eq_u16_e32 vcc, v20, v21
	s_and_saveexec_b64 s[38:39], vcc
	s_cbranch_execz .LBB322_76
; %bb.70:
	s_mov_b64 s[44:45], 1
	s_mov_b64 s[40:41], 0
                                        ; implicit-def: $sgpr42_sgpr43
	s_branch .LBB322_73
.LBB322_71:                             ;   in Loop: Header=BB322_73 Depth=1
	v_lshl_add_u64 v[20:21], v[16:17], 0, s[44:45]
	v_lshl_add_u64 v[30:31], v[18:19], 0, s[44:45]
	global_load_ubyte v32, v[20:21], off
	global_load_ubyte v33, v[30:31], off
	s_add_u32 s46, s44, 1
	s_addc_u32 s47, s45, 0
	s_andn2_b64 s[42:43], s[42:43], exec
	s_waitcnt vmcnt(0)
	v_cmp_ne_u16_e32 vcc, v32, v33
	s_and_b64 s[48:49], vcc, exec
	s_or_b64 s[42:43], s[42:43], s[48:49]
.LBB322_72:                             ;   in Loop: Header=BB322_73 Depth=1
	s_and_b64 s[48:49], exec, s[42:43]
	s_or_b64 s[40:41], s[48:49], s[40:41]
	v_mov_b64_e32 v[20:21], s[44:45]
	s_mov_b64 s[44:45], s[46:47]
	s_andn2_b64 exec, exec, s[40:41]
	s_cbranch_execz .LBB322_75
.LBB322_73:                             ; =>This Inner Loop Header: Depth=1
	s_or_b64 s[42:43], s[42:43], exec
	s_cmp_eq_u64 s[26:27], s[44:45]
	s_cbranch_scc0 .LBB322_71
; %bb.74:                               ;   in Loop: Header=BB322_73 Depth=1
                                        ; implicit-def: $sgpr46_sgpr47
	s_mov_b64 s[44:45], s[26:27]
	s_branch .LBB322_72
.LBB322_75:
	s_or_b64 exec, exec, s[40:41]
	v_cmp_gt_i64_e32 vcc, s[26:27], v[20:21]
	s_orn2_b64 s[40:41], vcc, exec
.LBB322_76:
	s_or_b64 exec, exec, s[38:39]
.LBB322_77:
	v_cmp_ne_u32_e32 vcc, 0, v0
	s_waitcnt lgkmcnt(0)
	v_mov_b64_e32 v[20:21], s[6:7]
	s_barrier
	s_and_saveexec_b64 s[38:39], vcc
	s_cbranch_execz .LBB322_79
; %bb.78:
	v_add_u32_e32 v18, -8, v23
	ds_read_b64 v[20:21], v18
.LBB322_79:
	s_or_b64 exec, exec, s[38:39]
	v_cndmask_b32_e64 v19, 0, 1, s[36:37]
	v_cndmask_b32_e64 v18, 0, 1, s[18:19]
	;; [unrolled: 1-line block ×3, first 2 shown]
	v_lshlrev_b16_e32 v19, 8, v19
	v_lshlrev_b16_e32 v30, 8, v30
	v_or_b32_sdwa v34, v18, v19 dst_sel:WORD_1 dst_unused:UNUSED_PAD src0_sel:DWORD src1_sel:DWORD
	s_mov_b64 s[36:37], 0
	s_and_b64 vcc, exec, s[4:5]
	s_mov_b64 s[18:19], 0
	s_cbranch_vccnz .LBB322_88
; %bb.80:
	v_mov_b64_e32 v[18:19], s[28:29]
	s_waitcnt lgkmcnt(0)
	v_mad_u64_u32 v[18:19], s[18:19], v20, s26, v[18:19]
	v_mul_lo_u32 v20, v20, s27
	v_mul_lo_u32 v21, v21, s26
	v_add3_u32 v19, v21, v19, v20
	global_load_ubyte v20, v[18:19], off
	global_load_ubyte v21, v[16:17], off
	s_mov_b64 s[18:19], -1
	s_waitcnt vmcnt(0)
	v_cmp_eq_u16_e32 vcc, v20, v21
	s_and_saveexec_b64 s[38:39], vcc
	s_cbranch_execz .LBB322_87
; %bb.81:
	s_mov_b64 s[42:43], 1
	s_mov_b64 s[18:19], 0
                                        ; implicit-def: $sgpr40_sgpr41
	s_branch .LBB322_84
.LBB322_82:                             ;   in Loop: Header=BB322_84 Depth=1
	v_lshl_add_u64 v[20:21], v[18:19], 0, s[42:43]
	v_lshl_add_u64 v[32:33], v[16:17], 0, s[42:43]
	global_load_ubyte v31, v[20:21], off
	global_load_ubyte v35, v[32:33], off
	s_add_u32 s44, s42, 1
	s_addc_u32 s45, s43, 0
	s_andn2_b64 s[40:41], s[40:41], exec
	s_waitcnt vmcnt(0)
	v_cmp_ne_u16_e32 vcc, v31, v35
	s_and_b64 s[46:47], vcc, exec
	s_or_b64 s[40:41], s[40:41], s[46:47]
.LBB322_83:                             ;   in Loop: Header=BB322_84 Depth=1
	s_and_b64 s[46:47], exec, s[40:41]
	s_or_b64 s[18:19], s[46:47], s[18:19]
	v_mov_b64_e32 v[20:21], s[42:43]
	s_mov_b64 s[42:43], s[44:45]
	s_andn2_b64 exec, exec, s[18:19]
	s_cbranch_execz .LBB322_86
.LBB322_84:                             ; =>This Inner Loop Header: Depth=1
	s_or_b64 s[40:41], s[40:41], exec
	s_cmp_eq_u64 s[26:27], s[42:43]
	s_cbranch_scc0 .LBB322_82
; %bb.85:                               ;   in Loop: Header=BB322_84 Depth=1
                                        ; implicit-def: $sgpr44_sgpr45
	s_mov_b64 s[42:43], s[26:27]
	s_branch .LBB322_83
.LBB322_86:
	s_or_b64 exec, exec, s[18:19]
	v_cmp_gt_i64_e32 vcc, s[26:27], v[20:21]
	s_orn2_b64 s[18:19], vcc, exec
.LBB322_87:
	s_or_b64 exec, exec, s[38:39]
.LBB322_88:
	v_cndmask_b32_e64 v31, 0, 1, s[12:13]
	v_cndmask_b32_e64 v32, 0, 1, s[14:15]
	;; [unrolled: 1-line block ×3, first 2 shown]
	s_waitcnt lgkmcnt(0)
	v_or_b32_e32 v20, v30, v34
	s_and_b64 vcc, exec, s[36:37]
	s_cbranch_vccz .LBB322_169
.LBB322_89:
	v_cmp_gt_u32_e32 vcc, s3, v27
	s_mov_b64 s[12:13], 0
	s_mov_b64 s[10:11], 0
	s_and_saveexec_b64 s[14:15], vcc
	s_cbranch_execz .LBB322_100
; %bb.90:
	s_and_b64 vcc, exec, s[4:5]
	s_mov_b64 s[18:19], 0
	s_cbranch_vccnz .LBB322_99
; %bb.91:
	v_mov_b64_e32 v[18:19], s[28:29]
	v_mad_u64_u32 v[16:17], s[10:11], v4, s26, v[18:19]
	v_mul_lo_u32 v20, v4, s27
	v_mul_lo_u32 v21, v5, s26
	v_add3_u32 v17, v21, v17, v20
	v_mad_u64_u32 v[18:19], s[10:11], v14, s26, v[18:19]
	v_mul_lo_u32 v20, v14, s27
	v_mul_lo_u32 v21, v15, s26
	v_add3_u32 v19, v21, v19, v20
	global_load_ubyte v20, v[16:17], off
	global_load_ubyte v21, v[18:19], off
	s_mov_b64 s[18:19], -1
	s_waitcnt vmcnt(0)
	v_cmp_eq_u16_e32 vcc, v20, v21
	s_and_saveexec_b64 s[10:11], vcc
	s_cbranch_execz .LBB322_98
; %bb.92:
	s_mov_b64 s[38:39], 1
	s_mov_b64 s[18:19], 0
                                        ; implicit-def: $sgpr36_sgpr37
	s_branch .LBB322_95
.LBB322_93:                             ;   in Loop: Header=BB322_95 Depth=1
	v_lshl_add_u64 v[20:21], v[16:17], 0, s[38:39]
	v_lshl_add_u64 v[30:31], v[18:19], 0, s[38:39]
	global_load_ubyte v32, v[20:21], off
	global_load_ubyte v33, v[30:31], off
	s_add_u32 s40, s38, 1
	s_addc_u32 s41, s39, 0
	s_andn2_b64 s[36:37], s[36:37], exec
	s_waitcnt vmcnt(0)
	v_cmp_ne_u16_e32 vcc, v32, v33
	s_and_b64 s[42:43], vcc, exec
	s_or_b64 s[36:37], s[36:37], s[42:43]
.LBB322_94:                             ;   in Loop: Header=BB322_95 Depth=1
	s_and_b64 s[42:43], exec, s[36:37]
	s_or_b64 s[18:19], s[42:43], s[18:19]
	v_mov_b64_e32 v[20:21], s[38:39]
	s_mov_b64 s[38:39], s[40:41]
	s_andn2_b64 exec, exec, s[18:19]
	s_cbranch_execz .LBB322_97
.LBB322_95:                             ; =>This Inner Loop Header: Depth=1
	s_or_b64 s[36:37], s[36:37], exec
	s_cmp_eq_u64 s[26:27], s[38:39]
	s_cbranch_scc0 .LBB322_93
; %bb.96:                               ;   in Loop: Header=BB322_95 Depth=1
                                        ; implicit-def: $sgpr40_sgpr41
	s_mov_b64 s[38:39], s[26:27]
	s_branch .LBB322_94
.LBB322_97:
	s_or_b64 exec, exec, s[18:19]
	v_cmp_gt_i64_e32 vcc, s[26:27], v[20:21]
	s_orn2_b64 s[18:19], vcc, exec
.LBB322_98:
	s_or_b64 exec, exec, s[10:11]
.LBB322_99:
	s_and_b64 s[10:11], s[18:19], exec
.LBB322_100:
	s_or_b64 exec, exec, s[14:15]
	v_cmp_gt_u32_e32 vcc, s3, v29
	s_and_saveexec_b64 s[14:15], vcc
	s_cbranch_execz .LBB322_111
; %bb.101:
	s_and_b64 vcc, exec, s[4:5]
	s_mov_b64 s[18:19], 0
	s_cbranch_vccnz .LBB322_110
; %bb.102:
	v_mov_b64_e32 v[18:19], s[28:29]
	v_mad_u64_u32 v[16:17], s[12:13], v2, s26, v[18:19]
	v_mul_lo_u32 v20, v2, s27
	v_mul_lo_u32 v21, v3, s26
	v_add3_u32 v17, v21, v17, v20
	v_mad_u64_u32 v[18:19], s[12:13], v4, s26, v[18:19]
	v_mul_lo_u32 v20, v4, s27
	v_mul_lo_u32 v21, v5, s26
	v_add3_u32 v19, v21, v19, v20
	global_load_ubyte v20, v[16:17], off
	global_load_ubyte v21, v[18:19], off
	s_mov_b64 s[18:19], -1
	s_waitcnt vmcnt(0)
	v_cmp_eq_u16_e32 vcc, v20, v21
	s_and_saveexec_b64 s[12:13], vcc
	s_cbranch_execz .LBB322_109
; %bb.103:
	s_mov_b64 s[38:39], 1
	s_mov_b64 s[18:19], 0
                                        ; implicit-def: $sgpr36_sgpr37
	s_branch .LBB322_106
.LBB322_104:                            ;   in Loop: Header=BB322_106 Depth=1
	v_lshl_add_u64 v[20:21], v[16:17], 0, s[38:39]
	v_lshl_add_u64 v[30:31], v[18:19], 0, s[38:39]
	global_load_ubyte v32, v[20:21], off
	global_load_ubyte v33, v[30:31], off
	s_add_u32 s40, s38, 1
	s_addc_u32 s41, s39, 0
	s_andn2_b64 s[36:37], s[36:37], exec
	s_waitcnt vmcnt(0)
	v_cmp_ne_u16_e32 vcc, v32, v33
	s_and_b64 s[42:43], vcc, exec
	s_or_b64 s[36:37], s[36:37], s[42:43]
.LBB322_105:                            ;   in Loop: Header=BB322_106 Depth=1
	s_and_b64 s[42:43], exec, s[36:37]
	s_or_b64 s[18:19], s[42:43], s[18:19]
	v_mov_b64_e32 v[20:21], s[38:39]
	s_mov_b64 s[38:39], s[40:41]
	s_andn2_b64 exec, exec, s[18:19]
	s_cbranch_execz .LBB322_108
.LBB322_106:                            ; =>This Inner Loop Header: Depth=1
	s_or_b64 s[36:37], s[36:37], exec
	s_cmp_eq_u64 s[26:27], s[38:39]
	s_cbranch_scc0 .LBB322_104
; %bb.107:                              ;   in Loop: Header=BB322_106 Depth=1
                                        ; implicit-def: $sgpr40_sgpr41
	s_mov_b64 s[38:39], s[26:27]
	s_branch .LBB322_105
.LBB322_108:
	s_or_b64 exec, exec, s[18:19]
	v_cmp_gt_i64_e32 vcc, s[26:27], v[20:21]
	s_orn2_b64 s[18:19], vcc, exec
.LBB322_109:
	s_or_b64 exec, exec, s[12:13]
.LBB322_110:
	s_and_b64 s[12:13], s[18:19], exec
.LBB322_111:
	s_or_b64 exec, exec, s[14:15]
	v_cmp_gt_u32_e32 vcc, s3, v26
	s_mov_b64 s[18:19], 0
	s_mov_b64 s[14:15], 0
	s_and_saveexec_b64 s[36:37], vcc
	s_cbranch_execz .LBB322_122
; %bb.112:
	s_and_b64 vcc, exec, s[4:5]
	s_mov_b64 s[38:39], 0
	s_cbranch_vccnz .LBB322_121
; %bb.113:
	v_mov_b64_e32 v[18:19], s[28:29]
	v_mad_u64_u32 v[16:17], s[14:15], v8, s26, v[18:19]
	v_mul_lo_u32 v20, v8, s27
	v_mul_lo_u32 v21, v9, s26
	v_add3_u32 v17, v21, v17, v20
	v_mad_u64_u32 v[18:19], s[14:15], v2, s26, v[18:19]
	v_mul_lo_u32 v20, v2, s27
	v_mul_lo_u32 v21, v3, s26
	v_add3_u32 v19, v21, v19, v20
	global_load_ubyte v20, v[16:17], off
	global_load_ubyte v21, v[18:19], off
	s_mov_b64 s[38:39], -1
	s_waitcnt vmcnt(0)
	v_cmp_eq_u16_e32 vcc, v20, v21
	s_and_saveexec_b64 s[14:15], vcc
	s_cbranch_execz .LBB322_120
; %bb.114:
	s_mov_b64 s[42:43], 1
	s_mov_b64 s[38:39], 0
                                        ; implicit-def: $sgpr40_sgpr41
	s_branch .LBB322_117
.LBB322_115:                            ;   in Loop: Header=BB322_117 Depth=1
	v_lshl_add_u64 v[20:21], v[16:17], 0, s[42:43]
	v_lshl_add_u64 v[30:31], v[18:19], 0, s[42:43]
	global_load_ubyte v32, v[20:21], off
	global_load_ubyte v33, v[30:31], off
	s_add_u32 s44, s42, 1
	s_addc_u32 s45, s43, 0
	s_andn2_b64 s[40:41], s[40:41], exec
	s_waitcnt vmcnt(0)
	v_cmp_ne_u16_e32 vcc, v32, v33
	s_and_b64 s[46:47], vcc, exec
	s_or_b64 s[40:41], s[40:41], s[46:47]
.LBB322_116:                            ;   in Loop: Header=BB322_117 Depth=1
	s_and_b64 s[46:47], exec, s[40:41]
	s_or_b64 s[38:39], s[46:47], s[38:39]
	v_mov_b64_e32 v[20:21], s[42:43]
	s_mov_b64 s[42:43], s[44:45]
	s_andn2_b64 exec, exec, s[38:39]
	s_cbranch_execz .LBB322_119
.LBB322_117:                            ; =>This Inner Loop Header: Depth=1
	s_or_b64 s[40:41], s[40:41], exec
	s_cmp_eq_u64 s[26:27], s[42:43]
	s_cbranch_scc0 .LBB322_115
; %bb.118:                              ;   in Loop: Header=BB322_117 Depth=1
                                        ; implicit-def: $sgpr44_sgpr45
	s_mov_b64 s[42:43], s[26:27]
	s_branch .LBB322_116
.LBB322_119:
	s_or_b64 exec, exec, s[38:39]
	v_cmp_gt_i64_e32 vcc, s[26:27], v[20:21]
	s_orn2_b64 s[38:39], vcc, exec
.LBB322_120:
	s_or_b64 exec, exec, s[14:15]
.LBB322_121:
	s_and_b64 s[14:15], s[38:39], exec
.LBB322_122:
	s_or_b64 exec, exec, s[36:37]
	v_cmp_gt_u32_e32 vcc, s3, v28
	s_and_saveexec_b64 s[36:37], vcc
	s_cbranch_execz .LBB322_133
; %bb.123:
	s_and_b64 vcc, exec, s[4:5]
	s_mov_b64 s[38:39], 0
	s_cbranch_vccnz .LBB322_132
; %bb.124:
	v_mov_b64_e32 v[18:19], s[28:29]
	v_mad_u64_u32 v[16:17], s[18:19], v6, s26, v[18:19]
	v_mul_lo_u32 v20, v6, s27
	v_mul_lo_u32 v21, v7, s26
	v_add3_u32 v17, v21, v17, v20
	v_mad_u64_u32 v[18:19], s[18:19], v8, s26, v[18:19]
	v_mul_lo_u32 v20, v8, s27
	v_mul_lo_u32 v21, v9, s26
	v_add3_u32 v19, v21, v19, v20
	global_load_ubyte v20, v[16:17], off
	global_load_ubyte v21, v[18:19], off
	s_mov_b64 s[38:39], -1
	s_waitcnt vmcnt(0)
	v_cmp_eq_u16_e32 vcc, v20, v21
	s_and_saveexec_b64 s[18:19], vcc
	s_cbranch_execz .LBB322_131
; %bb.125:
	s_mov_b64 s[42:43], 1
	s_mov_b64 s[38:39], 0
                                        ; implicit-def: $sgpr40_sgpr41
	s_branch .LBB322_128
.LBB322_126:                            ;   in Loop: Header=BB322_128 Depth=1
	v_lshl_add_u64 v[20:21], v[16:17], 0, s[42:43]
	v_lshl_add_u64 v[30:31], v[18:19], 0, s[42:43]
	global_load_ubyte v32, v[20:21], off
	global_load_ubyte v33, v[30:31], off
	s_add_u32 s44, s42, 1
	s_addc_u32 s45, s43, 0
	s_andn2_b64 s[40:41], s[40:41], exec
	s_waitcnt vmcnt(0)
	v_cmp_ne_u16_e32 vcc, v32, v33
	s_and_b64 s[46:47], vcc, exec
	s_or_b64 s[40:41], s[40:41], s[46:47]
.LBB322_127:                            ;   in Loop: Header=BB322_128 Depth=1
	s_and_b64 s[46:47], exec, s[40:41]
	s_or_b64 s[38:39], s[46:47], s[38:39]
	v_mov_b64_e32 v[20:21], s[42:43]
	s_mov_b64 s[42:43], s[44:45]
	s_andn2_b64 exec, exec, s[38:39]
	s_cbranch_execz .LBB322_130
.LBB322_128:                            ; =>This Inner Loop Header: Depth=1
	s_or_b64 s[40:41], s[40:41], exec
	s_cmp_eq_u64 s[26:27], s[42:43]
	s_cbranch_scc0 .LBB322_126
; %bb.129:                              ;   in Loop: Header=BB322_128 Depth=1
                                        ; implicit-def: $sgpr44_sgpr45
	s_mov_b64 s[42:43], s[26:27]
	s_branch .LBB322_127
.LBB322_130:
	s_or_b64 exec, exec, s[38:39]
	v_cmp_gt_i64_e32 vcc, s[26:27], v[20:21]
	s_orn2_b64 s[38:39], vcc, exec
.LBB322_131:
	s_or_b64 exec, exec, s[18:19]
.LBB322_132:
	s_and_b64 s[18:19], s[38:39], exec
.LBB322_133:
	s_or_b64 exec, exec, s[36:37]
	v_cmp_gt_u32_e32 vcc, s3, v24
	s_mov_b64 s[36:37], 0
	s_mov_b64 s[38:39], 0
	s_and_saveexec_b64 s[40:41], vcc
	s_cbranch_execz .LBB322_144
; %bb.134:
	s_and_b64 vcc, exec, s[4:5]
	s_mov_b64 s[42:43], 0
	s_cbranch_vccnz .LBB322_143
; %bb.135:
	v_mov_b64_e32 v[18:19], s[28:29]
	v_mad_u64_u32 v[16:17], s[38:39], v12, s26, v[18:19]
	v_mul_lo_u32 v20, v12, s27
	v_mul_lo_u32 v21, v13, s26
	v_add3_u32 v17, v21, v17, v20
	v_mad_u64_u32 v[18:19], s[38:39], v6, s26, v[18:19]
	v_mul_lo_u32 v20, v6, s27
	v_mul_lo_u32 v21, v7, s26
	v_add3_u32 v19, v21, v19, v20
	global_load_ubyte v20, v[16:17], off
	global_load_ubyte v21, v[18:19], off
	s_mov_b64 s[42:43], -1
	s_waitcnt vmcnt(0)
	v_cmp_eq_u16_e32 vcc, v20, v21
	s_and_saveexec_b64 s[38:39], vcc
	s_cbranch_execz .LBB322_142
; %bb.136:
	s_mov_b64 s[46:47], 1
	s_mov_b64 s[42:43], 0
                                        ; implicit-def: $sgpr44_sgpr45
	s_branch .LBB322_139
.LBB322_137:                            ;   in Loop: Header=BB322_139 Depth=1
	v_lshl_add_u64 v[20:21], v[16:17], 0, s[46:47]
	v_lshl_add_u64 v[30:31], v[18:19], 0, s[46:47]
	global_load_ubyte v32, v[20:21], off
	global_load_ubyte v33, v[30:31], off
	s_add_u32 s48, s46, 1
	s_addc_u32 s49, s47, 0
	s_andn2_b64 s[44:45], s[44:45], exec
	s_waitcnt vmcnt(0)
	v_cmp_ne_u16_e32 vcc, v32, v33
	s_and_b64 s[50:51], vcc, exec
	s_or_b64 s[44:45], s[44:45], s[50:51]
.LBB322_138:                            ;   in Loop: Header=BB322_139 Depth=1
	s_and_b64 s[50:51], exec, s[44:45]
	s_or_b64 s[42:43], s[50:51], s[42:43]
	v_mov_b64_e32 v[20:21], s[46:47]
	s_mov_b64 s[46:47], s[48:49]
	s_andn2_b64 exec, exec, s[42:43]
	s_cbranch_execz .LBB322_141
.LBB322_139:                            ; =>This Inner Loop Header: Depth=1
	s_or_b64 s[44:45], s[44:45], exec
	s_cmp_eq_u64 s[26:27], s[46:47]
	s_cbranch_scc0 .LBB322_137
; %bb.140:                              ;   in Loop: Header=BB322_139 Depth=1
                                        ; implicit-def: $sgpr48_sgpr49
	s_mov_b64 s[46:47], s[26:27]
	s_branch .LBB322_138
.LBB322_141:
	s_or_b64 exec, exec, s[42:43]
	v_cmp_gt_i64_e32 vcc, s[26:27], v[20:21]
	s_orn2_b64 s[42:43], vcc, exec
.LBB322_142:
	s_or_b64 exec, exec, s[38:39]
.LBB322_143:
	s_and_b64 s[38:39], s[42:43], exec
.LBB322_144:
	s_or_b64 exec, exec, s[40:41]
	v_cmp_gt_u32_e32 vcc, s3, v25
	s_and_saveexec_b64 s[40:41], vcc
	s_cbranch_execz .LBB322_155
; %bb.145:
	s_and_b64 vcc, exec, s[4:5]
	s_mov_b64 s[42:43], 0
	s_cbranch_vccnz .LBB322_154
; %bb.146:
	v_mov_b64_e32 v[18:19], s[28:29]
	v_mad_u64_u32 v[16:17], s[36:37], v10, s26, v[18:19]
	v_mul_lo_u32 v20, v10, s27
	v_mul_lo_u32 v21, v11, s26
	v_add3_u32 v17, v21, v17, v20
	v_mad_u64_u32 v[18:19], s[36:37], v12, s26, v[18:19]
	v_mul_lo_u32 v20, v12, s27
	v_mul_lo_u32 v21, v13, s26
	v_add3_u32 v19, v21, v19, v20
	global_load_ubyte v20, v[16:17], off
	global_load_ubyte v21, v[18:19], off
	s_mov_b64 s[42:43], -1
	s_waitcnt vmcnt(0)
	v_cmp_eq_u16_e32 vcc, v20, v21
	s_and_saveexec_b64 s[36:37], vcc
	s_cbranch_execz .LBB322_153
; %bb.147:
	s_mov_b64 s[46:47], 1
	s_mov_b64 s[42:43], 0
                                        ; implicit-def: $sgpr44_sgpr45
	s_branch .LBB322_150
.LBB322_148:                            ;   in Loop: Header=BB322_150 Depth=1
	v_lshl_add_u64 v[20:21], v[16:17], 0, s[46:47]
	v_lshl_add_u64 v[30:31], v[18:19], 0, s[46:47]
	global_load_ubyte v32, v[20:21], off
	global_load_ubyte v33, v[30:31], off
	s_add_u32 s48, s46, 1
	s_addc_u32 s49, s47, 0
	s_andn2_b64 s[44:45], s[44:45], exec
	s_waitcnt vmcnt(0)
	v_cmp_ne_u16_e32 vcc, v32, v33
	s_and_b64 s[50:51], vcc, exec
	s_or_b64 s[44:45], s[44:45], s[50:51]
.LBB322_149:                            ;   in Loop: Header=BB322_150 Depth=1
	s_and_b64 s[50:51], exec, s[44:45]
	s_or_b64 s[42:43], s[50:51], s[42:43]
	v_mov_b64_e32 v[20:21], s[46:47]
	s_mov_b64 s[46:47], s[48:49]
	s_andn2_b64 exec, exec, s[42:43]
	s_cbranch_execz .LBB322_152
.LBB322_150:                            ; =>This Inner Loop Header: Depth=1
	s_or_b64 s[44:45], s[44:45], exec
	s_cmp_eq_u64 s[26:27], s[46:47]
	s_cbranch_scc0 .LBB322_148
; %bb.151:                              ;   in Loop: Header=BB322_150 Depth=1
                                        ; implicit-def: $sgpr48_sgpr49
	s_mov_b64 s[46:47], s[26:27]
	s_branch .LBB322_149
.LBB322_152:
	s_or_b64 exec, exec, s[42:43]
	v_cmp_gt_i64_e32 vcc, s[26:27], v[20:21]
	s_orn2_b64 s[42:43], vcc, exec
.LBB322_153:
	s_or_b64 exec, exec, s[36:37]
.LBB322_154:
	s_and_b64 s[36:37], s[42:43], exec
.LBB322_155:
	s_or_b64 exec, exec, s[40:41]
	v_cmp_ne_u32_e32 vcc, 0, v0
	s_waitcnt lgkmcnt(0)
	v_mov_b64_e32 v[18:19], s[6:7]
	s_barrier
	s_and_saveexec_b64 s[6:7], vcc
	s_cbranch_execz .LBB322_157
; %bb.156:
	v_add_u32_e32 v16, -8, v23
	ds_read_b64 v[18:19], v16
.LBB322_157:
	s_or_b64 exec, exec, s[6:7]
	v_cndmask_b32_e64 v17, 0, 1, s[18:19]
	v_cndmask_b32_e64 v16, 0, 1, s[38:39]
	;; [unrolled: 1-line block ×3, first 2 shown]
	v_lshlrev_b16_e32 v17, 8, v17
	v_cmp_gt_u32_e32 vcc, s3, v1
	v_lshlrev_b16_e32 v23, 8, v20
	v_or_b32_sdwa v30, v16, v17 dst_sel:WORD_1 dst_unused:UNUSED_PAD src0_sel:DWORD src1_sel:DWORD
	s_mov_b64 s[18:19], 0
	s_and_saveexec_b64 s[6:7], vcc
	s_cbranch_execz .LBB322_168
; %bb.158:
	s_and_b64 vcc, exec, s[4:5]
	s_cbranch_vccnz .LBB322_167
; %bb.159:
	v_mov_b64_e32 v[20:21], s[28:29]
	s_waitcnt lgkmcnt(0)
	v_mad_u64_u32 v[16:17], s[4:5], v18, s26, v[20:21]
	v_mul_lo_u32 v18, v18, s27
	v_mul_lo_u32 v19, v19, s26
	v_add3_u32 v17, v19, v17, v18
	v_mad_u64_u32 v[18:19], s[4:5], v10, s26, v[20:21]
	v_mul_lo_u32 v20, v10, s27
	v_mul_lo_u32 v21, v11, s26
	v_add3_u32 v19, v21, v19, v20
	global_load_ubyte v20, v[16:17], off
	global_load_ubyte v21, v[18:19], off
	s_mov_b64 s[18:19], -1
	s_waitcnt vmcnt(0)
	v_cmp_eq_u16_e32 vcc, v20, v21
	s_and_saveexec_b64 s[4:5], vcc
	s_cbranch_execz .LBB322_166
; %bb.160:
	s_mov_b64 s[38:39], 1
	s_mov_b64 s[18:19], 0
                                        ; implicit-def: $sgpr36_sgpr37
	s_branch .LBB322_163
.LBB322_161:                            ;   in Loop: Header=BB322_163 Depth=1
	v_lshl_add_u64 v[20:21], v[16:17], 0, s[38:39]
	v_lshl_add_u64 v[32:33], v[18:19], 0, s[38:39]
	global_load_ubyte v31, v[20:21], off
	global_load_ubyte v34, v[32:33], off
	s_add_u32 s40, s38, 1
	s_addc_u32 s41, s39, 0
	s_andn2_b64 s[36:37], s[36:37], exec
	s_waitcnt vmcnt(0)
	v_cmp_ne_u16_e32 vcc, v31, v34
	s_and_b64 s[42:43], vcc, exec
	s_or_b64 s[36:37], s[36:37], s[42:43]
.LBB322_162:                            ;   in Loop: Header=BB322_163 Depth=1
	s_and_b64 s[42:43], exec, s[36:37]
	s_or_b64 s[18:19], s[42:43], s[18:19]
	v_mov_b64_e32 v[20:21], s[38:39]
	s_mov_b64 s[38:39], s[40:41]
	s_andn2_b64 exec, exec, s[18:19]
	s_cbranch_execz .LBB322_165
.LBB322_163:                            ; =>This Inner Loop Header: Depth=1
	s_or_b64 s[36:37], s[36:37], exec
	s_cmp_eq_u64 s[26:27], s[38:39]
	s_cbranch_scc0 .LBB322_161
; %bb.164:                              ;   in Loop: Header=BB322_163 Depth=1
                                        ; implicit-def: $sgpr40_sgpr41
	s_mov_b64 s[38:39], s[26:27]
	s_branch .LBB322_162
.LBB322_165:
	s_or_b64 exec, exec, s[18:19]
	v_cmp_gt_i64_e32 vcc, s[26:27], v[20:21]
	s_orn2_b64 s[18:19], vcc, exec
.LBB322_166:
	s_or_b64 exec, exec, s[4:5]
.LBB322_167:
	s_and_b64 s[18:19], s[18:19], exec
.LBB322_168:
	s_or_b64 exec, exec, s[6:7]
	v_cndmask_b32_e64 v31, 0, 1, s[14:15]
	v_cndmask_b32_e64 v32, 0, 1, s[12:13]
	v_cndmask_b32_e64 v33, 0, 1, s[10:11]
	v_or_b32_e32 v20, v23, v30
.LBB322_169:
	s_mov_b64 s[10:11], -1
	s_cbranch_execnz .LBB322_28
.LBB322_170:
	s_movk_i32 s4, 0xffd0
	v_mad_i32_i24 v30, v0, s4, v22
	s_mov_b64 s[12:13], 0
	s_waitcnt lgkmcnt(0)
	v_cmp_gt_i64_e64 s[6:7], s[26:27], 0
	s_and_b64 vcc, exec, s[34:35]
	ds_write_b64 v30, v[14:15]
	s_cbranch_vccz .LBB322_178
; %bb.171:
	v_mul_lo_u32 v18, v5, s26
	v_mul_lo_u32 v19, v4, s27
	v_mad_u64_u32 v[16:17], s[4:5], v4, s26, 0
	v_add3_u32 v17, v17, v19, v18
	v_cndmask_b32_e64 v18, 0, 1, s[6:7]
	v_cmp_ne_u32_e64 s[4:5], 1, v18
	s_andn2_b64 vcc, exec, s[6:7]
	v_lshl_add_u64 v[16:17], s[28:29], 0, v[16:17]
	s_cbranch_vccnz .LBB322_181
; %bb.172:
	v_mov_b64_e32 v[18:19], s[28:29]
	v_mad_u64_u32 v[18:19], s[12:13], v14, s26, v[18:19]
	v_mul_lo_u32 v20, v14, s27
	v_mul_lo_u32 v21, v15, s26
	v_add3_u32 v19, v21, v19, v20
	global_load_ubyte v20, v[16:17], off
	global_load_ubyte v21, v[18:19], off
	s_mov_b64 s[12:13], -1
	s_waitcnt vmcnt(0)
	v_cmp_eq_u16_e32 vcc, v20, v21
	s_and_saveexec_b64 s[14:15], vcc
	s_cbranch_execz .LBB322_180
; %bb.173:
	s_mov_b64 s[36:37], 1
	s_mov_b64 s[12:13], 0
                                        ; implicit-def: $sgpr18_sgpr19
	s_branch .LBB322_176
.LBB322_174:                            ;   in Loop: Header=BB322_176 Depth=1
	v_lshl_add_u64 v[20:21], v[16:17], 0, s[36:37]
	v_lshl_add_u64 v[22:23], v[18:19], 0, s[36:37]
	global_load_ubyte v31, v[20:21], off
	global_load_ubyte v32, v[22:23], off
	s_add_u32 s38, s36, 1
	s_addc_u32 s39, s37, 0
	s_andn2_b64 s[18:19], s[18:19], exec
	s_waitcnt vmcnt(0)
	v_cmp_ne_u16_e32 vcc, v31, v32
	s_and_b64 s[40:41], vcc, exec
	s_or_b64 s[18:19], s[18:19], s[40:41]
.LBB322_175:                            ;   in Loop: Header=BB322_176 Depth=1
	s_and_b64 s[40:41], exec, s[18:19]
	s_or_b64 s[12:13], s[40:41], s[12:13]
	v_mov_b64_e32 v[20:21], s[36:37]
	s_mov_b64 s[36:37], s[38:39]
	s_andn2_b64 exec, exec, s[12:13]
	s_cbranch_execz .LBB322_179
.LBB322_176:                            ; =>This Inner Loop Header: Depth=1
	s_or_b64 s[18:19], s[18:19], exec
	s_cmp_eq_u64 s[26:27], s[36:37]
	s_cbranch_scc0 .LBB322_174
; %bb.177:                              ;   in Loop: Header=BB322_176 Depth=1
                                        ; implicit-def: $sgpr38_sgpr39
	s_mov_b64 s[36:37], s[26:27]
	s_branch .LBB322_175
.LBB322_178:
                                        ; implicit-def: $sgpr18_sgpr19
                                        ; implicit-def: $vgpr33
                                        ; implicit-def: $vgpr32
                                        ; implicit-def: $vgpr31
                                        ; implicit-def: $vgpr20
                                        ; implicit-def: $vgpr16_vgpr17
	s_cbranch_execnz .LBB322_238
	s_branch .LBB322_318
.LBB322_179:
	s_or_b64 exec, exec, s[12:13]
	v_cmp_gt_i64_e32 vcc, s[26:27], v[20:21]
	s_orn2_b64 s[12:13], vcc, exec
.LBB322_180:
	s_or_b64 exec, exec, s[14:15]
.LBB322_181:
	v_mul_lo_u32 v20, v3, s26
	v_mul_lo_u32 v21, v2, s27
	v_mad_u64_u32 v[18:19], s[14:15], v2, s26, 0
	v_add3_u32 v19, v19, v21, v20
	s_mov_b64 s[14:15], 0
	s_and_b64 vcc, exec, s[4:5]
	v_lshl_add_u64 v[18:19], s[28:29], 0, v[18:19]
	s_mov_b64 s[18:19], 0
	s_cbranch_vccnz .LBB322_190
; %bb.182:
	global_load_ubyte v20, v[18:19], off
	global_load_ubyte v21, v[16:17], off
	s_mov_b64 s[18:19], -1
	s_waitcnt vmcnt(0)
	v_cmp_eq_u16_e32 vcc, v20, v21
	s_and_saveexec_b64 s[36:37], vcc
	s_cbranch_execz .LBB322_189
; %bb.183:
	s_mov_b64 s[40:41], 1
	s_mov_b64 s[18:19], 0
                                        ; implicit-def: $sgpr38_sgpr39
	s_branch .LBB322_186
.LBB322_184:                            ;   in Loop: Header=BB322_186 Depth=1
	v_lshl_add_u64 v[20:21], v[18:19], 0, s[40:41]
	v_lshl_add_u64 v[22:23], v[16:17], 0, s[40:41]
	global_load_ubyte v31, v[20:21], off
	global_load_ubyte v32, v[22:23], off
	s_add_u32 s42, s40, 1
	s_addc_u32 s43, s41, 0
	s_andn2_b64 s[38:39], s[38:39], exec
	s_waitcnt vmcnt(0)
	v_cmp_ne_u16_e32 vcc, v31, v32
	s_and_b64 s[44:45], vcc, exec
	s_or_b64 s[38:39], s[38:39], s[44:45]
.LBB322_185:                            ;   in Loop: Header=BB322_186 Depth=1
	s_and_b64 s[44:45], exec, s[38:39]
	s_or_b64 s[18:19], s[44:45], s[18:19]
	v_mov_b64_e32 v[20:21], s[40:41]
	s_mov_b64 s[40:41], s[42:43]
	s_andn2_b64 exec, exec, s[18:19]
	s_cbranch_execz .LBB322_188
.LBB322_186:                            ; =>This Inner Loop Header: Depth=1
	s_or_b64 s[38:39], s[38:39], exec
	s_cmp_eq_u64 s[26:27], s[40:41]
	s_cbranch_scc0 .LBB322_184
; %bb.187:                              ;   in Loop: Header=BB322_186 Depth=1
                                        ; implicit-def: $sgpr42_sgpr43
	s_mov_b64 s[40:41], s[26:27]
	s_branch .LBB322_185
.LBB322_188:
	s_or_b64 exec, exec, s[18:19]
	v_cmp_gt_i64_e32 vcc, s[26:27], v[20:21]
	s_orn2_b64 s[18:19], vcc, exec
.LBB322_189:
	s_or_b64 exec, exec, s[36:37]
.LBB322_190:
	v_mul_lo_u32 v20, v9, s26
	v_mul_lo_u32 v21, v8, s27
	v_mad_u64_u32 v[16:17], s[36:37], v8, s26, 0
	v_add3_u32 v17, v17, v21, v20
	s_and_b64 vcc, exec, s[4:5]
	v_lshl_add_u64 v[16:17], s[28:29], 0, v[16:17]
	s_cbranch_vccnz .LBB322_199
; %bb.191:
	global_load_ubyte v20, v[16:17], off
	global_load_ubyte v21, v[18:19], off
	s_mov_b64 s[14:15], -1
	s_waitcnt vmcnt(0)
	v_cmp_eq_u16_e32 vcc, v20, v21
	s_and_saveexec_b64 s[36:37], vcc
	s_cbranch_execz .LBB322_198
; %bb.192:
	s_mov_b64 s[40:41], 1
	s_mov_b64 s[14:15], 0
                                        ; implicit-def: $sgpr38_sgpr39
	s_branch .LBB322_195
.LBB322_193:                            ;   in Loop: Header=BB322_195 Depth=1
	v_lshl_add_u64 v[20:21], v[16:17], 0, s[40:41]
	v_lshl_add_u64 v[22:23], v[18:19], 0, s[40:41]
	global_load_ubyte v31, v[20:21], off
	global_load_ubyte v32, v[22:23], off
	s_add_u32 s42, s40, 1
	s_addc_u32 s43, s41, 0
	s_andn2_b64 s[38:39], s[38:39], exec
	s_waitcnt vmcnt(0)
	v_cmp_ne_u16_e32 vcc, v31, v32
	s_and_b64 s[44:45], vcc, exec
	s_or_b64 s[38:39], s[38:39], s[44:45]
.LBB322_194:                            ;   in Loop: Header=BB322_195 Depth=1
	s_and_b64 s[44:45], exec, s[38:39]
	s_or_b64 s[14:15], s[44:45], s[14:15]
	v_mov_b64_e32 v[20:21], s[40:41]
	s_mov_b64 s[40:41], s[42:43]
	s_andn2_b64 exec, exec, s[14:15]
	s_cbranch_execz .LBB322_197
.LBB322_195:                            ; =>This Inner Loop Header: Depth=1
	s_or_b64 s[38:39], s[38:39], exec
	s_cmp_eq_u64 s[26:27], s[40:41]
	s_cbranch_scc0 .LBB322_193
; %bb.196:                              ;   in Loop: Header=BB322_195 Depth=1
                                        ; implicit-def: $sgpr42_sgpr43
	s_mov_b64 s[40:41], s[26:27]
	s_branch .LBB322_194
.LBB322_197:
	s_or_b64 exec, exec, s[14:15]
	v_cmp_gt_i64_e32 vcc, s[26:27], v[20:21]
	s_orn2_b64 s[14:15], vcc, exec
.LBB322_198:
	s_or_b64 exec, exec, s[36:37]
.LBB322_199:
	v_mul_lo_u32 v20, v7, s26
	v_mul_lo_u32 v21, v6, s27
	v_mad_u64_u32 v[18:19], s[36:37], v6, s26, 0
	v_add3_u32 v19, v19, v21, v20
	s_mov_b64 s[36:37], 0
	s_and_b64 vcc, exec, s[4:5]
	v_lshl_add_u64 v[18:19], s[28:29], 0, v[18:19]
	s_mov_b64 s[38:39], 0
	s_cbranch_vccnz .LBB322_208
; %bb.200:
	global_load_ubyte v20, v[18:19], off
	global_load_ubyte v21, v[16:17], off
	s_mov_b64 s[38:39], -1
	s_waitcnt vmcnt(0)
	v_cmp_eq_u16_e32 vcc, v20, v21
	s_and_saveexec_b64 s[40:41], vcc
	s_cbranch_execz .LBB322_207
; %bb.201:
	s_mov_b64 s[44:45], 1
	s_mov_b64 s[38:39], 0
                                        ; implicit-def: $sgpr42_sgpr43
	s_branch .LBB322_204
.LBB322_202:                            ;   in Loop: Header=BB322_204 Depth=1
	v_lshl_add_u64 v[20:21], v[18:19], 0, s[44:45]
	v_lshl_add_u64 v[22:23], v[16:17], 0, s[44:45]
	global_load_ubyte v31, v[20:21], off
	global_load_ubyte v32, v[22:23], off
	s_add_u32 s46, s44, 1
	s_addc_u32 s47, s45, 0
	s_andn2_b64 s[42:43], s[42:43], exec
	s_waitcnt vmcnt(0)
	v_cmp_ne_u16_e32 vcc, v31, v32
	s_and_b64 s[48:49], vcc, exec
	s_or_b64 s[42:43], s[42:43], s[48:49]
.LBB322_203:                            ;   in Loop: Header=BB322_204 Depth=1
	s_and_b64 s[48:49], exec, s[42:43]
	s_or_b64 s[38:39], s[48:49], s[38:39]
	v_mov_b64_e32 v[20:21], s[44:45]
	s_mov_b64 s[44:45], s[46:47]
	s_andn2_b64 exec, exec, s[38:39]
	s_cbranch_execz .LBB322_206
.LBB322_204:                            ; =>This Inner Loop Header: Depth=1
	s_or_b64 s[42:43], s[42:43], exec
	s_cmp_eq_u64 s[26:27], s[44:45]
	s_cbranch_scc0 .LBB322_202
; %bb.205:                              ;   in Loop: Header=BB322_204 Depth=1
                                        ; implicit-def: $sgpr46_sgpr47
	s_mov_b64 s[44:45], s[26:27]
	s_branch .LBB322_203
.LBB322_206:
	s_or_b64 exec, exec, s[38:39]
	v_cmp_gt_i64_e32 vcc, s[26:27], v[20:21]
	s_orn2_b64 s[38:39], vcc, exec
.LBB322_207:
	s_or_b64 exec, exec, s[40:41]
.LBB322_208:
	v_mul_lo_u32 v20, v13, s26
	v_mul_lo_u32 v21, v12, s27
	v_mad_u64_u32 v[16:17], s[40:41], v12, s26, 0
	v_add3_u32 v17, v17, v21, v20
	s_and_b64 vcc, exec, s[4:5]
	v_lshl_add_u64 v[16:17], s[28:29], 0, v[16:17]
	s_cbranch_vccnz .LBB322_217
; %bb.209:
	global_load_ubyte v20, v[16:17], off
	global_load_ubyte v21, v[18:19], off
	s_mov_b64 s[36:37], -1
	s_waitcnt vmcnt(0)
	v_cmp_eq_u16_e32 vcc, v20, v21
	s_and_saveexec_b64 s[40:41], vcc
	s_cbranch_execz .LBB322_216
; %bb.210:
	s_mov_b64 s[44:45], 1
	s_mov_b64 s[36:37], 0
                                        ; implicit-def: $sgpr42_sgpr43
	s_branch .LBB322_213
.LBB322_211:                            ;   in Loop: Header=BB322_213 Depth=1
	v_lshl_add_u64 v[20:21], v[16:17], 0, s[44:45]
	v_lshl_add_u64 v[22:23], v[18:19], 0, s[44:45]
	global_load_ubyte v31, v[20:21], off
	global_load_ubyte v32, v[22:23], off
	s_add_u32 s46, s44, 1
	s_addc_u32 s47, s45, 0
	s_andn2_b64 s[42:43], s[42:43], exec
	s_waitcnt vmcnt(0)
	v_cmp_ne_u16_e32 vcc, v31, v32
	s_and_b64 s[48:49], vcc, exec
	s_or_b64 s[42:43], s[42:43], s[48:49]
.LBB322_212:                            ;   in Loop: Header=BB322_213 Depth=1
	s_and_b64 s[48:49], exec, s[42:43]
	s_or_b64 s[36:37], s[48:49], s[36:37]
	v_mov_b64_e32 v[20:21], s[44:45]
	s_mov_b64 s[44:45], s[46:47]
	s_andn2_b64 exec, exec, s[36:37]
	s_cbranch_execz .LBB322_215
.LBB322_213:                            ; =>This Inner Loop Header: Depth=1
	s_or_b64 s[42:43], s[42:43], exec
	s_cmp_eq_u64 s[26:27], s[44:45]
	s_cbranch_scc0 .LBB322_211
; %bb.214:                              ;   in Loop: Header=BB322_213 Depth=1
                                        ; implicit-def: $sgpr46_sgpr47
	s_mov_b64 s[44:45], s[26:27]
	s_branch .LBB322_212
.LBB322_215:
	s_or_b64 exec, exec, s[36:37]
	v_cmp_gt_i64_e32 vcc, s[26:27], v[20:21]
	s_orn2_b64 s[36:37], vcc, exec
.LBB322_216:
	s_or_b64 exec, exec, s[40:41]
.LBB322_217:
	v_mul_lo_u32 v20, v11, s26
	v_mul_lo_u32 v21, v10, s27
	v_mad_u64_u32 v[18:19], s[40:41], v10, s26, 0
	v_add3_u32 v19, v19, v21, v20
	s_and_b64 vcc, exec, s[4:5]
	s_mov_b64 s[42:43], 0
	s_cbranch_vccnz .LBB322_226
; %bb.218:
	v_lshl_add_u64 v[20:21], s[28:29], 0, v[18:19]
	global_load_ubyte v22, v[20:21], off
	global_load_ubyte v23, v[16:17], off
	s_mov_b64 s[42:43], -1
	s_waitcnt vmcnt(0)
	v_cmp_eq_u16_e32 vcc, v22, v23
	s_and_saveexec_b64 s[40:41], vcc
	s_cbranch_execz .LBB322_225
; %bb.219:
	s_mov_b64 s[46:47], 1
	s_mov_b64 s[42:43], 0
                                        ; implicit-def: $sgpr44_sgpr45
	s_branch .LBB322_222
.LBB322_220:                            ;   in Loop: Header=BB322_222 Depth=1
	v_lshl_add_u64 v[22:23], v[20:21], 0, s[46:47]
	v_lshl_add_u64 v[32:33], v[16:17], 0, s[46:47]
	global_load_ubyte v31, v[22:23], off
	global_load_ubyte v34, v[32:33], off
	s_add_u32 s48, s46, 1
	s_addc_u32 s49, s47, 0
	s_andn2_b64 s[44:45], s[44:45], exec
	s_waitcnt vmcnt(0)
	v_cmp_ne_u16_e32 vcc, v31, v34
	s_and_b64 s[50:51], vcc, exec
	s_or_b64 s[44:45], s[44:45], s[50:51]
.LBB322_221:                            ;   in Loop: Header=BB322_222 Depth=1
	s_and_b64 s[50:51], exec, s[44:45]
	s_or_b64 s[42:43], s[50:51], s[42:43]
	v_mov_b64_e32 v[22:23], s[46:47]
	s_mov_b64 s[46:47], s[48:49]
	s_andn2_b64 exec, exec, s[42:43]
	s_cbranch_execz .LBB322_224
.LBB322_222:                            ; =>This Inner Loop Header: Depth=1
	s_or_b64 s[44:45], s[44:45], exec
	s_cmp_eq_u64 s[26:27], s[46:47]
	s_cbranch_scc0 .LBB322_220
; %bb.223:                              ;   in Loop: Header=BB322_222 Depth=1
                                        ; implicit-def: $sgpr48_sgpr49
	s_mov_b64 s[46:47], s[26:27]
	s_branch .LBB322_221
.LBB322_224:
	s_or_b64 exec, exec, s[42:43]
	v_cmp_gt_i64_e32 vcc, s[26:27], v[22:23]
	s_orn2_b64 s[42:43], vcc, exec
.LBB322_225:
	s_or_b64 exec, exec, s[40:41]
.LBB322_226:
	v_cndmask_b32_e64 v17, 0, 1, s[38:39]
	v_cndmask_b32_e64 v16, 0, 1, s[36:37]
	;; [unrolled: 1-line block ×3, first 2 shown]
	v_lshlrev_b16_e32 v17, 8, v17
	v_cndmask_b32_e64 v31, 0, 1, s[14:15]
	v_cndmask_b32_e64 v20, 0, 1, s[42:43]
	v_or_b32_sdwa v16, v16, v17 dst_sel:WORD_1 dst_unused:UNUSED_PAD src0_sel:DWORD src1_sel:DWORD
	v_lshlrev_b16_e32 v17, 8, v32
	v_lshlrev_b16_e32 v20, 8, v20
	v_or_b32_e32 v17, v31, v17
	v_or_b32_e32 v20, 1, v20
	v_and_b32_e32 v17, 0xffff, v17
	v_cndmask_b32_e64 v33, 0, 1, s[12:13]
	v_or_b32_sdwa v16, v20, v16 dst_sel:DWORD dst_unused:UNUSED_PAD src0_sel:WORD_0 src1_sel:DWORD
	v_lshl_or_b32 v17, v33, 16, v17
	v_cmp_ne_u32_e32 vcc, 0, v0
	s_waitcnt lgkmcnt(0)
	s_barrier
	s_waitcnt lgkmcnt(0)
                                        ; implicit-def: $sgpr18_sgpr19
                                        ; implicit-def: $vgpr20
	s_and_saveexec_b64 s[12:13], vcc
	s_xor_b64 s[12:13], exec, s[12:13]
	s_cbranch_execz .LBB322_237
; %bb.227:
	s_mov_b32 s33, 0x3020104
	s_and_b64 vcc, exec, s[4:5]
	s_mov_b64 s[14:15], 0
	s_cbranch_vccnz .LBB322_236
; %bb.228:
	v_add_u32_e32 v17, -8, v30
	ds_read_b64 v[20:21], v17
	v_mov_b64_e32 v[22:23], s[28:29]
	v_lshl_add_u64 v[18:19], s[28:29], 0, v[18:19]
	s_mov_b64 s[14:15], -1
	s_waitcnt lgkmcnt(0)
	v_mul_lo_u32 v17, v20, s27
	v_mul_lo_u32 v34, v21, s26
	v_mad_u64_u32 v[20:21], s[4:5], v20, s26, v[22:23]
	v_add3_u32 v21, v34, v21, v17
	global_load_ubyte v17, v[18:19], off
	global_load_ubyte v22, v[20:21], off
	s_waitcnt vmcnt(0)
	v_cmp_eq_u16_e32 vcc, v22, v17
	s_and_saveexec_b64 s[4:5], vcc
	s_cbranch_execz .LBB322_235
; %bb.229:
	s_mov_b64 s[36:37], 1
	s_mov_b64 s[14:15], 0
                                        ; implicit-def: $sgpr18_sgpr19
	s_branch .LBB322_232
.LBB322_230:                            ;   in Loop: Header=BB322_232 Depth=1
	v_lshl_add_u64 v[22:23], v[20:21], 0, s[36:37]
	v_lshl_add_u64 v[34:35], v[18:19], 0, s[36:37]
	global_load_ubyte v17, v[22:23], off
	global_load_ubyte v36, v[34:35], off
	s_add_u32 s38, s36, 1
	s_addc_u32 s39, s37, 0
	s_andn2_b64 s[18:19], s[18:19], exec
	s_waitcnt vmcnt(0)
	v_cmp_ne_u16_e32 vcc, v17, v36
	s_and_b64 s[40:41], vcc, exec
	s_or_b64 s[18:19], s[18:19], s[40:41]
.LBB322_231:                            ;   in Loop: Header=BB322_232 Depth=1
	s_and_b64 s[40:41], exec, s[18:19]
	s_or_b64 s[14:15], s[40:41], s[14:15]
	v_mov_b64_e32 v[22:23], s[36:37]
	s_mov_b64 s[36:37], s[38:39]
	s_andn2_b64 exec, exec, s[14:15]
	s_cbranch_execz .LBB322_234
.LBB322_232:                            ; =>This Inner Loop Header: Depth=1
	s_or_b64 s[18:19], s[18:19], exec
	s_cmp_eq_u64 s[26:27], s[36:37]
	s_cbranch_scc0 .LBB322_230
; %bb.233:                              ;   in Loop: Header=BB322_232 Depth=1
                                        ; implicit-def: $sgpr38_sgpr39
	s_mov_b64 s[36:37], s[26:27]
	s_branch .LBB322_231
.LBB322_234:
	s_or_b64 exec, exec, s[14:15]
	v_cmp_gt_i64_e32 vcc, s[26:27], v[22:23]
	s_orn2_b64 s[14:15], vcc, exec
.LBB322_235:
	s_or_b64 exec, exec, s[4:5]
.LBB322_236:
	v_perm_b32 v20, v16, v16, s33
	s_and_b64 s[18:19], s[14:15], exec
	s_or_b64 s[10:11], s[10:11], exec
                                        ; implicit-def: $vgpr16_vgpr17
.LBB322_237:
	s_or_b64 exec, exec, s[12:13]
	s_branch .LBB322_318
.LBB322_238:
	v_cmp_gt_u32_e32 vcc, s3, v27
	s_mov_b64 s[12:13], 0
	s_mov_b64 s[4:5], 0
	s_and_saveexec_b64 s[14:15], vcc
	s_cbranch_execz .LBB322_249
; %bb.239:
	s_andn2_b64 vcc, exec, s[6:7]
	s_mov_b64 s[18:19], 0
	s_cbranch_vccnz .LBB322_248
; %bb.240:
	v_mov_b64_e32 v[18:19], s[28:29]
	v_mad_u64_u32 v[16:17], s[4:5], v4, s26, v[18:19]
	v_mul_lo_u32 v20, v4, s27
	v_mul_lo_u32 v21, v5, s26
	v_add3_u32 v17, v21, v17, v20
	v_mad_u64_u32 v[18:19], s[4:5], v14, s26, v[18:19]
	v_mul_lo_u32 v20, v14, s27
	v_mul_lo_u32 v21, v15, s26
	v_add3_u32 v19, v21, v19, v20
	global_load_ubyte v20, v[16:17], off
	global_load_ubyte v21, v[18:19], off
	s_mov_b64 s[18:19], -1
	s_waitcnt vmcnt(0)
	v_cmp_eq_u16_e32 vcc, v20, v21
	s_and_saveexec_b64 s[4:5], vcc
	s_cbranch_execz .LBB322_247
; %bb.241:
	s_mov_b64 s[38:39], 1
	s_mov_b64 s[18:19], 0
                                        ; implicit-def: $sgpr36_sgpr37
	s_branch .LBB322_244
.LBB322_242:                            ;   in Loop: Header=BB322_244 Depth=1
	v_lshl_add_u64 v[20:21], v[16:17], 0, s[38:39]
	v_lshl_add_u64 v[22:23], v[18:19], 0, s[38:39]
	global_load_ubyte v31, v[20:21], off
	global_load_ubyte v32, v[22:23], off
	s_add_u32 s40, s38, 1
	s_addc_u32 s41, s39, 0
	s_andn2_b64 s[36:37], s[36:37], exec
	s_waitcnt vmcnt(0)
	v_cmp_ne_u16_e32 vcc, v31, v32
	s_and_b64 s[42:43], vcc, exec
	s_or_b64 s[36:37], s[36:37], s[42:43]
.LBB322_243:                            ;   in Loop: Header=BB322_244 Depth=1
	s_and_b64 s[42:43], exec, s[36:37]
	s_or_b64 s[18:19], s[42:43], s[18:19]
	v_mov_b64_e32 v[20:21], s[38:39]
	s_mov_b64 s[38:39], s[40:41]
	s_andn2_b64 exec, exec, s[18:19]
	s_cbranch_execz .LBB322_246
.LBB322_244:                            ; =>This Inner Loop Header: Depth=1
	s_or_b64 s[36:37], s[36:37], exec
	s_cmp_eq_u64 s[26:27], s[38:39]
	s_cbranch_scc0 .LBB322_242
; %bb.245:                              ;   in Loop: Header=BB322_244 Depth=1
                                        ; implicit-def: $sgpr40_sgpr41
	s_mov_b64 s[38:39], s[26:27]
	s_branch .LBB322_243
.LBB322_246:
	s_or_b64 exec, exec, s[18:19]
	v_cmp_gt_i64_e32 vcc, s[26:27], v[20:21]
	s_orn2_b64 s[18:19], vcc, exec
.LBB322_247:
	s_or_b64 exec, exec, s[4:5]
.LBB322_248:
	s_and_b64 s[4:5], s[18:19], exec
.LBB322_249:
	s_or_b64 exec, exec, s[14:15]
	v_cmp_gt_u32_e32 vcc, s3, v29
	s_and_saveexec_b64 s[14:15], vcc
	s_cbranch_execz .LBB322_260
; %bb.250:
	s_andn2_b64 vcc, exec, s[6:7]
	s_mov_b64 s[18:19], 0
	s_cbranch_vccnz .LBB322_259
; %bb.251:
	v_mov_b64_e32 v[18:19], s[28:29]
	v_mad_u64_u32 v[16:17], s[12:13], v2, s26, v[18:19]
	v_mul_lo_u32 v20, v2, s27
	v_mul_lo_u32 v21, v3, s26
	v_add3_u32 v17, v21, v17, v20
	v_mad_u64_u32 v[18:19], s[12:13], v4, s26, v[18:19]
	v_mul_lo_u32 v20, v4, s27
	v_mul_lo_u32 v21, v5, s26
	v_add3_u32 v19, v21, v19, v20
	global_load_ubyte v20, v[16:17], off
	global_load_ubyte v21, v[18:19], off
	s_mov_b64 s[18:19], -1
	s_waitcnt vmcnt(0)
	v_cmp_eq_u16_e32 vcc, v20, v21
	s_and_saveexec_b64 s[12:13], vcc
	s_cbranch_execz .LBB322_258
; %bb.252:
	s_mov_b64 s[38:39], 1
	s_mov_b64 s[18:19], 0
                                        ; implicit-def: $sgpr36_sgpr37
	s_branch .LBB322_255
.LBB322_253:                            ;   in Loop: Header=BB322_255 Depth=1
	v_lshl_add_u64 v[20:21], v[16:17], 0, s[38:39]
	v_lshl_add_u64 v[22:23], v[18:19], 0, s[38:39]
	global_load_ubyte v31, v[20:21], off
	global_load_ubyte v32, v[22:23], off
	s_add_u32 s40, s38, 1
	s_addc_u32 s41, s39, 0
	s_andn2_b64 s[36:37], s[36:37], exec
	s_waitcnt vmcnt(0)
	v_cmp_ne_u16_e32 vcc, v31, v32
	s_and_b64 s[42:43], vcc, exec
	s_or_b64 s[36:37], s[36:37], s[42:43]
.LBB322_254:                            ;   in Loop: Header=BB322_255 Depth=1
	s_and_b64 s[42:43], exec, s[36:37]
	s_or_b64 s[18:19], s[42:43], s[18:19]
	v_mov_b64_e32 v[20:21], s[38:39]
	s_mov_b64 s[38:39], s[40:41]
	s_andn2_b64 exec, exec, s[18:19]
	s_cbranch_execz .LBB322_257
.LBB322_255:                            ; =>This Inner Loop Header: Depth=1
	s_or_b64 s[36:37], s[36:37], exec
	s_cmp_eq_u64 s[26:27], s[38:39]
	s_cbranch_scc0 .LBB322_253
; %bb.256:                              ;   in Loop: Header=BB322_255 Depth=1
                                        ; implicit-def: $sgpr40_sgpr41
	s_mov_b64 s[38:39], s[26:27]
	s_branch .LBB322_254
.LBB322_257:
	s_or_b64 exec, exec, s[18:19]
	v_cmp_gt_i64_e32 vcc, s[26:27], v[20:21]
	s_orn2_b64 s[18:19], vcc, exec
.LBB322_258:
	s_or_b64 exec, exec, s[12:13]
.LBB322_259:
	s_and_b64 s[12:13], s[18:19], exec
.LBB322_260:
	s_or_b64 exec, exec, s[14:15]
	v_cmp_gt_u32_e32 vcc, s3, v26
	s_mov_b64 s[18:19], 0
	s_mov_b64 s[14:15], 0
	s_and_saveexec_b64 s[36:37], vcc
	s_cbranch_execz .LBB322_271
; %bb.261:
	s_andn2_b64 vcc, exec, s[6:7]
	s_mov_b64 s[38:39], 0
	s_cbranch_vccnz .LBB322_270
; %bb.262:
	v_mov_b64_e32 v[18:19], s[28:29]
	v_mad_u64_u32 v[16:17], s[14:15], v8, s26, v[18:19]
	v_mul_lo_u32 v20, v8, s27
	v_mul_lo_u32 v21, v9, s26
	v_add3_u32 v17, v21, v17, v20
	v_mad_u64_u32 v[18:19], s[14:15], v2, s26, v[18:19]
	v_mul_lo_u32 v20, v2, s27
	v_mul_lo_u32 v21, v3, s26
	v_add3_u32 v19, v21, v19, v20
	global_load_ubyte v20, v[16:17], off
	global_load_ubyte v21, v[18:19], off
	s_mov_b64 s[38:39], -1
	s_waitcnt vmcnt(0)
	v_cmp_eq_u16_e32 vcc, v20, v21
	s_and_saveexec_b64 s[14:15], vcc
	s_cbranch_execz .LBB322_269
; %bb.263:
	s_mov_b64 s[42:43], 1
	s_mov_b64 s[38:39], 0
                                        ; implicit-def: $sgpr40_sgpr41
	s_branch .LBB322_266
.LBB322_264:                            ;   in Loop: Header=BB322_266 Depth=1
	v_lshl_add_u64 v[20:21], v[16:17], 0, s[42:43]
	v_lshl_add_u64 v[22:23], v[18:19], 0, s[42:43]
	global_load_ubyte v31, v[20:21], off
	global_load_ubyte v32, v[22:23], off
	s_add_u32 s44, s42, 1
	s_addc_u32 s45, s43, 0
	s_andn2_b64 s[40:41], s[40:41], exec
	s_waitcnt vmcnt(0)
	v_cmp_ne_u16_e32 vcc, v31, v32
	s_and_b64 s[46:47], vcc, exec
	s_or_b64 s[40:41], s[40:41], s[46:47]
.LBB322_265:                            ;   in Loop: Header=BB322_266 Depth=1
	s_and_b64 s[46:47], exec, s[40:41]
	s_or_b64 s[38:39], s[46:47], s[38:39]
	v_mov_b64_e32 v[20:21], s[42:43]
	s_mov_b64 s[42:43], s[44:45]
	s_andn2_b64 exec, exec, s[38:39]
	s_cbranch_execz .LBB322_268
.LBB322_266:                            ; =>This Inner Loop Header: Depth=1
	s_or_b64 s[40:41], s[40:41], exec
	s_cmp_eq_u64 s[26:27], s[42:43]
	s_cbranch_scc0 .LBB322_264
; %bb.267:                              ;   in Loop: Header=BB322_266 Depth=1
                                        ; implicit-def: $sgpr44_sgpr45
	s_mov_b64 s[42:43], s[26:27]
	s_branch .LBB322_265
.LBB322_268:
	s_or_b64 exec, exec, s[38:39]
	v_cmp_gt_i64_e32 vcc, s[26:27], v[20:21]
	s_orn2_b64 s[38:39], vcc, exec
.LBB322_269:
	s_or_b64 exec, exec, s[14:15]
.LBB322_270:
	s_and_b64 s[14:15], s[38:39], exec
.LBB322_271:
	s_or_b64 exec, exec, s[36:37]
	v_cmp_gt_u32_e32 vcc, s3, v28
	s_and_saveexec_b64 s[36:37], vcc
	s_cbranch_execz .LBB322_282
; %bb.272:
	s_andn2_b64 vcc, exec, s[6:7]
	s_mov_b64 s[38:39], 0
	s_cbranch_vccnz .LBB322_281
; %bb.273:
	v_mov_b64_e32 v[18:19], s[28:29]
	v_mad_u64_u32 v[16:17], s[18:19], v6, s26, v[18:19]
	v_mul_lo_u32 v20, v6, s27
	v_mul_lo_u32 v21, v7, s26
	v_add3_u32 v17, v21, v17, v20
	v_mad_u64_u32 v[18:19], s[18:19], v8, s26, v[18:19]
	v_mul_lo_u32 v20, v8, s27
	v_mul_lo_u32 v21, v9, s26
	v_add3_u32 v19, v21, v19, v20
	global_load_ubyte v20, v[16:17], off
	global_load_ubyte v21, v[18:19], off
	s_mov_b64 s[38:39], -1
	s_waitcnt vmcnt(0)
	v_cmp_eq_u16_e32 vcc, v20, v21
	s_and_saveexec_b64 s[18:19], vcc
	s_cbranch_execz .LBB322_280
; %bb.274:
	s_mov_b64 s[42:43], 1
	s_mov_b64 s[38:39], 0
                                        ; implicit-def: $sgpr40_sgpr41
	s_branch .LBB322_277
.LBB322_275:                            ;   in Loop: Header=BB322_277 Depth=1
	v_lshl_add_u64 v[20:21], v[16:17], 0, s[42:43]
	v_lshl_add_u64 v[22:23], v[18:19], 0, s[42:43]
	global_load_ubyte v31, v[20:21], off
	global_load_ubyte v32, v[22:23], off
	s_add_u32 s44, s42, 1
	s_addc_u32 s45, s43, 0
	s_andn2_b64 s[40:41], s[40:41], exec
	s_waitcnt vmcnt(0)
	v_cmp_ne_u16_e32 vcc, v31, v32
	s_and_b64 s[46:47], vcc, exec
	s_or_b64 s[40:41], s[40:41], s[46:47]
.LBB322_276:                            ;   in Loop: Header=BB322_277 Depth=1
	s_and_b64 s[46:47], exec, s[40:41]
	s_or_b64 s[38:39], s[46:47], s[38:39]
	v_mov_b64_e32 v[20:21], s[42:43]
	s_mov_b64 s[42:43], s[44:45]
	s_andn2_b64 exec, exec, s[38:39]
	s_cbranch_execz .LBB322_279
.LBB322_277:                            ; =>This Inner Loop Header: Depth=1
	s_or_b64 s[40:41], s[40:41], exec
	s_cmp_eq_u64 s[26:27], s[42:43]
	s_cbranch_scc0 .LBB322_275
; %bb.278:                              ;   in Loop: Header=BB322_277 Depth=1
                                        ; implicit-def: $sgpr44_sgpr45
	s_mov_b64 s[42:43], s[26:27]
	s_branch .LBB322_276
.LBB322_279:
	s_or_b64 exec, exec, s[38:39]
	v_cmp_gt_i64_e32 vcc, s[26:27], v[20:21]
	s_orn2_b64 s[38:39], vcc, exec
.LBB322_280:
	s_or_b64 exec, exec, s[18:19]
.LBB322_281:
	s_and_b64 s[18:19], s[38:39], exec
.LBB322_282:
	s_or_b64 exec, exec, s[36:37]
	v_cmp_gt_u32_e32 vcc, s3, v24
	s_mov_b64 s[36:37], 0
	s_mov_b64 s[38:39], 0
	s_and_saveexec_b64 s[40:41], vcc
	s_cbranch_execz .LBB322_293
; %bb.283:
	s_andn2_b64 vcc, exec, s[6:7]
	s_mov_b64 s[42:43], 0
	s_cbranch_vccnz .LBB322_292
; %bb.284:
	v_mov_b64_e32 v[18:19], s[28:29]
	v_mad_u64_u32 v[16:17], s[38:39], v12, s26, v[18:19]
	v_mul_lo_u32 v20, v12, s27
	v_mul_lo_u32 v21, v13, s26
	v_add3_u32 v17, v21, v17, v20
	v_mad_u64_u32 v[18:19], s[38:39], v6, s26, v[18:19]
	v_mul_lo_u32 v20, v6, s27
	v_mul_lo_u32 v21, v7, s26
	v_add3_u32 v19, v21, v19, v20
	global_load_ubyte v20, v[16:17], off
	global_load_ubyte v21, v[18:19], off
	s_mov_b64 s[42:43], -1
	s_waitcnt vmcnt(0)
	v_cmp_eq_u16_e32 vcc, v20, v21
	s_and_saveexec_b64 s[38:39], vcc
	s_cbranch_execz .LBB322_291
; %bb.285:
	s_mov_b64 s[46:47], 1
	s_mov_b64 s[42:43], 0
                                        ; implicit-def: $sgpr44_sgpr45
	s_branch .LBB322_288
.LBB322_286:                            ;   in Loop: Header=BB322_288 Depth=1
	v_lshl_add_u64 v[20:21], v[16:17], 0, s[46:47]
	v_lshl_add_u64 v[22:23], v[18:19], 0, s[46:47]
	global_load_ubyte v31, v[20:21], off
	global_load_ubyte v32, v[22:23], off
	s_add_u32 s48, s46, 1
	s_addc_u32 s49, s47, 0
	s_andn2_b64 s[44:45], s[44:45], exec
	s_waitcnt vmcnt(0)
	v_cmp_ne_u16_e32 vcc, v31, v32
	s_and_b64 s[50:51], vcc, exec
	s_or_b64 s[44:45], s[44:45], s[50:51]
.LBB322_287:                            ;   in Loop: Header=BB322_288 Depth=1
	s_and_b64 s[50:51], exec, s[44:45]
	s_or_b64 s[42:43], s[50:51], s[42:43]
	v_mov_b64_e32 v[20:21], s[46:47]
	s_mov_b64 s[46:47], s[48:49]
	s_andn2_b64 exec, exec, s[42:43]
	s_cbranch_execz .LBB322_290
.LBB322_288:                            ; =>This Inner Loop Header: Depth=1
	s_or_b64 s[44:45], s[44:45], exec
	s_cmp_eq_u64 s[26:27], s[46:47]
	s_cbranch_scc0 .LBB322_286
; %bb.289:                              ;   in Loop: Header=BB322_288 Depth=1
                                        ; implicit-def: $sgpr48_sgpr49
	s_mov_b64 s[46:47], s[26:27]
	s_branch .LBB322_287
.LBB322_290:
	s_or_b64 exec, exec, s[42:43]
	v_cmp_gt_i64_e32 vcc, s[26:27], v[20:21]
	s_orn2_b64 s[42:43], vcc, exec
.LBB322_291:
	s_or_b64 exec, exec, s[38:39]
.LBB322_292:
	s_and_b64 s[38:39], s[42:43], exec
.LBB322_293:
	s_or_b64 exec, exec, s[40:41]
	v_cmp_gt_u32_e32 vcc, s3, v25
	s_and_saveexec_b64 s[40:41], vcc
	s_cbranch_execz .LBB322_304
; %bb.294:
	s_andn2_b64 vcc, exec, s[6:7]
	s_mov_b64 s[42:43], 0
	s_cbranch_vccnz .LBB322_303
; %bb.295:
	v_mov_b64_e32 v[18:19], s[28:29]
	v_mad_u64_u32 v[16:17], s[36:37], v10, s26, v[18:19]
	v_mul_lo_u32 v20, v10, s27
	v_mul_lo_u32 v21, v11, s26
	v_add3_u32 v17, v21, v17, v20
	v_mad_u64_u32 v[18:19], s[36:37], v12, s26, v[18:19]
	v_mul_lo_u32 v20, v12, s27
	v_mul_lo_u32 v21, v13, s26
	v_add3_u32 v19, v21, v19, v20
	global_load_ubyte v20, v[16:17], off
	global_load_ubyte v21, v[18:19], off
	s_mov_b64 s[42:43], -1
	s_waitcnt vmcnt(0)
	v_cmp_eq_u16_e32 vcc, v20, v21
	s_and_saveexec_b64 s[36:37], vcc
	s_cbranch_execz .LBB322_302
; %bb.296:
	s_mov_b64 s[46:47], 1
	s_mov_b64 s[42:43], 0
                                        ; implicit-def: $sgpr44_sgpr45
	s_branch .LBB322_299
.LBB322_297:                            ;   in Loop: Header=BB322_299 Depth=1
	v_lshl_add_u64 v[20:21], v[16:17], 0, s[46:47]
	v_lshl_add_u64 v[22:23], v[18:19], 0, s[46:47]
	global_load_ubyte v31, v[20:21], off
	global_load_ubyte v32, v[22:23], off
	s_add_u32 s48, s46, 1
	s_addc_u32 s49, s47, 0
	s_andn2_b64 s[44:45], s[44:45], exec
	s_waitcnt vmcnt(0)
	v_cmp_ne_u16_e32 vcc, v31, v32
	s_and_b64 s[50:51], vcc, exec
	s_or_b64 s[44:45], s[44:45], s[50:51]
.LBB322_298:                            ;   in Loop: Header=BB322_299 Depth=1
	s_and_b64 s[50:51], exec, s[44:45]
	s_or_b64 s[42:43], s[50:51], s[42:43]
	v_mov_b64_e32 v[20:21], s[46:47]
	s_mov_b64 s[46:47], s[48:49]
	s_andn2_b64 exec, exec, s[42:43]
	s_cbranch_execz .LBB322_301
.LBB322_299:                            ; =>This Inner Loop Header: Depth=1
	s_or_b64 s[44:45], s[44:45], exec
	s_cmp_eq_u64 s[26:27], s[46:47]
	s_cbranch_scc0 .LBB322_297
; %bb.300:                              ;   in Loop: Header=BB322_299 Depth=1
                                        ; implicit-def: $sgpr48_sgpr49
	s_mov_b64 s[46:47], s[26:27]
	s_branch .LBB322_298
.LBB322_301:
	s_or_b64 exec, exec, s[42:43]
	v_cmp_gt_i64_e32 vcc, s[26:27], v[20:21]
	s_orn2_b64 s[42:43], vcc, exec
.LBB322_302:
	s_or_b64 exec, exec, s[36:37]
.LBB322_303:
	s_and_b64 s[36:37], s[42:43], exec
.LBB322_304:
	s_or_b64 exec, exec, s[40:41]
	v_cndmask_b32_e64 v17, 0, 1, s[18:19]
	v_cndmask_b32_e64 v16, 0, 1, s[38:39]
	;; [unrolled: 1-line block ×3, first 2 shown]
	v_lshlrev_b16_e32 v17, 8, v17
	v_cndmask_b32_e64 v31, 0, 1, s[14:15]
	v_cndmask_b32_e64 v18, 0, 1, s[36:37]
	v_or_b32_sdwa v16, v16, v17 dst_sel:WORD_1 dst_unused:UNUSED_PAD src0_sel:DWORD src1_sel:DWORD
	v_lshlrev_b16_e32 v17, 8, v32
	v_lshlrev_b16_e32 v18, 8, v18
	v_or_b32_e32 v17, v31, v17
	v_or_b32_e32 v18, 1, v18
	v_and_b32_e32 v17, 0xffff, v17
	v_cndmask_b32_e64 v33, 0, 1, s[4:5]
	v_or_b32_sdwa v16, v18, v16 dst_sel:DWORD dst_unused:UNUSED_PAD src0_sel:WORD_0 src1_sel:DWORD
	v_lshl_or_b32 v17, v33, 16, v17
	v_cmp_ne_u32_e32 vcc, 0, v0
	s_waitcnt lgkmcnt(0)
	s_barrier
	s_waitcnt lgkmcnt(0)
                                        ; implicit-def: $sgpr18_sgpr19
                                        ; implicit-def: $vgpr20
	s_and_saveexec_b64 s[4:5], vcc
	s_cbranch_execz .LBB322_317
; %bb.305:
	v_cmp_gt_u32_e32 vcc, s3, v1
	s_mov_b32 s33, 0x3020104
	s_mov_b64 s[14:15], 0
	s_and_saveexec_b64 s[12:13], vcc
	s_cbranch_execz .LBB322_316
; %bb.306:
	s_andn2_b64 vcc, exec, s[6:7]
	s_cbranch_vccnz .LBB322_315
; %bb.307:
	v_add_u32_e32 v17, -8, v30
	ds_read_b64 v[18:19], v17
	v_mov_b64_e32 v[20:21], s[28:29]
	s_mov_b64 s[14:15], -1
	s_waitcnt lgkmcnt(0)
	v_mul_lo_u32 v17, v18, s27
	v_mul_lo_u32 v22, v19, s26
	v_mad_u64_u32 v[18:19], s[6:7], v18, s26, v[20:21]
	v_add3_u32 v19, v22, v19, v17
	v_mad_u64_u32 v[20:21], s[6:7], v10, s26, v[20:21]
	v_mul_lo_u32 v17, v10, s27
	v_mul_lo_u32 v22, v11, s26
	v_add3_u32 v21, v22, v21, v17
	global_load_ubyte v17, v[18:19], off
	global_load_ubyte v22, v[20:21], off
	s_waitcnt vmcnt(0)
	v_cmp_eq_u16_e32 vcc, v17, v22
	s_and_saveexec_b64 s[6:7], vcc
	s_cbranch_execz .LBB322_314
; %bb.308:
	s_mov_b64 s[28:29], 1
	s_mov_b64 s[14:15], 0
                                        ; implicit-def: $sgpr18_sgpr19
	s_branch .LBB322_311
.LBB322_309:                            ;   in Loop: Header=BB322_311 Depth=1
	v_lshl_add_u64 v[22:23], v[18:19], 0, s[28:29]
	v_lshl_add_u64 v[34:35], v[20:21], 0, s[28:29]
	global_load_ubyte v17, v[22:23], off
	global_load_ubyte v30, v[34:35], off
	s_add_u32 s36, s28, 1
	s_addc_u32 s37, s29, 0
	s_andn2_b64 s[18:19], s[18:19], exec
	s_waitcnt vmcnt(0)
	v_cmp_ne_u16_e32 vcc, v17, v30
	s_and_b64 s[38:39], vcc, exec
	s_or_b64 s[18:19], s[18:19], s[38:39]
.LBB322_310:                            ;   in Loop: Header=BB322_311 Depth=1
	s_and_b64 s[38:39], exec, s[18:19]
	s_or_b64 s[14:15], s[38:39], s[14:15]
	v_mov_b64_e32 v[22:23], s[28:29]
	s_mov_b64 s[28:29], s[36:37]
	s_andn2_b64 exec, exec, s[14:15]
	s_cbranch_execz .LBB322_313
.LBB322_311:                            ; =>This Inner Loop Header: Depth=1
	s_or_b64 s[18:19], s[18:19], exec
	s_cmp_eq_u64 s[26:27], s[28:29]
	s_cbranch_scc0 .LBB322_309
; %bb.312:                              ;   in Loop: Header=BB322_311 Depth=1
                                        ; implicit-def: $sgpr36_sgpr37
	s_mov_b64 s[28:29], s[26:27]
	s_branch .LBB322_310
.LBB322_313:
	s_or_b64 exec, exec, s[14:15]
	v_cmp_gt_i64_e32 vcc, s[26:27], v[22:23]
	s_orn2_b64 s[14:15], vcc, exec
.LBB322_314:
	s_or_b64 exec, exec, s[6:7]
.LBB322_315:
	s_and_b64 s[14:15], s[14:15], exec
.LBB322_316:
	s_or_b64 exec, exec, s[12:13]
	v_perm_b32 v20, v16, v16, s33
	s_and_b64 s[18:19], s[14:15], exec
	s_or_b64 s[10:11], s[10:11], exec
                                        ; implicit-def: $vgpr16_vgpr17
.LBB322_317:
	s_or_b64 exec, exec, s[4:5]
.LBB322_318:
	s_and_saveexec_b64 s[4:5], s[10:11]
	s_cbranch_execz .LBB322_320
; %bb.319:
	v_lshlrev_b16_e32 v17, 8, v32
	s_waitcnt lgkmcnt(0)
	v_and_b32_e32 v18, 0xff, v33
	v_or_b32_sdwa v17, v31, v17 dst_sel:DWORD dst_unused:UNUSED_PAD src0_sel:BYTE_0 src1_sel:DWORD
	v_lshlrev_b32_e32 v18, 16, v18
	s_movk_i32 s6, 0xff
	v_or_b32_sdwa v17, v17, v18 dst_sel:DWORD dst_unused:UNUSED_PAD src0_sel:WORD_0 src1_sel:DWORD
	v_lshrrev_b32_e32 v18, 24, v20
	v_lshlrev_b16_e32 v18, 8, v18
	v_and_b32_sdwa v19, v20, s6 dst_sel:DWORD dst_unused:UNUSED_PAD src0_sel:WORD_1 src1_sel:DWORD
	v_or_b32_sdwa v18, v19, v18 dst_sel:WORD_1 dst_unused:UNUSED_PAD src0_sel:DWORD src1_sel:DWORD
	v_mov_b32_e32 v19, 8
	v_cndmask_b32_e64 v16, 0, 1, s[18:19]
	v_lshrrev_b32_sdwa v19, v19, v20 dst_sel:BYTE_1 dst_unused:UNUSED_PAD src0_sel:DWORD src1_sel:DWORD
	s_nop 0
	v_or_b32_e32 v16, v16, v19
	v_or_b32_sdwa v16, v16, v18 dst_sel:DWORD dst_unused:UNUSED_PAD src0_sel:WORD_0 src1_sel:DWORD
.LBB322_320:
	s_or_b64 exec, exec, s[4:5]
	s_andn2_b64 vcc, exec, s[8:9]
	s_cbranch_vccnz .LBB322_322
; %bb.321:
	s_waitcnt lgkmcnt(0)
	v_and_b32_e32 v18, 0xffff0000, v16
	v_cmp_gt_u32_e32 vcc, s3, v1
	s_mov_b32 s4, 0x40c0100
	s_nop 0
	v_cndmask_b32_e32 v1, v18, v16, vcc
	v_and_b32_e32 v1, 0xffff00ff, v1
	v_cmp_gt_u32_e32 vcc, s3, v25
	s_nop 1
	v_cndmask_b32_e32 v1, v1, v16, vcc
	v_lshrrev_b32_e32 v18, 24, v1
	v_perm_b32 v1, v18, v1, s4
	v_cmp_gt_u32_e32 vcc, s3, v24
	v_and_b32_e32 v18, 0xffffff00, v17
	s_nop 0
	v_cndmask_b32_e32 v1, v1, v16, vcc
	v_and_b32_e32 v1, 0xffffff, v1
	v_cmp_gt_u32_e32 vcc, s3, v28
	s_nop 1
	v_cndmask_b32_e32 v1, v1, v16, vcc
	v_cmp_gt_u32_e32 vcc, s3, v26
	s_nop 1
	v_cndmask_b32_e32 v18, v18, v17, vcc
	v_and_b32_e32 v18, 0xffff00ff, v18
	v_cndmask_b32_e32 v1, v1, v16, vcc
	v_cmp_gt_u32_e32 vcc, s3, v29
	s_nop 1
	v_cndmask_b32_e32 v18, v18, v17, vcc
	v_lshrrev_b32_e32 v19, 24, v18
	v_cndmask_b32_e32 v1, v1, v16, vcc
	v_perm_b32 v18, v19, v18, s4
	v_cmp_gt_u32_e32 vcc, s3, v27
	s_mov_b32 s3, 0x3020104
	s_nop 0
	v_cndmask_b32_e32 v1, v1, v16, vcc
	v_cndmask_b32_e32 v16, v18, v17, vcc
	v_mov_b32_e32 v17, 8
	v_lshrrev_b32_sdwa v17, v17, v16 dst_sel:BYTE_1 dst_unused:UNUSED_PAD src0_sel:DWORD src1_sel:DWORD
	s_nop 0
	v_or_b32_sdwa v17, v16, v17 dst_sel:DWORD dst_unused:UNUSED_PAD src0_sel:BYTE_0 src1_sel:DWORD
	v_and_b32_e32 v17, 0xffff, v17
	v_bfe_u32 v16, v16, 16, 8
	v_lshl_or_b32 v17, v16, 16, v17
	v_perm_b32 v16, v1, v1, s3
.LBB322_322:
	v_and_b32_e32 v1, 0xff, v16
	v_bfe_u32 v29, v16, 8, 8
	v_bfe_u32 v31, v16, 16, 8
	s_waitcnt lgkmcnt(0)
	v_alignbit_b32 v18, v17, v16, 24
	v_and_b32_e32 v33, 0xff, v18
	v_and_b32_e32 v35, 0xff, v17
	v_add3_u32 v19, v29, v1, v31
	v_bfe_u32 v36, v17, 8, 8
	v_bfe_u32 v18, v17, 16, 8
	v_add3_u32 v19, v19, v33, v35
	v_add3_u32 v39, v19, v36, v18
	v_mbcnt_lo_u32_b32 v18, -1, 0
	v_mbcnt_hi_u32_b32 v37, -1, v18
	v_and_b32_e32 v18, 15, v37
	v_cmp_eq_u32_e64 s[14:15], 0, v18
	v_cmp_lt_u32_e64 s[12:13], 1, v18
	v_cmp_lt_u32_e64 s[10:11], 3, v18
	;; [unrolled: 1-line block ×3, first 2 shown]
	v_and_b32_e32 v18, 16, v37
	v_cmp_eq_u32_e64 s[6:7], 0, v18
	v_or_b32_e32 v18, 63, v0
	v_cmp_lt_u32_e64 s[18:19], 31, v37
	v_lshrrev_b32_e32 v38, 6, v0
	v_cmp_eq_u32_e64 s[4:5], v18, v0
	s_and_b64 vcc, exec, s[16:17]
	s_barrier
	s_cbranch_vccz .LBB322_349
; %bb.323:
	v_mov_b32_dpp v18, v39 row_shr:1 row_mask:0xf bank_mask:0xf
	v_cndmask_b32_e64 v18, v18, 0, s[14:15]
	v_add_u32_e32 v18, v18, v39
	s_nop 1
	v_mov_b32_dpp v19, v18 row_shr:2 row_mask:0xf bank_mask:0xf
	v_cndmask_b32_e64 v19, 0, v19, s[12:13]
	v_add_u32_e32 v18, v18, v19
	s_nop 1
	;; [unrolled: 4-line block ×4, first 2 shown]
	v_mov_b32_dpp v19, v18 row_bcast:15 row_mask:0xf bank_mask:0xf
	v_cndmask_b32_e64 v19, v19, 0, s[6:7]
	v_add_u32_e32 v18, v18, v19
	s_nop 1
	v_mov_b32_dpp v19, v18 row_bcast:31 row_mask:0xf bank_mask:0xf
	v_cndmask_b32_e64 v19, 0, v19, s[18:19]
	v_add_u32_e32 v18, v18, v19
	s_and_saveexec_b64 s[16:17], s[4:5]
	s_cbranch_execz .LBB322_325
; %bb.324:
	v_lshlrev_b32_e32 v19, 2, v38
	ds_write_b32 v19, v18
.LBB322_325:
	s_or_b64 exec, exec, s[16:17]
	v_cmp_gt_u32_e32 vcc, 8, v0
	s_waitcnt lgkmcnt(0)
	s_barrier
	s_and_saveexec_b64 s[16:17], vcc
	s_cbranch_execz .LBB322_327
; %bb.326:
	v_lshlrev_b32_e32 v19, 2, v0
	ds_read_b32 v20, v19
	v_and_b32_e32 v21, 7, v37
	v_cmp_ne_u32_e32 vcc, 0, v21
	s_waitcnt lgkmcnt(0)
	v_mov_b32_dpp v22, v20 row_shr:1 row_mask:0xf bank_mask:0xf
	v_cndmask_b32_e32 v22, 0, v22, vcc
	v_add_u32_e32 v20, v22, v20
	v_cmp_lt_u32_e32 vcc, 1, v21
	s_nop 0
	v_mov_b32_dpp v22, v20 row_shr:2 row_mask:0xf bank_mask:0xf
	v_cndmask_b32_e32 v22, 0, v22, vcc
	v_add_u32_e32 v20, v20, v22
	v_cmp_lt_u32_e32 vcc, 3, v21
	s_nop 0
	v_mov_b32_dpp v22, v20 row_shr:4 row_mask:0xf bank_mask:0xf
	v_cndmask_b32_e32 v21, 0, v22, vcc
	v_add_u32_e32 v20, v20, v21
	ds_write_b32 v19, v20
.LBB322_327:
	s_or_b64 exec, exec, s[16:17]
	v_cmp_gt_u32_e32 vcc, 64, v0
	v_cmp_lt_u32_e64 s[16:17], 63, v0
	s_waitcnt lgkmcnt(0)
	s_barrier
	s_waitcnt lgkmcnt(0)
                                        ; implicit-def: $vgpr28
	s_and_saveexec_b64 s[26:27], s[16:17]
	s_cbranch_execz .LBB322_329
; %bb.328:
	v_lshl_add_u32 v19, v38, 2, -4
	ds_read_b32 v28, v19
	s_waitcnt lgkmcnt(0)
	v_add_u32_e32 v18, v28, v18
.LBB322_329:
	s_or_b64 exec, exec, s[26:27]
	v_add_u32_e32 v19, -1, v37
	v_and_b32_e32 v20, 64, v37
	v_cmp_lt_i32_e64 s[16:17], v19, v20
	s_nop 1
	v_cndmask_b32_e64 v19, v19, v37, s[16:17]
	v_lshlrev_b32_e32 v19, 2, v19
	ds_bpermute_b32 v30, v19, v18
	v_cmp_eq_u32_e64 s[16:17], 0, v37
	s_and_saveexec_b64 s[26:27], vcc
	s_cbranch_execz .LBB322_348
; %bb.330:
	v_mov_b32_e32 v25, 0
	ds_read_b32 v18, v25 offset:28
	s_and_saveexec_b64 s[28:29], s[16:17]
	s_cbranch_execz .LBB322_332
; %bb.331:
	s_add_i32 s36, s2, 64
	s_mov_b32 s37, 0
	s_lshl_b64 s[36:37], s[36:37], 3
	s_add_u32 s36, s30, s36
	v_mov_b32_e32 v19, 1
	s_addc_u32 s37, s31, s37
	s_waitcnt lgkmcnt(0)
	global_store_dwordx2 v25, v[18:19], s[36:37] sc1
.LBB322_332:
	s_or_b64 exec, exec, s[28:29]
	v_xad_u32 v20, v37, -1, s2
	v_add_u32_e32 v24, 64, v20
	v_lshl_add_u64 v[26:27], v[24:25], 3, s[30:31]
	global_load_dwordx2 v[22:23], v[26:27], off sc1
	s_waitcnt vmcnt(0)
	v_cmp_eq_u16_sdwa s[36:37], v23, v25 src0_sel:BYTE_0 src1_sel:DWORD
	s_and_saveexec_b64 s[28:29], s[36:37]
	s_cbranch_execz .LBB322_336
; %bb.333:
	s_mov_b64 s[36:37], 0
	v_mov_b32_e32 v19, 0
.LBB322_334:                            ; =>This Inner Loop Header: Depth=1
	global_load_dwordx2 v[22:23], v[26:27], off sc1
	s_waitcnt vmcnt(0)
	v_cmp_ne_u16_sdwa s[38:39], v23, v19 src0_sel:BYTE_0 src1_sel:DWORD
	s_or_b64 s[36:37], s[38:39], s[36:37]
	s_andn2_b64 exec, exec, s[36:37]
	s_cbranch_execnz .LBB322_334
; %bb.335:
	s_or_b64 exec, exec, s[36:37]
.LBB322_336:
	s_or_b64 exec, exec, s[28:29]
	v_and_b32_e32 v32, 63, v37
	v_mov_b32_e32 v19, 2
	v_cmp_ne_u32_e32 vcc, 63, v32
	v_cmp_eq_u16_sdwa s[28:29], v23, v19 src0_sel:BYTE_0 src1_sel:DWORD
	v_lshlrev_b64 v[24:25], v37, -1
	v_addc_co_u32_e32 v27, vcc, 0, v37, vcc
	v_and_b32_e32 v21, s29, v25
	v_lshlrev_b32_e32 v34, 2, v27
	v_or_b32_e32 v21, 0x80000000, v21
	ds_bpermute_b32 v27, v34, v22
	v_and_b32_e32 v26, s28, v24
	v_ffbl_b32_e32 v21, v21
	v_add_u32_e32 v21, 32, v21
	v_ffbl_b32_e32 v26, v26
	v_min_u32_e32 v21, v26, v21
	v_cmp_lt_u32_e32 vcc, v32, v21
	v_add_u32_e32 v41, 2, v32
	v_add_u32_e32 v43, 4, v32
	s_waitcnt lgkmcnt(0)
	v_cndmask_b32_e32 v26, 0, v27, vcc
	v_cmp_gt_u32_e32 vcc, 62, v32
	v_add_u32_e32 v22, v26, v22
	v_add_u32_e32 v45, 8, v32
	v_cndmask_b32_e64 v26, 0, 1, vcc
	v_lshlrev_b32_e32 v26, 1, v26
	v_add_lshl_u32 v40, v26, v37, 2
	ds_bpermute_b32 v26, v40, v22
	v_cmp_le_u32_e32 vcc, v41, v21
	v_add_u32_e32 v48, 16, v32
	v_add_u32_e32 v50, 32, v32
	s_waitcnt lgkmcnt(0)
	v_cndmask_b32_e32 v26, 0, v26, vcc
	v_cmp_gt_u32_e32 vcc, 60, v32
	v_add_u32_e32 v22, v22, v26
	s_nop 0
	v_cndmask_b32_e64 v26, 0, 1, vcc
	v_lshlrev_b32_e32 v26, 2, v26
	v_add_lshl_u32 v42, v26, v37, 2
	ds_bpermute_b32 v26, v42, v22
	v_cmp_le_u32_e32 vcc, v43, v21
	s_waitcnt lgkmcnt(0)
	s_nop 0
	v_cndmask_b32_e32 v26, 0, v26, vcc
	v_cmp_gt_u32_e32 vcc, 56, v32
	v_add_u32_e32 v22, v22, v26
	s_nop 0
	v_cndmask_b32_e64 v26, 0, 1, vcc
	v_lshlrev_b32_e32 v26, 3, v26
	v_add_lshl_u32 v44, v26, v37, 2
	ds_bpermute_b32 v26, v44, v22
	v_cmp_le_u32_e32 vcc, v45, v21
	s_waitcnt lgkmcnt(0)
	s_nop 0
	;; [unrolled: 11-line block ×4, first 2 shown]
	v_cndmask_b32_e32 v21, 0, v26, vcc
	v_add_u32_e32 v22, v22, v21
	v_mov_b32_e32 v21, 0
	s_branch .LBB322_338
.LBB322_337:                            ;   in Loop: Header=BB322_338 Depth=1
	s_or_b64 exec, exec, s[28:29]
	v_cmp_eq_u16_sdwa s[28:29], v23, v19 src0_sel:BYTE_0 src1_sel:DWORD
	ds_bpermute_b32 v51, v34, v22
	v_subrev_u32_e32 v20, 64, v20
	v_and_b32_e32 v26, s29, v25
	v_or_b32_e32 v26, 0x80000000, v26
	v_and_b32_e32 v27, s28, v24
	v_ffbl_b32_e32 v26, v26
	v_add_u32_e32 v26, 32, v26
	v_ffbl_b32_e32 v27, v27
	v_min_u32_e32 v26, v27, v26
	v_cmp_lt_u32_e32 vcc, v32, v26
	s_waitcnt lgkmcnt(0)
	s_nop 0
	v_cndmask_b32_e32 v27, 0, v51, vcc
	v_add_u32_e32 v22, v27, v22
	ds_bpermute_b32 v27, v40, v22
	v_cmp_le_u32_e32 vcc, v41, v26
	s_waitcnt lgkmcnt(0)
	s_nop 0
	v_cndmask_b32_e32 v27, 0, v27, vcc
	v_add_u32_e32 v22, v22, v27
	ds_bpermute_b32 v27, v42, v22
	v_cmp_le_u32_e32 vcc, v43, v26
	;; [unrolled: 6-line block ×5, first 2 shown]
	s_waitcnt lgkmcnt(0)
	s_nop 0
	v_cndmask_b32_e32 v26, 0, v27, vcc
	v_add3_u32 v22, v26, v46, v22
.LBB322_338:                            ; =>This Loop Header: Depth=1
                                        ;     Child Loop BB322_341 Depth 2
	v_cmp_ne_u16_sdwa s[28:29], v23, v19 src0_sel:BYTE_0 src1_sel:DWORD
	v_mov_b32_e32 v46, v22
	s_nop 0
	v_cndmask_b32_e64 v23, 0, 1, s[28:29]
	;;#ASMSTART
	;;#ASMEND
	s_nop 0
	v_cmp_ne_u32_e32 vcc, 0, v23
	s_cmp_lg_u64 vcc, exec
	s_cbranch_scc1 .LBB322_343
; %bb.339:                              ;   in Loop: Header=BB322_338 Depth=1
	v_lshl_add_u64 v[26:27], v[20:21], 3, s[30:31]
	global_load_dwordx2 v[22:23], v[26:27], off sc1
	s_waitcnt vmcnt(0)
	v_cmp_eq_u16_sdwa s[36:37], v23, v21 src0_sel:BYTE_0 src1_sel:DWORD
	s_and_saveexec_b64 s[28:29], s[36:37]
	s_cbranch_execz .LBB322_337
; %bb.340:                              ;   in Loop: Header=BB322_338 Depth=1
	s_mov_b64 s[36:37], 0
.LBB322_341:                            ;   Parent Loop BB322_338 Depth=1
                                        ; =>  This Inner Loop Header: Depth=2
	global_load_dwordx2 v[22:23], v[26:27], off sc1
	s_waitcnt vmcnt(0)
	v_cmp_ne_u16_sdwa s[38:39], v23, v21 src0_sel:BYTE_0 src1_sel:DWORD
	s_or_b64 s[36:37], s[38:39], s[36:37]
	s_andn2_b64 exec, exec, s[36:37]
	s_cbranch_execnz .LBB322_341
; %bb.342:                              ;   in Loop: Header=BB322_338 Depth=1
	s_or_b64 exec, exec, s[36:37]
	s_branch .LBB322_337
.LBB322_343:                            ;   in Loop: Header=BB322_338 Depth=1
                                        ; implicit-def: $vgpr22
                                        ; implicit-def: $vgpr23
	s_cbranch_execz .LBB322_338
; %bb.344:
	s_and_saveexec_b64 s[28:29], s[16:17]
	s_cbranch_execz .LBB322_346
; %bb.345:
	s_add_i32 s2, s2, 64
	s_mov_b32 s3, 0
	s_lshl_b64 s[2:3], s[2:3], 3
	s_add_u32 s2, s30, s2
	v_add_u32_e32 v20, v46, v18
	v_mov_b32_e32 v21, 2
	s_addc_u32 s3, s31, s3
	v_mov_b32_e32 v19, 0
	global_store_dwordx2 v19, v[20:21], s[2:3] sc1
	s_movk_i32 s2, 0x7000
	v_add_u32_e64 v19, s2, 0
	ds_write2_b32 v19, v18, v46 offset1:2
.LBB322_346:
	s_or_b64 exec, exec, s[28:29]
	v_cmp_eq_u32_e32 vcc, 0, v0
	s_and_b64 exec, exec, vcc
	s_cbranch_execz .LBB322_348
; %bb.347:
	v_mov_b32_e32 v18, 0
	ds_write_b32 v18, v46 offset:28
.LBB322_348:
	s_or_b64 exec, exec, s[26:27]
	v_mov_b32_e32 v18, 0
	s_waitcnt lgkmcnt(0)
	s_barrier
	ds_read_b32 v18, v18 offset:28
	v_cndmask_b32_e64 v19, v30, v28, s[16:17]
	v_cmp_ne_u32_e32 vcc, 0, v0
	s_movk_i32 s2, 0x7000
	s_waitcnt lgkmcnt(0)
	v_cndmask_b32_e32 v19, 0, v19, vcc
	v_add_u32_e32 v34, v18, v19
	v_add_u32_e32 v32, v34, v1
	v_add_u32_e64 v18, s2, 0
	v_add_u32_e32 v30, v32, v29
	s_barrier
	ds_read2_b32 v[18:19], v18 offset1:2
	v_add_u32_e32 v28, v30, v31
	v_add_u32_e32 v26, v28, v33
	;; [unrolled: 1-line block ×4, first 2 shown]
	s_load_dwordx2 s[2:3], s[0:1], 0x28
	v_lshrrev_b64 v[20:21], 24, v[16:17]
	s_branch .LBB322_359
.LBB322_349:
                                        ; implicit-def: $vgpr22
                                        ; implicit-def: $vgpr24
                                        ; implicit-def: $vgpr26
                                        ; implicit-def: $vgpr28
                                        ; implicit-def: $vgpr30
                                        ; implicit-def: $vgpr32
                                        ; implicit-def: $vgpr34
                                        ; implicit-def: $vgpr19
	s_load_dwordx2 s[2:3], s[0:1], 0x28
	v_lshrrev_b64 v[20:21], 24, v[16:17]
	s_cbranch_execz .LBB322_359
; %bb.350:
	s_waitcnt lgkmcnt(0)
	v_mov_b32_dpp v18, v39 row_shr:1 row_mask:0xf bank_mask:0xf
	v_cndmask_b32_e64 v18, v18, 0, s[14:15]
	v_add_u32_e32 v18, v18, v39
	s_nop 1
	v_mov_b32_dpp v19, v18 row_shr:2 row_mask:0xf bank_mask:0xf
	v_cndmask_b32_e64 v19, 0, v19, s[12:13]
	v_add_u32_e32 v18, v18, v19
	s_nop 1
	;; [unrolled: 4-line block ×4, first 2 shown]
	v_mov_b32_dpp v19, v18 row_bcast:15 row_mask:0xf bank_mask:0xf
	v_cndmask_b32_e64 v19, v19, 0, s[6:7]
	v_add_u32_e32 v18, v18, v19
	s_nop 1
	v_mov_b32_dpp v19, v18 row_bcast:31 row_mask:0xf bank_mask:0xf
	v_cndmask_b32_e64 v19, 0, v19, s[18:19]
	v_add_u32_e32 v18, v18, v19
	s_and_saveexec_b64 s[0:1], s[4:5]
	s_cbranch_execz .LBB322_352
; %bb.351:
	v_lshlrev_b32_e32 v19, 2, v38
	ds_write_b32 v19, v18
.LBB322_352:
	s_or_b64 exec, exec, s[0:1]
	v_cmp_gt_u32_e32 vcc, 8, v0
	s_waitcnt lgkmcnt(0)
	s_barrier
	s_and_saveexec_b64 s[0:1], vcc
	s_cbranch_execz .LBB322_354
; %bb.353:
	v_lshlrev_b32_e32 v19, 2, v0
	ds_read_b32 v21, v19
	v_and_b32_e32 v22, 7, v37
	v_cmp_ne_u32_e32 vcc, 0, v22
	s_waitcnt lgkmcnt(0)
	v_mov_b32_dpp v23, v21 row_shr:1 row_mask:0xf bank_mask:0xf
	v_cndmask_b32_e32 v23, 0, v23, vcc
	v_add_u32_e32 v21, v23, v21
	v_cmp_lt_u32_e32 vcc, 1, v22
	s_nop 0
	v_mov_b32_dpp v23, v21 row_shr:2 row_mask:0xf bank_mask:0xf
	v_cndmask_b32_e32 v23, 0, v23, vcc
	v_add_u32_e32 v21, v21, v23
	v_cmp_lt_u32_e32 vcc, 3, v22
	s_nop 0
	v_mov_b32_dpp v23, v21 row_shr:4 row_mask:0xf bank_mask:0xf
	v_cndmask_b32_e32 v22, 0, v23, vcc
	v_add_u32_e32 v21, v21, v22
	ds_write_b32 v19, v21
.LBB322_354:
	s_or_b64 exec, exec, s[0:1]
	v_cmp_lt_u32_e32 vcc, 63, v0
	v_mov_b32_e32 v19, 0
	v_mov_b32_e32 v21, 0
	s_waitcnt lgkmcnt(0)
	s_barrier
	s_and_saveexec_b64 s[0:1], vcc
	s_cbranch_execz .LBB322_356
; %bb.355:
	v_lshl_add_u32 v21, v38, 2, -4
	ds_read_b32 v21, v21
.LBB322_356:
	s_or_b64 exec, exec, s[0:1]
	v_add_u32_e32 v22, -1, v37
	v_and_b32_e32 v23, 64, v37
	v_cmp_lt_i32_e32 vcc, v22, v23
	s_waitcnt lgkmcnt(0)
	v_add_u32_e32 v18, v21, v18
	v_cndmask_b32_e32 v22, v22, v37, vcc
	v_lshlrev_b32_e32 v22, 2, v22
	ds_bpermute_b32 v22, v22, v18
	ds_read_b32 v18, v19 offset:28
	v_cmp_eq_u32_e32 vcc, 0, v0
	s_and_saveexec_b64 s[0:1], vcc
	s_cbranch_execz .LBB322_358
; %bb.357:
	v_mov_b32_e32 v23, 0
	v_mov_b32_e32 v19, 2
	s_waitcnt lgkmcnt(0)
	global_store_dwordx2 v23, v[18:19], s[30:31] offset:512 sc1
.LBB322_358:
	s_or_b64 exec, exec, s[0:1]
	v_cmp_eq_u32_e64 s[0:1], 0, v37
	v_mov_b32_e32 v19, 0
	s_waitcnt lgkmcnt(0)
	v_cndmask_b32_e64 v21, v22, v21, s[0:1]
	v_cndmask_b32_e64 v34, v21, 0, vcc
	v_add_u32_e32 v32, v34, v1
	v_add_u32_e32 v30, v32, v29
	;; [unrolled: 1-line block ×6, first 2 shown]
	s_barrier
.LBB322_359:
	s_movk_i32 s0, 0x201
	s_waitcnt lgkmcnt(0)
	v_cmp_gt_u32_e32 vcc, s0, v18
	v_lshrrev_b32_e32 v21, 8, v16
	v_lshrrev_b32_e32 v1, 8, v17
	s_mov_b64 s[0:1], -1
	s_cbranch_vccnz .LBB322_363
; %bb.360:
	s_and_b64 vcc, exec, s[0:1]
	s_cbranch_vccnz .LBB322_385
.LBB322_361:
	v_cmp_eq_u32_e32 vcc, 0, v0
	s_and_b64 s[0:1], vcc, s[24:25]
	s_and_saveexec_b64 s[2:3], s[0:1]
	s_cbranch_execnz .LBB322_403
.LBB322_362:
	s_endpgm
.LBB322_363:
	v_add_u32_e32 v23, v19, v18
	v_cmp_lt_u32_e32 vcc, v34, v23
	s_or_b64 s[4:5], s[34:35], vcc
	s_and_saveexec_b64 s[0:1], s[4:5]
	s_cbranch_execz .LBB322_366
; %bb.364:
	v_and_b32_e32 v25, 1, v16
	v_cmp_eq_u32_e32 vcc, 1, v25
	s_and_b64 exec, exec, vcc
	s_cbranch_execz .LBB322_366
; %bb.365:
	s_lshl_b64 s[4:5], s[22:23], 3
	s_add_u32 s4, s2, s4
	s_addc_u32 s5, s3, s5
	v_mov_b32_e32 v35, 0
	v_lshl_add_u64 v[36:37], v[34:35], 3, s[4:5]
	global_store_dwordx2 v[36:37], v[10:11], off
.LBB322_366:
	s_or_b64 exec, exec, s[0:1]
	v_cmp_lt_u32_e32 vcc, v32, v23
	s_or_b64 s[4:5], s[34:35], vcc
	s_and_saveexec_b64 s[0:1], s[4:5]
	s_cbranch_execz .LBB322_369
; %bb.367:
	v_and_b32_e32 v25, 1, v21
	v_cmp_eq_u32_e32 vcc, 1, v25
	s_and_b64 exec, exec, vcc
	s_cbranch_execz .LBB322_369
; %bb.368:
	s_lshl_b64 s[4:5], s[22:23], 3
	s_add_u32 s4, s2, s4
	s_addc_u32 s5, s3, s5
	v_mov_b32_e32 v33, 0
	v_lshl_add_u64 v[36:37], v[32:33], 3, s[4:5]
	global_store_dwordx2 v[36:37], v[12:13], off
.LBB322_369:
	s_or_b64 exec, exec, s[0:1]
	v_cmp_lt_u32_e32 vcc, v30, v23
	s_or_b64 s[4:5], s[34:35], vcc
	s_and_saveexec_b64 s[0:1], s[4:5]
	s_cbranch_execz .LBB322_372
; %bb.370:
	v_mov_b32_e32 v25, 1
	v_and_b32_sdwa v25, v25, v16 dst_sel:DWORD dst_unused:UNUSED_PAD src0_sel:DWORD src1_sel:WORD_1
	v_cmp_eq_u32_e32 vcc, 1, v25
	s_and_b64 exec, exec, vcc
	s_cbranch_execz .LBB322_372
; %bb.371:
	s_lshl_b64 s[4:5], s[22:23], 3
	s_add_u32 s4, s2, s4
	s_addc_u32 s5, s3, s5
	v_mov_b32_e32 v31, 0
	v_lshl_add_u64 v[36:37], v[30:31], 3, s[4:5]
	global_store_dwordx2 v[36:37], v[6:7], off
.LBB322_372:
	s_or_b64 exec, exec, s[0:1]
	v_cmp_lt_u32_e32 vcc, v28, v23
	s_or_b64 s[4:5], s[34:35], vcc
	s_and_saveexec_b64 s[0:1], s[4:5]
	s_cbranch_execz .LBB322_375
; %bb.373:
	v_and_b32_e32 v25, 1, v20
	v_cmp_eq_u32_e32 vcc, 1, v25
	s_and_b64 exec, exec, vcc
	s_cbranch_execz .LBB322_375
; %bb.374:
	s_lshl_b64 s[4:5], s[22:23], 3
	s_add_u32 s4, s2, s4
	s_addc_u32 s5, s3, s5
	v_mov_b32_e32 v29, 0
	v_lshl_add_u64 v[36:37], v[28:29], 3, s[4:5]
	global_store_dwordx2 v[36:37], v[8:9], off
.LBB322_375:
	s_or_b64 exec, exec, s[0:1]
	v_cmp_lt_u32_e32 vcc, v26, v23
	s_or_b64 s[4:5], s[34:35], vcc
	s_and_saveexec_b64 s[0:1], s[4:5]
	s_cbranch_execz .LBB322_378
; %bb.376:
	v_and_b32_e32 v25, 1, v17
	v_cmp_eq_u32_e32 vcc, 1, v25
	s_and_b64 exec, exec, vcc
	s_cbranch_execz .LBB322_378
; %bb.377:
	s_lshl_b64 s[4:5], s[22:23], 3
	s_add_u32 s4, s2, s4
	s_addc_u32 s5, s3, s5
	v_mov_b32_e32 v27, 0
	v_lshl_add_u64 v[36:37], v[26:27], 3, s[4:5]
	global_store_dwordx2 v[36:37], v[2:3], off
.LBB322_378:
	;; [unrolled: 18-line block ×3, first 2 shown]
	s_or_b64 exec, exec, s[0:1]
	v_cmp_lt_u32_e32 vcc, v22, v23
	s_or_b64 s[4:5], s[34:35], vcc
	s_and_saveexec_b64 s[0:1], s[4:5]
	s_cbranch_execz .LBB322_384
; %bb.382:
	v_mov_b32_e32 v23, 1
	v_and_b32_sdwa v23, v23, v17 dst_sel:DWORD dst_unused:UNUSED_PAD src0_sel:DWORD src1_sel:WORD_1
	v_cmp_eq_u32_e32 vcc, 1, v23
	s_and_b64 exec, exec, vcc
	s_cbranch_execz .LBB322_384
; %bb.383:
	s_lshl_b64 s[4:5], s[22:23], 3
	s_add_u32 s4, s2, s4
	s_addc_u32 s5, s3, s5
	v_mov_b32_e32 v23, 0
	v_lshl_add_u64 v[36:37], v[22:23], 3, s[4:5]
	global_store_dwordx2 v[36:37], v[14:15], off
.LBB322_384:
	s_or_b64 exec, exec, s[0:1]
	s_branch .LBB322_361
.LBB322_385:
	v_and_b32_e32 v23, 1, v16
	v_cmp_eq_u32_e32 vcc, 1, v23
	s_and_saveexec_b64 s[0:1], vcc
	s_cbranch_execz .LBB322_387
; %bb.386:
	v_sub_u32_e32 v23, v34, v19
	v_lshlrev_b32_e32 v23, 3, v23
	ds_write_b64 v23, v[10:11]
.LBB322_387:
	s_or_b64 exec, exec, s[0:1]
	v_and_b32_e32 v10, 1, v21
	v_cmp_eq_u32_e32 vcc, 1, v10
	s_and_saveexec_b64 s[0:1], vcc
	s_cbranch_execz .LBB322_389
; %bb.388:
	v_sub_u32_e32 v10, v32, v19
	v_lshlrev_b32_e32 v10, 3, v10
	ds_write_b64 v10, v[12:13]
.LBB322_389:
	s_or_b64 exec, exec, s[0:1]
	v_mov_b32_e32 v10, 1
	v_and_b32_sdwa v10, v10, v16 dst_sel:DWORD dst_unused:UNUSED_PAD src0_sel:DWORD src1_sel:WORD_1
	v_cmp_eq_u32_e32 vcc, 1, v10
	s_and_saveexec_b64 s[0:1], vcc
	s_cbranch_execz .LBB322_391
; %bb.390:
	v_sub_u32_e32 v10, v30, v19
	v_lshlrev_b32_e32 v10, 3, v10
	ds_write_b64 v10, v[6:7]
.LBB322_391:
	s_or_b64 exec, exec, s[0:1]
	v_and_b32_e32 v6, 1, v20
	v_cmp_eq_u32_e32 vcc, 1, v6
	s_and_saveexec_b64 s[0:1], vcc
	s_cbranch_execz .LBB322_393
; %bb.392:
	v_sub_u32_e32 v6, v28, v19
	v_lshlrev_b32_e32 v6, 3, v6
	ds_write_b64 v6, v[8:9]
.LBB322_393:
	s_or_b64 exec, exec, s[0:1]
	v_and_b32_e32 v6, 1, v17
	;; [unrolled: 10-line block ×3, first 2 shown]
	v_cmp_eq_u32_e32 vcc, 1, v1
	s_and_saveexec_b64 s[0:1], vcc
	s_cbranch_execz .LBB322_397
; %bb.396:
	v_sub_u32_e32 v1, v24, v19
	v_lshlrev_b32_e32 v1, 3, v1
	ds_write_b64 v1, v[4:5]
.LBB322_397:
	s_or_b64 exec, exec, s[0:1]
	v_mov_b32_e32 v1, 1
	v_and_b32_sdwa v1, v1, v17 dst_sel:DWORD dst_unused:UNUSED_PAD src0_sel:DWORD src1_sel:WORD_1
	v_cmp_eq_u32_e32 vcc, 1, v1
	s_and_saveexec_b64 s[0:1], vcc
	s_cbranch_execz .LBB322_399
; %bb.398:
	v_sub_u32_e32 v1, v22, v19
	v_lshlrev_b32_e32 v1, 3, v1
	ds_write_b64 v1, v[14:15]
.LBB322_399:
	s_or_b64 exec, exec, s[0:1]
	v_cmp_lt_u32_e32 vcc, v0, v18
	s_waitcnt lgkmcnt(0)
	s_barrier
	s_and_saveexec_b64 s[0:1], vcc
	s_cbranch_execz .LBB322_402
; %bb.400:
	v_mov_b32_e32 v5, 0
	v_mov_b32_e32 v4, v19
	s_lshl_b64 s[4:5], s[22:23], 3
	v_lshlrev_b64 v[6:7], 3, v[4:5]
	v_lshl_add_u64 v[6:7], s[4:5], 0, v[6:7]
	v_lshlrev_b32_e32 v2, 3, v0
	v_mov_b32_e32 v3, v5
	v_lshl_add_u64 v[4:5], s[2:3], 0, v[6:7]
	v_lshl_add_u64 v[4:5], v[4:5], 0, v[2:3]
	s_mov_b64 s[2:3], 0
	s_mov_b64 s[4:5], 0x1000
	v_mov_b32_e32 v1, v0
.LBB322_401:                            ; =>This Inner Loop Header: Depth=1
	ds_read_b64 v[6:7], v2
	v_add_u32_e32 v1, 0x200, v1
	v_cmp_ge_u32_e32 vcc, v1, v18
	v_add_u32_e32 v2, 0x1000, v2
	s_or_b64 s[2:3], vcc, s[2:3]
	s_waitcnt lgkmcnt(0)
	global_store_dwordx2 v[4:5], v[6:7], off
	v_lshl_add_u64 v[4:5], v[4:5], 0, s[4:5]
	s_andn2_b64 exec, exec, s[2:3]
	s_cbranch_execnz .LBB322_401
.LBB322_402:
	s_or_b64 exec, exec, s[0:1]
	v_cmp_eq_u32_e32 vcc, 0, v0
	s_and_b64 s[0:1], vcc, s[24:25]
	s_and_saveexec_b64 s[2:3], s[0:1]
	s_cbranch_execz .LBB322_362
.LBB322_403:
	v_mov_b32_e32 v1, 0
	v_mov_b32_e32 v0, v18
	v_lshl_add_u64 v[2:3], s[22:23], 0, v[0:1]
	v_mov_b32_e32 v0, v19
	v_lshl_add_u64 v[2:3], v[2:3], 0, v[0:1]
	global_store_dwordx2 v1, v[2:3], s[20:21]
	s_endpgm
	.section	.rodata,"a",@progbits
	.p2align	6, 0x0
	.amdhsa_kernel _ZN7rocprim17ROCPRIM_400000_NS6detail17trampoline_kernelINS0_14default_configENS1_25partition_config_selectorILNS1_17partition_subalgoE8ElNS0_10empty_typeEbEEZZNS1_14partition_implILS5_8ELb0ES3_jPlPS6_PKS6_NS0_5tupleIJS9_S6_EEENSD_IJSA_SA_EEENS0_18inequality_wrapperIZN2at6native12_GLOBAL__N_124unique_dim_cuda_templateIaEESt5tupleIJNSH_6TensorESM_SM_EERKSM_lbbbEUlllE0_EEPmJS6_EEE10hipError_tPvRmT3_T4_T5_T6_T7_T9_mT8_P12ihipStream_tbDpT10_ENKUlT_T0_E_clISt17integral_constantIbLb0EES1C_EEDaS17_S18_EUlS17_E_NS1_11comp_targetILNS1_3genE5ELNS1_11target_archE942ELNS1_3gpuE9ELNS1_3repE0EEENS1_30default_config_static_selectorELNS0_4arch9wavefront6targetE1EEEvT1_
		.amdhsa_group_segment_fixed_size 28684
		.amdhsa_private_segment_fixed_size 0
		.amdhsa_kernarg_size 120
		.amdhsa_user_sgpr_count 2
		.amdhsa_user_sgpr_dispatch_ptr 0
		.amdhsa_user_sgpr_queue_ptr 0
		.amdhsa_user_sgpr_kernarg_segment_ptr 1
		.amdhsa_user_sgpr_dispatch_id 0
		.amdhsa_user_sgpr_kernarg_preload_length 0
		.amdhsa_user_sgpr_kernarg_preload_offset 0
		.amdhsa_user_sgpr_private_segment_size 0
		.amdhsa_uses_dynamic_stack 0
		.amdhsa_enable_private_segment 0
		.amdhsa_system_sgpr_workgroup_id_x 1
		.amdhsa_system_sgpr_workgroup_id_y 0
		.amdhsa_system_sgpr_workgroup_id_z 0
		.amdhsa_system_sgpr_workgroup_info 0
		.amdhsa_system_vgpr_workitem_id 0
		.amdhsa_next_free_vgpr 52
		.amdhsa_next_free_sgpr 52
		.amdhsa_accum_offset 52
		.amdhsa_reserve_vcc 1
		.amdhsa_float_round_mode_32 0
		.amdhsa_float_round_mode_16_64 0
		.amdhsa_float_denorm_mode_32 3
		.amdhsa_float_denorm_mode_16_64 3
		.amdhsa_dx10_clamp 1
		.amdhsa_ieee_mode 1
		.amdhsa_fp16_overflow 0
		.amdhsa_tg_split 0
		.amdhsa_exception_fp_ieee_invalid_op 0
		.amdhsa_exception_fp_denorm_src 0
		.amdhsa_exception_fp_ieee_div_zero 0
		.amdhsa_exception_fp_ieee_overflow 0
		.amdhsa_exception_fp_ieee_underflow 0
		.amdhsa_exception_fp_ieee_inexact 0
		.amdhsa_exception_int_div_zero 0
	.end_amdhsa_kernel
	.section	.text._ZN7rocprim17ROCPRIM_400000_NS6detail17trampoline_kernelINS0_14default_configENS1_25partition_config_selectorILNS1_17partition_subalgoE8ElNS0_10empty_typeEbEEZZNS1_14partition_implILS5_8ELb0ES3_jPlPS6_PKS6_NS0_5tupleIJS9_S6_EEENSD_IJSA_SA_EEENS0_18inequality_wrapperIZN2at6native12_GLOBAL__N_124unique_dim_cuda_templateIaEESt5tupleIJNSH_6TensorESM_SM_EERKSM_lbbbEUlllE0_EEPmJS6_EEE10hipError_tPvRmT3_T4_T5_T6_T7_T9_mT8_P12ihipStream_tbDpT10_ENKUlT_T0_E_clISt17integral_constantIbLb0EES1C_EEDaS17_S18_EUlS17_E_NS1_11comp_targetILNS1_3genE5ELNS1_11target_archE942ELNS1_3gpuE9ELNS1_3repE0EEENS1_30default_config_static_selectorELNS0_4arch9wavefront6targetE1EEEvT1_,"axG",@progbits,_ZN7rocprim17ROCPRIM_400000_NS6detail17trampoline_kernelINS0_14default_configENS1_25partition_config_selectorILNS1_17partition_subalgoE8ElNS0_10empty_typeEbEEZZNS1_14partition_implILS5_8ELb0ES3_jPlPS6_PKS6_NS0_5tupleIJS9_S6_EEENSD_IJSA_SA_EEENS0_18inequality_wrapperIZN2at6native12_GLOBAL__N_124unique_dim_cuda_templateIaEESt5tupleIJNSH_6TensorESM_SM_EERKSM_lbbbEUlllE0_EEPmJS6_EEE10hipError_tPvRmT3_T4_T5_T6_T7_T9_mT8_P12ihipStream_tbDpT10_ENKUlT_T0_E_clISt17integral_constantIbLb0EES1C_EEDaS17_S18_EUlS17_E_NS1_11comp_targetILNS1_3genE5ELNS1_11target_archE942ELNS1_3gpuE9ELNS1_3repE0EEENS1_30default_config_static_selectorELNS0_4arch9wavefront6targetE1EEEvT1_,comdat
.Lfunc_end322:
	.size	_ZN7rocprim17ROCPRIM_400000_NS6detail17trampoline_kernelINS0_14default_configENS1_25partition_config_selectorILNS1_17partition_subalgoE8ElNS0_10empty_typeEbEEZZNS1_14partition_implILS5_8ELb0ES3_jPlPS6_PKS6_NS0_5tupleIJS9_S6_EEENSD_IJSA_SA_EEENS0_18inequality_wrapperIZN2at6native12_GLOBAL__N_124unique_dim_cuda_templateIaEESt5tupleIJNSH_6TensorESM_SM_EERKSM_lbbbEUlllE0_EEPmJS6_EEE10hipError_tPvRmT3_T4_T5_T6_T7_T9_mT8_P12ihipStream_tbDpT10_ENKUlT_T0_E_clISt17integral_constantIbLb0EES1C_EEDaS17_S18_EUlS17_E_NS1_11comp_targetILNS1_3genE5ELNS1_11target_archE942ELNS1_3gpuE9ELNS1_3repE0EEENS1_30default_config_static_selectorELNS0_4arch9wavefront6targetE1EEEvT1_, .Lfunc_end322-_ZN7rocprim17ROCPRIM_400000_NS6detail17trampoline_kernelINS0_14default_configENS1_25partition_config_selectorILNS1_17partition_subalgoE8ElNS0_10empty_typeEbEEZZNS1_14partition_implILS5_8ELb0ES3_jPlPS6_PKS6_NS0_5tupleIJS9_S6_EEENSD_IJSA_SA_EEENS0_18inequality_wrapperIZN2at6native12_GLOBAL__N_124unique_dim_cuda_templateIaEESt5tupleIJNSH_6TensorESM_SM_EERKSM_lbbbEUlllE0_EEPmJS6_EEE10hipError_tPvRmT3_T4_T5_T6_T7_T9_mT8_P12ihipStream_tbDpT10_ENKUlT_T0_E_clISt17integral_constantIbLb0EES1C_EEDaS17_S18_EUlS17_E_NS1_11comp_targetILNS1_3genE5ELNS1_11target_archE942ELNS1_3gpuE9ELNS1_3repE0EEENS1_30default_config_static_selectorELNS0_4arch9wavefront6targetE1EEEvT1_
                                        ; -- End function
	.section	.AMDGPU.csdata,"",@progbits
; Kernel info:
; codeLenInByte = 12072
; NumSgprs: 58
; NumVgprs: 52
; NumAgprs: 0
; TotalNumVgprs: 52
; ScratchSize: 0
; MemoryBound: 0
; FloatMode: 240
; IeeeMode: 1
; LDSByteSize: 28684 bytes/workgroup (compile time only)
; SGPRBlocks: 7
; VGPRBlocks: 6
; NumSGPRsForWavesPerEU: 58
; NumVGPRsForWavesPerEU: 52
; AccumOffset: 52
; Occupancy: 4
; WaveLimiterHint : 1
; COMPUTE_PGM_RSRC2:SCRATCH_EN: 0
; COMPUTE_PGM_RSRC2:USER_SGPR: 2
; COMPUTE_PGM_RSRC2:TRAP_HANDLER: 0
; COMPUTE_PGM_RSRC2:TGID_X_EN: 1
; COMPUTE_PGM_RSRC2:TGID_Y_EN: 0
; COMPUTE_PGM_RSRC2:TGID_Z_EN: 0
; COMPUTE_PGM_RSRC2:TIDIG_COMP_CNT: 0
; COMPUTE_PGM_RSRC3_GFX90A:ACCUM_OFFSET: 12
; COMPUTE_PGM_RSRC3_GFX90A:TG_SPLIT: 0
	.section	.text._ZN7rocprim17ROCPRIM_400000_NS6detail17trampoline_kernelINS0_14default_configENS1_25partition_config_selectorILNS1_17partition_subalgoE8ElNS0_10empty_typeEbEEZZNS1_14partition_implILS5_8ELb0ES3_jPlPS6_PKS6_NS0_5tupleIJS9_S6_EEENSD_IJSA_SA_EEENS0_18inequality_wrapperIZN2at6native12_GLOBAL__N_124unique_dim_cuda_templateIaEESt5tupleIJNSH_6TensorESM_SM_EERKSM_lbbbEUlllE0_EEPmJS6_EEE10hipError_tPvRmT3_T4_T5_T6_T7_T9_mT8_P12ihipStream_tbDpT10_ENKUlT_T0_E_clISt17integral_constantIbLb0EES1C_EEDaS17_S18_EUlS17_E_NS1_11comp_targetILNS1_3genE4ELNS1_11target_archE910ELNS1_3gpuE8ELNS1_3repE0EEENS1_30default_config_static_selectorELNS0_4arch9wavefront6targetE1EEEvT1_,"axG",@progbits,_ZN7rocprim17ROCPRIM_400000_NS6detail17trampoline_kernelINS0_14default_configENS1_25partition_config_selectorILNS1_17partition_subalgoE8ElNS0_10empty_typeEbEEZZNS1_14partition_implILS5_8ELb0ES3_jPlPS6_PKS6_NS0_5tupleIJS9_S6_EEENSD_IJSA_SA_EEENS0_18inequality_wrapperIZN2at6native12_GLOBAL__N_124unique_dim_cuda_templateIaEESt5tupleIJNSH_6TensorESM_SM_EERKSM_lbbbEUlllE0_EEPmJS6_EEE10hipError_tPvRmT3_T4_T5_T6_T7_T9_mT8_P12ihipStream_tbDpT10_ENKUlT_T0_E_clISt17integral_constantIbLb0EES1C_EEDaS17_S18_EUlS17_E_NS1_11comp_targetILNS1_3genE4ELNS1_11target_archE910ELNS1_3gpuE8ELNS1_3repE0EEENS1_30default_config_static_selectorELNS0_4arch9wavefront6targetE1EEEvT1_,comdat
	.globl	_ZN7rocprim17ROCPRIM_400000_NS6detail17trampoline_kernelINS0_14default_configENS1_25partition_config_selectorILNS1_17partition_subalgoE8ElNS0_10empty_typeEbEEZZNS1_14partition_implILS5_8ELb0ES3_jPlPS6_PKS6_NS0_5tupleIJS9_S6_EEENSD_IJSA_SA_EEENS0_18inequality_wrapperIZN2at6native12_GLOBAL__N_124unique_dim_cuda_templateIaEESt5tupleIJNSH_6TensorESM_SM_EERKSM_lbbbEUlllE0_EEPmJS6_EEE10hipError_tPvRmT3_T4_T5_T6_T7_T9_mT8_P12ihipStream_tbDpT10_ENKUlT_T0_E_clISt17integral_constantIbLb0EES1C_EEDaS17_S18_EUlS17_E_NS1_11comp_targetILNS1_3genE4ELNS1_11target_archE910ELNS1_3gpuE8ELNS1_3repE0EEENS1_30default_config_static_selectorELNS0_4arch9wavefront6targetE1EEEvT1_ ; -- Begin function _ZN7rocprim17ROCPRIM_400000_NS6detail17trampoline_kernelINS0_14default_configENS1_25partition_config_selectorILNS1_17partition_subalgoE8ElNS0_10empty_typeEbEEZZNS1_14partition_implILS5_8ELb0ES3_jPlPS6_PKS6_NS0_5tupleIJS9_S6_EEENSD_IJSA_SA_EEENS0_18inequality_wrapperIZN2at6native12_GLOBAL__N_124unique_dim_cuda_templateIaEESt5tupleIJNSH_6TensorESM_SM_EERKSM_lbbbEUlllE0_EEPmJS6_EEE10hipError_tPvRmT3_T4_T5_T6_T7_T9_mT8_P12ihipStream_tbDpT10_ENKUlT_T0_E_clISt17integral_constantIbLb0EES1C_EEDaS17_S18_EUlS17_E_NS1_11comp_targetILNS1_3genE4ELNS1_11target_archE910ELNS1_3gpuE8ELNS1_3repE0EEENS1_30default_config_static_selectorELNS0_4arch9wavefront6targetE1EEEvT1_
	.p2align	8
	.type	_ZN7rocprim17ROCPRIM_400000_NS6detail17trampoline_kernelINS0_14default_configENS1_25partition_config_selectorILNS1_17partition_subalgoE8ElNS0_10empty_typeEbEEZZNS1_14partition_implILS5_8ELb0ES3_jPlPS6_PKS6_NS0_5tupleIJS9_S6_EEENSD_IJSA_SA_EEENS0_18inequality_wrapperIZN2at6native12_GLOBAL__N_124unique_dim_cuda_templateIaEESt5tupleIJNSH_6TensorESM_SM_EERKSM_lbbbEUlllE0_EEPmJS6_EEE10hipError_tPvRmT3_T4_T5_T6_T7_T9_mT8_P12ihipStream_tbDpT10_ENKUlT_T0_E_clISt17integral_constantIbLb0EES1C_EEDaS17_S18_EUlS17_E_NS1_11comp_targetILNS1_3genE4ELNS1_11target_archE910ELNS1_3gpuE8ELNS1_3repE0EEENS1_30default_config_static_selectorELNS0_4arch9wavefront6targetE1EEEvT1_,@function
_ZN7rocprim17ROCPRIM_400000_NS6detail17trampoline_kernelINS0_14default_configENS1_25partition_config_selectorILNS1_17partition_subalgoE8ElNS0_10empty_typeEbEEZZNS1_14partition_implILS5_8ELb0ES3_jPlPS6_PKS6_NS0_5tupleIJS9_S6_EEENSD_IJSA_SA_EEENS0_18inequality_wrapperIZN2at6native12_GLOBAL__N_124unique_dim_cuda_templateIaEESt5tupleIJNSH_6TensorESM_SM_EERKSM_lbbbEUlllE0_EEPmJS6_EEE10hipError_tPvRmT3_T4_T5_T6_T7_T9_mT8_P12ihipStream_tbDpT10_ENKUlT_T0_E_clISt17integral_constantIbLb0EES1C_EEDaS17_S18_EUlS17_E_NS1_11comp_targetILNS1_3genE4ELNS1_11target_archE910ELNS1_3gpuE8ELNS1_3repE0EEENS1_30default_config_static_selectorELNS0_4arch9wavefront6targetE1EEEvT1_: ; @_ZN7rocprim17ROCPRIM_400000_NS6detail17trampoline_kernelINS0_14default_configENS1_25partition_config_selectorILNS1_17partition_subalgoE8ElNS0_10empty_typeEbEEZZNS1_14partition_implILS5_8ELb0ES3_jPlPS6_PKS6_NS0_5tupleIJS9_S6_EEENSD_IJSA_SA_EEENS0_18inequality_wrapperIZN2at6native12_GLOBAL__N_124unique_dim_cuda_templateIaEESt5tupleIJNSH_6TensorESM_SM_EERKSM_lbbbEUlllE0_EEPmJS6_EEE10hipError_tPvRmT3_T4_T5_T6_T7_T9_mT8_P12ihipStream_tbDpT10_ENKUlT_T0_E_clISt17integral_constantIbLb0EES1C_EEDaS17_S18_EUlS17_E_NS1_11comp_targetILNS1_3genE4ELNS1_11target_archE910ELNS1_3gpuE8ELNS1_3repE0EEENS1_30default_config_static_selectorELNS0_4arch9wavefront6targetE1EEEvT1_
; %bb.0:
	.section	.rodata,"a",@progbits
	.p2align	6, 0x0
	.amdhsa_kernel _ZN7rocprim17ROCPRIM_400000_NS6detail17trampoline_kernelINS0_14default_configENS1_25partition_config_selectorILNS1_17partition_subalgoE8ElNS0_10empty_typeEbEEZZNS1_14partition_implILS5_8ELb0ES3_jPlPS6_PKS6_NS0_5tupleIJS9_S6_EEENSD_IJSA_SA_EEENS0_18inequality_wrapperIZN2at6native12_GLOBAL__N_124unique_dim_cuda_templateIaEESt5tupleIJNSH_6TensorESM_SM_EERKSM_lbbbEUlllE0_EEPmJS6_EEE10hipError_tPvRmT3_T4_T5_T6_T7_T9_mT8_P12ihipStream_tbDpT10_ENKUlT_T0_E_clISt17integral_constantIbLb0EES1C_EEDaS17_S18_EUlS17_E_NS1_11comp_targetILNS1_3genE4ELNS1_11target_archE910ELNS1_3gpuE8ELNS1_3repE0EEENS1_30default_config_static_selectorELNS0_4arch9wavefront6targetE1EEEvT1_
		.amdhsa_group_segment_fixed_size 0
		.amdhsa_private_segment_fixed_size 0
		.amdhsa_kernarg_size 120
		.amdhsa_user_sgpr_count 2
		.amdhsa_user_sgpr_dispatch_ptr 0
		.amdhsa_user_sgpr_queue_ptr 0
		.amdhsa_user_sgpr_kernarg_segment_ptr 1
		.amdhsa_user_sgpr_dispatch_id 0
		.amdhsa_user_sgpr_kernarg_preload_length 0
		.amdhsa_user_sgpr_kernarg_preload_offset 0
		.amdhsa_user_sgpr_private_segment_size 0
		.amdhsa_uses_dynamic_stack 0
		.amdhsa_enable_private_segment 0
		.amdhsa_system_sgpr_workgroup_id_x 1
		.amdhsa_system_sgpr_workgroup_id_y 0
		.amdhsa_system_sgpr_workgroup_id_z 0
		.amdhsa_system_sgpr_workgroup_info 0
		.amdhsa_system_vgpr_workitem_id 0
		.amdhsa_next_free_vgpr 1
		.amdhsa_next_free_sgpr 0
		.amdhsa_accum_offset 4
		.amdhsa_reserve_vcc 0
		.amdhsa_float_round_mode_32 0
		.amdhsa_float_round_mode_16_64 0
		.amdhsa_float_denorm_mode_32 3
		.amdhsa_float_denorm_mode_16_64 3
		.amdhsa_dx10_clamp 1
		.amdhsa_ieee_mode 1
		.amdhsa_fp16_overflow 0
		.amdhsa_tg_split 0
		.amdhsa_exception_fp_ieee_invalid_op 0
		.amdhsa_exception_fp_denorm_src 0
		.amdhsa_exception_fp_ieee_div_zero 0
		.amdhsa_exception_fp_ieee_overflow 0
		.amdhsa_exception_fp_ieee_underflow 0
		.amdhsa_exception_fp_ieee_inexact 0
		.amdhsa_exception_int_div_zero 0
	.end_amdhsa_kernel
	.section	.text._ZN7rocprim17ROCPRIM_400000_NS6detail17trampoline_kernelINS0_14default_configENS1_25partition_config_selectorILNS1_17partition_subalgoE8ElNS0_10empty_typeEbEEZZNS1_14partition_implILS5_8ELb0ES3_jPlPS6_PKS6_NS0_5tupleIJS9_S6_EEENSD_IJSA_SA_EEENS0_18inequality_wrapperIZN2at6native12_GLOBAL__N_124unique_dim_cuda_templateIaEESt5tupleIJNSH_6TensorESM_SM_EERKSM_lbbbEUlllE0_EEPmJS6_EEE10hipError_tPvRmT3_T4_T5_T6_T7_T9_mT8_P12ihipStream_tbDpT10_ENKUlT_T0_E_clISt17integral_constantIbLb0EES1C_EEDaS17_S18_EUlS17_E_NS1_11comp_targetILNS1_3genE4ELNS1_11target_archE910ELNS1_3gpuE8ELNS1_3repE0EEENS1_30default_config_static_selectorELNS0_4arch9wavefront6targetE1EEEvT1_,"axG",@progbits,_ZN7rocprim17ROCPRIM_400000_NS6detail17trampoline_kernelINS0_14default_configENS1_25partition_config_selectorILNS1_17partition_subalgoE8ElNS0_10empty_typeEbEEZZNS1_14partition_implILS5_8ELb0ES3_jPlPS6_PKS6_NS0_5tupleIJS9_S6_EEENSD_IJSA_SA_EEENS0_18inequality_wrapperIZN2at6native12_GLOBAL__N_124unique_dim_cuda_templateIaEESt5tupleIJNSH_6TensorESM_SM_EERKSM_lbbbEUlllE0_EEPmJS6_EEE10hipError_tPvRmT3_T4_T5_T6_T7_T9_mT8_P12ihipStream_tbDpT10_ENKUlT_T0_E_clISt17integral_constantIbLb0EES1C_EEDaS17_S18_EUlS17_E_NS1_11comp_targetILNS1_3genE4ELNS1_11target_archE910ELNS1_3gpuE8ELNS1_3repE0EEENS1_30default_config_static_selectorELNS0_4arch9wavefront6targetE1EEEvT1_,comdat
.Lfunc_end323:
	.size	_ZN7rocprim17ROCPRIM_400000_NS6detail17trampoline_kernelINS0_14default_configENS1_25partition_config_selectorILNS1_17partition_subalgoE8ElNS0_10empty_typeEbEEZZNS1_14partition_implILS5_8ELb0ES3_jPlPS6_PKS6_NS0_5tupleIJS9_S6_EEENSD_IJSA_SA_EEENS0_18inequality_wrapperIZN2at6native12_GLOBAL__N_124unique_dim_cuda_templateIaEESt5tupleIJNSH_6TensorESM_SM_EERKSM_lbbbEUlllE0_EEPmJS6_EEE10hipError_tPvRmT3_T4_T5_T6_T7_T9_mT8_P12ihipStream_tbDpT10_ENKUlT_T0_E_clISt17integral_constantIbLb0EES1C_EEDaS17_S18_EUlS17_E_NS1_11comp_targetILNS1_3genE4ELNS1_11target_archE910ELNS1_3gpuE8ELNS1_3repE0EEENS1_30default_config_static_selectorELNS0_4arch9wavefront6targetE1EEEvT1_, .Lfunc_end323-_ZN7rocprim17ROCPRIM_400000_NS6detail17trampoline_kernelINS0_14default_configENS1_25partition_config_selectorILNS1_17partition_subalgoE8ElNS0_10empty_typeEbEEZZNS1_14partition_implILS5_8ELb0ES3_jPlPS6_PKS6_NS0_5tupleIJS9_S6_EEENSD_IJSA_SA_EEENS0_18inequality_wrapperIZN2at6native12_GLOBAL__N_124unique_dim_cuda_templateIaEESt5tupleIJNSH_6TensorESM_SM_EERKSM_lbbbEUlllE0_EEPmJS6_EEE10hipError_tPvRmT3_T4_T5_T6_T7_T9_mT8_P12ihipStream_tbDpT10_ENKUlT_T0_E_clISt17integral_constantIbLb0EES1C_EEDaS17_S18_EUlS17_E_NS1_11comp_targetILNS1_3genE4ELNS1_11target_archE910ELNS1_3gpuE8ELNS1_3repE0EEENS1_30default_config_static_selectorELNS0_4arch9wavefront6targetE1EEEvT1_
                                        ; -- End function
	.section	.AMDGPU.csdata,"",@progbits
; Kernel info:
; codeLenInByte = 0
; NumSgprs: 6
; NumVgprs: 0
; NumAgprs: 0
; TotalNumVgprs: 0
; ScratchSize: 0
; MemoryBound: 0
; FloatMode: 240
; IeeeMode: 1
; LDSByteSize: 0 bytes/workgroup (compile time only)
; SGPRBlocks: 0
; VGPRBlocks: 0
; NumSGPRsForWavesPerEU: 6
; NumVGPRsForWavesPerEU: 1
; AccumOffset: 4
; Occupancy: 8
; WaveLimiterHint : 0
; COMPUTE_PGM_RSRC2:SCRATCH_EN: 0
; COMPUTE_PGM_RSRC2:USER_SGPR: 2
; COMPUTE_PGM_RSRC2:TRAP_HANDLER: 0
; COMPUTE_PGM_RSRC2:TGID_X_EN: 1
; COMPUTE_PGM_RSRC2:TGID_Y_EN: 0
; COMPUTE_PGM_RSRC2:TGID_Z_EN: 0
; COMPUTE_PGM_RSRC2:TIDIG_COMP_CNT: 0
; COMPUTE_PGM_RSRC3_GFX90A:ACCUM_OFFSET: 0
; COMPUTE_PGM_RSRC3_GFX90A:TG_SPLIT: 0
	.section	.text._ZN7rocprim17ROCPRIM_400000_NS6detail17trampoline_kernelINS0_14default_configENS1_25partition_config_selectorILNS1_17partition_subalgoE8ElNS0_10empty_typeEbEEZZNS1_14partition_implILS5_8ELb0ES3_jPlPS6_PKS6_NS0_5tupleIJS9_S6_EEENSD_IJSA_SA_EEENS0_18inequality_wrapperIZN2at6native12_GLOBAL__N_124unique_dim_cuda_templateIaEESt5tupleIJNSH_6TensorESM_SM_EERKSM_lbbbEUlllE0_EEPmJS6_EEE10hipError_tPvRmT3_T4_T5_T6_T7_T9_mT8_P12ihipStream_tbDpT10_ENKUlT_T0_E_clISt17integral_constantIbLb0EES1C_EEDaS17_S18_EUlS17_E_NS1_11comp_targetILNS1_3genE3ELNS1_11target_archE908ELNS1_3gpuE7ELNS1_3repE0EEENS1_30default_config_static_selectorELNS0_4arch9wavefront6targetE1EEEvT1_,"axG",@progbits,_ZN7rocprim17ROCPRIM_400000_NS6detail17trampoline_kernelINS0_14default_configENS1_25partition_config_selectorILNS1_17partition_subalgoE8ElNS0_10empty_typeEbEEZZNS1_14partition_implILS5_8ELb0ES3_jPlPS6_PKS6_NS0_5tupleIJS9_S6_EEENSD_IJSA_SA_EEENS0_18inequality_wrapperIZN2at6native12_GLOBAL__N_124unique_dim_cuda_templateIaEESt5tupleIJNSH_6TensorESM_SM_EERKSM_lbbbEUlllE0_EEPmJS6_EEE10hipError_tPvRmT3_T4_T5_T6_T7_T9_mT8_P12ihipStream_tbDpT10_ENKUlT_T0_E_clISt17integral_constantIbLb0EES1C_EEDaS17_S18_EUlS17_E_NS1_11comp_targetILNS1_3genE3ELNS1_11target_archE908ELNS1_3gpuE7ELNS1_3repE0EEENS1_30default_config_static_selectorELNS0_4arch9wavefront6targetE1EEEvT1_,comdat
	.globl	_ZN7rocprim17ROCPRIM_400000_NS6detail17trampoline_kernelINS0_14default_configENS1_25partition_config_selectorILNS1_17partition_subalgoE8ElNS0_10empty_typeEbEEZZNS1_14partition_implILS5_8ELb0ES3_jPlPS6_PKS6_NS0_5tupleIJS9_S6_EEENSD_IJSA_SA_EEENS0_18inequality_wrapperIZN2at6native12_GLOBAL__N_124unique_dim_cuda_templateIaEESt5tupleIJNSH_6TensorESM_SM_EERKSM_lbbbEUlllE0_EEPmJS6_EEE10hipError_tPvRmT3_T4_T5_T6_T7_T9_mT8_P12ihipStream_tbDpT10_ENKUlT_T0_E_clISt17integral_constantIbLb0EES1C_EEDaS17_S18_EUlS17_E_NS1_11comp_targetILNS1_3genE3ELNS1_11target_archE908ELNS1_3gpuE7ELNS1_3repE0EEENS1_30default_config_static_selectorELNS0_4arch9wavefront6targetE1EEEvT1_ ; -- Begin function _ZN7rocprim17ROCPRIM_400000_NS6detail17trampoline_kernelINS0_14default_configENS1_25partition_config_selectorILNS1_17partition_subalgoE8ElNS0_10empty_typeEbEEZZNS1_14partition_implILS5_8ELb0ES3_jPlPS6_PKS6_NS0_5tupleIJS9_S6_EEENSD_IJSA_SA_EEENS0_18inequality_wrapperIZN2at6native12_GLOBAL__N_124unique_dim_cuda_templateIaEESt5tupleIJNSH_6TensorESM_SM_EERKSM_lbbbEUlllE0_EEPmJS6_EEE10hipError_tPvRmT3_T4_T5_T6_T7_T9_mT8_P12ihipStream_tbDpT10_ENKUlT_T0_E_clISt17integral_constantIbLb0EES1C_EEDaS17_S18_EUlS17_E_NS1_11comp_targetILNS1_3genE3ELNS1_11target_archE908ELNS1_3gpuE7ELNS1_3repE0EEENS1_30default_config_static_selectorELNS0_4arch9wavefront6targetE1EEEvT1_
	.p2align	8
	.type	_ZN7rocprim17ROCPRIM_400000_NS6detail17trampoline_kernelINS0_14default_configENS1_25partition_config_selectorILNS1_17partition_subalgoE8ElNS0_10empty_typeEbEEZZNS1_14partition_implILS5_8ELb0ES3_jPlPS6_PKS6_NS0_5tupleIJS9_S6_EEENSD_IJSA_SA_EEENS0_18inequality_wrapperIZN2at6native12_GLOBAL__N_124unique_dim_cuda_templateIaEESt5tupleIJNSH_6TensorESM_SM_EERKSM_lbbbEUlllE0_EEPmJS6_EEE10hipError_tPvRmT3_T4_T5_T6_T7_T9_mT8_P12ihipStream_tbDpT10_ENKUlT_T0_E_clISt17integral_constantIbLb0EES1C_EEDaS17_S18_EUlS17_E_NS1_11comp_targetILNS1_3genE3ELNS1_11target_archE908ELNS1_3gpuE7ELNS1_3repE0EEENS1_30default_config_static_selectorELNS0_4arch9wavefront6targetE1EEEvT1_,@function
_ZN7rocprim17ROCPRIM_400000_NS6detail17trampoline_kernelINS0_14default_configENS1_25partition_config_selectorILNS1_17partition_subalgoE8ElNS0_10empty_typeEbEEZZNS1_14partition_implILS5_8ELb0ES3_jPlPS6_PKS6_NS0_5tupleIJS9_S6_EEENSD_IJSA_SA_EEENS0_18inequality_wrapperIZN2at6native12_GLOBAL__N_124unique_dim_cuda_templateIaEESt5tupleIJNSH_6TensorESM_SM_EERKSM_lbbbEUlllE0_EEPmJS6_EEE10hipError_tPvRmT3_T4_T5_T6_T7_T9_mT8_P12ihipStream_tbDpT10_ENKUlT_T0_E_clISt17integral_constantIbLb0EES1C_EEDaS17_S18_EUlS17_E_NS1_11comp_targetILNS1_3genE3ELNS1_11target_archE908ELNS1_3gpuE7ELNS1_3repE0EEENS1_30default_config_static_selectorELNS0_4arch9wavefront6targetE1EEEvT1_: ; @_ZN7rocprim17ROCPRIM_400000_NS6detail17trampoline_kernelINS0_14default_configENS1_25partition_config_selectorILNS1_17partition_subalgoE8ElNS0_10empty_typeEbEEZZNS1_14partition_implILS5_8ELb0ES3_jPlPS6_PKS6_NS0_5tupleIJS9_S6_EEENSD_IJSA_SA_EEENS0_18inequality_wrapperIZN2at6native12_GLOBAL__N_124unique_dim_cuda_templateIaEESt5tupleIJNSH_6TensorESM_SM_EERKSM_lbbbEUlllE0_EEPmJS6_EEE10hipError_tPvRmT3_T4_T5_T6_T7_T9_mT8_P12ihipStream_tbDpT10_ENKUlT_T0_E_clISt17integral_constantIbLb0EES1C_EEDaS17_S18_EUlS17_E_NS1_11comp_targetILNS1_3genE3ELNS1_11target_archE908ELNS1_3gpuE7ELNS1_3repE0EEENS1_30default_config_static_selectorELNS0_4arch9wavefront6targetE1EEEvT1_
; %bb.0:
	.section	.rodata,"a",@progbits
	.p2align	6, 0x0
	.amdhsa_kernel _ZN7rocprim17ROCPRIM_400000_NS6detail17trampoline_kernelINS0_14default_configENS1_25partition_config_selectorILNS1_17partition_subalgoE8ElNS0_10empty_typeEbEEZZNS1_14partition_implILS5_8ELb0ES3_jPlPS6_PKS6_NS0_5tupleIJS9_S6_EEENSD_IJSA_SA_EEENS0_18inequality_wrapperIZN2at6native12_GLOBAL__N_124unique_dim_cuda_templateIaEESt5tupleIJNSH_6TensorESM_SM_EERKSM_lbbbEUlllE0_EEPmJS6_EEE10hipError_tPvRmT3_T4_T5_T6_T7_T9_mT8_P12ihipStream_tbDpT10_ENKUlT_T0_E_clISt17integral_constantIbLb0EES1C_EEDaS17_S18_EUlS17_E_NS1_11comp_targetILNS1_3genE3ELNS1_11target_archE908ELNS1_3gpuE7ELNS1_3repE0EEENS1_30default_config_static_selectorELNS0_4arch9wavefront6targetE1EEEvT1_
		.amdhsa_group_segment_fixed_size 0
		.amdhsa_private_segment_fixed_size 0
		.amdhsa_kernarg_size 120
		.amdhsa_user_sgpr_count 2
		.amdhsa_user_sgpr_dispatch_ptr 0
		.amdhsa_user_sgpr_queue_ptr 0
		.amdhsa_user_sgpr_kernarg_segment_ptr 1
		.amdhsa_user_sgpr_dispatch_id 0
		.amdhsa_user_sgpr_kernarg_preload_length 0
		.amdhsa_user_sgpr_kernarg_preload_offset 0
		.amdhsa_user_sgpr_private_segment_size 0
		.amdhsa_uses_dynamic_stack 0
		.amdhsa_enable_private_segment 0
		.amdhsa_system_sgpr_workgroup_id_x 1
		.amdhsa_system_sgpr_workgroup_id_y 0
		.amdhsa_system_sgpr_workgroup_id_z 0
		.amdhsa_system_sgpr_workgroup_info 0
		.amdhsa_system_vgpr_workitem_id 0
		.amdhsa_next_free_vgpr 1
		.amdhsa_next_free_sgpr 0
		.amdhsa_accum_offset 4
		.amdhsa_reserve_vcc 0
		.amdhsa_float_round_mode_32 0
		.amdhsa_float_round_mode_16_64 0
		.amdhsa_float_denorm_mode_32 3
		.amdhsa_float_denorm_mode_16_64 3
		.amdhsa_dx10_clamp 1
		.amdhsa_ieee_mode 1
		.amdhsa_fp16_overflow 0
		.amdhsa_tg_split 0
		.amdhsa_exception_fp_ieee_invalid_op 0
		.amdhsa_exception_fp_denorm_src 0
		.amdhsa_exception_fp_ieee_div_zero 0
		.amdhsa_exception_fp_ieee_overflow 0
		.amdhsa_exception_fp_ieee_underflow 0
		.amdhsa_exception_fp_ieee_inexact 0
		.amdhsa_exception_int_div_zero 0
	.end_amdhsa_kernel
	.section	.text._ZN7rocprim17ROCPRIM_400000_NS6detail17trampoline_kernelINS0_14default_configENS1_25partition_config_selectorILNS1_17partition_subalgoE8ElNS0_10empty_typeEbEEZZNS1_14partition_implILS5_8ELb0ES3_jPlPS6_PKS6_NS0_5tupleIJS9_S6_EEENSD_IJSA_SA_EEENS0_18inequality_wrapperIZN2at6native12_GLOBAL__N_124unique_dim_cuda_templateIaEESt5tupleIJNSH_6TensorESM_SM_EERKSM_lbbbEUlllE0_EEPmJS6_EEE10hipError_tPvRmT3_T4_T5_T6_T7_T9_mT8_P12ihipStream_tbDpT10_ENKUlT_T0_E_clISt17integral_constantIbLb0EES1C_EEDaS17_S18_EUlS17_E_NS1_11comp_targetILNS1_3genE3ELNS1_11target_archE908ELNS1_3gpuE7ELNS1_3repE0EEENS1_30default_config_static_selectorELNS0_4arch9wavefront6targetE1EEEvT1_,"axG",@progbits,_ZN7rocprim17ROCPRIM_400000_NS6detail17trampoline_kernelINS0_14default_configENS1_25partition_config_selectorILNS1_17partition_subalgoE8ElNS0_10empty_typeEbEEZZNS1_14partition_implILS5_8ELb0ES3_jPlPS6_PKS6_NS0_5tupleIJS9_S6_EEENSD_IJSA_SA_EEENS0_18inequality_wrapperIZN2at6native12_GLOBAL__N_124unique_dim_cuda_templateIaEESt5tupleIJNSH_6TensorESM_SM_EERKSM_lbbbEUlllE0_EEPmJS6_EEE10hipError_tPvRmT3_T4_T5_T6_T7_T9_mT8_P12ihipStream_tbDpT10_ENKUlT_T0_E_clISt17integral_constantIbLb0EES1C_EEDaS17_S18_EUlS17_E_NS1_11comp_targetILNS1_3genE3ELNS1_11target_archE908ELNS1_3gpuE7ELNS1_3repE0EEENS1_30default_config_static_selectorELNS0_4arch9wavefront6targetE1EEEvT1_,comdat
.Lfunc_end324:
	.size	_ZN7rocprim17ROCPRIM_400000_NS6detail17trampoline_kernelINS0_14default_configENS1_25partition_config_selectorILNS1_17partition_subalgoE8ElNS0_10empty_typeEbEEZZNS1_14partition_implILS5_8ELb0ES3_jPlPS6_PKS6_NS0_5tupleIJS9_S6_EEENSD_IJSA_SA_EEENS0_18inequality_wrapperIZN2at6native12_GLOBAL__N_124unique_dim_cuda_templateIaEESt5tupleIJNSH_6TensorESM_SM_EERKSM_lbbbEUlllE0_EEPmJS6_EEE10hipError_tPvRmT3_T4_T5_T6_T7_T9_mT8_P12ihipStream_tbDpT10_ENKUlT_T0_E_clISt17integral_constantIbLb0EES1C_EEDaS17_S18_EUlS17_E_NS1_11comp_targetILNS1_3genE3ELNS1_11target_archE908ELNS1_3gpuE7ELNS1_3repE0EEENS1_30default_config_static_selectorELNS0_4arch9wavefront6targetE1EEEvT1_, .Lfunc_end324-_ZN7rocprim17ROCPRIM_400000_NS6detail17trampoline_kernelINS0_14default_configENS1_25partition_config_selectorILNS1_17partition_subalgoE8ElNS0_10empty_typeEbEEZZNS1_14partition_implILS5_8ELb0ES3_jPlPS6_PKS6_NS0_5tupleIJS9_S6_EEENSD_IJSA_SA_EEENS0_18inequality_wrapperIZN2at6native12_GLOBAL__N_124unique_dim_cuda_templateIaEESt5tupleIJNSH_6TensorESM_SM_EERKSM_lbbbEUlllE0_EEPmJS6_EEE10hipError_tPvRmT3_T4_T5_T6_T7_T9_mT8_P12ihipStream_tbDpT10_ENKUlT_T0_E_clISt17integral_constantIbLb0EES1C_EEDaS17_S18_EUlS17_E_NS1_11comp_targetILNS1_3genE3ELNS1_11target_archE908ELNS1_3gpuE7ELNS1_3repE0EEENS1_30default_config_static_selectorELNS0_4arch9wavefront6targetE1EEEvT1_
                                        ; -- End function
	.section	.AMDGPU.csdata,"",@progbits
; Kernel info:
; codeLenInByte = 0
; NumSgprs: 6
; NumVgprs: 0
; NumAgprs: 0
; TotalNumVgprs: 0
; ScratchSize: 0
; MemoryBound: 0
; FloatMode: 240
; IeeeMode: 1
; LDSByteSize: 0 bytes/workgroup (compile time only)
; SGPRBlocks: 0
; VGPRBlocks: 0
; NumSGPRsForWavesPerEU: 6
; NumVGPRsForWavesPerEU: 1
; AccumOffset: 4
; Occupancy: 8
; WaveLimiterHint : 0
; COMPUTE_PGM_RSRC2:SCRATCH_EN: 0
; COMPUTE_PGM_RSRC2:USER_SGPR: 2
; COMPUTE_PGM_RSRC2:TRAP_HANDLER: 0
; COMPUTE_PGM_RSRC2:TGID_X_EN: 1
; COMPUTE_PGM_RSRC2:TGID_Y_EN: 0
; COMPUTE_PGM_RSRC2:TGID_Z_EN: 0
; COMPUTE_PGM_RSRC2:TIDIG_COMP_CNT: 0
; COMPUTE_PGM_RSRC3_GFX90A:ACCUM_OFFSET: 0
; COMPUTE_PGM_RSRC3_GFX90A:TG_SPLIT: 0
	.section	.text._ZN7rocprim17ROCPRIM_400000_NS6detail17trampoline_kernelINS0_14default_configENS1_25partition_config_selectorILNS1_17partition_subalgoE8ElNS0_10empty_typeEbEEZZNS1_14partition_implILS5_8ELb0ES3_jPlPS6_PKS6_NS0_5tupleIJS9_S6_EEENSD_IJSA_SA_EEENS0_18inequality_wrapperIZN2at6native12_GLOBAL__N_124unique_dim_cuda_templateIaEESt5tupleIJNSH_6TensorESM_SM_EERKSM_lbbbEUlllE0_EEPmJS6_EEE10hipError_tPvRmT3_T4_T5_T6_T7_T9_mT8_P12ihipStream_tbDpT10_ENKUlT_T0_E_clISt17integral_constantIbLb0EES1C_EEDaS17_S18_EUlS17_E_NS1_11comp_targetILNS1_3genE2ELNS1_11target_archE906ELNS1_3gpuE6ELNS1_3repE0EEENS1_30default_config_static_selectorELNS0_4arch9wavefront6targetE1EEEvT1_,"axG",@progbits,_ZN7rocprim17ROCPRIM_400000_NS6detail17trampoline_kernelINS0_14default_configENS1_25partition_config_selectorILNS1_17partition_subalgoE8ElNS0_10empty_typeEbEEZZNS1_14partition_implILS5_8ELb0ES3_jPlPS6_PKS6_NS0_5tupleIJS9_S6_EEENSD_IJSA_SA_EEENS0_18inequality_wrapperIZN2at6native12_GLOBAL__N_124unique_dim_cuda_templateIaEESt5tupleIJNSH_6TensorESM_SM_EERKSM_lbbbEUlllE0_EEPmJS6_EEE10hipError_tPvRmT3_T4_T5_T6_T7_T9_mT8_P12ihipStream_tbDpT10_ENKUlT_T0_E_clISt17integral_constantIbLb0EES1C_EEDaS17_S18_EUlS17_E_NS1_11comp_targetILNS1_3genE2ELNS1_11target_archE906ELNS1_3gpuE6ELNS1_3repE0EEENS1_30default_config_static_selectorELNS0_4arch9wavefront6targetE1EEEvT1_,comdat
	.globl	_ZN7rocprim17ROCPRIM_400000_NS6detail17trampoline_kernelINS0_14default_configENS1_25partition_config_selectorILNS1_17partition_subalgoE8ElNS0_10empty_typeEbEEZZNS1_14partition_implILS5_8ELb0ES3_jPlPS6_PKS6_NS0_5tupleIJS9_S6_EEENSD_IJSA_SA_EEENS0_18inequality_wrapperIZN2at6native12_GLOBAL__N_124unique_dim_cuda_templateIaEESt5tupleIJNSH_6TensorESM_SM_EERKSM_lbbbEUlllE0_EEPmJS6_EEE10hipError_tPvRmT3_T4_T5_T6_T7_T9_mT8_P12ihipStream_tbDpT10_ENKUlT_T0_E_clISt17integral_constantIbLb0EES1C_EEDaS17_S18_EUlS17_E_NS1_11comp_targetILNS1_3genE2ELNS1_11target_archE906ELNS1_3gpuE6ELNS1_3repE0EEENS1_30default_config_static_selectorELNS0_4arch9wavefront6targetE1EEEvT1_ ; -- Begin function _ZN7rocprim17ROCPRIM_400000_NS6detail17trampoline_kernelINS0_14default_configENS1_25partition_config_selectorILNS1_17partition_subalgoE8ElNS0_10empty_typeEbEEZZNS1_14partition_implILS5_8ELb0ES3_jPlPS6_PKS6_NS0_5tupleIJS9_S6_EEENSD_IJSA_SA_EEENS0_18inequality_wrapperIZN2at6native12_GLOBAL__N_124unique_dim_cuda_templateIaEESt5tupleIJNSH_6TensorESM_SM_EERKSM_lbbbEUlllE0_EEPmJS6_EEE10hipError_tPvRmT3_T4_T5_T6_T7_T9_mT8_P12ihipStream_tbDpT10_ENKUlT_T0_E_clISt17integral_constantIbLb0EES1C_EEDaS17_S18_EUlS17_E_NS1_11comp_targetILNS1_3genE2ELNS1_11target_archE906ELNS1_3gpuE6ELNS1_3repE0EEENS1_30default_config_static_selectorELNS0_4arch9wavefront6targetE1EEEvT1_
	.p2align	8
	.type	_ZN7rocprim17ROCPRIM_400000_NS6detail17trampoline_kernelINS0_14default_configENS1_25partition_config_selectorILNS1_17partition_subalgoE8ElNS0_10empty_typeEbEEZZNS1_14partition_implILS5_8ELb0ES3_jPlPS6_PKS6_NS0_5tupleIJS9_S6_EEENSD_IJSA_SA_EEENS0_18inequality_wrapperIZN2at6native12_GLOBAL__N_124unique_dim_cuda_templateIaEESt5tupleIJNSH_6TensorESM_SM_EERKSM_lbbbEUlllE0_EEPmJS6_EEE10hipError_tPvRmT3_T4_T5_T6_T7_T9_mT8_P12ihipStream_tbDpT10_ENKUlT_T0_E_clISt17integral_constantIbLb0EES1C_EEDaS17_S18_EUlS17_E_NS1_11comp_targetILNS1_3genE2ELNS1_11target_archE906ELNS1_3gpuE6ELNS1_3repE0EEENS1_30default_config_static_selectorELNS0_4arch9wavefront6targetE1EEEvT1_,@function
_ZN7rocprim17ROCPRIM_400000_NS6detail17trampoline_kernelINS0_14default_configENS1_25partition_config_selectorILNS1_17partition_subalgoE8ElNS0_10empty_typeEbEEZZNS1_14partition_implILS5_8ELb0ES3_jPlPS6_PKS6_NS0_5tupleIJS9_S6_EEENSD_IJSA_SA_EEENS0_18inequality_wrapperIZN2at6native12_GLOBAL__N_124unique_dim_cuda_templateIaEESt5tupleIJNSH_6TensorESM_SM_EERKSM_lbbbEUlllE0_EEPmJS6_EEE10hipError_tPvRmT3_T4_T5_T6_T7_T9_mT8_P12ihipStream_tbDpT10_ENKUlT_T0_E_clISt17integral_constantIbLb0EES1C_EEDaS17_S18_EUlS17_E_NS1_11comp_targetILNS1_3genE2ELNS1_11target_archE906ELNS1_3gpuE6ELNS1_3repE0EEENS1_30default_config_static_selectorELNS0_4arch9wavefront6targetE1EEEvT1_: ; @_ZN7rocprim17ROCPRIM_400000_NS6detail17trampoline_kernelINS0_14default_configENS1_25partition_config_selectorILNS1_17partition_subalgoE8ElNS0_10empty_typeEbEEZZNS1_14partition_implILS5_8ELb0ES3_jPlPS6_PKS6_NS0_5tupleIJS9_S6_EEENSD_IJSA_SA_EEENS0_18inequality_wrapperIZN2at6native12_GLOBAL__N_124unique_dim_cuda_templateIaEESt5tupleIJNSH_6TensorESM_SM_EERKSM_lbbbEUlllE0_EEPmJS6_EEE10hipError_tPvRmT3_T4_T5_T6_T7_T9_mT8_P12ihipStream_tbDpT10_ENKUlT_T0_E_clISt17integral_constantIbLb0EES1C_EEDaS17_S18_EUlS17_E_NS1_11comp_targetILNS1_3genE2ELNS1_11target_archE906ELNS1_3gpuE6ELNS1_3repE0EEENS1_30default_config_static_selectorELNS0_4arch9wavefront6targetE1EEEvT1_
; %bb.0:
	.section	.rodata,"a",@progbits
	.p2align	6, 0x0
	.amdhsa_kernel _ZN7rocprim17ROCPRIM_400000_NS6detail17trampoline_kernelINS0_14default_configENS1_25partition_config_selectorILNS1_17partition_subalgoE8ElNS0_10empty_typeEbEEZZNS1_14partition_implILS5_8ELb0ES3_jPlPS6_PKS6_NS0_5tupleIJS9_S6_EEENSD_IJSA_SA_EEENS0_18inequality_wrapperIZN2at6native12_GLOBAL__N_124unique_dim_cuda_templateIaEESt5tupleIJNSH_6TensorESM_SM_EERKSM_lbbbEUlllE0_EEPmJS6_EEE10hipError_tPvRmT3_T4_T5_T6_T7_T9_mT8_P12ihipStream_tbDpT10_ENKUlT_T0_E_clISt17integral_constantIbLb0EES1C_EEDaS17_S18_EUlS17_E_NS1_11comp_targetILNS1_3genE2ELNS1_11target_archE906ELNS1_3gpuE6ELNS1_3repE0EEENS1_30default_config_static_selectorELNS0_4arch9wavefront6targetE1EEEvT1_
		.amdhsa_group_segment_fixed_size 0
		.amdhsa_private_segment_fixed_size 0
		.amdhsa_kernarg_size 120
		.amdhsa_user_sgpr_count 2
		.amdhsa_user_sgpr_dispatch_ptr 0
		.amdhsa_user_sgpr_queue_ptr 0
		.amdhsa_user_sgpr_kernarg_segment_ptr 1
		.amdhsa_user_sgpr_dispatch_id 0
		.amdhsa_user_sgpr_kernarg_preload_length 0
		.amdhsa_user_sgpr_kernarg_preload_offset 0
		.amdhsa_user_sgpr_private_segment_size 0
		.amdhsa_uses_dynamic_stack 0
		.amdhsa_enable_private_segment 0
		.amdhsa_system_sgpr_workgroup_id_x 1
		.amdhsa_system_sgpr_workgroup_id_y 0
		.amdhsa_system_sgpr_workgroup_id_z 0
		.amdhsa_system_sgpr_workgroup_info 0
		.amdhsa_system_vgpr_workitem_id 0
		.amdhsa_next_free_vgpr 1
		.amdhsa_next_free_sgpr 0
		.amdhsa_accum_offset 4
		.amdhsa_reserve_vcc 0
		.amdhsa_float_round_mode_32 0
		.amdhsa_float_round_mode_16_64 0
		.amdhsa_float_denorm_mode_32 3
		.amdhsa_float_denorm_mode_16_64 3
		.amdhsa_dx10_clamp 1
		.amdhsa_ieee_mode 1
		.amdhsa_fp16_overflow 0
		.amdhsa_tg_split 0
		.amdhsa_exception_fp_ieee_invalid_op 0
		.amdhsa_exception_fp_denorm_src 0
		.amdhsa_exception_fp_ieee_div_zero 0
		.amdhsa_exception_fp_ieee_overflow 0
		.amdhsa_exception_fp_ieee_underflow 0
		.amdhsa_exception_fp_ieee_inexact 0
		.amdhsa_exception_int_div_zero 0
	.end_amdhsa_kernel
	.section	.text._ZN7rocprim17ROCPRIM_400000_NS6detail17trampoline_kernelINS0_14default_configENS1_25partition_config_selectorILNS1_17partition_subalgoE8ElNS0_10empty_typeEbEEZZNS1_14partition_implILS5_8ELb0ES3_jPlPS6_PKS6_NS0_5tupleIJS9_S6_EEENSD_IJSA_SA_EEENS0_18inequality_wrapperIZN2at6native12_GLOBAL__N_124unique_dim_cuda_templateIaEESt5tupleIJNSH_6TensorESM_SM_EERKSM_lbbbEUlllE0_EEPmJS6_EEE10hipError_tPvRmT3_T4_T5_T6_T7_T9_mT8_P12ihipStream_tbDpT10_ENKUlT_T0_E_clISt17integral_constantIbLb0EES1C_EEDaS17_S18_EUlS17_E_NS1_11comp_targetILNS1_3genE2ELNS1_11target_archE906ELNS1_3gpuE6ELNS1_3repE0EEENS1_30default_config_static_selectorELNS0_4arch9wavefront6targetE1EEEvT1_,"axG",@progbits,_ZN7rocprim17ROCPRIM_400000_NS6detail17trampoline_kernelINS0_14default_configENS1_25partition_config_selectorILNS1_17partition_subalgoE8ElNS0_10empty_typeEbEEZZNS1_14partition_implILS5_8ELb0ES3_jPlPS6_PKS6_NS0_5tupleIJS9_S6_EEENSD_IJSA_SA_EEENS0_18inequality_wrapperIZN2at6native12_GLOBAL__N_124unique_dim_cuda_templateIaEESt5tupleIJNSH_6TensorESM_SM_EERKSM_lbbbEUlllE0_EEPmJS6_EEE10hipError_tPvRmT3_T4_T5_T6_T7_T9_mT8_P12ihipStream_tbDpT10_ENKUlT_T0_E_clISt17integral_constantIbLb0EES1C_EEDaS17_S18_EUlS17_E_NS1_11comp_targetILNS1_3genE2ELNS1_11target_archE906ELNS1_3gpuE6ELNS1_3repE0EEENS1_30default_config_static_selectorELNS0_4arch9wavefront6targetE1EEEvT1_,comdat
.Lfunc_end325:
	.size	_ZN7rocprim17ROCPRIM_400000_NS6detail17trampoline_kernelINS0_14default_configENS1_25partition_config_selectorILNS1_17partition_subalgoE8ElNS0_10empty_typeEbEEZZNS1_14partition_implILS5_8ELb0ES3_jPlPS6_PKS6_NS0_5tupleIJS9_S6_EEENSD_IJSA_SA_EEENS0_18inequality_wrapperIZN2at6native12_GLOBAL__N_124unique_dim_cuda_templateIaEESt5tupleIJNSH_6TensorESM_SM_EERKSM_lbbbEUlllE0_EEPmJS6_EEE10hipError_tPvRmT3_T4_T5_T6_T7_T9_mT8_P12ihipStream_tbDpT10_ENKUlT_T0_E_clISt17integral_constantIbLb0EES1C_EEDaS17_S18_EUlS17_E_NS1_11comp_targetILNS1_3genE2ELNS1_11target_archE906ELNS1_3gpuE6ELNS1_3repE0EEENS1_30default_config_static_selectorELNS0_4arch9wavefront6targetE1EEEvT1_, .Lfunc_end325-_ZN7rocprim17ROCPRIM_400000_NS6detail17trampoline_kernelINS0_14default_configENS1_25partition_config_selectorILNS1_17partition_subalgoE8ElNS0_10empty_typeEbEEZZNS1_14partition_implILS5_8ELb0ES3_jPlPS6_PKS6_NS0_5tupleIJS9_S6_EEENSD_IJSA_SA_EEENS0_18inequality_wrapperIZN2at6native12_GLOBAL__N_124unique_dim_cuda_templateIaEESt5tupleIJNSH_6TensorESM_SM_EERKSM_lbbbEUlllE0_EEPmJS6_EEE10hipError_tPvRmT3_T4_T5_T6_T7_T9_mT8_P12ihipStream_tbDpT10_ENKUlT_T0_E_clISt17integral_constantIbLb0EES1C_EEDaS17_S18_EUlS17_E_NS1_11comp_targetILNS1_3genE2ELNS1_11target_archE906ELNS1_3gpuE6ELNS1_3repE0EEENS1_30default_config_static_selectorELNS0_4arch9wavefront6targetE1EEEvT1_
                                        ; -- End function
	.section	.AMDGPU.csdata,"",@progbits
; Kernel info:
; codeLenInByte = 0
; NumSgprs: 6
; NumVgprs: 0
; NumAgprs: 0
; TotalNumVgprs: 0
; ScratchSize: 0
; MemoryBound: 0
; FloatMode: 240
; IeeeMode: 1
; LDSByteSize: 0 bytes/workgroup (compile time only)
; SGPRBlocks: 0
; VGPRBlocks: 0
; NumSGPRsForWavesPerEU: 6
; NumVGPRsForWavesPerEU: 1
; AccumOffset: 4
; Occupancy: 8
; WaveLimiterHint : 0
; COMPUTE_PGM_RSRC2:SCRATCH_EN: 0
; COMPUTE_PGM_RSRC2:USER_SGPR: 2
; COMPUTE_PGM_RSRC2:TRAP_HANDLER: 0
; COMPUTE_PGM_RSRC2:TGID_X_EN: 1
; COMPUTE_PGM_RSRC2:TGID_Y_EN: 0
; COMPUTE_PGM_RSRC2:TGID_Z_EN: 0
; COMPUTE_PGM_RSRC2:TIDIG_COMP_CNT: 0
; COMPUTE_PGM_RSRC3_GFX90A:ACCUM_OFFSET: 0
; COMPUTE_PGM_RSRC3_GFX90A:TG_SPLIT: 0
	.section	.text._ZN7rocprim17ROCPRIM_400000_NS6detail17trampoline_kernelINS0_14default_configENS1_25partition_config_selectorILNS1_17partition_subalgoE8ElNS0_10empty_typeEbEEZZNS1_14partition_implILS5_8ELb0ES3_jPlPS6_PKS6_NS0_5tupleIJS9_S6_EEENSD_IJSA_SA_EEENS0_18inequality_wrapperIZN2at6native12_GLOBAL__N_124unique_dim_cuda_templateIaEESt5tupleIJNSH_6TensorESM_SM_EERKSM_lbbbEUlllE0_EEPmJS6_EEE10hipError_tPvRmT3_T4_T5_T6_T7_T9_mT8_P12ihipStream_tbDpT10_ENKUlT_T0_E_clISt17integral_constantIbLb0EES1C_EEDaS17_S18_EUlS17_E_NS1_11comp_targetILNS1_3genE10ELNS1_11target_archE1200ELNS1_3gpuE4ELNS1_3repE0EEENS1_30default_config_static_selectorELNS0_4arch9wavefront6targetE1EEEvT1_,"axG",@progbits,_ZN7rocprim17ROCPRIM_400000_NS6detail17trampoline_kernelINS0_14default_configENS1_25partition_config_selectorILNS1_17partition_subalgoE8ElNS0_10empty_typeEbEEZZNS1_14partition_implILS5_8ELb0ES3_jPlPS6_PKS6_NS0_5tupleIJS9_S6_EEENSD_IJSA_SA_EEENS0_18inequality_wrapperIZN2at6native12_GLOBAL__N_124unique_dim_cuda_templateIaEESt5tupleIJNSH_6TensorESM_SM_EERKSM_lbbbEUlllE0_EEPmJS6_EEE10hipError_tPvRmT3_T4_T5_T6_T7_T9_mT8_P12ihipStream_tbDpT10_ENKUlT_T0_E_clISt17integral_constantIbLb0EES1C_EEDaS17_S18_EUlS17_E_NS1_11comp_targetILNS1_3genE10ELNS1_11target_archE1200ELNS1_3gpuE4ELNS1_3repE0EEENS1_30default_config_static_selectorELNS0_4arch9wavefront6targetE1EEEvT1_,comdat
	.globl	_ZN7rocprim17ROCPRIM_400000_NS6detail17trampoline_kernelINS0_14default_configENS1_25partition_config_selectorILNS1_17partition_subalgoE8ElNS0_10empty_typeEbEEZZNS1_14partition_implILS5_8ELb0ES3_jPlPS6_PKS6_NS0_5tupleIJS9_S6_EEENSD_IJSA_SA_EEENS0_18inequality_wrapperIZN2at6native12_GLOBAL__N_124unique_dim_cuda_templateIaEESt5tupleIJNSH_6TensorESM_SM_EERKSM_lbbbEUlllE0_EEPmJS6_EEE10hipError_tPvRmT3_T4_T5_T6_T7_T9_mT8_P12ihipStream_tbDpT10_ENKUlT_T0_E_clISt17integral_constantIbLb0EES1C_EEDaS17_S18_EUlS17_E_NS1_11comp_targetILNS1_3genE10ELNS1_11target_archE1200ELNS1_3gpuE4ELNS1_3repE0EEENS1_30default_config_static_selectorELNS0_4arch9wavefront6targetE1EEEvT1_ ; -- Begin function _ZN7rocprim17ROCPRIM_400000_NS6detail17trampoline_kernelINS0_14default_configENS1_25partition_config_selectorILNS1_17partition_subalgoE8ElNS0_10empty_typeEbEEZZNS1_14partition_implILS5_8ELb0ES3_jPlPS6_PKS6_NS0_5tupleIJS9_S6_EEENSD_IJSA_SA_EEENS0_18inequality_wrapperIZN2at6native12_GLOBAL__N_124unique_dim_cuda_templateIaEESt5tupleIJNSH_6TensorESM_SM_EERKSM_lbbbEUlllE0_EEPmJS6_EEE10hipError_tPvRmT3_T4_T5_T6_T7_T9_mT8_P12ihipStream_tbDpT10_ENKUlT_T0_E_clISt17integral_constantIbLb0EES1C_EEDaS17_S18_EUlS17_E_NS1_11comp_targetILNS1_3genE10ELNS1_11target_archE1200ELNS1_3gpuE4ELNS1_3repE0EEENS1_30default_config_static_selectorELNS0_4arch9wavefront6targetE1EEEvT1_
	.p2align	8
	.type	_ZN7rocprim17ROCPRIM_400000_NS6detail17trampoline_kernelINS0_14default_configENS1_25partition_config_selectorILNS1_17partition_subalgoE8ElNS0_10empty_typeEbEEZZNS1_14partition_implILS5_8ELb0ES3_jPlPS6_PKS6_NS0_5tupleIJS9_S6_EEENSD_IJSA_SA_EEENS0_18inequality_wrapperIZN2at6native12_GLOBAL__N_124unique_dim_cuda_templateIaEESt5tupleIJNSH_6TensorESM_SM_EERKSM_lbbbEUlllE0_EEPmJS6_EEE10hipError_tPvRmT3_T4_T5_T6_T7_T9_mT8_P12ihipStream_tbDpT10_ENKUlT_T0_E_clISt17integral_constantIbLb0EES1C_EEDaS17_S18_EUlS17_E_NS1_11comp_targetILNS1_3genE10ELNS1_11target_archE1200ELNS1_3gpuE4ELNS1_3repE0EEENS1_30default_config_static_selectorELNS0_4arch9wavefront6targetE1EEEvT1_,@function
_ZN7rocprim17ROCPRIM_400000_NS6detail17trampoline_kernelINS0_14default_configENS1_25partition_config_selectorILNS1_17partition_subalgoE8ElNS0_10empty_typeEbEEZZNS1_14partition_implILS5_8ELb0ES3_jPlPS6_PKS6_NS0_5tupleIJS9_S6_EEENSD_IJSA_SA_EEENS0_18inequality_wrapperIZN2at6native12_GLOBAL__N_124unique_dim_cuda_templateIaEESt5tupleIJNSH_6TensorESM_SM_EERKSM_lbbbEUlllE0_EEPmJS6_EEE10hipError_tPvRmT3_T4_T5_T6_T7_T9_mT8_P12ihipStream_tbDpT10_ENKUlT_T0_E_clISt17integral_constantIbLb0EES1C_EEDaS17_S18_EUlS17_E_NS1_11comp_targetILNS1_3genE10ELNS1_11target_archE1200ELNS1_3gpuE4ELNS1_3repE0EEENS1_30default_config_static_selectorELNS0_4arch9wavefront6targetE1EEEvT1_: ; @_ZN7rocprim17ROCPRIM_400000_NS6detail17trampoline_kernelINS0_14default_configENS1_25partition_config_selectorILNS1_17partition_subalgoE8ElNS0_10empty_typeEbEEZZNS1_14partition_implILS5_8ELb0ES3_jPlPS6_PKS6_NS0_5tupleIJS9_S6_EEENSD_IJSA_SA_EEENS0_18inequality_wrapperIZN2at6native12_GLOBAL__N_124unique_dim_cuda_templateIaEESt5tupleIJNSH_6TensorESM_SM_EERKSM_lbbbEUlllE0_EEPmJS6_EEE10hipError_tPvRmT3_T4_T5_T6_T7_T9_mT8_P12ihipStream_tbDpT10_ENKUlT_T0_E_clISt17integral_constantIbLb0EES1C_EEDaS17_S18_EUlS17_E_NS1_11comp_targetILNS1_3genE10ELNS1_11target_archE1200ELNS1_3gpuE4ELNS1_3repE0EEENS1_30default_config_static_selectorELNS0_4arch9wavefront6targetE1EEEvT1_
; %bb.0:
	.section	.rodata,"a",@progbits
	.p2align	6, 0x0
	.amdhsa_kernel _ZN7rocprim17ROCPRIM_400000_NS6detail17trampoline_kernelINS0_14default_configENS1_25partition_config_selectorILNS1_17partition_subalgoE8ElNS0_10empty_typeEbEEZZNS1_14partition_implILS5_8ELb0ES3_jPlPS6_PKS6_NS0_5tupleIJS9_S6_EEENSD_IJSA_SA_EEENS0_18inequality_wrapperIZN2at6native12_GLOBAL__N_124unique_dim_cuda_templateIaEESt5tupleIJNSH_6TensorESM_SM_EERKSM_lbbbEUlllE0_EEPmJS6_EEE10hipError_tPvRmT3_T4_T5_T6_T7_T9_mT8_P12ihipStream_tbDpT10_ENKUlT_T0_E_clISt17integral_constantIbLb0EES1C_EEDaS17_S18_EUlS17_E_NS1_11comp_targetILNS1_3genE10ELNS1_11target_archE1200ELNS1_3gpuE4ELNS1_3repE0EEENS1_30default_config_static_selectorELNS0_4arch9wavefront6targetE1EEEvT1_
		.amdhsa_group_segment_fixed_size 0
		.amdhsa_private_segment_fixed_size 0
		.amdhsa_kernarg_size 120
		.amdhsa_user_sgpr_count 2
		.amdhsa_user_sgpr_dispatch_ptr 0
		.amdhsa_user_sgpr_queue_ptr 0
		.amdhsa_user_sgpr_kernarg_segment_ptr 1
		.amdhsa_user_sgpr_dispatch_id 0
		.amdhsa_user_sgpr_kernarg_preload_length 0
		.amdhsa_user_sgpr_kernarg_preload_offset 0
		.amdhsa_user_sgpr_private_segment_size 0
		.amdhsa_uses_dynamic_stack 0
		.amdhsa_enable_private_segment 0
		.amdhsa_system_sgpr_workgroup_id_x 1
		.amdhsa_system_sgpr_workgroup_id_y 0
		.amdhsa_system_sgpr_workgroup_id_z 0
		.amdhsa_system_sgpr_workgroup_info 0
		.amdhsa_system_vgpr_workitem_id 0
		.amdhsa_next_free_vgpr 1
		.amdhsa_next_free_sgpr 0
		.amdhsa_accum_offset 4
		.amdhsa_reserve_vcc 0
		.amdhsa_float_round_mode_32 0
		.amdhsa_float_round_mode_16_64 0
		.amdhsa_float_denorm_mode_32 3
		.amdhsa_float_denorm_mode_16_64 3
		.amdhsa_dx10_clamp 1
		.amdhsa_ieee_mode 1
		.amdhsa_fp16_overflow 0
		.amdhsa_tg_split 0
		.amdhsa_exception_fp_ieee_invalid_op 0
		.amdhsa_exception_fp_denorm_src 0
		.amdhsa_exception_fp_ieee_div_zero 0
		.amdhsa_exception_fp_ieee_overflow 0
		.amdhsa_exception_fp_ieee_underflow 0
		.amdhsa_exception_fp_ieee_inexact 0
		.amdhsa_exception_int_div_zero 0
	.end_amdhsa_kernel
	.section	.text._ZN7rocprim17ROCPRIM_400000_NS6detail17trampoline_kernelINS0_14default_configENS1_25partition_config_selectorILNS1_17partition_subalgoE8ElNS0_10empty_typeEbEEZZNS1_14partition_implILS5_8ELb0ES3_jPlPS6_PKS6_NS0_5tupleIJS9_S6_EEENSD_IJSA_SA_EEENS0_18inequality_wrapperIZN2at6native12_GLOBAL__N_124unique_dim_cuda_templateIaEESt5tupleIJNSH_6TensorESM_SM_EERKSM_lbbbEUlllE0_EEPmJS6_EEE10hipError_tPvRmT3_T4_T5_T6_T7_T9_mT8_P12ihipStream_tbDpT10_ENKUlT_T0_E_clISt17integral_constantIbLb0EES1C_EEDaS17_S18_EUlS17_E_NS1_11comp_targetILNS1_3genE10ELNS1_11target_archE1200ELNS1_3gpuE4ELNS1_3repE0EEENS1_30default_config_static_selectorELNS0_4arch9wavefront6targetE1EEEvT1_,"axG",@progbits,_ZN7rocprim17ROCPRIM_400000_NS6detail17trampoline_kernelINS0_14default_configENS1_25partition_config_selectorILNS1_17partition_subalgoE8ElNS0_10empty_typeEbEEZZNS1_14partition_implILS5_8ELb0ES3_jPlPS6_PKS6_NS0_5tupleIJS9_S6_EEENSD_IJSA_SA_EEENS0_18inequality_wrapperIZN2at6native12_GLOBAL__N_124unique_dim_cuda_templateIaEESt5tupleIJNSH_6TensorESM_SM_EERKSM_lbbbEUlllE0_EEPmJS6_EEE10hipError_tPvRmT3_T4_T5_T6_T7_T9_mT8_P12ihipStream_tbDpT10_ENKUlT_T0_E_clISt17integral_constantIbLb0EES1C_EEDaS17_S18_EUlS17_E_NS1_11comp_targetILNS1_3genE10ELNS1_11target_archE1200ELNS1_3gpuE4ELNS1_3repE0EEENS1_30default_config_static_selectorELNS0_4arch9wavefront6targetE1EEEvT1_,comdat
.Lfunc_end326:
	.size	_ZN7rocprim17ROCPRIM_400000_NS6detail17trampoline_kernelINS0_14default_configENS1_25partition_config_selectorILNS1_17partition_subalgoE8ElNS0_10empty_typeEbEEZZNS1_14partition_implILS5_8ELb0ES3_jPlPS6_PKS6_NS0_5tupleIJS9_S6_EEENSD_IJSA_SA_EEENS0_18inequality_wrapperIZN2at6native12_GLOBAL__N_124unique_dim_cuda_templateIaEESt5tupleIJNSH_6TensorESM_SM_EERKSM_lbbbEUlllE0_EEPmJS6_EEE10hipError_tPvRmT3_T4_T5_T6_T7_T9_mT8_P12ihipStream_tbDpT10_ENKUlT_T0_E_clISt17integral_constantIbLb0EES1C_EEDaS17_S18_EUlS17_E_NS1_11comp_targetILNS1_3genE10ELNS1_11target_archE1200ELNS1_3gpuE4ELNS1_3repE0EEENS1_30default_config_static_selectorELNS0_4arch9wavefront6targetE1EEEvT1_, .Lfunc_end326-_ZN7rocprim17ROCPRIM_400000_NS6detail17trampoline_kernelINS0_14default_configENS1_25partition_config_selectorILNS1_17partition_subalgoE8ElNS0_10empty_typeEbEEZZNS1_14partition_implILS5_8ELb0ES3_jPlPS6_PKS6_NS0_5tupleIJS9_S6_EEENSD_IJSA_SA_EEENS0_18inequality_wrapperIZN2at6native12_GLOBAL__N_124unique_dim_cuda_templateIaEESt5tupleIJNSH_6TensorESM_SM_EERKSM_lbbbEUlllE0_EEPmJS6_EEE10hipError_tPvRmT3_T4_T5_T6_T7_T9_mT8_P12ihipStream_tbDpT10_ENKUlT_T0_E_clISt17integral_constantIbLb0EES1C_EEDaS17_S18_EUlS17_E_NS1_11comp_targetILNS1_3genE10ELNS1_11target_archE1200ELNS1_3gpuE4ELNS1_3repE0EEENS1_30default_config_static_selectorELNS0_4arch9wavefront6targetE1EEEvT1_
                                        ; -- End function
	.section	.AMDGPU.csdata,"",@progbits
; Kernel info:
; codeLenInByte = 0
; NumSgprs: 6
; NumVgprs: 0
; NumAgprs: 0
; TotalNumVgprs: 0
; ScratchSize: 0
; MemoryBound: 0
; FloatMode: 240
; IeeeMode: 1
; LDSByteSize: 0 bytes/workgroup (compile time only)
; SGPRBlocks: 0
; VGPRBlocks: 0
; NumSGPRsForWavesPerEU: 6
; NumVGPRsForWavesPerEU: 1
; AccumOffset: 4
; Occupancy: 8
; WaveLimiterHint : 0
; COMPUTE_PGM_RSRC2:SCRATCH_EN: 0
; COMPUTE_PGM_RSRC2:USER_SGPR: 2
; COMPUTE_PGM_RSRC2:TRAP_HANDLER: 0
; COMPUTE_PGM_RSRC2:TGID_X_EN: 1
; COMPUTE_PGM_RSRC2:TGID_Y_EN: 0
; COMPUTE_PGM_RSRC2:TGID_Z_EN: 0
; COMPUTE_PGM_RSRC2:TIDIG_COMP_CNT: 0
; COMPUTE_PGM_RSRC3_GFX90A:ACCUM_OFFSET: 0
; COMPUTE_PGM_RSRC3_GFX90A:TG_SPLIT: 0
	.section	.text._ZN7rocprim17ROCPRIM_400000_NS6detail17trampoline_kernelINS0_14default_configENS1_25partition_config_selectorILNS1_17partition_subalgoE8ElNS0_10empty_typeEbEEZZNS1_14partition_implILS5_8ELb0ES3_jPlPS6_PKS6_NS0_5tupleIJS9_S6_EEENSD_IJSA_SA_EEENS0_18inequality_wrapperIZN2at6native12_GLOBAL__N_124unique_dim_cuda_templateIaEESt5tupleIJNSH_6TensorESM_SM_EERKSM_lbbbEUlllE0_EEPmJS6_EEE10hipError_tPvRmT3_T4_T5_T6_T7_T9_mT8_P12ihipStream_tbDpT10_ENKUlT_T0_E_clISt17integral_constantIbLb0EES1C_EEDaS17_S18_EUlS17_E_NS1_11comp_targetILNS1_3genE9ELNS1_11target_archE1100ELNS1_3gpuE3ELNS1_3repE0EEENS1_30default_config_static_selectorELNS0_4arch9wavefront6targetE1EEEvT1_,"axG",@progbits,_ZN7rocprim17ROCPRIM_400000_NS6detail17trampoline_kernelINS0_14default_configENS1_25partition_config_selectorILNS1_17partition_subalgoE8ElNS0_10empty_typeEbEEZZNS1_14partition_implILS5_8ELb0ES3_jPlPS6_PKS6_NS0_5tupleIJS9_S6_EEENSD_IJSA_SA_EEENS0_18inequality_wrapperIZN2at6native12_GLOBAL__N_124unique_dim_cuda_templateIaEESt5tupleIJNSH_6TensorESM_SM_EERKSM_lbbbEUlllE0_EEPmJS6_EEE10hipError_tPvRmT3_T4_T5_T6_T7_T9_mT8_P12ihipStream_tbDpT10_ENKUlT_T0_E_clISt17integral_constantIbLb0EES1C_EEDaS17_S18_EUlS17_E_NS1_11comp_targetILNS1_3genE9ELNS1_11target_archE1100ELNS1_3gpuE3ELNS1_3repE0EEENS1_30default_config_static_selectorELNS0_4arch9wavefront6targetE1EEEvT1_,comdat
	.globl	_ZN7rocprim17ROCPRIM_400000_NS6detail17trampoline_kernelINS0_14default_configENS1_25partition_config_selectorILNS1_17partition_subalgoE8ElNS0_10empty_typeEbEEZZNS1_14partition_implILS5_8ELb0ES3_jPlPS6_PKS6_NS0_5tupleIJS9_S6_EEENSD_IJSA_SA_EEENS0_18inequality_wrapperIZN2at6native12_GLOBAL__N_124unique_dim_cuda_templateIaEESt5tupleIJNSH_6TensorESM_SM_EERKSM_lbbbEUlllE0_EEPmJS6_EEE10hipError_tPvRmT3_T4_T5_T6_T7_T9_mT8_P12ihipStream_tbDpT10_ENKUlT_T0_E_clISt17integral_constantIbLb0EES1C_EEDaS17_S18_EUlS17_E_NS1_11comp_targetILNS1_3genE9ELNS1_11target_archE1100ELNS1_3gpuE3ELNS1_3repE0EEENS1_30default_config_static_selectorELNS0_4arch9wavefront6targetE1EEEvT1_ ; -- Begin function _ZN7rocprim17ROCPRIM_400000_NS6detail17trampoline_kernelINS0_14default_configENS1_25partition_config_selectorILNS1_17partition_subalgoE8ElNS0_10empty_typeEbEEZZNS1_14partition_implILS5_8ELb0ES3_jPlPS6_PKS6_NS0_5tupleIJS9_S6_EEENSD_IJSA_SA_EEENS0_18inequality_wrapperIZN2at6native12_GLOBAL__N_124unique_dim_cuda_templateIaEESt5tupleIJNSH_6TensorESM_SM_EERKSM_lbbbEUlllE0_EEPmJS6_EEE10hipError_tPvRmT3_T4_T5_T6_T7_T9_mT8_P12ihipStream_tbDpT10_ENKUlT_T0_E_clISt17integral_constantIbLb0EES1C_EEDaS17_S18_EUlS17_E_NS1_11comp_targetILNS1_3genE9ELNS1_11target_archE1100ELNS1_3gpuE3ELNS1_3repE0EEENS1_30default_config_static_selectorELNS0_4arch9wavefront6targetE1EEEvT1_
	.p2align	8
	.type	_ZN7rocprim17ROCPRIM_400000_NS6detail17trampoline_kernelINS0_14default_configENS1_25partition_config_selectorILNS1_17partition_subalgoE8ElNS0_10empty_typeEbEEZZNS1_14partition_implILS5_8ELb0ES3_jPlPS6_PKS6_NS0_5tupleIJS9_S6_EEENSD_IJSA_SA_EEENS0_18inequality_wrapperIZN2at6native12_GLOBAL__N_124unique_dim_cuda_templateIaEESt5tupleIJNSH_6TensorESM_SM_EERKSM_lbbbEUlllE0_EEPmJS6_EEE10hipError_tPvRmT3_T4_T5_T6_T7_T9_mT8_P12ihipStream_tbDpT10_ENKUlT_T0_E_clISt17integral_constantIbLb0EES1C_EEDaS17_S18_EUlS17_E_NS1_11comp_targetILNS1_3genE9ELNS1_11target_archE1100ELNS1_3gpuE3ELNS1_3repE0EEENS1_30default_config_static_selectorELNS0_4arch9wavefront6targetE1EEEvT1_,@function
_ZN7rocprim17ROCPRIM_400000_NS6detail17trampoline_kernelINS0_14default_configENS1_25partition_config_selectorILNS1_17partition_subalgoE8ElNS0_10empty_typeEbEEZZNS1_14partition_implILS5_8ELb0ES3_jPlPS6_PKS6_NS0_5tupleIJS9_S6_EEENSD_IJSA_SA_EEENS0_18inequality_wrapperIZN2at6native12_GLOBAL__N_124unique_dim_cuda_templateIaEESt5tupleIJNSH_6TensorESM_SM_EERKSM_lbbbEUlllE0_EEPmJS6_EEE10hipError_tPvRmT3_T4_T5_T6_T7_T9_mT8_P12ihipStream_tbDpT10_ENKUlT_T0_E_clISt17integral_constantIbLb0EES1C_EEDaS17_S18_EUlS17_E_NS1_11comp_targetILNS1_3genE9ELNS1_11target_archE1100ELNS1_3gpuE3ELNS1_3repE0EEENS1_30default_config_static_selectorELNS0_4arch9wavefront6targetE1EEEvT1_: ; @_ZN7rocprim17ROCPRIM_400000_NS6detail17trampoline_kernelINS0_14default_configENS1_25partition_config_selectorILNS1_17partition_subalgoE8ElNS0_10empty_typeEbEEZZNS1_14partition_implILS5_8ELb0ES3_jPlPS6_PKS6_NS0_5tupleIJS9_S6_EEENSD_IJSA_SA_EEENS0_18inequality_wrapperIZN2at6native12_GLOBAL__N_124unique_dim_cuda_templateIaEESt5tupleIJNSH_6TensorESM_SM_EERKSM_lbbbEUlllE0_EEPmJS6_EEE10hipError_tPvRmT3_T4_T5_T6_T7_T9_mT8_P12ihipStream_tbDpT10_ENKUlT_T0_E_clISt17integral_constantIbLb0EES1C_EEDaS17_S18_EUlS17_E_NS1_11comp_targetILNS1_3genE9ELNS1_11target_archE1100ELNS1_3gpuE3ELNS1_3repE0EEENS1_30default_config_static_selectorELNS0_4arch9wavefront6targetE1EEEvT1_
; %bb.0:
	.section	.rodata,"a",@progbits
	.p2align	6, 0x0
	.amdhsa_kernel _ZN7rocprim17ROCPRIM_400000_NS6detail17trampoline_kernelINS0_14default_configENS1_25partition_config_selectorILNS1_17partition_subalgoE8ElNS0_10empty_typeEbEEZZNS1_14partition_implILS5_8ELb0ES3_jPlPS6_PKS6_NS0_5tupleIJS9_S6_EEENSD_IJSA_SA_EEENS0_18inequality_wrapperIZN2at6native12_GLOBAL__N_124unique_dim_cuda_templateIaEESt5tupleIJNSH_6TensorESM_SM_EERKSM_lbbbEUlllE0_EEPmJS6_EEE10hipError_tPvRmT3_T4_T5_T6_T7_T9_mT8_P12ihipStream_tbDpT10_ENKUlT_T0_E_clISt17integral_constantIbLb0EES1C_EEDaS17_S18_EUlS17_E_NS1_11comp_targetILNS1_3genE9ELNS1_11target_archE1100ELNS1_3gpuE3ELNS1_3repE0EEENS1_30default_config_static_selectorELNS0_4arch9wavefront6targetE1EEEvT1_
		.amdhsa_group_segment_fixed_size 0
		.amdhsa_private_segment_fixed_size 0
		.amdhsa_kernarg_size 120
		.amdhsa_user_sgpr_count 2
		.amdhsa_user_sgpr_dispatch_ptr 0
		.amdhsa_user_sgpr_queue_ptr 0
		.amdhsa_user_sgpr_kernarg_segment_ptr 1
		.amdhsa_user_sgpr_dispatch_id 0
		.amdhsa_user_sgpr_kernarg_preload_length 0
		.amdhsa_user_sgpr_kernarg_preload_offset 0
		.amdhsa_user_sgpr_private_segment_size 0
		.amdhsa_uses_dynamic_stack 0
		.amdhsa_enable_private_segment 0
		.amdhsa_system_sgpr_workgroup_id_x 1
		.amdhsa_system_sgpr_workgroup_id_y 0
		.amdhsa_system_sgpr_workgroup_id_z 0
		.amdhsa_system_sgpr_workgroup_info 0
		.amdhsa_system_vgpr_workitem_id 0
		.amdhsa_next_free_vgpr 1
		.amdhsa_next_free_sgpr 0
		.amdhsa_accum_offset 4
		.amdhsa_reserve_vcc 0
		.amdhsa_float_round_mode_32 0
		.amdhsa_float_round_mode_16_64 0
		.amdhsa_float_denorm_mode_32 3
		.amdhsa_float_denorm_mode_16_64 3
		.amdhsa_dx10_clamp 1
		.amdhsa_ieee_mode 1
		.amdhsa_fp16_overflow 0
		.amdhsa_tg_split 0
		.amdhsa_exception_fp_ieee_invalid_op 0
		.amdhsa_exception_fp_denorm_src 0
		.amdhsa_exception_fp_ieee_div_zero 0
		.amdhsa_exception_fp_ieee_overflow 0
		.amdhsa_exception_fp_ieee_underflow 0
		.amdhsa_exception_fp_ieee_inexact 0
		.amdhsa_exception_int_div_zero 0
	.end_amdhsa_kernel
	.section	.text._ZN7rocprim17ROCPRIM_400000_NS6detail17trampoline_kernelINS0_14default_configENS1_25partition_config_selectorILNS1_17partition_subalgoE8ElNS0_10empty_typeEbEEZZNS1_14partition_implILS5_8ELb0ES3_jPlPS6_PKS6_NS0_5tupleIJS9_S6_EEENSD_IJSA_SA_EEENS0_18inequality_wrapperIZN2at6native12_GLOBAL__N_124unique_dim_cuda_templateIaEESt5tupleIJNSH_6TensorESM_SM_EERKSM_lbbbEUlllE0_EEPmJS6_EEE10hipError_tPvRmT3_T4_T5_T6_T7_T9_mT8_P12ihipStream_tbDpT10_ENKUlT_T0_E_clISt17integral_constantIbLb0EES1C_EEDaS17_S18_EUlS17_E_NS1_11comp_targetILNS1_3genE9ELNS1_11target_archE1100ELNS1_3gpuE3ELNS1_3repE0EEENS1_30default_config_static_selectorELNS0_4arch9wavefront6targetE1EEEvT1_,"axG",@progbits,_ZN7rocprim17ROCPRIM_400000_NS6detail17trampoline_kernelINS0_14default_configENS1_25partition_config_selectorILNS1_17partition_subalgoE8ElNS0_10empty_typeEbEEZZNS1_14partition_implILS5_8ELb0ES3_jPlPS6_PKS6_NS0_5tupleIJS9_S6_EEENSD_IJSA_SA_EEENS0_18inequality_wrapperIZN2at6native12_GLOBAL__N_124unique_dim_cuda_templateIaEESt5tupleIJNSH_6TensorESM_SM_EERKSM_lbbbEUlllE0_EEPmJS6_EEE10hipError_tPvRmT3_T4_T5_T6_T7_T9_mT8_P12ihipStream_tbDpT10_ENKUlT_T0_E_clISt17integral_constantIbLb0EES1C_EEDaS17_S18_EUlS17_E_NS1_11comp_targetILNS1_3genE9ELNS1_11target_archE1100ELNS1_3gpuE3ELNS1_3repE0EEENS1_30default_config_static_selectorELNS0_4arch9wavefront6targetE1EEEvT1_,comdat
.Lfunc_end327:
	.size	_ZN7rocprim17ROCPRIM_400000_NS6detail17trampoline_kernelINS0_14default_configENS1_25partition_config_selectorILNS1_17partition_subalgoE8ElNS0_10empty_typeEbEEZZNS1_14partition_implILS5_8ELb0ES3_jPlPS6_PKS6_NS0_5tupleIJS9_S6_EEENSD_IJSA_SA_EEENS0_18inequality_wrapperIZN2at6native12_GLOBAL__N_124unique_dim_cuda_templateIaEESt5tupleIJNSH_6TensorESM_SM_EERKSM_lbbbEUlllE0_EEPmJS6_EEE10hipError_tPvRmT3_T4_T5_T6_T7_T9_mT8_P12ihipStream_tbDpT10_ENKUlT_T0_E_clISt17integral_constantIbLb0EES1C_EEDaS17_S18_EUlS17_E_NS1_11comp_targetILNS1_3genE9ELNS1_11target_archE1100ELNS1_3gpuE3ELNS1_3repE0EEENS1_30default_config_static_selectorELNS0_4arch9wavefront6targetE1EEEvT1_, .Lfunc_end327-_ZN7rocprim17ROCPRIM_400000_NS6detail17trampoline_kernelINS0_14default_configENS1_25partition_config_selectorILNS1_17partition_subalgoE8ElNS0_10empty_typeEbEEZZNS1_14partition_implILS5_8ELb0ES3_jPlPS6_PKS6_NS0_5tupleIJS9_S6_EEENSD_IJSA_SA_EEENS0_18inequality_wrapperIZN2at6native12_GLOBAL__N_124unique_dim_cuda_templateIaEESt5tupleIJNSH_6TensorESM_SM_EERKSM_lbbbEUlllE0_EEPmJS6_EEE10hipError_tPvRmT3_T4_T5_T6_T7_T9_mT8_P12ihipStream_tbDpT10_ENKUlT_T0_E_clISt17integral_constantIbLb0EES1C_EEDaS17_S18_EUlS17_E_NS1_11comp_targetILNS1_3genE9ELNS1_11target_archE1100ELNS1_3gpuE3ELNS1_3repE0EEENS1_30default_config_static_selectorELNS0_4arch9wavefront6targetE1EEEvT1_
                                        ; -- End function
	.section	.AMDGPU.csdata,"",@progbits
; Kernel info:
; codeLenInByte = 0
; NumSgprs: 6
; NumVgprs: 0
; NumAgprs: 0
; TotalNumVgprs: 0
; ScratchSize: 0
; MemoryBound: 0
; FloatMode: 240
; IeeeMode: 1
; LDSByteSize: 0 bytes/workgroup (compile time only)
; SGPRBlocks: 0
; VGPRBlocks: 0
; NumSGPRsForWavesPerEU: 6
; NumVGPRsForWavesPerEU: 1
; AccumOffset: 4
; Occupancy: 8
; WaveLimiterHint : 0
; COMPUTE_PGM_RSRC2:SCRATCH_EN: 0
; COMPUTE_PGM_RSRC2:USER_SGPR: 2
; COMPUTE_PGM_RSRC2:TRAP_HANDLER: 0
; COMPUTE_PGM_RSRC2:TGID_X_EN: 1
; COMPUTE_PGM_RSRC2:TGID_Y_EN: 0
; COMPUTE_PGM_RSRC2:TGID_Z_EN: 0
; COMPUTE_PGM_RSRC2:TIDIG_COMP_CNT: 0
; COMPUTE_PGM_RSRC3_GFX90A:ACCUM_OFFSET: 0
; COMPUTE_PGM_RSRC3_GFX90A:TG_SPLIT: 0
	.section	.text._ZN7rocprim17ROCPRIM_400000_NS6detail17trampoline_kernelINS0_14default_configENS1_25partition_config_selectorILNS1_17partition_subalgoE8ElNS0_10empty_typeEbEEZZNS1_14partition_implILS5_8ELb0ES3_jPlPS6_PKS6_NS0_5tupleIJS9_S6_EEENSD_IJSA_SA_EEENS0_18inequality_wrapperIZN2at6native12_GLOBAL__N_124unique_dim_cuda_templateIaEESt5tupleIJNSH_6TensorESM_SM_EERKSM_lbbbEUlllE0_EEPmJS6_EEE10hipError_tPvRmT3_T4_T5_T6_T7_T9_mT8_P12ihipStream_tbDpT10_ENKUlT_T0_E_clISt17integral_constantIbLb0EES1C_EEDaS17_S18_EUlS17_E_NS1_11comp_targetILNS1_3genE8ELNS1_11target_archE1030ELNS1_3gpuE2ELNS1_3repE0EEENS1_30default_config_static_selectorELNS0_4arch9wavefront6targetE1EEEvT1_,"axG",@progbits,_ZN7rocprim17ROCPRIM_400000_NS6detail17trampoline_kernelINS0_14default_configENS1_25partition_config_selectorILNS1_17partition_subalgoE8ElNS0_10empty_typeEbEEZZNS1_14partition_implILS5_8ELb0ES3_jPlPS6_PKS6_NS0_5tupleIJS9_S6_EEENSD_IJSA_SA_EEENS0_18inequality_wrapperIZN2at6native12_GLOBAL__N_124unique_dim_cuda_templateIaEESt5tupleIJNSH_6TensorESM_SM_EERKSM_lbbbEUlllE0_EEPmJS6_EEE10hipError_tPvRmT3_T4_T5_T6_T7_T9_mT8_P12ihipStream_tbDpT10_ENKUlT_T0_E_clISt17integral_constantIbLb0EES1C_EEDaS17_S18_EUlS17_E_NS1_11comp_targetILNS1_3genE8ELNS1_11target_archE1030ELNS1_3gpuE2ELNS1_3repE0EEENS1_30default_config_static_selectorELNS0_4arch9wavefront6targetE1EEEvT1_,comdat
	.globl	_ZN7rocprim17ROCPRIM_400000_NS6detail17trampoline_kernelINS0_14default_configENS1_25partition_config_selectorILNS1_17partition_subalgoE8ElNS0_10empty_typeEbEEZZNS1_14partition_implILS5_8ELb0ES3_jPlPS6_PKS6_NS0_5tupleIJS9_S6_EEENSD_IJSA_SA_EEENS0_18inequality_wrapperIZN2at6native12_GLOBAL__N_124unique_dim_cuda_templateIaEESt5tupleIJNSH_6TensorESM_SM_EERKSM_lbbbEUlllE0_EEPmJS6_EEE10hipError_tPvRmT3_T4_T5_T6_T7_T9_mT8_P12ihipStream_tbDpT10_ENKUlT_T0_E_clISt17integral_constantIbLb0EES1C_EEDaS17_S18_EUlS17_E_NS1_11comp_targetILNS1_3genE8ELNS1_11target_archE1030ELNS1_3gpuE2ELNS1_3repE0EEENS1_30default_config_static_selectorELNS0_4arch9wavefront6targetE1EEEvT1_ ; -- Begin function _ZN7rocprim17ROCPRIM_400000_NS6detail17trampoline_kernelINS0_14default_configENS1_25partition_config_selectorILNS1_17partition_subalgoE8ElNS0_10empty_typeEbEEZZNS1_14partition_implILS5_8ELb0ES3_jPlPS6_PKS6_NS0_5tupleIJS9_S6_EEENSD_IJSA_SA_EEENS0_18inequality_wrapperIZN2at6native12_GLOBAL__N_124unique_dim_cuda_templateIaEESt5tupleIJNSH_6TensorESM_SM_EERKSM_lbbbEUlllE0_EEPmJS6_EEE10hipError_tPvRmT3_T4_T5_T6_T7_T9_mT8_P12ihipStream_tbDpT10_ENKUlT_T0_E_clISt17integral_constantIbLb0EES1C_EEDaS17_S18_EUlS17_E_NS1_11comp_targetILNS1_3genE8ELNS1_11target_archE1030ELNS1_3gpuE2ELNS1_3repE0EEENS1_30default_config_static_selectorELNS0_4arch9wavefront6targetE1EEEvT1_
	.p2align	8
	.type	_ZN7rocprim17ROCPRIM_400000_NS6detail17trampoline_kernelINS0_14default_configENS1_25partition_config_selectorILNS1_17partition_subalgoE8ElNS0_10empty_typeEbEEZZNS1_14partition_implILS5_8ELb0ES3_jPlPS6_PKS6_NS0_5tupleIJS9_S6_EEENSD_IJSA_SA_EEENS0_18inequality_wrapperIZN2at6native12_GLOBAL__N_124unique_dim_cuda_templateIaEESt5tupleIJNSH_6TensorESM_SM_EERKSM_lbbbEUlllE0_EEPmJS6_EEE10hipError_tPvRmT3_T4_T5_T6_T7_T9_mT8_P12ihipStream_tbDpT10_ENKUlT_T0_E_clISt17integral_constantIbLb0EES1C_EEDaS17_S18_EUlS17_E_NS1_11comp_targetILNS1_3genE8ELNS1_11target_archE1030ELNS1_3gpuE2ELNS1_3repE0EEENS1_30default_config_static_selectorELNS0_4arch9wavefront6targetE1EEEvT1_,@function
_ZN7rocprim17ROCPRIM_400000_NS6detail17trampoline_kernelINS0_14default_configENS1_25partition_config_selectorILNS1_17partition_subalgoE8ElNS0_10empty_typeEbEEZZNS1_14partition_implILS5_8ELb0ES3_jPlPS6_PKS6_NS0_5tupleIJS9_S6_EEENSD_IJSA_SA_EEENS0_18inequality_wrapperIZN2at6native12_GLOBAL__N_124unique_dim_cuda_templateIaEESt5tupleIJNSH_6TensorESM_SM_EERKSM_lbbbEUlllE0_EEPmJS6_EEE10hipError_tPvRmT3_T4_T5_T6_T7_T9_mT8_P12ihipStream_tbDpT10_ENKUlT_T0_E_clISt17integral_constantIbLb0EES1C_EEDaS17_S18_EUlS17_E_NS1_11comp_targetILNS1_3genE8ELNS1_11target_archE1030ELNS1_3gpuE2ELNS1_3repE0EEENS1_30default_config_static_selectorELNS0_4arch9wavefront6targetE1EEEvT1_: ; @_ZN7rocprim17ROCPRIM_400000_NS6detail17trampoline_kernelINS0_14default_configENS1_25partition_config_selectorILNS1_17partition_subalgoE8ElNS0_10empty_typeEbEEZZNS1_14partition_implILS5_8ELb0ES3_jPlPS6_PKS6_NS0_5tupleIJS9_S6_EEENSD_IJSA_SA_EEENS0_18inequality_wrapperIZN2at6native12_GLOBAL__N_124unique_dim_cuda_templateIaEESt5tupleIJNSH_6TensorESM_SM_EERKSM_lbbbEUlllE0_EEPmJS6_EEE10hipError_tPvRmT3_T4_T5_T6_T7_T9_mT8_P12ihipStream_tbDpT10_ENKUlT_T0_E_clISt17integral_constantIbLb0EES1C_EEDaS17_S18_EUlS17_E_NS1_11comp_targetILNS1_3genE8ELNS1_11target_archE1030ELNS1_3gpuE2ELNS1_3repE0EEENS1_30default_config_static_selectorELNS0_4arch9wavefront6targetE1EEEvT1_
; %bb.0:
	.section	.rodata,"a",@progbits
	.p2align	6, 0x0
	.amdhsa_kernel _ZN7rocprim17ROCPRIM_400000_NS6detail17trampoline_kernelINS0_14default_configENS1_25partition_config_selectorILNS1_17partition_subalgoE8ElNS0_10empty_typeEbEEZZNS1_14partition_implILS5_8ELb0ES3_jPlPS6_PKS6_NS0_5tupleIJS9_S6_EEENSD_IJSA_SA_EEENS0_18inequality_wrapperIZN2at6native12_GLOBAL__N_124unique_dim_cuda_templateIaEESt5tupleIJNSH_6TensorESM_SM_EERKSM_lbbbEUlllE0_EEPmJS6_EEE10hipError_tPvRmT3_T4_T5_T6_T7_T9_mT8_P12ihipStream_tbDpT10_ENKUlT_T0_E_clISt17integral_constantIbLb0EES1C_EEDaS17_S18_EUlS17_E_NS1_11comp_targetILNS1_3genE8ELNS1_11target_archE1030ELNS1_3gpuE2ELNS1_3repE0EEENS1_30default_config_static_selectorELNS0_4arch9wavefront6targetE1EEEvT1_
		.amdhsa_group_segment_fixed_size 0
		.amdhsa_private_segment_fixed_size 0
		.amdhsa_kernarg_size 120
		.amdhsa_user_sgpr_count 2
		.amdhsa_user_sgpr_dispatch_ptr 0
		.amdhsa_user_sgpr_queue_ptr 0
		.amdhsa_user_sgpr_kernarg_segment_ptr 1
		.amdhsa_user_sgpr_dispatch_id 0
		.amdhsa_user_sgpr_kernarg_preload_length 0
		.amdhsa_user_sgpr_kernarg_preload_offset 0
		.amdhsa_user_sgpr_private_segment_size 0
		.amdhsa_uses_dynamic_stack 0
		.amdhsa_enable_private_segment 0
		.amdhsa_system_sgpr_workgroup_id_x 1
		.amdhsa_system_sgpr_workgroup_id_y 0
		.amdhsa_system_sgpr_workgroup_id_z 0
		.amdhsa_system_sgpr_workgroup_info 0
		.amdhsa_system_vgpr_workitem_id 0
		.amdhsa_next_free_vgpr 1
		.amdhsa_next_free_sgpr 0
		.amdhsa_accum_offset 4
		.amdhsa_reserve_vcc 0
		.amdhsa_float_round_mode_32 0
		.amdhsa_float_round_mode_16_64 0
		.amdhsa_float_denorm_mode_32 3
		.amdhsa_float_denorm_mode_16_64 3
		.amdhsa_dx10_clamp 1
		.amdhsa_ieee_mode 1
		.amdhsa_fp16_overflow 0
		.amdhsa_tg_split 0
		.amdhsa_exception_fp_ieee_invalid_op 0
		.amdhsa_exception_fp_denorm_src 0
		.amdhsa_exception_fp_ieee_div_zero 0
		.amdhsa_exception_fp_ieee_overflow 0
		.amdhsa_exception_fp_ieee_underflow 0
		.amdhsa_exception_fp_ieee_inexact 0
		.amdhsa_exception_int_div_zero 0
	.end_amdhsa_kernel
	.section	.text._ZN7rocprim17ROCPRIM_400000_NS6detail17trampoline_kernelINS0_14default_configENS1_25partition_config_selectorILNS1_17partition_subalgoE8ElNS0_10empty_typeEbEEZZNS1_14partition_implILS5_8ELb0ES3_jPlPS6_PKS6_NS0_5tupleIJS9_S6_EEENSD_IJSA_SA_EEENS0_18inequality_wrapperIZN2at6native12_GLOBAL__N_124unique_dim_cuda_templateIaEESt5tupleIJNSH_6TensorESM_SM_EERKSM_lbbbEUlllE0_EEPmJS6_EEE10hipError_tPvRmT3_T4_T5_T6_T7_T9_mT8_P12ihipStream_tbDpT10_ENKUlT_T0_E_clISt17integral_constantIbLb0EES1C_EEDaS17_S18_EUlS17_E_NS1_11comp_targetILNS1_3genE8ELNS1_11target_archE1030ELNS1_3gpuE2ELNS1_3repE0EEENS1_30default_config_static_selectorELNS0_4arch9wavefront6targetE1EEEvT1_,"axG",@progbits,_ZN7rocprim17ROCPRIM_400000_NS6detail17trampoline_kernelINS0_14default_configENS1_25partition_config_selectorILNS1_17partition_subalgoE8ElNS0_10empty_typeEbEEZZNS1_14partition_implILS5_8ELb0ES3_jPlPS6_PKS6_NS0_5tupleIJS9_S6_EEENSD_IJSA_SA_EEENS0_18inequality_wrapperIZN2at6native12_GLOBAL__N_124unique_dim_cuda_templateIaEESt5tupleIJNSH_6TensorESM_SM_EERKSM_lbbbEUlllE0_EEPmJS6_EEE10hipError_tPvRmT3_T4_T5_T6_T7_T9_mT8_P12ihipStream_tbDpT10_ENKUlT_T0_E_clISt17integral_constantIbLb0EES1C_EEDaS17_S18_EUlS17_E_NS1_11comp_targetILNS1_3genE8ELNS1_11target_archE1030ELNS1_3gpuE2ELNS1_3repE0EEENS1_30default_config_static_selectorELNS0_4arch9wavefront6targetE1EEEvT1_,comdat
.Lfunc_end328:
	.size	_ZN7rocprim17ROCPRIM_400000_NS6detail17trampoline_kernelINS0_14default_configENS1_25partition_config_selectorILNS1_17partition_subalgoE8ElNS0_10empty_typeEbEEZZNS1_14partition_implILS5_8ELb0ES3_jPlPS6_PKS6_NS0_5tupleIJS9_S6_EEENSD_IJSA_SA_EEENS0_18inequality_wrapperIZN2at6native12_GLOBAL__N_124unique_dim_cuda_templateIaEESt5tupleIJNSH_6TensorESM_SM_EERKSM_lbbbEUlllE0_EEPmJS6_EEE10hipError_tPvRmT3_T4_T5_T6_T7_T9_mT8_P12ihipStream_tbDpT10_ENKUlT_T0_E_clISt17integral_constantIbLb0EES1C_EEDaS17_S18_EUlS17_E_NS1_11comp_targetILNS1_3genE8ELNS1_11target_archE1030ELNS1_3gpuE2ELNS1_3repE0EEENS1_30default_config_static_selectorELNS0_4arch9wavefront6targetE1EEEvT1_, .Lfunc_end328-_ZN7rocprim17ROCPRIM_400000_NS6detail17trampoline_kernelINS0_14default_configENS1_25partition_config_selectorILNS1_17partition_subalgoE8ElNS0_10empty_typeEbEEZZNS1_14partition_implILS5_8ELb0ES3_jPlPS6_PKS6_NS0_5tupleIJS9_S6_EEENSD_IJSA_SA_EEENS0_18inequality_wrapperIZN2at6native12_GLOBAL__N_124unique_dim_cuda_templateIaEESt5tupleIJNSH_6TensorESM_SM_EERKSM_lbbbEUlllE0_EEPmJS6_EEE10hipError_tPvRmT3_T4_T5_T6_T7_T9_mT8_P12ihipStream_tbDpT10_ENKUlT_T0_E_clISt17integral_constantIbLb0EES1C_EEDaS17_S18_EUlS17_E_NS1_11comp_targetILNS1_3genE8ELNS1_11target_archE1030ELNS1_3gpuE2ELNS1_3repE0EEENS1_30default_config_static_selectorELNS0_4arch9wavefront6targetE1EEEvT1_
                                        ; -- End function
	.section	.AMDGPU.csdata,"",@progbits
; Kernel info:
; codeLenInByte = 0
; NumSgprs: 6
; NumVgprs: 0
; NumAgprs: 0
; TotalNumVgprs: 0
; ScratchSize: 0
; MemoryBound: 0
; FloatMode: 240
; IeeeMode: 1
; LDSByteSize: 0 bytes/workgroup (compile time only)
; SGPRBlocks: 0
; VGPRBlocks: 0
; NumSGPRsForWavesPerEU: 6
; NumVGPRsForWavesPerEU: 1
; AccumOffset: 4
; Occupancy: 8
; WaveLimiterHint : 0
; COMPUTE_PGM_RSRC2:SCRATCH_EN: 0
; COMPUTE_PGM_RSRC2:USER_SGPR: 2
; COMPUTE_PGM_RSRC2:TRAP_HANDLER: 0
; COMPUTE_PGM_RSRC2:TGID_X_EN: 1
; COMPUTE_PGM_RSRC2:TGID_Y_EN: 0
; COMPUTE_PGM_RSRC2:TGID_Z_EN: 0
; COMPUTE_PGM_RSRC2:TIDIG_COMP_CNT: 0
; COMPUTE_PGM_RSRC3_GFX90A:ACCUM_OFFSET: 0
; COMPUTE_PGM_RSRC3_GFX90A:TG_SPLIT: 0
	.section	.text._ZN7rocprim17ROCPRIM_400000_NS6detail17trampoline_kernelINS0_14default_configENS1_25partition_config_selectorILNS1_17partition_subalgoE8ElNS0_10empty_typeEbEEZZNS1_14partition_implILS5_8ELb0ES3_jPlPS6_PKS6_NS0_5tupleIJS9_S6_EEENSD_IJSA_SA_EEENS0_18inequality_wrapperIZN2at6native12_GLOBAL__N_124unique_dim_cuda_templateIaEESt5tupleIJNSH_6TensorESM_SM_EERKSM_lbbbEUlllE0_EEPmJS6_EEE10hipError_tPvRmT3_T4_T5_T6_T7_T9_mT8_P12ihipStream_tbDpT10_ENKUlT_T0_E_clISt17integral_constantIbLb1EES1C_EEDaS17_S18_EUlS17_E_NS1_11comp_targetILNS1_3genE0ELNS1_11target_archE4294967295ELNS1_3gpuE0ELNS1_3repE0EEENS1_30default_config_static_selectorELNS0_4arch9wavefront6targetE1EEEvT1_,"axG",@progbits,_ZN7rocprim17ROCPRIM_400000_NS6detail17trampoline_kernelINS0_14default_configENS1_25partition_config_selectorILNS1_17partition_subalgoE8ElNS0_10empty_typeEbEEZZNS1_14partition_implILS5_8ELb0ES3_jPlPS6_PKS6_NS0_5tupleIJS9_S6_EEENSD_IJSA_SA_EEENS0_18inequality_wrapperIZN2at6native12_GLOBAL__N_124unique_dim_cuda_templateIaEESt5tupleIJNSH_6TensorESM_SM_EERKSM_lbbbEUlllE0_EEPmJS6_EEE10hipError_tPvRmT3_T4_T5_T6_T7_T9_mT8_P12ihipStream_tbDpT10_ENKUlT_T0_E_clISt17integral_constantIbLb1EES1C_EEDaS17_S18_EUlS17_E_NS1_11comp_targetILNS1_3genE0ELNS1_11target_archE4294967295ELNS1_3gpuE0ELNS1_3repE0EEENS1_30default_config_static_selectorELNS0_4arch9wavefront6targetE1EEEvT1_,comdat
	.globl	_ZN7rocprim17ROCPRIM_400000_NS6detail17trampoline_kernelINS0_14default_configENS1_25partition_config_selectorILNS1_17partition_subalgoE8ElNS0_10empty_typeEbEEZZNS1_14partition_implILS5_8ELb0ES3_jPlPS6_PKS6_NS0_5tupleIJS9_S6_EEENSD_IJSA_SA_EEENS0_18inequality_wrapperIZN2at6native12_GLOBAL__N_124unique_dim_cuda_templateIaEESt5tupleIJNSH_6TensorESM_SM_EERKSM_lbbbEUlllE0_EEPmJS6_EEE10hipError_tPvRmT3_T4_T5_T6_T7_T9_mT8_P12ihipStream_tbDpT10_ENKUlT_T0_E_clISt17integral_constantIbLb1EES1C_EEDaS17_S18_EUlS17_E_NS1_11comp_targetILNS1_3genE0ELNS1_11target_archE4294967295ELNS1_3gpuE0ELNS1_3repE0EEENS1_30default_config_static_selectorELNS0_4arch9wavefront6targetE1EEEvT1_ ; -- Begin function _ZN7rocprim17ROCPRIM_400000_NS6detail17trampoline_kernelINS0_14default_configENS1_25partition_config_selectorILNS1_17partition_subalgoE8ElNS0_10empty_typeEbEEZZNS1_14partition_implILS5_8ELb0ES3_jPlPS6_PKS6_NS0_5tupleIJS9_S6_EEENSD_IJSA_SA_EEENS0_18inequality_wrapperIZN2at6native12_GLOBAL__N_124unique_dim_cuda_templateIaEESt5tupleIJNSH_6TensorESM_SM_EERKSM_lbbbEUlllE0_EEPmJS6_EEE10hipError_tPvRmT3_T4_T5_T6_T7_T9_mT8_P12ihipStream_tbDpT10_ENKUlT_T0_E_clISt17integral_constantIbLb1EES1C_EEDaS17_S18_EUlS17_E_NS1_11comp_targetILNS1_3genE0ELNS1_11target_archE4294967295ELNS1_3gpuE0ELNS1_3repE0EEENS1_30default_config_static_selectorELNS0_4arch9wavefront6targetE1EEEvT1_
	.p2align	8
	.type	_ZN7rocprim17ROCPRIM_400000_NS6detail17trampoline_kernelINS0_14default_configENS1_25partition_config_selectorILNS1_17partition_subalgoE8ElNS0_10empty_typeEbEEZZNS1_14partition_implILS5_8ELb0ES3_jPlPS6_PKS6_NS0_5tupleIJS9_S6_EEENSD_IJSA_SA_EEENS0_18inequality_wrapperIZN2at6native12_GLOBAL__N_124unique_dim_cuda_templateIaEESt5tupleIJNSH_6TensorESM_SM_EERKSM_lbbbEUlllE0_EEPmJS6_EEE10hipError_tPvRmT3_T4_T5_T6_T7_T9_mT8_P12ihipStream_tbDpT10_ENKUlT_T0_E_clISt17integral_constantIbLb1EES1C_EEDaS17_S18_EUlS17_E_NS1_11comp_targetILNS1_3genE0ELNS1_11target_archE4294967295ELNS1_3gpuE0ELNS1_3repE0EEENS1_30default_config_static_selectorELNS0_4arch9wavefront6targetE1EEEvT1_,@function
_ZN7rocprim17ROCPRIM_400000_NS6detail17trampoline_kernelINS0_14default_configENS1_25partition_config_selectorILNS1_17partition_subalgoE8ElNS0_10empty_typeEbEEZZNS1_14partition_implILS5_8ELb0ES3_jPlPS6_PKS6_NS0_5tupleIJS9_S6_EEENSD_IJSA_SA_EEENS0_18inequality_wrapperIZN2at6native12_GLOBAL__N_124unique_dim_cuda_templateIaEESt5tupleIJNSH_6TensorESM_SM_EERKSM_lbbbEUlllE0_EEPmJS6_EEE10hipError_tPvRmT3_T4_T5_T6_T7_T9_mT8_P12ihipStream_tbDpT10_ENKUlT_T0_E_clISt17integral_constantIbLb1EES1C_EEDaS17_S18_EUlS17_E_NS1_11comp_targetILNS1_3genE0ELNS1_11target_archE4294967295ELNS1_3gpuE0ELNS1_3repE0EEENS1_30default_config_static_selectorELNS0_4arch9wavefront6targetE1EEEvT1_: ; @_ZN7rocprim17ROCPRIM_400000_NS6detail17trampoline_kernelINS0_14default_configENS1_25partition_config_selectorILNS1_17partition_subalgoE8ElNS0_10empty_typeEbEEZZNS1_14partition_implILS5_8ELb0ES3_jPlPS6_PKS6_NS0_5tupleIJS9_S6_EEENSD_IJSA_SA_EEENS0_18inequality_wrapperIZN2at6native12_GLOBAL__N_124unique_dim_cuda_templateIaEESt5tupleIJNSH_6TensorESM_SM_EERKSM_lbbbEUlllE0_EEPmJS6_EEE10hipError_tPvRmT3_T4_T5_T6_T7_T9_mT8_P12ihipStream_tbDpT10_ENKUlT_T0_E_clISt17integral_constantIbLb1EES1C_EEDaS17_S18_EUlS17_E_NS1_11comp_targetILNS1_3genE0ELNS1_11target_archE4294967295ELNS1_3gpuE0ELNS1_3repE0EEENS1_30default_config_static_selectorELNS0_4arch9wavefront6targetE1EEEvT1_
; %bb.0:
	.section	.rodata,"a",@progbits
	.p2align	6, 0x0
	.amdhsa_kernel _ZN7rocprim17ROCPRIM_400000_NS6detail17trampoline_kernelINS0_14default_configENS1_25partition_config_selectorILNS1_17partition_subalgoE8ElNS0_10empty_typeEbEEZZNS1_14partition_implILS5_8ELb0ES3_jPlPS6_PKS6_NS0_5tupleIJS9_S6_EEENSD_IJSA_SA_EEENS0_18inequality_wrapperIZN2at6native12_GLOBAL__N_124unique_dim_cuda_templateIaEESt5tupleIJNSH_6TensorESM_SM_EERKSM_lbbbEUlllE0_EEPmJS6_EEE10hipError_tPvRmT3_T4_T5_T6_T7_T9_mT8_P12ihipStream_tbDpT10_ENKUlT_T0_E_clISt17integral_constantIbLb1EES1C_EEDaS17_S18_EUlS17_E_NS1_11comp_targetILNS1_3genE0ELNS1_11target_archE4294967295ELNS1_3gpuE0ELNS1_3repE0EEENS1_30default_config_static_selectorELNS0_4arch9wavefront6targetE1EEEvT1_
		.amdhsa_group_segment_fixed_size 0
		.amdhsa_private_segment_fixed_size 0
		.amdhsa_kernarg_size 136
		.amdhsa_user_sgpr_count 2
		.amdhsa_user_sgpr_dispatch_ptr 0
		.amdhsa_user_sgpr_queue_ptr 0
		.amdhsa_user_sgpr_kernarg_segment_ptr 1
		.amdhsa_user_sgpr_dispatch_id 0
		.amdhsa_user_sgpr_kernarg_preload_length 0
		.amdhsa_user_sgpr_kernarg_preload_offset 0
		.amdhsa_user_sgpr_private_segment_size 0
		.amdhsa_uses_dynamic_stack 0
		.amdhsa_enable_private_segment 0
		.amdhsa_system_sgpr_workgroup_id_x 1
		.amdhsa_system_sgpr_workgroup_id_y 0
		.amdhsa_system_sgpr_workgroup_id_z 0
		.amdhsa_system_sgpr_workgroup_info 0
		.amdhsa_system_vgpr_workitem_id 0
		.amdhsa_next_free_vgpr 1
		.amdhsa_next_free_sgpr 0
		.amdhsa_accum_offset 4
		.amdhsa_reserve_vcc 0
		.amdhsa_float_round_mode_32 0
		.amdhsa_float_round_mode_16_64 0
		.amdhsa_float_denorm_mode_32 3
		.amdhsa_float_denorm_mode_16_64 3
		.amdhsa_dx10_clamp 1
		.amdhsa_ieee_mode 1
		.amdhsa_fp16_overflow 0
		.amdhsa_tg_split 0
		.amdhsa_exception_fp_ieee_invalid_op 0
		.amdhsa_exception_fp_denorm_src 0
		.amdhsa_exception_fp_ieee_div_zero 0
		.amdhsa_exception_fp_ieee_overflow 0
		.amdhsa_exception_fp_ieee_underflow 0
		.amdhsa_exception_fp_ieee_inexact 0
		.amdhsa_exception_int_div_zero 0
	.end_amdhsa_kernel
	.section	.text._ZN7rocprim17ROCPRIM_400000_NS6detail17trampoline_kernelINS0_14default_configENS1_25partition_config_selectorILNS1_17partition_subalgoE8ElNS0_10empty_typeEbEEZZNS1_14partition_implILS5_8ELb0ES3_jPlPS6_PKS6_NS0_5tupleIJS9_S6_EEENSD_IJSA_SA_EEENS0_18inequality_wrapperIZN2at6native12_GLOBAL__N_124unique_dim_cuda_templateIaEESt5tupleIJNSH_6TensorESM_SM_EERKSM_lbbbEUlllE0_EEPmJS6_EEE10hipError_tPvRmT3_T4_T5_T6_T7_T9_mT8_P12ihipStream_tbDpT10_ENKUlT_T0_E_clISt17integral_constantIbLb1EES1C_EEDaS17_S18_EUlS17_E_NS1_11comp_targetILNS1_3genE0ELNS1_11target_archE4294967295ELNS1_3gpuE0ELNS1_3repE0EEENS1_30default_config_static_selectorELNS0_4arch9wavefront6targetE1EEEvT1_,"axG",@progbits,_ZN7rocprim17ROCPRIM_400000_NS6detail17trampoline_kernelINS0_14default_configENS1_25partition_config_selectorILNS1_17partition_subalgoE8ElNS0_10empty_typeEbEEZZNS1_14partition_implILS5_8ELb0ES3_jPlPS6_PKS6_NS0_5tupleIJS9_S6_EEENSD_IJSA_SA_EEENS0_18inequality_wrapperIZN2at6native12_GLOBAL__N_124unique_dim_cuda_templateIaEESt5tupleIJNSH_6TensorESM_SM_EERKSM_lbbbEUlllE0_EEPmJS6_EEE10hipError_tPvRmT3_T4_T5_T6_T7_T9_mT8_P12ihipStream_tbDpT10_ENKUlT_T0_E_clISt17integral_constantIbLb1EES1C_EEDaS17_S18_EUlS17_E_NS1_11comp_targetILNS1_3genE0ELNS1_11target_archE4294967295ELNS1_3gpuE0ELNS1_3repE0EEENS1_30default_config_static_selectorELNS0_4arch9wavefront6targetE1EEEvT1_,comdat
.Lfunc_end329:
	.size	_ZN7rocprim17ROCPRIM_400000_NS6detail17trampoline_kernelINS0_14default_configENS1_25partition_config_selectorILNS1_17partition_subalgoE8ElNS0_10empty_typeEbEEZZNS1_14partition_implILS5_8ELb0ES3_jPlPS6_PKS6_NS0_5tupleIJS9_S6_EEENSD_IJSA_SA_EEENS0_18inequality_wrapperIZN2at6native12_GLOBAL__N_124unique_dim_cuda_templateIaEESt5tupleIJNSH_6TensorESM_SM_EERKSM_lbbbEUlllE0_EEPmJS6_EEE10hipError_tPvRmT3_T4_T5_T6_T7_T9_mT8_P12ihipStream_tbDpT10_ENKUlT_T0_E_clISt17integral_constantIbLb1EES1C_EEDaS17_S18_EUlS17_E_NS1_11comp_targetILNS1_3genE0ELNS1_11target_archE4294967295ELNS1_3gpuE0ELNS1_3repE0EEENS1_30default_config_static_selectorELNS0_4arch9wavefront6targetE1EEEvT1_, .Lfunc_end329-_ZN7rocprim17ROCPRIM_400000_NS6detail17trampoline_kernelINS0_14default_configENS1_25partition_config_selectorILNS1_17partition_subalgoE8ElNS0_10empty_typeEbEEZZNS1_14partition_implILS5_8ELb0ES3_jPlPS6_PKS6_NS0_5tupleIJS9_S6_EEENSD_IJSA_SA_EEENS0_18inequality_wrapperIZN2at6native12_GLOBAL__N_124unique_dim_cuda_templateIaEESt5tupleIJNSH_6TensorESM_SM_EERKSM_lbbbEUlllE0_EEPmJS6_EEE10hipError_tPvRmT3_T4_T5_T6_T7_T9_mT8_P12ihipStream_tbDpT10_ENKUlT_T0_E_clISt17integral_constantIbLb1EES1C_EEDaS17_S18_EUlS17_E_NS1_11comp_targetILNS1_3genE0ELNS1_11target_archE4294967295ELNS1_3gpuE0ELNS1_3repE0EEENS1_30default_config_static_selectorELNS0_4arch9wavefront6targetE1EEEvT1_
                                        ; -- End function
	.section	.AMDGPU.csdata,"",@progbits
; Kernel info:
; codeLenInByte = 0
; NumSgprs: 6
; NumVgprs: 0
; NumAgprs: 0
; TotalNumVgprs: 0
; ScratchSize: 0
; MemoryBound: 0
; FloatMode: 240
; IeeeMode: 1
; LDSByteSize: 0 bytes/workgroup (compile time only)
; SGPRBlocks: 0
; VGPRBlocks: 0
; NumSGPRsForWavesPerEU: 6
; NumVGPRsForWavesPerEU: 1
; AccumOffset: 4
; Occupancy: 8
; WaveLimiterHint : 0
; COMPUTE_PGM_RSRC2:SCRATCH_EN: 0
; COMPUTE_PGM_RSRC2:USER_SGPR: 2
; COMPUTE_PGM_RSRC2:TRAP_HANDLER: 0
; COMPUTE_PGM_RSRC2:TGID_X_EN: 1
; COMPUTE_PGM_RSRC2:TGID_Y_EN: 0
; COMPUTE_PGM_RSRC2:TGID_Z_EN: 0
; COMPUTE_PGM_RSRC2:TIDIG_COMP_CNT: 0
; COMPUTE_PGM_RSRC3_GFX90A:ACCUM_OFFSET: 0
; COMPUTE_PGM_RSRC3_GFX90A:TG_SPLIT: 0
	.section	.text._ZN7rocprim17ROCPRIM_400000_NS6detail17trampoline_kernelINS0_14default_configENS1_25partition_config_selectorILNS1_17partition_subalgoE8ElNS0_10empty_typeEbEEZZNS1_14partition_implILS5_8ELb0ES3_jPlPS6_PKS6_NS0_5tupleIJS9_S6_EEENSD_IJSA_SA_EEENS0_18inequality_wrapperIZN2at6native12_GLOBAL__N_124unique_dim_cuda_templateIaEESt5tupleIJNSH_6TensorESM_SM_EERKSM_lbbbEUlllE0_EEPmJS6_EEE10hipError_tPvRmT3_T4_T5_T6_T7_T9_mT8_P12ihipStream_tbDpT10_ENKUlT_T0_E_clISt17integral_constantIbLb1EES1C_EEDaS17_S18_EUlS17_E_NS1_11comp_targetILNS1_3genE5ELNS1_11target_archE942ELNS1_3gpuE9ELNS1_3repE0EEENS1_30default_config_static_selectorELNS0_4arch9wavefront6targetE1EEEvT1_,"axG",@progbits,_ZN7rocprim17ROCPRIM_400000_NS6detail17trampoline_kernelINS0_14default_configENS1_25partition_config_selectorILNS1_17partition_subalgoE8ElNS0_10empty_typeEbEEZZNS1_14partition_implILS5_8ELb0ES3_jPlPS6_PKS6_NS0_5tupleIJS9_S6_EEENSD_IJSA_SA_EEENS0_18inequality_wrapperIZN2at6native12_GLOBAL__N_124unique_dim_cuda_templateIaEESt5tupleIJNSH_6TensorESM_SM_EERKSM_lbbbEUlllE0_EEPmJS6_EEE10hipError_tPvRmT3_T4_T5_T6_T7_T9_mT8_P12ihipStream_tbDpT10_ENKUlT_T0_E_clISt17integral_constantIbLb1EES1C_EEDaS17_S18_EUlS17_E_NS1_11comp_targetILNS1_3genE5ELNS1_11target_archE942ELNS1_3gpuE9ELNS1_3repE0EEENS1_30default_config_static_selectorELNS0_4arch9wavefront6targetE1EEEvT1_,comdat
	.globl	_ZN7rocprim17ROCPRIM_400000_NS6detail17trampoline_kernelINS0_14default_configENS1_25partition_config_selectorILNS1_17partition_subalgoE8ElNS0_10empty_typeEbEEZZNS1_14partition_implILS5_8ELb0ES3_jPlPS6_PKS6_NS0_5tupleIJS9_S6_EEENSD_IJSA_SA_EEENS0_18inequality_wrapperIZN2at6native12_GLOBAL__N_124unique_dim_cuda_templateIaEESt5tupleIJNSH_6TensorESM_SM_EERKSM_lbbbEUlllE0_EEPmJS6_EEE10hipError_tPvRmT3_T4_T5_T6_T7_T9_mT8_P12ihipStream_tbDpT10_ENKUlT_T0_E_clISt17integral_constantIbLb1EES1C_EEDaS17_S18_EUlS17_E_NS1_11comp_targetILNS1_3genE5ELNS1_11target_archE942ELNS1_3gpuE9ELNS1_3repE0EEENS1_30default_config_static_selectorELNS0_4arch9wavefront6targetE1EEEvT1_ ; -- Begin function _ZN7rocprim17ROCPRIM_400000_NS6detail17trampoline_kernelINS0_14default_configENS1_25partition_config_selectorILNS1_17partition_subalgoE8ElNS0_10empty_typeEbEEZZNS1_14partition_implILS5_8ELb0ES3_jPlPS6_PKS6_NS0_5tupleIJS9_S6_EEENSD_IJSA_SA_EEENS0_18inequality_wrapperIZN2at6native12_GLOBAL__N_124unique_dim_cuda_templateIaEESt5tupleIJNSH_6TensorESM_SM_EERKSM_lbbbEUlllE0_EEPmJS6_EEE10hipError_tPvRmT3_T4_T5_T6_T7_T9_mT8_P12ihipStream_tbDpT10_ENKUlT_T0_E_clISt17integral_constantIbLb1EES1C_EEDaS17_S18_EUlS17_E_NS1_11comp_targetILNS1_3genE5ELNS1_11target_archE942ELNS1_3gpuE9ELNS1_3repE0EEENS1_30default_config_static_selectorELNS0_4arch9wavefront6targetE1EEEvT1_
	.p2align	8
	.type	_ZN7rocprim17ROCPRIM_400000_NS6detail17trampoline_kernelINS0_14default_configENS1_25partition_config_selectorILNS1_17partition_subalgoE8ElNS0_10empty_typeEbEEZZNS1_14partition_implILS5_8ELb0ES3_jPlPS6_PKS6_NS0_5tupleIJS9_S6_EEENSD_IJSA_SA_EEENS0_18inequality_wrapperIZN2at6native12_GLOBAL__N_124unique_dim_cuda_templateIaEESt5tupleIJNSH_6TensorESM_SM_EERKSM_lbbbEUlllE0_EEPmJS6_EEE10hipError_tPvRmT3_T4_T5_T6_T7_T9_mT8_P12ihipStream_tbDpT10_ENKUlT_T0_E_clISt17integral_constantIbLb1EES1C_EEDaS17_S18_EUlS17_E_NS1_11comp_targetILNS1_3genE5ELNS1_11target_archE942ELNS1_3gpuE9ELNS1_3repE0EEENS1_30default_config_static_selectorELNS0_4arch9wavefront6targetE1EEEvT1_,@function
_ZN7rocprim17ROCPRIM_400000_NS6detail17trampoline_kernelINS0_14default_configENS1_25partition_config_selectorILNS1_17partition_subalgoE8ElNS0_10empty_typeEbEEZZNS1_14partition_implILS5_8ELb0ES3_jPlPS6_PKS6_NS0_5tupleIJS9_S6_EEENSD_IJSA_SA_EEENS0_18inequality_wrapperIZN2at6native12_GLOBAL__N_124unique_dim_cuda_templateIaEESt5tupleIJNSH_6TensorESM_SM_EERKSM_lbbbEUlllE0_EEPmJS6_EEE10hipError_tPvRmT3_T4_T5_T6_T7_T9_mT8_P12ihipStream_tbDpT10_ENKUlT_T0_E_clISt17integral_constantIbLb1EES1C_EEDaS17_S18_EUlS17_E_NS1_11comp_targetILNS1_3genE5ELNS1_11target_archE942ELNS1_3gpuE9ELNS1_3repE0EEENS1_30default_config_static_selectorELNS0_4arch9wavefront6targetE1EEEvT1_: ; @_ZN7rocprim17ROCPRIM_400000_NS6detail17trampoline_kernelINS0_14default_configENS1_25partition_config_selectorILNS1_17partition_subalgoE8ElNS0_10empty_typeEbEEZZNS1_14partition_implILS5_8ELb0ES3_jPlPS6_PKS6_NS0_5tupleIJS9_S6_EEENSD_IJSA_SA_EEENS0_18inequality_wrapperIZN2at6native12_GLOBAL__N_124unique_dim_cuda_templateIaEESt5tupleIJNSH_6TensorESM_SM_EERKSM_lbbbEUlllE0_EEPmJS6_EEE10hipError_tPvRmT3_T4_T5_T6_T7_T9_mT8_P12ihipStream_tbDpT10_ENKUlT_T0_E_clISt17integral_constantIbLb1EES1C_EEDaS17_S18_EUlS17_E_NS1_11comp_targetILNS1_3genE5ELNS1_11target_archE942ELNS1_3gpuE9ELNS1_3repE0EEENS1_30default_config_static_selectorELNS0_4arch9wavefront6targetE1EEEvT1_
; %bb.0:
	s_load_dwordx2 s[34:35], s[0:1], 0x28
	s_load_dwordx8 s[20:27], s[0:1], 0x40
	s_load_dwordx4 s[28:31], s[0:1], 0x60
	v_cmp_ne_u32_e64 s[2:3], 0, v0
	v_cmp_eq_u32_e64 s[18:19], 0, v0
	s_and_saveexec_b64 s[4:5], s[18:19]
	s_cbranch_execz .LBB330_4
; %bb.1:
	s_mov_b64 s[8:9], exec
	v_mbcnt_lo_u32_b32 v1, s8, 0
	v_mbcnt_hi_u32_b32 v1, s9, v1
	v_cmp_eq_u32_e32 vcc, 0, v1
                                        ; implicit-def: $vgpr2
	s_and_saveexec_b64 s[6:7], vcc
	s_cbranch_execz .LBB330_3
; %bb.2:
	s_load_dwordx2 s[10:11], s[0:1], 0x78
	s_bcnt1_i32_b64 s8, s[8:9]
	v_mov_b32_e32 v2, 0
	v_mov_b32_e32 v3, s8
	s_waitcnt lgkmcnt(0)
	global_atomic_add v2, v2, v3, s[10:11] sc0
.LBB330_3:
	s_or_b64 exec, exec, s[6:7]
	s_waitcnt vmcnt(0)
	v_readfirstlane_b32 s6, v2
	v_mov_b32_e32 v2, 0
	s_nop 0
	v_add_u32_e32 v1, s6, v1
	ds_write_b32 v2, v1
.LBB330_4:
	s_or_b64 exec, exec, s[4:5]
	v_mov_b32_e32 v3, 0
	s_load_dwordx4 s[4:7], s[0:1], 0x8
	s_load_dword s10, s[0:1], 0x70
	s_waitcnt lgkmcnt(0)
	s_barrier
	ds_read_b32 v1, v3
	s_waitcnt lgkmcnt(0)
	s_barrier
	global_load_dwordx2 v[4:5], v3, s[22:23]
	s_lshl_b64 s[0:1], s[6:7], 3
	s_mul_i32 s12, s10, 0xe00
	s_add_u32 s0, s4, s0
	s_addc_u32 s1, s5, s1
	s_add_i32 s4, s12, s6
	s_add_i32 s10, s10, -1
	s_sub_i32 s52, s24, s4
	s_add_u32 s4, s6, s12
	s_movk_i32 s11, 0xe00
	s_addc_u32 s5, s7, 0
	v_readfirstlane_b32 s33, v1
	v_mov_b32_e32 v6, s24
	v_mov_b32_e32 v7, s25
	v_mul_lo_u32 v2, v1, s11
	s_cmp_eq_u32 s33, s10
	v_cmp_ge_u64_e32 vcc, s[4:5], v[6:7]
	v_lshlrev_b64 v[6:7], 3, v[2:3]
	s_cselect_b64 s[24:25], -1, 0
	v_lshl_add_u64 v[18:19], s[0:1], 0, v[6:7]
	s_and_b64 s[0:1], vcc, s[24:25]
	s_xor_b64 s[36:37], s[0:1], -1
	s_mov_b64 s[8:9], -1
	s_and_b64 vcc, exec, s[36:37]
	s_waitcnt vmcnt(0)
	v_readfirstlane_b32 s22, v4
	v_readfirstlane_b32 s23, v5
	s_cbranch_vccz .LBB330_6
; %bb.5:
	v_lshlrev_b32_e32 v2, 3, v0
	v_lshl_add_u64 v[4:5], v[18:19], 0, v[2:3]
	v_add_co_u32_e32 v8, vcc, 0x1000, v4
	v_readfirstlane_b32 s4, v18
	s_nop 0
	v_addc_co_u32_e32 v9, vcc, 0, v5, vcc
	v_add_co_u32_e32 v10, vcc, 0x2000, v4
	v_readfirstlane_b32 s5, v19
	s_nop 0
	v_addc_co_u32_e32 v11, vcc, 0, v5, vcc
	v_add_co_u32_e32 v12, vcc, 0x3000, v4
	s_mov_b64 s[8:9], 0
	s_nop 0
	v_addc_co_u32_e32 v13, vcc, 0, v5, vcc
	v_add_co_u32_e32 v14, vcc, 0x4000, v4
	global_load_dwordx2 v[6:7], v2, s[4:5]
	s_nop 0
	v_addc_co_u32_e32 v15, vcc, 0, v5, vcc
	global_load_dwordx2 v[16:17], v[8:9], off
	global_load_dwordx2 v[20:21], v[10:11], off
	;; [unrolled: 1-line block ×4, first 2 shown]
	v_add_co_u32_e32 v8, vcc, 0x5000, v4
	s_nop 1
	v_addc_co_u32_e32 v9, vcc, 0, v5, vcc
	v_add_co_u32_e32 v4, vcc, 0x6000, v4
	global_load_dwordx2 v[8:9], v[8:9], off
	s_nop 0
	v_addc_co_u32_e32 v5, vcc, 0, v5, vcc
	global_load_dwordx2 v[4:5], v[4:5], off
	s_waitcnt vmcnt(5)
	ds_write2st64_b64 v2, v[6:7], v[16:17] offset1:8
	s_waitcnt vmcnt(3)
	ds_write2st64_b64 v2, v[20:21], v[22:23] offset0:16 offset1:24
	s_waitcnt vmcnt(1)
	ds_write2st64_b64 v2, v[24:25], v[8:9] offset0:32 offset1:40
	s_waitcnt vmcnt(0)
	ds_write_b64 v2, v[4:5] offset:24576
	s_waitcnt lgkmcnt(0)
	s_barrier
.LBB330_6:
	s_andn2_b64 vcc, exec, s[8:9]
	s_addk_i32 s52, 0xe00
	s_cbranch_vccnz .LBB330_22
; %bb.7:
	v_cmp_gt_u32_e32 vcc, s52, v0
                                        ; implicit-def: $vgpr2_vgpr3_vgpr4_vgpr5_vgpr6_vgpr7_vgpr8_vgpr9_vgpr10_vgpr11_vgpr12_vgpr13_vgpr14_vgpr15_vgpr16_vgpr17
	s_and_saveexec_b64 s[4:5], vcc
	s_cbranch_execz .LBB330_9
; %bb.8:
	v_lshlrev_b32_e32 v1, 3, v0
	v_readfirstlane_b32 s8, v18
	v_readfirstlane_b32 s9, v19
	s_nop 4
	global_load_dwordx2 v[2:3], v1, s[8:9]
.LBB330_9:
	s_or_b64 exec, exec, s[4:5]
	v_or_b32_e32 v1, 0x200, v0
	v_cmp_gt_u32_e32 vcc, s52, v1
	s_and_saveexec_b64 s[4:5], vcc
	s_cbranch_execz .LBB330_11
; %bb.10:
	v_lshlrev_b32_e32 v1, 3, v1
	v_readfirstlane_b32 s8, v18
	v_readfirstlane_b32 s9, v19
	s_nop 4
	global_load_dwordx2 v[4:5], v1, s[8:9]
.LBB330_11:
	s_or_b64 exec, exec, s[4:5]
	v_or_b32_e32 v1, 0x400, v0
	v_cmp_gt_u32_e32 vcc, s52, v1
	;; [unrolled: 12-line block ×6, first 2 shown]
	s_and_saveexec_b64 s[4:5], vcc
	s_cbranch_execz .LBB330_21
; %bb.20:
	v_lshlrev_b32_e32 v1, 3, v1
	v_readfirstlane_b32 s8, v18
	v_readfirstlane_b32 s9, v19
	s_nop 4
	global_load_dwordx2 v[14:15], v1, s[8:9]
.LBB330_21:
	s_or_b64 exec, exec, s[4:5]
	v_lshlrev_b32_e32 v1, 3, v0
	s_waitcnt vmcnt(0)
	ds_write2st64_b64 v1, v[2:3], v[4:5] offset1:8
	ds_write2st64_b64 v1, v[6:7], v[8:9] offset0:16 offset1:24
	ds_write2st64_b64 v1, v[10:11], v[12:13] offset0:32 offset1:40
	ds_write_b64 v1, v[14:15] offset:24576
	s_waitcnt lgkmcnt(0)
	s_barrier
.LBB330_22:
	v_mul_u32_u24_e32 v1, 7, v0
	v_lshlrev_b32_e32 v30, 3, v1
	ds_read2_b64 v[10:13], v30 offset1:1
	ds_read2_b64 v[6:9], v30 offset0:2 offset1:3
	ds_read2_b64 v[2:5], v30 offset0:4 offset1:5
	ds_read_b64 v[14:15], v30 offset:48
	s_cmp_lg_u32 s33, 0
	s_cselect_b64 s[16:17], -1, 0
	s_cmp_lg_u64 s[6:7], 0
	s_cselect_b64 s[4:5], -1, 0
	s_or_b64 s[4:5], s[4:5], s[16:17]
	v_mad_u32_u24 v25, v0, 7, 1
	v_mad_u32_u24 v24, v0, 7, 2
	;; [unrolled: 1-line block ×6, first 2 shown]
	s_mov_b64 s[8:9], 0
	s_and_b64 vcc, exec, s[4:5]
	v_cmp_gt_i64_e64 s[4:5], s[26:27], 0
	s_waitcnt lgkmcnt(0)
	s_barrier
	s_cbranch_vccz .LBB330_31
; %bb.23:
	global_load_dwordx2 v[16:17], v[18:19], off offset:-8
	v_cndmask_b32_e64 v18, 0, 1, s[4:5]
	v_lshlrev_b32_e32 v31, 3, v0
	s_mov_b64 s[6:7], 0
	s_and_b64 vcc, exec, s[36:37]
	v_cmp_ne_u32_e64 s[4:5], 1, v18
	ds_write_b64 v31, v[14:15]
	s_cbranch_vccz .LBB330_33
; %bb.24:
	v_mul_lo_u32 v20, v5, s26
	v_mul_lo_u32 v21, v4, s27
	v_mad_u64_u32 v[18:19], s[8:9], v4, s26, 0
	v_add3_u32 v19, v19, v21, v20
	s_and_b64 vcc, exec, s[4:5]
	v_lshl_add_u64 v[18:19], s[28:29], 0, v[18:19]
	s_cbranch_vccnz .LBB330_36
; %bb.25:
	v_mov_b64_e32 v[20:21], s[28:29]
	v_mad_u64_u32 v[20:21], s[6:7], v14, s26, v[20:21]
	v_mul_lo_u32 v22, v14, s27
	v_mul_lo_u32 v23, v15, s26
	v_add3_u32 v21, v23, v21, v22
	global_load_ubyte v22, v[18:19], off
	global_load_ubyte v23, v[20:21], off
	s_mov_b64 s[6:7], -1
	s_waitcnt vmcnt(0)
	v_cmp_eq_u16_e32 vcc, v22, v23
	s_and_saveexec_b64 s[8:9], vcc
	s_cbranch_execz .LBB330_35
; %bb.26:
	s_mov_b64 s[12:13], 1
	s_mov_b64 s[6:7], 0
                                        ; implicit-def: $sgpr10_sgpr11
	s_branch .LBB330_29
.LBB330_27:                             ;   in Loop: Header=BB330_29 Depth=1
	v_lshl_add_u64 v[22:23], v[18:19], 0, s[12:13]
	v_lshl_add_u64 v[32:33], v[20:21], 0, s[12:13]
	global_load_ubyte v34, v[22:23], off
	global_load_ubyte v35, v[32:33], off
	s_add_u32 s14, s12, 1
	s_addc_u32 s15, s13, 0
	s_andn2_b64 s[10:11], s[10:11], exec
	s_waitcnt vmcnt(0)
	v_cmp_ne_u16_e32 vcc, v34, v35
	s_and_b64 s[38:39], vcc, exec
	s_or_b64 s[10:11], s[10:11], s[38:39]
.LBB330_28:                             ;   in Loop: Header=BB330_29 Depth=1
	s_and_b64 s[38:39], exec, s[10:11]
	s_or_b64 s[6:7], s[38:39], s[6:7]
	v_mov_b64_e32 v[22:23], s[12:13]
	s_mov_b64 s[12:13], s[14:15]
	s_andn2_b64 exec, exec, s[6:7]
	s_cbranch_execz .LBB330_34
.LBB330_29:                             ; =>This Inner Loop Header: Depth=1
	s_or_b64 s[10:11], s[10:11], exec
	s_cmp_eq_u64 s[26:27], s[12:13]
	s_cbranch_scc0 .LBB330_27
; %bb.30:                               ;   in Loop: Header=BB330_29 Depth=1
                                        ; implicit-def: $sgpr14_sgpr15
	s_mov_b64 s[12:13], s[26:27]
	s_branch .LBB330_28
.LBB330_31:
                                        ; implicit-def: $sgpr12_sgpr13
                                        ; implicit-def: $vgpr34
                                        ; implicit-def: $vgpr33
                                        ; implicit-def: $vgpr32
                                        ; implicit-def: $vgpr20
	s_branch .LBB330_174
.LBB330_32:
                                        ; implicit-def: $vgpr16_vgpr17
	s_branch .LBB330_322
.LBB330_33:
                                        ; implicit-def: $sgpr12_sgpr13
                                        ; implicit-def: $vgpr34
                                        ; implicit-def: $vgpr33
                                        ; implicit-def: $vgpr32
                                        ; implicit-def: $vgpr20
	s_cbranch_execnz .LBB330_93
	s_branch .LBB330_173
.LBB330_34:
	s_or_b64 exec, exec, s[6:7]
	v_cmp_gt_i64_e32 vcc, s[26:27], v[22:23]
	s_orn2_b64 s[6:7], vcc, exec
.LBB330_35:
	s_or_b64 exec, exec, s[8:9]
.LBB330_36:
	v_mul_lo_u32 v22, v3, s26
	v_mul_lo_u32 v23, v2, s27
	v_mad_u64_u32 v[20:21], s[8:9], v2, s26, 0
	v_add3_u32 v21, v21, v23, v22
	s_mov_b64 s[8:9], 0
	s_and_b64 vcc, exec, s[4:5]
	v_lshl_add_u64 v[20:21], s[28:29], 0, v[20:21]
	s_mov_b64 s[10:11], 0
	s_cbranch_vccnz .LBB330_45
; %bb.37:
	global_load_ubyte v22, v[20:21], off
	global_load_ubyte v23, v[18:19], off
	s_mov_b64 s[10:11], -1
	s_waitcnt vmcnt(0)
	v_cmp_eq_u16_e32 vcc, v22, v23
	s_and_saveexec_b64 s[12:13], vcc
	s_cbranch_execz .LBB330_44
; %bb.38:
	s_mov_b64 s[38:39], 1
	s_mov_b64 s[10:11], 0
                                        ; implicit-def: $sgpr14_sgpr15
	s_branch .LBB330_41
.LBB330_39:                             ;   in Loop: Header=BB330_41 Depth=1
	v_lshl_add_u64 v[22:23], v[20:21], 0, s[38:39]
	v_lshl_add_u64 v[32:33], v[18:19], 0, s[38:39]
	global_load_ubyte v34, v[22:23], off
	global_load_ubyte v35, v[32:33], off
	s_add_u32 s40, s38, 1
	s_addc_u32 s41, s39, 0
	s_andn2_b64 s[14:15], s[14:15], exec
	s_waitcnt vmcnt(0)
	v_cmp_ne_u16_e32 vcc, v34, v35
	s_and_b64 s[42:43], vcc, exec
	s_or_b64 s[14:15], s[14:15], s[42:43]
.LBB330_40:                             ;   in Loop: Header=BB330_41 Depth=1
	s_and_b64 s[42:43], exec, s[14:15]
	s_or_b64 s[10:11], s[42:43], s[10:11]
	v_mov_b64_e32 v[22:23], s[38:39]
	s_mov_b64 s[38:39], s[40:41]
	s_andn2_b64 exec, exec, s[10:11]
	s_cbranch_execz .LBB330_43
.LBB330_41:                             ; =>This Inner Loop Header: Depth=1
	s_or_b64 s[14:15], s[14:15], exec
	s_cmp_eq_u64 s[26:27], s[38:39]
	s_cbranch_scc0 .LBB330_39
; %bb.42:                               ;   in Loop: Header=BB330_41 Depth=1
                                        ; implicit-def: $sgpr40_sgpr41
	s_mov_b64 s[38:39], s[26:27]
	s_branch .LBB330_40
.LBB330_43:
	s_or_b64 exec, exec, s[10:11]
	v_cmp_gt_i64_e32 vcc, s[26:27], v[22:23]
	s_orn2_b64 s[10:11], vcc, exec
.LBB330_44:
	s_or_b64 exec, exec, s[12:13]
.LBB330_45:
	v_mul_lo_u32 v22, v9, s26
	v_mul_lo_u32 v23, v8, s27
	v_mad_u64_u32 v[18:19], s[12:13], v8, s26, 0
	v_add3_u32 v19, v19, v23, v22
	s_and_b64 vcc, exec, s[4:5]
	v_lshl_add_u64 v[18:19], s[28:29], 0, v[18:19]
	s_cbranch_vccnz .LBB330_54
; %bb.46:
	global_load_ubyte v22, v[18:19], off
	global_load_ubyte v23, v[20:21], off
	s_mov_b64 s[8:9], -1
	s_waitcnt vmcnt(0)
	v_cmp_eq_u16_e32 vcc, v22, v23
	s_and_saveexec_b64 s[12:13], vcc
	s_cbranch_execz .LBB330_53
; %bb.47:
	s_mov_b64 s[38:39], 1
	s_mov_b64 s[8:9], 0
                                        ; implicit-def: $sgpr14_sgpr15
	s_branch .LBB330_50
.LBB330_48:                             ;   in Loop: Header=BB330_50 Depth=1
	v_lshl_add_u64 v[22:23], v[18:19], 0, s[38:39]
	v_lshl_add_u64 v[32:33], v[20:21], 0, s[38:39]
	global_load_ubyte v34, v[22:23], off
	global_load_ubyte v35, v[32:33], off
	s_add_u32 s40, s38, 1
	s_addc_u32 s41, s39, 0
	s_andn2_b64 s[14:15], s[14:15], exec
	s_waitcnt vmcnt(0)
	v_cmp_ne_u16_e32 vcc, v34, v35
	s_and_b64 s[42:43], vcc, exec
	s_or_b64 s[14:15], s[14:15], s[42:43]
.LBB330_49:                             ;   in Loop: Header=BB330_50 Depth=1
	s_and_b64 s[42:43], exec, s[14:15]
	s_or_b64 s[8:9], s[42:43], s[8:9]
	v_mov_b64_e32 v[22:23], s[38:39]
	s_mov_b64 s[38:39], s[40:41]
	s_andn2_b64 exec, exec, s[8:9]
	s_cbranch_execz .LBB330_52
.LBB330_50:                             ; =>This Inner Loop Header: Depth=1
	s_or_b64 s[14:15], s[14:15], exec
	s_cmp_eq_u64 s[26:27], s[38:39]
	s_cbranch_scc0 .LBB330_48
; %bb.51:                               ;   in Loop: Header=BB330_50 Depth=1
                                        ; implicit-def: $sgpr40_sgpr41
	s_mov_b64 s[38:39], s[26:27]
	s_branch .LBB330_49
.LBB330_52:
	s_or_b64 exec, exec, s[8:9]
	v_cmp_gt_i64_e32 vcc, s[26:27], v[22:23]
	s_orn2_b64 s[8:9], vcc, exec
.LBB330_53:
	s_or_b64 exec, exec, s[12:13]
.LBB330_54:
	v_mul_lo_u32 v22, v7, s26
	v_mul_lo_u32 v23, v6, s27
	v_mad_u64_u32 v[20:21], s[12:13], v6, s26, 0
	v_add3_u32 v21, v21, v23, v22
	s_mov_b64 s[12:13], 0
	s_and_b64 vcc, exec, s[4:5]
	v_lshl_add_u64 v[22:23], s[28:29], 0, v[20:21]
	s_mov_b64 s[14:15], 0
	s_cbranch_vccnz .LBB330_63
; %bb.55:
	global_load_ubyte v20, v[22:23], off
	global_load_ubyte v21, v[18:19], off
	s_mov_b64 s[14:15], -1
	s_waitcnt vmcnt(0)
	v_cmp_eq_u16_e32 vcc, v20, v21
	s_and_saveexec_b64 s[38:39], vcc
	s_cbranch_execz .LBB330_62
; %bb.56:
	s_mov_b64 s[42:43], 1
	s_mov_b64 s[14:15], 0
                                        ; implicit-def: $sgpr40_sgpr41
	s_branch .LBB330_59
.LBB330_57:                             ;   in Loop: Header=BB330_59 Depth=1
	v_lshl_add_u64 v[20:21], v[22:23], 0, s[42:43]
	v_lshl_add_u64 v[32:33], v[18:19], 0, s[42:43]
	global_load_ubyte v34, v[20:21], off
	global_load_ubyte v35, v[32:33], off
	s_add_u32 s44, s42, 1
	s_addc_u32 s45, s43, 0
	s_andn2_b64 s[40:41], s[40:41], exec
	s_waitcnt vmcnt(0)
	v_cmp_ne_u16_e32 vcc, v34, v35
	s_and_b64 s[46:47], vcc, exec
	s_or_b64 s[40:41], s[40:41], s[46:47]
.LBB330_58:                             ;   in Loop: Header=BB330_59 Depth=1
	s_and_b64 s[46:47], exec, s[40:41]
	s_or_b64 s[14:15], s[46:47], s[14:15]
	v_mov_b64_e32 v[20:21], s[42:43]
	s_mov_b64 s[42:43], s[44:45]
	s_andn2_b64 exec, exec, s[14:15]
	s_cbranch_execz .LBB330_61
.LBB330_59:                             ; =>This Inner Loop Header: Depth=1
	s_or_b64 s[40:41], s[40:41], exec
	s_cmp_eq_u64 s[26:27], s[42:43]
	s_cbranch_scc0 .LBB330_57
; %bb.60:                               ;   in Loop: Header=BB330_59 Depth=1
                                        ; implicit-def: $sgpr44_sgpr45
	s_mov_b64 s[42:43], s[26:27]
	s_branch .LBB330_58
.LBB330_61:
	s_or_b64 exec, exec, s[14:15]
	v_cmp_gt_i64_e32 vcc, s[26:27], v[20:21]
	s_orn2_b64 s[14:15], vcc, exec
.LBB330_62:
	s_or_b64 exec, exec, s[38:39]
.LBB330_63:
	v_mul_lo_u32 v20, v13, s26
	v_mul_lo_u32 v21, v12, s27
	v_mad_u64_u32 v[18:19], s[38:39], v12, s26, 0
	v_add3_u32 v19, v19, v21, v20
	s_and_b64 vcc, exec, s[4:5]
	v_lshl_add_u64 v[20:21], s[28:29], 0, v[18:19]
	s_cbranch_vccnz .LBB330_72
; %bb.64:
	global_load_ubyte v18, v[20:21], off
	global_load_ubyte v19, v[22:23], off
	s_mov_b64 s[12:13], -1
	s_waitcnt vmcnt(0)
	v_cmp_eq_u16_e32 vcc, v18, v19
	s_and_saveexec_b64 s[38:39], vcc
	s_cbranch_execz .LBB330_71
; %bb.65:
	s_mov_b64 s[42:43], 1
	s_mov_b64 s[12:13], 0
                                        ; implicit-def: $sgpr40_sgpr41
	s_branch .LBB330_68
.LBB330_66:                             ;   in Loop: Header=BB330_68 Depth=1
	v_lshl_add_u64 v[18:19], v[20:21], 0, s[42:43]
	v_lshl_add_u64 v[32:33], v[22:23], 0, s[42:43]
	global_load_ubyte v34, v[18:19], off
	global_load_ubyte v35, v[32:33], off
	s_add_u32 s44, s42, 1
	s_addc_u32 s45, s43, 0
	s_andn2_b64 s[40:41], s[40:41], exec
	s_waitcnt vmcnt(0)
	v_cmp_ne_u16_e32 vcc, v34, v35
	s_and_b64 s[46:47], vcc, exec
	s_or_b64 s[40:41], s[40:41], s[46:47]
.LBB330_67:                             ;   in Loop: Header=BB330_68 Depth=1
	s_and_b64 s[46:47], exec, s[40:41]
	s_or_b64 s[12:13], s[46:47], s[12:13]
	v_mov_b64_e32 v[18:19], s[42:43]
	s_mov_b64 s[42:43], s[44:45]
	s_andn2_b64 exec, exec, s[12:13]
	s_cbranch_execz .LBB330_70
.LBB330_68:                             ; =>This Inner Loop Header: Depth=1
	s_or_b64 s[40:41], s[40:41], exec
	s_cmp_eq_u64 s[26:27], s[42:43]
	s_cbranch_scc0 .LBB330_66
; %bb.69:                               ;   in Loop: Header=BB330_68 Depth=1
                                        ; implicit-def: $sgpr44_sgpr45
	s_mov_b64 s[42:43], s[26:27]
	s_branch .LBB330_67
.LBB330_70:
	s_or_b64 exec, exec, s[12:13]
	v_cmp_gt_i64_e32 vcc, s[26:27], v[18:19]
	s_orn2_b64 s[12:13], vcc, exec
.LBB330_71:
	s_or_b64 exec, exec, s[38:39]
.LBB330_72:
	v_mul_lo_u32 v22, v11, s26
	v_mul_lo_u32 v23, v10, s27
	v_mad_u64_u32 v[18:19], s[38:39], v10, s26, 0
	v_add3_u32 v19, v19, v23, v22
	s_mov_b64 s[40:41], 0
	s_and_b64 vcc, exec, s[4:5]
	v_lshl_add_u64 v[18:19], s[28:29], 0, v[18:19]
	s_cbranch_vccnz .LBB330_81
; %bb.73:
	global_load_ubyte v22, v[18:19], off
	global_load_ubyte v23, v[20:21], off
	s_mov_b64 s[40:41], -1
	s_waitcnt vmcnt(0)
	v_cmp_eq_u16_e32 vcc, v22, v23
	s_and_saveexec_b64 s[38:39], vcc
	s_cbranch_execz .LBB330_80
; %bb.74:
	s_mov_b64 s[44:45], 1
	s_mov_b64 s[40:41], 0
                                        ; implicit-def: $sgpr42_sgpr43
	s_branch .LBB330_77
.LBB330_75:                             ;   in Loop: Header=BB330_77 Depth=1
	v_lshl_add_u64 v[22:23], v[18:19], 0, s[44:45]
	v_lshl_add_u64 v[32:33], v[20:21], 0, s[44:45]
	global_load_ubyte v34, v[22:23], off
	global_load_ubyte v35, v[32:33], off
	s_add_u32 s46, s44, 1
	s_addc_u32 s47, s45, 0
	s_andn2_b64 s[42:43], s[42:43], exec
	s_waitcnt vmcnt(0)
	v_cmp_ne_u16_e32 vcc, v34, v35
	s_and_b64 s[48:49], vcc, exec
	s_or_b64 s[42:43], s[42:43], s[48:49]
.LBB330_76:                             ;   in Loop: Header=BB330_77 Depth=1
	s_and_b64 s[48:49], exec, s[42:43]
	s_or_b64 s[40:41], s[48:49], s[40:41]
	v_mov_b64_e32 v[22:23], s[44:45]
	s_mov_b64 s[44:45], s[46:47]
	s_andn2_b64 exec, exec, s[40:41]
	s_cbranch_execz .LBB330_79
.LBB330_77:                             ; =>This Inner Loop Header: Depth=1
	s_or_b64 s[42:43], s[42:43], exec
	s_cmp_eq_u64 s[26:27], s[44:45]
	s_cbranch_scc0 .LBB330_75
; %bb.78:                               ;   in Loop: Header=BB330_77 Depth=1
                                        ; implicit-def: $sgpr46_sgpr47
	s_mov_b64 s[44:45], s[26:27]
	s_branch .LBB330_76
.LBB330_79:
	s_or_b64 exec, exec, s[40:41]
	v_cmp_gt_i64_e32 vcc, s[26:27], v[22:23]
	s_orn2_b64 s[40:41], vcc, exec
.LBB330_80:
	s_or_b64 exec, exec, s[38:39]
.LBB330_81:
	s_waitcnt vmcnt(0)
	v_mov_b64_e32 v[22:23], v[16:17]
	s_waitcnt lgkmcnt(0)
	s_barrier
	s_and_saveexec_b64 s[38:39], s[2:3]
	s_cbranch_execz .LBB330_83
; %bb.82:
	v_add_u32_e32 v20, -8, v31
	ds_read_b64 v[22:23], v20
.LBB330_83:
	s_or_b64 exec, exec, s[38:39]
	v_cndmask_b32_e64 v21, 0, 1, s[14:15]
	v_cndmask_b32_e64 v20, 0, 1, s[12:13]
	;; [unrolled: 1-line block ×3, first 2 shown]
	v_lshlrev_b16_e32 v21, 8, v21
	v_lshlrev_b16_e32 v35, 8, v32
	v_or_b32_sdwa v36, v20, v21 dst_sel:WORD_1 dst_unused:UNUSED_PAD src0_sel:DWORD src1_sel:DWORD
	s_mov_b64 s[14:15], 0
	s_and_b64 vcc, exec, s[4:5]
	s_mov_b64 s[12:13], 0
	s_cbranch_vccnz .LBB330_92
; %bb.84:
	v_mov_b64_e32 v[20:21], s[28:29]
	s_waitcnt lgkmcnt(0)
	v_mad_u64_u32 v[20:21], s[12:13], v22, s26, v[20:21]
	v_mul_lo_u32 v22, v22, s27
	v_mul_lo_u32 v23, v23, s26
	v_add3_u32 v21, v23, v21, v22
	global_load_ubyte v22, v[20:21], off
	global_load_ubyte v23, v[18:19], off
	s_mov_b64 s[12:13], -1
	s_waitcnt vmcnt(0)
	v_cmp_eq_u16_e32 vcc, v22, v23
	s_and_saveexec_b64 s[38:39], vcc
	s_cbranch_execz .LBB330_91
; %bb.85:
	s_mov_b64 s[42:43], 1
	s_mov_b64 s[12:13], 0
                                        ; implicit-def: $sgpr40_sgpr41
	s_branch .LBB330_88
.LBB330_86:                             ;   in Loop: Header=BB330_88 Depth=1
	v_lshl_add_u64 v[22:23], v[20:21], 0, s[42:43]
	v_lshl_add_u64 v[32:33], v[18:19], 0, s[42:43]
	global_load_ubyte v34, v[22:23], off
	global_load_ubyte v37, v[32:33], off
	s_add_u32 s44, s42, 1
	s_addc_u32 s45, s43, 0
	s_andn2_b64 s[40:41], s[40:41], exec
	s_waitcnt vmcnt(0)
	v_cmp_ne_u16_e32 vcc, v34, v37
	s_and_b64 s[46:47], vcc, exec
	s_or_b64 s[40:41], s[40:41], s[46:47]
.LBB330_87:                             ;   in Loop: Header=BB330_88 Depth=1
	s_and_b64 s[46:47], exec, s[40:41]
	s_or_b64 s[12:13], s[46:47], s[12:13]
	v_mov_b64_e32 v[22:23], s[42:43]
	s_mov_b64 s[42:43], s[44:45]
	s_andn2_b64 exec, exec, s[12:13]
	s_cbranch_execz .LBB330_90
.LBB330_88:                             ; =>This Inner Loop Header: Depth=1
	s_or_b64 s[40:41], s[40:41], exec
	s_cmp_eq_u64 s[26:27], s[42:43]
	s_cbranch_scc0 .LBB330_86
; %bb.89:                               ;   in Loop: Header=BB330_88 Depth=1
                                        ; implicit-def: $sgpr44_sgpr45
	s_mov_b64 s[42:43], s[26:27]
	s_branch .LBB330_87
.LBB330_90:
	s_or_b64 exec, exec, s[12:13]
	v_cmp_gt_i64_e32 vcc, s[26:27], v[22:23]
	s_orn2_b64 s[12:13], vcc, exec
.LBB330_91:
	s_or_b64 exec, exec, s[38:39]
.LBB330_92:
	v_cndmask_b32_e64 v32, 0, 1, s[8:9]
	v_cndmask_b32_e64 v33, 0, 1, s[10:11]
	;; [unrolled: 1-line block ×3, first 2 shown]
	v_or_b32_e32 v20, v35, v36
	s_and_b64 vcc, exec, s[14:15]
	s_cbranch_vccz .LBB330_173
.LBB330_93:
	v_cmp_gt_u32_e32 vcc, s52, v27
	s_mov_b64 s[8:9], 0
	s_mov_b64 s[6:7], 0
	s_and_saveexec_b64 s[10:11], vcc
	s_cbranch_execz .LBB330_104
; %bb.94:
	s_and_b64 vcc, exec, s[4:5]
	s_mov_b64 s[12:13], 0
	s_cbranch_vccnz .LBB330_103
; %bb.95:
	v_mov_b64_e32 v[20:21], s[28:29]
	v_mad_u64_u32 v[18:19], s[6:7], v4, s26, v[20:21]
	s_waitcnt lgkmcnt(0)
	v_mul_lo_u32 v22, v4, s27
	v_mul_lo_u32 v23, v5, s26
	v_add3_u32 v19, v23, v19, v22
	v_mad_u64_u32 v[20:21], s[6:7], v14, s26, v[20:21]
	v_mul_lo_u32 v22, v14, s27
	v_mul_lo_u32 v23, v15, s26
	v_add3_u32 v21, v23, v21, v22
	global_load_ubyte v22, v[18:19], off
	global_load_ubyte v23, v[20:21], off
	s_mov_b64 s[12:13], -1
	s_waitcnt vmcnt(0)
	v_cmp_eq_u16_e32 vcc, v22, v23
	s_and_saveexec_b64 s[6:7], vcc
	s_cbranch_execz .LBB330_102
; %bb.96:
	s_mov_b64 s[38:39], 1
	s_mov_b64 s[12:13], 0
                                        ; implicit-def: $sgpr14_sgpr15
	s_branch .LBB330_99
.LBB330_97:                             ;   in Loop: Header=BB330_99 Depth=1
	v_lshl_add_u64 v[22:23], v[18:19], 0, s[38:39]
	v_lshl_add_u64 v[32:33], v[20:21], 0, s[38:39]
	global_load_ubyte v34, v[22:23], off
	global_load_ubyte v35, v[32:33], off
	s_add_u32 s40, s38, 1
	s_addc_u32 s41, s39, 0
	s_andn2_b64 s[14:15], s[14:15], exec
	s_waitcnt vmcnt(0)
	v_cmp_ne_u16_e32 vcc, v34, v35
	s_and_b64 s[42:43], vcc, exec
	s_or_b64 s[14:15], s[14:15], s[42:43]
.LBB330_98:                             ;   in Loop: Header=BB330_99 Depth=1
	s_and_b64 s[42:43], exec, s[14:15]
	s_or_b64 s[12:13], s[42:43], s[12:13]
	v_mov_b64_e32 v[22:23], s[38:39]
	s_mov_b64 s[38:39], s[40:41]
	s_andn2_b64 exec, exec, s[12:13]
	s_cbranch_execz .LBB330_101
.LBB330_99:                             ; =>This Inner Loop Header: Depth=1
	s_or_b64 s[14:15], s[14:15], exec
	s_cmp_eq_u64 s[26:27], s[38:39]
	s_cbranch_scc0 .LBB330_97
; %bb.100:                              ;   in Loop: Header=BB330_99 Depth=1
                                        ; implicit-def: $sgpr40_sgpr41
	s_mov_b64 s[38:39], s[26:27]
	s_branch .LBB330_98
.LBB330_101:
	s_or_b64 exec, exec, s[12:13]
	v_cmp_gt_i64_e32 vcc, s[26:27], v[22:23]
	s_orn2_b64 s[12:13], vcc, exec
.LBB330_102:
	s_or_b64 exec, exec, s[6:7]
.LBB330_103:
	s_and_b64 s[6:7], s[12:13], exec
.LBB330_104:
	s_or_b64 exec, exec, s[10:11]
	v_cmp_gt_u32_e32 vcc, s52, v29
	s_and_saveexec_b64 s[10:11], vcc
	s_cbranch_execz .LBB330_115
; %bb.105:
	s_and_b64 vcc, exec, s[4:5]
	s_mov_b64 s[12:13], 0
	s_cbranch_vccnz .LBB330_114
; %bb.106:
	v_mov_b64_e32 v[20:21], s[28:29]
	v_mad_u64_u32 v[18:19], s[8:9], v2, s26, v[20:21]
	s_waitcnt lgkmcnt(0)
	v_mul_lo_u32 v22, v2, s27
	v_mul_lo_u32 v23, v3, s26
	v_add3_u32 v19, v23, v19, v22
	v_mad_u64_u32 v[20:21], s[8:9], v4, s26, v[20:21]
	v_mul_lo_u32 v22, v4, s27
	v_mul_lo_u32 v23, v5, s26
	v_add3_u32 v21, v23, v21, v22
	global_load_ubyte v22, v[18:19], off
	global_load_ubyte v23, v[20:21], off
	s_mov_b64 s[12:13], -1
	s_waitcnt vmcnt(0)
	v_cmp_eq_u16_e32 vcc, v22, v23
	s_and_saveexec_b64 s[8:9], vcc
	s_cbranch_execz .LBB330_113
; %bb.107:
	s_mov_b64 s[38:39], 1
	s_mov_b64 s[12:13], 0
                                        ; implicit-def: $sgpr14_sgpr15
	s_branch .LBB330_110
.LBB330_108:                            ;   in Loop: Header=BB330_110 Depth=1
	v_lshl_add_u64 v[22:23], v[18:19], 0, s[38:39]
	v_lshl_add_u64 v[32:33], v[20:21], 0, s[38:39]
	global_load_ubyte v34, v[22:23], off
	global_load_ubyte v35, v[32:33], off
	s_add_u32 s40, s38, 1
	s_addc_u32 s41, s39, 0
	s_andn2_b64 s[14:15], s[14:15], exec
	s_waitcnt vmcnt(0)
	v_cmp_ne_u16_e32 vcc, v34, v35
	s_and_b64 s[42:43], vcc, exec
	s_or_b64 s[14:15], s[14:15], s[42:43]
.LBB330_109:                            ;   in Loop: Header=BB330_110 Depth=1
	s_and_b64 s[42:43], exec, s[14:15]
	s_or_b64 s[12:13], s[42:43], s[12:13]
	v_mov_b64_e32 v[22:23], s[38:39]
	s_mov_b64 s[38:39], s[40:41]
	s_andn2_b64 exec, exec, s[12:13]
	s_cbranch_execz .LBB330_112
.LBB330_110:                            ; =>This Inner Loop Header: Depth=1
	s_or_b64 s[14:15], s[14:15], exec
	s_cmp_eq_u64 s[26:27], s[38:39]
	s_cbranch_scc0 .LBB330_108
; %bb.111:                              ;   in Loop: Header=BB330_110 Depth=1
                                        ; implicit-def: $sgpr40_sgpr41
	s_mov_b64 s[38:39], s[26:27]
	s_branch .LBB330_109
.LBB330_112:
	s_or_b64 exec, exec, s[12:13]
	v_cmp_gt_i64_e32 vcc, s[26:27], v[22:23]
	s_orn2_b64 s[12:13], vcc, exec
.LBB330_113:
	s_or_b64 exec, exec, s[8:9]
.LBB330_114:
	s_and_b64 s[8:9], s[12:13], exec
.LBB330_115:
	s_or_b64 exec, exec, s[10:11]
	v_cmp_gt_u32_e32 vcc, s52, v26
	s_mov_b64 s[12:13], 0
	s_mov_b64 s[10:11], 0
	s_and_saveexec_b64 s[14:15], vcc
	s_cbranch_execz .LBB330_126
; %bb.116:
	s_and_b64 vcc, exec, s[4:5]
	s_mov_b64 s[38:39], 0
	s_cbranch_vccnz .LBB330_125
; %bb.117:
	v_mov_b64_e32 v[20:21], s[28:29]
	v_mad_u64_u32 v[18:19], s[10:11], v8, s26, v[20:21]
	s_waitcnt lgkmcnt(0)
	v_mul_lo_u32 v22, v8, s27
	v_mul_lo_u32 v23, v9, s26
	v_add3_u32 v19, v23, v19, v22
	v_mad_u64_u32 v[20:21], s[10:11], v2, s26, v[20:21]
	v_mul_lo_u32 v22, v2, s27
	v_mul_lo_u32 v23, v3, s26
	v_add3_u32 v21, v23, v21, v22
	global_load_ubyte v22, v[18:19], off
	global_load_ubyte v23, v[20:21], off
	s_mov_b64 s[38:39], -1
	s_waitcnt vmcnt(0)
	v_cmp_eq_u16_e32 vcc, v22, v23
	s_and_saveexec_b64 s[10:11], vcc
	s_cbranch_execz .LBB330_124
; %bb.118:
	s_mov_b64 s[42:43], 1
	s_mov_b64 s[38:39], 0
                                        ; implicit-def: $sgpr40_sgpr41
	s_branch .LBB330_121
.LBB330_119:                            ;   in Loop: Header=BB330_121 Depth=1
	v_lshl_add_u64 v[22:23], v[18:19], 0, s[42:43]
	v_lshl_add_u64 v[32:33], v[20:21], 0, s[42:43]
	global_load_ubyte v34, v[22:23], off
	global_load_ubyte v35, v[32:33], off
	s_add_u32 s44, s42, 1
	s_addc_u32 s45, s43, 0
	s_andn2_b64 s[40:41], s[40:41], exec
	s_waitcnt vmcnt(0)
	v_cmp_ne_u16_e32 vcc, v34, v35
	s_and_b64 s[46:47], vcc, exec
	s_or_b64 s[40:41], s[40:41], s[46:47]
.LBB330_120:                            ;   in Loop: Header=BB330_121 Depth=1
	s_and_b64 s[46:47], exec, s[40:41]
	s_or_b64 s[38:39], s[46:47], s[38:39]
	v_mov_b64_e32 v[22:23], s[42:43]
	s_mov_b64 s[42:43], s[44:45]
	s_andn2_b64 exec, exec, s[38:39]
	s_cbranch_execz .LBB330_123
.LBB330_121:                            ; =>This Inner Loop Header: Depth=1
	s_or_b64 s[40:41], s[40:41], exec
	s_cmp_eq_u64 s[26:27], s[42:43]
	s_cbranch_scc0 .LBB330_119
; %bb.122:                              ;   in Loop: Header=BB330_121 Depth=1
                                        ; implicit-def: $sgpr44_sgpr45
	s_mov_b64 s[42:43], s[26:27]
	s_branch .LBB330_120
.LBB330_123:
	s_or_b64 exec, exec, s[38:39]
	v_cmp_gt_i64_e32 vcc, s[26:27], v[22:23]
	s_orn2_b64 s[38:39], vcc, exec
.LBB330_124:
	s_or_b64 exec, exec, s[10:11]
.LBB330_125:
	s_and_b64 s[10:11], s[38:39], exec
.LBB330_126:
	s_or_b64 exec, exec, s[14:15]
	v_cmp_gt_u32_e32 vcc, s52, v28
	s_and_saveexec_b64 s[14:15], vcc
	s_cbranch_execz .LBB330_137
; %bb.127:
	s_and_b64 vcc, exec, s[4:5]
	s_mov_b64 s[38:39], 0
	s_cbranch_vccnz .LBB330_136
; %bb.128:
	v_mov_b64_e32 v[20:21], s[28:29]
	v_mad_u64_u32 v[18:19], s[12:13], v6, s26, v[20:21]
	s_waitcnt lgkmcnt(0)
	v_mul_lo_u32 v22, v6, s27
	v_mul_lo_u32 v23, v7, s26
	v_add3_u32 v19, v23, v19, v22
	v_mad_u64_u32 v[20:21], s[12:13], v8, s26, v[20:21]
	v_mul_lo_u32 v22, v8, s27
	v_mul_lo_u32 v23, v9, s26
	v_add3_u32 v21, v23, v21, v22
	global_load_ubyte v22, v[18:19], off
	global_load_ubyte v23, v[20:21], off
	s_mov_b64 s[38:39], -1
	s_waitcnt vmcnt(0)
	v_cmp_eq_u16_e32 vcc, v22, v23
	s_and_saveexec_b64 s[12:13], vcc
	s_cbranch_execz .LBB330_135
; %bb.129:
	s_mov_b64 s[42:43], 1
	s_mov_b64 s[38:39], 0
                                        ; implicit-def: $sgpr40_sgpr41
	s_branch .LBB330_132
.LBB330_130:                            ;   in Loop: Header=BB330_132 Depth=1
	v_lshl_add_u64 v[22:23], v[18:19], 0, s[42:43]
	v_lshl_add_u64 v[32:33], v[20:21], 0, s[42:43]
	global_load_ubyte v34, v[22:23], off
	global_load_ubyte v35, v[32:33], off
	s_add_u32 s44, s42, 1
	s_addc_u32 s45, s43, 0
	s_andn2_b64 s[40:41], s[40:41], exec
	s_waitcnt vmcnt(0)
	v_cmp_ne_u16_e32 vcc, v34, v35
	s_and_b64 s[46:47], vcc, exec
	s_or_b64 s[40:41], s[40:41], s[46:47]
.LBB330_131:                            ;   in Loop: Header=BB330_132 Depth=1
	s_and_b64 s[46:47], exec, s[40:41]
	s_or_b64 s[38:39], s[46:47], s[38:39]
	v_mov_b64_e32 v[22:23], s[42:43]
	s_mov_b64 s[42:43], s[44:45]
	s_andn2_b64 exec, exec, s[38:39]
	s_cbranch_execz .LBB330_134
.LBB330_132:                            ; =>This Inner Loop Header: Depth=1
	s_or_b64 s[40:41], s[40:41], exec
	s_cmp_eq_u64 s[26:27], s[42:43]
	s_cbranch_scc0 .LBB330_130
; %bb.133:                              ;   in Loop: Header=BB330_132 Depth=1
                                        ; implicit-def: $sgpr44_sgpr45
	s_mov_b64 s[42:43], s[26:27]
	s_branch .LBB330_131
.LBB330_134:
	s_or_b64 exec, exec, s[38:39]
	v_cmp_gt_i64_e32 vcc, s[26:27], v[22:23]
	s_orn2_b64 s[38:39], vcc, exec
.LBB330_135:
	s_or_b64 exec, exec, s[12:13]
.LBB330_136:
	s_and_b64 s[12:13], s[38:39], exec
.LBB330_137:
	s_or_b64 exec, exec, s[14:15]
	v_cmp_gt_u32_e32 vcc, s52, v24
	s_mov_b64 s[14:15], 0
	s_mov_b64 s[38:39], 0
	s_and_saveexec_b64 s[40:41], vcc
	s_cbranch_execz .LBB330_148
; %bb.138:
	s_and_b64 vcc, exec, s[4:5]
	s_mov_b64 s[42:43], 0
	s_cbranch_vccnz .LBB330_147
; %bb.139:
	v_mov_b64_e32 v[20:21], s[28:29]
	v_mad_u64_u32 v[18:19], s[38:39], v12, s26, v[20:21]
	s_waitcnt lgkmcnt(0)
	v_mul_lo_u32 v22, v12, s27
	v_mul_lo_u32 v23, v13, s26
	v_add3_u32 v19, v23, v19, v22
	v_mad_u64_u32 v[20:21], s[38:39], v6, s26, v[20:21]
	v_mul_lo_u32 v22, v6, s27
	v_mul_lo_u32 v23, v7, s26
	v_add3_u32 v21, v23, v21, v22
	global_load_ubyte v22, v[18:19], off
	global_load_ubyte v23, v[20:21], off
	s_mov_b64 s[42:43], -1
	s_waitcnt vmcnt(0)
	v_cmp_eq_u16_e32 vcc, v22, v23
	s_and_saveexec_b64 s[38:39], vcc
	s_cbranch_execz .LBB330_146
; %bb.140:
	s_mov_b64 s[46:47], 1
	s_mov_b64 s[42:43], 0
                                        ; implicit-def: $sgpr44_sgpr45
	s_branch .LBB330_143
.LBB330_141:                            ;   in Loop: Header=BB330_143 Depth=1
	v_lshl_add_u64 v[22:23], v[18:19], 0, s[46:47]
	v_lshl_add_u64 v[32:33], v[20:21], 0, s[46:47]
	global_load_ubyte v34, v[22:23], off
	global_load_ubyte v35, v[32:33], off
	s_add_u32 s48, s46, 1
	s_addc_u32 s49, s47, 0
	s_andn2_b64 s[44:45], s[44:45], exec
	s_waitcnt vmcnt(0)
	v_cmp_ne_u16_e32 vcc, v34, v35
	s_and_b64 s[50:51], vcc, exec
	s_or_b64 s[44:45], s[44:45], s[50:51]
.LBB330_142:                            ;   in Loop: Header=BB330_143 Depth=1
	s_and_b64 s[50:51], exec, s[44:45]
	s_or_b64 s[42:43], s[50:51], s[42:43]
	v_mov_b64_e32 v[22:23], s[46:47]
	s_mov_b64 s[46:47], s[48:49]
	s_andn2_b64 exec, exec, s[42:43]
	s_cbranch_execz .LBB330_145
.LBB330_143:                            ; =>This Inner Loop Header: Depth=1
	s_or_b64 s[44:45], s[44:45], exec
	s_cmp_eq_u64 s[26:27], s[46:47]
	s_cbranch_scc0 .LBB330_141
; %bb.144:                              ;   in Loop: Header=BB330_143 Depth=1
                                        ; implicit-def: $sgpr48_sgpr49
	s_mov_b64 s[46:47], s[26:27]
	s_branch .LBB330_142
.LBB330_145:
	s_or_b64 exec, exec, s[42:43]
	v_cmp_gt_i64_e32 vcc, s[26:27], v[22:23]
	s_orn2_b64 s[42:43], vcc, exec
.LBB330_146:
	s_or_b64 exec, exec, s[38:39]
.LBB330_147:
	s_and_b64 s[38:39], s[42:43], exec
.LBB330_148:
	s_or_b64 exec, exec, s[40:41]
	v_cmp_gt_u32_e32 vcc, s52, v25
	s_and_saveexec_b64 s[40:41], vcc
	s_cbranch_execz .LBB330_159
; %bb.149:
	s_and_b64 vcc, exec, s[4:5]
	s_mov_b64 s[42:43], 0
	s_cbranch_vccnz .LBB330_158
; %bb.150:
	v_mov_b64_e32 v[20:21], s[28:29]
	v_mad_u64_u32 v[18:19], s[14:15], v10, s26, v[20:21]
	s_waitcnt lgkmcnt(0)
	v_mul_lo_u32 v22, v10, s27
	v_mul_lo_u32 v23, v11, s26
	v_add3_u32 v19, v23, v19, v22
	v_mad_u64_u32 v[20:21], s[14:15], v12, s26, v[20:21]
	v_mul_lo_u32 v22, v12, s27
	v_mul_lo_u32 v23, v13, s26
	v_add3_u32 v21, v23, v21, v22
	global_load_ubyte v22, v[18:19], off
	global_load_ubyte v23, v[20:21], off
	s_mov_b64 s[42:43], -1
	s_waitcnt vmcnt(0)
	v_cmp_eq_u16_e32 vcc, v22, v23
	s_and_saveexec_b64 s[14:15], vcc
	s_cbranch_execz .LBB330_157
; %bb.151:
	s_mov_b64 s[46:47], 1
	s_mov_b64 s[42:43], 0
                                        ; implicit-def: $sgpr44_sgpr45
	s_branch .LBB330_154
.LBB330_152:                            ;   in Loop: Header=BB330_154 Depth=1
	v_lshl_add_u64 v[22:23], v[18:19], 0, s[46:47]
	v_lshl_add_u64 v[32:33], v[20:21], 0, s[46:47]
	global_load_ubyte v34, v[22:23], off
	global_load_ubyte v35, v[32:33], off
	s_add_u32 s48, s46, 1
	s_addc_u32 s49, s47, 0
	s_andn2_b64 s[44:45], s[44:45], exec
	s_waitcnt vmcnt(0)
	v_cmp_ne_u16_e32 vcc, v34, v35
	s_and_b64 s[50:51], vcc, exec
	s_or_b64 s[44:45], s[44:45], s[50:51]
.LBB330_153:                            ;   in Loop: Header=BB330_154 Depth=1
	s_and_b64 s[50:51], exec, s[44:45]
	s_or_b64 s[42:43], s[50:51], s[42:43]
	v_mov_b64_e32 v[22:23], s[46:47]
	s_mov_b64 s[46:47], s[48:49]
	s_andn2_b64 exec, exec, s[42:43]
	s_cbranch_execz .LBB330_156
.LBB330_154:                            ; =>This Inner Loop Header: Depth=1
	s_or_b64 s[44:45], s[44:45], exec
	s_cmp_eq_u64 s[26:27], s[46:47]
	s_cbranch_scc0 .LBB330_152
; %bb.155:                              ;   in Loop: Header=BB330_154 Depth=1
                                        ; implicit-def: $sgpr48_sgpr49
	s_mov_b64 s[46:47], s[26:27]
	s_branch .LBB330_153
.LBB330_156:
	s_or_b64 exec, exec, s[42:43]
	v_cmp_gt_i64_e32 vcc, s[26:27], v[22:23]
	s_orn2_b64 s[42:43], vcc, exec
.LBB330_157:
	s_or_b64 exec, exec, s[14:15]
.LBB330_158:
	s_and_b64 s[14:15], s[42:43], exec
.LBB330_159:
	s_or_b64 exec, exec, s[40:41]
	s_waitcnt lgkmcnt(0)
	s_barrier
	s_and_saveexec_b64 s[40:41], s[2:3]
	s_cbranch_execz .LBB330_161
; %bb.160:
	s_waitcnt vmcnt(0)
	v_add_u32_e32 v16, -8, v31
	ds_read_b64 v[16:17], v16
.LBB330_161:
	s_or_b64 exec, exec, s[40:41]
	v_cndmask_b32_e64 v19, 0, 1, s[12:13]
	v_cndmask_b32_e64 v18, 0, 1, s[38:39]
	;; [unrolled: 1-line block ×3, first 2 shown]
	v_lshlrev_b16_e32 v19, 8, v19
	v_cmp_gt_u32_e32 vcc, s52, v1
	v_lshlrev_b16_e32 v22, 8, v20
	v_or_b32_sdwa v23, v18, v19 dst_sel:WORD_1 dst_unused:UNUSED_PAD src0_sel:DWORD src1_sel:DWORD
	s_mov_b64 s[12:13], 0
	s_and_saveexec_b64 s[14:15], vcc
	s_cbranch_execz .LBB330_172
; %bb.162:
	s_and_b64 vcc, exec, s[4:5]
	s_cbranch_vccnz .LBB330_171
; %bb.163:
	v_mov_b64_e32 v[20:21], s[28:29]
	s_waitcnt vmcnt(0) lgkmcnt(0)
	v_mad_u64_u32 v[18:19], s[4:5], v16, s26, v[20:21]
	v_mul_lo_u32 v16, v16, s27
	v_mul_lo_u32 v17, v17, s26
	v_add3_u32 v19, v17, v19, v16
	v_mad_u64_u32 v[16:17], s[4:5], v10, s26, v[20:21]
	v_mul_lo_u32 v20, v10, s27
	v_mul_lo_u32 v21, v11, s26
	v_add3_u32 v17, v21, v17, v20
	global_load_ubyte v20, v[18:19], off
	global_load_ubyte v21, v[16:17], off
	s_mov_b64 s[12:13], -1
	s_waitcnt vmcnt(0)
	v_cmp_eq_u16_e32 vcc, v20, v21
	s_and_saveexec_b64 s[4:5], vcc
	s_cbranch_execz .LBB330_170
; %bb.164:
	s_mov_b64 s[40:41], 1
	s_mov_b64 s[12:13], 0
                                        ; implicit-def: $sgpr38_sgpr39
	s_branch .LBB330_167
.LBB330_165:                            ;   in Loop: Header=BB330_167 Depth=1
	v_lshl_add_u64 v[20:21], v[18:19], 0, s[40:41]
	v_lshl_add_u64 v[32:33], v[16:17], 0, s[40:41]
	global_load_ubyte v31, v[20:21], off
	global_load_ubyte v34, v[32:33], off
	s_add_u32 s42, s40, 1
	s_addc_u32 s43, s41, 0
	s_andn2_b64 s[38:39], s[38:39], exec
	s_waitcnt vmcnt(0)
	v_cmp_ne_u16_e32 vcc, v31, v34
	s_and_b64 s[44:45], vcc, exec
	s_or_b64 s[38:39], s[38:39], s[44:45]
.LBB330_166:                            ;   in Loop: Header=BB330_167 Depth=1
	s_and_b64 s[44:45], exec, s[38:39]
	s_or_b64 s[12:13], s[44:45], s[12:13]
	v_mov_b64_e32 v[20:21], s[40:41]
	s_mov_b64 s[40:41], s[42:43]
	s_andn2_b64 exec, exec, s[12:13]
	s_cbranch_execz .LBB330_169
.LBB330_167:                            ; =>This Inner Loop Header: Depth=1
	s_or_b64 s[38:39], s[38:39], exec
	s_cmp_eq_u64 s[26:27], s[40:41]
	s_cbranch_scc0 .LBB330_165
; %bb.168:                              ;   in Loop: Header=BB330_167 Depth=1
                                        ; implicit-def: $sgpr42_sgpr43
	s_mov_b64 s[40:41], s[26:27]
	s_branch .LBB330_166
.LBB330_169:
	s_or_b64 exec, exec, s[12:13]
	v_cmp_gt_i64_e32 vcc, s[26:27], v[20:21]
	s_orn2_b64 s[12:13], vcc, exec
.LBB330_170:
	s_or_b64 exec, exec, s[4:5]
.LBB330_171:
	s_and_b64 s[12:13], s[12:13], exec
.LBB330_172:
	s_or_b64 exec, exec, s[14:15]
	v_cndmask_b32_e64 v32, 0, 1, s[10:11]
	v_cndmask_b32_e64 v33, 0, 1, s[8:9]
	v_cndmask_b32_e64 v34, 0, 1, s[6:7]
	v_or_b32_e32 v20, v22, v23
.LBB330_173:
	s_mov_b64 s[8:9], -1
	s_cbranch_execnz .LBB330_32
.LBB330_174:
	s_movk_i32 s4, 0xffd0
	v_mad_i32_i24 v30, v0, s4, v30
	s_mov_b64 s[10:11], 0
	v_cmp_gt_i64_e64 s[6:7], s[26:27], 0
	s_and_b64 vcc, exec, s[36:37]
	ds_write_b64 v30, v[14:15]
	s_cbranch_vccz .LBB330_182
; %bb.175:
	v_mul_lo_u32 v18, v5, s26
	v_mul_lo_u32 v19, v4, s27
	s_waitcnt vmcnt(0) lgkmcnt(1)
	v_mad_u64_u32 v[16:17], s[4:5], v4, s26, 0
	v_add3_u32 v17, v17, v19, v18
	v_cndmask_b32_e64 v18, 0, 1, s[6:7]
	v_cmp_ne_u32_e64 s[4:5], 1, v18
	s_andn2_b64 vcc, exec, s[6:7]
	v_lshl_add_u64 v[16:17], s[28:29], 0, v[16:17]
	s_cbranch_vccnz .LBB330_185
; %bb.176:
	v_mov_b64_e32 v[18:19], s[28:29]
	v_mad_u64_u32 v[18:19], s[10:11], v14, s26, v[18:19]
	v_mul_lo_u32 v20, v14, s27
	v_mul_lo_u32 v21, v15, s26
	v_add3_u32 v19, v21, v19, v20
	global_load_ubyte v20, v[16:17], off
	global_load_ubyte v21, v[18:19], off
	s_mov_b64 s[10:11], -1
	s_waitcnt vmcnt(0)
	v_cmp_eq_u16_e32 vcc, v20, v21
	s_and_saveexec_b64 s[12:13], vcc
	s_cbranch_execz .LBB330_184
; %bb.177:
	s_mov_b64 s[38:39], 1
	s_mov_b64 s[10:11], 0
                                        ; implicit-def: $sgpr14_sgpr15
	s_branch .LBB330_180
.LBB330_178:                            ;   in Loop: Header=BB330_180 Depth=1
	v_lshl_add_u64 v[20:21], v[16:17], 0, s[38:39]
	v_lshl_add_u64 v[22:23], v[18:19], 0, s[38:39]
	global_load_ubyte v31, v[20:21], off
	global_load_ubyte v32, v[22:23], off
	s_add_u32 s40, s38, 1
	s_addc_u32 s41, s39, 0
	s_andn2_b64 s[14:15], s[14:15], exec
	s_waitcnt vmcnt(0)
	v_cmp_ne_u16_e32 vcc, v31, v32
	s_and_b64 s[42:43], vcc, exec
	s_or_b64 s[14:15], s[14:15], s[42:43]
.LBB330_179:                            ;   in Loop: Header=BB330_180 Depth=1
	s_and_b64 s[42:43], exec, s[14:15]
	s_or_b64 s[10:11], s[42:43], s[10:11]
	v_mov_b64_e32 v[20:21], s[38:39]
	s_mov_b64 s[38:39], s[40:41]
	s_andn2_b64 exec, exec, s[10:11]
	s_cbranch_execz .LBB330_183
.LBB330_180:                            ; =>This Inner Loop Header: Depth=1
	s_or_b64 s[14:15], s[14:15], exec
	s_cmp_eq_u64 s[26:27], s[38:39]
	s_cbranch_scc0 .LBB330_178
; %bb.181:                              ;   in Loop: Header=BB330_180 Depth=1
                                        ; implicit-def: $sgpr40_sgpr41
	s_mov_b64 s[38:39], s[26:27]
	s_branch .LBB330_179
.LBB330_182:
                                        ; implicit-def: $sgpr12_sgpr13
                                        ; implicit-def: $vgpr34
                                        ; implicit-def: $vgpr33
                                        ; implicit-def: $vgpr32
                                        ; implicit-def: $vgpr20
                                        ; implicit-def: $vgpr16_vgpr17
	s_cbranch_execnz .LBB330_242
	s_branch .LBB330_322
.LBB330_183:
	s_or_b64 exec, exec, s[10:11]
	v_cmp_gt_i64_e32 vcc, s[26:27], v[20:21]
	s_orn2_b64 s[10:11], vcc, exec
.LBB330_184:
	s_or_b64 exec, exec, s[12:13]
.LBB330_185:
	v_mul_lo_u32 v20, v3, s26
	v_mul_lo_u32 v21, v2, s27
	v_mad_u64_u32 v[18:19], s[12:13], v2, s26, 0
	v_add3_u32 v19, v19, v21, v20
	s_mov_b64 s[12:13], 0
	s_and_b64 vcc, exec, s[4:5]
	v_lshl_add_u64 v[18:19], s[28:29], 0, v[18:19]
	s_mov_b64 s[14:15], 0
	s_cbranch_vccnz .LBB330_194
; %bb.186:
	global_load_ubyte v20, v[18:19], off
	global_load_ubyte v21, v[16:17], off
	s_mov_b64 s[14:15], -1
	s_waitcnt vmcnt(0)
	v_cmp_eq_u16_e32 vcc, v20, v21
	s_and_saveexec_b64 s[38:39], vcc
	s_cbranch_execz .LBB330_193
; %bb.187:
	s_mov_b64 s[42:43], 1
	s_mov_b64 s[14:15], 0
                                        ; implicit-def: $sgpr40_sgpr41
	s_branch .LBB330_190
.LBB330_188:                            ;   in Loop: Header=BB330_190 Depth=1
	v_lshl_add_u64 v[20:21], v[18:19], 0, s[42:43]
	v_lshl_add_u64 v[22:23], v[16:17], 0, s[42:43]
	global_load_ubyte v31, v[20:21], off
	global_load_ubyte v32, v[22:23], off
	s_add_u32 s44, s42, 1
	s_addc_u32 s45, s43, 0
	s_andn2_b64 s[40:41], s[40:41], exec
	s_waitcnt vmcnt(0)
	v_cmp_ne_u16_e32 vcc, v31, v32
	s_and_b64 s[46:47], vcc, exec
	s_or_b64 s[40:41], s[40:41], s[46:47]
.LBB330_189:                            ;   in Loop: Header=BB330_190 Depth=1
	s_and_b64 s[46:47], exec, s[40:41]
	s_or_b64 s[14:15], s[46:47], s[14:15]
	v_mov_b64_e32 v[20:21], s[42:43]
	s_mov_b64 s[42:43], s[44:45]
	s_andn2_b64 exec, exec, s[14:15]
	s_cbranch_execz .LBB330_192
.LBB330_190:                            ; =>This Inner Loop Header: Depth=1
	s_or_b64 s[40:41], s[40:41], exec
	s_cmp_eq_u64 s[26:27], s[42:43]
	s_cbranch_scc0 .LBB330_188
; %bb.191:                              ;   in Loop: Header=BB330_190 Depth=1
                                        ; implicit-def: $sgpr44_sgpr45
	s_mov_b64 s[42:43], s[26:27]
	s_branch .LBB330_189
.LBB330_192:
	s_or_b64 exec, exec, s[14:15]
	v_cmp_gt_i64_e32 vcc, s[26:27], v[20:21]
	s_orn2_b64 s[14:15], vcc, exec
.LBB330_193:
	s_or_b64 exec, exec, s[38:39]
.LBB330_194:
	v_mul_lo_u32 v20, v9, s26
	v_mul_lo_u32 v21, v8, s27
	v_mad_u64_u32 v[16:17], s[38:39], v8, s26, 0
	v_add3_u32 v17, v17, v21, v20
	s_and_b64 vcc, exec, s[4:5]
	v_lshl_add_u64 v[16:17], s[28:29], 0, v[16:17]
	s_cbranch_vccnz .LBB330_203
; %bb.195:
	global_load_ubyte v20, v[16:17], off
	global_load_ubyte v21, v[18:19], off
	s_mov_b64 s[12:13], -1
	s_waitcnt vmcnt(0)
	v_cmp_eq_u16_e32 vcc, v20, v21
	s_and_saveexec_b64 s[38:39], vcc
	s_cbranch_execz .LBB330_202
; %bb.196:
	s_mov_b64 s[42:43], 1
	s_mov_b64 s[12:13], 0
                                        ; implicit-def: $sgpr40_sgpr41
	s_branch .LBB330_199
.LBB330_197:                            ;   in Loop: Header=BB330_199 Depth=1
	v_lshl_add_u64 v[20:21], v[16:17], 0, s[42:43]
	v_lshl_add_u64 v[22:23], v[18:19], 0, s[42:43]
	global_load_ubyte v31, v[20:21], off
	global_load_ubyte v32, v[22:23], off
	s_add_u32 s44, s42, 1
	s_addc_u32 s45, s43, 0
	s_andn2_b64 s[40:41], s[40:41], exec
	s_waitcnt vmcnt(0)
	v_cmp_ne_u16_e32 vcc, v31, v32
	s_and_b64 s[46:47], vcc, exec
	s_or_b64 s[40:41], s[40:41], s[46:47]
.LBB330_198:                            ;   in Loop: Header=BB330_199 Depth=1
	s_and_b64 s[46:47], exec, s[40:41]
	s_or_b64 s[12:13], s[46:47], s[12:13]
	v_mov_b64_e32 v[20:21], s[42:43]
	s_mov_b64 s[42:43], s[44:45]
	s_andn2_b64 exec, exec, s[12:13]
	s_cbranch_execz .LBB330_201
.LBB330_199:                            ; =>This Inner Loop Header: Depth=1
	s_or_b64 s[40:41], s[40:41], exec
	s_cmp_eq_u64 s[26:27], s[42:43]
	s_cbranch_scc0 .LBB330_197
; %bb.200:                              ;   in Loop: Header=BB330_199 Depth=1
                                        ; implicit-def: $sgpr44_sgpr45
	s_mov_b64 s[42:43], s[26:27]
	s_branch .LBB330_198
.LBB330_201:
	s_or_b64 exec, exec, s[12:13]
	v_cmp_gt_i64_e32 vcc, s[26:27], v[20:21]
	s_orn2_b64 s[12:13], vcc, exec
.LBB330_202:
	s_or_b64 exec, exec, s[38:39]
.LBB330_203:
	v_mul_lo_u32 v20, v7, s26
	v_mul_lo_u32 v21, v6, s27
	v_mad_u64_u32 v[18:19], s[38:39], v6, s26, 0
	v_add3_u32 v19, v19, v21, v20
	s_mov_b64 s[38:39], 0
	s_and_b64 vcc, exec, s[4:5]
	v_lshl_add_u64 v[18:19], s[28:29], 0, v[18:19]
	s_mov_b64 s[40:41], 0
	s_cbranch_vccnz .LBB330_212
; %bb.204:
	global_load_ubyte v20, v[18:19], off
	global_load_ubyte v21, v[16:17], off
	s_mov_b64 s[40:41], -1
	s_waitcnt vmcnt(0)
	v_cmp_eq_u16_e32 vcc, v20, v21
	s_and_saveexec_b64 s[42:43], vcc
	s_cbranch_execz .LBB330_211
; %bb.205:
	s_mov_b64 s[46:47], 1
	s_mov_b64 s[40:41], 0
                                        ; implicit-def: $sgpr44_sgpr45
	s_branch .LBB330_208
.LBB330_206:                            ;   in Loop: Header=BB330_208 Depth=1
	v_lshl_add_u64 v[20:21], v[18:19], 0, s[46:47]
	v_lshl_add_u64 v[22:23], v[16:17], 0, s[46:47]
	global_load_ubyte v31, v[20:21], off
	global_load_ubyte v32, v[22:23], off
	s_add_u32 s48, s46, 1
	s_addc_u32 s49, s47, 0
	s_andn2_b64 s[44:45], s[44:45], exec
	s_waitcnt vmcnt(0)
	v_cmp_ne_u16_e32 vcc, v31, v32
	s_and_b64 s[50:51], vcc, exec
	s_or_b64 s[44:45], s[44:45], s[50:51]
.LBB330_207:                            ;   in Loop: Header=BB330_208 Depth=1
	s_and_b64 s[50:51], exec, s[44:45]
	s_or_b64 s[40:41], s[50:51], s[40:41]
	v_mov_b64_e32 v[20:21], s[46:47]
	s_mov_b64 s[46:47], s[48:49]
	s_andn2_b64 exec, exec, s[40:41]
	s_cbranch_execz .LBB330_210
.LBB330_208:                            ; =>This Inner Loop Header: Depth=1
	s_or_b64 s[44:45], s[44:45], exec
	s_cmp_eq_u64 s[26:27], s[46:47]
	s_cbranch_scc0 .LBB330_206
; %bb.209:                              ;   in Loop: Header=BB330_208 Depth=1
                                        ; implicit-def: $sgpr48_sgpr49
	s_mov_b64 s[46:47], s[26:27]
	s_branch .LBB330_207
.LBB330_210:
	s_or_b64 exec, exec, s[40:41]
	v_cmp_gt_i64_e32 vcc, s[26:27], v[20:21]
	s_orn2_b64 s[40:41], vcc, exec
.LBB330_211:
	s_or_b64 exec, exec, s[42:43]
.LBB330_212:
	v_mul_lo_u32 v20, v13, s26
	v_mul_lo_u32 v21, v12, s27
	v_mad_u64_u32 v[16:17], s[42:43], v12, s26, 0
	v_add3_u32 v17, v17, v21, v20
	s_and_b64 vcc, exec, s[4:5]
	v_lshl_add_u64 v[16:17], s[28:29], 0, v[16:17]
	s_cbranch_vccnz .LBB330_221
; %bb.213:
	global_load_ubyte v20, v[16:17], off
	global_load_ubyte v21, v[18:19], off
	s_mov_b64 s[38:39], -1
	s_waitcnt vmcnt(0)
	v_cmp_eq_u16_e32 vcc, v20, v21
	s_and_saveexec_b64 s[42:43], vcc
	s_cbranch_execz .LBB330_220
; %bb.214:
	s_mov_b64 s[46:47], 1
	s_mov_b64 s[38:39], 0
                                        ; implicit-def: $sgpr44_sgpr45
	s_branch .LBB330_217
.LBB330_215:                            ;   in Loop: Header=BB330_217 Depth=1
	v_lshl_add_u64 v[20:21], v[16:17], 0, s[46:47]
	v_lshl_add_u64 v[22:23], v[18:19], 0, s[46:47]
	global_load_ubyte v31, v[20:21], off
	global_load_ubyte v32, v[22:23], off
	s_add_u32 s48, s46, 1
	s_addc_u32 s49, s47, 0
	s_andn2_b64 s[44:45], s[44:45], exec
	s_waitcnt vmcnt(0)
	v_cmp_ne_u16_e32 vcc, v31, v32
	s_and_b64 s[50:51], vcc, exec
	s_or_b64 s[44:45], s[44:45], s[50:51]
.LBB330_216:                            ;   in Loop: Header=BB330_217 Depth=1
	s_and_b64 s[50:51], exec, s[44:45]
	s_or_b64 s[38:39], s[50:51], s[38:39]
	v_mov_b64_e32 v[20:21], s[46:47]
	s_mov_b64 s[46:47], s[48:49]
	s_andn2_b64 exec, exec, s[38:39]
	s_cbranch_execz .LBB330_219
.LBB330_217:                            ; =>This Inner Loop Header: Depth=1
	s_or_b64 s[44:45], s[44:45], exec
	s_cmp_eq_u64 s[26:27], s[46:47]
	s_cbranch_scc0 .LBB330_215
; %bb.218:                              ;   in Loop: Header=BB330_217 Depth=1
                                        ; implicit-def: $sgpr48_sgpr49
	s_mov_b64 s[46:47], s[26:27]
	s_branch .LBB330_216
.LBB330_219:
	s_or_b64 exec, exec, s[38:39]
	v_cmp_gt_i64_e32 vcc, s[26:27], v[20:21]
	s_orn2_b64 s[38:39], vcc, exec
.LBB330_220:
	s_or_b64 exec, exec, s[42:43]
.LBB330_221:
	v_mul_lo_u32 v20, v11, s26
	v_mul_lo_u32 v21, v10, s27
	v_mad_u64_u32 v[18:19], s[42:43], v10, s26, 0
	v_add3_u32 v19, v19, v21, v20
	s_and_b64 vcc, exec, s[4:5]
	s_mov_b64 s[44:45], 0
	s_cbranch_vccnz .LBB330_230
; %bb.222:
	v_lshl_add_u64 v[20:21], s[28:29], 0, v[18:19]
	global_load_ubyte v22, v[20:21], off
	global_load_ubyte v23, v[16:17], off
	s_mov_b64 s[44:45], -1
	s_waitcnt vmcnt(0)
	v_cmp_eq_u16_e32 vcc, v22, v23
	s_and_saveexec_b64 s[42:43], vcc
	s_cbranch_execz .LBB330_229
; %bb.223:
	s_mov_b64 s[48:49], 1
	s_mov_b64 s[44:45], 0
                                        ; implicit-def: $sgpr46_sgpr47
	s_branch .LBB330_226
.LBB330_224:                            ;   in Loop: Header=BB330_226 Depth=1
	v_lshl_add_u64 v[22:23], v[20:21], 0, s[48:49]
	v_lshl_add_u64 v[32:33], v[16:17], 0, s[48:49]
	global_load_ubyte v22, v[22:23], off
	s_nop 0
	global_load_ubyte v23, v[32:33], off
	s_add_u32 s50, s48, 1
	s_addc_u32 s51, s49, 0
	s_andn2_b64 s[46:47], s[46:47], exec
	s_waitcnt vmcnt(0)
	v_cmp_ne_u16_e32 vcc, v22, v23
	s_and_b64 s[54:55], vcc, exec
	s_or_b64 s[46:47], s[46:47], s[54:55]
.LBB330_225:                            ;   in Loop: Header=BB330_226 Depth=1
	s_and_b64 s[54:55], exec, s[46:47]
	s_or_b64 s[44:45], s[54:55], s[44:45]
	v_mov_b64_e32 v[22:23], s[48:49]
	s_mov_b64 s[48:49], s[50:51]
	s_andn2_b64 exec, exec, s[44:45]
	s_cbranch_execz .LBB330_228
.LBB330_226:                            ; =>This Inner Loop Header: Depth=1
	s_or_b64 s[46:47], s[46:47], exec
	s_cmp_eq_u64 s[26:27], s[48:49]
	s_cbranch_scc0 .LBB330_224
; %bb.227:                              ;   in Loop: Header=BB330_226 Depth=1
                                        ; implicit-def: $sgpr50_sgpr51
	s_mov_b64 s[48:49], s[26:27]
	s_branch .LBB330_225
.LBB330_228:
	s_or_b64 exec, exec, s[44:45]
	v_cmp_gt_i64_e32 vcc, s[26:27], v[22:23]
	s_orn2_b64 s[44:45], vcc, exec
.LBB330_229:
	s_or_b64 exec, exec, s[42:43]
.LBB330_230:
	v_cndmask_b32_e64 v17, 0, 1, s[40:41]
	v_cndmask_b32_e64 v16, 0, 1, s[38:39]
	;; [unrolled: 1-line block ×3, first 2 shown]
	v_lshlrev_b16_e32 v17, 8, v17
	v_cndmask_b32_e64 v32, 0, 1, s[12:13]
	v_cndmask_b32_e64 v20, 0, 1, s[44:45]
	v_or_b32_sdwa v16, v16, v17 dst_sel:WORD_1 dst_unused:UNUSED_PAD src0_sel:DWORD src1_sel:DWORD
	v_lshlrev_b16_e32 v17, 8, v33
	v_lshlrev_b16_e32 v20, 8, v20
	v_or_b32_e32 v17, v32, v17
	v_or_b32_e32 v20, 1, v20
	v_and_b32_e32 v17, 0xffff, v17
	v_cndmask_b32_e64 v34, 0, 1, s[10:11]
	v_or_b32_sdwa v16, v20, v16 dst_sel:DWORD dst_unused:UNUSED_PAD src0_sel:WORD_0 src1_sel:DWORD
	v_lshl_or_b32 v17, v34, 16, v17
	s_waitcnt lgkmcnt(0)
	s_barrier
	s_waitcnt lgkmcnt(0)
                                        ; implicit-def: $sgpr12_sgpr13
                                        ; implicit-def: $vgpr20
	s_and_saveexec_b64 s[10:11], s[2:3]
	s_xor_b64 s[10:11], exec, s[10:11]
	s_cbranch_execz .LBB330_241
; %bb.231:
	s_mov_b32 s42, 0x3020104
	s_and_b64 vcc, exec, s[4:5]
	s_mov_b64 s[12:13], 0
	s_cbranch_vccnz .LBB330_240
; %bb.232:
	v_add_u32_e32 v17, -8, v30
	ds_read_b64 v[20:21], v17
	v_mov_b64_e32 v[22:23], s[28:29]
	v_lshl_add_u64 v[18:19], s[28:29], 0, v[18:19]
	s_mov_b64 s[12:13], -1
	s_waitcnt lgkmcnt(0)
	v_mul_lo_u32 v17, v20, s27
	v_mul_lo_u32 v31, v21, s26
	v_mad_u64_u32 v[20:21], s[4:5], v20, s26, v[22:23]
	v_add3_u32 v21, v31, v21, v17
	global_load_ubyte v17, v[18:19], off
	global_load_ubyte v22, v[20:21], off
	s_waitcnt vmcnt(0)
	v_cmp_eq_u16_e32 vcc, v22, v17
	s_and_saveexec_b64 s[4:5], vcc
	s_cbranch_execz .LBB330_239
; %bb.233:
	s_mov_b64 s[38:39], 1
	s_mov_b64 s[12:13], 0
                                        ; implicit-def: $sgpr14_sgpr15
	s_branch .LBB330_236
.LBB330_234:                            ;   in Loop: Header=BB330_236 Depth=1
	v_lshl_add_u64 v[22:23], v[20:21], 0, s[38:39]
	v_lshl_add_u64 v[36:37], v[18:19], 0, s[38:39]
	global_load_ubyte v17, v[22:23], off
	global_load_ubyte v31, v[36:37], off
	s_add_u32 s40, s38, 1
	s_addc_u32 s41, s39, 0
	s_andn2_b64 s[14:15], s[14:15], exec
	s_waitcnt vmcnt(0)
	v_cmp_ne_u16_e32 vcc, v17, v31
	s_and_b64 s[44:45], vcc, exec
	s_or_b64 s[14:15], s[14:15], s[44:45]
.LBB330_235:                            ;   in Loop: Header=BB330_236 Depth=1
	s_and_b64 s[44:45], exec, s[14:15]
	s_or_b64 s[12:13], s[44:45], s[12:13]
	v_mov_b64_e32 v[22:23], s[38:39]
	s_mov_b64 s[38:39], s[40:41]
	s_andn2_b64 exec, exec, s[12:13]
	s_cbranch_execz .LBB330_238
.LBB330_236:                            ; =>This Inner Loop Header: Depth=1
	s_or_b64 s[14:15], s[14:15], exec
	s_cmp_eq_u64 s[26:27], s[38:39]
	s_cbranch_scc0 .LBB330_234
; %bb.237:                              ;   in Loop: Header=BB330_236 Depth=1
                                        ; implicit-def: $sgpr40_sgpr41
	s_mov_b64 s[38:39], s[26:27]
	s_branch .LBB330_235
.LBB330_238:
	s_or_b64 exec, exec, s[12:13]
	v_cmp_gt_i64_e32 vcc, s[26:27], v[22:23]
	s_orn2_b64 s[12:13], vcc, exec
.LBB330_239:
	s_or_b64 exec, exec, s[4:5]
.LBB330_240:
	v_perm_b32 v20, v16, v16, s42
	s_and_b64 s[12:13], s[12:13], exec
	s_or_b64 s[8:9], s[8:9], exec
                                        ; implicit-def: $vgpr16_vgpr17
.LBB330_241:
	s_or_b64 exec, exec, s[10:11]
	s_branch .LBB330_322
.LBB330_242:
	v_cmp_gt_u32_e32 vcc, s52, v27
	s_mov_b64 s[10:11], 0
	s_mov_b64 s[4:5], 0
	s_and_saveexec_b64 s[12:13], vcc
	s_cbranch_execz .LBB330_253
; %bb.243:
	s_andn2_b64 vcc, exec, s[6:7]
	s_mov_b64 s[14:15], 0
	s_cbranch_vccnz .LBB330_252
; %bb.244:
	v_mov_b64_e32 v[18:19], s[28:29]
	s_waitcnt vmcnt(0) lgkmcnt(1)
	v_mad_u64_u32 v[16:17], s[4:5], v4, s26, v[18:19]
	v_mul_lo_u32 v20, v4, s27
	v_mul_lo_u32 v21, v5, s26
	v_add3_u32 v17, v21, v17, v20
	v_mad_u64_u32 v[18:19], s[4:5], v14, s26, v[18:19]
	v_mul_lo_u32 v20, v14, s27
	v_mul_lo_u32 v21, v15, s26
	v_add3_u32 v19, v21, v19, v20
	global_load_ubyte v20, v[16:17], off
	global_load_ubyte v21, v[18:19], off
	s_mov_b64 s[14:15], -1
	s_waitcnt vmcnt(0)
	v_cmp_eq_u16_e32 vcc, v20, v21
	s_and_saveexec_b64 s[4:5], vcc
	s_cbranch_execz .LBB330_251
; %bb.245:
	s_mov_b64 s[40:41], 1
	s_mov_b64 s[14:15], 0
                                        ; implicit-def: $sgpr38_sgpr39
	s_branch .LBB330_248
.LBB330_246:                            ;   in Loop: Header=BB330_248 Depth=1
	v_lshl_add_u64 v[20:21], v[16:17], 0, s[40:41]
	v_lshl_add_u64 v[22:23], v[18:19], 0, s[40:41]
	global_load_ubyte v31, v[20:21], off
	global_load_ubyte v32, v[22:23], off
	s_add_u32 s42, s40, 1
	s_addc_u32 s43, s41, 0
	s_andn2_b64 s[38:39], s[38:39], exec
	s_waitcnt vmcnt(0)
	v_cmp_ne_u16_e32 vcc, v31, v32
	s_and_b64 s[44:45], vcc, exec
	s_or_b64 s[38:39], s[38:39], s[44:45]
.LBB330_247:                            ;   in Loop: Header=BB330_248 Depth=1
	s_and_b64 s[44:45], exec, s[38:39]
	s_or_b64 s[14:15], s[44:45], s[14:15]
	v_mov_b64_e32 v[20:21], s[40:41]
	s_mov_b64 s[40:41], s[42:43]
	s_andn2_b64 exec, exec, s[14:15]
	s_cbranch_execz .LBB330_250
.LBB330_248:                            ; =>This Inner Loop Header: Depth=1
	s_or_b64 s[38:39], s[38:39], exec
	s_cmp_eq_u64 s[26:27], s[40:41]
	s_cbranch_scc0 .LBB330_246
; %bb.249:                              ;   in Loop: Header=BB330_248 Depth=1
                                        ; implicit-def: $sgpr42_sgpr43
	s_mov_b64 s[40:41], s[26:27]
	s_branch .LBB330_247
.LBB330_250:
	s_or_b64 exec, exec, s[14:15]
	v_cmp_gt_i64_e32 vcc, s[26:27], v[20:21]
	s_orn2_b64 s[14:15], vcc, exec
.LBB330_251:
	s_or_b64 exec, exec, s[4:5]
.LBB330_252:
	s_and_b64 s[4:5], s[14:15], exec
.LBB330_253:
	s_or_b64 exec, exec, s[12:13]
	v_cmp_gt_u32_e32 vcc, s52, v29
	s_and_saveexec_b64 s[12:13], vcc
	s_cbranch_execz .LBB330_264
; %bb.254:
	s_andn2_b64 vcc, exec, s[6:7]
	s_mov_b64 s[14:15], 0
	s_cbranch_vccnz .LBB330_263
; %bb.255:
	v_mov_b64_e32 v[18:19], s[28:29]
	s_waitcnt vmcnt(0) lgkmcnt(1)
	v_mad_u64_u32 v[16:17], s[10:11], v2, s26, v[18:19]
	v_mul_lo_u32 v20, v2, s27
	v_mul_lo_u32 v21, v3, s26
	v_add3_u32 v17, v21, v17, v20
	v_mad_u64_u32 v[18:19], s[10:11], v4, s26, v[18:19]
	v_mul_lo_u32 v20, v4, s27
	v_mul_lo_u32 v21, v5, s26
	v_add3_u32 v19, v21, v19, v20
	global_load_ubyte v20, v[16:17], off
	global_load_ubyte v21, v[18:19], off
	s_mov_b64 s[14:15], -1
	s_waitcnt vmcnt(0)
	v_cmp_eq_u16_e32 vcc, v20, v21
	s_and_saveexec_b64 s[10:11], vcc
	s_cbranch_execz .LBB330_262
; %bb.256:
	s_mov_b64 s[40:41], 1
	s_mov_b64 s[14:15], 0
                                        ; implicit-def: $sgpr38_sgpr39
	s_branch .LBB330_259
.LBB330_257:                            ;   in Loop: Header=BB330_259 Depth=1
	v_lshl_add_u64 v[20:21], v[16:17], 0, s[40:41]
	v_lshl_add_u64 v[22:23], v[18:19], 0, s[40:41]
	global_load_ubyte v31, v[20:21], off
	global_load_ubyte v32, v[22:23], off
	s_add_u32 s42, s40, 1
	s_addc_u32 s43, s41, 0
	s_andn2_b64 s[38:39], s[38:39], exec
	s_waitcnt vmcnt(0)
	v_cmp_ne_u16_e32 vcc, v31, v32
	s_and_b64 s[44:45], vcc, exec
	s_or_b64 s[38:39], s[38:39], s[44:45]
.LBB330_258:                            ;   in Loop: Header=BB330_259 Depth=1
	s_and_b64 s[44:45], exec, s[38:39]
	s_or_b64 s[14:15], s[44:45], s[14:15]
	v_mov_b64_e32 v[20:21], s[40:41]
	s_mov_b64 s[40:41], s[42:43]
	s_andn2_b64 exec, exec, s[14:15]
	s_cbranch_execz .LBB330_261
.LBB330_259:                            ; =>This Inner Loop Header: Depth=1
	s_or_b64 s[38:39], s[38:39], exec
	s_cmp_eq_u64 s[26:27], s[40:41]
	s_cbranch_scc0 .LBB330_257
; %bb.260:                              ;   in Loop: Header=BB330_259 Depth=1
                                        ; implicit-def: $sgpr42_sgpr43
	s_mov_b64 s[40:41], s[26:27]
	s_branch .LBB330_258
.LBB330_261:
	s_or_b64 exec, exec, s[14:15]
	v_cmp_gt_i64_e32 vcc, s[26:27], v[20:21]
	s_orn2_b64 s[14:15], vcc, exec
.LBB330_262:
	s_or_b64 exec, exec, s[10:11]
.LBB330_263:
	s_and_b64 s[10:11], s[14:15], exec
.LBB330_264:
	s_or_b64 exec, exec, s[12:13]
	v_cmp_gt_u32_e32 vcc, s52, v26
	s_mov_b64 s[14:15], 0
	s_mov_b64 s[12:13], 0
	s_and_saveexec_b64 s[38:39], vcc
	s_cbranch_execz .LBB330_275
; %bb.265:
	s_andn2_b64 vcc, exec, s[6:7]
	s_mov_b64 s[40:41], 0
	s_cbranch_vccnz .LBB330_274
; %bb.266:
	v_mov_b64_e32 v[18:19], s[28:29]
	s_waitcnt vmcnt(0) lgkmcnt(1)
	v_mad_u64_u32 v[16:17], s[12:13], v8, s26, v[18:19]
	v_mul_lo_u32 v20, v8, s27
	v_mul_lo_u32 v21, v9, s26
	v_add3_u32 v17, v21, v17, v20
	v_mad_u64_u32 v[18:19], s[12:13], v2, s26, v[18:19]
	v_mul_lo_u32 v20, v2, s27
	v_mul_lo_u32 v21, v3, s26
	v_add3_u32 v19, v21, v19, v20
	global_load_ubyte v20, v[16:17], off
	global_load_ubyte v21, v[18:19], off
	s_mov_b64 s[40:41], -1
	s_waitcnt vmcnt(0)
	v_cmp_eq_u16_e32 vcc, v20, v21
	s_and_saveexec_b64 s[12:13], vcc
	s_cbranch_execz .LBB330_273
; %bb.267:
	s_mov_b64 s[44:45], 1
	s_mov_b64 s[40:41], 0
                                        ; implicit-def: $sgpr42_sgpr43
	s_branch .LBB330_270
.LBB330_268:                            ;   in Loop: Header=BB330_270 Depth=1
	v_lshl_add_u64 v[20:21], v[16:17], 0, s[44:45]
	v_lshl_add_u64 v[22:23], v[18:19], 0, s[44:45]
	global_load_ubyte v31, v[20:21], off
	global_load_ubyte v32, v[22:23], off
	s_add_u32 s46, s44, 1
	s_addc_u32 s47, s45, 0
	s_andn2_b64 s[42:43], s[42:43], exec
	s_waitcnt vmcnt(0)
	v_cmp_ne_u16_e32 vcc, v31, v32
	s_and_b64 s[48:49], vcc, exec
	s_or_b64 s[42:43], s[42:43], s[48:49]
.LBB330_269:                            ;   in Loop: Header=BB330_270 Depth=1
	s_and_b64 s[48:49], exec, s[42:43]
	s_or_b64 s[40:41], s[48:49], s[40:41]
	v_mov_b64_e32 v[20:21], s[44:45]
	s_mov_b64 s[44:45], s[46:47]
	s_andn2_b64 exec, exec, s[40:41]
	s_cbranch_execz .LBB330_272
.LBB330_270:                            ; =>This Inner Loop Header: Depth=1
	s_or_b64 s[42:43], s[42:43], exec
	s_cmp_eq_u64 s[26:27], s[44:45]
	s_cbranch_scc0 .LBB330_268
; %bb.271:                              ;   in Loop: Header=BB330_270 Depth=1
                                        ; implicit-def: $sgpr46_sgpr47
	s_mov_b64 s[44:45], s[26:27]
	s_branch .LBB330_269
.LBB330_272:
	s_or_b64 exec, exec, s[40:41]
	v_cmp_gt_i64_e32 vcc, s[26:27], v[20:21]
	s_orn2_b64 s[40:41], vcc, exec
.LBB330_273:
	s_or_b64 exec, exec, s[12:13]
.LBB330_274:
	s_and_b64 s[12:13], s[40:41], exec
.LBB330_275:
	s_or_b64 exec, exec, s[38:39]
	v_cmp_gt_u32_e32 vcc, s52, v28
	s_and_saveexec_b64 s[38:39], vcc
	s_cbranch_execz .LBB330_286
; %bb.276:
	s_andn2_b64 vcc, exec, s[6:7]
	s_mov_b64 s[40:41], 0
	s_cbranch_vccnz .LBB330_285
; %bb.277:
	v_mov_b64_e32 v[18:19], s[28:29]
	s_waitcnt vmcnt(0) lgkmcnt(1)
	v_mad_u64_u32 v[16:17], s[14:15], v6, s26, v[18:19]
	v_mul_lo_u32 v20, v6, s27
	v_mul_lo_u32 v21, v7, s26
	v_add3_u32 v17, v21, v17, v20
	v_mad_u64_u32 v[18:19], s[14:15], v8, s26, v[18:19]
	v_mul_lo_u32 v20, v8, s27
	v_mul_lo_u32 v21, v9, s26
	v_add3_u32 v19, v21, v19, v20
	global_load_ubyte v20, v[16:17], off
	global_load_ubyte v21, v[18:19], off
	s_mov_b64 s[40:41], -1
	s_waitcnt vmcnt(0)
	v_cmp_eq_u16_e32 vcc, v20, v21
	s_and_saveexec_b64 s[14:15], vcc
	s_cbranch_execz .LBB330_284
; %bb.278:
	s_mov_b64 s[44:45], 1
	s_mov_b64 s[40:41], 0
                                        ; implicit-def: $sgpr42_sgpr43
	s_branch .LBB330_281
.LBB330_279:                            ;   in Loop: Header=BB330_281 Depth=1
	v_lshl_add_u64 v[20:21], v[16:17], 0, s[44:45]
	v_lshl_add_u64 v[22:23], v[18:19], 0, s[44:45]
	global_load_ubyte v31, v[20:21], off
	global_load_ubyte v32, v[22:23], off
	s_add_u32 s46, s44, 1
	s_addc_u32 s47, s45, 0
	s_andn2_b64 s[42:43], s[42:43], exec
	s_waitcnt vmcnt(0)
	v_cmp_ne_u16_e32 vcc, v31, v32
	s_and_b64 s[48:49], vcc, exec
	s_or_b64 s[42:43], s[42:43], s[48:49]
.LBB330_280:                            ;   in Loop: Header=BB330_281 Depth=1
	s_and_b64 s[48:49], exec, s[42:43]
	s_or_b64 s[40:41], s[48:49], s[40:41]
	v_mov_b64_e32 v[20:21], s[44:45]
	s_mov_b64 s[44:45], s[46:47]
	s_andn2_b64 exec, exec, s[40:41]
	s_cbranch_execz .LBB330_283
.LBB330_281:                            ; =>This Inner Loop Header: Depth=1
	s_or_b64 s[42:43], s[42:43], exec
	s_cmp_eq_u64 s[26:27], s[44:45]
	s_cbranch_scc0 .LBB330_279
; %bb.282:                              ;   in Loop: Header=BB330_281 Depth=1
                                        ; implicit-def: $sgpr46_sgpr47
	s_mov_b64 s[44:45], s[26:27]
	s_branch .LBB330_280
.LBB330_283:
	s_or_b64 exec, exec, s[40:41]
	v_cmp_gt_i64_e32 vcc, s[26:27], v[20:21]
	s_orn2_b64 s[40:41], vcc, exec
.LBB330_284:
	s_or_b64 exec, exec, s[14:15]
.LBB330_285:
	s_and_b64 s[14:15], s[40:41], exec
.LBB330_286:
	s_or_b64 exec, exec, s[38:39]
	v_cmp_gt_u32_e32 vcc, s52, v24
	s_mov_b64 s[38:39], 0
	s_mov_b64 s[40:41], 0
	s_and_saveexec_b64 s[42:43], vcc
	s_cbranch_execz .LBB330_297
; %bb.287:
	s_andn2_b64 vcc, exec, s[6:7]
	s_mov_b64 s[44:45], 0
	s_cbranch_vccnz .LBB330_296
; %bb.288:
	v_mov_b64_e32 v[18:19], s[28:29]
	s_waitcnt vmcnt(0) lgkmcnt(1)
	v_mad_u64_u32 v[16:17], s[40:41], v12, s26, v[18:19]
	v_mul_lo_u32 v20, v12, s27
	v_mul_lo_u32 v21, v13, s26
	v_add3_u32 v17, v21, v17, v20
	v_mad_u64_u32 v[18:19], s[40:41], v6, s26, v[18:19]
	v_mul_lo_u32 v20, v6, s27
	v_mul_lo_u32 v21, v7, s26
	v_add3_u32 v19, v21, v19, v20
	global_load_ubyte v20, v[16:17], off
	global_load_ubyte v21, v[18:19], off
	s_mov_b64 s[44:45], -1
	s_waitcnt vmcnt(0)
	v_cmp_eq_u16_e32 vcc, v20, v21
	s_and_saveexec_b64 s[40:41], vcc
	s_cbranch_execz .LBB330_295
; %bb.289:
	s_mov_b64 s[48:49], 1
	s_mov_b64 s[44:45], 0
                                        ; implicit-def: $sgpr46_sgpr47
	s_branch .LBB330_292
.LBB330_290:                            ;   in Loop: Header=BB330_292 Depth=1
	v_lshl_add_u64 v[20:21], v[16:17], 0, s[48:49]
	v_lshl_add_u64 v[22:23], v[18:19], 0, s[48:49]
	global_load_ubyte v20, v[20:21], off
	s_nop 0
	global_load_ubyte v21, v[22:23], off
	s_add_u32 s50, s48, 1
	s_addc_u32 s51, s49, 0
	s_andn2_b64 s[46:47], s[46:47], exec
	s_waitcnt vmcnt(0)
	v_cmp_ne_u16_e32 vcc, v20, v21
	s_and_b64 s[54:55], vcc, exec
	s_or_b64 s[46:47], s[46:47], s[54:55]
.LBB330_291:                            ;   in Loop: Header=BB330_292 Depth=1
	s_and_b64 s[54:55], exec, s[46:47]
	s_or_b64 s[44:45], s[54:55], s[44:45]
	v_mov_b64_e32 v[20:21], s[48:49]
	s_mov_b64 s[48:49], s[50:51]
	s_andn2_b64 exec, exec, s[44:45]
	s_cbranch_execz .LBB330_294
.LBB330_292:                            ; =>This Inner Loop Header: Depth=1
	s_or_b64 s[46:47], s[46:47], exec
	s_cmp_eq_u64 s[26:27], s[48:49]
	s_cbranch_scc0 .LBB330_290
; %bb.293:                              ;   in Loop: Header=BB330_292 Depth=1
                                        ; implicit-def: $sgpr50_sgpr51
	s_mov_b64 s[48:49], s[26:27]
	s_branch .LBB330_291
.LBB330_294:
	s_or_b64 exec, exec, s[44:45]
	v_cmp_gt_i64_e32 vcc, s[26:27], v[20:21]
	s_orn2_b64 s[44:45], vcc, exec
.LBB330_295:
	s_or_b64 exec, exec, s[40:41]
.LBB330_296:
	s_and_b64 s[40:41], s[44:45], exec
.LBB330_297:
	s_or_b64 exec, exec, s[42:43]
	v_cmp_gt_u32_e32 vcc, s52, v25
	s_and_saveexec_b64 s[42:43], vcc
	s_cbranch_execz .LBB330_308
; %bb.298:
	s_andn2_b64 vcc, exec, s[6:7]
	s_mov_b64 s[44:45], 0
	s_cbranch_vccnz .LBB330_307
; %bb.299:
	v_mov_b64_e32 v[18:19], s[28:29]
	s_waitcnt vmcnt(0) lgkmcnt(1)
	v_mad_u64_u32 v[16:17], s[38:39], v10, s26, v[18:19]
	v_mul_lo_u32 v20, v10, s27
	v_mul_lo_u32 v21, v11, s26
	v_add3_u32 v17, v21, v17, v20
	v_mad_u64_u32 v[18:19], s[38:39], v12, s26, v[18:19]
	v_mul_lo_u32 v20, v12, s27
	v_mul_lo_u32 v21, v13, s26
	v_add3_u32 v19, v21, v19, v20
	global_load_ubyte v20, v[16:17], off
	global_load_ubyte v21, v[18:19], off
	s_mov_b64 s[44:45], -1
	s_waitcnt vmcnt(0)
	v_cmp_eq_u16_e32 vcc, v20, v21
	s_and_saveexec_b64 s[38:39], vcc
	s_cbranch_execz .LBB330_306
; %bb.300:
	s_mov_b64 s[48:49], 1
	s_mov_b64 s[44:45], 0
                                        ; implicit-def: $sgpr46_sgpr47
	s_branch .LBB330_303
.LBB330_301:                            ;   in Loop: Header=BB330_303 Depth=1
	v_lshl_add_u64 v[20:21], v[16:17], 0, s[48:49]
	v_lshl_add_u64 v[22:23], v[18:19], 0, s[48:49]
	global_load_ubyte v20, v[20:21], off
	s_nop 0
	global_load_ubyte v21, v[22:23], off
	s_add_u32 s50, s48, 1
	s_addc_u32 s51, s49, 0
	s_andn2_b64 s[46:47], s[46:47], exec
	s_waitcnt vmcnt(0)
	v_cmp_ne_u16_e32 vcc, v20, v21
	s_and_b64 s[54:55], vcc, exec
	s_or_b64 s[46:47], s[46:47], s[54:55]
.LBB330_302:                            ;   in Loop: Header=BB330_303 Depth=1
	s_and_b64 s[54:55], exec, s[46:47]
	s_or_b64 s[44:45], s[54:55], s[44:45]
	v_mov_b64_e32 v[20:21], s[48:49]
	s_mov_b64 s[48:49], s[50:51]
	s_andn2_b64 exec, exec, s[44:45]
	s_cbranch_execz .LBB330_305
.LBB330_303:                            ; =>This Inner Loop Header: Depth=1
	s_or_b64 s[46:47], s[46:47], exec
	s_cmp_eq_u64 s[26:27], s[48:49]
	s_cbranch_scc0 .LBB330_301
; %bb.304:                              ;   in Loop: Header=BB330_303 Depth=1
                                        ; implicit-def: $sgpr50_sgpr51
	s_mov_b64 s[48:49], s[26:27]
	s_branch .LBB330_302
.LBB330_305:
	s_or_b64 exec, exec, s[44:45]
	v_cmp_gt_i64_e32 vcc, s[26:27], v[20:21]
	s_orn2_b64 s[44:45], vcc, exec
.LBB330_306:
	s_or_b64 exec, exec, s[38:39]
.LBB330_307:
	s_and_b64 s[38:39], s[44:45], exec
.LBB330_308:
	s_or_b64 exec, exec, s[42:43]
	s_waitcnt vmcnt(0) lgkmcnt(1)
	v_cndmask_b32_e64 v17, 0, 1, s[14:15]
	v_cndmask_b32_e64 v16, 0, 1, s[40:41]
	;; [unrolled: 1-line block ×3, first 2 shown]
	v_lshlrev_b16_e32 v17, 8, v17
	v_cndmask_b32_e64 v32, 0, 1, s[12:13]
	v_cndmask_b32_e64 v18, 0, 1, s[38:39]
	v_or_b32_sdwa v16, v16, v17 dst_sel:WORD_1 dst_unused:UNUSED_PAD src0_sel:DWORD src1_sel:DWORD
	v_lshlrev_b16_e32 v17, 8, v33
	v_lshlrev_b16_e32 v18, 8, v18
	v_or_b32_e32 v17, v32, v17
	v_or_b32_e32 v18, 1, v18
	v_and_b32_e32 v17, 0xffff, v17
	v_cndmask_b32_e64 v34, 0, 1, s[4:5]
	v_or_b32_sdwa v16, v18, v16 dst_sel:DWORD dst_unused:UNUSED_PAD src0_sel:WORD_0 src1_sel:DWORD
	v_lshl_or_b32 v17, v34, 16, v17
	s_waitcnt lgkmcnt(0)
	s_barrier
	s_waitcnt lgkmcnt(0)
                                        ; implicit-def: $sgpr12_sgpr13
                                        ; implicit-def: $vgpr20
	s_and_saveexec_b64 s[4:5], s[2:3]
	s_cbranch_execz .LBB330_321
; %bb.309:
	v_cmp_gt_u32_e32 vcc, s52, v1
	s_mov_b32 s38, 0x3020104
	s_mov_b64 s[10:11], 0
	s_and_saveexec_b64 s[2:3], vcc
	s_cbranch_execz .LBB330_320
; %bb.310:
	s_andn2_b64 vcc, exec, s[6:7]
	s_cbranch_vccnz .LBB330_319
; %bb.311:
	v_add_u32_e32 v17, -8, v30
	ds_read_b64 v[18:19], v17
	v_mov_b64_e32 v[20:21], s[28:29]
	s_mov_b64 s[10:11], -1
	s_waitcnt lgkmcnt(0)
	v_mul_lo_u32 v17, v18, s27
	v_mul_lo_u32 v22, v19, s26
	v_mad_u64_u32 v[18:19], s[6:7], v18, s26, v[20:21]
	v_add3_u32 v19, v22, v19, v17
	v_mad_u64_u32 v[20:21], s[6:7], v10, s26, v[20:21]
	v_mul_lo_u32 v17, v10, s27
	v_mul_lo_u32 v22, v11, s26
	v_add3_u32 v21, v22, v21, v17
	global_load_ubyte v17, v[18:19], off
	global_load_ubyte v22, v[20:21], off
	s_waitcnt vmcnt(0)
	v_cmp_eq_u16_e32 vcc, v17, v22
	s_and_saveexec_b64 s[6:7], vcc
	s_cbranch_execz .LBB330_318
; %bb.312:
	s_mov_b64 s[14:15], 1
	s_mov_b64 s[10:11], 0
                                        ; implicit-def: $sgpr12_sgpr13
	s_branch .LBB330_315
.LBB330_313:                            ;   in Loop: Header=BB330_315 Depth=1
	v_lshl_add_u64 v[22:23], v[18:19], 0, s[14:15]
	v_lshl_add_u64 v[30:31], v[20:21], 0, s[14:15]
	global_load_ubyte v17, v[22:23], off
	global_load_ubyte v35, v[30:31], off
	s_add_u32 s28, s14, 1
	s_addc_u32 s29, s15, 0
	s_andn2_b64 s[12:13], s[12:13], exec
	s_waitcnt vmcnt(0)
	v_cmp_ne_u16_e32 vcc, v17, v35
	s_and_b64 s[40:41], vcc, exec
	s_or_b64 s[12:13], s[12:13], s[40:41]
.LBB330_314:                            ;   in Loop: Header=BB330_315 Depth=1
	s_and_b64 s[40:41], exec, s[12:13]
	s_or_b64 s[10:11], s[40:41], s[10:11]
	v_mov_b64_e32 v[22:23], s[14:15]
	s_mov_b64 s[14:15], s[28:29]
	s_andn2_b64 exec, exec, s[10:11]
	s_cbranch_execz .LBB330_317
.LBB330_315:                            ; =>This Inner Loop Header: Depth=1
	s_or_b64 s[12:13], s[12:13], exec
	s_cmp_eq_u64 s[26:27], s[14:15]
	s_cbranch_scc0 .LBB330_313
; %bb.316:                              ;   in Loop: Header=BB330_315 Depth=1
                                        ; implicit-def: $sgpr28_sgpr29
	s_mov_b64 s[14:15], s[26:27]
	s_branch .LBB330_314
.LBB330_317:
	s_or_b64 exec, exec, s[10:11]
	v_cmp_gt_i64_e32 vcc, s[26:27], v[22:23]
	s_orn2_b64 s[10:11], vcc, exec
.LBB330_318:
	s_or_b64 exec, exec, s[6:7]
.LBB330_319:
	s_and_b64 s[10:11], s[10:11], exec
.LBB330_320:
	s_or_b64 exec, exec, s[2:3]
	v_perm_b32 v20, v16, v16, s38
	s_and_b64 s[12:13], s[10:11], exec
	s_or_b64 s[8:9], s[8:9], exec
                                        ; implicit-def: $vgpr16_vgpr17
.LBB330_321:
	s_or_b64 exec, exec, s[4:5]
.LBB330_322:
	s_and_saveexec_b64 s[2:3], s[8:9]
	s_cbranch_execz .LBB330_324
; %bb.323:
	s_waitcnt vmcnt(0) lgkmcnt(0)
	v_lshlrev_b16_e32 v17, 8, v33
	v_and_b32_e32 v18, 0xff, v34
	v_or_b32_sdwa v17, v32, v17 dst_sel:DWORD dst_unused:UNUSED_PAD src0_sel:BYTE_0 src1_sel:DWORD
	v_lshlrev_b32_e32 v18, 16, v18
	s_movk_i32 s4, 0xff
	v_or_b32_sdwa v17, v17, v18 dst_sel:DWORD dst_unused:UNUSED_PAD src0_sel:WORD_0 src1_sel:DWORD
	v_lshrrev_b32_e32 v18, 24, v20
	v_lshlrev_b16_e32 v18, 8, v18
	v_and_b32_sdwa v19, v20, s4 dst_sel:DWORD dst_unused:UNUSED_PAD src0_sel:WORD_1 src1_sel:DWORD
	v_or_b32_sdwa v18, v19, v18 dst_sel:WORD_1 dst_unused:UNUSED_PAD src0_sel:DWORD src1_sel:DWORD
	v_mov_b32_e32 v19, 8
	v_cndmask_b32_e64 v16, 0, 1, s[12:13]
	v_lshrrev_b32_sdwa v19, v19, v20 dst_sel:BYTE_1 dst_unused:UNUSED_PAD src0_sel:DWORD src1_sel:DWORD
	s_nop 0
	v_or_b32_e32 v16, v16, v19
	v_or_b32_sdwa v16, v16, v18 dst_sel:DWORD dst_unused:UNUSED_PAD src0_sel:WORD_0 src1_sel:DWORD
.LBB330_324:
	s_or_b64 exec, exec, s[2:3]
	s_andn2_b64 vcc, exec, s[0:1]
	s_cbranch_vccnz .LBB330_326
; %bb.325:
	s_waitcnt vmcnt(0) lgkmcnt(0)
	v_and_b32_e32 v18, 0xffff0000, v16
	v_cmp_gt_u32_e32 vcc, s52, v1
	s_mov_b32 s0, 0x40c0100
	s_nop 0
	v_cndmask_b32_e32 v1, v18, v16, vcc
	v_and_b32_e32 v1, 0xffff00ff, v1
	v_cmp_gt_u32_e32 vcc, s52, v25
	s_nop 1
	v_cndmask_b32_e32 v1, v1, v16, vcc
	v_lshrrev_b32_e32 v18, 24, v1
	v_perm_b32 v1, v18, v1, s0
	v_cmp_gt_u32_e32 vcc, s52, v24
	v_and_b32_e32 v18, 0xffffff00, v17
	s_nop 0
	v_cndmask_b32_e32 v1, v1, v16, vcc
	v_and_b32_e32 v1, 0xffffff, v1
	v_cmp_gt_u32_e32 vcc, s52, v28
	s_nop 1
	v_cndmask_b32_e32 v1, v1, v16, vcc
	v_cmp_gt_u32_e32 vcc, s52, v26
	s_nop 1
	v_cndmask_b32_e32 v18, v18, v17, vcc
	v_and_b32_e32 v18, 0xffff00ff, v18
	v_cndmask_b32_e32 v1, v1, v16, vcc
	v_cmp_gt_u32_e32 vcc, s52, v29
	s_nop 1
	v_cndmask_b32_e32 v18, v18, v17, vcc
	v_lshrrev_b32_e32 v19, 24, v18
	v_cndmask_b32_e32 v1, v1, v16, vcc
	v_perm_b32 v18, v19, v18, s0
	v_cmp_gt_u32_e32 vcc, s52, v27
	s_mov_b32 s0, 0x3020104
	s_nop 0
	v_cndmask_b32_e32 v1, v1, v16, vcc
	v_cndmask_b32_e32 v16, v18, v17, vcc
	v_mov_b32_e32 v17, 8
	v_lshrrev_b32_sdwa v17, v17, v16 dst_sel:BYTE_1 dst_unused:UNUSED_PAD src0_sel:DWORD src1_sel:DWORD
	s_nop 0
	v_or_b32_sdwa v17, v16, v17 dst_sel:DWORD dst_unused:UNUSED_PAD src0_sel:BYTE_0 src1_sel:DWORD
	v_and_b32_e32 v17, 0xffff, v17
	v_bfe_u32 v16, v16, 16, 8
	v_lshl_or_b32 v17, v16, 16, v17
	v_perm_b32 v16, v1, v1, s0
.LBB330_326:
	s_waitcnt vmcnt(0) lgkmcnt(0)
	v_and_b32_e32 v1, 0xff, v16
	v_bfe_u32 v29, v16, 8, 8
	v_bfe_u32 v31, v16, 16, 8
	v_alignbit_b32 v18, v17, v16, 24
	v_and_b32_e32 v33, 0xff, v18
	v_and_b32_e32 v35, 0xff, v17
	v_add3_u32 v19, v29, v1, v31
	v_bfe_u32 v36, v17, 8, 8
	v_bfe_u32 v18, v17, 16, 8
	v_add3_u32 v19, v19, v33, v35
	v_add3_u32 v39, v19, v36, v18
	v_mbcnt_lo_u32_b32 v18, -1, 0
	v_mbcnt_hi_u32_b32 v37, -1, v18
	v_and_b32_e32 v18, 15, v37
	v_cmp_eq_u32_e64 s[14:15], 0, v18
	v_cmp_lt_u32_e64 s[12:13], 1, v18
	v_cmp_lt_u32_e64 s[10:11], 3, v18
	;; [unrolled: 1-line block ×3, first 2 shown]
	v_and_b32_e32 v18, 16, v37
	v_cmp_eq_u32_e64 s[6:7], 0, v18
	v_or_b32_e32 v18, 63, v0
	v_cmp_lt_u32_e64 s[2:3], 31, v37
	v_lshrrev_b32_e32 v38, 6, v0
	v_cmp_eq_u32_e64 s[4:5], v18, v0
	s_and_b64 vcc, exec, s[16:17]
	s_barrier
	s_cbranch_vccz .LBB330_357
; %bb.327:
	v_mov_b32_dpp v18, v39 row_shr:1 row_mask:0xf bank_mask:0xf
	v_cndmask_b32_e64 v18, v18, 0, s[14:15]
	v_add_u32_e32 v18, v18, v39
	s_nop 1
	v_mov_b32_dpp v19, v18 row_shr:2 row_mask:0xf bank_mask:0xf
	v_cndmask_b32_e64 v19, 0, v19, s[12:13]
	v_add_u32_e32 v18, v18, v19
	s_nop 1
	;; [unrolled: 4-line block ×4, first 2 shown]
	v_mov_b32_dpp v19, v18 row_bcast:15 row_mask:0xf bank_mask:0xf
	v_cndmask_b32_e64 v19, v19, 0, s[6:7]
	v_add_u32_e32 v18, v18, v19
	s_nop 1
	v_mov_b32_dpp v19, v18 row_bcast:31 row_mask:0xf bank_mask:0xf
	v_cndmask_b32_e64 v19, 0, v19, s[2:3]
	v_add_u32_e32 v18, v18, v19
	s_and_saveexec_b64 s[0:1], s[4:5]
	s_cbranch_execz .LBB330_329
; %bb.328:
	v_lshlrev_b32_e32 v19, 2, v38
	ds_write_b32 v19, v18
.LBB330_329:
	s_or_b64 exec, exec, s[0:1]
	v_cmp_gt_u32_e32 vcc, 8, v0
	s_waitcnt lgkmcnt(0)
	s_barrier
	s_and_saveexec_b64 s[0:1], vcc
	s_cbranch_execz .LBB330_331
; %bb.330:
	v_lshlrev_b32_e32 v19, 2, v0
	ds_read_b32 v20, v19
	v_and_b32_e32 v21, 7, v37
	v_cmp_ne_u32_e32 vcc, 0, v21
	s_waitcnt lgkmcnt(0)
	v_mov_b32_dpp v22, v20 row_shr:1 row_mask:0xf bank_mask:0xf
	v_cndmask_b32_e32 v22, 0, v22, vcc
	v_add_u32_e32 v20, v22, v20
	v_cmp_lt_u32_e32 vcc, 1, v21
	s_nop 0
	v_mov_b32_dpp v22, v20 row_shr:2 row_mask:0xf bank_mask:0xf
	v_cndmask_b32_e32 v22, 0, v22, vcc
	v_add_u32_e32 v20, v20, v22
	v_cmp_lt_u32_e32 vcc, 3, v21
	s_nop 0
	v_mov_b32_dpp v22, v20 row_shr:4 row_mask:0xf bank_mask:0xf
	v_cndmask_b32_e32 v21, 0, v22, vcc
	v_add_u32_e32 v20, v20, v21
	ds_write_b32 v19, v20
.LBB330_331:
	s_or_b64 exec, exec, s[0:1]
	v_cmp_gt_u32_e32 vcc, 64, v0
	v_cmp_lt_u32_e64 s[0:1], 63, v0
	s_waitcnt lgkmcnt(0)
	s_barrier
	s_waitcnt lgkmcnt(0)
                                        ; implicit-def: $vgpr28
	s_and_saveexec_b64 s[16:17], s[0:1]
	s_cbranch_execz .LBB330_333
; %bb.332:
	v_lshl_add_u32 v19, v38, 2, -4
	ds_read_b32 v28, v19
	s_waitcnt lgkmcnt(0)
	v_add_u32_e32 v18, v28, v18
.LBB330_333:
	s_or_b64 exec, exec, s[16:17]
	v_add_u32_e32 v19, -1, v37
	v_and_b32_e32 v20, 64, v37
	v_cmp_lt_i32_e64 s[0:1], v19, v20
	v_cmp_eq_u32_e64 s[16:17], 0, v37
	s_nop 0
	v_cndmask_b32_e64 v19, v19, v37, s[0:1]
	v_lshlrev_b32_e32 v19, 2, v19
	ds_bpermute_b32 v30, v19, v18
	s_and_saveexec_b64 s[0:1], vcc
	s_cbranch_execz .LBB330_356
; %bb.334:
	v_mov_b32_e32 v27, 0
	ds_read_b32 v18, v27 offset:28
	s_and_saveexec_b64 s[26:27], s[16:17]
	s_cbranch_execz .LBB330_336
; %bb.335:
	s_add_i32 s28, s33, 64
	s_mov_b32 s29, 0
	s_lshl_b64 s[28:29], s[28:29], 3
	s_add_u32 s28, s30, s28
	v_mov_b32_e32 v19, 1
	s_addc_u32 s29, s31, s29
	s_waitcnt lgkmcnt(0)
	global_store_dwordx2 v27, v[18:19], s[28:29] sc1
.LBB330_336:
	s_or_b64 exec, exec, s[26:27]
	v_xad_u32 v20, v37, -1, s33
	v_add_u32_e32 v26, 64, v20
	v_lshl_add_u64 v[22:23], v[26:27], 3, s[30:31]
	global_load_dwordx2 v[24:25], v[22:23], off sc1
	s_waitcnt vmcnt(0)
	v_cmp_eq_u16_sdwa s[28:29], v25, v27 src0_sel:BYTE_0 src1_sel:DWORD
	s_and_saveexec_b64 s[26:27], s[28:29]
	s_cbranch_execz .LBB330_342
; %bb.337:
	s_mov_b32 s38, 1
	s_mov_b64 s[28:29], 0
	v_mov_b32_e32 v19, 0
.LBB330_338:                            ; =>This Loop Header: Depth=1
                                        ;     Child Loop BB330_339 Depth 2
	s_max_u32 s39, s38, 1
.LBB330_339:                            ;   Parent Loop BB330_338 Depth=1
                                        ; =>  This Inner Loop Header: Depth=2
	s_add_i32 s39, s39, -1
	s_cmp_eq_u32 s39, 0
	s_sleep 1
	s_cbranch_scc0 .LBB330_339
; %bb.340:                              ;   in Loop: Header=BB330_338 Depth=1
	global_load_dwordx2 v[24:25], v[22:23], off sc1
	s_cmp_lt_u32 s38, 32
	s_cselect_b64 s[40:41], -1, 0
	s_cmp_lg_u64 s[40:41], 0
	s_addc_u32 s38, s38, 0
	s_waitcnt vmcnt(0)
	v_cmp_ne_u16_sdwa s[40:41], v25, v19 src0_sel:BYTE_0 src1_sel:DWORD
	s_or_b64 s[28:29], s[40:41], s[28:29]
	s_andn2_b64 exec, exec, s[28:29]
	s_cbranch_execnz .LBB330_338
; %bb.341:
	s_or_b64 exec, exec, s[28:29]
.LBB330_342:
	s_or_b64 exec, exec, s[26:27]
	v_and_b32_e32 v32, 63, v37
	v_mov_b32_e32 v19, 2
	v_cmp_ne_u32_e32 vcc, 63, v32
	v_cmp_eq_u16_sdwa s[26:27], v25, v19 src0_sel:BYTE_0 src1_sel:DWORD
	v_lshlrev_b64 v[22:23], v37, -1
	v_addc_co_u32_e32 v27, vcc, 0, v37, vcc
	v_and_b32_e32 v21, s27, v23
	v_lshlrev_b32_e32 v34, 2, v27
	v_or_b32_e32 v21, 0x80000000, v21
	ds_bpermute_b32 v27, v34, v24
	v_and_b32_e32 v26, s26, v22
	v_ffbl_b32_e32 v21, v21
	v_add_u32_e32 v21, 32, v21
	v_ffbl_b32_e32 v26, v26
	v_min_u32_e32 v21, v26, v21
	v_cmp_lt_u32_e32 vcc, v32, v21
	v_add_u32_e32 v41, 2, v32
	v_add_u32_e32 v43, 4, v32
	s_waitcnt lgkmcnt(0)
	v_cndmask_b32_e32 v26, 0, v27, vcc
	v_cmp_gt_u32_e32 vcc, 62, v32
	v_add_u32_e32 v24, v26, v24
	v_add_u32_e32 v45, 8, v32
	v_cndmask_b32_e64 v26, 0, 1, vcc
	v_lshlrev_b32_e32 v26, 1, v26
	v_add_lshl_u32 v40, v26, v37, 2
	ds_bpermute_b32 v26, v40, v24
	v_cmp_le_u32_e32 vcc, v41, v21
	v_add_u32_e32 v48, 16, v32
	v_add_u32_e32 v50, 32, v32
	s_waitcnt lgkmcnt(0)
	v_cndmask_b32_e32 v26, 0, v26, vcc
	v_cmp_gt_u32_e32 vcc, 60, v32
	v_add_u32_e32 v24, v24, v26
	s_nop 0
	v_cndmask_b32_e64 v26, 0, 1, vcc
	v_lshlrev_b32_e32 v26, 2, v26
	v_add_lshl_u32 v42, v26, v37, 2
	ds_bpermute_b32 v26, v42, v24
	v_cmp_le_u32_e32 vcc, v43, v21
	s_waitcnt lgkmcnt(0)
	s_nop 0
	v_cndmask_b32_e32 v26, 0, v26, vcc
	v_cmp_gt_u32_e32 vcc, 56, v32
	v_add_u32_e32 v24, v24, v26
	s_nop 0
	v_cndmask_b32_e64 v26, 0, 1, vcc
	v_lshlrev_b32_e32 v26, 3, v26
	v_add_lshl_u32 v44, v26, v37, 2
	ds_bpermute_b32 v26, v44, v24
	v_cmp_le_u32_e32 vcc, v45, v21
	s_waitcnt lgkmcnt(0)
	s_nop 0
	;; [unrolled: 11-line block ×4, first 2 shown]
	v_cndmask_b32_e32 v21, 0, v26, vcc
	v_add_u32_e32 v24, v24, v21
	v_mov_b32_e32 v21, 0
	s_branch .LBB330_344
.LBB330_343:                            ;   in Loop: Header=BB330_344 Depth=1
	s_or_b64 exec, exec, s[26:27]
	v_cmp_eq_u16_sdwa s[26:27], v25, v19 src0_sel:BYTE_0 src1_sel:DWORD
	ds_bpermute_b32 v51, v34, v24
	v_subrev_u32_e32 v20, 64, v20
	v_and_b32_e32 v26, s27, v23
	v_or_b32_e32 v26, 0x80000000, v26
	v_and_b32_e32 v27, s26, v22
	v_ffbl_b32_e32 v26, v26
	v_add_u32_e32 v26, 32, v26
	v_ffbl_b32_e32 v27, v27
	v_min_u32_e32 v26, v27, v26
	v_cmp_lt_u32_e32 vcc, v32, v26
	s_waitcnt lgkmcnt(0)
	s_nop 0
	v_cndmask_b32_e32 v27, 0, v51, vcc
	v_add_u32_e32 v24, v27, v24
	ds_bpermute_b32 v27, v40, v24
	v_cmp_le_u32_e32 vcc, v41, v26
	s_waitcnt lgkmcnt(0)
	s_nop 0
	v_cndmask_b32_e32 v27, 0, v27, vcc
	v_add_u32_e32 v24, v24, v27
	ds_bpermute_b32 v27, v42, v24
	v_cmp_le_u32_e32 vcc, v43, v26
	;; [unrolled: 6-line block ×5, first 2 shown]
	s_waitcnt lgkmcnt(0)
	s_nop 0
	v_cndmask_b32_e32 v26, 0, v27, vcc
	v_add3_u32 v24, v26, v46, v24
.LBB330_344:                            ; =>This Loop Header: Depth=1
                                        ;     Child Loop BB330_347 Depth 2
                                        ;       Child Loop BB330_348 Depth 3
	v_cmp_ne_u16_sdwa s[26:27], v25, v19 src0_sel:BYTE_0 src1_sel:DWORD
	v_mov_b32_e32 v46, v24
	s_nop 0
	v_cndmask_b32_e64 v25, 0, 1, s[26:27]
	;;#ASMSTART
	;;#ASMEND
	s_nop 0
	v_cmp_ne_u32_e32 vcc, 0, v25
	s_cmp_lg_u64 vcc, exec
	s_cbranch_scc1 .LBB330_351
; %bb.345:                              ;   in Loop: Header=BB330_344 Depth=1
	v_lshl_add_u64 v[26:27], v[20:21], 3, s[30:31]
	global_load_dwordx2 v[24:25], v[26:27], off sc1
	s_waitcnt vmcnt(0)
	v_cmp_eq_u16_sdwa s[28:29], v25, v21 src0_sel:BYTE_0 src1_sel:DWORD
	s_and_saveexec_b64 s[26:27], s[28:29]
	s_cbranch_execz .LBB330_343
; %bb.346:                              ;   in Loop: Header=BB330_344 Depth=1
	s_mov_b32 s38, 1
	s_mov_b64 s[28:29], 0
.LBB330_347:                            ;   Parent Loop BB330_344 Depth=1
                                        ; =>  This Loop Header: Depth=2
                                        ;       Child Loop BB330_348 Depth 3
	s_max_u32 s39, s38, 1
.LBB330_348:                            ;   Parent Loop BB330_344 Depth=1
                                        ;     Parent Loop BB330_347 Depth=2
                                        ; =>    This Inner Loop Header: Depth=3
	s_add_i32 s39, s39, -1
	s_cmp_eq_u32 s39, 0
	s_sleep 1
	s_cbranch_scc0 .LBB330_348
; %bb.349:                              ;   in Loop: Header=BB330_347 Depth=2
	global_load_dwordx2 v[24:25], v[26:27], off sc1
	s_cmp_lt_u32 s38, 32
	s_cselect_b64 s[40:41], -1, 0
	s_cmp_lg_u64 s[40:41], 0
	s_addc_u32 s38, s38, 0
	s_waitcnt vmcnt(0)
	v_cmp_ne_u16_sdwa s[40:41], v25, v21 src0_sel:BYTE_0 src1_sel:DWORD
	s_or_b64 s[28:29], s[40:41], s[28:29]
	s_andn2_b64 exec, exec, s[28:29]
	s_cbranch_execnz .LBB330_347
; %bb.350:                              ;   in Loop: Header=BB330_344 Depth=1
	s_or_b64 exec, exec, s[28:29]
	s_branch .LBB330_343
.LBB330_351:                            ;   in Loop: Header=BB330_344 Depth=1
                                        ; implicit-def: $vgpr24
                                        ; implicit-def: $vgpr25
	s_cbranch_execz .LBB330_344
; %bb.352:
	s_and_saveexec_b64 s[26:27], s[16:17]
	s_cbranch_execz .LBB330_354
; %bb.353:
	s_add_i32 s28, s33, 64
	s_mov_b32 s29, 0
	s_lshl_b64 s[28:29], s[28:29], 3
	s_add_u32 s28, s30, s28
	v_add_u32_e32 v20, v46, v18
	v_mov_b32_e32 v21, 2
	s_addc_u32 s29, s31, s29
	v_mov_b32_e32 v19, 0
	global_store_dwordx2 v19, v[20:21], s[28:29] sc1
	s_movk_i32 s28, 0x7000
	v_add_u32_e64 v19, s28, 0
	ds_write2_b32 v19, v18, v46 offset1:2
.LBB330_354:
	s_or_b64 exec, exec, s[26:27]
	s_and_b64 exec, exec, s[18:19]
	s_cbranch_execz .LBB330_356
; %bb.355:
	v_mov_b32_e32 v18, 0
	ds_write_b32 v18, v46 offset:28
.LBB330_356:
	s_or_b64 exec, exec, s[0:1]
	v_mov_b32_e32 v18, 0
	s_waitcnt lgkmcnt(0)
	s_barrier
	ds_read_b32 v18, v18 offset:28
	v_cndmask_b32_e64 v19, v30, v28, s[16:17]
	v_cndmask_b32_e64 v19, v19, 0, s[18:19]
	s_movk_i32 s0, 0x7000
	s_waitcnt lgkmcnt(0)
	v_add_u32_e32 v34, v18, v19
	v_add_u32_e32 v32, v34, v1
	v_add_u32_e64 v18, s0, 0
	v_add_u32_e32 v30, v32, v29
	s_barrier
	ds_read2_b32 v[18:19], v18 offset1:2
	v_add_u32_e32 v28, v30, v31
	v_add_u32_e32 v26, v28, v33
	;; [unrolled: 1-line block ×4, first 2 shown]
	v_lshrrev_b64 v[20:21], 24, v[16:17]
	s_branch .LBB330_367
.LBB330_357:
                                        ; implicit-def: $vgpr22
                                        ; implicit-def: $vgpr24
                                        ; implicit-def: $vgpr26
                                        ; implicit-def: $vgpr28
                                        ; implicit-def: $vgpr30
                                        ; implicit-def: $vgpr32
                                        ; implicit-def: $vgpr34
                                        ; implicit-def: $vgpr19
	v_lshrrev_b64 v[20:21], 24, v[16:17]
	s_cbranch_execz .LBB330_367
; %bb.358:
	s_waitcnt lgkmcnt(0)
	v_mov_b32_dpp v18, v39 row_shr:1 row_mask:0xf bank_mask:0xf
	v_cndmask_b32_e64 v18, v18, 0, s[14:15]
	v_add_u32_e32 v18, v18, v39
	s_nop 1
	v_mov_b32_dpp v19, v18 row_shr:2 row_mask:0xf bank_mask:0xf
	v_cndmask_b32_e64 v19, 0, v19, s[12:13]
	v_add_u32_e32 v18, v18, v19
	s_nop 1
	;; [unrolled: 4-line block ×4, first 2 shown]
	v_mov_b32_dpp v19, v18 row_bcast:15 row_mask:0xf bank_mask:0xf
	v_cndmask_b32_e64 v19, v19, 0, s[6:7]
	v_add_u32_e32 v18, v18, v19
	s_nop 1
	v_mov_b32_dpp v19, v18 row_bcast:31 row_mask:0xf bank_mask:0xf
	v_cndmask_b32_e64 v19, 0, v19, s[2:3]
	v_add_u32_e32 v18, v18, v19
	s_and_saveexec_b64 s[0:1], s[4:5]
	s_cbranch_execz .LBB330_360
; %bb.359:
	v_lshlrev_b32_e32 v19, 2, v38
	ds_write_b32 v19, v18
.LBB330_360:
	s_or_b64 exec, exec, s[0:1]
	v_cmp_gt_u32_e32 vcc, 8, v0
	s_waitcnt lgkmcnt(0)
	s_barrier
	s_and_saveexec_b64 s[0:1], vcc
	s_cbranch_execz .LBB330_362
; %bb.361:
	v_lshlrev_b32_e32 v19, 2, v0
	ds_read_b32 v21, v19
	v_and_b32_e32 v22, 7, v37
	v_cmp_ne_u32_e32 vcc, 0, v22
	s_waitcnt lgkmcnt(0)
	v_mov_b32_dpp v23, v21 row_shr:1 row_mask:0xf bank_mask:0xf
	v_cndmask_b32_e32 v23, 0, v23, vcc
	v_add_u32_e32 v21, v23, v21
	v_cmp_lt_u32_e32 vcc, 1, v22
	s_nop 0
	v_mov_b32_dpp v23, v21 row_shr:2 row_mask:0xf bank_mask:0xf
	v_cndmask_b32_e32 v23, 0, v23, vcc
	v_add_u32_e32 v21, v21, v23
	v_cmp_lt_u32_e32 vcc, 3, v22
	s_nop 0
	v_mov_b32_dpp v23, v21 row_shr:4 row_mask:0xf bank_mask:0xf
	v_cndmask_b32_e32 v22, 0, v23, vcc
	v_add_u32_e32 v21, v21, v22
	ds_write_b32 v19, v21
.LBB330_362:
	s_or_b64 exec, exec, s[0:1]
	v_cmp_lt_u32_e32 vcc, 63, v0
	v_mov_b32_e32 v19, 0
	v_mov_b32_e32 v21, 0
	s_waitcnt lgkmcnt(0)
	s_barrier
	s_and_saveexec_b64 s[0:1], vcc
	s_cbranch_execz .LBB330_364
; %bb.363:
	v_lshl_add_u32 v21, v38, 2, -4
	ds_read_b32 v21, v21
.LBB330_364:
	s_or_b64 exec, exec, s[0:1]
	v_add_u32_e32 v22, -1, v37
	v_and_b32_e32 v23, 64, v37
	v_cmp_lt_i32_e32 vcc, v22, v23
	s_waitcnt lgkmcnt(0)
	v_add_u32_e32 v18, v21, v18
	v_cndmask_b32_e32 v22, v22, v37, vcc
	v_lshlrev_b32_e32 v22, 2, v22
	ds_bpermute_b32 v22, v22, v18
	ds_read_b32 v18, v19 offset:28
	s_and_saveexec_b64 s[0:1], s[18:19]
	s_cbranch_execz .LBB330_366
; %bb.365:
	v_mov_b32_e32 v23, 0
	v_mov_b32_e32 v19, 2
	s_waitcnt lgkmcnt(0)
	global_store_dwordx2 v23, v[18:19], s[30:31] offset:512 sc1
.LBB330_366:
	s_or_b64 exec, exec, s[0:1]
	v_cmp_eq_u32_e32 vcc, 0, v37
	v_mov_b32_e32 v19, 0
	s_waitcnt lgkmcnt(0)
	v_cndmask_b32_e32 v21, v22, v21, vcc
	v_cndmask_b32_e64 v34, v21, 0, s[18:19]
	v_add_u32_e32 v32, v34, v1
	v_add_u32_e32 v30, v32, v29
	;; [unrolled: 1-line block ×6, first 2 shown]
	s_barrier
.LBB330_367:
	s_movk_i32 s0, 0x201
	s_waitcnt lgkmcnt(0)
	v_cmp_gt_u32_e32 vcc, s0, v18
	v_lshrrev_b32_e32 v21, 8, v16
	v_lshrrev_b32_e32 v1, 8, v17
	s_mov_b64 s[0:1], -1
	s_cbranch_vccnz .LBB330_371
; %bb.368:
	s_and_b64 vcc, exec, s[0:1]
	s_cbranch_vccnz .LBB330_393
.LBB330_369:
	s_and_b64 s[0:1], s[18:19], s[24:25]
	s_and_saveexec_b64 s[2:3], s[0:1]
	s_cbranch_execnz .LBB330_411
.LBB330_370:
	s_endpgm
.LBB330_371:
	v_add_u32_e32 v23, v19, v18
	v_cmp_lt_u32_e32 vcc, v34, v23
	s_or_b64 s[2:3], s[36:37], vcc
	s_and_saveexec_b64 s[0:1], s[2:3]
	s_cbranch_execz .LBB330_374
; %bb.372:
	v_and_b32_e32 v25, 1, v16
	v_cmp_eq_u32_e32 vcc, 1, v25
	s_and_b64 exec, exec, vcc
	s_cbranch_execz .LBB330_374
; %bb.373:
	s_lshl_b64 s[2:3], s[22:23], 3
	s_add_u32 s2, s34, s2
	s_addc_u32 s3, s35, s3
	v_mov_b32_e32 v35, 0
	v_lshl_add_u64 v[36:37], v[34:35], 3, s[2:3]
	global_store_dwordx2 v[36:37], v[10:11], off
.LBB330_374:
	s_or_b64 exec, exec, s[0:1]
	v_cmp_lt_u32_e32 vcc, v32, v23
	s_or_b64 s[2:3], s[36:37], vcc
	s_and_saveexec_b64 s[0:1], s[2:3]
	s_cbranch_execz .LBB330_377
; %bb.375:
	v_and_b32_e32 v25, 1, v21
	v_cmp_eq_u32_e32 vcc, 1, v25
	s_and_b64 exec, exec, vcc
	s_cbranch_execz .LBB330_377
; %bb.376:
	s_lshl_b64 s[2:3], s[22:23], 3
	s_add_u32 s2, s34, s2
	s_addc_u32 s3, s35, s3
	v_mov_b32_e32 v33, 0
	v_lshl_add_u64 v[36:37], v[32:33], 3, s[2:3]
	global_store_dwordx2 v[36:37], v[12:13], off
.LBB330_377:
	s_or_b64 exec, exec, s[0:1]
	v_cmp_lt_u32_e32 vcc, v30, v23
	s_or_b64 s[2:3], s[36:37], vcc
	s_and_saveexec_b64 s[0:1], s[2:3]
	s_cbranch_execz .LBB330_380
; %bb.378:
	v_mov_b32_e32 v25, 1
	v_and_b32_sdwa v25, v25, v16 dst_sel:DWORD dst_unused:UNUSED_PAD src0_sel:DWORD src1_sel:WORD_1
	v_cmp_eq_u32_e32 vcc, 1, v25
	s_and_b64 exec, exec, vcc
	s_cbranch_execz .LBB330_380
; %bb.379:
	s_lshl_b64 s[2:3], s[22:23], 3
	s_add_u32 s2, s34, s2
	s_addc_u32 s3, s35, s3
	v_mov_b32_e32 v31, 0
	v_lshl_add_u64 v[36:37], v[30:31], 3, s[2:3]
	global_store_dwordx2 v[36:37], v[6:7], off
.LBB330_380:
	s_or_b64 exec, exec, s[0:1]
	v_cmp_lt_u32_e32 vcc, v28, v23
	s_or_b64 s[2:3], s[36:37], vcc
	s_and_saveexec_b64 s[0:1], s[2:3]
	s_cbranch_execz .LBB330_383
; %bb.381:
	v_and_b32_e32 v25, 1, v20
	v_cmp_eq_u32_e32 vcc, 1, v25
	s_and_b64 exec, exec, vcc
	s_cbranch_execz .LBB330_383
; %bb.382:
	s_lshl_b64 s[2:3], s[22:23], 3
	s_add_u32 s2, s34, s2
	s_addc_u32 s3, s35, s3
	v_mov_b32_e32 v29, 0
	v_lshl_add_u64 v[36:37], v[28:29], 3, s[2:3]
	global_store_dwordx2 v[36:37], v[8:9], off
.LBB330_383:
	s_or_b64 exec, exec, s[0:1]
	v_cmp_lt_u32_e32 vcc, v26, v23
	s_or_b64 s[2:3], s[36:37], vcc
	s_and_saveexec_b64 s[0:1], s[2:3]
	s_cbranch_execz .LBB330_386
; %bb.384:
	v_and_b32_e32 v25, 1, v17
	v_cmp_eq_u32_e32 vcc, 1, v25
	s_and_b64 exec, exec, vcc
	s_cbranch_execz .LBB330_386
; %bb.385:
	s_lshl_b64 s[2:3], s[22:23], 3
	s_add_u32 s2, s34, s2
	s_addc_u32 s3, s35, s3
	v_mov_b32_e32 v27, 0
	v_lshl_add_u64 v[36:37], v[26:27], 3, s[2:3]
	global_store_dwordx2 v[36:37], v[2:3], off
.LBB330_386:
	;; [unrolled: 18-line block ×3, first 2 shown]
	s_or_b64 exec, exec, s[0:1]
	v_cmp_lt_u32_e32 vcc, v22, v23
	s_or_b64 s[2:3], s[36:37], vcc
	s_and_saveexec_b64 s[0:1], s[2:3]
	s_cbranch_execz .LBB330_392
; %bb.390:
	v_mov_b32_e32 v23, 1
	v_and_b32_sdwa v23, v23, v17 dst_sel:DWORD dst_unused:UNUSED_PAD src0_sel:DWORD src1_sel:WORD_1
	v_cmp_eq_u32_e32 vcc, 1, v23
	s_and_b64 exec, exec, vcc
	s_cbranch_execz .LBB330_392
; %bb.391:
	s_lshl_b64 s[2:3], s[22:23], 3
	s_add_u32 s2, s34, s2
	s_addc_u32 s3, s35, s3
	v_mov_b32_e32 v23, 0
	v_lshl_add_u64 v[36:37], v[22:23], 3, s[2:3]
	global_store_dwordx2 v[36:37], v[14:15], off
.LBB330_392:
	s_or_b64 exec, exec, s[0:1]
	s_branch .LBB330_369
.LBB330_393:
	v_and_b32_e32 v23, 1, v16
	v_cmp_eq_u32_e32 vcc, 1, v23
	s_and_saveexec_b64 s[0:1], vcc
	s_cbranch_execz .LBB330_395
; %bb.394:
	v_sub_u32_e32 v23, v34, v19
	v_lshlrev_b32_e32 v23, 3, v23
	ds_write_b64 v23, v[10:11]
.LBB330_395:
	s_or_b64 exec, exec, s[0:1]
	v_and_b32_e32 v10, 1, v21
	v_cmp_eq_u32_e32 vcc, 1, v10
	s_and_saveexec_b64 s[0:1], vcc
	s_cbranch_execz .LBB330_397
; %bb.396:
	v_sub_u32_e32 v10, v32, v19
	v_lshlrev_b32_e32 v10, 3, v10
	ds_write_b64 v10, v[12:13]
.LBB330_397:
	s_or_b64 exec, exec, s[0:1]
	v_mov_b32_e32 v10, 1
	v_and_b32_sdwa v10, v10, v16 dst_sel:DWORD dst_unused:UNUSED_PAD src0_sel:DWORD src1_sel:WORD_1
	v_cmp_eq_u32_e32 vcc, 1, v10
	s_and_saveexec_b64 s[0:1], vcc
	s_cbranch_execz .LBB330_399
; %bb.398:
	v_sub_u32_e32 v10, v30, v19
	v_lshlrev_b32_e32 v10, 3, v10
	ds_write_b64 v10, v[6:7]
.LBB330_399:
	s_or_b64 exec, exec, s[0:1]
	v_and_b32_e32 v6, 1, v20
	v_cmp_eq_u32_e32 vcc, 1, v6
	s_and_saveexec_b64 s[0:1], vcc
	s_cbranch_execz .LBB330_401
; %bb.400:
	v_sub_u32_e32 v6, v28, v19
	v_lshlrev_b32_e32 v6, 3, v6
	ds_write_b64 v6, v[8:9]
.LBB330_401:
	s_or_b64 exec, exec, s[0:1]
	v_and_b32_e32 v6, 1, v17
	;; [unrolled: 10-line block ×3, first 2 shown]
	v_cmp_eq_u32_e32 vcc, 1, v1
	s_and_saveexec_b64 s[0:1], vcc
	s_cbranch_execz .LBB330_405
; %bb.404:
	v_sub_u32_e32 v1, v24, v19
	v_lshlrev_b32_e32 v1, 3, v1
	ds_write_b64 v1, v[4:5]
.LBB330_405:
	s_or_b64 exec, exec, s[0:1]
	v_mov_b32_e32 v1, 1
	v_and_b32_sdwa v1, v1, v17 dst_sel:DWORD dst_unused:UNUSED_PAD src0_sel:DWORD src1_sel:WORD_1
	v_cmp_eq_u32_e32 vcc, 1, v1
	s_and_saveexec_b64 s[0:1], vcc
	s_cbranch_execz .LBB330_407
; %bb.406:
	v_sub_u32_e32 v1, v22, v19
	v_lshlrev_b32_e32 v1, 3, v1
	ds_write_b64 v1, v[14:15]
.LBB330_407:
	s_or_b64 exec, exec, s[0:1]
	v_cmp_lt_u32_e32 vcc, v0, v18
	s_waitcnt lgkmcnt(0)
	s_barrier
	s_and_saveexec_b64 s[0:1], vcc
	s_cbranch_execz .LBB330_410
; %bb.408:
	v_mov_b32_e32 v5, 0
	v_mov_b32_e32 v4, v19
	s_lshl_b64 s[2:3], s[22:23], 3
	v_lshlrev_b64 v[6:7], 3, v[4:5]
	v_lshl_add_u64 v[6:7], s[2:3], 0, v[6:7]
	v_lshlrev_b32_e32 v2, 3, v0
	v_mov_b32_e32 v3, v5
	v_lshl_add_u64 v[4:5], s[34:35], 0, v[6:7]
	v_lshl_add_u64 v[4:5], v[4:5], 0, v[2:3]
	s_mov_b64 s[2:3], 0
	s_mov_b64 s[4:5], 0x1000
.LBB330_409:                            ; =>This Inner Loop Header: Depth=1
	ds_read_b64 v[6:7], v2
	v_add_u32_e32 v0, 0x200, v0
	v_cmp_ge_u32_e32 vcc, v0, v18
	v_add_u32_e32 v2, 0x1000, v2
	s_or_b64 s[2:3], vcc, s[2:3]
	s_waitcnt lgkmcnt(0)
	global_store_dwordx2 v[4:5], v[6:7], off
	v_lshl_add_u64 v[4:5], v[4:5], 0, s[4:5]
	s_andn2_b64 exec, exec, s[2:3]
	s_cbranch_execnz .LBB330_409
.LBB330_410:
	s_or_b64 exec, exec, s[0:1]
	s_and_b64 s[0:1], s[18:19], s[24:25]
	s_and_saveexec_b64 s[2:3], s[0:1]
	s_cbranch_execz .LBB330_370
.LBB330_411:
	v_mov_b32_e32 v1, 0
	v_mov_b32_e32 v0, v18
	v_lshl_add_u64 v[2:3], s[22:23], 0, v[0:1]
	v_mov_b32_e32 v0, v19
	v_lshl_add_u64 v[2:3], v[2:3], 0, v[0:1]
	global_store_dwordx2 v1, v[2:3], s[20:21]
	s_endpgm
	.section	.rodata,"a",@progbits
	.p2align	6, 0x0
	.amdhsa_kernel _ZN7rocprim17ROCPRIM_400000_NS6detail17trampoline_kernelINS0_14default_configENS1_25partition_config_selectorILNS1_17partition_subalgoE8ElNS0_10empty_typeEbEEZZNS1_14partition_implILS5_8ELb0ES3_jPlPS6_PKS6_NS0_5tupleIJS9_S6_EEENSD_IJSA_SA_EEENS0_18inequality_wrapperIZN2at6native12_GLOBAL__N_124unique_dim_cuda_templateIaEESt5tupleIJNSH_6TensorESM_SM_EERKSM_lbbbEUlllE0_EEPmJS6_EEE10hipError_tPvRmT3_T4_T5_T6_T7_T9_mT8_P12ihipStream_tbDpT10_ENKUlT_T0_E_clISt17integral_constantIbLb1EES1C_EEDaS17_S18_EUlS17_E_NS1_11comp_targetILNS1_3genE5ELNS1_11target_archE942ELNS1_3gpuE9ELNS1_3repE0EEENS1_30default_config_static_selectorELNS0_4arch9wavefront6targetE1EEEvT1_
		.amdhsa_group_segment_fixed_size 28684
		.amdhsa_private_segment_fixed_size 0
		.amdhsa_kernarg_size 136
		.amdhsa_user_sgpr_count 2
		.amdhsa_user_sgpr_dispatch_ptr 0
		.amdhsa_user_sgpr_queue_ptr 0
		.amdhsa_user_sgpr_kernarg_segment_ptr 1
		.amdhsa_user_sgpr_dispatch_id 0
		.amdhsa_user_sgpr_kernarg_preload_length 0
		.amdhsa_user_sgpr_kernarg_preload_offset 0
		.amdhsa_user_sgpr_private_segment_size 0
		.amdhsa_uses_dynamic_stack 0
		.amdhsa_enable_private_segment 0
		.amdhsa_system_sgpr_workgroup_id_x 1
		.amdhsa_system_sgpr_workgroup_id_y 0
		.amdhsa_system_sgpr_workgroup_id_z 0
		.amdhsa_system_sgpr_workgroup_info 0
		.amdhsa_system_vgpr_workitem_id 0
		.amdhsa_next_free_vgpr 52
		.amdhsa_next_free_sgpr 56
		.amdhsa_accum_offset 52
		.amdhsa_reserve_vcc 1
		.amdhsa_float_round_mode_32 0
		.amdhsa_float_round_mode_16_64 0
		.amdhsa_float_denorm_mode_32 3
		.amdhsa_float_denorm_mode_16_64 3
		.amdhsa_dx10_clamp 1
		.amdhsa_ieee_mode 1
		.amdhsa_fp16_overflow 0
		.amdhsa_tg_split 0
		.amdhsa_exception_fp_ieee_invalid_op 0
		.amdhsa_exception_fp_denorm_src 0
		.amdhsa_exception_fp_ieee_div_zero 0
		.amdhsa_exception_fp_ieee_overflow 0
		.amdhsa_exception_fp_ieee_underflow 0
		.amdhsa_exception_fp_ieee_inexact 0
		.amdhsa_exception_int_div_zero 0
	.end_amdhsa_kernel
	.section	.text._ZN7rocprim17ROCPRIM_400000_NS6detail17trampoline_kernelINS0_14default_configENS1_25partition_config_selectorILNS1_17partition_subalgoE8ElNS0_10empty_typeEbEEZZNS1_14partition_implILS5_8ELb0ES3_jPlPS6_PKS6_NS0_5tupleIJS9_S6_EEENSD_IJSA_SA_EEENS0_18inequality_wrapperIZN2at6native12_GLOBAL__N_124unique_dim_cuda_templateIaEESt5tupleIJNSH_6TensorESM_SM_EERKSM_lbbbEUlllE0_EEPmJS6_EEE10hipError_tPvRmT3_T4_T5_T6_T7_T9_mT8_P12ihipStream_tbDpT10_ENKUlT_T0_E_clISt17integral_constantIbLb1EES1C_EEDaS17_S18_EUlS17_E_NS1_11comp_targetILNS1_3genE5ELNS1_11target_archE942ELNS1_3gpuE9ELNS1_3repE0EEENS1_30default_config_static_selectorELNS0_4arch9wavefront6targetE1EEEvT1_,"axG",@progbits,_ZN7rocprim17ROCPRIM_400000_NS6detail17trampoline_kernelINS0_14default_configENS1_25partition_config_selectorILNS1_17partition_subalgoE8ElNS0_10empty_typeEbEEZZNS1_14partition_implILS5_8ELb0ES3_jPlPS6_PKS6_NS0_5tupleIJS9_S6_EEENSD_IJSA_SA_EEENS0_18inequality_wrapperIZN2at6native12_GLOBAL__N_124unique_dim_cuda_templateIaEESt5tupleIJNSH_6TensorESM_SM_EERKSM_lbbbEUlllE0_EEPmJS6_EEE10hipError_tPvRmT3_T4_T5_T6_T7_T9_mT8_P12ihipStream_tbDpT10_ENKUlT_T0_E_clISt17integral_constantIbLb1EES1C_EEDaS17_S18_EUlS17_E_NS1_11comp_targetILNS1_3genE5ELNS1_11target_archE942ELNS1_3gpuE9ELNS1_3repE0EEENS1_30default_config_static_selectorELNS0_4arch9wavefront6targetE1EEEvT1_,comdat
.Lfunc_end330:
	.size	_ZN7rocprim17ROCPRIM_400000_NS6detail17trampoline_kernelINS0_14default_configENS1_25partition_config_selectorILNS1_17partition_subalgoE8ElNS0_10empty_typeEbEEZZNS1_14partition_implILS5_8ELb0ES3_jPlPS6_PKS6_NS0_5tupleIJS9_S6_EEENSD_IJSA_SA_EEENS0_18inequality_wrapperIZN2at6native12_GLOBAL__N_124unique_dim_cuda_templateIaEESt5tupleIJNSH_6TensorESM_SM_EERKSM_lbbbEUlllE0_EEPmJS6_EEE10hipError_tPvRmT3_T4_T5_T6_T7_T9_mT8_P12ihipStream_tbDpT10_ENKUlT_T0_E_clISt17integral_constantIbLb1EES1C_EEDaS17_S18_EUlS17_E_NS1_11comp_targetILNS1_3genE5ELNS1_11target_archE942ELNS1_3gpuE9ELNS1_3repE0EEENS1_30default_config_static_selectorELNS0_4arch9wavefront6targetE1EEEvT1_, .Lfunc_end330-_ZN7rocprim17ROCPRIM_400000_NS6detail17trampoline_kernelINS0_14default_configENS1_25partition_config_selectorILNS1_17partition_subalgoE8ElNS0_10empty_typeEbEEZZNS1_14partition_implILS5_8ELb0ES3_jPlPS6_PKS6_NS0_5tupleIJS9_S6_EEENSD_IJSA_SA_EEENS0_18inequality_wrapperIZN2at6native12_GLOBAL__N_124unique_dim_cuda_templateIaEESt5tupleIJNSH_6TensorESM_SM_EERKSM_lbbbEUlllE0_EEPmJS6_EEE10hipError_tPvRmT3_T4_T5_T6_T7_T9_mT8_P12ihipStream_tbDpT10_ENKUlT_T0_E_clISt17integral_constantIbLb1EES1C_EEDaS17_S18_EUlS17_E_NS1_11comp_targetILNS1_3genE5ELNS1_11target_archE942ELNS1_3gpuE9ELNS1_3repE0EEENS1_30default_config_static_selectorELNS0_4arch9wavefront6targetE1EEEvT1_
                                        ; -- End function
	.section	.AMDGPU.csdata,"",@progbits
; Kernel info:
; codeLenInByte = 12412
; NumSgprs: 62
; NumVgprs: 52
; NumAgprs: 0
; TotalNumVgprs: 52
; ScratchSize: 0
; MemoryBound: 0
; FloatMode: 240
; IeeeMode: 1
; LDSByteSize: 28684 bytes/workgroup (compile time only)
; SGPRBlocks: 7
; VGPRBlocks: 6
; NumSGPRsForWavesPerEU: 62
; NumVGPRsForWavesPerEU: 52
; AccumOffset: 52
; Occupancy: 4
; WaveLimiterHint : 1
; COMPUTE_PGM_RSRC2:SCRATCH_EN: 0
; COMPUTE_PGM_RSRC2:USER_SGPR: 2
; COMPUTE_PGM_RSRC2:TRAP_HANDLER: 0
; COMPUTE_PGM_RSRC2:TGID_X_EN: 1
; COMPUTE_PGM_RSRC2:TGID_Y_EN: 0
; COMPUTE_PGM_RSRC2:TGID_Z_EN: 0
; COMPUTE_PGM_RSRC2:TIDIG_COMP_CNT: 0
; COMPUTE_PGM_RSRC3_GFX90A:ACCUM_OFFSET: 12
; COMPUTE_PGM_RSRC3_GFX90A:TG_SPLIT: 0
	.section	.text._ZN7rocprim17ROCPRIM_400000_NS6detail17trampoline_kernelINS0_14default_configENS1_25partition_config_selectorILNS1_17partition_subalgoE8ElNS0_10empty_typeEbEEZZNS1_14partition_implILS5_8ELb0ES3_jPlPS6_PKS6_NS0_5tupleIJS9_S6_EEENSD_IJSA_SA_EEENS0_18inequality_wrapperIZN2at6native12_GLOBAL__N_124unique_dim_cuda_templateIaEESt5tupleIJNSH_6TensorESM_SM_EERKSM_lbbbEUlllE0_EEPmJS6_EEE10hipError_tPvRmT3_T4_T5_T6_T7_T9_mT8_P12ihipStream_tbDpT10_ENKUlT_T0_E_clISt17integral_constantIbLb1EES1C_EEDaS17_S18_EUlS17_E_NS1_11comp_targetILNS1_3genE4ELNS1_11target_archE910ELNS1_3gpuE8ELNS1_3repE0EEENS1_30default_config_static_selectorELNS0_4arch9wavefront6targetE1EEEvT1_,"axG",@progbits,_ZN7rocprim17ROCPRIM_400000_NS6detail17trampoline_kernelINS0_14default_configENS1_25partition_config_selectorILNS1_17partition_subalgoE8ElNS0_10empty_typeEbEEZZNS1_14partition_implILS5_8ELb0ES3_jPlPS6_PKS6_NS0_5tupleIJS9_S6_EEENSD_IJSA_SA_EEENS0_18inequality_wrapperIZN2at6native12_GLOBAL__N_124unique_dim_cuda_templateIaEESt5tupleIJNSH_6TensorESM_SM_EERKSM_lbbbEUlllE0_EEPmJS6_EEE10hipError_tPvRmT3_T4_T5_T6_T7_T9_mT8_P12ihipStream_tbDpT10_ENKUlT_T0_E_clISt17integral_constantIbLb1EES1C_EEDaS17_S18_EUlS17_E_NS1_11comp_targetILNS1_3genE4ELNS1_11target_archE910ELNS1_3gpuE8ELNS1_3repE0EEENS1_30default_config_static_selectorELNS0_4arch9wavefront6targetE1EEEvT1_,comdat
	.globl	_ZN7rocprim17ROCPRIM_400000_NS6detail17trampoline_kernelINS0_14default_configENS1_25partition_config_selectorILNS1_17partition_subalgoE8ElNS0_10empty_typeEbEEZZNS1_14partition_implILS5_8ELb0ES3_jPlPS6_PKS6_NS0_5tupleIJS9_S6_EEENSD_IJSA_SA_EEENS0_18inequality_wrapperIZN2at6native12_GLOBAL__N_124unique_dim_cuda_templateIaEESt5tupleIJNSH_6TensorESM_SM_EERKSM_lbbbEUlllE0_EEPmJS6_EEE10hipError_tPvRmT3_T4_T5_T6_T7_T9_mT8_P12ihipStream_tbDpT10_ENKUlT_T0_E_clISt17integral_constantIbLb1EES1C_EEDaS17_S18_EUlS17_E_NS1_11comp_targetILNS1_3genE4ELNS1_11target_archE910ELNS1_3gpuE8ELNS1_3repE0EEENS1_30default_config_static_selectorELNS0_4arch9wavefront6targetE1EEEvT1_ ; -- Begin function _ZN7rocprim17ROCPRIM_400000_NS6detail17trampoline_kernelINS0_14default_configENS1_25partition_config_selectorILNS1_17partition_subalgoE8ElNS0_10empty_typeEbEEZZNS1_14partition_implILS5_8ELb0ES3_jPlPS6_PKS6_NS0_5tupleIJS9_S6_EEENSD_IJSA_SA_EEENS0_18inequality_wrapperIZN2at6native12_GLOBAL__N_124unique_dim_cuda_templateIaEESt5tupleIJNSH_6TensorESM_SM_EERKSM_lbbbEUlllE0_EEPmJS6_EEE10hipError_tPvRmT3_T4_T5_T6_T7_T9_mT8_P12ihipStream_tbDpT10_ENKUlT_T0_E_clISt17integral_constantIbLb1EES1C_EEDaS17_S18_EUlS17_E_NS1_11comp_targetILNS1_3genE4ELNS1_11target_archE910ELNS1_3gpuE8ELNS1_3repE0EEENS1_30default_config_static_selectorELNS0_4arch9wavefront6targetE1EEEvT1_
	.p2align	8
	.type	_ZN7rocprim17ROCPRIM_400000_NS6detail17trampoline_kernelINS0_14default_configENS1_25partition_config_selectorILNS1_17partition_subalgoE8ElNS0_10empty_typeEbEEZZNS1_14partition_implILS5_8ELb0ES3_jPlPS6_PKS6_NS0_5tupleIJS9_S6_EEENSD_IJSA_SA_EEENS0_18inequality_wrapperIZN2at6native12_GLOBAL__N_124unique_dim_cuda_templateIaEESt5tupleIJNSH_6TensorESM_SM_EERKSM_lbbbEUlllE0_EEPmJS6_EEE10hipError_tPvRmT3_T4_T5_T6_T7_T9_mT8_P12ihipStream_tbDpT10_ENKUlT_T0_E_clISt17integral_constantIbLb1EES1C_EEDaS17_S18_EUlS17_E_NS1_11comp_targetILNS1_3genE4ELNS1_11target_archE910ELNS1_3gpuE8ELNS1_3repE0EEENS1_30default_config_static_selectorELNS0_4arch9wavefront6targetE1EEEvT1_,@function
_ZN7rocprim17ROCPRIM_400000_NS6detail17trampoline_kernelINS0_14default_configENS1_25partition_config_selectorILNS1_17partition_subalgoE8ElNS0_10empty_typeEbEEZZNS1_14partition_implILS5_8ELb0ES3_jPlPS6_PKS6_NS0_5tupleIJS9_S6_EEENSD_IJSA_SA_EEENS0_18inequality_wrapperIZN2at6native12_GLOBAL__N_124unique_dim_cuda_templateIaEESt5tupleIJNSH_6TensorESM_SM_EERKSM_lbbbEUlllE0_EEPmJS6_EEE10hipError_tPvRmT3_T4_T5_T6_T7_T9_mT8_P12ihipStream_tbDpT10_ENKUlT_T0_E_clISt17integral_constantIbLb1EES1C_EEDaS17_S18_EUlS17_E_NS1_11comp_targetILNS1_3genE4ELNS1_11target_archE910ELNS1_3gpuE8ELNS1_3repE0EEENS1_30default_config_static_selectorELNS0_4arch9wavefront6targetE1EEEvT1_: ; @_ZN7rocprim17ROCPRIM_400000_NS6detail17trampoline_kernelINS0_14default_configENS1_25partition_config_selectorILNS1_17partition_subalgoE8ElNS0_10empty_typeEbEEZZNS1_14partition_implILS5_8ELb0ES3_jPlPS6_PKS6_NS0_5tupleIJS9_S6_EEENSD_IJSA_SA_EEENS0_18inequality_wrapperIZN2at6native12_GLOBAL__N_124unique_dim_cuda_templateIaEESt5tupleIJNSH_6TensorESM_SM_EERKSM_lbbbEUlllE0_EEPmJS6_EEE10hipError_tPvRmT3_T4_T5_T6_T7_T9_mT8_P12ihipStream_tbDpT10_ENKUlT_T0_E_clISt17integral_constantIbLb1EES1C_EEDaS17_S18_EUlS17_E_NS1_11comp_targetILNS1_3genE4ELNS1_11target_archE910ELNS1_3gpuE8ELNS1_3repE0EEENS1_30default_config_static_selectorELNS0_4arch9wavefront6targetE1EEEvT1_
; %bb.0:
	.section	.rodata,"a",@progbits
	.p2align	6, 0x0
	.amdhsa_kernel _ZN7rocprim17ROCPRIM_400000_NS6detail17trampoline_kernelINS0_14default_configENS1_25partition_config_selectorILNS1_17partition_subalgoE8ElNS0_10empty_typeEbEEZZNS1_14partition_implILS5_8ELb0ES3_jPlPS6_PKS6_NS0_5tupleIJS9_S6_EEENSD_IJSA_SA_EEENS0_18inequality_wrapperIZN2at6native12_GLOBAL__N_124unique_dim_cuda_templateIaEESt5tupleIJNSH_6TensorESM_SM_EERKSM_lbbbEUlllE0_EEPmJS6_EEE10hipError_tPvRmT3_T4_T5_T6_T7_T9_mT8_P12ihipStream_tbDpT10_ENKUlT_T0_E_clISt17integral_constantIbLb1EES1C_EEDaS17_S18_EUlS17_E_NS1_11comp_targetILNS1_3genE4ELNS1_11target_archE910ELNS1_3gpuE8ELNS1_3repE0EEENS1_30default_config_static_selectorELNS0_4arch9wavefront6targetE1EEEvT1_
		.amdhsa_group_segment_fixed_size 0
		.amdhsa_private_segment_fixed_size 0
		.amdhsa_kernarg_size 136
		.amdhsa_user_sgpr_count 2
		.amdhsa_user_sgpr_dispatch_ptr 0
		.amdhsa_user_sgpr_queue_ptr 0
		.amdhsa_user_sgpr_kernarg_segment_ptr 1
		.amdhsa_user_sgpr_dispatch_id 0
		.amdhsa_user_sgpr_kernarg_preload_length 0
		.amdhsa_user_sgpr_kernarg_preload_offset 0
		.amdhsa_user_sgpr_private_segment_size 0
		.amdhsa_uses_dynamic_stack 0
		.amdhsa_enable_private_segment 0
		.amdhsa_system_sgpr_workgroup_id_x 1
		.amdhsa_system_sgpr_workgroup_id_y 0
		.amdhsa_system_sgpr_workgroup_id_z 0
		.amdhsa_system_sgpr_workgroup_info 0
		.amdhsa_system_vgpr_workitem_id 0
		.amdhsa_next_free_vgpr 1
		.amdhsa_next_free_sgpr 0
		.amdhsa_accum_offset 4
		.amdhsa_reserve_vcc 0
		.amdhsa_float_round_mode_32 0
		.amdhsa_float_round_mode_16_64 0
		.amdhsa_float_denorm_mode_32 3
		.amdhsa_float_denorm_mode_16_64 3
		.amdhsa_dx10_clamp 1
		.amdhsa_ieee_mode 1
		.amdhsa_fp16_overflow 0
		.amdhsa_tg_split 0
		.amdhsa_exception_fp_ieee_invalid_op 0
		.amdhsa_exception_fp_denorm_src 0
		.amdhsa_exception_fp_ieee_div_zero 0
		.amdhsa_exception_fp_ieee_overflow 0
		.amdhsa_exception_fp_ieee_underflow 0
		.amdhsa_exception_fp_ieee_inexact 0
		.amdhsa_exception_int_div_zero 0
	.end_amdhsa_kernel
	.section	.text._ZN7rocprim17ROCPRIM_400000_NS6detail17trampoline_kernelINS0_14default_configENS1_25partition_config_selectorILNS1_17partition_subalgoE8ElNS0_10empty_typeEbEEZZNS1_14partition_implILS5_8ELb0ES3_jPlPS6_PKS6_NS0_5tupleIJS9_S6_EEENSD_IJSA_SA_EEENS0_18inequality_wrapperIZN2at6native12_GLOBAL__N_124unique_dim_cuda_templateIaEESt5tupleIJNSH_6TensorESM_SM_EERKSM_lbbbEUlllE0_EEPmJS6_EEE10hipError_tPvRmT3_T4_T5_T6_T7_T9_mT8_P12ihipStream_tbDpT10_ENKUlT_T0_E_clISt17integral_constantIbLb1EES1C_EEDaS17_S18_EUlS17_E_NS1_11comp_targetILNS1_3genE4ELNS1_11target_archE910ELNS1_3gpuE8ELNS1_3repE0EEENS1_30default_config_static_selectorELNS0_4arch9wavefront6targetE1EEEvT1_,"axG",@progbits,_ZN7rocprim17ROCPRIM_400000_NS6detail17trampoline_kernelINS0_14default_configENS1_25partition_config_selectorILNS1_17partition_subalgoE8ElNS0_10empty_typeEbEEZZNS1_14partition_implILS5_8ELb0ES3_jPlPS6_PKS6_NS0_5tupleIJS9_S6_EEENSD_IJSA_SA_EEENS0_18inequality_wrapperIZN2at6native12_GLOBAL__N_124unique_dim_cuda_templateIaEESt5tupleIJNSH_6TensorESM_SM_EERKSM_lbbbEUlllE0_EEPmJS6_EEE10hipError_tPvRmT3_T4_T5_T6_T7_T9_mT8_P12ihipStream_tbDpT10_ENKUlT_T0_E_clISt17integral_constantIbLb1EES1C_EEDaS17_S18_EUlS17_E_NS1_11comp_targetILNS1_3genE4ELNS1_11target_archE910ELNS1_3gpuE8ELNS1_3repE0EEENS1_30default_config_static_selectorELNS0_4arch9wavefront6targetE1EEEvT1_,comdat
.Lfunc_end331:
	.size	_ZN7rocprim17ROCPRIM_400000_NS6detail17trampoline_kernelINS0_14default_configENS1_25partition_config_selectorILNS1_17partition_subalgoE8ElNS0_10empty_typeEbEEZZNS1_14partition_implILS5_8ELb0ES3_jPlPS6_PKS6_NS0_5tupleIJS9_S6_EEENSD_IJSA_SA_EEENS0_18inequality_wrapperIZN2at6native12_GLOBAL__N_124unique_dim_cuda_templateIaEESt5tupleIJNSH_6TensorESM_SM_EERKSM_lbbbEUlllE0_EEPmJS6_EEE10hipError_tPvRmT3_T4_T5_T6_T7_T9_mT8_P12ihipStream_tbDpT10_ENKUlT_T0_E_clISt17integral_constantIbLb1EES1C_EEDaS17_S18_EUlS17_E_NS1_11comp_targetILNS1_3genE4ELNS1_11target_archE910ELNS1_3gpuE8ELNS1_3repE0EEENS1_30default_config_static_selectorELNS0_4arch9wavefront6targetE1EEEvT1_, .Lfunc_end331-_ZN7rocprim17ROCPRIM_400000_NS6detail17trampoline_kernelINS0_14default_configENS1_25partition_config_selectorILNS1_17partition_subalgoE8ElNS0_10empty_typeEbEEZZNS1_14partition_implILS5_8ELb0ES3_jPlPS6_PKS6_NS0_5tupleIJS9_S6_EEENSD_IJSA_SA_EEENS0_18inequality_wrapperIZN2at6native12_GLOBAL__N_124unique_dim_cuda_templateIaEESt5tupleIJNSH_6TensorESM_SM_EERKSM_lbbbEUlllE0_EEPmJS6_EEE10hipError_tPvRmT3_T4_T5_T6_T7_T9_mT8_P12ihipStream_tbDpT10_ENKUlT_T0_E_clISt17integral_constantIbLb1EES1C_EEDaS17_S18_EUlS17_E_NS1_11comp_targetILNS1_3genE4ELNS1_11target_archE910ELNS1_3gpuE8ELNS1_3repE0EEENS1_30default_config_static_selectorELNS0_4arch9wavefront6targetE1EEEvT1_
                                        ; -- End function
	.section	.AMDGPU.csdata,"",@progbits
; Kernel info:
; codeLenInByte = 0
; NumSgprs: 6
; NumVgprs: 0
; NumAgprs: 0
; TotalNumVgprs: 0
; ScratchSize: 0
; MemoryBound: 0
; FloatMode: 240
; IeeeMode: 1
; LDSByteSize: 0 bytes/workgroup (compile time only)
; SGPRBlocks: 0
; VGPRBlocks: 0
; NumSGPRsForWavesPerEU: 6
; NumVGPRsForWavesPerEU: 1
; AccumOffset: 4
; Occupancy: 8
; WaveLimiterHint : 0
; COMPUTE_PGM_RSRC2:SCRATCH_EN: 0
; COMPUTE_PGM_RSRC2:USER_SGPR: 2
; COMPUTE_PGM_RSRC2:TRAP_HANDLER: 0
; COMPUTE_PGM_RSRC2:TGID_X_EN: 1
; COMPUTE_PGM_RSRC2:TGID_Y_EN: 0
; COMPUTE_PGM_RSRC2:TGID_Z_EN: 0
; COMPUTE_PGM_RSRC2:TIDIG_COMP_CNT: 0
; COMPUTE_PGM_RSRC3_GFX90A:ACCUM_OFFSET: 0
; COMPUTE_PGM_RSRC3_GFX90A:TG_SPLIT: 0
	.section	.text._ZN7rocprim17ROCPRIM_400000_NS6detail17trampoline_kernelINS0_14default_configENS1_25partition_config_selectorILNS1_17partition_subalgoE8ElNS0_10empty_typeEbEEZZNS1_14partition_implILS5_8ELb0ES3_jPlPS6_PKS6_NS0_5tupleIJS9_S6_EEENSD_IJSA_SA_EEENS0_18inequality_wrapperIZN2at6native12_GLOBAL__N_124unique_dim_cuda_templateIaEESt5tupleIJNSH_6TensorESM_SM_EERKSM_lbbbEUlllE0_EEPmJS6_EEE10hipError_tPvRmT3_T4_T5_T6_T7_T9_mT8_P12ihipStream_tbDpT10_ENKUlT_T0_E_clISt17integral_constantIbLb1EES1C_EEDaS17_S18_EUlS17_E_NS1_11comp_targetILNS1_3genE3ELNS1_11target_archE908ELNS1_3gpuE7ELNS1_3repE0EEENS1_30default_config_static_selectorELNS0_4arch9wavefront6targetE1EEEvT1_,"axG",@progbits,_ZN7rocprim17ROCPRIM_400000_NS6detail17trampoline_kernelINS0_14default_configENS1_25partition_config_selectorILNS1_17partition_subalgoE8ElNS0_10empty_typeEbEEZZNS1_14partition_implILS5_8ELb0ES3_jPlPS6_PKS6_NS0_5tupleIJS9_S6_EEENSD_IJSA_SA_EEENS0_18inequality_wrapperIZN2at6native12_GLOBAL__N_124unique_dim_cuda_templateIaEESt5tupleIJNSH_6TensorESM_SM_EERKSM_lbbbEUlllE0_EEPmJS6_EEE10hipError_tPvRmT3_T4_T5_T6_T7_T9_mT8_P12ihipStream_tbDpT10_ENKUlT_T0_E_clISt17integral_constantIbLb1EES1C_EEDaS17_S18_EUlS17_E_NS1_11comp_targetILNS1_3genE3ELNS1_11target_archE908ELNS1_3gpuE7ELNS1_3repE0EEENS1_30default_config_static_selectorELNS0_4arch9wavefront6targetE1EEEvT1_,comdat
	.globl	_ZN7rocprim17ROCPRIM_400000_NS6detail17trampoline_kernelINS0_14default_configENS1_25partition_config_selectorILNS1_17partition_subalgoE8ElNS0_10empty_typeEbEEZZNS1_14partition_implILS5_8ELb0ES3_jPlPS6_PKS6_NS0_5tupleIJS9_S6_EEENSD_IJSA_SA_EEENS0_18inequality_wrapperIZN2at6native12_GLOBAL__N_124unique_dim_cuda_templateIaEESt5tupleIJNSH_6TensorESM_SM_EERKSM_lbbbEUlllE0_EEPmJS6_EEE10hipError_tPvRmT3_T4_T5_T6_T7_T9_mT8_P12ihipStream_tbDpT10_ENKUlT_T0_E_clISt17integral_constantIbLb1EES1C_EEDaS17_S18_EUlS17_E_NS1_11comp_targetILNS1_3genE3ELNS1_11target_archE908ELNS1_3gpuE7ELNS1_3repE0EEENS1_30default_config_static_selectorELNS0_4arch9wavefront6targetE1EEEvT1_ ; -- Begin function _ZN7rocprim17ROCPRIM_400000_NS6detail17trampoline_kernelINS0_14default_configENS1_25partition_config_selectorILNS1_17partition_subalgoE8ElNS0_10empty_typeEbEEZZNS1_14partition_implILS5_8ELb0ES3_jPlPS6_PKS6_NS0_5tupleIJS9_S6_EEENSD_IJSA_SA_EEENS0_18inequality_wrapperIZN2at6native12_GLOBAL__N_124unique_dim_cuda_templateIaEESt5tupleIJNSH_6TensorESM_SM_EERKSM_lbbbEUlllE0_EEPmJS6_EEE10hipError_tPvRmT3_T4_T5_T6_T7_T9_mT8_P12ihipStream_tbDpT10_ENKUlT_T0_E_clISt17integral_constantIbLb1EES1C_EEDaS17_S18_EUlS17_E_NS1_11comp_targetILNS1_3genE3ELNS1_11target_archE908ELNS1_3gpuE7ELNS1_3repE0EEENS1_30default_config_static_selectorELNS0_4arch9wavefront6targetE1EEEvT1_
	.p2align	8
	.type	_ZN7rocprim17ROCPRIM_400000_NS6detail17trampoline_kernelINS0_14default_configENS1_25partition_config_selectorILNS1_17partition_subalgoE8ElNS0_10empty_typeEbEEZZNS1_14partition_implILS5_8ELb0ES3_jPlPS6_PKS6_NS0_5tupleIJS9_S6_EEENSD_IJSA_SA_EEENS0_18inequality_wrapperIZN2at6native12_GLOBAL__N_124unique_dim_cuda_templateIaEESt5tupleIJNSH_6TensorESM_SM_EERKSM_lbbbEUlllE0_EEPmJS6_EEE10hipError_tPvRmT3_T4_T5_T6_T7_T9_mT8_P12ihipStream_tbDpT10_ENKUlT_T0_E_clISt17integral_constantIbLb1EES1C_EEDaS17_S18_EUlS17_E_NS1_11comp_targetILNS1_3genE3ELNS1_11target_archE908ELNS1_3gpuE7ELNS1_3repE0EEENS1_30default_config_static_selectorELNS0_4arch9wavefront6targetE1EEEvT1_,@function
_ZN7rocprim17ROCPRIM_400000_NS6detail17trampoline_kernelINS0_14default_configENS1_25partition_config_selectorILNS1_17partition_subalgoE8ElNS0_10empty_typeEbEEZZNS1_14partition_implILS5_8ELb0ES3_jPlPS6_PKS6_NS0_5tupleIJS9_S6_EEENSD_IJSA_SA_EEENS0_18inequality_wrapperIZN2at6native12_GLOBAL__N_124unique_dim_cuda_templateIaEESt5tupleIJNSH_6TensorESM_SM_EERKSM_lbbbEUlllE0_EEPmJS6_EEE10hipError_tPvRmT3_T4_T5_T6_T7_T9_mT8_P12ihipStream_tbDpT10_ENKUlT_T0_E_clISt17integral_constantIbLb1EES1C_EEDaS17_S18_EUlS17_E_NS1_11comp_targetILNS1_3genE3ELNS1_11target_archE908ELNS1_3gpuE7ELNS1_3repE0EEENS1_30default_config_static_selectorELNS0_4arch9wavefront6targetE1EEEvT1_: ; @_ZN7rocprim17ROCPRIM_400000_NS6detail17trampoline_kernelINS0_14default_configENS1_25partition_config_selectorILNS1_17partition_subalgoE8ElNS0_10empty_typeEbEEZZNS1_14partition_implILS5_8ELb0ES3_jPlPS6_PKS6_NS0_5tupleIJS9_S6_EEENSD_IJSA_SA_EEENS0_18inequality_wrapperIZN2at6native12_GLOBAL__N_124unique_dim_cuda_templateIaEESt5tupleIJNSH_6TensorESM_SM_EERKSM_lbbbEUlllE0_EEPmJS6_EEE10hipError_tPvRmT3_T4_T5_T6_T7_T9_mT8_P12ihipStream_tbDpT10_ENKUlT_T0_E_clISt17integral_constantIbLb1EES1C_EEDaS17_S18_EUlS17_E_NS1_11comp_targetILNS1_3genE3ELNS1_11target_archE908ELNS1_3gpuE7ELNS1_3repE0EEENS1_30default_config_static_selectorELNS0_4arch9wavefront6targetE1EEEvT1_
; %bb.0:
	.section	.rodata,"a",@progbits
	.p2align	6, 0x0
	.amdhsa_kernel _ZN7rocprim17ROCPRIM_400000_NS6detail17trampoline_kernelINS0_14default_configENS1_25partition_config_selectorILNS1_17partition_subalgoE8ElNS0_10empty_typeEbEEZZNS1_14partition_implILS5_8ELb0ES3_jPlPS6_PKS6_NS0_5tupleIJS9_S6_EEENSD_IJSA_SA_EEENS0_18inequality_wrapperIZN2at6native12_GLOBAL__N_124unique_dim_cuda_templateIaEESt5tupleIJNSH_6TensorESM_SM_EERKSM_lbbbEUlllE0_EEPmJS6_EEE10hipError_tPvRmT3_T4_T5_T6_T7_T9_mT8_P12ihipStream_tbDpT10_ENKUlT_T0_E_clISt17integral_constantIbLb1EES1C_EEDaS17_S18_EUlS17_E_NS1_11comp_targetILNS1_3genE3ELNS1_11target_archE908ELNS1_3gpuE7ELNS1_3repE0EEENS1_30default_config_static_selectorELNS0_4arch9wavefront6targetE1EEEvT1_
		.amdhsa_group_segment_fixed_size 0
		.amdhsa_private_segment_fixed_size 0
		.amdhsa_kernarg_size 136
		.amdhsa_user_sgpr_count 2
		.amdhsa_user_sgpr_dispatch_ptr 0
		.amdhsa_user_sgpr_queue_ptr 0
		.amdhsa_user_sgpr_kernarg_segment_ptr 1
		.amdhsa_user_sgpr_dispatch_id 0
		.amdhsa_user_sgpr_kernarg_preload_length 0
		.amdhsa_user_sgpr_kernarg_preload_offset 0
		.amdhsa_user_sgpr_private_segment_size 0
		.amdhsa_uses_dynamic_stack 0
		.amdhsa_enable_private_segment 0
		.amdhsa_system_sgpr_workgroup_id_x 1
		.amdhsa_system_sgpr_workgroup_id_y 0
		.amdhsa_system_sgpr_workgroup_id_z 0
		.amdhsa_system_sgpr_workgroup_info 0
		.amdhsa_system_vgpr_workitem_id 0
		.amdhsa_next_free_vgpr 1
		.amdhsa_next_free_sgpr 0
		.amdhsa_accum_offset 4
		.amdhsa_reserve_vcc 0
		.amdhsa_float_round_mode_32 0
		.amdhsa_float_round_mode_16_64 0
		.amdhsa_float_denorm_mode_32 3
		.amdhsa_float_denorm_mode_16_64 3
		.amdhsa_dx10_clamp 1
		.amdhsa_ieee_mode 1
		.amdhsa_fp16_overflow 0
		.amdhsa_tg_split 0
		.amdhsa_exception_fp_ieee_invalid_op 0
		.amdhsa_exception_fp_denorm_src 0
		.amdhsa_exception_fp_ieee_div_zero 0
		.amdhsa_exception_fp_ieee_overflow 0
		.amdhsa_exception_fp_ieee_underflow 0
		.amdhsa_exception_fp_ieee_inexact 0
		.amdhsa_exception_int_div_zero 0
	.end_amdhsa_kernel
	.section	.text._ZN7rocprim17ROCPRIM_400000_NS6detail17trampoline_kernelINS0_14default_configENS1_25partition_config_selectorILNS1_17partition_subalgoE8ElNS0_10empty_typeEbEEZZNS1_14partition_implILS5_8ELb0ES3_jPlPS6_PKS6_NS0_5tupleIJS9_S6_EEENSD_IJSA_SA_EEENS0_18inequality_wrapperIZN2at6native12_GLOBAL__N_124unique_dim_cuda_templateIaEESt5tupleIJNSH_6TensorESM_SM_EERKSM_lbbbEUlllE0_EEPmJS6_EEE10hipError_tPvRmT3_T4_T5_T6_T7_T9_mT8_P12ihipStream_tbDpT10_ENKUlT_T0_E_clISt17integral_constantIbLb1EES1C_EEDaS17_S18_EUlS17_E_NS1_11comp_targetILNS1_3genE3ELNS1_11target_archE908ELNS1_3gpuE7ELNS1_3repE0EEENS1_30default_config_static_selectorELNS0_4arch9wavefront6targetE1EEEvT1_,"axG",@progbits,_ZN7rocprim17ROCPRIM_400000_NS6detail17trampoline_kernelINS0_14default_configENS1_25partition_config_selectorILNS1_17partition_subalgoE8ElNS0_10empty_typeEbEEZZNS1_14partition_implILS5_8ELb0ES3_jPlPS6_PKS6_NS0_5tupleIJS9_S6_EEENSD_IJSA_SA_EEENS0_18inequality_wrapperIZN2at6native12_GLOBAL__N_124unique_dim_cuda_templateIaEESt5tupleIJNSH_6TensorESM_SM_EERKSM_lbbbEUlllE0_EEPmJS6_EEE10hipError_tPvRmT3_T4_T5_T6_T7_T9_mT8_P12ihipStream_tbDpT10_ENKUlT_T0_E_clISt17integral_constantIbLb1EES1C_EEDaS17_S18_EUlS17_E_NS1_11comp_targetILNS1_3genE3ELNS1_11target_archE908ELNS1_3gpuE7ELNS1_3repE0EEENS1_30default_config_static_selectorELNS0_4arch9wavefront6targetE1EEEvT1_,comdat
.Lfunc_end332:
	.size	_ZN7rocprim17ROCPRIM_400000_NS6detail17trampoline_kernelINS0_14default_configENS1_25partition_config_selectorILNS1_17partition_subalgoE8ElNS0_10empty_typeEbEEZZNS1_14partition_implILS5_8ELb0ES3_jPlPS6_PKS6_NS0_5tupleIJS9_S6_EEENSD_IJSA_SA_EEENS0_18inequality_wrapperIZN2at6native12_GLOBAL__N_124unique_dim_cuda_templateIaEESt5tupleIJNSH_6TensorESM_SM_EERKSM_lbbbEUlllE0_EEPmJS6_EEE10hipError_tPvRmT3_T4_T5_T6_T7_T9_mT8_P12ihipStream_tbDpT10_ENKUlT_T0_E_clISt17integral_constantIbLb1EES1C_EEDaS17_S18_EUlS17_E_NS1_11comp_targetILNS1_3genE3ELNS1_11target_archE908ELNS1_3gpuE7ELNS1_3repE0EEENS1_30default_config_static_selectorELNS0_4arch9wavefront6targetE1EEEvT1_, .Lfunc_end332-_ZN7rocprim17ROCPRIM_400000_NS6detail17trampoline_kernelINS0_14default_configENS1_25partition_config_selectorILNS1_17partition_subalgoE8ElNS0_10empty_typeEbEEZZNS1_14partition_implILS5_8ELb0ES3_jPlPS6_PKS6_NS0_5tupleIJS9_S6_EEENSD_IJSA_SA_EEENS0_18inequality_wrapperIZN2at6native12_GLOBAL__N_124unique_dim_cuda_templateIaEESt5tupleIJNSH_6TensorESM_SM_EERKSM_lbbbEUlllE0_EEPmJS6_EEE10hipError_tPvRmT3_T4_T5_T6_T7_T9_mT8_P12ihipStream_tbDpT10_ENKUlT_T0_E_clISt17integral_constantIbLb1EES1C_EEDaS17_S18_EUlS17_E_NS1_11comp_targetILNS1_3genE3ELNS1_11target_archE908ELNS1_3gpuE7ELNS1_3repE0EEENS1_30default_config_static_selectorELNS0_4arch9wavefront6targetE1EEEvT1_
                                        ; -- End function
	.section	.AMDGPU.csdata,"",@progbits
; Kernel info:
; codeLenInByte = 0
; NumSgprs: 6
; NumVgprs: 0
; NumAgprs: 0
; TotalNumVgprs: 0
; ScratchSize: 0
; MemoryBound: 0
; FloatMode: 240
; IeeeMode: 1
; LDSByteSize: 0 bytes/workgroup (compile time only)
; SGPRBlocks: 0
; VGPRBlocks: 0
; NumSGPRsForWavesPerEU: 6
; NumVGPRsForWavesPerEU: 1
; AccumOffset: 4
; Occupancy: 8
; WaveLimiterHint : 0
; COMPUTE_PGM_RSRC2:SCRATCH_EN: 0
; COMPUTE_PGM_RSRC2:USER_SGPR: 2
; COMPUTE_PGM_RSRC2:TRAP_HANDLER: 0
; COMPUTE_PGM_RSRC2:TGID_X_EN: 1
; COMPUTE_PGM_RSRC2:TGID_Y_EN: 0
; COMPUTE_PGM_RSRC2:TGID_Z_EN: 0
; COMPUTE_PGM_RSRC2:TIDIG_COMP_CNT: 0
; COMPUTE_PGM_RSRC3_GFX90A:ACCUM_OFFSET: 0
; COMPUTE_PGM_RSRC3_GFX90A:TG_SPLIT: 0
	.section	.text._ZN7rocprim17ROCPRIM_400000_NS6detail17trampoline_kernelINS0_14default_configENS1_25partition_config_selectorILNS1_17partition_subalgoE8ElNS0_10empty_typeEbEEZZNS1_14partition_implILS5_8ELb0ES3_jPlPS6_PKS6_NS0_5tupleIJS9_S6_EEENSD_IJSA_SA_EEENS0_18inequality_wrapperIZN2at6native12_GLOBAL__N_124unique_dim_cuda_templateIaEESt5tupleIJNSH_6TensorESM_SM_EERKSM_lbbbEUlllE0_EEPmJS6_EEE10hipError_tPvRmT3_T4_T5_T6_T7_T9_mT8_P12ihipStream_tbDpT10_ENKUlT_T0_E_clISt17integral_constantIbLb1EES1C_EEDaS17_S18_EUlS17_E_NS1_11comp_targetILNS1_3genE2ELNS1_11target_archE906ELNS1_3gpuE6ELNS1_3repE0EEENS1_30default_config_static_selectorELNS0_4arch9wavefront6targetE1EEEvT1_,"axG",@progbits,_ZN7rocprim17ROCPRIM_400000_NS6detail17trampoline_kernelINS0_14default_configENS1_25partition_config_selectorILNS1_17partition_subalgoE8ElNS0_10empty_typeEbEEZZNS1_14partition_implILS5_8ELb0ES3_jPlPS6_PKS6_NS0_5tupleIJS9_S6_EEENSD_IJSA_SA_EEENS0_18inequality_wrapperIZN2at6native12_GLOBAL__N_124unique_dim_cuda_templateIaEESt5tupleIJNSH_6TensorESM_SM_EERKSM_lbbbEUlllE0_EEPmJS6_EEE10hipError_tPvRmT3_T4_T5_T6_T7_T9_mT8_P12ihipStream_tbDpT10_ENKUlT_T0_E_clISt17integral_constantIbLb1EES1C_EEDaS17_S18_EUlS17_E_NS1_11comp_targetILNS1_3genE2ELNS1_11target_archE906ELNS1_3gpuE6ELNS1_3repE0EEENS1_30default_config_static_selectorELNS0_4arch9wavefront6targetE1EEEvT1_,comdat
	.globl	_ZN7rocprim17ROCPRIM_400000_NS6detail17trampoline_kernelINS0_14default_configENS1_25partition_config_selectorILNS1_17partition_subalgoE8ElNS0_10empty_typeEbEEZZNS1_14partition_implILS5_8ELb0ES3_jPlPS6_PKS6_NS0_5tupleIJS9_S6_EEENSD_IJSA_SA_EEENS0_18inequality_wrapperIZN2at6native12_GLOBAL__N_124unique_dim_cuda_templateIaEESt5tupleIJNSH_6TensorESM_SM_EERKSM_lbbbEUlllE0_EEPmJS6_EEE10hipError_tPvRmT3_T4_T5_T6_T7_T9_mT8_P12ihipStream_tbDpT10_ENKUlT_T0_E_clISt17integral_constantIbLb1EES1C_EEDaS17_S18_EUlS17_E_NS1_11comp_targetILNS1_3genE2ELNS1_11target_archE906ELNS1_3gpuE6ELNS1_3repE0EEENS1_30default_config_static_selectorELNS0_4arch9wavefront6targetE1EEEvT1_ ; -- Begin function _ZN7rocprim17ROCPRIM_400000_NS6detail17trampoline_kernelINS0_14default_configENS1_25partition_config_selectorILNS1_17partition_subalgoE8ElNS0_10empty_typeEbEEZZNS1_14partition_implILS5_8ELb0ES3_jPlPS6_PKS6_NS0_5tupleIJS9_S6_EEENSD_IJSA_SA_EEENS0_18inequality_wrapperIZN2at6native12_GLOBAL__N_124unique_dim_cuda_templateIaEESt5tupleIJNSH_6TensorESM_SM_EERKSM_lbbbEUlllE0_EEPmJS6_EEE10hipError_tPvRmT3_T4_T5_T6_T7_T9_mT8_P12ihipStream_tbDpT10_ENKUlT_T0_E_clISt17integral_constantIbLb1EES1C_EEDaS17_S18_EUlS17_E_NS1_11comp_targetILNS1_3genE2ELNS1_11target_archE906ELNS1_3gpuE6ELNS1_3repE0EEENS1_30default_config_static_selectorELNS0_4arch9wavefront6targetE1EEEvT1_
	.p2align	8
	.type	_ZN7rocprim17ROCPRIM_400000_NS6detail17trampoline_kernelINS0_14default_configENS1_25partition_config_selectorILNS1_17partition_subalgoE8ElNS0_10empty_typeEbEEZZNS1_14partition_implILS5_8ELb0ES3_jPlPS6_PKS6_NS0_5tupleIJS9_S6_EEENSD_IJSA_SA_EEENS0_18inequality_wrapperIZN2at6native12_GLOBAL__N_124unique_dim_cuda_templateIaEESt5tupleIJNSH_6TensorESM_SM_EERKSM_lbbbEUlllE0_EEPmJS6_EEE10hipError_tPvRmT3_T4_T5_T6_T7_T9_mT8_P12ihipStream_tbDpT10_ENKUlT_T0_E_clISt17integral_constantIbLb1EES1C_EEDaS17_S18_EUlS17_E_NS1_11comp_targetILNS1_3genE2ELNS1_11target_archE906ELNS1_3gpuE6ELNS1_3repE0EEENS1_30default_config_static_selectorELNS0_4arch9wavefront6targetE1EEEvT1_,@function
_ZN7rocprim17ROCPRIM_400000_NS6detail17trampoline_kernelINS0_14default_configENS1_25partition_config_selectorILNS1_17partition_subalgoE8ElNS0_10empty_typeEbEEZZNS1_14partition_implILS5_8ELb0ES3_jPlPS6_PKS6_NS0_5tupleIJS9_S6_EEENSD_IJSA_SA_EEENS0_18inequality_wrapperIZN2at6native12_GLOBAL__N_124unique_dim_cuda_templateIaEESt5tupleIJNSH_6TensorESM_SM_EERKSM_lbbbEUlllE0_EEPmJS6_EEE10hipError_tPvRmT3_T4_T5_T6_T7_T9_mT8_P12ihipStream_tbDpT10_ENKUlT_T0_E_clISt17integral_constantIbLb1EES1C_EEDaS17_S18_EUlS17_E_NS1_11comp_targetILNS1_3genE2ELNS1_11target_archE906ELNS1_3gpuE6ELNS1_3repE0EEENS1_30default_config_static_selectorELNS0_4arch9wavefront6targetE1EEEvT1_: ; @_ZN7rocprim17ROCPRIM_400000_NS6detail17trampoline_kernelINS0_14default_configENS1_25partition_config_selectorILNS1_17partition_subalgoE8ElNS0_10empty_typeEbEEZZNS1_14partition_implILS5_8ELb0ES3_jPlPS6_PKS6_NS0_5tupleIJS9_S6_EEENSD_IJSA_SA_EEENS0_18inequality_wrapperIZN2at6native12_GLOBAL__N_124unique_dim_cuda_templateIaEESt5tupleIJNSH_6TensorESM_SM_EERKSM_lbbbEUlllE0_EEPmJS6_EEE10hipError_tPvRmT3_T4_T5_T6_T7_T9_mT8_P12ihipStream_tbDpT10_ENKUlT_T0_E_clISt17integral_constantIbLb1EES1C_EEDaS17_S18_EUlS17_E_NS1_11comp_targetILNS1_3genE2ELNS1_11target_archE906ELNS1_3gpuE6ELNS1_3repE0EEENS1_30default_config_static_selectorELNS0_4arch9wavefront6targetE1EEEvT1_
; %bb.0:
	.section	.rodata,"a",@progbits
	.p2align	6, 0x0
	.amdhsa_kernel _ZN7rocprim17ROCPRIM_400000_NS6detail17trampoline_kernelINS0_14default_configENS1_25partition_config_selectorILNS1_17partition_subalgoE8ElNS0_10empty_typeEbEEZZNS1_14partition_implILS5_8ELb0ES3_jPlPS6_PKS6_NS0_5tupleIJS9_S6_EEENSD_IJSA_SA_EEENS0_18inequality_wrapperIZN2at6native12_GLOBAL__N_124unique_dim_cuda_templateIaEESt5tupleIJNSH_6TensorESM_SM_EERKSM_lbbbEUlllE0_EEPmJS6_EEE10hipError_tPvRmT3_T4_T5_T6_T7_T9_mT8_P12ihipStream_tbDpT10_ENKUlT_T0_E_clISt17integral_constantIbLb1EES1C_EEDaS17_S18_EUlS17_E_NS1_11comp_targetILNS1_3genE2ELNS1_11target_archE906ELNS1_3gpuE6ELNS1_3repE0EEENS1_30default_config_static_selectorELNS0_4arch9wavefront6targetE1EEEvT1_
		.amdhsa_group_segment_fixed_size 0
		.amdhsa_private_segment_fixed_size 0
		.amdhsa_kernarg_size 136
		.amdhsa_user_sgpr_count 2
		.amdhsa_user_sgpr_dispatch_ptr 0
		.amdhsa_user_sgpr_queue_ptr 0
		.amdhsa_user_sgpr_kernarg_segment_ptr 1
		.amdhsa_user_sgpr_dispatch_id 0
		.amdhsa_user_sgpr_kernarg_preload_length 0
		.amdhsa_user_sgpr_kernarg_preload_offset 0
		.amdhsa_user_sgpr_private_segment_size 0
		.amdhsa_uses_dynamic_stack 0
		.amdhsa_enable_private_segment 0
		.amdhsa_system_sgpr_workgroup_id_x 1
		.amdhsa_system_sgpr_workgroup_id_y 0
		.amdhsa_system_sgpr_workgroup_id_z 0
		.amdhsa_system_sgpr_workgroup_info 0
		.amdhsa_system_vgpr_workitem_id 0
		.amdhsa_next_free_vgpr 1
		.amdhsa_next_free_sgpr 0
		.amdhsa_accum_offset 4
		.amdhsa_reserve_vcc 0
		.amdhsa_float_round_mode_32 0
		.amdhsa_float_round_mode_16_64 0
		.amdhsa_float_denorm_mode_32 3
		.amdhsa_float_denorm_mode_16_64 3
		.amdhsa_dx10_clamp 1
		.amdhsa_ieee_mode 1
		.amdhsa_fp16_overflow 0
		.amdhsa_tg_split 0
		.amdhsa_exception_fp_ieee_invalid_op 0
		.amdhsa_exception_fp_denorm_src 0
		.amdhsa_exception_fp_ieee_div_zero 0
		.amdhsa_exception_fp_ieee_overflow 0
		.amdhsa_exception_fp_ieee_underflow 0
		.amdhsa_exception_fp_ieee_inexact 0
		.amdhsa_exception_int_div_zero 0
	.end_amdhsa_kernel
	.section	.text._ZN7rocprim17ROCPRIM_400000_NS6detail17trampoline_kernelINS0_14default_configENS1_25partition_config_selectorILNS1_17partition_subalgoE8ElNS0_10empty_typeEbEEZZNS1_14partition_implILS5_8ELb0ES3_jPlPS6_PKS6_NS0_5tupleIJS9_S6_EEENSD_IJSA_SA_EEENS0_18inequality_wrapperIZN2at6native12_GLOBAL__N_124unique_dim_cuda_templateIaEESt5tupleIJNSH_6TensorESM_SM_EERKSM_lbbbEUlllE0_EEPmJS6_EEE10hipError_tPvRmT3_T4_T5_T6_T7_T9_mT8_P12ihipStream_tbDpT10_ENKUlT_T0_E_clISt17integral_constantIbLb1EES1C_EEDaS17_S18_EUlS17_E_NS1_11comp_targetILNS1_3genE2ELNS1_11target_archE906ELNS1_3gpuE6ELNS1_3repE0EEENS1_30default_config_static_selectorELNS0_4arch9wavefront6targetE1EEEvT1_,"axG",@progbits,_ZN7rocprim17ROCPRIM_400000_NS6detail17trampoline_kernelINS0_14default_configENS1_25partition_config_selectorILNS1_17partition_subalgoE8ElNS0_10empty_typeEbEEZZNS1_14partition_implILS5_8ELb0ES3_jPlPS6_PKS6_NS0_5tupleIJS9_S6_EEENSD_IJSA_SA_EEENS0_18inequality_wrapperIZN2at6native12_GLOBAL__N_124unique_dim_cuda_templateIaEESt5tupleIJNSH_6TensorESM_SM_EERKSM_lbbbEUlllE0_EEPmJS6_EEE10hipError_tPvRmT3_T4_T5_T6_T7_T9_mT8_P12ihipStream_tbDpT10_ENKUlT_T0_E_clISt17integral_constantIbLb1EES1C_EEDaS17_S18_EUlS17_E_NS1_11comp_targetILNS1_3genE2ELNS1_11target_archE906ELNS1_3gpuE6ELNS1_3repE0EEENS1_30default_config_static_selectorELNS0_4arch9wavefront6targetE1EEEvT1_,comdat
.Lfunc_end333:
	.size	_ZN7rocprim17ROCPRIM_400000_NS6detail17trampoline_kernelINS0_14default_configENS1_25partition_config_selectorILNS1_17partition_subalgoE8ElNS0_10empty_typeEbEEZZNS1_14partition_implILS5_8ELb0ES3_jPlPS6_PKS6_NS0_5tupleIJS9_S6_EEENSD_IJSA_SA_EEENS0_18inequality_wrapperIZN2at6native12_GLOBAL__N_124unique_dim_cuda_templateIaEESt5tupleIJNSH_6TensorESM_SM_EERKSM_lbbbEUlllE0_EEPmJS6_EEE10hipError_tPvRmT3_T4_T5_T6_T7_T9_mT8_P12ihipStream_tbDpT10_ENKUlT_T0_E_clISt17integral_constantIbLb1EES1C_EEDaS17_S18_EUlS17_E_NS1_11comp_targetILNS1_3genE2ELNS1_11target_archE906ELNS1_3gpuE6ELNS1_3repE0EEENS1_30default_config_static_selectorELNS0_4arch9wavefront6targetE1EEEvT1_, .Lfunc_end333-_ZN7rocprim17ROCPRIM_400000_NS6detail17trampoline_kernelINS0_14default_configENS1_25partition_config_selectorILNS1_17partition_subalgoE8ElNS0_10empty_typeEbEEZZNS1_14partition_implILS5_8ELb0ES3_jPlPS6_PKS6_NS0_5tupleIJS9_S6_EEENSD_IJSA_SA_EEENS0_18inequality_wrapperIZN2at6native12_GLOBAL__N_124unique_dim_cuda_templateIaEESt5tupleIJNSH_6TensorESM_SM_EERKSM_lbbbEUlllE0_EEPmJS6_EEE10hipError_tPvRmT3_T4_T5_T6_T7_T9_mT8_P12ihipStream_tbDpT10_ENKUlT_T0_E_clISt17integral_constantIbLb1EES1C_EEDaS17_S18_EUlS17_E_NS1_11comp_targetILNS1_3genE2ELNS1_11target_archE906ELNS1_3gpuE6ELNS1_3repE0EEENS1_30default_config_static_selectorELNS0_4arch9wavefront6targetE1EEEvT1_
                                        ; -- End function
	.section	.AMDGPU.csdata,"",@progbits
; Kernel info:
; codeLenInByte = 0
; NumSgprs: 6
; NumVgprs: 0
; NumAgprs: 0
; TotalNumVgprs: 0
; ScratchSize: 0
; MemoryBound: 0
; FloatMode: 240
; IeeeMode: 1
; LDSByteSize: 0 bytes/workgroup (compile time only)
; SGPRBlocks: 0
; VGPRBlocks: 0
; NumSGPRsForWavesPerEU: 6
; NumVGPRsForWavesPerEU: 1
; AccumOffset: 4
; Occupancy: 8
; WaveLimiterHint : 0
; COMPUTE_PGM_RSRC2:SCRATCH_EN: 0
; COMPUTE_PGM_RSRC2:USER_SGPR: 2
; COMPUTE_PGM_RSRC2:TRAP_HANDLER: 0
; COMPUTE_PGM_RSRC2:TGID_X_EN: 1
; COMPUTE_PGM_RSRC2:TGID_Y_EN: 0
; COMPUTE_PGM_RSRC2:TGID_Z_EN: 0
; COMPUTE_PGM_RSRC2:TIDIG_COMP_CNT: 0
; COMPUTE_PGM_RSRC3_GFX90A:ACCUM_OFFSET: 0
; COMPUTE_PGM_RSRC3_GFX90A:TG_SPLIT: 0
	.section	.text._ZN7rocprim17ROCPRIM_400000_NS6detail17trampoline_kernelINS0_14default_configENS1_25partition_config_selectorILNS1_17partition_subalgoE8ElNS0_10empty_typeEbEEZZNS1_14partition_implILS5_8ELb0ES3_jPlPS6_PKS6_NS0_5tupleIJS9_S6_EEENSD_IJSA_SA_EEENS0_18inequality_wrapperIZN2at6native12_GLOBAL__N_124unique_dim_cuda_templateIaEESt5tupleIJNSH_6TensorESM_SM_EERKSM_lbbbEUlllE0_EEPmJS6_EEE10hipError_tPvRmT3_T4_T5_T6_T7_T9_mT8_P12ihipStream_tbDpT10_ENKUlT_T0_E_clISt17integral_constantIbLb1EES1C_EEDaS17_S18_EUlS17_E_NS1_11comp_targetILNS1_3genE10ELNS1_11target_archE1200ELNS1_3gpuE4ELNS1_3repE0EEENS1_30default_config_static_selectorELNS0_4arch9wavefront6targetE1EEEvT1_,"axG",@progbits,_ZN7rocprim17ROCPRIM_400000_NS6detail17trampoline_kernelINS0_14default_configENS1_25partition_config_selectorILNS1_17partition_subalgoE8ElNS0_10empty_typeEbEEZZNS1_14partition_implILS5_8ELb0ES3_jPlPS6_PKS6_NS0_5tupleIJS9_S6_EEENSD_IJSA_SA_EEENS0_18inequality_wrapperIZN2at6native12_GLOBAL__N_124unique_dim_cuda_templateIaEESt5tupleIJNSH_6TensorESM_SM_EERKSM_lbbbEUlllE0_EEPmJS6_EEE10hipError_tPvRmT3_T4_T5_T6_T7_T9_mT8_P12ihipStream_tbDpT10_ENKUlT_T0_E_clISt17integral_constantIbLb1EES1C_EEDaS17_S18_EUlS17_E_NS1_11comp_targetILNS1_3genE10ELNS1_11target_archE1200ELNS1_3gpuE4ELNS1_3repE0EEENS1_30default_config_static_selectorELNS0_4arch9wavefront6targetE1EEEvT1_,comdat
	.globl	_ZN7rocprim17ROCPRIM_400000_NS6detail17trampoline_kernelINS0_14default_configENS1_25partition_config_selectorILNS1_17partition_subalgoE8ElNS0_10empty_typeEbEEZZNS1_14partition_implILS5_8ELb0ES3_jPlPS6_PKS6_NS0_5tupleIJS9_S6_EEENSD_IJSA_SA_EEENS0_18inequality_wrapperIZN2at6native12_GLOBAL__N_124unique_dim_cuda_templateIaEESt5tupleIJNSH_6TensorESM_SM_EERKSM_lbbbEUlllE0_EEPmJS6_EEE10hipError_tPvRmT3_T4_T5_T6_T7_T9_mT8_P12ihipStream_tbDpT10_ENKUlT_T0_E_clISt17integral_constantIbLb1EES1C_EEDaS17_S18_EUlS17_E_NS1_11comp_targetILNS1_3genE10ELNS1_11target_archE1200ELNS1_3gpuE4ELNS1_3repE0EEENS1_30default_config_static_selectorELNS0_4arch9wavefront6targetE1EEEvT1_ ; -- Begin function _ZN7rocprim17ROCPRIM_400000_NS6detail17trampoline_kernelINS0_14default_configENS1_25partition_config_selectorILNS1_17partition_subalgoE8ElNS0_10empty_typeEbEEZZNS1_14partition_implILS5_8ELb0ES3_jPlPS6_PKS6_NS0_5tupleIJS9_S6_EEENSD_IJSA_SA_EEENS0_18inequality_wrapperIZN2at6native12_GLOBAL__N_124unique_dim_cuda_templateIaEESt5tupleIJNSH_6TensorESM_SM_EERKSM_lbbbEUlllE0_EEPmJS6_EEE10hipError_tPvRmT3_T4_T5_T6_T7_T9_mT8_P12ihipStream_tbDpT10_ENKUlT_T0_E_clISt17integral_constantIbLb1EES1C_EEDaS17_S18_EUlS17_E_NS1_11comp_targetILNS1_3genE10ELNS1_11target_archE1200ELNS1_3gpuE4ELNS1_3repE0EEENS1_30default_config_static_selectorELNS0_4arch9wavefront6targetE1EEEvT1_
	.p2align	8
	.type	_ZN7rocprim17ROCPRIM_400000_NS6detail17trampoline_kernelINS0_14default_configENS1_25partition_config_selectorILNS1_17partition_subalgoE8ElNS0_10empty_typeEbEEZZNS1_14partition_implILS5_8ELb0ES3_jPlPS6_PKS6_NS0_5tupleIJS9_S6_EEENSD_IJSA_SA_EEENS0_18inequality_wrapperIZN2at6native12_GLOBAL__N_124unique_dim_cuda_templateIaEESt5tupleIJNSH_6TensorESM_SM_EERKSM_lbbbEUlllE0_EEPmJS6_EEE10hipError_tPvRmT3_T4_T5_T6_T7_T9_mT8_P12ihipStream_tbDpT10_ENKUlT_T0_E_clISt17integral_constantIbLb1EES1C_EEDaS17_S18_EUlS17_E_NS1_11comp_targetILNS1_3genE10ELNS1_11target_archE1200ELNS1_3gpuE4ELNS1_3repE0EEENS1_30default_config_static_selectorELNS0_4arch9wavefront6targetE1EEEvT1_,@function
_ZN7rocprim17ROCPRIM_400000_NS6detail17trampoline_kernelINS0_14default_configENS1_25partition_config_selectorILNS1_17partition_subalgoE8ElNS0_10empty_typeEbEEZZNS1_14partition_implILS5_8ELb0ES3_jPlPS6_PKS6_NS0_5tupleIJS9_S6_EEENSD_IJSA_SA_EEENS0_18inequality_wrapperIZN2at6native12_GLOBAL__N_124unique_dim_cuda_templateIaEESt5tupleIJNSH_6TensorESM_SM_EERKSM_lbbbEUlllE0_EEPmJS6_EEE10hipError_tPvRmT3_T4_T5_T6_T7_T9_mT8_P12ihipStream_tbDpT10_ENKUlT_T0_E_clISt17integral_constantIbLb1EES1C_EEDaS17_S18_EUlS17_E_NS1_11comp_targetILNS1_3genE10ELNS1_11target_archE1200ELNS1_3gpuE4ELNS1_3repE0EEENS1_30default_config_static_selectorELNS0_4arch9wavefront6targetE1EEEvT1_: ; @_ZN7rocprim17ROCPRIM_400000_NS6detail17trampoline_kernelINS0_14default_configENS1_25partition_config_selectorILNS1_17partition_subalgoE8ElNS0_10empty_typeEbEEZZNS1_14partition_implILS5_8ELb0ES3_jPlPS6_PKS6_NS0_5tupleIJS9_S6_EEENSD_IJSA_SA_EEENS0_18inequality_wrapperIZN2at6native12_GLOBAL__N_124unique_dim_cuda_templateIaEESt5tupleIJNSH_6TensorESM_SM_EERKSM_lbbbEUlllE0_EEPmJS6_EEE10hipError_tPvRmT3_T4_T5_T6_T7_T9_mT8_P12ihipStream_tbDpT10_ENKUlT_T0_E_clISt17integral_constantIbLb1EES1C_EEDaS17_S18_EUlS17_E_NS1_11comp_targetILNS1_3genE10ELNS1_11target_archE1200ELNS1_3gpuE4ELNS1_3repE0EEENS1_30default_config_static_selectorELNS0_4arch9wavefront6targetE1EEEvT1_
; %bb.0:
	.section	.rodata,"a",@progbits
	.p2align	6, 0x0
	.amdhsa_kernel _ZN7rocprim17ROCPRIM_400000_NS6detail17trampoline_kernelINS0_14default_configENS1_25partition_config_selectorILNS1_17partition_subalgoE8ElNS0_10empty_typeEbEEZZNS1_14partition_implILS5_8ELb0ES3_jPlPS6_PKS6_NS0_5tupleIJS9_S6_EEENSD_IJSA_SA_EEENS0_18inequality_wrapperIZN2at6native12_GLOBAL__N_124unique_dim_cuda_templateIaEESt5tupleIJNSH_6TensorESM_SM_EERKSM_lbbbEUlllE0_EEPmJS6_EEE10hipError_tPvRmT3_T4_T5_T6_T7_T9_mT8_P12ihipStream_tbDpT10_ENKUlT_T0_E_clISt17integral_constantIbLb1EES1C_EEDaS17_S18_EUlS17_E_NS1_11comp_targetILNS1_3genE10ELNS1_11target_archE1200ELNS1_3gpuE4ELNS1_3repE0EEENS1_30default_config_static_selectorELNS0_4arch9wavefront6targetE1EEEvT1_
		.amdhsa_group_segment_fixed_size 0
		.amdhsa_private_segment_fixed_size 0
		.amdhsa_kernarg_size 136
		.amdhsa_user_sgpr_count 2
		.amdhsa_user_sgpr_dispatch_ptr 0
		.amdhsa_user_sgpr_queue_ptr 0
		.amdhsa_user_sgpr_kernarg_segment_ptr 1
		.amdhsa_user_sgpr_dispatch_id 0
		.amdhsa_user_sgpr_kernarg_preload_length 0
		.amdhsa_user_sgpr_kernarg_preload_offset 0
		.amdhsa_user_sgpr_private_segment_size 0
		.amdhsa_uses_dynamic_stack 0
		.amdhsa_enable_private_segment 0
		.amdhsa_system_sgpr_workgroup_id_x 1
		.amdhsa_system_sgpr_workgroup_id_y 0
		.amdhsa_system_sgpr_workgroup_id_z 0
		.amdhsa_system_sgpr_workgroup_info 0
		.amdhsa_system_vgpr_workitem_id 0
		.amdhsa_next_free_vgpr 1
		.amdhsa_next_free_sgpr 0
		.amdhsa_accum_offset 4
		.amdhsa_reserve_vcc 0
		.amdhsa_float_round_mode_32 0
		.amdhsa_float_round_mode_16_64 0
		.amdhsa_float_denorm_mode_32 3
		.amdhsa_float_denorm_mode_16_64 3
		.amdhsa_dx10_clamp 1
		.amdhsa_ieee_mode 1
		.amdhsa_fp16_overflow 0
		.amdhsa_tg_split 0
		.amdhsa_exception_fp_ieee_invalid_op 0
		.amdhsa_exception_fp_denorm_src 0
		.amdhsa_exception_fp_ieee_div_zero 0
		.amdhsa_exception_fp_ieee_overflow 0
		.amdhsa_exception_fp_ieee_underflow 0
		.amdhsa_exception_fp_ieee_inexact 0
		.amdhsa_exception_int_div_zero 0
	.end_amdhsa_kernel
	.section	.text._ZN7rocprim17ROCPRIM_400000_NS6detail17trampoline_kernelINS0_14default_configENS1_25partition_config_selectorILNS1_17partition_subalgoE8ElNS0_10empty_typeEbEEZZNS1_14partition_implILS5_8ELb0ES3_jPlPS6_PKS6_NS0_5tupleIJS9_S6_EEENSD_IJSA_SA_EEENS0_18inequality_wrapperIZN2at6native12_GLOBAL__N_124unique_dim_cuda_templateIaEESt5tupleIJNSH_6TensorESM_SM_EERKSM_lbbbEUlllE0_EEPmJS6_EEE10hipError_tPvRmT3_T4_T5_T6_T7_T9_mT8_P12ihipStream_tbDpT10_ENKUlT_T0_E_clISt17integral_constantIbLb1EES1C_EEDaS17_S18_EUlS17_E_NS1_11comp_targetILNS1_3genE10ELNS1_11target_archE1200ELNS1_3gpuE4ELNS1_3repE0EEENS1_30default_config_static_selectorELNS0_4arch9wavefront6targetE1EEEvT1_,"axG",@progbits,_ZN7rocprim17ROCPRIM_400000_NS6detail17trampoline_kernelINS0_14default_configENS1_25partition_config_selectorILNS1_17partition_subalgoE8ElNS0_10empty_typeEbEEZZNS1_14partition_implILS5_8ELb0ES3_jPlPS6_PKS6_NS0_5tupleIJS9_S6_EEENSD_IJSA_SA_EEENS0_18inequality_wrapperIZN2at6native12_GLOBAL__N_124unique_dim_cuda_templateIaEESt5tupleIJNSH_6TensorESM_SM_EERKSM_lbbbEUlllE0_EEPmJS6_EEE10hipError_tPvRmT3_T4_T5_T6_T7_T9_mT8_P12ihipStream_tbDpT10_ENKUlT_T0_E_clISt17integral_constantIbLb1EES1C_EEDaS17_S18_EUlS17_E_NS1_11comp_targetILNS1_3genE10ELNS1_11target_archE1200ELNS1_3gpuE4ELNS1_3repE0EEENS1_30default_config_static_selectorELNS0_4arch9wavefront6targetE1EEEvT1_,comdat
.Lfunc_end334:
	.size	_ZN7rocprim17ROCPRIM_400000_NS6detail17trampoline_kernelINS0_14default_configENS1_25partition_config_selectorILNS1_17partition_subalgoE8ElNS0_10empty_typeEbEEZZNS1_14partition_implILS5_8ELb0ES3_jPlPS6_PKS6_NS0_5tupleIJS9_S6_EEENSD_IJSA_SA_EEENS0_18inequality_wrapperIZN2at6native12_GLOBAL__N_124unique_dim_cuda_templateIaEESt5tupleIJNSH_6TensorESM_SM_EERKSM_lbbbEUlllE0_EEPmJS6_EEE10hipError_tPvRmT3_T4_T5_T6_T7_T9_mT8_P12ihipStream_tbDpT10_ENKUlT_T0_E_clISt17integral_constantIbLb1EES1C_EEDaS17_S18_EUlS17_E_NS1_11comp_targetILNS1_3genE10ELNS1_11target_archE1200ELNS1_3gpuE4ELNS1_3repE0EEENS1_30default_config_static_selectorELNS0_4arch9wavefront6targetE1EEEvT1_, .Lfunc_end334-_ZN7rocprim17ROCPRIM_400000_NS6detail17trampoline_kernelINS0_14default_configENS1_25partition_config_selectorILNS1_17partition_subalgoE8ElNS0_10empty_typeEbEEZZNS1_14partition_implILS5_8ELb0ES3_jPlPS6_PKS6_NS0_5tupleIJS9_S6_EEENSD_IJSA_SA_EEENS0_18inequality_wrapperIZN2at6native12_GLOBAL__N_124unique_dim_cuda_templateIaEESt5tupleIJNSH_6TensorESM_SM_EERKSM_lbbbEUlllE0_EEPmJS6_EEE10hipError_tPvRmT3_T4_T5_T6_T7_T9_mT8_P12ihipStream_tbDpT10_ENKUlT_T0_E_clISt17integral_constantIbLb1EES1C_EEDaS17_S18_EUlS17_E_NS1_11comp_targetILNS1_3genE10ELNS1_11target_archE1200ELNS1_3gpuE4ELNS1_3repE0EEENS1_30default_config_static_selectorELNS0_4arch9wavefront6targetE1EEEvT1_
                                        ; -- End function
	.section	.AMDGPU.csdata,"",@progbits
; Kernel info:
; codeLenInByte = 0
; NumSgprs: 6
; NumVgprs: 0
; NumAgprs: 0
; TotalNumVgprs: 0
; ScratchSize: 0
; MemoryBound: 0
; FloatMode: 240
; IeeeMode: 1
; LDSByteSize: 0 bytes/workgroup (compile time only)
; SGPRBlocks: 0
; VGPRBlocks: 0
; NumSGPRsForWavesPerEU: 6
; NumVGPRsForWavesPerEU: 1
; AccumOffset: 4
; Occupancy: 8
; WaveLimiterHint : 0
; COMPUTE_PGM_RSRC2:SCRATCH_EN: 0
; COMPUTE_PGM_RSRC2:USER_SGPR: 2
; COMPUTE_PGM_RSRC2:TRAP_HANDLER: 0
; COMPUTE_PGM_RSRC2:TGID_X_EN: 1
; COMPUTE_PGM_RSRC2:TGID_Y_EN: 0
; COMPUTE_PGM_RSRC2:TGID_Z_EN: 0
; COMPUTE_PGM_RSRC2:TIDIG_COMP_CNT: 0
; COMPUTE_PGM_RSRC3_GFX90A:ACCUM_OFFSET: 0
; COMPUTE_PGM_RSRC3_GFX90A:TG_SPLIT: 0
	.section	.text._ZN7rocprim17ROCPRIM_400000_NS6detail17trampoline_kernelINS0_14default_configENS1_25partition_config_selectorILNS1_17partition_subalgoE8ElNS0_10empty_typeEbEEZZNS1_14partition_implILS5_8ELb0ES3_jPlPS6_PKS6_NS0_5tupleIJS9_S6_EEENSD_IJSA_SA_EEENS0_18inequality_wrapperIZN2at6native12_GLOBAL__N_124unique_dim_cuda_templateIaEESt5tupleIJNSH_6TensorESM_SM_EERKSM_lbbbEUlllE0_EEPmJS6_EEE10hipError_tPvRmT3_T4_T5_T6_T7_T9_mT8_P12ihipStream_tbDpT10_ENKUlT_T0_E_clISt17integral_constantIbLb1EES1C_EEDaS17_S18_EUlS17_E_NS1_11comp_targetILNS1_3genE9ELNS1_11target_archE1100ELNS1_3gpuE3ELNS1_3repE0EEENS1_30default_config_static_selectorELNS0_4arch9wavefront6targetE1EEEvT1_,"axG",@progbits,_ZN7rocprim17ROCPRIM_400000_NS6detail17trampoline_kernelINS0_14default_configENS1_25partition_config_selectorILNS1_17partition_subalgoE8ElNS0_10empty_typeEbEEZZNS1_14partition_implILS5_8ELb0ES3_jPlPS6_PKS6_NS0_5tupleIJS9_S6_EEENSD_IJSA_SA_EEENS0_18inequality_wrapperIZN2at6native12_GLOBAL__N_124unique_dim_cuda_templateIaEESt5tupleIJNSH_6TensorESM_SM_EERKSM_lbbbEUlllE0_EEPmJS6_EEE10hipError_tPvRmT3_T4_T5_T6_T7_T9_mT8_P12ihipStream_tbDpT10_ENKUlT_T0_E_clISt17integral_constantIbLb1EES1C_EEDaS17_S18_EUlS17_E_NS1_11comp_targetILNS1_3genE9ELNS1_11target_archE1100ELNS1_3gpuE3ELNS1_3repE0EEENS1_30default_config_static_selectorELNS0_4arch9wavefront6targetE1EEEvT1_,comdat
	.globl	_ZN7rocprim17ROCPRIM_400000_NS6detail17trampoline_kernelINS0_14default_configENS1_25partition_config_selectorILNS1_17partition_subalgoE8ElNS0_10empty_typeEbEEZZNS1_14partition_implILS5_8ELb0ES3_jPlPS6_PKS6_NS0_5tupleIJS9_S6_EEENSD_IJSA_SA_EEENS0_18inequality_wrapperIZN2at6native12_GLOBAL__N_124unique_dim_cuda_templateIaEESt5tupleIJNSH_6TensorESM_SM_EERKSM_lbbbEUlllE0_EEPmJS6_EEE10hipError_tPvRmT3_T4_T5_T6_T7_T9_mT8_P12ihipStream_tbDpT10_ENKUlT_T0_E_clISt17integral_constantIbLb1EES1C_EEDaS17_S18_EUlS17_E_NS1_11comp_targetILNS1_3genE9ELNS1_11target_archE1100ELNS1_3gpuE3ELNS1_3repE0EEENS1_30default_config_static_selectorELNS0_4arch9wavefront6targetE1EEEvT1_ ; -- Begin function _ZN7rocprim17ROCPRIM_400000_NS6detail17trampoline_kernelINS0_14default_configENS1_25partition_config_selectorILNS1_17partition_subalgoE8ElNS0_10empty_typeEbEEZZNS1_14partition_implILS5_8ELb0ES3_jPlPS6_PKS6_NS0_5tupleIJS9_S6_EEENSD_IJSA_SA_EEENS0_18inequality_wrapperIZN2at6native12_GLOBAL__N_124unique_dim_cuda_templateIaEESt5tupleIJNSH_6TensorESM_SM_EERKSM_lbbbEUlllE0_EEPmJS6_EEE10hipError_tPvRmT3_T4_T5_T6_T7_T9_mT8_P12ihipStream_tbDpT10_ENKUlT_T0_E_clISt17integral_constantIbLb1EES1C_EEDaS17_S18_EUlS17_E_NS1_11comp_targetILNS1_3genE9ELNS1_11target_archE1100ELNS1_3gpuE3ELNS1_3repE0EEENS1_30default_config_static_selectorELNS0_4arch9wavefront6targetE1EEEvT1_
	.p2align	8
	.type	_ZN7rocprim17ROCPRIM_400000_NS6detail17trampoline_kernelINS0_14default_configENS1_25partition_config_selectorILNS1_17partition_subalgoE8ElNS0_10empty_typeEbEEZZNS1_14partition_implILS5_8ELb0ES3_jPlPS6_PKS6_NS0_5tupleIJS9_S6_EEENSD_IJSA_SA_EEENS0_18inequality_wrapperIZN2at6native12_GLOBAL__N_124unique_dim_cuda_templateIaEESt5tupleIJNSH_6TensorESM_SM_EERKSM_lbbbEUlllE0_EEPmJS6_EEE10hipError_tPvRmT3_T4_T5_T6_T7_T9_mT8_P12ihipStream_tbDpT10_ENKUlT_T0_E_clISt17integral_constantIbLb1EES1C_EEDaS17_S18_EUlS17_E_NS1_11comp_targetILNS1_3genE9ELNS1_11target_archE1100ELNS1_3gpuE3ELNS1_3repE0EEENS1_30default_config_static_selectorELNS0_4arch9wavefront6targetE1EEEvT1_,@function
_ZN7rocprim17ROCPRIM_400000_NS6detail17trampoline_kernelINS0_14default_configENS1_25partition_config_selectorILNS1_17partition_subalgoE8ElNS0_10empty_typeEbEEZZNS1_14partition_implILS5_8ELb0ES3_jPlPS6_PKS6_NS0_5tupleIJS9_S6_EEENSD_IJSA_SA_EEENS0_18inequality_wrapperIZN2at6native12_GLOBAL__N_124unique_dim_cuda_templateIaEESt5tupleIJNSH_6TensorESM_SM_EERKSM_lbbbEUlllE0_EEPmJS6_EEE10hipError_tPvRmT3_T4_T5_T6_T7_T9_mT8_P12ihipStream_tbDpT10_ENKUlT_T0_E_clISt17integral_constantIbLb1EES1C_EEDaS17_S18_EUlS17_E_NS1_11comp_targetILNS1_3genE9ELNS1_11target_archE1100ELNS1_3gpuE3ELNS1_3repE0EEENS1_30default_config_static_selectorELNS0_4arch9wavefront6targetE1EEEvT1_: ; @_ZN7rocprim17ROCPRIM_400000_NS6detail17trampoline_kernelINS0_14default_configENS1_25partition_config_selectorILNS1_17partition_subalgoE8ElNS0_10empty_typeEbEEZZNS1_14partition_implILS5_8ELb0ES3_jPlPS6_PKS6_NS0_5tupleIJS9_S6_EEENSD_IJSA_SA_EEENS0_18inequality_wrapperIZN2at6native12_GLOBAL__N_124unique_dim_cuda_templateIaEESt5tupleIJNSH_6TensorESM_SM_EERKSM_lbbbEUlllE0_EEPmJS6_EEE10hipError_tPvRmT3_T4_T5_T6_T7_T9_mT8_P12ihipStream_tbDpT10_ENKUlT_T0_E_clISt17integral_constantIbLb1EES1C_EEDaS17_S18_EUlS17_E_NS1_11comp_targetILNS1_3genE9ELNS1_11target_archE1100ELNS1_3gpuE3ELNS1_3repE0EEENS1_30default_config_static_selectorELNS0_4arch9wavefront6targetE1EEEvT1_
; %bb.0:
	.section	.rodata,"a",@progbits
	.p2align	6, 0x0
	.amdhsa_kernel _ZN7rocprim17ROCPRIM_400000_NS6detail17trampoline_kernelINS0_14default_configENS1_25partition_config_selectorILNS1_17partition_subalgoE8ElNS0_10empty_typeEbEEZZNS1_14partition_implILS5_8ELb0ES3_jPlPS6_PKS6_NS0_5tupleIJS9_S6_EEENSD_IJSA_SA_EEENS0_18inequality_wrapperIZN2at6native12_GLOBAL__N_124unique_dim_cuda_templateIaEESt5tupleIJNSH_6TensorESM_SM_EERKSM_lbbbEUlllE0_EEPmJS6_EEE10hipError_tPvRmT3_T4_T5_T6_T7_T9_mT8_P12ihipStream_tbDpT10_ENKUlT_T0_E_clISt17integral_constantIbLb1EES1C_EEDaS17_S18_EUlS17_E_NS1_11comp_targetILNS1_3genE9ELNS1_11target_archE1100ELNS1_3gpuE3ELNS1_3repE0EEENS1_30default_config_static_selectorELNS0_4arch9wavefront6targetE1EEEvT1_
		.amdhsa_group_segment_fixed_size 0
		.amdhsa_private_segment_fixed_size 0
		.amdhsa_kernarg_size 136
		.amdhsa_user_sgpr_count 2
		.amdhsa_user_sgpr_dispatch_ptr 0
		.amdhsa_user_sgpr_queue_ptr 0
		.amdhsa_user_sgpr_kernarg_segment_ptr 1
		.amdhsa_user_sgpr_dispatch_id 0
		.amdhsa_user_sgpr_kernarg_preload_length 0
		.amdhsa_user_sgpr_kernarg_preload_offset 0
		.amdhsa_user_sgpr_private_segment_size 0
		.amdhsa_uses_dynamic_stack 0
		.amdhsa_enable_private_segment 0
		.amdhsa_system_sgpr_workgroup_id_x 1
		.amdhsa_system_sgpr_workgroup_id_y 0
		.amdhsa_system_sgpr_workgroup_id_z 0
		.amdhsa_system_sgpr_workgroup_info 0
		.amdhsa_system_vgpr_workitem_id 0
		.amdhsa_next_free_vgpr 1
		.amdhsa_next_free_sgpr 0
		.amdhsa_accum_offset 4
		.amdhsa_reserve_vcc 0
		.amdhsa_float_round_mode_32 0
		.amdhsa_float_round_mode_16_64 0
		.amdhsa_float_denorm_mode_32 3
		.amdhsa_float_denorm_mode_16_64 3
		.amdhsa_dx10_clamp 1
		.amdhsa_ieee_mode 1
		.amdhsa_fp16_overflow 0
		.amdhsa_tg_split 0
		.amdhsa_exception_fp_ieee_invalid_op 0
		.amdhsa_exception_fp_denorm_src 0
		.amdhsa_exception_fp_ieee_div_zero 0
		.amdhsa_exception_fp_ieee_overflow 0
		.amdhsa_exception_fp_ieee_underflow 0
		.amdhsa_exception_fp_ieee_inexact 0
		.amdhsa_exception_int_div_zero 0
	.end_amdhsa_kernel
	.section	.text._ZN7rocprim17ROCPRIM_400000_NS6detail17trampoline_kernelINS0_14default_configENS1_25partition_config_selectorILNS1_17partition_subalgoE8ElNS0_10empty_typeEbEEZZNS1_14partition_implILS5_8ELb0ES3_jPlPS6_PKS6_NS0_5tupleIJS9_S6_EEENSD_IJSA_SA_EEENS0_18inequality_wrapperIZN2at6native12_GLOBAL__N_124unique_dim_cuda_templateIaEESt5tupleIJNSH_6TensorESM_SM_EERKSM_lbbbEUlllE0_EEPmJS6_EEE10hipError_tPvRmT3_T4_T5_T6_T7_T9_mT8_P12ihipStream_tbDpT10_ENKUlT_T0_E_clISt17integral_constantIbLb1EES1C_EEDaS17_S18_EUlS17_E_NS1_11comp_targetILNS1_3genE9ELNS1_11target_archE1100ELNS1_3gpuE3ELNS1_3repE0EEENS1_30default_config_static_selectorELNS0_4arch9wavefront6targetE1EEEvT1_,"axG",@progbits,_ZN7rocprim17ROCPRIM_400000_NS6detail17trampoline_kernelINS0_14default_configENS1_25partition_config_selectorILNS1_17partition_subalgoE8ElNS0_10empty_typeEbEEZZNS1_14partition_implILS5_8ELb0ES3_jPlPS6_PKS6_NS0_5tupleIJS9_S6_EEENSD_IJSA_SA_EEENS0_18inequality_wrapperIZN2at6native12_GLOBAL__N_124unique_dim_cuda_templateIaEESt5tupleIJNSH_6TensorESM_SM_EERKSM_lbbbEUlllE0_EEPmJS6_EEE10hipError_tPvRmT3_T4_T5_T6_T7_T9_mT8_P12ihipStream_tbDpT10_ENKUlT_T0_E_clISt17integral_constantIbLb1EES1C_EEDaS17_S18_EUlS17_E_NS1_11comp_targetILNS1_3genE9ELNS1_11target_archE1100ELNS1_3gpuE3ELNS1_3repE0EEENS1_30default_config_static_selectorELNS0_4arch9wavefront6targetE1EEEvT1_,comdat
.Lfunc_end335:
	.size	_ZN7rocprim17ROCPRIM_400000_NS6detail17trampoline_kernelINS0_14default_configENS1_25partition_config_selectorILNS1_17partition_subalgoE8ElNS0_10empty_typeEbEEZZNS1_14partition_implILS5_8ELb0ES3_jPlPS6_PKS6_NS0_5tupleIJS9_S6_EEENSD_IJSA_SA_EEENS0_18inequality_wrapperIZN2at6native12_GLOBAL__N_124unique_dim_cuda_templateIaEESt5tupleIJNSH_6TensorESM_SM_EERKSM_lbbbEUlllE0_EEPmJS6_EEE10hipError_tPvRmT3_T4_T5_T6_T7_T9_mT8_P12ihipStream_tbDpT10_ENKUlT_T0_E_clISt17integral_constantIbLb1EES1C_EEDaS17_S18_EUlS17_E_NS1_11comp_targetILNS1_3genE9ELNS1_11target_archE1100ELNS1_3gpuE3ELNS1_3repE0EEENS1_30default_config_static_selectorELNS0_4arch9wavefront6targetE1EEEvT1_, .Lfunc_end335-_ZN7rocprim17ROCPRIM_400000_NS6detail17trampoline_kernelINS0_14default_configENS1_25partition_config_selectorILNS1_17partition_subalgoE8ElNS0_10empty_typeEbEEZZNS1_14partition_implILS5_8ELb0ES3_jPlPS6_PKS6_NS0_5tupleIJS9_S6_EEENSD_IJSA_SA_EEENS0_18inequality_wrapperIZN2at6native12_GLOBAL__N_124unique_dim_cuda_templateIaEESt5tupleIJNSH_6TensorESM_SM_EERKSM_lbbbEUlllE0_EEPmJS6_EEE10hipError_tPvRmT3_T4_T5_T6_T7_T9_mT8_P12ihipStream_tbDpT10_ENKUlT_T0_E_clISt17integral_constantIbLb1EES1C_EEDaS17_S18_EUlS17_E_NS1_11comp_targetILNS1_3genE9ELNS1_11target_archE1100ELNS1_3gpuE3ELNS1_3repE0EEENS1_30default_config_static_selectorELNS0_4arch9wavefront6targetE1EEEvT1_
                                        ; -- End function
	.section	.AMDGPU.csdata,"",@progbits
; Kernel info:
; codeLenInByte = 0
; NumSgprs: 6
; NumVgprs: 0
; NumAgprs: 0
; TotalNumVgprs: 0
; ScratchSize: 0
; MemoryBound: 0
; FloatMode: 240
; IeeeMode: 1
; LDSByteSize: 0 bytes/workgroup (compile time only)
; SGPRBlocks: 0
; VGPRBlocks: 0
; NumSGPRsForWavesPerEU: 6
; NumVGPRsForWavesPerEU: 1
; AccumOffset: 4
; Occupancy: 8
; WaveLimiterHint : 0
; COMPUTE_PGM_RSRC2:SCRATCH_EN: 0
; COMPUTE_PGM_RSRC2:USER_SGPR: 2
; COMPUTE_PGM_RSRC2:TRAP_HANDLER: 0
; COMPUTE_PGM_RSRC2:TGID_X_EN: 1
; COMPUTE_PGM_RSRC2:TGID_Y_EN: 0
; COMPUTE_PGM_RSRC2:TGID_Z_EN: 0
; COMPUTE_PGM_RSRC2:TIDIG_COMP_CNT: 0
; COMPUTE_PGM_RSRC3_GFX90A:ACCUM_OFFSET: 0
; COMPUTE_PGM_RSRC3_GFX90A:TG_SPLIT: 0
	.section	.text._ZN7rocprim17ROCPRIM_400000_NS6detail17trampoline_kernelINS0_14default_configENS1_25partition_config_selectorILNS1_17partition_subalgoE8ElNS0_10empty_typeEbEEZZNS1_14partition_implILS5_8ELb0ES3_jPlPS6_PKS6_NS0_5tupleIJS9_S6_EEENSD_IJSA_SA_EEENS0_18inequality_wrapperIZN2at6native12_GLOBAL__N_124unique_dim_cuda_templateIaEESt5tupleIJNSH_6TensorESM_SM_EERKSM_lbbbEUlllE0_EEPmJS6_EEE10hipError_tPvRmT3_T4_T5_T6_T7_T9_mT8_P12ihipStream_tbDpT10_ENKUlT_T0_E_clISt17integral_constantIbLb1EES1C_EEDaS17_S18_EUlS17_E_NS1_11comp_targetILNS1_3genE8ELNS1_11target_archE1030ELNS1_3gpuE2ELNS1_3repE0EEENS1_30default_config_static_selectorELNS0_4arch9wavefront6targetE1EEEvT1_,"axG",@progbits,_ZN7rocprim17ROCPRIM_400000_NS6detail17trampoline_kernelINS0_14default_configENS1_25partition_config_selectorILNS1_17partition_subalgoE8ElNS0_10empty_typeEbEEZZNS1_14partition_implILS5_8ELb0ES3_jPlPS6_PKS6_NS0_5tupleIJS9_S6_EEENSD_IJSA_SA_EEENS0_18inequality_wrapperIZN2at6native12_GLOBAL__N_124unique_dim_cuda_templateIaEESt5tupleIJNSH_6TensorESM_SM_EERKSM_lbbbEUlllE0_EEPmJS6_EEE10hipError_tPvRmT3_T4_T5_T6_T7_T9_mT8_P12ihipStream_tbDpT10_ENKUlT_T0_E_clISt17integral_constantIbLb1EES1C_EEDaS17_S18_EUlS17_E_NS1_11comp_targetILNS1_3genE8ELNS1_11target_archE1030ELNS1_3gpuE2ELNS1_3repE0EEENS1_30default_config_static_selectorELNS0_4arch9wavefront6targetE1EEEvT1_,comdat
	.globl	_ZN7rocprim17ROCPRIM_400000_NS6detail17trampoline_kernelINS0_14default_configENS1_25partition_config_selectorILNS1_17partition_subalgoE8ElNS0_10empty_typeEbEEZZNS1_14partition_implILS5_8ELb0ES3_jPlPS6_PKS6_NS0_5tupleIJS9_S6_EEENSD_IJSA_SA_EEENS0_18inequality_wrapperIZN2at6native12_GLOBAL__N_124unique_dim_cuda_templateIaEESt5tupleIJNSH_6TensorESM_SM_EERKSM_lbbbEUlllE0_EEPmJS6_EEE10hipError_tPvRmT3_T4_T5_T6_T7_T9_mT8_P12ihipStream_tbDpT10_ENKUlT_T0_E_clISt17integral_constantIbLb1EES1C_EEDaS17_S18_EUlS17_E_NS1_11comp_targetILNS1_3genE8ELNS1_11target_archE1030ELNS1_3gpuE2ELNS1_3repE0EEENS1_30default_config_static_selectorELNS0_4arch9wavefront6targetE1EEEvT1_ ; -- Begin function _ZN7rocprim17ROCPRIM_400000_NS6detail17trampoline_kernelINS0_14default_configENS1_25partition_config_selectorILNS1_17partition_subalgoE8ElNS0_10empty_typeEbEEZZNS1_14partition_implILS5_8ELb0ES3_jPlPS6_PKS6_NS0_5tupleIJS9_S6_EEENSD_IJSA_SA_EEENS0_18inequality_wrapperIZN2at6native12_GLOBAL__N_124unique_dim_cuda_templateIaEESt5tupleIJNSH_6TensorESM_SM_EERKSM_lbbbEUlllE0_EEPmJS6_EEE10hipError_tPvRmT3_T4_T5_T6_T7_T9_mT8_P12ihipStream_tbDpT10_ENKUlT_T0_E_clISt17integral_constantIbLb1EES1C_EEDaS17_S18_EUlS17_E_NS1_11comp_targetILNS1_3genE8ELNS1_11target_archE1030ELNS1_3gpuE2ELNS1_3repE0EEENS1_30default_config_static_selectorELNS0_4arch9wavefront6targetE1EEEvT1_
	.p2align	8
	.type	_ZN7rocprim17ROCPRIM_400000_NS6detail17trampoline_kernelINS0_14default_configENS1_25partition_config_selectorILNS1_17partition_subalgoE8ElNS0_10empty_typeEbEEZZNS1_14partition_implILS5_8ELb0ES3_jPlPS6_PKS6_NS0_5tupleIJS9_S6_EEENSD_IJSA_SA_EEENS0_18inequality_wrapperIZN2at6native12_GLOBAL__N_124unique_dim_cuda_templateIaEESt5tupleIJNSH_6TensorESM_SM_EERKSM_lbbbEUlllE0_EEPmJS6_EEE10hipError_tPvRmT3_T4_T5_T6_T7_T9_mT8_P12ihipStream_tbDpT10_ENKUlT_T0_E_clISt17integral_constantIbLb1EES1C_EEDaS17_S18_EUlS17_E_NS1_11comp_targetILNS1_3genE8ELNS1_11target_archE1030ELNS1_3gpuE2ELNS1_3repE0EEENS1_30default_config_static_selectorELNS0_4arch9wavefront6targetE1EEEvT1_,@function
_ZN7rocprim17ROCPRIM_400000_NS6detail17trampoline_kernelINS0_14default_configENS1_25partition_config_selectorILNS1_17partition_subalgoE8ElNS0_10empty_typeEbEEZZNS1_14partition_implILS5_8ELb0ES3_jPlPS6_PKS6_NS0_5tupleIJS9_S6_EEENSD_IJSA_SA_EEENS0_18inequality_wrapperIZN2at6native12_GLOBAL__N_124unique_dim_cuda_templateIaEESt5tupleIJNSH_6TensorESM_SM_EERKSM_lbbbEUlllE0_EEPmJS6_EEE10hipError_tPvRmT3_T4_T5_T6_T7_T9_mT8_P12ihipStream_tbDpT10_ENKUlT_T0_E_clISt17integral_constantIbLb1EES1C_EEDaS17_S18_EUlS17_E_NS1_11comp_targetILNS1_3genE8ELNS1_11target_archE1030ELNS1_3gpuE2ELNS1_3repE0EEENS1_30default_config_static_selectorELNS0_4arch9wavefront6targetE1EEEvT1_: ; @_ZN7rocprim17ROCPRIM_400000_NS6detail17trampoline_kernelINS0_14default_configENS1_25partition_config_selectorILNS1_17partition_subalgoE8ElNS0_10empty_typeEbEEZZNS1_14partition_implILS5_8ELb0ES3_jPlPS6_PKS6_NS0_5tupleIJS9_S6_EEENSD_IJSA_SA_EEENS0_18inequality_wrapperIZN2at6native12_GLOBAL__N_124unique_dim_cuda_templateIaEESt5tupleIJNSH_6TensorESM_SM_EERKSM_lbbbEUlllE0_EEPmJS6_EEE10hipError_tPvRmT3_T4_T5_T6_T7_T9_mT8_P12ihipStream_tbDpT10_ENKUlT_T0_E_clISt17integral_constantIbLb1EES1C_EEDaS17_S18_EUlS17_E_NS1_11comp_targetILNS1_3genE8ELNS1_11target_archE1030ELNS1_3gpuE2ELNS1_3repE0EEENS1_30default_config_static_selectorELNS0_4arch9wavefront6targetE1EEEvT1_
; %bb.0:
	.section	.rodata,"a",@progbits
	.p2align	6, 0x0
	.amdhsa_kernel _ZN7rocprim17ROCPRIM_400000_NS6detail17trampoline_kernelINS0_14default_configENS1_25partition_config_selectorILNS1_17partition_subalgoE8ElNS0_10empty_typeEbEEZZNS1_14partition_implILS5_8ELb0ES3_jPlPS6_PKS6_NS0_5tupleIJS9_S6_EEENSD_IJSA_SA_EEENS0_18inequality_wrapperIZN2at6native12_GLOBAL__N_124unique_dim_cuda_templateIaEESt5tupleIJNSH_6TensorESM_SM_EERKSM_lbbbEUlllE0_EEPmJS6_EEE10hipError_tPvRmT3_T4_T5_T6_T7_T9_mT8_P12ihipStream_tbDpT10_ENKUlT_T0_E_clISt17integral_constantIbLb1EES1C_EEDaS17_S18_EUlS17_E_NS1_11comp_targetILNS1_3genE8ELNS1_11target_archE1030ELNS1_3gpuE2ELNS1_3repE0EEENS1_30default_config_static_selectorELNS0_4arch9wavefront6targetE1EEEvT1_
		.amdhsa_group_segment_fixed_size 0
		.amdhsa_private_segment_fixed_size 0
		.amdhsa_kernarg_size 136
		.amdhsa_user_sgpr_count 2
		.amdhsa_user_sgpr_dispatch_ptr 0
		.amdhsa_user_sgpr_queue_ptr 0
		.amdhsa_user_sgpr_kernarg_segment_ptr 1
		.amdhsa_user_sgpr_dispatch_id 0
		.amdhsa_user_sgpr_kernarg_preload_length 0
		.amdhsa_user_sgpr_kernarg_preload_offset 0
		.amdhsa_user_sgpr_private_segment_size 0
		.amdhsa_uses_dynamic_stack 0
		.amdhsa_enable_private_segment 0
		.amdhsa_system_sgpr_workgroup_id_x 1
		.amdhsa_system_sgpr_workgroup_id_y 0
		.amdhsa_system_sgpr_workgroup_id_z 0
		.amdhsa_system_sgpr_workgroup_info 0
		.amdhsa_system_vgpr_workitem_id 0
		.amdhsa_next_free_vgpr 1
		.amdhsa_next_free_sgpr 0
		.amdhsa_accum_offset 4
		.amdhsa_reserve_vcc 0
		.amdhsa_float_round_mode_32 0
		.amdhsa_float_round_mode_16_64 0
		.amdhsa_float_denorm_mode_32 3
		.amdhsa_float_denorm_mode_16_64 3
		.amdhsa_dx10_clamp 1
		.amdhsa_ieee_mode 1
		.amdhsa_fp16_overflow 0
		.amdhsa_tg_split 0
		.amdhsa_exception_fp_ieee_invalid_op 0
		.amdhsa_exception_fp_denorm_src 0
		.amdhsa_exception_fp_ieee_div_zero 0
		.amdhsa_exception_fp_ieee_overflow 0
		.amdhsa_exception_fp_ieee_underflow 0
		.amdhsa_exception_fp_ieee_inexact 0
		.amdhsa_exception_int_div_zero 0
	.end_amdhsa_kernel
	.section	.text._ZN7rocprim17ROCPRIM_400000_NS6detail17trampoline_kernelINS0_14default_configENS1_25partition_config_selectorILNS1_17partition_subalgoE8ElNS0_10empty_typeEbEEZZNS1_14partition_implILS5_8ELb0ES3_jPlPS6_PKS6_NS0_5tupleIJS9_S6_EEENSD_IJSA_SA_EEENS0_18inequality_wrapperIZN2at6native12_GLOBAL__N_124unique_dim_cuda_templateIaEESt5tupleIJNSH_6TensorESM_SM_EERKSM_lbbbEUlllE0_EEPmJS6_EEE10hipError_tPvRmT3_T4_T5_T6_T7_T9_mT8_P12ihipStream_tbDpT10_ENKUlT_T0_E_clISt17integral_constantIbLb1EES1C_EEDaS17_S18_EUlS17_E_NS1_11comp_targetILNS1_3genE8ELNS1_11target_archE1030ELNS1_3gpuE2ELNS1_3repE0EEENS1_30default_config_static_selectorELNS0_4arch9wavefront6targetE1EEEvT1_,"axG",@progbits,_ZN7rocprim17ROCPRIM_400000_NS6detail17trampoline_kernelINS0_14default_configENS1_25partition_config_selectorILNS1_17partition_subalgoE8ElNS0_10empty_typeEbEEZZNS1_14partition_implILS5_8ELb0ES3_jPlPS6_PKS6_NS0_5tupleIJS9_S6_EEENSD_IJSA_SA_EEENS0_18inequality_wrapperIZN2at6native12_GLOBAL__N_124unique_dim_cuda_templateIaEESt5tupleIJNSH_6TensorESM_SM_EERKSM_lbbbEUlllE0_EEPmJS6_EEE10hipError_tPvRmT3_T4_T5_T6_T7_T9_mT8_P12ihipStream_tbDpT10_ENKUlT_T0_E_clISt17integral_constantIbLb1EES1C_EEDaS17_S18_EUlS17_E_NS1_11comp_targetILNS1_3genE8ELNS1_11target_archE1030ELNS1_3gpuE2ELNS1_3repE0EEENS1_30default_config_static_selectorELNS0_4arch9wavefront6targetE1EEEvT1_,comdat
.Lfunc_end336:
	.size	_ZN7rocprim17ROCPRIM_400000_NS6detail17trampoline_kernelINS0_14default_configENS1_25partition_config_selectorILNS1_17partition_subalgoE8ElNS0_10empty_typeEbEEZZNS1_14partition_implILS5_8ELb0ES3_jPlPS6_PKS6_NS0_5tupleIJS9_S6_EEENSD_IJSA_SA_EEENS0_18inequality_wrapperIZN2at6native12_GLOBAL__N_124unique_dim_cuda_templateIaEESt5tupleIJNSH_6TensorESM_SM_EERKSM_lbbbEUlllE0_EEPmJS6_EEE10hipError_tPvRmT3_T4_T5_T6_T7_T9_mT8_P12ihipStream_tbDpT10_ENKUlT_T0_E_clISt17integral_constantIbLb1EES1C_EEDaS17_S18_EUlS17_E_NS1_11comp_targetILNS1_3genE8ELNS1_11target_archE1030ELNS1_3gpuE2ELNS1_3repE0EEENS1_30default_config_static_selectorELNS0_4arch9wavefront6targetE1EEEvT1_, .Lfunc_end336-_ZN7rocprim17ROCPRIM_400000_NS6detail17trampoline_kernelINS0_14default_configENS1_25partition_config_selectorILNS1_17partition_subalgoE8ElNS0_10empty_typeEbEEZZNS1_14partition_implILS5_8ELb0ES3_jPlPS6_PKS6_NS0_5tupleIJS9_S6_EEENSD_IJSA_SA_EEENS0_18inequality_wrapperIZN2at6native12_GLOBAL__N_124unique_dim_cuda_templateIaEESt5tupleIJNSH_6TensorESM_SM_EERKSM_lbbbEUlllE0_EEPmJS6_EEE10hipError_tPvRmT3_T4_T5_T6_T7_T9_mT8_P12ihipStream_tbDpT10_ENKUlT_T0_E_clISt17integral_constantIbLb1EES1C_EEDaS17_S18_EUlS17_E_NS1_11comp_targetILNS1_3genE8ELNS1_11target_archE1030ELNS1_3gpuE2ELNS1_3repE0EEENS1_30default_config_static_selectorELNS0_4arch9wavefront6targetE1EEEvT1_
                                        ; -- End function
	.section	.AMDGPU.csdata,"",@progbits
; Kernel info:
; codeLenInByte = 0
; NumSgprs: 6
; NumVgprs: 0
; NumAgprs: 0
; TotalNumVgprs: 0
; ScratchSize: 0
; MemoryBound: 0
; FloatMode: 240
; IeeeMode: 1
; LDSByteSize: 0 bytes/workgroup (compile time only)
; SGPRBlocks: 0
; VGPRBlocks: 0
; NumSGPRsForWavesPerEU: 6
; NumVGPRsForWavesPerEU: 1
; AccumOffset: 4
; Occupancy: 8
; WaveLimiterHint : 0
; COMPUTE_PGM_RSRC2:SCRATCH_EN: 0
; COMPUTE_PGM_RSRC2:USER_SGPR: 2
; COMPUTE_PGM_RSRC2:TRAP_HANDLER: 0
; COMPUTE_PGM_RSRC2:TGID_X_EN: 1
; COMPUTE_PGM_RSRC2:TGID_Y_EN: 0
; COMPUTE_PGM_RSRC2:TGID_Z_EN: 0
; COMPUTE_PGM_RSRC2:TIDIG_COMP_CNT: 0
; COMPUTE_PGM_RSRC3_GFX90A:ACCUM_OFFSET: 0
; COMPUTE_PGM_RSRC3_GFX90A:TG_SPLIT: 0
	.section	.text._ZN7rocprim17ROCPRIM_400000_NS6detail17trampoline_kernelINS0_14default_configENS1_25partition_config_selectorILNS1_17partition_subalgoE8ElNS0_10empty_typeEbEEZZNS1_14partition_implILS5_8ELb0ES3_jPlPS6_PKS6_NS0_5tupleIJS9_S6_EEENSD_IJSA_SA_EEENS0_18inequality_wrapperIZN2at6native12_GLOBAL__N_124unique_dim_cuda_templateIaEESt5tupleIJNSH_6TensorESM_SM_EERKSM_lbbbEUlllE0_EEPmJS6_EEE10hipError_tPvRmT3_T4_T5_T6_T7_T9_mT8_P12ihipStream_tbDpT10_ENKUlT_T0_E_clISt17integral_constantIbLb1EES1B_IbLb0EEEEDaS17_S18_EUlS17_E_NS1_11comp_targetILNS1_3genE0ELNS1_11target_archE4294967295ELNS1_3gpuE0ELNS1_3repE0EEENS1_30default_config_static_selectorELNS0_4arch9wavefront6targetE1EEEvT1_,"axG",@progbits,_ZN7rocprim17ROCPRIM_400000_NS6detail17trampoline_kernelINS0_14default_configENS1_25partition_config_selectorILNS1_17partition_subalgoE8ElNS0_10empty_typeEbEEZZNS1_14partition_implILS5_8ELb0ES3_jPlPS6_PKS6_NS0_5tupleIJS9_S6_EEENSD_IJSA_SA_EEENS0_18inequality_wrapperIZN2at6native12_GLOBAL__N_124unique_dim_cuda_templateIaEESt5tupleIJNSH_6TensorESM_SM_EERKSM_lbbbEUlllE0_EEPmJS6_EEE10hipError_tPvRmT3_T4_T5_T6_T7_T9_mT8_P12ihipStream_tbDpT10_ENKUlT_T0_E_clISt17integral_constantIbLb1EES1B_IbLb0EEEEDaS17_S18_EUlS17_E_NS1_11comp_targetILNS1_3genE0ELNS1_11target_archE4294967295ELNS1_3gpuE0ELNS1_3repE0EEENS1_30default_config_static_selectorELNS0_4arch9wavefront6targetE1EEEvT1_,comdat
	.globl	_ZN7rocprim17ROCPRIM_400000_NS6detail17trampoline_kernelINS0_14default_configENS1_25partition_config_selectorILNS1_17partition_subalgoE8ElNS0_10empty_typeEbEEZZNS1_14partition_implILS5_8ELb0ES3_jPlPS6_PKS6_NS0_5tupleIJS9_S6_EEENSD_IJSA_SA_EEENS0_18inequality_wrapperIZN2at6native12_GLOBAL__N_124unique_dim_cuda_templateIaEESt5tupleIJNSH_6TensorESM_SM_EERKSM_lbbbEUlllE0_EEPmJS6_EEE10hipError_tPvRmT3_T4_T5_T6_T7_T9_mT8_P12ihipStream_tbDpT10_ENKUlT_T0_E_clISt17integral_constantIbLb1EES1B_IbLb0EEEEDaS17_S18_EUlS17_E_NS1_11comp_targetILNS1_3genE0ELNS1_11target_archE4294967295ELNS1_3gpuE0ELNS1_3repE0EEENS1_30default_config_static_selectorELNS0_4arch9wavefront6targetE1EEEvT1_ ; -- Begin function _ZN7rocprim17ROCPRIM_400000_NS6detail17trampoline_kernelINS0_14default_configENS1_25partition_config_selectorILNS1_17partition_subalgoE8ElNS0_10empty_typeEbEEZZNS1_14partition_implILS5_8ELb0ES3_jPlPS6_PKS6_NS0_5tupleIJS9_S6_EEENSD_IJSA_SA_EEENS0_18inequality_wrapperIZN2at6native12_GLOBAL__N_124unique_dim_cuda_templateIaEESt5tupleIJNSH_6TensorESM_SM_EERKSM_lbbbEUlllE0_EEPmJS6_EEE10hipError_tPvRmT3_T4_T5_T6_T7_T9_mT8_P12ihipStream_tbDpT10_ENKUlT_T0_E_clISt17integral_constantIbLb1EES1B_IbLb0EEEEDaS17_S18_EUlS17_E_NS1_11comp_targetILNS1_3genE0ELNS1_11target_archE4294967295ELNS1_3gpuE0ELNS1_3repE0EEENS1_30default_config_static_selectorELNS0_4arch9wavefront6targetE1EEEvT1_
	.p2align	8
	.type	_ZN7rocprim17ROCPRIM_400000_NS6detail17trampoline_kernelINS0_14default_configENS1_25partition_config_selectorILNS1_17partition_subalgoE8ElNS0_10empty_typeEbEEZZNS1_14partition_implILS5_8ELb0ES3_jPlPS6_PKS6_NS0_5tupleIJS9_S6_EEENSD_IJSA_SA_EEENS0_18inequality_wrapperIZN2at6native12_GLOBAL__N_124unique_dim_cuda_templateIaEESt5tupleIJNSH_6TensorESM_SM_EERKSM_lbbbEUlllE0_EEPmJS6_EEE10hipError_tPvRmT3_T4_T5_T6_T7_T9_mT8_P12ihipStream_tbDpT10_ENKUlT_T0_E_clISt17integral_constantIbLb1EES1B_IbLb0EEEEDaS17_S18_EUlS17_E_NS1_11comp_targetILNS1_3genE0ELNS1_11target_archE4294967295ELNS1_3gpuE0ELNS1_3repE0EEENS1_30default_config_static_selectorELNS0_4arch9wavefront6targetE1EEEvT1_,@function
_ZN7rocprim17ROCPRIM_400000_NS6detail17trampoline_kernelINS0_14default_configENS1_25partition_config_selectorILNS1_17partition_subalgoE8ElNS0_10empty_typeEbEEZZNS1_14partition_implILS5_8ELb0ES3_jPlPS6_PKS6_NS0_5tupleIJS9_S6_EEENSD_IJSA_SA_EEENS0_18inequality_wrapperIZN2at6native12_GLOBAL__N_124unique_dim_cuda_templateIaEESt5tupleIJNSH_6TensorESM_SM_EERKSM_lbbbEUlllE0_EEPmJS6_EEE10hipError_tPvRmT3_T4_T5_T6_T7_T9_mT8_P12ihipStream_tbDpT10_ENKUlT_T0_E_clISt17integral_constantIbLb1EES1B_IbLb0EEEEDaS17_S18_EUlS17_E_NS1_11comp_targetILNS1_3genE0ELNS1_11target_archE4294967295ELNS1_3gpuE0ELNS1_3repE0EEENS1_30default_config_static_selectorELNS0_4arch9wavefront6targetE1EEEvT1_: ; @_ZN7rocprim17ROCPRIM_400000_NS6detail17trampoline_kernelINS0_14default_configENS1_25partition_config_selectorILNS1_17partition_subalgoE8ElNS0_10empty_typeEbEEZZNS1_14partition_implILS5_8ELb0ES3_jPlPS6_PKS6_NS0_5tupleIJS9_S6_EEENSD_IJSA_SA_EEENS0_18inequality_wrapperIZN2at6native12_GLOBAL__N_124unique_dim_cuda_templateIaEESt5tupleIJNSH_6TensorESM_SM_EERKSM_lbbbEUlllE0_EEPmJS6_EEE10hipError_tPvRmT3_T4_T5_T6_T7_T9_mT8_P12ihipStream_tbDpT10_ENKUlT_T0_E_clISt17integral_constantIbLb1EES1B_IbLb0EEEEDaS17_S18_EUlS17_E_NS1_11comp_targetILNS1_3genE0ELNS1_11target_archE4294967295ELNS1_3gpuE0ELNS1_3repE0EEENS1_30default_config_static_selectorELNS0_4arch9wavefront6targetE1EEEvT1_
; %bb.0:
	.section	.rodata,"a",@progbits
	.p2align	6, 0x0
	.amdhsa_kernel _ZN7rocprim17ROCPRIM_400000_NS6detail17trampoline_kernelINS0_14default_configENS1_25partition_config_selectorILNS1_17partition_subalgoE8ElNS0_10empty_typeEbEEZZNS1_14partition_implILS5_8ELb0ES3_jPlPS6_PKS6_NS0_5tupleIJS9_S6_EEENSD_IJSA_SA_EEENS0_18inequality_wrapperIZN2at6native12_GLOBAL__N_124unique_dim_cuda_templateIaEESt5tupleIJNSH_6TensorESM_SM_EERKSM_lbbbEUlllE0_EEPmJS6_EEE10hipError_tPvRmT3_T4_T5_T6_T7_T9_mT8_P12ihipStream_tbDpT10_ENKUlT_T0_E_clISt17integral_constantIbLb1EES1B_IbLb0EEEEDaS17_S18_EUlS17_E_NS1_11comp_targetILNS1_3genE0ELNS1_11target_archE4294967295ELNS1_3gpuE0ELNS1_3repE0EEENS1_30default_config_static_selectorELNS0_4arch9wavefront6targetE1EEEvT1_
		.amdhsa_group_segment_fixed_size 0
		.amdhsa_private_segment_fixed_size 0
		.amdhsa_kernarg_size 120
		.amdhsa_user_sgpr_count 2
		.amdhsa_user_sgpr_dispatch_ptr 0
		.amdhsa_user_sgpr_queue_ptr 0
		.amdhsa_user_sgpr_kernarg_segment_ptr 1
		.amdhsa_user_sgpr_dispatch_id 0
		.amdhsa_user_sgpr_kernarg_preload_length 0
		.amdhsa_user_sgpr_kernarg_preload_offset 0
		.amdhsa_user_sgpr_private_segment_size 0
		.amdhsa_uses_dynamic_stack 0
		.amdhsa_enable_private_segment 0
		.amdhsa_system_sgpr_workgroup_id_x 1
		.amdhsa_system_sgpr_workgroup_id_y 0
		.amdhsa_system_sgpr_workgroup_id_z 0
		.amdhsa_system_sgpr_workgroup_info 0
		.amdhsa_system_vgpr_workitem_id 0
		.amdhsa_next_free_vgpr 1
		.amdhsa_next_free_sgpr 0
		.amdhsa_accum_offset 4
		.amdhsa_reserve_vcc 0
		.amdhsa_float_round_mode_32 0
		.amdhsa_float_round_mode_16_64 0
		.amdhsa_float_denorm_mode_32 3
		.amdhsa_float_denorm_mode_16_64 3
		.amdhsa_dx10_clamp 1
		.amdhsa_ieee_mode 1
		.amdhsa_fp16_overflow 0
		.amdhsa_tg_split 0
		.amdhsa_exception_fp_ieee_invalid_op 0
		.amdhsa_exception_fp_denorm_src 0
		.amdhsa_exception_fp_ieee_div_zero 0
		.amdhsa_exception_fp_ieee_overflow 0
		.amdhsa_exception_fp_ieee_underflow 0
		.amdhsa_exception_fp_ieee_inexact 0
		.amdhsa_exception_int_div_zero 0
	.end_amdhsa_kernel
	.section	.text._ZN7rocprim17ROCPRIM_400000_NS6detail17trampoline_kernelINS0_14default_configENS1_25partition_config_selectorILNS1_17partition_subalgoE8ElNS0_10empty_typeEbEEZZNS1_14partition_implILS5_8ELb0ES3_jPlPS6_PKS6_NS0_5tupleIJS9_S6_EEENSD_IJSA_SA_EEENS0_18inequality_wrapperIZN2at6native12_GLOBAL__N_124unique_dim_cuda_templateIaEESt5tupleIJNSH_6TensorESM_SM_EERKSM_lbbbEUlllE0_EEPmJS6_EEE10hipError_tPvRmT3_T4_T5_T6_T7_T9_mT8_P12ihipStream_tbDpT10_ENKUlT_T0_E_clISt17integral_constantIbLb1EES1B_IbLb0EEEEDaS17_S18_EUlS17_E_NS1_11comp_targetILNS1_3genE0ELNS1_11target_archE4294967295ELNS1_3gpuE0ELNS1_3repE0EEENS1_30default_config_static_selectorELNS0_4arch9wavefront6targetE1EEEvT1_,"axG",@progbits,_ZN7rocprim17ROCPRIM_400000_NS6detail17trampoline_kernelINS0_14default_configENS1_25partition_config_selectorILNS1_17partition_subalgoE8ElNS0_10empty_typeEbEEZZNS1_14partition_implILS5_8ELb0ES3_jPlPS6_PKS6_NS0_5tupleIJS9_S6_EEENSD_IJSA_SA_EEENS0_18inequality_wrapperIZN2at6native12_GLOBAL__N_124unique_dim_cuda_templateIaEESt5tupleIJNSH_6TensorESM_SM_EERKSM_lbbbEUlllE0_EEPmJS6_EEE10hipError_tPvRmT3_T4_T5_T6_T7_T9_mT8_P12ihipStream_tbDpT10_ENKUlT_T0_E_clISt17integral_constantIbLb1EES1B_IbLb0EEEEDaS17_S18_EUlS17_E_NS1_11comp_targetILNS1_3genE0ELNS1_11target_archE4294967295ELNS1_3gpuE0ELNS1_3repE0EEENS1_30default_config_static_selectorELNS0_4arch9wavefront6targetE1EEEvT1_,comdat
.Lfunc_end337:
	.size	_ZN7rocprim17ROCPRIM_400000_NS6detail17trampoline_kernelINS0_14default_configENS1_25partition_config_selectorILNS1_17partition_subalgoE8ElNS0_10empty_typeEbEEZZNS1_14partition_implILS5_8ELb0ES3_jPlPS6_PKS6_NS0_5tupleIJS9_S6_EEENSD_IJSA_SA_EEENS0_18inequality_wrapperIZN2at6native12_GLOBAL__N_124unique_dim_cuda_templateIaEESt5tupleIJNSH_6TensorESM_SM_EERKSM_lbbbEUlllE0_EEPmJS6_EEE10hipError_tPvRmT3_T4_T5_T6_T7_T9_mT8_P12ihipStream_tbDpT10_ENKUlT_T0_E_clISt17integral_constantIbLb1EES1B_IbLb0EEEEDaS17_S18_EUlS17_E_NS1_11comp_targetILNS1_3genE0ELNS1_11target_archE4294967295ELNS1_3gpuE0ELNS1_3repE0EEENS1_30default_config_static_selectorELNS0_4arch9wavefront6targetE1EEEvT1_, .Lfunc_end337-_ZN7rocprim17ROCPRIM_400000_NS6detail17trampoline_kernelINS0_14default_configENS1_25partition_config_selectorILNS1_17partition_subalgoE8ElNS0_10empty_typeEbEEZZNS1_14partition_implILS5_8ELb0ES3_jPlPS6_PKS6_NS0_5tupleIJS9_S6_EEENSD_IJSA_SA_EEENS0_18inequality_wrapperIZN2at6native12_GLOBAL__N_124unique_dim_cuda_templateIaEESt5tupleIJNSH_6TensorESM_SM_EERKSM_lbbbEUlllE0_EEPmJS6_EEE10hipError_tPvRmT3_T4_T5_T6_T7_T9_mT8_P12ihipStream_tbDpT10_ENKUlT_T0_E_clISt17integral_constantIbLb1EES1B_IbLb0EEEEDaS17_S18_EUlS17_E_NS1_11comp_targetILNS1_3genE0ELNS1_11target_archE4294967295ELNS1_3gpuE0ELNS1_3repE0EEENS1_30default_config_static_selectorELNS0_4arch9wavefront6targetE1EEEvT1_
                                        ; -- End function
	.section	.AMDGPU.csdata,"",@progbits
; Kernel info:
; codeLenInByte = 0
; NumSgprs: 6
; NumVgprs: 0
; NumAgprs: 0
; TotalNumVgprs: 0
; ScratchSize: 0
; MemoryBound: 0
; FloatMode: 240
; IeeeMode: 1
; LDSByteSize: 0 bytes/workgroup (compile time only)
; SGPRBlocks: 0
; VGPRBlocks: 0
; NumSGPRsForWavesPerEU: 6
; NumVGPRsForWavesPerEU: 1
; AccumOffset: 4
; Occupancy: 8
; WaveLimiterHint : 0
; COMPUTE_PGM_RSRC2:SCRATCH_EN: 0
; COMPUTE_PGM_RSRC2:USER_SGPR: 2
; COMPUTE_PGM_RSRC2:TRAP_HANDLER: 0
; COMPUTE_PGM_RSRC2:TGID_X_EN: 1
; COMPUTE_PGM_RSRC2:TGID_Y_EN: 0
; COMPUTE_PGM_RSRC2:TGID_Z_EN: 0
; COMPUTE_PGM_RSRC2:TIDIG_COMP_CNT: 0
; COMPUTE_PGM_RSRC3_GFX90A:ACCUM_OFFSET: 0
; COMPUTE_PGM_RSRC3_GFX90A:TG_SPLIT: 0
	.section	.text._ZN7rocprim17ROCPRIM_400000_NS6detail17trampoline_kernelINS0_14default_configENS1_25partition_config_selectorILNS1_17partition_subalgoE8ElNS0_10empty_typeEbEEZZNS1_14partition_implILS5_8ELb0ES3_jPlPS6_PKS6_NS0_5tupleIJS9_S6_EEENSD_IJSA_SA_EEENS0_18inequality_wrapperIZN2at6native12_GLOBAL__N_124unique_dim_cuda_templateIaEESt5tupleIJNSH_6TensorESM_SM_EERKSM_lbbbEUlllE0_EEPmJS6_EEE10hipError_tPvRmT3_T4_T5_T6_T7_T9_mT8_P12ihipStream_tbDpT10_ENKUlT_T0_E_clISt17integral_constantIbLb1EES1B_IbLb0EEEEDaS17_S18_EUlS17_E_NS1_11comp_targetILNS1_3genE5ELNS1_11target_archE942ELNS1_3gpuE9ELNS1_3repE0EEENS1_30default_config_static_selectorELNS0_4arch9wavefront6targetE1EEEvT1_,"axG",@progbits,_ZN7rocprim17ROCPRIM_400000_NS6detail17trampoline_kernelINS0_14default_configENS1_25partition_config_selectorILNS1_17partition_subalgoE8ElNS0_10empty_typeEbEEZZNS1_14partition_implILS5_8ELb0ES3_jPlPS6_PKS6_NS0_5tupleIJS9_S6_EEENSD_IJSA_SA_EEENS0_18inequality_wrapperIZN2at6native12_GLOBAL__N_124unique_dim_cuda_templateIaEESt5tupleIJNSH_6TensorESM_SM_EERKSM_lbbbEUlllE0_EEPmJS6_EEE10hipError_tPvRmT3_T4_T5_T6_T7_T9_mT8_P12ihipStream_tbDpT10_ENKUlT_T0_E_clISt17integral_constantIbLb1EES1B_IbLb0EEEEDaS17_S18_EUlS17_E_NS1_11comp_targetILNS1_3genE5ELNS1_11target_archE942ELNS1_3gpuE9ELNS1_3repE0EEENS1_30default_config_static_selectorELNS0_4arch9wavefront6targetE1EEEvT1_,comdat
	.globl	_ZN7rocprim17ROCPRIM_400000_NS6detail17trampoline_kernelINS0_14default_configENS1_25partition_config_selectorILNS1_17partition_subalgoE8ElNS0_10empty_typeEbEEZZNS1_14partition_implILS5_8ELb0ES3_jPlPS6_PKS6_NS0_5tupleIJS9_S6_EEENSD_IJSA_SA_EEENS0_18inequality_wrapperIZN2at6native12_GLOBAL__N_124unique_dim_cuda_templateIaEESt5tupleIJNSH_6TensorESM_SM_EERKSM_lbbbEUlllE0_EEPmJS6_EEE10hipError_tPvRmT3_T4_T5_T6_T7_T9_mT8_P12ihipStream_tbDpT10_ENKUlT_T0_E_clISt17integral_constantIbLb1EES1B_IbLb0EEEEDaS17_S18_EUlS17_E_NS1_11comp_targetILNS1_3genE5ELNS1_11target_archE942ELNS1_3gpuE9ELNS1_3repE0EEENS1_30default_config_static_selectorELNS0_4arch9wavefront6targetE1EEEvT1_ ; -- Begin function _ZN7rocprim17ROCPRIM_400000_NS6detail17trampoline_kernelINS0_14default_configENS1_25partition_config_selectorILNS1_17partition_subalgoE8ElNS0_10empty_typeEbEEZZNS1_14partition_implILS5_8ELb0ES3_jPlPS6_PKS6_NS0_5tupleIJS9_S6_EEENSD_IJSA_SA_EEENS0_18inequality_wrapperIZN2at6native12_GLOBAL__N_124unique_dim_cuda_templateIaEESt5tupleIJNSH_6TensorESM_SM_EERKSM_lbbbEUlllE0_EEPmJS6_EEE10hipError_tPvRmT3_T4_T5_T6_T7_T9_mT8_P12ihipStream_tbDpT10_ENKUlT_T0_E_clISt17integral_constantIbLb1EES1B_IbLb0EEEEDaS17_S18_EUlS17_E_NS1_11comp_targetILNS1_3genE5ELNS1_11target_archE942ELNS1_3gpuE9ELNS1_3repE0EEENS1_30default_config_static_selectorELNS0_4arch9wavefront6targetE1EEEvT1_
	.p2align	8
	.type	_ZN7rocprim17ROCPRIM_400000_NS6detail17trampoline_kernelINS0_14default_configENS1_25partition_config_selectorILNS1_17partition_subalgoE8ElNS0_10empty_typeEbEEZZNS1_14partition_implILS5_8ELb0ES3_jPlPS6_PKS6_NS0_5tupleIJS9_S6_EEENSD_IJSA_SA_EEENS0_18inequality_wrapperIZN2at6native12_GLOBAL__N_124unique_dim_cuda_templateIaEESt5tupleIJNSH_6TensorESM_SM_EERKSM_lbbbEUlllE0_EEPmJS6_EEE10hipError_tPvRmT3_T4_T5_T6_T7_T9_mT8_P12ihipStream_tbDpT10_ENKUlT_T0_E_clISt17integral_constantIbLb1EES1B_IbLb0EEEEDaS17_S18_EUlS17_E_NS1_11comp_targetILNS1_3genE5ELNS1_11target_archE942ELNS1_3gpuE9ELNS1_3repE0EEENS1_30default_config_static_selectorELNS0_4arch9wavefront6targetE1EEEvT1_,@function
_ZN7rocprim17ROCPRIM_400000_NS6detail17trampoline_kernelINS0_14default_configENS1_25partition_config_selectorILNS1_17partition_subalgoE8ElNS0_10empty_typeEbEEZZNS1_14partition_implILS5_8ELb0ES3_jPlPS6_PKS6_NS0_5tupleIJS9_S6_EEENSD_IJSA_SA_EEENS0_18inequality_wrapperIZN2at6native12_GLOBAL__N_124unique_dim_cuda_templateIaEESt5tupleIJNSH_6TensorESM_SM_EERKSM_lbbbEUlllE0_EEPmJS6_EEE10hipError_tPvRmT3_T4_T5_T6_T7_T9_mT8_P12ihipStream_tbDpT10_ENKUlT_T0_E_clISt17integral_constantIbLb1EES1B_IbLb0EEEEDaS17_S18_EUlS17_E_NS1_11comp_targetILNS1_3genE5ELNS1_11target_archE942ELNS1_3gpuE9ELNS1_3repE0EEENS1_30default_config_static_selectorELNS0_4arch9wavefront6targetE1EEEvT1_: ; @_ZN7rocprim17ROCPRIM_400000_NS6detail17trampoline_kernelINS0_14default_configENS1_25partition_config_selectorILNS1_17partition_subalgoE8ElNS0_10empty_typeEbEEZZNS1_14partition_implILS5_8ELb0ES3_jPlPS6_PKS6_NS0_5tupleIJS9_S6_EEENSD_IJSA_SA_EEENS0_18inequality_wrapperIZN2at6native12_GLOBAL__N_124unique_dim_cuda_templateIaEESt5tupleIJNSH_6TensorESM_SM_EERKSM_lbbbEUlllE0_EEPmJS6_EEE10hipError_tPvRmT3_T4_T5_T6_T7_T9_mT8_P12ihipStream_tbDpT10_ENKUlT_T0_E_clISt17integral_constantIbLb1EES1B_IbLb0EEEEDaS17_S18_EUlS17_E_NS1_11comp_targetILNS1_3genE5ELNS1_11target_archE942ELNS1_3gpuE9ELNS1_3repE0EEENS1_30default_config_static_selectorELNS0_4arch9wavefront6targetE1EEEvT1_
; %bb.0:
	s_load_dwordx8 s[20:27], s[0:1], 0x40
	s_load_dwordx4 s[4:7], s[0:1], 0x8
	s_load_dwordx4 s[28:31], s[0:1], 0x60
	s_load_dword s3, s[0:1], 0x70
	s_waitcnt lgkmcnt(0)
	v_mov_b32_e32 v2, s24
	s_lshl_b64 s[8:9], s[6:7], 3
	s_add_u32 s12, s4, s8
	s_mul_i32 s8, s3, 0xe00
	s_addc_u32 s13, s5, s9
	s_add_i32 s10, s3, -1
	s_add_i32 s3, s8, s6
	s_sub_i32 s3, s24, s3
	s_add_u32 s8, s6, s8
	s_addc_u32 s9, s7, 0
	v_mov_b32_e32 v3, s25
	s_cmp_eq_u32 s2, s10
	s_load_dwordx2 s[22:23], s[22:23], 0x0
	v_cmp_ge_u64_e32 vcc, s[8:9], v[2:3]
	s_cselect_b64 s[24:25], -1, 0
	s_mul_i32 s4, s2, 0xe00
	s_mov_b32 s5, 0
	s_and_b64 s[8:9], s[24:25], vcc
	s_xor_b64 s[34:35], s[8:9], -1
	s_lshl_b64 s[4:5], s[4:5], 3
	s_add_u32 s4, s12, s4
	s_mov_b64 s[10:11], -1
	s_addc_u32 s5, s13, s5
	s_and_b64 vcc, exec, s[34:35]
	s_cbranch_vccz .LBB338_2
; %bb.1:
	v_lshlrev_b32_e32 v2, 3, v0
	v_mov_b32_e32 v3, 0
	v_lshl_add_u64 v[4:5], s[4:5], 0, v[2:3]
	v_add_co_u32_e32 v8, vcc, 0x1000, v4
	global_load_dwordx2 v[6:7], v2, s[4:5]
	s_nop 0
	v_addc_co_u32_e32 v9, vcc, 0, v5, vcc
	v_add_co_u32_e32 v10, vcc, 0x2000, v4
	s_mov_b64 s[10:11], 0
	s_nop 0
	v_addc_co_u32_e32 v11, vcc, 0, v5, vcc
	v_add_co_u32_e32 v12, vcc, 0x3000, v4
	s_nop 1
	v_addc_co_u32_e32 v13, vcc, 0, v5, vcc
	v_add_co_u32_e32 v14, vcc, 0x4000, v4
	s_nop 1
	v_addc_co_u32_e32 v15, vcc, 0, v5, vcc
	global_load_dwordx2 v[16:17], v[8:9], off
	global_load_dwordx2 v[18:19], v[10:11], off
	global_load_dwordx2 v[20:21], v[12:13], off
	global_load_dwordx2 v[22:23], v[14:15], off
	v_add_co_u32_e32 v8, vcc, 0x5000, v4
	s_nop 1
	v_addc_co_u32_e32 v9, vcc, 0, v5, vcc
	v_add_co_u32_e32 v4, vcc, 0x6000, v4
	global_load_dwordx2 v[8:9], v[8:9], off
	s_nop 0
	v_addc_co_u32_e32 v5, vcc, 0, v5, vcc
	global_load_dwordx2 v[4:5], v[4:5], off
	s_waitcnt vmcnt(5)
	ds_write2st64_b64 v2, v[6:7], v[16:17] offset1:8
	s_waitcnt vmcnt(3)
	ds_write2st64_b64 v2, v[18:19], v[20:21] offset0:16 offset1:24
	s_waitcnt vmcnt(1)
	ds_write2st64_b64 v2, v[22:23], v[8:9] offset0:32 offset1:40
	s_waitcnt vmcnt(0)
	ds_write_b64 v2, v[4:5] offset:24576
	s_waitcnt lgkmcnt(0)
	s_barrier
.LBB338_2:
	s_andn2_b64 vcc, exec, s[10:11]
	s_addk_i32 s3, 0xe00
	s_cbranch_vccnz .LBB338_18
; %bb.3:
	v_cmp_gt_u32_e32 vcc, s3, v0
                                        ; implicit-def: $vgpr2_vgpr3_vgpr4_vgpr5_vgpr6_vgpr7_vgpr8_vgpr9_vgpr10_vgpr11_vgpr12_vgpr13_vgpr14_vgpr15_vgpr16_vgpr17
	s_and_saveexec_b64 s[10:11], vcc
	s_cbranch_execz .LBB338_5
; %bb.4:
	v_lshlrev_b32_e32 v1, 3, v0
	global_load_dwordx2 v[2:3], v1, s[4:5]
.LBB338_5:
	s_or_b64 exec, exec, s[10:11]
	v_or_b32_e32 v1, 0x200, v0
	v_cmp_gt_u32_e32 vcc, s3, v1
	s_and_saveexec_b64 s[10:11], vcc
	s_cbranch_execz .LBB338_7
; %bb.6:
	v_lshlrev_b32_e32 v1, 3, v1
	global_load_dwordx2 v[4:5], v1, s[4:5]
.LBB338_7:
	s_or_b64 exec, exec, s[10:11]
	v_or_b32_e32 v1, 0x400, v0
	v_cmp_gt_u32_e32 vcc, s3, v1
	;; [unrolled: 9-line block ×6, first 2 shown]
	s_and_saveexec_b64 s[10:11], vcc
	s_cbranch_execz .LBB338_17
; %bb.16:
	v_lshlrev_b32_e32 v1, 3, v1
	global_load_dwordx2 v[14:15], v1, s[4:5]
.LBB338_17:
	s_or_b64 exec, exec, s[10:11]
	v_lshlrev_b32_e32 v1, 3, v0
	s_waitcnt vmcnt(0)
	ds_write2st64_b64 v1, v[2:3], v[4:5] offset1:8
	ds_write2st64_b64 v1, v[6:7], v[8:9] offset0:16 offset1:24
	ds_write2st64_b64 v1, v[10:11], v[12:13] offset0:32 offset1:40
	ds_write_b64 v1, v[14:15] offset:24576
	s_waitcnt lgkmcnt(0)
	s_barrier
.LBB338_18:
	v_mul_u32_u24_e32 v1, 7, v0
	v_lshlrev_b32_e32 v22, 3, v1
	s_waitcnt lgkmcnt(0)
	ds_read2_b64 v[10:13], v22 offset1:1
	ds_read2_b64 v[6:9], v22 offset0:2 offset1:3
	ds_read2_b64 v[2:5], v22 offset0:4 offset1:5
	ds_read_b64 v[14:15], v22 offset:48
	s_cmp_lg_u32 s2, 0
	s_cselect_b64 s[16:17], -1, 0
	s_cmp_lg_u64 s[6:7], 0
	s_cselect_b64 s[6:7], -1, 0
	s_or_b64 s[6:7], s[16:17], s[6:7]
	v_mad_u32_u24 v25, v0, 7, 1
	v_mad_u32_u24 v24, v0, 7, 2
	;; [unrolled: 1-line block ×6, first 2 shown]
	s_mov_b64 s[10:11], 0
	s_and_b64 vcc, exec, s[6:7]
	v_cmp_gt_i64_e64 s[12:13], s[26:27], 0
	s_waitcnt lgkmcnt(0)
	s_barrier
	s_cbranch_vccz .LBB338_27
; %bb.19:
	s_add_u32 s4, s4, -8
	s_addc_u32 s5, s5, -1
	s_load_dwordx2 s[6:7], s[4:5], 0x0
	v_cndmask_b32_e64 v16, 0, 1, s[12:13]
	v_lshlrev_b32_e32 v23, 3, v0
	s_and_b64 vcc, exec, s[34:35]
	v_cmp_ne_u32_e64 s[4:5], 1, v16
	ds_write_b64 v23, v[14:15]
	s_cbranch_vccz .LBB338_29
; %bb.20:
	v_mul_lo_u32 v18, v5, s26
	v_mul_lo_u32 v19, v4, s27
	v_mad_u64_u32 v[16:17], s[12:13], v4, s26, 0
	v_add3_u32 v17, v17, v19, v18
	s_and_b64 vcc, exec, s[4:5]
	v_lshl_add_u64 v[16:17], s[28:29], 0, v[16:17]
	s_cbranch_vccnz .LBB338_32
; %bb.21:
	v_mov_b64_e32 v[18:19], s[28:29]
	v_mad_u64_u32 v[18:19], s[10:11], v14, s26, v[18:19]
	v_mul_lo_u32 v20, v14, s27
	v_mul_lo_u32 v21, v15, s26
	v_add3_u32 v19, v21, v19, v20
	global_load_ubyte v20, v[16:17], off
	global_load_ubyte v21, v[18:19], off
	s_mov_b64 s[10:11], -1
	s_waitcnt vmcnt(0)
	v_cmp_eq_u16_e32 vcc, v20, v21
	s_and_saveexec_b64 s[12:13], vcc
	s_cbranch_execz .LBB338_31
; %bb.22:
	s_mov_b64 s[18:19], 1
	s_mov_b64 s[10:11], 0
                                        ; implicit-def: $sgpr14_sgpr15
	s_branch .LBB338_25
.LBB338_23:                             ;   in Loop: Header=BB338_25 Depth=1
	v_lshl_add_u64 v[20:21], v[16:17], 0, s[18:19]
	v_lshl_add_u64 v[30:31], v[18:19], 0, s[18:19]
	global_load_ubyte v32, v[20:21], off
	global_load_ubyte v33, v[30:31], off
	s_add_u32 s36, s18, 1
	s_addc_u32 s37, s19, 0
	s_andn2_b64 s[14:15], s[14:15], exec
	s_waitcnt vmcnt(0)
	v_cmp_ne_u16_e32 vcc, v32, v33
	s_and_b64 s[38:39], vcc, exec
	s_or_b64 s[14:15], s[14:15], s[38:39]
.LBB338_24:                             ;   in Loop: Header=BB338_25 Depth=1
	s_and_b64 s[38:39], exec, s[14:15]
	s_or_b64 s[10:11], s[38:39], s[10:11]
	v_mov_b64_e32 v[20:21], s[18:19]
	s_mov_b64 s[18:19], s[36:37]
	s_andn2_b64 exec, exec, s[10:11]
	s_cbranch_execz .LBB338_30
.LBB338_25:                             ; =>This Inner Loop Header: Depth=1
	s_or_b64 s[14:15], s[14:15], exec
	s_cmp_eq_u64 s[26:27], s[18:19]
	s_cbranch_scc0 .LBB338_23
; %bb.26:                               ;   in Loop: Header=BB338_25 Depth=1
                                        ; implicit-def: $sgpr36_sgpr37
	s_mov_b64 s[18:19], s[26:27]
	s_branch .LBB338_24
.LBB338_27:
                                        ; implicit-def: $sgpr18_sgpr19
                                        ; implicit-def: $vgpr33
                                        ; implicit-def: $vgpr32
                                        ; implicit-def: $vgpr31
                                        ; implicit-def: $vgpr20
	s_branch .LBB338_170
.LBB338_28:
                                        ; implicit-def: $vgpr16_vgpr17
	s_branch .LBB338_318
.LBB338_29:
                                        ; implicit-def: $sgpr18_sgpr19
                                        ; implicit-def: $vgpr33
                                        ; implicit-def: $vgpr32
                                        ; implicit-def: $vgpr31
                                        ; implicit-def: $vgpr20
	s_cbranch_execnz .LBB338_89
	s_branch .LBB338_169
.LBB338_30:
	s_or_b64 exec, exec, s[10:11]
	v_cmp_gt_i64_e32 vcc, s[26:27], v[20:21]
	s_orn2_b64 s[10:11], vcc, exec
.LBB338_31:
	s_or_b64 exec, exec, s[12:13]
.LBB338_32:
	v_mul_lo_u32 v20, v3, s26
	v_mul_lo_u32 v21, v2, s27
	v_mad_u64_u32 v[18:19], s[12:13], v2, s26, 0
	v_add3_u32 v19, v19, v21, v20
	s_mov_b64 s[12:13], 0
	s_and_b64 vcc, exec, s[4:5]
	v_lshl_add_u64 v[18:19], s[28:29], 0, v[18:19]
	s_mov_b64 s[14:15], 0
	s_cbranch_vccnz .LBB338_41
; %bb.33:
	global_load_ubyte v20, v[18:19], off
	global_load_ubyte v21, v[16:17], off
	s_mov_b64 s[14:15], -1
	s_waitcnt vmcnt(0)
	v_cmp_eq_u16_e32 vcc, v20, v21
	s_and_saveexec_b64 s[18:19], vcc
	s_cbranch_execz .LBB338_40
; %bb.34:
	s_mov_b64 s[38:39], 1
	s_mov_b64 s[14:15], 0
                                        ; implicit-def: $sgpr36_sgpr37
	s_branch .LBB338_37
.LBB338_35:                             ;   in Loop: Header=BB338_37 Depth=1
	v_lshl_add_u64 v[20:21], v[18:19], 0, s[38:39]
	v_lshl_add_u64 v[30:31], v[16:17], 0, s[38:39]
	global_load_ubyte v32, v[20:21], off
	global_load_ubyte v33, v[30:31], off
	s_add_u32 s40, s38, 1
	s_addc_u32 s41, s39, 0
	s_andn2_b64 s[36:37], s[36:37], exec
	s_waitcnt vmcnt(0)
	v_cmp_ne_u16_e32 vcc, v32, v33
	s_and_b64 s[42:43], vcc, exec
	s_or_b64 s[36:37], s[36:37], s[42:43]
.LBB338_36:                             ;   in Loop: Header=BB338_37 Depth=1
	s_and_b64 s[42:43], exec, s[36:37]
	s_or_b64 s[14:15], s[42:43], s[14:15]
	v_mov_b64_e32 v[20:21], s[38:39]
	s_mov_b64 s[38:39], s[40:41]
	s_andn2_b64 exec, exec, s[14:15]
	s_cbranch_execz .LBB338_39
.LBB338_37:                             ; =>This Inner Loop Header: Depth=1
	s_or_b64 s[36:37], s[36:37], exec
	s_cmp_eq_u64 s[26:27], s[38:39]
	s_cbranch_scc0 .LBB338_35
; %bb.38:                               ;   in Loop: Header=BB338_37 Depth=1
                                        ; implicit-def: $sgpr40_sgpr41
	s_mov_b64 s[38:39], s[26:27]
	s_branch .LBB338_36
.LBB338_39:
	s_or_b64 exec, exec, s[14:15]
	v_cmp_gt_i64_e32 vcc, s[26:27], v[20:21]
	s_orn2_b64 s[14:15], vcc, exec
.LBB338_40:
	s_or_b64 exec, exec, s[18:19]
.LBB338_41:
	v_mul_lo_u32 v20, v9, s26
	v_mul_lo_u32 v21, v8, s27
	v_mad_u64_u32 v[16:17], s[18:19], v8, s26, 0
	v_add3_u32 v17, v17, v21, v20
	s_and_b64 vcc, exec, s[4:5]
	v_lshl_add_u64 v[16:17], s[28:29], 0, v[16:17]
	s_cbranch_vccnz .LBB338_50
; %bb.42:
	global_load_ubyte v20, v[16:17], off
	global_load_ubyte v21, v[18:19], off
	s_mov_b64 s[12:13], -1
	s_waitcnt vmcnt(0)
	v_cmp_eq_u16_e32 vcc, v20, v21
	s_and_saveexec_b64 s[18:19], vcc
	s_cbranch_execz .LBB338_49
; %bb.43:
	s_mov_b64 s[38:39], 1
	s_mov_b64 s[12:13], 0
                                        ; implicit-def: $sgpr36_sgpr37
	s_branch .LBB338_46
.LBB338_44:                             ;   in Loop: Header=BB338_46 Depth=1
	v_lshl_add_u64 v[20:21], v[16:17], 0, s[38:39]
	v_lshl_add_u64 v[30:31], v[18:19], 0, s[38:39]
	global_load_ubyte v32, v[20:21], off
	global_load_ubyte v33, v[30:31], off
	s_add_u32 s40, s38, 1
	s_addc_u32 s41, s39, 0
	s_andn2_b64 s[36:37], s[36:37], exec
	s_waitcnt vmcnt(0)
	v_cmp_ne_u16_e32 vcc, v32, v33
	s_and_b64 s[42:43], vcc, exec
	s_or_b64 s[36:37], s[36:37], s[42:43]
.LBB338_45:                             ;   in Loop: Header=BB338_46 Depth=1
	s_and_b64 s[42:43], exec, s[36:37]
	s_or_b64 s[12:13], s[42:43], s[12:13]
	v_mov_b64_e32 v[20:21], s[38:39]
	s_mov_b64 s[38:39], s[40:41]
	s_andn2_b64 exec, exec, s[12:13]
	s_cbranch_execz .LBB338_48
.LBB338_46:                             ; =>This Inner Loop Header: Depth=1
	s_or_b64 s[36:37], s[36:37], exec
	s_cmp_eq_u64 s[26:27], s[38:39]
	s_cbranch_scc0 .LBB338_44
; %bb.47:                               ;   in Loop: Header=BB338_46 Depth=1
                                        ; implicit-def: $sgpr40_sgpr41
	s_mov_b64 s[38:39], s[26:27]
	s_branch .LBB338_45
.LBB338_48:
	s_or_b64 exec, exec, s[12:13]
	v_cmp_gt_i64_e32 vcc, s[26:27], v[20:21]
	s_orn2_b64 s[12:13], vcc, exec
.LBB338_49:
	s_or_b64 exec, exec, s[18:19]
.LBB338_50:
	v_mul_lo_u32 v20, v7, s26
	v_mul_lo_u32 v21, v6, s27
	v_mad_u64_u32 v[18:19], s[18:19], v6, s26, 0
	v_add3_u32 v19, v19, v21, v20
	s_mov_b64 s[18:19], 0
	s_and_b64 vcc, exec, s[4:5]
	v_lshl_add_u64 v[20:21], s[28:29], 0, v[18:19]
	s_mov_b64 s[36:37], 0
	s_cbranch_vccnz .LBB338_59
; %bb.51:
	global_load_ubyte v18, v[20:21], off
	global_load_ubyte v19, v[16:17], off
	s_mov_b64 s[36:37], -1
	s_waitcnt vmcnt(0)
	v_cmp_eq_u16_e32 vcc, v18, v19
	s_and_saveexec_b64 s[38:39], vcc
	s_cbranch_execz .LBB338_58
; %bb.52:
	s_mov_b64 s[42:43], 1
	s_mov_b64 s[36:37], 0
                                        ; implicit-def: $sgpr40_sgpr41
	s_branch .LBB338_55
.LBB338_53:                             ;   in Loop: Header=BB338_55 Depth=1
	v_lshl_add_u64 v[18:19], v[20:21], 0, s[42:43]
	v_lshl_add_u64 v[30:31], v[16:17], 0, s[42:43]
	global_load_ubyte v32, v[18:19], off
	global_load_ubyte v33, v[30:31], off
	s_add_u32 s44, s42, 1
	s_addc_u32 s45, s43, 0
	s_andn2_b64 s[40:41], s[40:41], exec
	s_waitcnt vmcnt(0)
	v_cmp_ne_u16_e32 vcc, v32, v33
	s_and_b64 s[46:47], vcc, exec
	s_or_b64 s[40:41], s[40:41], s[46:47]
.LBB338_54:                             ;   in Loop: Header=BB338_55 Depth=1
	s_and_b64 s[46:47], exec, s[40:41]
	s_or_b64 s[36:37], s[46:47], s[36:37]
	v_mov_b64_e32 v[18:19], s[42:43]
	s_mov_b64 s[42:43], s[44:45]
	s_andn2_b64 exec, exec, s[36:37]
	s_cbranch_execz .LBB338_57
.LBB338_55:                             ; =>This Inner Loop Header: Depth=1
	s_or_b64 s[40:41], s[40:41], exec
	s_cmp_eq_u64 s[26:27], s[42:43]
	s_cbranch_scc0 .LBB338_53
; %bb.56:                               ;   in Loop: Header=BB338_55 Depth=1
                                        ; implicit-def: $sgpr44_sgpr45
	s_mov_b64 s[42:43], s[26:27]
	s_branch .LBB338_54
.LBB338_57:
	s_or_b64 exec, exec, s[36:37]
	v_cmp_gt_i64_e32 vcc, s[26:27], v[18:19]
	s_orn2_b64 s[36:37], vcc, exec
.LBB338_58:
	s_or_b64 exec, exec, s[38:39]
.LBB338_59:
	v_mul_lo_u32 v18, v13, s26
	v_mul_lo_u32 v19, v12, s27
	v_mad_u64_u32 v[16:17], s[38:39], v12, s26, 0
	v_add3_u32 v17, v17, v19, v18
	s_and_b64 vcc, exec, s[4:5]
	v_lshl_add_u64 v[18:19], s[28:29], 0, v[16:17]
	s_cbranch_vccnz .LBB338_68
; %bb.60:
	global_load_ubyte v16, v[18:19], off
	global_load_ubyte v17, v[20:21], off
	s_mov_b64 s[18:19], -1
	s_waitcnt vmcnt(0)
	v_cmp_eq_u16_e32 vcc, v16, v17
	s_and_saveexec_b64 s[38:39], vcc
	s_cbranch_execz .LBB338_67
; %bb.61:
	s_mov_b64 s[42:43], 1
	s_mov_b64 s[18:19], 0
                                        ; implicit-def: $sgpr40_sgpr41
	s_branch .LBB338_64
.LBB338_62:                             ;   in Loop: Header=BB338_64 Depth=1
	v_lshl_add_u64 v[16:17], v[18:19], 0, s[42:43]
	v_lshl_add_u64 v[30:31], v[20:21], 0, s[42:43]
	global_load_ubyte v32, v[16:17], off
	global_load_ubyte v33, v[30:31], off
	s_add_u32 s44, s42, 1
	s_addc_u32 s45, s43, 0
	s_andn2_b64 s[40:41], s[40:41], exec
	s_waitcnt vmcnt(0)
	v_cmp_ne_u16_e32 vcc, v32, v33
	s_and_b64 s[46:47], vcc, exec
	s_or_b64 s[40:41], s[40:41], s[46:47]
.LBB338_63:                             ;   in Loop: Header=BB338_64 Depth=1
	s_and_b64 s[46:47], exec, s[40:41]
	s_or_b64 s[18:19], s[46:47], s[18:19]
	v_mov_b64_e32 v[16:17], s[42:43]
	s_mov_b64 s[42:43], s[44:45]
	s_andn2_b64 exec, exec, s[18:19]
	s_cbranch_execz .LBB338_66
.LBB338_64:                             ; =>This Inner Loop Header: Depth=1
	s_or_b64 s[40:41], s[40:41], exec
	s_cmp_eq_u64 s[26:27], s[42:43]
	s_cbranch_scc0 .LBB338_62
; %bb.65:                               ;   in Loop: Header=BB338_64 Depth=1
                                        ; implicit-def: $sgpr44_sgpr45
	s_mov_b64 s[42:43], s[26:27]
	s_branch .LBB338_63
.LBB338_66:
	s_or_b64 exec, exec, s[18:19]
	v_cmp_gt_i64_e32 vcc, s[26:27], v[16:17]
	s_orn2_b64 s[18:19], vcc, exec
.LBB338_67:
	s_or_b64 exec, exec, s[38:39]
.LBB338_68:
	v_mul_lo_u32 v20, v11, s26
	v_mul_lo_u32 v21, v10, s27
	v_mad_u64_u32 v[16:17], s[38:39], v10, s26, 0
	v_add3_u32 v17, v17, v21, v20
	s_mov_b64 s[40:41], 0
	s_and_b64 vcc, exec, s[4:5]
	v_lshl_add_u64 v[16:17], s[28:29], 0, v[16:17]
	s_cbranch_vccnz .LBB338_77
; %bb.69:
	global_load_ubyte v20, v[16:17], off
	global_load_ubyte v21, v[18:19], off
	s_mov_b64 s[40:41], -1
	s_waitcnt vmcnt(0)
	v_cmp_eq_u16_e32 vcc, v20, v21
	s_and_saveexec_b64 s[38:39], vcc
	s_cbranch_execz .LBB338_76
; %bb.70:
	s_mov_b64 s[44:45], 1
	s_mov_b64 s[40:41], 0
                                        ; implicit-def: $sgpr42_sgpr43
	s_branch .LBB338_73
.LBB338_71:                             ;   in Loop: Header=BB338_73 Depth=1
	v_lshl_add_u64 v[20:21], v[16:17], 0, s[44:45]
	v_lshl_add_u64 v[30:31], v[18:19], 0, s[44:45]
	global_load_ubyte v32, v[20:21], off
	global_load_ubyte v33, v[30:31], off
	s_add_u32 s46, s44, 1
	s_addc_u32 s47, s45, 0
	s_andn2_b64 s[42:43], s[42:43], exec
	s_waitcnt vmcnt(0)
	v_cmp_ne_u16_e32 vcc, v32, v33
	s_and_b64 s[48:49], vcc, exec
	s_or_b64 s[42:43], s[42:43], s[48:49]
.LBB338_72:                             ;   in Loop: Header=BB338_73 Depth=1
	s_and_b64 s[48:49], exec, s[42:43]
	s_or_b64 s[40:41], s[48:49], s[40:41]
	v_mov_b64_e32 v[20:21], s[44:45]
	s_mov_b64 s[44:45], s[46:47]
	s_andn2_b64 exec, exec, s[40:41]
	s_cbranch_execz .LBB338_75
.LBB338_73:                             ; =>This Inner Loop Header: Depth=1
	s_or_b64 s[42:43], s[42:43], exec
	s_cmp_eq_u64 s[26:27], s[44:45]
	s_cbranch_scc0 .LBB338_71
; %bb.74:                               ;   in Loop: Header=BB338_73 Depth=1
                                        ; implicit-def: $sgpr46_sgpr47
	s_mov_b64 s[44:45], s[26:27]
	s_branch .LBB338_72
.LBB338_75:
	s_or_b64 exec, exec, s[40:41]
	v_cmp_gt_i64_e32 vcc, s[26:27], v[20:21]
	s_orn2_b64 s[40:41], vcc, exec
.LBB338_76:
	s_or_b64 exec, exec, s[38:39]
.LBB338_77:
	v_cmp_ne_u32_e32 vcc, 0, v0
	s_waitcnt lgkmcnt(0)
	v_mov_b64_e32 v[20:21], s[6:7]
	s_barrier
	s_and_saveexec_b64 s[38:39], vcc
	s_cbranch_execz .LBB338_79
; %bb.78:
	v_add_u32_e32 v18, -8, v23
	ds_read_b64 v[20:21], v18
.LBB338_79:
	s_or_b64 exec, exec, s[38:39]
	v_cndmask_b32_e64 v19, 0, 1, s[36:37]
	v_cndmask_b32_e64 v18, 0, 1, s[18:19]
	;; [unrolled: 1-line block ×3, first 2 shown]
	v_lshlrev_b16_e32 v19, 8, v19
	v_lshlrev_b16_e32 v30, 8, v30
	v_or_b32_sdwa v34, v18, v19 dst_sel:WORD_1 dst_unused:UNUSED_PAD src0_sel:DWORD src1_sel:DWORD
	s_mov_b64 s[36:37], 0
	s_and_b64 vcc, exec, s[4:5]
	s_mov_b64 s[18:19], 0
	s_cbranch_vccnz .LBB338_88
; %bb.80:
	v_mov_b64_e32 v[18:19], s[28:29]
	s_waitcnt lgkmcnt(0)
	v_mad_u64_u32 v[18:19], s[18:19], v20, s26, v[18:19]
	v_mul_lo_u32 v20, v20, s27
	v_mul_lo_u32 v21, v21, s26
	v_add3_u32 v19, v21, v19, v20
	global_load_ubyte v20, v[18:19], off
	global_load_ubyte v21, v[16:17], off
	s_mov_b64 s[18:19], -1
	s_waitcnt vmcnt(0)
	v_cmp_eq_u16_e32 vcc, v20, v21
	s_and_saveexec_b64 s[38:39], vcc
	s_cbranch_execz .LBB338_87
; %bb.81:
	s_mov_b64 s[42:43], 1
	s_mov_b64 s[18:19], 0
                                        ; implicit-def: $sgpr40_sgpr41
	s_branch .LBB338_84
.LBB338_82:                             ;   in Loop: Header=BB338_84 Depth=1
	v_lshl_add_u64 v[20:21], v[18:19], 0, s[42:43]
	v_lshl_add_u64 v[32:33], v[16:17], 0, s[42:43]
	global_load_ubyte v31, v[20:21], off
	global_load_ubyte v35, v[32:33], off
	s_add_u32 s44, s42, 1
	s_addc_u32 s45, s43, 0
	s_andn2_b64 s[40:41], s[40:41], exec
	s_waitcnt vmcnt(0)
	v_cmp_ne_u16_e32 vcc, v31, v35
	s_and_b64 s[46:47], vcc, exec
	s_or_b64 s[40:41], s[40:41], s[46:47]
.LBB338_83:                             ;   in Loop: Header=BB338_84 Depth=1
	s_and_b64 s[46:47], exec, s[40:41]
	s_or_b64 s[18:19], s[46:47], s[18:19]
	v_mov_b64_e32 v[20:21], s[42:43]
	s_mov_b64 s[42:43], s[44:45]
	s_andn2_b64 exec, exec, s[18:19]
	s_cbranch_execz .LBB338_86
.LBB338_84:                             ; =>This Inner Loop Header: Depth=1
	s_or_b64 s[40:41], s[40:41], exec
	s_cmp_eq_u64 s[26:27], s[42:43]
	s_cbranch_scc0 .LBB338_82
; %bb.85:                               ;   in Loop: Header=BB338_84 Depth=1
                                        ; implicit-def: $sgpr44_sgpr45
	s_mov_b64 s[42:43], s[26:27]
	s_branch .LBB338_83
.LBB338_86:
	s_or_b64 exec, exec, s[18:19]
	v_cmp_gt_i64_e32 vcc, s[26:27], v[20:21]
	s_orn2_b64 s[18:19], vcc, exec
.LBB338_87:
	s_or_b64 exec, exec, s[38:39]
.LBB338_88:
	v_cndmask_b32_e64 v31, 0, 1, s[12:13]
	v_cndmask_b32_e64 v32, 0, 1, s[14:15]
	;; [unrolled: 1-line block ×3, first 2 shown]
	s_waitcnt lgkmcnt(0)
	v_or_b32_e32 v20, v30, v34
	s_and_b64 vcc, exec, s[36:37]
	s_cbranch_vccz .LBB338_169
.LBB338_89:
	v_cmp_gt_u32_e32 vcc, s3, v27
	s_mov_b64 s[12:13], 0
	s_mov_b64 s[10:11], 0
	s_and_saveexec_b64 s[14:15], vcc
	s_cbranch_execz .LBB338_100
; %bb.90:
	s_and_b64 vcc, exec, s[4:5]
	s_mov_b64 s[18:19], 0
	s_cbranch_vccnz .LBB338_99
; %bb.91:
	v_mov_b64_e32 v[18:19], s[28:29]
	v_mad_u64_u32 v[16:17], s[10:11], v4, s26, v[18:19]
	v_mul_lo_u32 v20, v4, s27
	v_mul_lo_u32 v21, v5, s26
	v_add3_u32 v17, v21, v17, v20
	v_mad_u64_u32 v[18:19], s[10:11], v14, s26, v[18:19]
	v_mul_lo_u32 v20, v14, s27
	v_mul_lo_u32 v21, v15, s26
	v_add3_u32 v19, v21, v19, v20
	global_load_ubyte v20, v[16:17], off
	global_load_ubyte v21, v[18:19], off
	s_mov_b64 s[18:19], -1
	s_waitcnt vmcnt(0)
	v_cmp_eq_u16_e32 vcc, v20, v21
	s_and_saveexec_b64 s[10:11], vcc
	s_cbranch_execz .LBB338_98
; %bb.92:
	s_mov_b64 s[38:39], 1
	s_mov_b64 s[18:19], 0
                                        ; implicit-def: $sgpr36_sgpr37
	s_branch .LBB338_95
.LBB338_93:                             ;   in Loop: Header=BB338_95 Depth=1
	v_lshl_add_u64 v[20:21], v[16:17], 0, s[38:39]
	v_lshl_add_u64 v[30:31], v[18:19], 0, s[38:39]
	global_load_ubyte v32, v[20:21], off
	global_load_ubyte v33, v[30:31], off
	s_add_u32 s40, s38, 1
	s_addc_u32 s41, s39, 0
	s_andn2_b64 s[36:37], s[36:37], exec
	s_waitcnt vmcnt(0)
	v_cmp_ne_u16_e32 vcc, v32, v33
	s_and_b64 s[42:43], vcc, exec
	s_or_b64 s[36:37], s[36:37], s[42:43]
.LBB338_94:                             ;   in Loop: Header=BB338_95 Depth=1
	s_and_b64 s[42:43], exec, s[36:37]
	s_or_b64 s[18:19], s[42:43], s[18:19]
	v_mov_b64_e32 v[20:21], s[38:39]
	s_mov_b64 s[38:39], s[40:41]
	s_andn2_b64 exec, exec, s[18:19]
	s_cbranch_execz .LBB338_97
.LBB338_95:                             ; =>This Inner Loop Header: Depth=1
	s_or_b64 s[36:37], s[36:37], exec
	s_cmp_eq_u64 s[26:27], s[38:39]
	s_cbranch_scc0 .LBB338_93
; %bb.96:                               ;   in Loop: Header=BB338_95 Depth=1
                                        ; implicit-def: $sgpr40_sgpr41
	s_mov_b64 s[38:39], s[26:27]
	s_branch .LBB338_94
.LBB338_97:
	s_or_b64 exec, exec, s[18:19]
	v_cmp_gt_i64_e32 vcc, s[26:27], v[20:21]
	s_orn2_b64 s[18:19], vcc, exec
.LBB338_98:
	s_or_b64 exec, exec, s[10:11]
.LBB338_99:
	s_and_b64 s[10:11], s[18:19], exec
.LBB338_100:
	s_or_b64 exec, exec, s[14:15]
	v_cmp_gt_u32_e32 vcc, s3, v29
	s_and_saveexec_b64 s[14:15], vcc
	s_cbranch_execz .LBB338_111
; %bb.101:
	s_and_b64 vcc, exec, s[4:5]
	s_mov_b64 s[18:19], 0
	s_cbranch_vccnz .LBB338_110
; %bb.102:
	v_mov_b64_e32 v[18:19], s[28:29]
	v_mad_u64_u32 v[16:17], s[12:13], v2, s26, v[18:19]
	v_mul_lo_u32 v20, v2, s27
	v_mul_lo_u32 v21, v3, s26
	v_add3_u32 v17, v21, v17, v20
	v_mad_u64_u32 v[18:19], s[12:13], v4, s26, v[18:19]
	v_mul_lo_u32 v20, v4, s27
	v_mul_lo_u32 v21, v5, s26
	v_add3_u32 v19, v21, v19, v20
	global_load_ubyte v20, v[16:17], off
	global_load_ubyte v21, v[18:19], off
	s_mov_b64 s[18:19], -1
	s_waitcnt vmcnt(0)
	v_cmp_eq_u16_e32 vcc, v20, v21
	s_and_saveexec_b64 s[12:13], vcc
	s_cbranch_execz .LBB338_109
; %bb.103:
	s_mov_b64 s[38:39], 1
	s_mov_b64 s[18:19], 0
                                        ; implicit-def: $sgpr36_sgpr37
	s_branch .LBB338_106
.LBB338_104:                            ;   in Loop: Header=BB338_106 Depth=1
	v_lshl_add_u64 v[20:21], v[16:17], 0, s[38:39]
	v_lshl_add_u64 v[30:31], v[18:19], 0, s[38:39]
	global_load_ubyte v32, v[20:21], off
	global_load_ubyte v33, v[30:31], off
	s_add_u32 s40, s38, 1
	s_addc_u32 s41, s39, 0
	s_andn2_b64 s[36:37], s[36:37], exec
	s_waitcnt vmcnt(0)
	v_cmp_ne_u16_e32 vcc, v32, v33
	s_and_b64 s[42:43], vcc, exec
	s_or_b64 s[36:37], s[36:37], s[42:43]
.LBB338_105:                            ;   in Loop: Header=BB338_106 Depth=1
	s_and_b64 s[42:43], exec, s[36:37]
	s_or_b64 s[18:19], s[42:43], s[18:19]
	v_mov_b64_e32 v[20:21], s[38:39]
	s_mov_b64 s[38:39], s[40:41]
	s_andn2_b64 exec, exec, s[18:19]
	s_cbranch_execz .LBB338_108
.LBB338_106:                            ; =>This Inner Loop Header: Depth=1
	s_or_b64 s[36:37], s[36:37], exec
	s_cmp_eq_u64 s[26:27], s[38:39]
	s_cbranch_scc0 .LBB338_104
; %bb.107:                              ;   in Loop: Header=BB338_106 Depth=1
                                        ; implicit-def: $sgpr40_sgpr41
	s_mov_b64 s[38:39], s[26:27]
	s_branch .LBB338_105
.LBB338_108:
	s_or_b64 exec, exec, s[18:19]
	v_cmp_gt_i64_e32 vcc, s[26:27], v[20:21]
	s_orn2_b64 s[18:19], vcc, exec
.LBB338_109:
	s_or_b64 exec, exec, s[12:13]
.LBB338_110:
	s_and_b64 s[12:13], s[18:19], exec
.LBB338_111:
	s_or_b64 exec, exec, s[14:15]
	v_cmp_gt_u32_e32 vcc, s3, v26
	s_mov_b64 s[18:19], 0
	s_mov_b64 s[14:15], 0
	s_and_saveexec_b64 s[36:37], vcc
	s_cbranch_execz .LBB338_122
; %bb.112:
	s_and_b64 vcc, exec, s[4:5]
	s_mov_b64 s[38:39], 0
	s_cbranch_vccnz .LBB338_121
; %bb.113:
	v_mov_b64_e32 v[18:19], s[28:29]
	v_mad_u64_u32 v[16:17], s[14:15], v8, s26, v[18:19]
	v_mul_lo_u32 v20, v8, s27
	v_mul_lo_u32 v21, v9, s26
	v_add3_u32 v17, v21, v17, v20
	v_mad_u64_u32 v[18:19], s[14:15], v2, s26, v[18:19]
	v_mul_lo_u32 v20, v2, s27
	v_mul_lo_u32 v21, v3, s26
	v_add3_u32 v19, v21, v19, v20
	global_load_ubyte v20, v[16:17], off
	global_load_ubyte v21, v[18:19], off
	s_mov_b64 s[38:39], -1
	s_waitcnt vmcnt(0)
	v_cmp_eq_u16_e32 vcc, v20, v21
	s_and_saveexec_b64 s[14:15], vcc
	s_cbranch_execz .LBB338_120
; %bb.114:
	s_mov_b64 s[42:43], 1
	s_mov_b64 s[38:39], 0
                                        ; implicit-def: $sgpr40_sgpr41
	s_branch .LBB338_117
.LBB338_115:                            ;   in Loop: Header=BB338_117 Depth=1
	v_lshl_add_u64 v[20:21], v[16:17], 0, s[42:43]
	v_lshl_add_u64 v[30:31], v[18:19], 0, s[42:43]
	global_load_ubyte v32, v[20:21], off
	global_load_ubyte v33, v[30:31], off
	s_add_u32 s44, s42, 1
	s_addc_u32 s45, s43, 0
	s_andn2_b64 s[40:41], s[40:41], exec
	s_waitcnt vmcnt(0)
	v_cmp_ne_u16_e32 vcc, v32, v33
	s_and_b64 s[46:47], vcc, exec
	s_or_b64 s[40:41], s[40:41], s[46:47]
.LBB338_116:                            ;   in Loop: Header=BB338_117 Depth=1
	s_and_b64 s[46:47], exec, s[40:41]
	s_or_b64 s[38:39], s[46:47], s[38:39]
	v_mov_b64_e32 v[20:21], s[42:43]
	s_mov_b64 s[42:43], s[44:45]
	s_andn2_b64 exec, exec, s[38:39]
	s_cbranch_execz .LBB338_119
.LBB338_117:                            ; =>This Inner Loop Header: Depth=1
	s_or_b64 s[40:41], s[40:41], exec
	s_cmp_eq_u64 s[26:27], s[42:43]
	s_cbranch_scc0 .LBB338_115
; %bb.118:                              ;   in Loop: Header=BB338_117 Depth=1
                                        ; implicit-def: $sgpr44_sgpr45
	s_mov_b64 s[42:43], s[26:27]
	s_branch .LBB338_116
.LBB338_119:
	s_or_b64 exec, exec, s[38:39]
	v_cmp_gt_i64_e32 vcc, s[26:27], v[20:21]
	s_orn2_b64 s[38:39], vcc, exec
.LBB338_120:
	s_or_b64 exec, exec, s[14:15]
.LBB338_121:
	s_and_b64 s[14:15], s[38:39], exec
.LBB338_122:
	s_or_b64 exec, exec, s[36:37]
	v_cmp_gt_u32_e32 vcc, s3, v28
	s_and_saveexec_b64 s[36:37], vcc
	s_cbranch_execz .LBB338_133
; %bb.123:
	s_and_b64 vcc, exec, s[4:5]
	s_mov_b64 s[38:39], 0
	s_cbranch_vccnz .LBB338_132
; %bb.124:
	v_mov_b64_e32 v[18:19], s[28:29]
	v_mad_u64_u32 v[16:17], s[18:19], v6, s26, v[18:19]
	v_mul_lo_u32 v20, v6, s27
	v_mul_lo_u32 v21, v7, s26
	v_add3_u32 v17, v21, v17, v20
	v_mad_u64_u32 v[18:19], s[18:19], v8, s26, v[18:19]
	v_mul_lo_u32 v20, v8, s27
	v_mul_lo_u32 v21, v9, s26
	v_add3_u32 v19, v21, v19, v20
	global_load_ubyte v20, v[16:17], off
	global_load_ubyte v21, v[18:19], off
	s_mov_b64 s[38:39], -1
	s_waitcnt vmcnt(0)
	v_cmp_eq_u16_e32 vcc, v20, v21
	s_and_saveexec_b64 s[18:19], vcc
	s_cbranch_execz .LBB338_131
; %bb.125:
	s_mov_b64 s[42:43], 1
	s_mov_b64 s[38:39], 0
                                        ; implicit-def: $sgpr40_sgpr41
	s_branch .LBB338_128
.LBB338_126:                            ;   in Loop: Header=BB338_128 Depth=1
	v_lshl_add_u64 v[20:21], v[16:17], 0, s[42:43]
	v_lshl_add_u64 v[30:31], v[18:19], 0, s[42:43]
	global_load_ubyte v32, v[20:21], off
	global_load_ubyte v33, v[30:31], off
	s_add_u32 s44, s42, 1
	s_addc_u32 s45, s43, 0
	s_andn2_b64 s[40:41], s[40:41], exec
	s_waitcnt vmcnt(0)
	v_cmp_ne_u16_e32 vcc, v32, v33
	s_and_b64 s[46:47], vcc, exec
	s_or_b64 s[40:41], s[40:41], s[46:47]
.LBB338_127:                            ;   in Loop: Header=BB338_128 Depth=1
	s_and_b64 s[46:47], exec, s[40:41]
	s_or_b64 s[38:39], s[46:47], s[38:39]
	v_mov_b64_e32 v[20:21], s[42:43]
	s_mov_b64 s[42:43], s[44:45]
	s_andn2_b64 exec, exec, s[38:39]
	s_cbranch_execz .LBB338_130
.LBB338_128:                            ; =>This Inner Loop Header: Depth=1
	s_or_b64 s[40:41], s[40:41], exec
	s_cmp_eq_u64 s[26:27], s[42:43]
	s_cbranch_scc0 .LBB338_126
; %bb.129:                              ;   in Loop: Header=BB338_128 Depth=1
                                        ; implicit-def: $sgpr44_sgpr45
	s_mov_b64 s[42:43], s[26:27]
	s_branch .LBB338_127
.LBB338_130:
	s_or_b64 exec, exec, s[38:39]
	v_cmp_gt_i64_e32 vcc, s[26:27], v[20:21]
	s_orn2_b64 s[38:39], vcc, exec
.LBB338_131:
	s_or_b64 exec, exec, s[18:19]
.LBB338_132:
	s_and_b64 s[18:19], s[38:39], exec
.LBB338_133:
	s_or_b64 exec, exec, s[36:37]
	v_cmp_gt_u32_e32 vcc, s3, v24
	s_mov_b64 s[36:37], 0
	s_mov_b64 s[38:39], 0
	s_and_saveexec_b64 s[40:41], vcc
	s_cbranch_execz .LBB338_144
; %bb.134:
	s_and_b64 vcc, exec, s[4:5]
	s_mov_b64 s[42:43], 0
	s_cbranch_vccnz .LBB338_143
; %bb.135:
	v_mov_b64_e32 v[18:19], s[28:29]
	v_mad_u64_u32 v[16:17], s[38:39], v12, s26, v[18:19]
	v_mul_lo_u32 v20, v12, s27
	v_mul_lo_u32 v21, v13, s26
	v_add3_u32 v17, v21, v17, v20
	v_mad_u64_u32 v[18:19], s[38:39], v6, s26, v[18:19]
	v_mul_lo_u32 v20, v6, s27
	v_mul_lo_u32 v21, v7, s26
	v_add3_u32 v19, v21, v19, v20
	global_load_ubyte v20, v[16:17], off
	global_load_ubyte v21, v[18:19], off
	s_mov_b64 s[42:43], -1
	s_waitcnt vmcnt(0)
	v_cmp_eq_u16_e32 vcc, v20, v21
	s_and_saveexec_b64 s[38:39], vcc
	s_cbranch_execz .LBB338_142
; %bb.136:
	s_mov_b64 s[46:47], 1
	s_mov_b64 s[42:43], 0
                                        ; implicit-def: $sgpr44_sgpr45
	s_branch .LBB338_139
.LBB338_137:                            ;   in Loop: Header=BB338_139 Depth=1
	v_lshl_add_u64 v[20:21], v[16:17], 0, s[46:47]
	v_lshl_add_u64 v[30:31], v[18:19], 0, s[46:47]
	global_load_ubyte v32, v[20:21], off
	global_load_ubyte v33, v[30:31], off
	s_add_u32 s48, s46, 1
	s_addc_u32 s49, s47, 0
	s_andn2_b64 s[44:45], s[44:45], exec
	s_waitcnt vmcnt(0)
	v_cmp_ne_u16_e32 vcc, v32, v33
	s_and_b64 s[50:51], vcc, exec
	s_or_b64 s[44:45], s[44:45], s[50:51]
.LBB338_138:                            ;   in Loop: Header=BB338_139 Depth=1
	s_and_b64 s[50:51], exec, s[44:45]
	s_or_b64 s[42:43], s[50:51], s[42:43]
	v_mov_b64_e32 v[20:21], s[46:47]
	s_mov_b64 s[46:47], s[48:49]
	s_andn2_b64 exec, exec, s[42:43]
	s_cbranch_execz .LBB338_141
.LBB338_139:                            ; =>This Inner Loop Header: Depth=1
	s_or_b64 s[44:45], s[44:45], exec
	s_cmp_eq_u64 s[26:27], s[46:47]
	s_cbranch_scc0 .LBB338_137
; %bb.140:                              ;   in Loop: Header=BB338_139 Depth=1
                                        ; implicit-def: $sgpr48_sgpr49
	s_mov_b64 s[46:47], s[26:27]
	s_branch .LBB338_138
.LBB338_141:
	s_or_b64 exec, exec, s[42:43]
	v_cmp_gt_i64_e32 vcc, s[26:27], v[20:21]
	s_orn2_b64 s[42:43], vcc, exec
.LBB338_142:
	s_or_b64 exec, exec, s[38:39]
.LBB338_143:
	s_and_b64 s[38:39], s[42:43], exec
.LBB338_144:
	s_or_b64 exec, exec, s[40:41]
	v_cmp_gt_u32_e32 vcc, s3, v25
	s_and_saveexec_b64 s[40:41], vcc
	s_cbranch_execz .LBB338_155
; %bb.145:
	s_and_b64 vcc, exec, s[4:5]
	s_mov_b64 s[42:43], 0
	s_cbranch_vccnz .LBB338_154
; %bb.146:
	v_mov_b64_e32 v[18:19], s[28:29]
	v_mad_u64_u32 v[16:17], s[36:37], v10, s26, v[18:19]
	v_mul_lo_u32 v20, v10, s27
	v_mul_lo_u32 v21, v11, s26
	v_add3_u32 v17, v21, v17, v20
	v_mad_u64_u32 v[18:19], s[36:37], v12, s26, v[18:19]
	v_mul_lo_u32 v20, v12, s27
	v_mul_lo_u32 v21, v13, s26
	v_add3_u32 v19, v21, v19, v20
	global_load_ubyte v20, v[16:17], off
	global_load_ubyte v21, v[18:19], off
	s_mov_b64 s[42:43], -1
	s_waitcnt vmcnt(0)
	v_cmp_eq_u16_e32 vcc, v20, v21
	s_and_saveexec_b64 s[36:37], vcc
	s_cbranch_execz .LBB338_153
; %bb.147:
	s_mov_b64 s[46:47], 1
	s_mov_b64 s[42:43], 0
                                        ; implicit-def: $sgpr44_sgpr45
	s_branch .LBB338_150
.LBB338_148:                            ;   in Loop: Header=BB338_150 Depth=1
	v_lshl_add_u64 v[20:21], v[16:17], 0, s[46:47]
	v_lshl_add_u64 v[30:31], v[18:19], 0, s[46:47]
	global_load_ubyte v32, v[20:21], off
	global_load_ubyte v33, v[30:31], off
	s_add_u32 s48, s46, 1
	s_addc_u32 s49, s47, 0
	s_andn2_b64 s[44:45], s[44:45], exec
	s_waitcnt vmcnt(0)
	v_cmp_ne_u16_e32 vcc, v32, v33
	s_and_b64 s[50:51], vcc, exec
	s_or_b64 s[44:45], s[44:45], s[50:51]
.LBB338_149:                            ;   in Loop: Header=BB338_150 Depth=1
	s_and_b64 s[50:51], exec, s[44:45]
	s_or_b64 s[42:43], s[50:51], s[42:43]
	v_mov_b64_e32 v[20:21], s[46:47]
	s_mov_b64 s[46:47], s[48:49]
	s_andn2_b64 exec, exec, s[42:43]
	s_cbranch_execz .LBB338_152
.LBB338_150:                            ; =>This Inner Loop Header: Depth=1
	s_or_b64 s[44:45], s[44:45], exec
	s_cmp_eq_u64 s[26:27], s[46:47]
	s_cbranch_scc0 .LBB338_148
; %bb.151:                              ;   in Loop: Header=BB338_150 Depth=1
                                        ; implicit-def: $sgpr48_sgpr49
	s_mov_b64 s[46:47], s[26:27]
	s_branch .LBB338_149
.LBB338_152:
	s_or_b64 exec, exec, s[42:43]
	v_cmp_gt_i64_e32 vcc, s[26:27], v[20:21]
	s_orn2_b64 s[42:43], vcc, exec
.LBB338_153:
	s_or_b64 exec, exec, s[36:37]
.LBB338_154:
	s_and_b64 s[36:37], s[42:43], exec
.LBB338_155:
	s_or_b64 exec, exec, s[40:41]
	v_cmp_ne_u32_e32 vcc, 0, v0
	s_waitcnt lgkmcnt(0)
	v_mov_b64_e32 v[18:19], s[6:7]
	s_barrier
	s_and_saveexec_b64 s[6:7], vcc
	s_cbranch_execz .LBB338_157
; %bb.156:
	v_add_u32_e32 v16, -8, v23
	ds_read_b64 v[18:19], v16
.LBB338_157:
	s_or_b64 exec, exec, s[6:7]
	v_cndmask_b32_e64 v17, 0, 1, s[18:19]
	v_cndmask_b32_e64 v16, 0, 1, s[38:39]
	v_cndmask_b32_e64 v20, 0, 1, s[36:37]
	v_lshlrev_b16_e32 v17, 8, v17
	v_cmp_gt_u32_e32 vcc, s3, v1
	v_lshlrev_b16_e32 v23, 8, v20
	v_or_b32_sdwa v30, v16, v17 dst_sel:WORD_1 dst_unused:UNUSED_PAD src0_sel:DWORD src1_sel:DWORD
	s_mov_b64 s[18:19], 0
	s_and_saveexec_b64 s[6:7], vcc
	s_cbranch_execz .LBB338_168
; %bb.158:
	s_and_b64 vcc, exec, s[4:5]
	s_cbranch_vccnz .LBB338_167
; %bb.159:
	v_mov_b64_e32 v[20:21], s[28:29]
	s_waitcnt lgkmcnt(0)
	v_mad_u64_u32 v[16:17], s[4:5], v18, s26, v[20:21]
	v_mul_lo_u32 v18, v18, s27
	v_mul_lo_u32 v19, v19, s26
	v_add3_u32 v17, v19, v17, v18
	v_mad_u64_u32 v[18:19], s[4:5], v10, s26, v[20:21]
	v_mul_lo_u32 v20, v10, s27
	v_mul_lo_u32 v21, v11, s26
	v_add3_u32 v19, v21, v19, v20
	global_load_ubyte v20, v[16:17], off
	global_load_ubyte v21, v[18:19], off
	s_mov_b64 s[18:19], -1
	s_waitcnt vmcnt(0)
	v_cmp_eq_u16_e32 vcc, v20, v21
	s_and_saveexec_b64 s[4:5], vcc
	s_cbranch_execz .LBB338_166
; %bb.160:
	s_mov_b64 s[38:39], 1
	s_mov_b64 s[18:19], 0
                                        ; implicit-def: $sgpr36_sgpr37
	s_branch .LBB338_163
.LBB338_161:                            ;   in Loop: Header=BB338_163 Depth=1
	v_lshl_add_u64 v[20:21], v[16:17], 0, s[38:39]
	v_lshl_add_u64 v[32:33], v[18:19], 0, s[38:39]
	global_load_ubyte v31, v[20:21], off
	global_load_ubyte v34, v[32:33], off
	s_add_u32 s40, s38, 1
	s_addc_u32 s41, s39, 0
	s_andn2_b64 s[36:37], s[36:37], exec
	s_waitcnt vmcnt(0)
	v_cmp_ne_u16_e32 vcc, v31, v34
	s_and_b64 s[42:43], vcc, exec
	s_or_b64 s[36:37], s[36:37], s[42:43]
.LBB338_162:                            ;   in Loop: Header=BB338_163 Depth=1
	s_and_b64 s[42:43], exec, s[36:37]
	s_or_b64 s[18:19], s[42:43], s[18:19]
	v_mov_b64_e32 v[20:21], s[38:39]
	s_mov_b64 s[38:39], s[40:41]
	s_andn2_b64 exec, exec, s[18:19]
	s_cbranch_execz .LBB338_165
.LBB338_163:                            ; =>This Inner Loop Header: Depth=1
	s_or_b64 s[36:37], s[36:37], exec
	s_cmp_eq_u64 s[26:27], s[38:39]
	s_cbranch_scc0 .LBB338_161
; %bb.164:                              ;   in Loop: Header=BB338_163 Depth=1
                                        ; implicit-def: $sgpr40_sgpr41
	s_mov_b64 s[38:39], s[26:27]
	s_branch .LBB338_162
.LBB338_165:
	s_or_b64 exec, exec, s[18:19]
	v_cmp_gt_i64_e32 vcc, s[26:27], v[20:21]
	s_orn2_b64 s[18:19], vcc, exec
.LBB338_166:
	s_or_b64 exec, exec, s[4:5]
.LBB338_167:
	s_and_b64 s[18:19], s[18:19], exec
.LBB338_168:
	s_or_b64 exec, exec, s[6:7]
	v_cndmask_b32_e64 v31, 0, 1, s[14:15]
	v_cndmask_b32_e64 v32, 0, 1, s[12:13]
	;; [unrolled: 1-line block ×3, first 2 shown]
	v_or_b32_e32 v20, v23, v30
.LBB338_169:
	s_mov_b64 s[10:11], -1
	s_cbranch_execnz .LBB338_28
.LBB338_170:
	s_movk_i32 s4, 0xffd0
	v_mad_i32_i24 v30, v0, s4, v22
	s_mov_b64 s[12:13], 0
	s_waitcnt lgkmcnt(0)
	v_cmp_gt_i64_e64 s[6:7], s[26:27], 0
	s_and_b64 vcc, exec, s[34:35]
	ds_write_b64 v30, v[14:15]
	s_cbranch_vccz .LBB338_178
; %bb.171:
	v_mul_lo_u32 v18, v5, s26
	v_mul_lo_u32 v19, v4, s27
	v_mad_u64_u32 v[16:17], s[4:5], v4, s26, 0
	v_add3_u32 v17, v17, v19, v18
	v_cndmask_b32_e64 v18, 0, 1, s[6:7]
	v_cmp_ne_u32_e64 s[4:5], 1, v18
	s_andn2_b64 vcc, exec, s[6:7]
	v_lshl_add_u64 v[16:17], s[28:29], 0, v[16:17]
	s_cbranch_vccnz .LBB338_181
; %bb.172:
	v_mov_b64_e32 v[18:19], s[28:29]
	v_mad_u64_u32 v[18:19], s[12:13], v14, s26, v[18:19]
	v_mul_lo_u32 v20, v14, s27
	v_mul_lo_u32 v21, v15, s26
	v_add3_u32 v19, v21, v19, v20
	global_load_ubyte v20, v[16:17], off
	global_load_ubyte v21, v[18:19], off
	s_mov_b64 s[12:13], -1
	s_waitcnt vmcnt(0)
	v_cmp_eq_u16_e32 vcc, v20, v21
	s_and_saveexec_b64 s[14:15], vcc
	s_cbranch_execz .LBB338_180
; %bb.173:
	s_mov_b64 s[36:37], 1
	s_mov_b64 s[12:13], 0
                                        ; implicit-def: $sgpr18_sgpr19
	s_branch .LBB338_176
.LBB338_174:                            ;   in Loop: Header=BB338_176 Depth=1
	v_lshl_add_u64 v[20:21], v[16:17], 0, s[36:37]
	v_lshl_add_u64 v[22:23], v[18:19], 0, s[36:37]
	global_load_ubyte v31, v[20:21], off
	global_load_ubyte v32, v[22:23], off
	s_add_u32 s38, s36, 1
	s_addc_u32 s39, s37, 0
	s_andn2_b64 s[18:19], s[18:19], exec
	s_waitcnt vmcnt(0)
	v_cmp_ne_u16_e32 vcc, v31, v32
	s_and_b64 s[40:41], vcc, exec
	s_or_b64 s[18:19], s[18:19], s[40:41]
.LBB338_175:                            ;   in Loop: Header=BB338_176 Depth=1
	s_and_b64 s[40:41], exec, s[18:19]
	s_or_b64 s[12:13], s[40:41], s[12:13]
	v_mov_b64_e32 v[20:21], s[36:37]
	s_mov_b64 s[36:37], s[38:39]
	s_andn2_b64 exec, exec, s[12:13]
	s_cbranch_execz .LBB338_179
.LBB338_176:                            ; =>This Inner Loop Header: Depth=1
	s_or_b64 s[18:19], s[18:19], exec
	s_cmp_eq_u64 s[26:27], s[36:37]
	s_cbranch_scc0 .LBB338_174
; %bb.177:                              ;   in Loop: Header=BB338_176 Depth=1
                                        ; implicit-def: $sgpr38_sgpr39
	s_mov_b64 s[36:37], s[26:27]
	s_branch .LBB338_175
.LBB338_178:
                                        ; implicit-def: $sgpr18_sgpr19
                                        ; implicit-def: $vgpr33
                                        ; implicit-def: $vgpr32
                                        ; implicit-def: $vgpr31
                                        ; implicit-def: $vgpr20
                                        ; implicit-def: $vgpr16_vgpr17
	s_cbranch_execnz .LBB338_238
	s_branch .LBB338_318
.LBB338_179:
	s_or_b64 exec, exec, s[12:13]
	v_cmp_gt_i64_e32 vcc, s[26:27], v[20:21]
	s_orn2_b64 s[12:13], vcc, exec
.LBB338_180:
	s_or_b64 exec, exec, s[14:15]
.LBB338_181:
	v_mul_lo_u32 v20, v3, s26
	v_mul_lo_u32 v21, v2, s27
	v_mad_u64_u32 v[18:19], s[14:15], v2, s26, 0
	v_add3_u32 v19, v19, v21, v20
	s_mov_b64 s[14:15], 0
	s_and_b64 vcc, exec, s[4:5]
	v_lshl_add_u64 v[18:19], s[28:29], 0, v[18:19]
	s_mov_b64 s[18:19], 0
	s_cbranch_vccnz .LBB338_190
; %bb.182:
	global_load_ubyte v20, v[18:19], off
	global_load_ubyte v21, v[16:17], off
	s_mov_b64 s[18:19], -1
	s_waitcnt vmcnt(0)
	v_cmp_eq_u16_e32 vcc, v20, v21
	s_and_saveexec_b64 s[36:37], vcc
	s_cbranch_execz .LBB338_189
; %bb.183:
	s_mov_b64 s[40:41], 1
	s_mov_b64 s[18:19], 0
                                        ; implicit-def: $sgpr38_sgpr39
	s_branch .LBB338_186
.LBB338_184:                            ;   in Loop: Header=BB338_186 Depth=1
	v_lshl_add_u64 v[20:21], v[18:19], 0, s[40:41]
	v_lshl_add_u64 v[22:23], v[16:17], 0, s[40:41]
	global_load_ubyte v31, v[20:21], off
	global_load_ubyte v32, v[22:23], off
	s_add_u32 s42, s40, 1
	s_addc_u32 s43, s41, 0
	s_andn2_b64 s[38:39], s[38:39], exec
	s_waitcnt vmcnt(0)
	v_cmp_ne_u16_e32 vcc, v31, v32
	s_and_b64 s[44:45], vcc, exec
	s_or_b64 s[38:39], s[38:39], s[44:45]
.LBB338_185:                            ;   in Loop: Header=BB338_186 Depth=1
	s_and_b64 s[44:45], exec, s[38:39]
	s_or_b64 s[18:19], s[44:45], s[18:19]
	v_mov_b64_e32 v[20:21], s[40:41]
	s_mov_b64 s[40:41], s[42:43]
	s_andn2_b64 exec, exec, s[18:19]
	s_cbranch_execz .LBB338_188
.LBB338_186:                            ; =>This Inner Loop Header: Depth=1
	s_or_b64 s[38:39], s[38:39], exec
	s_cmp_eq_u64 s[26:27], s[40:41]
	s_cbranch_scc0 .LBB338_184
; %bb.187:                              ;   in Loop: Header=BB338_186 Depth=1
                                        ; implicit-def: $sgpr42_sgpr43
	s_mov_b64 s[40:41], s[26:27]
	s_branch .LBB338_185
.LBB338_188:
	s_or_b64 exec, exec, s[18:19]
	v_cmp_gt_i64_e32 vcc, s[26:27], v[20:21]
	s_orn2_b64 s[18:19], vcc, exec
.LBB338_189:
	s_or_b64 exec, exec, s[36:37]
.LBB338_190:
	v_mul_lo_u32 v20, v9, s26
	v_mul_lo_u32 v21, v8, s27
	v_mad_u64_u32 v[16:17], s[36:37], v8, s26, 0
	v_add3_u32 v17, v17, v21, v20
	s_and_b64 vcc, exec, s[4:5]
	v_lshl_add_u64 v[16:17], s[28:29], 0, v[16:17]
	s_cbranch_vccnz .LBB338_199
; %bb.191:
	global_load_ubyte v20, v[16:17], off
	global_load_ubyte v21, v[18:19], off
	s_mov_b64 s[14:15], -1
	s_waitcnt vmcnt(0)
	v_cmp_eq_u16_e32 vcc, v20, v21
	s_and_saveexec_b64 s[36:37], vcc
	s_cbranch_execz .LBB338_198
; %bb.192:
	s_mov_b64 s[40:41], 1
	s_mov_b64 s[14:15], 0
                                        ; implicit-def: $sgpr38_sgpr39
	s_branch .LBB338_195
.LBB338_193:                            ;   in Loop: Header=BB338_195 Depth=1
	v_lshl_add_u64 v[20:21], v[16:17], 0, s[40:41]
	v_lshl_add_u64 v[22:23], v[18:19], 0, s[40:41]
	global_load_ubyte v31, v[20:21], off
	global_load_ubyte v32, v[22:23], off
	s_add_u32 s42, s40, 1
	s_addc_u32 s43, s41, 0
	s_andn2_b64 s[38:39], s[38:39], exec
	s_waitcnt vmcnt(0)
	v_cmp_ne_u16_e32 vcc, v31, v32
	s_and_b64 s[44:45], vcc, exec
	s_or_b64 s[38:39], s[38:39], s[44:45]
.LBB338_194:                            ;   in Loop: Header=BB338_195 Depth=1
	s_and_b64 s[44:45], exec, s[38:39]
	s_or_b64 s[14:15], s[44:45], s[14:15]
	v_mov_b64_e32 v[20:21], s[40:41]
	s_mov_b64 s[40:41], s[42:43]
	s_andn2_b64 exec, exec, s[14:15]
	s_cbranch_execz .LBB338_197
.LBB338_195:                            ; =>This Inner Loop Header: Depth=1
	s_or_b64 s[38:39], s[38:39], exec
	s_cmp_eq_u64 s[26:27], s[40:41]
	s_cbranch_scc0 .LBB338_193
; %bb.196:                              ;   in Loop: Header=BB338_195 Depth=1
                                        ; implicit-def: $sgpr42_sgpr43
	s_mov_b64 s[40:41], s[26:27]
	s_branch .LBB338_194
.LBB338_197:
	s_or_b64 exec, exec, s[14:15]
	v_cmp_gt_i64_e32 vcc, s[26:27], v[20:21]
	s_orn2_b64 s[14:15], vcc, exec
.LBB338_198:
	s_or_b64 exec, exec, s[36:37]
.LBB338_199:
	v_mul_lo_u32 v20, v7, s26
	v_mul_lo_u32 v21, v6, s27
	v_mad_u64_u32 v[18:19], s[36:37], v6, s26, 0
	v_add3_u32 v19, v19, v21, v20
	s_mov_b64 s[36:37], 0
	s_and_b64 vcc, exec, s[4:5]
	v_lshl_add_u64 v[18:19], s[28:29], 0, v[18:19]
	s_mov_b64 s[38:39], 0
	s_cbranch_vccnz .LBB338_208
; %bb.200:
	global_load_ubyte v20, v[18:19], off
	global_load_ubyte v21, v[16:17], off
	s_mov_b64 s[38:39], -1
	s_waitcnt vmcnt(0)
	v_cmp_eq_u16_e32 vcc, v20, v21
	s_and_saveexec_b64 s[40:41], vcc
	s_cbranch_execz .LBB338_207
; %bb.201:
	s_mov_b64 s[44:45], 1
	s_mov_b64 s[38:39], 0
                                        ; implicit-def: $sgpr42_sgpr43
	s_branch .LBB338_204
.LBB338_202:                            ;   in Loop: Header=BB338_204 Depth=1
	v_lshl_add_u64 v[20:21], v[18:19], 0, s[44:45]
	v_lshl_add_u64 v[22:23], v[16:17], 0, s[44:45]
	global_load_ubyte v31, v[20:21], off
	global_load_ubyte v32, v[22:23], off
	s_add_u32 s46, s44, 1
	s_addc_u32 s47, s45, 0
	s_andn2_b64 s[42:43], s[42:43], exec
	s_waitcnt vmcnt(0)
	v_cmp_ne_u16_e32 vcc, v31, v32
	s_and_b64 s[48:49], vcc, exec
	s_or_b64 s[42:43], s[42:43], s[48:49]
.LBB338_203:                            ;   in Loop: Header=BB338_204 Depth=1
	s_and_b64 s[48:49], exec, s[42:43]
	s_or_b64 s[38:39], s[48:49], s[38:39]
	v_mov_b64_e32 v[20:21], s[44:45]
	s_mov_b64 s[44:45], s[46:47]
	s_andn2_b64 exec, exec, s[38:39]
	s_cbranch_execz .LBB338_206
.LBB338_204:                            ; =>This Inner Loop Header: Depth=1
	s_or_b64 s[42:43], s[42:43], exec
	s_cmp_eq_u64 s[26:27], s[44:45]
	s_cbranch_scc0 .LBB338_202
; %bb.205:                              ;   in Loop: Header=BB338_204 Depth=1
                                        ; implicit-def: $sgpr46_sgpr47
	s_mov_b64 s[44:45], s[26:27]
	s_branch .LBB338_203
.LBB338_206:
	s_or_b64 exec, exec, s[38:39]
	v_cmp_gt_i64_e32 vcc, s[26:27], v[20:21]
	s_orn2_b64 s[38:39], vcc, exec
.LBB338_207:
	s_or_b64 exec, exec, s[40:41]
.LBB338_208:
	v_mul_lo_u32 v20, v13, s26
	v_mul_lo_u32 v21, v12, s27
	v_mad_u64_u32 v[16:17], s[40:41], v12, s26, 0
	v_add3_u32 v17, v17, v21, v20
	s_and_b64 vcc, exec, s[4:5]
	v_lshl_add_u64 v[16:17], s[28:29], 0, v[16:17]
	s_cbranch_vccnz .LBB338_217
; %bb.209:
	global_load_ubyte v20, v[16:17], off
	global_load_ubyte v21, v[18:19], off
	s_mov_b64 s[36:37], -1
	s_waitcnt vmcnt(0)
	v_cmp_eq_u16_e32 vcc, v20, v21
	s_and_saveexec_b64 s[40:41], vcc
	s_cbranch_execz .LBB338_216
; %bb.210:
	s_mov_b64 s[44:45], 1
	s_mov_b64 s[36:37], 0
                                        ; implicit-def: $sgpr42_sgpr43
	s_branch .LBB338_213
.LBB338_211:                            ;   in Loop: Header=BB338_213 Depth=1
	v_lshl_add_u64 v[20:21], v[16:17], 0, s[44:45]
	v_lshl_add_u64 v[22:23], v[18:19], 0, s[44:45]
	global_load_ubyte v31, v[20:21], off
	global_load_ubyte v32, v[22:23], off
	s_add_u32 s46, s44, 1
	s_addc_u32 s47, s45, 0
	s_andn2_b64 s[42:43], s[42:43], exec
	s_waitcnt vmcnt(0)
	v_cmp_ne_u16_e32 vcc, v31, v32
	s_and_b64 s[48:49], vcc, exec
	s_or_b64 s[42:43], s[42:43], s[48:49]
.LBB338_212:                            ;   in Loop: Header=BB338_213 Depth=1
	s_and_b64 s[48:49], exec, s[42:43]
	s_or_b64 s[36:37], s[48:49], s[36:37]
	v_mov_b64_e32 v[20:21], s[44:45]
	s_mov_b64 s[44:45], s[46:47]
	s_andn2_b64 exec, exec, s[36:37]
	s_cbranch_execz .LBB338_215
.LBB338_213:                            ; =>This Inner Loop Header: Depth=1
	s_or_b64 s[42:43], s[42:43], exec
	s_cmp_eq_u64 s[26:27], s[44:45]
	s_cbranch_scc0 .LBB338_211
; %bb.214:                              ;   in Loop: Header=BB338_213 Depth=1
                                        ; implicit-def: $sgpr46_sgpr47
	s_mov_b64 s[44:45], s[26:27]
	s_branch .LBB338_212
.LBB338_215:
	s_or_b64 exec, exec, s[36:37]
	v_cmp_gt_i64_e32 vcc, s[26:27], v[20:21]
	s_orn2_b64 s[36:37], vcc, exec
.LBB338_216:
	s_or_b64 exec, exec, s[40:41]
.LBB338_217:
	v_mul_lo_u32 v20, v11, s26
	v_mul_lo_u32 v21, v10, s27
	v_mad_u64_u32 v[18:19], s[40:41], v10, s26, 0
	v_add3_u32 v19, v19, v21, v20
	s_and_b64 vcc, exec, s[4:5]
	s_mov_b64 s[42:43], 0
	s_cbranch_vccnz .LBB338_226
; %bb.218:
	v_lshl_add_u64 v[20:21], s[28:29], 0, v[18:19]
	global_load_ubyte v22, v[20:21], off
	global_load_ubyte v23, v[16:17], off
	s_mov_b64 s[42:43], -1
	s_waitcnt vmcnt(0)
	v_cmp_eq_u16_e32 vcc, v22, v23
	s_and_saveexec_b64 s[40:41], vcc
	s_cbranch_execz .LBB338_225
; %bb.219:
	s_mov_b64 s[46:47], 1
	s_mov_b64 s[42:43], 0
                                        ; implicit-def: $sgpr44_sgpr45
	s_branch .LBB338_222
.LBB338_220:                            ;   in Loop: Header=BB338_222 Depth=1
	v_lshl_add_u64 v[22:23], v[20:21], 0, s[46:47]
	v_lshl_add_u64 v[32:33], v[16:17], 0, s[46:47]
	global_load_ubyte v31, v[22:23], off
	global_load_ubyte v34, v[32:33], off
	s_add_u32 s48, s46, 1
	s_addc_u32 s49, s47, 0
	s_andn2_b64 s[44:45], s[44:45], exec
	s_waitcnt vmcnt(0)
	v_cmp_ne_u16_e32 vcc, v31, v34
	s_and_b64 s[50:51], vcc, exec
	s_or_b64 s[44:45], s[44:45], s[50:51]
.LBB338_221:                            ;   in Loop: Header=BB338_222 Depth=1
	s_and_b64 s[50:51], exec, s[44:45]
	s_or_b64 s[42:43], s[50:51], s[42:43]
	v_mov_b64_e32 v[22:23], s[46:47]
	s_mov_b64 s[46:47], s[48:49]
	s_andn2_b64 exec, exec, s[42:43]
	s_cbranch_execz .LBB338_224
.LBB338_222:                            ; =>This Inner Loop Header: Depth=1
	s_or_b64 s[44:45], s[44:45], exec
	s_cmp_eq_u64 s[26:27], s[46:47]
	s_cbranch_scc0 .LBB338_220
; %bb.223:                              ;   in Loop: Header=BB338_222 Depth=1
                                        ; implicit-def: $sgpr48_sgpr49
	s_mov_b64 s[46:47], s[26:27]
	s_branch .LBB338_221
.LBB338_224:
	s_or_b64 exec, exec, s[42:43]
	v_cmp_gt_i64_e32 vcc, s[26:27], v[22:23]
	s_orn2_b64 s[42:43], vcc, exec
.LBB338_225:
	s_or_b64 exec, exec, s[40:41]
.LBB338_226:
	v_cndmask_b32_e64 v17, 0, 1, s[38:39]
	v_cndmask_b32_e64 v16, 0, 1, s[36:37]
	;; [unrolled: 1-line block ×3, first 2 shown]
	v_lshlrev_b16_e32 v17, 8, v17
	v_cndmask_b32_e64 v31, 0, 1, s[14:15]
	v_cndmask_b32_e64 v20, 0, 1, s[42:43]
	v_or_b32_sdwa v16, v16, v17 dst_sel:WORD_1 dst_unused:UNUSED_PAD src0_sel:DWORD src1_sel:DWORD
	v_lshlrev_b16_e32 v17, 8, v32
	v_lshlrev_b16_e32 v20, 8, v20
	v_or_b32_e32 v17, v31, v17
	v_or_b32_e32 v20, 1, v20
	v_and_b32_e32 v17, 0xffff, v17
	v_cndmask_b32_e64 v33, 0, 1, s[12:13]
	v_or_b32_sdwa v16, v20, v16 dst_sel:DWORD dst_unused:UNUSED_PAD src0_sel:WORD_0 src1_sel:DWORD
	v_lshl_or_b32 v17, v33, 16, v17
	v_cmp_ne_u32_e32 vcc, 0, v0
	s_waitcnt lgkmcnt(0)
	s_barrier
	s_waitcnt lgkmcnt(0)
                                        ; implicit-def: $sgpr18_sgpr19
                                        ; implicit-def: $vgpr20
	s_and_saveexec_b64 s[12:13], vcc
	s_xor_b64 s[12:13], exec, s[12:13]
	s_cbranch_execz .LBB338_237
; %bb.227:
	s_mov_b32 s33, 0x3020104
	s_and_b64 vcc, exec, s[4:5]
	s_mov_b64 s[14:15], 0
	s_cbranch_vccnz .LBB338_236
; %bb.228:
	v_add_u32_e32 v17, -8, v30
	ds_read_b64 v[20:21], v17
	v_mov_b64_e32 v[22:23], s[28:29]
	v_lshl_add_u64 v[18:19], s[28:29], 0, v[18:19]
	s_mov_b64 s[14:15], -1
	s_waitcnt lgkmcnt(0)
	v_mul_lo_u32 v17, v20, s27
	v_mul_lo_u32 v34, v21, s26
	v_mad_u64_u32 v[20:21], s[4:5], v20, s26, v[22:23]
	v_add3_u32 v21, v34, v21, v17
	global_load_ubyte v17, v[18:19], off
	global_load_ubyte v22, v[20:21], off
	s_waitcnt vmcnt(0)
	v_cmp_eq_u16_e32 vcc, v22, v17
	s_and_saveexec_b64 s[4:5], vcc
	s_cbranch_execz .LBB338_235
; %bb.229:
	s_mov_b64 s[36:37], 1
	s_mov_b64 s[14:15], 0
                                        ; implicit-def: $sgpr18_sgpr19
	s_branch .LBB338_232
.LBB338_230:                            ;   in Loop: Header=BB338_232 Depth=1
	v_lshl_add_u64 v[22:23], v[20:21], 0, s[36:37]
	v_lshl_add_u64 v[34:35], v[18:19], 0, s[36:37]
	global_load_ubyte v17, v[22:23], off
	global_load_ubyte v36, v[34:35], off
	s_add_u32 s38, s36, 1
	s_addc_u32 s39, s37, 0
	s_andn2_b64 s[18:19], s[18:19], exec
	s_waitcnt vmcnt(0)
	v_cmp_ne_u16_e32 vcc, v17, v36
	s_and_b64 s[40:41], vcc, exec
	s_or_b64 s[18:19], s[18:19], s[40:41]
.LBB338_231:                            ;   in Loop: Header=BB338_232 Depth=1
	s_and_b64 s[40:41], exec, s[18:19]
	s_or_b64 s[14:15], s[40:41], s[14:15]
	v_mov_b64_e32 v[22:23], s[36:37]
	s_mov_b64 s[36:37], s[38:39]
	s_andn2_b64 exec, exec, s[14:15]
	s_cbranch_execz .LBB338_234
.LBB338_232:                            ; =>This Inner Loop Header: Depth=1
	s_or_b64 s[18:19], s[18:19], exec
	s_cmp_eq_u64 s[26:27], s[36:37]
	s_cbranch_scc0 .LBB338_230
; %bb.233:                              ;   in Loop: Header=BB338_232 Depth=1
                                        ; implicit-def: $sgpr38_sgpr39
	s_mov_b64 s[36:37], s[26:27]
	s_branch .LBB338_231
.LBB338_234:
	s_or_b64 exec, exec, s[14:15]
	v_cmp_gt_i64_e32 vcc, s[26:27], v[22:23]
	s_orn2_b64 s[14:15], vcc, exec
.LBB338_235:
	s_or_b64 exec, exec, s[4:5]
.LBB338_236:
	v_perm_b32 v20, v16, v16, s33
	s_and_b64 s[18:19], s[14:15], exec
	s_or_b64 s[10:11], s[10:11], exec
                                        ; implicit-def: $vgpr16_vgpr17
.LBB338_237:
	s_or_b64 exec, exec, s[12:13]
	s_branch .LBB338_318
.LBB338_238:
	v_cmp_gt_u32_e32 vcc, s3, v27
	s_mov_b64 s[12:13], 0
	s_mov_b64 s[4:5], 0
	s_and_saveexec_b64 s[14:15], vcc
	s_cbranch_execz .LBB338_249
; %bb.239:
	s_andn2_b64 vcc, exec, s[6:7]
	s_mov_b64 s[18:19], 0
	s_cbranch_vccnz .LBB338_248
; %bb.240:
	v_mov_b64_e32 v[18:19], s[28:29]
	v_mad_u64_u32 v[16:17], s[4:5], v4, s26, v[18:19]
	v_mul_lo_u32 v20, v4, s27
	v_mul_lo_u32 v21, v5, s26
	v_add3_u32 v17, v21, v17, v20
	v_mad_u64_u32 v[18:19], s[4:5], v14, s26, v[18:19]
	v_mul_lo_u32 v20, v14, s27
	v_mul_lo_u32 v21, v15, s26
	v_add3_u32 v19, v21, v19, v20
	global_load_ubyte v20, v[16:17], off
	global_load_ubyte v21, v[18:19], off
	s_mov_b64 s[18:19], -1
	s_waitcnt vmcnt(0)
	v_cmp_eq_u16_e32 vcc, v20, v21
	s_and_saveexec_b64 s[4:5], vcc
	s_cbranch_execz .LBB338_247
; %bb.241:
	s_mov_b64 s[38:39], 1
	s_mov_b64 s[18:19], 0
                                        ; implicit-def: $sgpr36_sgpr37
	s_branch .LBB338_244
.LBB338_242:                            ;   in Loop: Header=BB338_244 Depth=1
	v_lshl_add_u64 v[20:21], v[16:17], 0, s[38:39]
	v_lshl_add_u64 v[22:23], v[18:19], 0, s[38:39]
	global_load_ubyte v31, v[20:21], off
	global_load_ubyte v32, v[22:23], off
	s_add_u32 s40, s38, 1
	s_addc_u32 s41, s39, 0
	s_andn2_b64 s[36:37], s[36:37], exec
	s_waitcnt vmcnt(0)
	v_cmp_ne_u16_e32 vcc, v31, v32
	s_and_b64 s[42:43], vcc, exec
	s_or_b64 s[36:37], s[36:37], s[42:43]
.LBB338_243:                            ;   in Loop: Header=BB338_244 Depth=1
	s_and_b64 s[42:43], exec, s[36:37]
	s_or_b64 s[18:19], s[42:43], s[18:19]
	v_mov_b64_e32 v[20:21], s[38:39]
	s_mov_b64 s[38:39], s[40:41]
	s_andn2_b64 exec, exec, s[18:19]
	s_cbranch_execz .LBB338_246
.LBB338_244:                            ; =>This Inner Loop Header: Depth=1
	s_or_b64 s[36:37], s[36:37], exec
	s_cmp_eq_u64 s[26:27], s[38:39]
	s_cbranch_scc0 .LBB338_242
; %bb.245:                              ;   in Loop: Header=BB338_244 Depth=1
                                        ; implicit-def: $sgpr40_sgpr41
	s_mov_b64 s[38:39], s[26:27]
	s_branch .LBB338_243
.LBB338_246:
	s_or_b64 exec, exec, s[18:19]
	v_cmp_gt_i64_e32 vcc, s[26:27], v[20:21]
	s_orn2_b64 s[18:19], vcc, exec
.LBB338_247:
	s_or_b64 exec, exec, s[4:5]
.LBB338_248:
	s_and_b64 s[4:5], s[18:19], exec
.LBB338_249:
	s_or_b64 exec, exec, s[14:15]
	v_cmp_gt_u32_e32 vcc, s3, v29
	s_and_saveexec_b64 s[14:15], vcc
	s_cbranch_execz .LBB338_260
; %bb.250:
	s_andn2_b64 vcc, exec, s[6:7]
	s_mov_b64 s[18:19], 0
	s_cbranch_vccnz .LBB338_259
; %bb.251:
	v_mov_b64_e32 v[18:19], s[28:29]
	v_mad_u64_u32 v[16:17], s[12:13], v2, s26, v[18:19]
	v_mul_lo_u32 v20, v2, s27
	v_mul_lo_u32 v21, v3, s26
	v_add3_u32 v17, v21, v17, v20
	v_mad_u64_u32 v[18:19], s[12:13], v4, s26, v[18:19]
	v_mul_lo_u32 v20, v4, s27
	v_mul_lo_u32 v21, v5, s26
	v_add3_u32 v19, v21, v19, v20
	global_load_ubyte v20, v[16:17], off
	global_load_ubyte v21, v[18:19], off
	s_mov_b64 s[18:19], -1
	s_waitcnt vmcnt(0)
	v_cmp_eq_u16_e32 vcc, v20, v21
	s_and_saveexec_b64 s[12:13], vcc
	s_cbranch_execz .LBB338_258
; %bb.252:
	s_mov_b64 s[38:39], 1
	s_mov_b64 s[18:19], 0
                                        ; implicit-def: $sgpr36_sgpr37
	s_branch .LBB338_255
.LBB338_253:                            ;   in Loop: Header=BB338_255 Depth=1
	v_lshl_add_u64 v[20:21], v[16:17], 0, s[38:39]
	v_lshl_add_u64 v[22:23], v[18:19], 0, s[38:39]
	global_load_ubyte v31, v[20:21], off
	global_load_ubyte v32, v[22:23], off
	s_add_u32 s40, s38, 1
	s_addc_u32 s41, s39, 0
	s_andn2_b64 s[36:37], s[36:37], exec
	s_waitcnt vmcnt(0)
	v_cmp_ne_u16_e32 vcc, v31, v32
	s_and_b64 s[42:43], vcc, exec
	s_or_b64 s[36:37], s[36:37], s[42:43]
.LBB338_254:                            ;   in Loop: Header=BB338_255 Depth=1
	s_and_b64 s[42:43], exec, s[36:37]
	s_or_b64 s[18:19], s[42:43], s[18:19]
	v_mov_b64_e32 v[20:21], s[38:39]
	s_mov_b64 s[38:39], s[40:41]
	s_andn2_b64 exec, exec, s[18:19]
	s_cbranch_execz .LBB338_257
.LBB338_255:                            ; =>This Inner Loop Header: Depth=1
	s_or_b64 s[36:37], s[36:37], exec
	s_cmp_eq_u64 s[26:27], s[38:39]
	s_cbranch_scc0 .LBB338_253
; %bb.256:                              ;   in Loop: Header=BB338_255 Depth=1
                                        ; implicit-def: $sgpr40_sgpr41
	s_mov_b64 s[38:39], s[26:27]
	s_branch .LBB338_254
.LBB338_257:
	s_or_b64 exec, exec, s[18:19]
	v_cmp_gt_i64_e32 vcc, s[26:27], v[20:21]
	s_orn2_b64 s[18:19], vcc, exec
.LBB338_258:
	s_or_b64 exec, exec, s[12:13]
.LBB338_259:
	s_and_b64 s[12:13], s[18:19], exec
.LBB338_260:
	s_or_b64 exec, exec, s[14:15]
	v_cmp_gt_u32_e32 vcc, s3, v26
	s_mov_b64 s[18:19], 0
	s_mov_b64 s[14:15], 0
	s_and_saveexec_b64 s[36:37], vcc
	s_cbranch_execz .LBB338_271
; %bb.261:
	s_andn2_b64 vcc, exec, s[6:7]
	s_mov_b64 s[38:39], 0
	s_cbranch_vccnz .LBB338_270
; %bb.262:
	v_mov_b64_e32 v[18:19], s[28:29]
	v_mad_u64_u32 v[16:17], s[14:15], v8, s26, v[18:19]
	v_mul_lo_u32 v20, v8, s27
	v_mul_lo_u32 v21, v9, s26
	v_add3_u32 v17, v21, v17, v20
	v_mad_u64_u32 v[18:19], s[14:15], v2, s26, v[18:19]
	v_mul_lo_u32 v20, v2, s27
	v_mul_lo_u32 v21, v3, s26
	v_add3_u32 v19, v21, v19, v20
	global_load_ubyte v20, v[16:17], off
	global_load_ubyte v21, v[18:19], off
	s_mov_b64 s[38:39], -1
	s_waitcnt vmcnt(0)
	v_cmp_eq_u16_e32 vcc, v20, v21
	s_and_saveexec_b64 s[14:15], vcc
	s_cbranch_execz .LBB338_269
; %bb.263:
	s_mov_b64 s[42:43], 1
	s_mov_b64 s[38:39], 0
                                        ; implicit-def: $sgpr40_sgpr41
	s_branch .LBB338_266
.LBB338_264:                            ;   in Loop: Header=BB338_266 Depth=1
	v_lshl_add_u64 v[20:21], v[16:17], 0, s[42:43]
	v_lshl_add_u64 v[22:23], v[18:19], 0, s[42:43]
	global_load_ubyte v31, v[20:21], off
	global_load_ubyte v32, v[22:23], off
	s_add_u32 s44, s42, 1
	s_addc_u32 s45, s43, 0
	s_andn2_b64 s[40:41], s[40:41], exec
	s_waitcnt vmcnt(0)
	v_cmp_ne_u16_e32 vcc, v31, v32
	s_and_b64 s[46:47], vcc, exec
	s_or_b64 s[40:41], s[40:41], s[46:47]
.LBB338_265:                            ;   in Loop: Header=BB338_266 Depth=1
	s_and_b64 s[46:47], exec, s[40:41]
	s_or_b64 s[38:39], s[46:47], s[38:39]
	v_mov_b64_e32 v[20:21], s[42:43]
	s_mov_b64 s[42:43], s[44:45]
	s_andn2_b64 exec, exec, s[38:39]
	s_cbranch_execz .LBB338_268
.LBB338_266:                            ; =>This Inner Loop Header: Depth=1
	s_or_b64 s[40:41], s[40:41], exec
	s_cmp_eq_u64 s[26:27], s[42:43]
	s_cbranch_scc0 .LBB338_264
; %bb.267:                              ;   in Loop: Header=BB338_266 Depth=1
                                        ; implicit-def: $sgpr44_sgpr45
	s_mov_b64 s[42:43], s[26:27]
	s_branch .LBB338_265
.LBB338_268:
	s_or_b64 exec, exec, s[38:39]
	v_cmp_gt_i64_e32 vcc, s[26:27], v[20:21]
	s_orn2_b64 s[38:39], vcc, exec
.LBB338_269:
	s_or_b64 exec, exec, s[14:15]
.LBB338_270:
	s_and_b64 s[14:15], s[38:39], exec
.LBB338_271:
	s_or_b64 exec, exec, s[36:37]
	v_cmp_gt_u32_e32 vcc, s3, v28
	s_and_saveexec_b64 s[36:37], vcc
	s_cbranch_execz .LBB338_282
; %bb.272:
	s_andn2_b64 vcc, exec, s[6:7]
	s_mov_b64 s[38:39], 0
	s_cbranch_vccnz .LBB338_281
; %bb.273:
	v_mov_b64_e32 v[18:19], s[28:29]
	v_mad_u64_u32 v[16:17], s[18:19], v6, s26, v[18:19]
	v_mul_lo_u32 v20, v6, s27
	v_mul_lo_u32 v21, v7, s26
	v_add3_u32 v17, v21, v17, v20
	v_mad_u64_u32 v[18:19], s[18:19], v8, s26, v[18:19]
	v_mul_lo_u32 v20, v8, s27
	v_mul_lo_u32 v21, v9, s26
	v_add3_u32 v19, v21, v19, v20
	global_load_ubyte v20, v[16:17], off
	global_load_ubyte v21, v[18:19], off
	s_mov_b64 s[38:39], -1
	s_waitcnt vmcnt(0)
	v_cmp_eq_u16_e32 vcc, v20, v21
	s_and_saveexec_b64 s[18:19], vcc
	s_cbranch_execz .LBB338_280
; %bb.274:
	s_mov_b64 s[42:43], 1
	s_mov_b64 s[38:39], 0
                                        ; implicit-def: $sgpr40_sgpr41
	s_branch .LBB338_277
.LBB338_275:                            ;   in Loop: Header=BB338_277 Depth=1
	v_lshl_add_u64 v[20:21], v[16:17], 0, s[42:43]
	v_lshl_add_u64 v[22:23], v[18:19], 0, s[42:43]
	global_load_ubyte v31, v[20:21], off
	global_load_ubyte v32, v[22:23], off
	s_add_u32 s44, s42, 1
	s_addc_u32 s45, s43, 0
	s_andn2_b64 s[40:41], s[40:41], exec
	s_waitcnt vmcnt(0)
	v_cmp_ne_u16_e32 vcc, v31, v32
	s_and_b64 s[46:47], vcc, exec
	s_or_b64 s[40:41], s[40:41], s[46:47]
.LBB338_276:                            ;   in Loop: Header=BB338_277 Depth=1
	s_and_b64 s[46:47], exec, s[40:41]
	s_or_b64 s[38:39], s[46:47], s[38:39]
	v_mov_b64_e32 v[20:21], s[42:43]
	s_mov_b64 s[42:43], s[44:45]
	s_andn2_b64 exec, exec, s[38:39]
	s_cbranch_execz .LBB338_279
.LBB338_277:                            ; =>This Inner Loop Header: Depth=1
	s_or_b64 s[40:41], s[40:41], exec
	s_cmp_eq_u64 s[26:27], s[42:43]
	s_cbranch_scc0 .LBB338_275
; %bb.278:                              ;   in Loop: Header=BB338_277 Depth=1
                                        ; implicit-def: $sgpr44_sgpr45
	s_mov_b64 s[42:43], s[26:27]
	s_branch .LBB338_276
.LBB338_279:
	s_or_b64 exec, exec, s[38:39]
	v_cmp_gt_i64_e32 vcc, s[26:27], v[20:21]
	s_orn2_b64 s[38:39], vcc, exec
.LBB338_280:
	s_or_b64 exec, exec, s[18:19]
.LBB338_281:
	s_and_b64 s[18:19], s[38:39], exec
.LBB338_282:
	s_or_b64 exec, exec, s[36:37]
	v_cmp_gt_u32_e32 vcc, s3, v24
	s_mov_b64 s[36:37], 0
	s_mov_b64 s[38:39], 0
	s_and_saveexec_b64 s[40:41], vcc
	s_cbranch_execz .LBB338_293
; %bb.283:
	s_andn2_b64 vcc, exec, s[6:7]
	s_mov_b64 s[42:43], 0
	s_cbranch_vccnz .LBB338_292
; %bb.284:
	v_mov_b64_e32 v[18:19], s[28:29]
	v_mad_u64_u32 v[16:17], s[38:39], v12, s26, v[18:19]
	v_mul_lo_u32 v20, v12, s27
	v_mul_lo_u32 v21, v13, s26
	v_add3_u32 v17, v21, v17, v20
	v_mad_u64_u32 v[18:19], s[38:39], v6, s26, v[18:19]
	v_mul_lo_u32 v20, v6, s27
	v_mul_lo_u32 v21, v7, s26
	v_add3_u32 v19, v21, v19, v20
	global_load_ubyte v20, v[16:17], off
	global_load_ubyte v21, v[18:19], off
	s_mov_b64 s[42:43], -1
	s_waitcnt vmcnt(0)
	v_cmp_eq_u16_e32 vcc, v20, v21
	s_and_saveexec_b64 s[38:39], vcc
	s_cbranch_execz .LBB338_291
; %bb.285:
	s_mov_b64 s[46:47], 1
	s_mov_b64 s[42:43], 0
                                        ; implicit-def: $sgpr44_sgpr45
	s_branch .LBB338_288
.LBB338_286:                            ;   in Loop: Header=BB338_288 Depth=1
	v_lshl_add_u64 v[20:21], v[16:17], 0, s[46:47]
	v_lshl_add_u64 v[22:23], v[18:19], 0, s[46:47]
	global_load_ubyte v31, v[20:21], off
	global_load_ubyte v32, v[22:23], off
	s_add_u32 s48, s46, 1
	s_addc_u32 s49, s47, 0
	s_andn2_b64 s[44:45], s[44:45], exec
	s_waitcnt vmcnt(0)
	v_cmp_ne_u16_e32 vcc, v31, v32
	s_and_b64 s[50:51], vcc, exec
	s_or_b64 s[44:45], s[44:45], s[50:51]
.LBB338_287:                            ;   in Loop: Header=BB338_288 Depth=1
	s_and_b64 s[50:51], exec, s[44:45]
	s_or_b64 s[42:43], s[50:51], s[42:43]
	v_mov_b64_e32 v[20:21], s[46:47]
	s_mov_b64 s[46:47], s[48:49]
	s_andn2_b64 exec, exec, s[42:43]
	s_cbranch_execz .LBB338_290
.LBB338_288:                            ; =>This Inner Loop Header: Depth=1
	s_or_b64 s[44:45], s[44:45], exec
	s_cmp_eq_u64 s[26:27], s[46:47]
	s_cbranch_scc0 .LBB338_286
; %bb.289:                              ;   in Loop: Header=BB338_288 Depth=1
                                        ; implicit-def: $sgpr48_sgpr49
	s_mov_b64 s[46:47], s[26:27]
	s_branch .LBB338_287
.LBB338_290:
	s_or_b64 exec, exec, s[42:43]
	v_cmp_gt_i64_e32 vcc, s[26:27], v[20:21]
	s_orn2_b64 s[42:43], vcc, exec
.LBB338_291:
	s_or_b64 exec, exec, s[38:39]
.LBB338_292:
	s_and_b64 s[38:39], s[42:43], exec
.LBB338_293:
	s_or_b64 exec, exec, s[40:41]
	v_cmp_gt_u32_e32 vcc, s3, v25
	s_and_saveexec_b64 s[40:41], vcc
	s_cbranch_execz .LBB338_304
; %bb.294:
	s_andn2_b64 vcc, exec, s[6:7]
	s_mov_b64 s[42:43], 0
	s_cbranch_vccnz .LBB338_303
; %bb.295:
	v_mov_b64_e32 v[18:19], s[28:29]
	v_mad_u64_u32 v[16:17], s[36:37], v10, s26, v[18:19]
	v_mul_lo_u32 v20, v10, s27
	v_mul_lo_u32 v21, v11, s26
	v_add3_u32 v17, v21, v17, v20
	v_mad_u64_u32 v[18:19], s[36:37], v12, s26, v[18:19]
	v_mul_lo_u32 v20, v12, s27
	v_mul_lo_u32 v21, v13, s26
	v_add3_u32 v19, v21, v19, v20
	global_load_ubyte v20, v[16:17], off
	global_load_ubyte v21, v[18:19], off
	s_mov_b64 s[42:43], -1
	s_waitcnt vmcnt(0)
	v_cmp_eq_u16_e32 vcc, v20, v21
	s_and_saveexec_b64 s[36:37], vcc
	s_cbranch_execz .LBB338_302
; %bb.296:
	s_mov_b64 s[46:47], 1
	s_mov_b64 s[42:43], 0
                                        ; implicit-def: $sgpr44_sgpr45
	s_branch .LBB338_299
.LBB338_297:                            ;   in Loop: Header=BB338_299 Depth=1
	v_lshl_add_u64 v[20:21], v[16:17], 0, s[46:47]
	v_lshl_add_u64 v[22:23], v[18:19], 0, s[46:47]
	global_load_ubyte v31, v[20:21], off
	global_load_ubyte v32, v[22:23], off
	s_add_u32 s48, s46, 1
	s_addc_u32 s49, s47, 0
	s_andn2_b64 s[44:45], s[44:45], exec
	s_waitcnt vmcnt(0)
	v_cmp_ne_u16_e32 vcc, v31, v32
	s_and_b64 s[50:51], vcc, exec
	s_or_b64 s[44:45], s[44:45], s[50:51]
.LBB338_298:                            ;   in Loop: Header=BB338_299 Depth=1
	s_and_b64 s[50:51], exec, s[44:45]
	s_or_b64 s[42:43], s[50:51], s[42:43]
	v_mov_b64_e32 v[20:21], s[46:47]
	s_mov_b64 s[46:47], s[48:49]
	s_andn2_b64 exec, exec, s[42:43]
	s_cbranch_execz .LBB338_301
.LBB338_299:                            ; =>This Inner Loop Header: Depth=1
	s_or_b64 s[44:45], s[44:45], exec
	s_cmp_eq_u64 s[26:27], s[46:47]
	s_cbranch_scc0 .LBB338_297
; %bb.300:                              ;   in Loop: Header=BB338_299 Depth=1
                                        ; implicit-def: $sgpr48_sgpr49
	s_mov_b64 s[46:47], s[26:27]
	s_branch .LBB338_298
.LBB338_301:
	s_or_b64 exec, exec, s[42:43]
	v_cmp_gt_i64_e32 vcc, s[26:27], v[20:21]
	s_orn2_b64 s[42:43], vcc, exec
.LBB338_302:
	s_or_b64 exec, exec, s[36:37]
.LBB338_303:
	s_and_b64 s[36:37], s[42:43], exec
.LBB338_304:
	s_or_b64 exec, exec, s[40:41]
	v_cndmask_b32_e64 v17, 0, 1, s[18:19]
	v_cndmask_b32_e64 v16, 0, 1, s[38:39]
	;; [unrolled: 1-line block ×3, first 2 shown]
	v_lshlrev_b16_e32 v17, 8, v17
	v_cndmask_b32_e64 v31, 0, 1, s[14:15]
	v_cndmask_b32_e64 v18, 0, 1, s[36:37]
	v_or_b32_sdwa v16, v16, v17 dst_sel:WORD_1 dst_unused:UNUSED_PAD src0_sel:DWORD src1_sel:DWORD
	v_lshlrev_b16_e32 v17, 8, v32
	v_lshlrev_b16_e32 v18, 8, v18
	v_or_b32_e32 v17, v31, v17
	v_or_b32_e32 v18, 1, v18
	v_and_b32_e32 v17, 0xffff, v17
	v_cndmask_b32_e64 v33, 0, 1, s[4:5]
	v_or_b32_sdwa v16, v18, v16 dst_sel:DWORD dst_unused:UNUSED_PAD src0_sel:WORD_0 src1_sel:DWORD
	v_lshl_or_b32 v17, v33, 16, v17
	v_cmp_ne_u32_e32 vcc, 0, v0
	s_waitcnt lgkmcnt(0)
	s_barrier
	s_waitcnt lgkmcnt(0)
                                        ; implicit-def: $sgpr18_sgpr19
                                        ; implicit-def: $vgpr20
	s_and_saveexec_b64 s[4:5], vcc
	s_cbranch_execz .LBB338_317
; %bb.305:
	v_cmp_gt_u32_e32 vcc, s3, v1
	s_mov_b32 s33, 0x3020104
	s_mov_b64 s[14:15], 0
	s_and_saveexec_b64 s[12:13], vcc
	s_cbranch_execz .LBB338_316
; %bb.306:
	s_andn2_b64 vcc, exec, s[6:7]
	s_cbranch_vccnz .LBB338_315
; %bb.307:
	v_add_u32_e32 v17, -8, v30
	ds_read_b64 v[18:19], v17
	v_mov_b64_e32 v[20:21], s[28:29]
	s_mov_b64 s[14:15], -1
	s_waitcnt lgkmcnt(0)
	v_mul_lo_u32 v17, v18, s27
	v_mul_lo_u32 v22, v19, s26
	v_mad_u64_u32 v[18:19], s[6:7], v18, s26, v[20:21]
	v_add3_u32 v19, v22, v19, v17
	v_mad_u64_u32 v[20:21], s[6:7], v10, s26, v[20:21]
	v_mul_lo_u32 v17, v10, s27
	v_mul_lo_u32 v22, v11, s26
	v_add3_u32 v21, v22, v21, v17
	global_load_ubyte v17, v[18:19], off
	global_load_ubyte v22, v[20:21], off
	s_waitcnt vmcnt(0)
	v_cmp_eq_u16_e32 vcc, v17, v22
	s_and_saveexec_b64 s[6:7], vcc
	s_cbranch_execz .LBB338_314
; %bb.308:
	s_mov_b64 s[28:29], 1
	s_mov_b64 s[14:15], 0
                                        ; implicit-def: $sgpr18_sgpr19
	s_branch .LBB338_311
.LBB338_309:                            ;   in Loop: Header=BB338_311 Depth=1
	v_lshl_add_u64 v[22:23], v[18:19], 0, s[28:29]
	v_lshl_add_u64 v[34:35], v[20:21], 0, s[28:29]
	global_load_ubyte v17, v[22:23], off
	global_load_ubyte v30, v[34:35], off
	s_add_u32 s36, s28, 1
	s_addc_u32 s37, s29, 0
	s_andn2_b64 s[18:19], s[18:19], exec
	s_waitcnt vmcnt(0)
	v_cmp_ne_u16_e32 vcc, v17, v30
	s_and_b64 s[38:39], vcc, exec
	s_or_b64 s[18:19], s[18:19], s[38:39]
.LBB338_310:                            ;   in Loop: Header=BB338_311 Depth=1
	s_and_b64 s[38:39], exec, s[18:19]
	s_or_b64 s[14:15], s[38:39], s[14:15]
	v_mov_b64_e32 v[22:23], s[28:29]
	s_mov_b64 s[28:29], s[36:37]
	s_andn2_b64 exec, exec, s[14:15]
	s_cbranch_execz .LBB338_313
.LBB338_311:                            ; =>This Inner Loop Header: Depth=1
	s_or_b64 s[18:19], s[18:19], exec
	s_cmp_eq_u64 s[26:27], s[28:29]
	s_cbranch_scc0 .LBB338_309
; %bb.312:                              ;   in Loop: Header=BB338_311 Depth=1
                                        ; implicit-def: $sgpr36_sgpr37
	s_mov_b64 s[28:29], s[26:27]
	s_branch .LBB338_310
.LBB338_313:
	s_or_b64 exec, exec, s[14:15]
	v_cmp_gt_i64_e32 vcc, s[26:27], v[22:23]
	s_orn2_b64 s[14:15], vcc, exec
.LBB338_314:
	s_or_b64 exec, exec, s[6:7]
.LBB338_315:
	s_and_b64 s[14:15], s[14:15], exec
.LBB338_316:
	s_or_b64 exec, exec, s[12:13]
	v_perm_b32 v20, v16, v16, s33
	s_and_b64 s[18:19], s[14:15], exec
	s_or_b64 s[10:11], s[10:11], exec
                                        ; implicit-def: $vgpr16_vgpr17
.LBB338_317:
	s_or_b64 exec, exec, s[4:5]
.LBB338_318:
	s_and_saveexec_b64 s[4:5], s[10:11]
	s_cbranch_execz .LBB338_320
; %bb.319:
	v_lshlrev_b16_e32 v17, 8, v32
	s_waitcnt lgkmcnt(0)
	v_and_b32_e32 v18, 0xff, v33
	v_or_b32_sdwa v17, v31, v17 dst_sel:DWORD dst_unused:UNUSED_PAD src0_sel:BYTE_0 src1_sel:DWORD
	v_lshlrev_b32_e32 v18, 16, v18
	s_movk_i32 s6, 0xff
	v_or_b32_sdwa v17, v17, v18 dst_sel:DWORD dst_unused:UNUSED_PAD src0_sel:WORD_0 src1_sel:DWORD
	v_lshrrev_b32_e32 v18, 24, v20
	v_lshlrev_b16_e32 v18, 8, v18
	v_and_b32_sdwa v19, v20, s6 dst_sel:DWORD dst_unused:UNUSED_PAD src0_sel:WORD_1 src1_sel:DWORD
	v_or_b32_sdwa v18, v19, v18 dst_sel:WORD_1 dst_unused:UNUSED_PAD src0_sel:DWORD src1_sel:DWORD
	v_mov_b32_e32 v19, 8
	v_cndmask_b32_e64 v16, 0, 1, s[18:19]
	v_lshrrev_b32_sdwa v19, v19, v20 dst_sel:BYTE_1 dst_unused:UNUSED_PAD src0_sel:DWORD src1_sel:DWORD
	s_nop 0
	v_or_b32_e32 v16, v16, v19
	v_or_b32_sdwa v16, v16, v18 dst_sel:DWORD dst_unused:UNUSED_PAD src0_sel:WORD_0 src1_sel:DWORD
.LBB338_320:
	s_or_b64 exec, exec, s[4:5]
	s_andn2_b64 vcc, exec, s[8:9]
	s_cbranch_vccnz .LBB338_322
; %bb.321:
	s_waitcnt lgkmcnt(0)
	v_and_b32_e32 v18, 0xffff0000, v16
	v_cmp_gt_u32_e32 vcc, s3, v1
	s_mov_b32 s4, 0x40c0100
	s_nop 0
	v_cndmask_b32_e32 v1, v18, v16, vcc
	v_and_b32_e32 v1, 0xffff00ff, v1
	v_cmp_gt_u32_e32 vcc, s3, v25
	s_nop 1
	v_cndmask_b32_e32 v1, v1, v16, vcc
	v_lshrrev_b32_e32 v18, 24, v1
	v_perm_b32 v1, v18, v1, s4
	v_cmp_gt_u32_e32 vcc, s3, v24
	v_and_b32_e32 v18, 0xffffff00, v17
	s_nop 0
	v_cndmask_b32_e32 v1, v1, v16, vcc
	v_and_b32_e32 v1, 0xffffff, v1
	v_cmp_gt_u32_e32 vcc, s3, v28
	s_nop 1
	v_cndmask_b32_e32 v1, v1, v16, vcc
	v_cmp_gt_u32_e32 vcc, s3, v26
	s_nop 1
	v_cndmask_b32_e32 v18, v18, v17, vcc
	v_and_b32_e32 v18, 0xffff00ff, v18
	v_cndmask_b32_e32 v1, v1, v16, vcc
	v_cmp_gt_u32_e32 vcc, s3, v29
	s_nop 1
	v_cndmask_b32_e32 v18, v18, v17, vcc
	v_lshrrev_b32_e32 v19, 24, v18
	v_cndmask_b32_e32 v1, v1, v16, vcc
	v_perm_b32 v18, v19, v18, s4
	v_cmp_gt_u32_e32 vcc, s3, v27
	s_mov_b32 s3, 0x3020104
	s_nop 0
	v_cndmask_b32_e32 v1, v1, v16, vcc
	v_cndmask_b32_e32 v16, v18, v17, vcc
	v_mov_b32_e32 v17, 8
	v_lshrrev_b32_sdwa v17, v17, v16 dst_sel:BYTE_1 dst_unused:UNUSED_PAD src0_sel:DWORD src1_sel:DWORD
	s_nop 0
	v_or_b32_sdwa v17, v16, v17 dst_sel:DWORD dst_unused:UNUSED_PAD src0_sel:BYTE_0 src1_sel:DWORD
	v_and_b32_e32 v17, 0xffff, v17
	v_bfe_u32 v16, v16, 16, 8
	v_lshl_or_b32 v17, v16, 16, v17
	v_perm_b32 v16, v1, v1, s3
.LBB338_322:
	v_and_b32_e32 v1, 0xff, v16
	v_bfe_u32 v29, v16, 8, 8
	v_bfe_u32 v31, v16, 16, 8
	s_waitcnt lgkmcnt(0)
	v_alignbit_b32 v18, v17, v16, 24
	v_and_b32_e32 v33, 0xff, v18
	v_and_b32_e32 v35, 0xff, v17
	v_add3_u32 v19, v29, v1, v31
	v_bfe_u32 v36, v17, 8, 8
	v_bfe_u32 v18, v17, 16, 8
	v_add3_u32 v19, v19, v33, v35
	v_add3_u32 v39, v19, v36, v18
	v_mbcnt_lo_u32_b32 v18, -1, 0
	v_mbcnt_hi_u32_b32 v37, -1, v18
	v_and_b32_e32 v18, 15, v37
	v_cmp_eq_u32_e64 s[14:15], 0, v18
	v_cmp_lt_u32_e64 s[12:13], 1, v18
	v_cmp_lt_u32_e64 s[10:11], 3, v18
	;; [unrolled: 1-line block ×3, first 2 shown]
	v_and_b32_e32 v18, 16, v37
	v_cmp_eq_u32_e64 s[6:7], 0, v18
	v_or_b32_e32 v18, 63, v0
	v_cmp_lt_u32_e64 s[18:19], 31, v37
	v_lshrrev_b32_e32 v38, 6, v0
	v_cmp_eq_u32_e64 s[4:5], v18, v0
	s_and_b64 vcc, exec, s[16:17]
	s_barrier
	s_cbranch_vccz .LBB338_353
; %bb.323:
	v_mov_b32_dpp v18, v39 row_shr:1 row_mask:0xf bank_mask:0xf
	v_cndmask_b32_e64 v18, v18, 0, s[14:15]
	v_add_u32_e32 v18, v18, v39
	s_nop 1
	v_mov_b32_dpp v19, v18 row_shr:2 row_mask:0xf bank_mask:0xf
	v_cndmask_b32_e64 v19, 0, v19, s[12:13]
	v_add_u32_e32 v18, v18, v19
	s_nop 1
	;; [unrolled: 4-line block ×4, first 2 shown]
	v_mov_b32_dpp v19, v18 row_bcast:15 row_mask:0xf bank_mask:0xf
	v_cndmask_b32_e64 v19, v19, 0, s[6:7]
	v_add_u32_e32 v18, v18, v19
	s_nop 1
	v_mov_b32_dpp v19, v18 row_bcast:31 row_mask:0xf bank_mask:0xf
	v_cndmask_b32_e64 v19, 0, v19, s[18:19]
	v_add_u32_e32 v18, v18, v19
	s_and_saveexec_b64 s[16:17], s[4:5]
	s_cbranch_execz .LBB338_325
; %bb.324:
	v_lshlrev_b32_e32 v19, 2, v38
	ds_write_b32 v19, v18
.LBB338_325:
	s_or_b64 exec, exec, s[16:17]
	v_cmp_gt_u32_e32 vcc, 8, v0
	s_waitcnt lgkmcnt(0)
	s_barrier
	s_and_saveexec_b64 s[16:17], vcc
	s_cbranch_execz .LBB338_327
; %bb.326:
	v_lshlrev_b32_e32 v19, 2, v0
	ds_read_b32 v20, v19
	v_and_b32_e32 v21, 7, v37
	v_cmp_ne_u32_e32 vcc, 0, v21
	s_waitcnt lgkmcnt(0)
	v_mov_b32_dpp v22, v20 row_shr:1 row_mask:0xf bank_mask:0xf
	v_cndmask_b32_e32 v22, 0, v22, vcc
	v_add_u32_e32 v20, v22, v20
	v_cmp_lt_u32_e32 vcc, 1, v21
	s_nop 0
	v_mov_b32_dpp v22, v20 row_shr:2 row_mask:0xf bank_mask:0xf
	v_cndmask_b32_e32 v22, 0, v22, vcc
	v_add_u32_e32 v20, v20, v22
	v_cmp_lt_u32_e32 vcc, 3, v21
	s_nop 0
	v_mov_b32_dpp v22, v20 row_shr:4 row_mask:0xf bank_mask:0xf
	v_cndmask_b32_e32 v21, 0, v22, vcc
	v_add_u32_e32 v20, v20, v21
	ds_write_b32 v19, v20
.LBB338_327:
	s_or_b64 exec, exec, s[16:17]
	v_cmp_gt_u32_e32 vcc, 64, v0
	v_cmp_lt_u32_e64 s[16:17], 63, v0
	s_waitcnt lgkmcnt(0)
	s_barrier
	s_waitcnt lgkmcnt(0)
                                        ; implicit-def: $vgpr28
	s_and_saveexec_b64 s[26:27], s[16:17]
	s_cbranch_execz .LBB338_329
; %bb.328:
	v_lshl_add_u32 v19, v38, 2, -4
	ds_read_b32 v28, v19
	s_waitcnt lgkmcnt(0)
	v_add_u32_e32 v18, v28, v18
.LBB338_329:
	s_or_b64 exec, exec, s[26:27]
	v_add_u32_e32 v19, -1, v37
	v_and_b32_e32 v20, 64, v37
	v_cmp_lt_i32_e64 s[16:17], v19, v20
	s_nop 1
	v_cndmask_b32_e64 v19, v19, v37, s[16:17]
	v_lshlrev_b32_e32 v19, 2, v19
	ds_bpermute_b32 v30, v19, v18
	v_cmp_eq_u32_e64 s[16:17], 0, v37
	s_and_saveexec_b64 s[26:27], vcc
	s_cbranch_execz .LBB338_352
; %bb.330:
	v_mov_b32_e32 v27, 0
	ds_read_b32 v18, v27 offset:28
	s_and_saveexec_b64 s[28:29], s[16:17]
	s_cbranch_execz .LBB338_332
; %bb.331:
	s_add_i32 s36, s2, 64
	s_mov_b32 s37, 0
	s_lshl_b64 s[36:37], s[36:37], 3
	s_add_u32 s36, s30, s36
	v_mov_b32_e32 v19, 1
	s_addc_u32 s37, s31, s37
	s_waitcnt lgkmcnt(0)
	global_store_dwordx2 v27, v[18:19], s[36:37] sc1
.LBB338_332:
	s_or_b64 exec, exec, s[28:29]
	v_xad_u32 v20, v37, -1, s2
	v_add_u32_e32 v26, 64, v20
	v_lshl_add_u64 v[22:23], v[26:27], 3, s[30:31]
	global_load_dwordx2 v[24:25], v[22:23], off sc1
	s_waitcnt vmcnt(0)
	v_cmp_eq_u16_sdwa s[36:37], v25, v27 src0_sel:BYTE_0 src1_sel:DWORD
	s_and_saveexec_b64 s[28:29], s[36:37]
	s_cbranch_execz .LBB338_338
; %bb.333:
	s_mov_b32 s3, 1
	s_mov_b64 s[36:37], 0
	v_mov_b32_e32 v19, 0
.LBB338_334:                            ; =>This Loop Header: Depth=1
                                        ;     Child Loop BB338_335 Depth 2
	s_max_u32 s33, s3, 1
.LBB338_335:                            ;   Parent Loop BB338_334 Depth=1
                                        ; =>  This Inner Loop Header: Depth=2
	s_add_i32 s33, s33, -1
	s_cmp_eq_u32 s33, 0
	s_sleep 1
	s_cbranch_scc0 .LBB338_335
; %bb.336:                              ;   in Loop: Header=BB338_334 Depth=1
	global_load_dwordx2 v[24:25], v[22:23], off sc1
	s_cmp_lt_u32 s3, 32
	s_cselect_b64 s[38:39], -1, 0
	s_cmp_lg_u64 s[38:39], 0
	s_addc_u32 s3, s3, 0
	s_waitcnt vmcnt(0)
	v_cmp_ne_u16_sdwa s[38:39], v25, v19 src0_sel:BYTE_0 src1_sel:DWORD
	s_or_b64 s[36:37], s[38:39], s[36:37]
	s_andn2_b64 exec, exec, s[36:37]
	s_cbranch_execnz .LBB338_334
; %bb.337:
	s_or_b64 exec, exec, s[36:37]
.LBB338_338:
	s_or_b64 exec, exec, s[28:29]
	v_and_b32_e32 v32, 63, v37
	v_mov_b32_e32 v19, 2
	v_cmp_ne_u32_e32 vcc, 63, v32
	v_cmp_eq_u16_sdwa s[28:29], v25, v19 src0_sel:BYTE_0 src1_sel:DWORD
	v_lshlrev_b64 v[22:23], v37, -1
	v_addc_co_u32_e32 v27, vcc, 0, v37, vcc
	v_and_b32_e32 v21, s29, v23
	v_lshlrev_b32_e32 v34, 2, v27
	v_or_b32_e32 v21, 0x80000000, v21
	ds_bpermute_b32 v27, v34, v24
	v_and_b32_e32 v26, s28, v22
	v_ffbl_b32_e32 v21, v21
	v_add_u32_e32 v21, 32, v21
	v_ffbl_b32_e32 v26, v26
	v_min_u32_e32 v21, v26, v21
	v_cmp_lt_u32_e32 vcc, v32, v21
	v_add_u32_e32 v41, 2, v32
	v_add_u32_e32 v43, 4, v32
	s_waitcnt lgkmcnt(0)
	v_cndmask_b32_e32 v26, 0, v27, vcc
	v_cmp_gt_u32_e32 vcc, 62, v32
	v_add_u32_e32 v24, v26, v24
	v_add_u32_e32 v45, 8, v32
	v_cndmask_b32_e64 v26, 0, 1, vcc
	v_lshlrev_b32_e32 v26, 1, v26
	v_add_lshl_u32 v40, v26, v37, 2
	ds_bpermute_b32 v26, v40, v24
	v_cmp_le_u32_e32 vcc, v41, v21
	v_add_u32_e32 v48, 16, v32
	v_add_u32_e32 v50, 32, v32
	s_waitcnt lgkmcnt(0)
	v_cndmask_b32_e32 v26, 0, v26, vcc
	v_cmp_gt_u32_e32 vcc, 60, v32
	v_add_u32_e32 v24, v24, v26
	s_nop 0
	v_cndmask_b32_e64 v26, 0, 1, vcc
	v_lshlrev_b32_e32 v26, 2, v26
	v_add_lshl_u32 v42, v26, v37, 2
	ds_bpermute_b32 v26, v42, v24
	v_cmp_le_u32_e32 vcc, v43, v21
	s_waitcnt lgkmcnt(0)
	s_nop 0
	v_cndmask_b32_e32 v26, 0, v26, vcc
	v_cmp_gt_u32_e32 vcc, 56, v32
	v_add_u32_e32 v24, v24, v26
	s_nop 0
	v_cndmask_b32_e64 v26, 0, 1, vcc
	v_lshlrev_b32_e32 v26, 3, v26
	v_add_lshl_u32 v44, v26, v37, 2
	ds_bpermute_b32 v26, v44, v24
	v_cmp_le_u32_e32 vcc, v45, v21
	s_waitcnt lgkmcnt(0)
	s_nop 0
	;; [unrolled: 11-line block ×4, first 2 shown]
	v_cndmask_b32_e32 v21, 0, v26, vcc
	v_add_u32_e32 v24, v24, v21
	v_mov_b32_e32 v21, 0
	s_branch .LBB338_340
.LBB338_339:                            ;   in Loop: Header=BB338_340 Depth=1
	s_or_b64 exec, exec, s[28:29]
	v_cmp_eq_u16_sdwa s[28:29], v25, v19 src0_sel:BYTE_0 src1_sel:DWORD
	ds_bpermute_b32 v51, v34, v24
	v_subrev_u32_e32 v20, 64, v20
	v_and_b32_e32 v26, s29, v23
	v_or_b32_e32 v26, 0x80000000, v26
	v_and_b32_e32 v27, s28, v22
	v_ffbl_b32_e32 v26, v26
	v_add_u32_e32 v26, 32, v26
	v_ffbl_b32_e32 v27, v27
	v_min_u32_e32 v26, v27, v26
	v_cmp_lt_u32_e32 vcc, v32, v26
	s_waitcnt lgkmcnt(0)
	s_nop 0
	v_cndmask_b32_e32 v27, 0, v51, vcc
	v_add_u32_e32 v24, v27, v24
	ds_bpermute_b32 v27, v40, v24
	v_cmp_le_u32_e32 vcc, v41, v26
	s_waitcnt lgkmcnt(0)
	s_nop 0
	v_cndmask_b32_e32 v27, 0, v27, vcc
	v_add_u32_e32 v24, v24, v27
	ds_bpermute_b32 v27, v42, v24
	v_cmp_le_u32_e32 vcc, v43, v26
	;; [unrolled: 6-line block ×5, first 2 shown]
	s_waitcnt lgkmcnt(0)
	s_nop 0
	v_cndmask_b32_e32 v26, 0, v27, vcc
	v_add3_u32 v24, v26, v46, v24
.LBB338_340:                            ; =>This Loop Header: Depth=1
                                        ;     Child Loop BB338_343 Depth 2
                                        ;       Child Loop BB338_344 Depth 3
	v_cmp_ne_u16_sdwa s[28:29], v25, v19 src0_sel:BYTE_0 src1_sel:DWORD
	v_mov_b32_e32 v46, v24
	s_nop 0
	v_cndmask_b32_e64 v25, 0, 1, s[28:29]
	;;#ASMSTART
	;;#ASMEND
	s_nop 0
	v_cmp_ne_u32_e32 vcc, 0, v25
	s_cmp_lg_u64 vcc, exec
	s_cbranch_scc1 .LBB338_347
; %bb.341:                              ;   in Loop: Header=BB338_340 Depth=1
	v_lshl_add_u64 v[26:27], v[20:21], 3, s[30:31]
	global_load_dwordx2 v[24:25], v[26:27], off sc1
	s_waitcnt vmcnt(0)
	v_cmp_eq_u16_sdwa s[36:37], v25, v21 src0_sel:BYTE_0 src1_sel:DWORD
	s_and_saveexec_b64 s[28:29], s[36:37]
	s_cbranch_execz .LBB338_339
; %bb.342:                              ;   in Loop: Header=BB338_340 Depth=1
	s_mov_b32 s3, 1
	s_mov_b64 s[36:37], 0
.LBB338_343:                            ;   Parent Loop BB338_340 Depth=1
                                        ; =>  This Loop Header: Depth=2
                                        ;       Child Loop BB338_344 Depth 3
	s_max_u32 s33, s3, 1
.LBB338_344:                            ;   Parent Loop BB338_340 Depth=1
                                        ;     Parent Loop BB338_343 Depth=2
                                        ; =>    This Inner Loop Header: Depth=3
	s_add_i32 s33, s33, -1
	s_cmp_eq_u32 s33, 0
	s_sleep 1
	s_cbranch_scc0 .LBB338_344
; %bb.345:                              ;   in Loop: Header=BB338_343 Depth=2
	global_load_dwordx2 v[24:25], v[26:27], off sc1
	s_cmp_lt_u32 s3, 32
	s_cselect_b64 s[38:39], -1, 0
	s_cmp_lg_u64 s[38:39], 0
	s_addc_u32 s3, s3, 0
	s_waitcnt vmcnt(0)
	v_cmp_ne_u16_sdwa s[38:39], v25, v21 src0_sel:BYTE_0 src1_sel:DWORD
	s_or_b64 s[36:37], s[38:39], s[36:37]
	s_andn2_b64 exec, exec, s[36:37]
	s_cbranch_execnz .LBB338_343
; %bb.346:                              ;   in Loop: Header=BB338_340 Depth=1
	s_or_b64 exec, exec, s[36:37]
	s_branch .LBB338_339
.LBB338_347:                            ;   in Loop: Header=BB338_340 Depth=1
                                        ; implicit-def: $vgpr24
                                        ; implicit-def: $vgpr25
	s_cbranch_execz .LBB338_340
; %bb.348:
	s_and_saveexec_b64 s[28:29], s[16:17]
	s_cbranch_execz .LBB338_350
; %bb.349:
	s_add_i32 s2, s2, 64
	s_mov_b32 s3, 0
	s_lshl_b64 s[2:3], s[2:3], 3
	s_add_u32 s2, s30, s2
	v_add_u32_e32 v20, v46, v18
	v_mov_b32_e32 v21, 2
	s_addc_u32 s3, s31, s3
	v_mov_b32_e32 v19, 0
	global_store_dwordx2 v19, v[20:21], s[2:3] sc1
	s_movk_i32 s2, 0x7000
	v_add_u32_e64 v19, s2, 0
	ds_write2_b32 v19, v18, v46 offset1:2
.LBB338_350:
	s_or_b64 exec, exec, s[28:29]
	v_cmp_eq_u32_e32 vcc, 0, v0
	s_and_b64 exec, exec, vcc
	s_cbranch_execz .LBB338_352
; %bb.351:
	v_mov_b32_e32 v18, 0
	ds_write_b32 v18, v46 offset:28
.LBB338_352:
	s_or_b64 exec, exec, s[26:27]
	v_mov_b32_e32 v18, 0
	s_waitcnt lgkmcnt(0)
	s_barrier
	ds_read_b32 v18, v18 offset:28
	v_cndmask_b32_e64 v19, v30, v28, s[16:17]
	v_cmp_ne_u32_e32 vcc, 0, v0
	s_movk_i32 s2, 0x7000
	s_waitcnt lgkmcnt(0)
	v_cndmask_b32_e32 v19, 0, v19, vcc
	v_add_u32_e32 v34, v18, v19
	v_add_u32_e32 v32, v34, v1
	v_add_u32_e64 v18, s2, 0
	v_add_u32_e32 v30, v32, v29
	s_barrier
	ds_read2_b32 v[18:19], v18 offset1:2
	v_add_u32_e32 v28, v30, v31
	v_add_u32_e32 v26, v28, v33
	;; [unrolled: 1-line block ×4, first 2 shown]
	s_load_dwordx2 s[2:3], s[0:1], 0x28
	v_lshrrev_b64 v[20:21], 24, v[16:17]
	s_branch .LBB338_363
.LBB338_353:
                                        ; implicit-def: $vgpr22
                                        ; implicit-def: $vgpr24
                                        ; implicit-def: $vgpr26
                                        ; implicit-def: $vgpr28
                                        ; implicit-def: $vgpr30
                                        ; implicit-def: $vgpr32
                                        ; implicit-def: $vgpr34
                                        ; implicit-def: $vgpr19
	s_load_dwordx2 s[2:3], s[0:1], 0x28
	v_lshrrev_b64 v[20:21], 24, v[16:17]
	s_cbranch_execz .LBB338_363
; %bb.354:
	s_waitcnt lgkmcnt(0)
	v_mov_b32_dpp v18, v39 row_shr:1 row_mask:0xf bank_mask:0xf
	v_cndmask_b32_e64 v18, v18, 0, s[14:15]
	v_add_u32_e32 v18, v18, v39
	s_nop 1
	v_mov_b32_dpp v19, v18 row_shr:2 row_mask:0xf bank_mask:0xf
	v_cndmask_b32_e64 v19, 0, v19, s[12:13]
	v_add_u32_e32 v18, v18, v19
	s_nop 1
	;; [unrolled: 4-line block ×4, first 2 shown]
	v_mov_b32_dpp v19, v18 row_bcast:15 row_mask:0xf bank_mask:0xf
	v_cndmask_b32_e64 v19, v19, 0, s[6:7]
	v_add_u32_e32 v18, v18, v19
	s_nop 1
	v_mov_b32_dpp v19, v18 row_bcast:31 row_mask:0xf bank_mask:0xf
	v_cndmask_b32_e64 v19, 0, v19, s[18:19]
	v_add_u32_e32 v18, v18, v19
	s_and_saveexec_b64 s[0:1], s[4:5]
	s_cbranch_execz .LBB338_356
; %bb.355:
	v_lshlrev_b32_e32 v19, 2, v38
	ds_write_b32 v19, v18
.LBB338_356:
	s_or_b64 exec, exec, s[0:1]
	v_cmp_gt_u32_e32 vcc, 8, v0
	s_waitcnt lgkmcnt(0)
	s_barrier
	s_and_saveexec_b64 s[0:1], vcc
	s_cbranch_execz .LBB338_358
; %bb.357:
	v_lshlrev_b32_e32 v19, 2, v0
	ds_read_b32 v21, v19
	v_and_b32_e32 v22, 7, v37
	v_cmp_ne_u32_e32 vcc, 0, v22
	s_waitcnt lgkmcnt(0)
	v_mov_b32_dpp v23, v21 row_shr:1 row_mask:0xf bank_mask:0xf
	v_cndmask_b32_e32 v23, 0, v23, vcc
	v_add_u32_e32 v21, v23, v21
	v_cmp_lt_u32_e32 vcc, 1, v22
	s_nop 0
	v_mov_b32_dpp v23, v21 row_shr:2 row_mask:0xf bank_mask:0xf
	v_cndmask_b32_e32 v23, 0, v23, vcc
	v_add_u32_e32 v21, v21, v23
	v_cmp_lt_u32_e32 vcc, 3, v22
	s_nop 0
	v_mov_b32_dpp v23, v21 row_shr:4 row_mask:0xf bank_mask:0xf
	v_cndmask_b32_e32 v22, 0, v23, vcc
	v_add_u32_e32 v21, v21, v22
	ds_write_b32 v19, v21
.LBB338_358:
	s_or_b64 exec, exec, s[0:1]
	v_cmp_lt_u32_e32 vcc, 63, v0
	v_mov_b32_e32 v19, 0
	v_mov_b32_e32 v21, 0
	s_waitcnt lgkmcnt(0)
	s_barrier
	s_and_saveexec_b64 s[0:1], vcc
	s_cbranch_execz .LBB338_360
; %bb.359:
	v_lshl_add_u32 v21, v38, 2, -4
	ds_read_b32 v21, v21
.LBB338_360:
	s_or_b64 exec, exec, s[0:1]
	v_add_u32_e32 v22, -1, v37
	v_and_b32_e32 v23, 64, v37
	v_cmp_lt_i32_e32 vcc, v22, v23
	s_waitcnt lgkmcnt(0)
	v_add_u32_e32 v18, v21, v18
	v_cndmask_b32_e32 v22, v22, v37, vcc
	v_lshlrev_b32_e32 v22, 2, v22
	ds_bpermute_b32 v22, v22, v18
	ds_read_b32 v18, v19 offset:28
	v_cmp_eq_u32_e32 vcc, 0, v0
	s_and_saveexec_b64 s[0:1], vcc
	s_cbranch_execz .LBB338_362
; %bb.361:
	v_mov_b32_e32 v23, 0
	v_mov_b32_e32 v19, 2
	s_waitcnt lgkmcnt(0)
	global_store_dwordx2 v23, v[18:19], s[30:31] offset:512 sc1
.LBB338_362:
	s_or_b64 exec, exec, s[0:1]
	v_cmp_eq_u32_e64 s[0:1], 0, v37
	v_mov_b32_e32 v19, 0
	s_waitcnt lgkmcnt(0)
	v_cndmask_b32_e64 v21, v22, v21, s[0:1]
	v_cndmask_b32_e64 v34, v21, 0, vcc
	v_add_u32_e32 v32, v34, v1
	v_add_u32_e32 v30, v32, v29
	;; [unrolled: 1-line block ×6, first 2 shown]
	s_barrier
.LBB338_363:
	s_movk_i32 s0, 0x201
	s_waitcnt lgkmcnt(0)
	v_cmp_gt_u32_e32 vcc, s0, v18
	v_lshrrev_b32_e32 v21, 8, v16
	v_lshrrev_b32_e32 v1, 8, v17
	s_mov_b64 s[0:1], -1
	s_cbranch_vccnz .LBB338_367
; %bb.364:
	s_and_b64 vcc, exec, s[0:1]
	s_cbranch_vccnz .LBB338_389
.LBB338_365:
	v_cmp_eq_u32_e32 vcc, 0, v0
	s_and_b64 s[0:1], vcc, s[24:25]
	s_and_saveexec_b64 s[2:3], s[0:1]
	s_cbranch_execnz .LBB338_407
.LBB338_366:
	s_endpgm
.LBB338_367:
	v_add_u32_e32 v23, v19, v18
	v_cmp_lt_u32_e32 vcc, v34, v23
	s_or_b64 s[4:5], s[34:35], vcc
	s_and_saveexec_b64 s[0:1], s[4:5]
	s_cbranch_execz .LBB338_370
; %bb.368:
	v_and_b32_e32 v25, 1, v16
	v_cmp_eq_u32_e32 vcc, 1, v25
	s_and_b64 exec, exec, vcc
	s_cbranch_execz .LBB338_370
; %bb.369:
	s_lshl_b64 s[4:5], s[22:23], 3
	s_add_u32 s4, s2, s4
	s_addc_u32 s5, s3, s5
	v_mov_b32_e32 v35, 0
	v_lshl_add_u64 v[36:37], v[34:35], 3, s[4:5]
	global_store_dwordx2 v[36:37], v[10:11], off
.LBB338_370:
	s_or_b64 exec, exec, s[0:1]
	v_cmp_lt_u32_e32 vcc, v32, v23
	s_or_b64 s[4:5], s[34:35], vcc
	s_and_saveexec_b64 s[0:1], s[4:5]
	s_cbranch_execz .LBB338_373
; %bb.371:
	v_and_b32_e32 v25, 1, v21
	v_cmp_eq_u32_e32 vcc, 1, v25
	s_and_b64 exec, exec, vcc
	s_cbranch_execz .LBB338_373
; %bb.372:
	s_lshl_b64 s[4:5], s[22:23], 3
	s_add_u32 s4, s2, s4
	s_addc_u32 s5, s3, s5
	v_mov_b32_e32 v33, 0
	v_lshl_add_u64 v[36:37], v[32:33], 3, s[4:5]
	global_store_dwordx2 v[36:37], v[12:13], off
.LBB338_373:
	s_or_b64 exec, exec, s[0:1]
	v_cmp_lt_u32_e32 vcc, v30, v23
	s_or_b64 s[4:5], s[34:35], vcc
	s_and_saveexec_b64 s[0:1], s[4:5]
	s_cbranch_execz .LBB338_376
; %bb.374:
	v_mov_b32_e32 v25, 1
	v_and_b32_sdwa v25, v25, v16 dst_sel:DWORD dst_unused:UNUSED_PAD src0_sel:DWORD src1_sel:WORD_1
	v_cmp_eq_u32_e32 vcc, 1, v25
	s_and_b64 exec, exec, vcc
	s_cbranch_execz .LBB338_376
; %bb.375:
	s_lshl_b64 s[4:5], s[22:23], 3
	s_add_u32 s4, s2, s4
	s_addc_u32 s5, s3, s5
	v_mov_b32_e32 v31, 0
	v_lshl_add_u64 v[36:37], v[30:31], 3, s[4:5]
	global_store_dwordx2 v[36:37], v[6:7], off
.LBB338_376:
	s_or_b64 exec, exec, s[0:1]
	v_cmp_lt_u32_e32 vcc, v28, v23
	s_or_b64 s[4:5], s[34:35], vcc
	s_and_saveexec_b64 s[0:1], s[4:5]
	s_cbranch_execz .LBB338_379
; %bb.377:
	v_and_b32_e32 v25, 1, v20
	v_cmp_eq_u32_e32 vcc, 1, v25
	s_and_b64 exec, exec, vcc
	s_cbranch_execz .LBB338_379
; %bb.378:
	s_lshl_b64 s[4:5], s[22:23], 3
	s_add_u32 s4, s2, s4
	s_addc_u32 s5, s3, s5
	v_mov_b32_e32 v29, 0
	v_lshl_add_u64 v[36:37], v[28:29], 3, s[4:5]
	global_store_dwordx2 v[36:37], v[8:9], off
.LBB338_379:
	s_or_b64 exec, exec, s[0:1]
	v_cmp_lt_u32_e32 vcc, v26, v23
	s_or_b64 s[4:5], s[34:35], vcc
	s_and_saveexec_b64 s[0:1], s[4:5]
	s_cbranch_execz .LBB338_382
; %bb.380:
	v_and_b32_e32 v25, 1, v17
	v_cmp_eq_u32_e32 vcc, 1, v25
	s_and_b64 exec, exec, vcc
	s_cbranch_execz .LBB338_382
; %bb.381:
	s_lshl_b64 s[4:5], s[22:23], 3
	s_add_u32 s4, s2, s4
	s_addc_u32 s5, s3, s5
	v_mov_b32_e32 v27, 0
	v_lshl_add_u64 v[36:37], v[26:27], 3, s[4:5]
	global_store_dwordx2 v[36:37], v[2:3], off
.LBB338_382:
	s_or_b64 exec, exec, s[0:1]
	v_cmp_lt_u32_e32 vcc, v24, v23
	s_or_b64 s[4:5], s[34:35], vcc
	s_and_saveexec_b64 s[0:1], s[4:5]
	s_cbranch_execz .LBB338_385
; %bb.383:
	v_and_b32_e32 v25, 1, v1
	v_cmp_eq_u32_e32 vcc, 1, v25
	s_and_b64 exec, exec, vcc
	s_cbranch_execz .LBB338_385
; %bb.384:
	s_lshl_b64 s[4:5], s[22:23], 3
	s_add_u32 s4, s2, s4
	s_addc_u32 s5, s3, s5
	v_mov_b32_e32 v25, 0
	v_lshl_add_u64 v[36:37], v[24:25], 3, s[4:5]
	global_store_dwordx2 v[36:37], v[4:5], off
.LBB338_385:
	s_or_b64 exec, exec, s[0:1]
	v_cmp_lt_u32_e32 vcc, v22, v23
	s_or_b64 s[4:5], s[34:35], vcc
	s_and_saveexec_b64 s[0:1], s[4:5]
	s_cbranch_execz .LBB338_388
; %bb.386:
	v_mov_b32_e32 v23, 1
	v_and_b32_sdwa v23, v23, v17 dst_sel:DWORD dst_unused:UNUSED_PAD src0_sel:DWORD src1_sel:WORD_1
	v_cmp_eq_u32_e32 vcc, 1, v23
	s_and_b64 exec, exec, vcc
	s_cbranch_execz .LBB338_388
; %bb.387:
	s_lshl_b64 s[4:5], s[22:23], 3
	s_add_u32 s4, s2, s4
	s_addc_u32 s5, s3, s5
	v_mov_b32_e32 v23, 0
	v_lshl_add_u64 v[36:37], v[22:23], 3, s[4:5]
	global_store_dwordx2 v[36:37], v[14:15], off
.LBB338_388:
	s_or_b64 exec, exec, s[0:1]
	s_branch .LBB338_365
.LBB338_389:
	v_and_b32_e32 v23, 1, v16
	v_cmp_eq_u32_e32 vcc, 1, v23
	s_and_saveexec_b64 s[0:1], vcc
	s_cbranch_execz .LBB338_391
; %bb.390:
	v_sub_u32_e32 v23, v34, v19
	v_lshlrev_b32_e32 v23, 3, v23
	ds_write_b64 v23, v[10:11]
.LBB338_391:
	s_or_b64 exec, exec, s[0:1]
	v_and_b32_e32 v10, 1, v21
	v_cmp_eq_u32_e32 vcc, 1, v10
	s_and_saveexec_b64 s[0:1], vcc
	s_cbranch_execz .LBB338_393
; %bb.392:
	v_sub_u32_e32 v10, v32, v19
	v_lshlrev_b32_e32 v10, 3, v10
	ds_write_b64 v10, v[12:13]
.LBB338_393:
	s_or_b64 exec, exec, s[0:1]
	v_mov_b32_e32 v10, 1
	v_and_b32_sdwa v10, v10, v16 dst_sel:DWORD dst_unused:UNUSED_PAD src0_sel:DWORD src1_sel:WORD_1
	v_cmp_eq_u32_e32 vcc, 1, v10
	s_and_saveexec_b64 s[0:1], vcc
	s_cbranch_execz .LBB338_395
; %bb.394:
	v_sub_u32_e32 v10, v30, v19
	v_lshlrev_b32_e32 v10, 3, v10
	ds_write_b64 v10, v[6:7]
.LBB338_395:
	s_or_b64 exec, exec, s[0:1]
	v_and_b32_e32 v6, 1, v20
	v_cmp_eq_u32_e32 vcc, 1, v6
	s_and_saveexec_b64 s[0:1], vcc
	s_cbranch_execz .LBB338_397
; %bb.396:
	v_sub_u32_e32 v6, v28, v19
	v_lshlrev_b32_e32 v6, 3, v6
	ds_write_b64 v6, v[8:9]
.LBB338_397:
	s_or_b64 exec, exec, s[0:1]
	v_and_b32_e32 v6, 1, v17
	;; [unrolled: 10-line block ×3, first 2 shown]
	v_cmp_eq_u32_e32 vcc, 1, v1
	s_and_saveexec_b64 s[0:1], vcc
	s_cbranch_execz .LBB338_401
; %bb.400:
	v_sub_u32_e32 v1, v24, v19
	v_lshlrev_b32_e32 v1, 3, v1
	ds_write_b64 v1, v[4:5]
.LBB338_401:
	s_or_b64 exec, exec, s[0:1]
	v_mov_b32_e32 v1, 1
	v_and_b32_sdwa v1, v1, v17 dst_sel:DWORD dst_unused:UNUSED_PAD src0_sel:DWORD src1_sel:WORD_1
	v_cmp_eq_u32_e32 vcc, 1, v1
	s_and_saveexec_b64 s[0:1], vcc
	s_cbranch_execz .LBB338_403
; %bb.402:
	v_sub_u32_e32 v1, v22, v19
	v_lshlrev_b32_e32 v1, 3, v1
	ds_write_b64 v1, v[14:15]
.LBB338_403:
	s_or_b64 exec, exec, s[0:1]
	v_cmp_lt_u32_e32 vcc, v0, v18
	s_waitcnt lgkmcnt(0)
	s_barrier
	s_and_saveexec_b64 s[0:1], vcc
	s_cbranch_execz .LBB338_406
; %bb.404:
	v_mov_b32_e32 v5, 0
	v_mov_b32_e32 v4, v19
	s_lshl_b64 s[4:5], s[22:23], 3
	v_lshlrev_b64 v[6:7], 3, v[4:5]
	v_lshl_add_u64 v[6:7], s[4:5], 0, v[6:7]
	v_lshlrev_b32_e32 v2, 3, v0
	v_mov_b32_e32 v3, v5
	v_lshl_add_u64 v[4:5], s[2:3], 0, v[6:7]
	v_lshl_add_u64 v[4:5], v[4:5], 0, v[2:3]
	s_mov_b64 s[2:3], 0
	s_mov_b64 s[4:5], 0x1000
	v_mov_b32_e32 v1, v0
.LBB338_405:                            ; =>This Inner Loop Header: Depth=1
	ds_read_b64 v[6:7], v2
	v_add_u32_e32 v1, 0x200, v1
	v_cmp_ge_u32_e32 vcc, v1, v18
	v_add_u32_e32 v2, 0x1000, v2
	s_or_b64 s[2:3], vcc, s[2:3]
	s_waitcnt lgkmcnt(0)
	global_store_dwordx2 v[4:5], v[6:7], off
	v_lshl_add_u64 v[4:5], v[4:5], 0, s[4:5]
	s_andn2_b64 exec, exec, s[2:3]
	s_cbranch_execnz .LBB338_405
.LBB338_406:
	s_or_b64 exec, exec, s[0:1]
	v_cmp_eq_u32_e32 vcc, 0, v0
	s_and_b64 s[0:1], vcc, s[24:25]
	s_and_saveexec_b64 s[2:3], s[0:1]
	s_cbranch_execz .LBB338_366
.LBB338_407:
	v_mov_b32_e32 v1, 0
	v_mov_b32_e32 v0, v18
	v_lshl_add_u64 v[2:3], s[22:23], 0, v[0:1]
	v_mov_b32_e32 v0, v19
	v_lshl_add_u64 v[2:3], v[2:3], 0, v[0:1]
	global_store_dwordx2 v1, v[2:3], s[20:21]
	s_endpgm
	.section	.rodata,"a",@progbits
	.p2align	6, 0x0
	.amdhsa_kernel _ZN7rocprim17ROCPRIM_400000_NS6detail17trampoline_kernelINS0_14default_configENS1_25partition_config_selectorILNS1_17partition_subalgoE8ElNS0_10empty_typeEbEEZZNS1_14partition_implILS5_8ELb0ES3_jPlPS6_PKS6_NS0_5tupleIJS9_S6_EEENSD_IJSA_SA_EEENS0_18inequality_wrapperIZN2at6native12_GLOBAL__N_124unique_dim_cuda_templateIaEESt5tupleIJNSH_6TensorESM_SM_EERKSM_lbbbEUlllE0_EEPmJS6_EEE10hipError_tPvRmT3_T4_T5_T6_T7_T9_mT8_P12ihipStream_tbDpT10_ENKUlT_T0_E_clISt17integral_constantIbLb1EES1B_IbLb0EEEEDaS17_S18_EUlS17_E_NS1_11comp_targetILNS1_3genE5ELNS1_11target_archE942ELNS1_3gpuE9ELNS1_3repE0EEENS1_30default_config_static_selectorELNS0_4arch9wavefront6targetE1EEEvT1_
		.amdhsa_group_segment_fixed_size 28684
		.amdhsa_private_segment_fixed_size 0
		.amdhsa_kernarg_size 120
		.amdhsa_user_sgpr_count 2
		.amdhsa_user_sgpr_dispatch_ptr 0
		.amdhsa_user_sgpr_queue_ptr 0
		.amdhsa_user_sgpr_kernarg_segment_ptr 1
		.amdhsa_user_sgpr_dispatch_id 0
		.amdhsa_user_sgpr_kernarg_preload_length 0
		.amdhsa_user_sgpr_kernarg_preload_offset 0
		.amdhsa_user_sgpr_private_segment_size 0
		.amdhsa_uses_dynamic_stack 0
		.amdhsa_enable_private_segment 0
		.amdhsa_system_sgpr_workgroup_id_x 1
		.amdhsa_system_sgpr_workgroup_id_y 0
		.amdhsa_system_sgpr_workgroup_id_z 0
		.amdhsa_system_sgpr_workgroup_info 0
		.amdhsa_system_vgpr_workitem_id 0
		.amdhsa_next_free_vgpr 52
		.amdhsa_next_free_sgpr 52
		.amdhsa_accum_offset 52
		.amdhsa_reserve_vcc 1
		.amdhsa_float_round_mode_32 0
		.amdhsa_float_round_mode_16_64 0
		.amdhsa_float_denorm_mode_32 3
		.amdhsa_float_denorm_mode_16_64 3
		.amdhsa_dx10_clamp 1
		.amdhsa_ieee_mode 1
		.amdhsa_fp16_overflow 0
		.amdhsa_tg_split 0
		.amdhsa_exception_fp_ieee_invalid_op 0
		.amdhsa_exception_fp_denorm_src 0
		.amdhsa_exception_fp_ieee_div_zero 0
		.amdhsa_exception_fp_ieee_overflow 0
		.amdhsa_exception_fp_ieee_underflow 0
		.amdhsa_exception_fp_ieee_inexact 0
		.amdhsa_exception_int_div_zero 0
	.end_amdhsa_kernel
	.section	.text._ZN7rocprim17ROCPRIM_400000_NS6detail17trampoline_kernelINS0_14default_configENS1_25partition_config_selectorILNS1_17partition_subalgoE8ElNS0_10empty_typeEbEEZZNS1_14partition_implILS5_8ELb0ES3_jPlPS6_PKS6_NS0_5tupleIJS9_S6_EEENSD_IJSA_SA_EEENS0_18inequality_wrapperIZN2at6native12_GLOBAL__N_124unique_dim_cuda_templateIaEESt5tupleIJNSH_6TensorESM_SM_EERKSM_lbbbEUlllE0_EEPmJS6_EEE10hipError_tPvRmT3_T4_T5_T6_T7_T9_mT8_P12ihipStream_tbDpT10_ENKUlT_T0_E_clISt17integral_constantIbLb1EES1B_IbLb0EEEEDaS17_S18_EUlS17_E_NS1_11comp_targetILNS1_3genE5ELNS1_11target_archE942ELNS1_3gpuE9ELNS1_3repE0EEENS1_30default_config_static_selectorELNS0_4arch9wavefront6targetE1EEEvT1_,"axG",@progbits,_ZN7rocprim17ROCPRIM_400000_NS6detail17trampoline_kernelINS0_14default_configENS1_25partition_config_selectorILNS1_17partition_subalgoE8ElNS0_10empty_typeEbEEZZNS1_14partition_implILS5_8ELb0ES3_jPlPS6_PKS6_NS0_5tupleIJS9_S6_EEENSD_IJSA_SA_EEENS0_18inequality_wrapperIZN2at6native12_GLOBAL__N_124unique_dim_cuda_templateIaEESt5tupleIJNSH_6TensorESM_SM_EERKSM_lbbbEUlllE0_EEPmJS6_EEE10hipError_tPvRmT3_T4_T5_T6_T7_T9_mT8_P12ihipStream_tbDpT10_ENKUlT_T0_E_clISt17integral_constantIbLb1EES1B_IbLb0EEEEDaS17_S18_EUlS17_E_NS1_11comp_targetILNS1_3genE5ELNS1_11target_archE942ELNS1_3gpuE9ELNS1_3repE0EEENS1_30default_config_static_selectorELNS0_4arch9wavefront6targetE1EEEvT1_,comdat
.Lfunc_end338:
	.size	_ZN7rocprim17ROCPRIM_400000_NS6detail17trampoline_kernelINS0_14default_configENS1_25partition_config_selectorILNS1_17partition_subalgoE8ElNS0_10empty_typeEbEEZZNS1_14partition_implILS5_8ELb0ES3_jPlPS6_PKS6_NS0_5tupleIJS9_S6_EEENSD_IJSA_SA_EEENS0_18inequality_wrapperIZN2at6native12_GLOBAL__N_124unique_dim_cuda_templateIaEESt5tupleIJNSH_6TensorESM_SM_EERKSM_lbbbEUlllE0_EEPmJS6_EEE10hipError_tPvRmT3_T4_T5_T6_T7_T9_mT8_P12ihipStream_tbDpT10_ENKUlT_T0_E_clISt17integral_constantIbLb1EES1B_IbLb0EEEEDaS17_S18_EUlS17_E_NS1_11comp_targetILNS1_3genE5ELNS1_11target_archE942ELNS1_3gpuE9ELNS1_3repE0EEENS1_30default_config_static_selectorELNS0_4arch9wavefront6targetE1EEEvT1_, .Lfunc_end338-_ZN7rocprim17ROCPRIM_400000_NS6detail17trampoline_kernelINS0_14default_configENS1_25partition_config_selectorILNS1_17partition_subalgoE8ElNS0_10empty_typeEbEEZZNS1_14partition_implILS5_8ELb0ES3_jPlPS6_PKS6_NS0_5tupleIJS9_S6_EEENSD_IJSA_SA_EEENS0_18inequality_wrapperIZN2at6native12_GLOBAL__N_124unique_dim_cuda_templateIaEESt5tupleIJNSH_6TensorESM_SM_EERKSM_lbbbEUlllE0_EEPmJS6_EEE10hipError_tPvRmT3_T4_T5_T6_T7_T9_mT8_P12ihipStream_tbDpT10_ENKUlT_T0_E_clISt17integral_constantIbLb1EES1B_IbLb0EEEEDaS17_S18_EUlS17_E_NS1_11comp_targetILNS1_3genE5ELNS1_11target_archE942ELNS1_3gpuE9ELNS1_3repE0EEENS1_30default_config_static_selectorELNS0_4arch9wavefront6targetE1EEEvT1_
                                        ; -- End function
	.section	.AMDGPU.csdata,"",@progbits
; Kernel info:
; codeLenInByte = 12152
; NumSgprs: 58
; NumVgprs: 52
; NumAgprs: 0
; TotalNumVgprs: 52
; ScratchSize: 0
; MemoryBound: 0
; FloatMode: 240
; IeeeMode: 1
; LDSByteSize: 28684 bytes/workgroup (compile time only)
; SGPRBlocks: 7
; VGPRBlocks: 6
; NumSGPRsForWavesPerEU: 58
; NumVGPRsForWavesPerEU: 52
; AccumOffset: 52
; Occupancy: 4
; WaveLimiterHint : 1
; COMPUTE_PGM_RSRC2:SCRATCH_EN: 0
; COMPUTE_PGM_RSRC2:USER_SGPR: 2
; COMPUTE_PGM_RSRC2:TRAP_HANDLER: 0
; COMPUTE_PGM_RSRC2:TGID_X_EN: 1
; COMPUTE_PGM_RSRC2:TGID_Y_EN: 0
; COMPUTE_PGM_RSRC2:TGID_Z_EN: 0
; COMPUTE_PGM_RSRC2:TIDIG_COMP_CNT: 0
; COMPUTE_PGM_RSRC3_GFX90A:ACCUM_OFFSET: 12
; COMPUTE_PGM_RSRC3_GFX90A:TG_SPLIT: 0
	.section	.text._ZN7rocprim17ROCPRIM_400000_NS6detail17trampoline_kernelINS0_14default_configENS1_25partition_config_selectorILNS1_17partition_subalgoE8ElNS0_10empty_typeEbEEZZNS1_14partition_implILS5_8ELb0ES3_jPlPS6_PKS6_NS0_5tupleIJS9_S6_EEENSD_IJSA_SA_EEENS0_18inequality_wrapperIZN2at6native12_GLOBAL__N_124unique_dim_cuda_templateIaEESt5tupleIJNSH_6TensorESM_SM_EERKSM_lbbbEUlllE0_EEPmJS6_EEE10hipError_tPvRmT3_T4_T5_T6_T7_T9_mT8_P12ihipStream_tbDpT10_ENKUlT_T0_E_clISt17integral_constantIbLb1EES1B_IbLb0EEEEDaS17_S18_EUlS17_E_NS1_11comp_targetILNS1_3genE4ELNS1_11target_archE910ELNS1_3gpuE8ELNS1_3repE0EEENS1_30default_config_static_selectorELNS0_4arch9wavefront6targetE1EEEvT1_,"axG",@progbits,_ZN7rocprim17ROCPRIM_400000_NS6detail17trampoline_kernelINS0_14default_configENS1_25partition_config_selectorILNS1_17partition_subalgoE8ElNS0_10empty_typeEbEEZZNS1_14partition_implILS5_8ELb0ES3_jPlPS6_PKS6_NS0_5tupleIJS9_S6_EEENSD_IJSA_SA_EEENS0_18inequality_wrapperIZN2at6native12_GLOBAL__N_124unique_dim_cuda_templateIaEESt5tupleIJNSH_6TensorESM_SM_EERKSM_lbbbEUlllE0_EEPmJS6_EEE10hipError_tPvRmT3_T4_T5_T6_T7_T9_mT8_P12ihipStream_tbDpT10_ENKUlT_T0_E_clISt17integral_constantIbLb1EES1B_IbLb0EEEEDaS17_S18_EUlS17_E_NS1_11comp_targetILNS1_3genE4ELNS1_11target_archE910ELNS1_3gpuE8ELNS1_3repE0EEENS1_30default_config_static_selectorELNS0_4arch9wavefront6targetE1EEEvT1_,comdat
	.globl	_ZN7rocprim17ROCPRIM_400000_NS6detail17trampoline_kernelINS0_14default_configENS1_25partition_config_selectorILNS1_17partition_subalgoE8ElNS0_10empty_typeEbEEZZNS1_14partition_implILS5_8ELb0ES3_jPlPS6_PKS6_NS0_5tupleIJS9_S6_EEENSD_IJSA_SA_EEENS0_18inequality_wrapperIZN2at6native12_GLOBAL__N_124unique_dim_cuda_templateIaEESt5tupleIJNSH_6TensorESM_SM_EERKSM_lbbbEUlllE0_EEPmJS6_EEE10hipError_tPvRmT3_T4_T5_T6_T7_T9_mT8_P12ihipStream_tbDpT10_ENKUlT_T0_E_clISt17integral_constantIbLb1EES1B_IbLb0EEEEDaS17_S18_EUlS17_E_NS1_11comp_targetILNS1_3genE4ELNS1_11target_archE910ELNS1_3gpuE8ELNS1_3repE0EEENS1_30default_config_static_selectorELNS0_4arch9wavefront6targetE1EEEvT1_ ; -- Begin function _ZN7rocprim17ROCPRIM_400000_NS6detail17trampoline_kernelINS0_14default_configENS1_25partition_config_selectorILNS1_17partition_subalgoE8ElNS0_10empty_typeEbEEZZNS1_14partition_implILS5_8ELb0ES3_jPlPS6_PKS6_NS0_5tupleIJS9_S6_EEENSD_IJSA_SA_EEENS0_18inequality_wrapperIZN2at6native12_GLOBAL__N_124unique_dim_cuda_templateIaEESt5tupleIJNSH_6TensorESM_SM_EERKSM_lbbbEUlllE0_EEPmJS6_EEE10hipError_tPvRmT3_T4_T5_T6_T7_T9_mT8_P12ihipStream_tbDpT10_ENKUlT_T0_E_clISt17integral_constantIbLb1EES1B_IbLb0EEEEDaS17_S18_EUlS17_E_NS1_11comp_targetILNS1_3genE4ELNS1_11target_archE910ELNS1_3gpuE8ELNS1_3repE0EEENS1_30default_config_static_selectorELNS0_4arch9wavefront6targetE1EEEvT1_
	.p2align	8
	.type	_ZN7rocprim17ROCPRIM_400000_NS6detail17trampoline_kernelINS0_14default_configENS1_25partition_config_selectorILNS1_17partition_subalgoE8ElNS0_10empty_typeEbEEZZNS1_14partition_implILS5_8ELb0ES3_jPlPS6_PKS6_NS0_5tupleIJS9_S6_EEENSD_IJSA_SA_EEENS0_18inequality_wrapperIZN2at6native12_GLOBAL__N_124unique_dim_cuda_templateIaEESt5tupleIJNSH_6TensorESM_SM_EERKSM_lbbbEUlllE0_EEPmJS6_EEE10hipError_tPvRmT3_T4_T5_T6_T7_T9_mT8_P12ihipStream_tbDpT10_ENKUlT_T0_E_clISt17integral_constantIbLb1EES1B_IbLb0EEEEDaS17_S18_EUlS17_E_NS1_11comp_targetILNS1_3genE4ELNS1_11target_archE910ELNS1_3gpuE8ELNS1_3repE0EEENS1_30default_config_static_selectorELNS0_4arch9wavefront6targetE1EEEvT1_,@function
_ZN7rocprim17ROCPRIM_400000_NS6detail17trampoline_kernelINS0_14default_configENS1_25partition_config_selectorILNS1_17partition_subalgoE8ElNS0_10empty_typeEbEEZZNS1_14partition_implILS5_8ELb0ES3_jPlPS6_PKS6_NS0_5tupleIJS9_S6_EEENSD_IJSA_SA_EEENS0_18inequality_wrapperIZN2at6native12_GLOBAL__N_124unique_dim_cuda_templateIaEESt5tupleIJNSH_6TensorESM_SM_EERKSM_lbbbEUlllE0_EEPmJS6_EEE10hipError_tPvRmT3_T4_T5_T6_T7_T9_mT8_P12ihipStream_tbDpT10_ENKUlT_T0_E_clISt17integral_constantIbLb1EES1B_IbLb0EEEEDaS17_S18_EUlS17_E_NS1_11comp_targetILNS1_3genE4ELNS1_11target_archE910ELNS1_3gpuE8ELNS1_3repE0EEENS1_30default_config_static_selectorELNS0_4arch9wavefront6targetE1EEEvT1_: ; @_ZN7rocprim17ROCPRIM_400000_NS6detail17trampoline_kernelINS0_14default_configENS1_25partition_config_selectorILNS1_17partition_subalgoE8ElNS0_10empty_typeEbEEZZNS1_14partition_implILS5_8ELb0ES3_jPlPS6_PKS6_NS0_5tupleIJS9_S6_EEENSD_IJSA_SA_EEENS0_18inequality_wrapperIZN2at6native12_GLOBAL__N_124unique_dim_cuda_templateIaEESt5tupleIJNSH_6TensorESM_SM_EERKSM_lbbbEUlllE0_EEPmJS6_EEE10hipError_tPvRmT3_T4_T5_T6_T7_T9_mT8_P12ihipStream_tbDpT10_ENKUlT_T0_E_clISt17integral_constantIbLb1EES1B_IbLb0EEEEDaS17_S18_EUlS17_E_NS1_11comp_targetILNS1_3genE4ELNS1_11target_archE910ELNS1_3gpuE8ELNS1_3repE0EEENS1_30default_config_static_selectorELNS0_4arch9wavefront6targetE1EEEvT1_
; %bb.0:
	.section	.rodata,"a",@progbits
	.p2align	6, 0x0
	.amdhsa_kernel _ZN7rocprim17ROCPRIM_400000_NS6detail17trampoline_kernelINS0_14default_configENS1_25partition_config_selectorILNS1_17partition_subalgoE8ElNS0_10empty_typeEbEEZZNS1_14partition_implILS5_8ELb0ES3_jPlPS6_PKS6_NS0_5tupleIJS9_S6_EEENSD_IJSA_SA_EEENS0_18inequality_wrapperIZN2at6native12_GLOBAL__N_124unique_dim_cuda_templateIaEESt5tupleIJNSH_6TensorESM_SM_EERKSM_lbbbEUlllE0_EEPmJS6_EEE10hipError_tPvRmT3_T4_T5_T6_T7_T9_mT8_P12ihipStream_tbDpT10_ENKUlT_T0_E_clISt17integral_constantIbLb1EES1B_IbLb0EEEEDaS17_S18_EUlS17_E_NS1_11comp_targetILNS1_3genE4ELNS1_11target_archE910ELNS1_3gpuE8ELNS1_3repE0EEENS1_30default_config_static_selectorELNS0_4arch9wavefront6targetE1EEEvT1_
		.amdhsa_group_segment_fixed_size 0
		.amdhsa_private_segment_fixed_size 0
		.amdhsa_kernarg_size 120
		.amdhsa_user_sgpr_count 2
		.amdhsa_user_sgpr_dispatch_ptr 0
		.amdhsa_user_sgpr_queue_ptr 0
		.amdhsa_user_sgpr_kernarg_segment_ptr 1
		.amdhsa_user_sgpr_dispatch_id 0
		.amdhsa_user_sgpr_kernarg_preload_length 0
		.amdhsa_user_sgpr_kernarg_preload_offset 0
		.amdhsa_user_sgpr_private_segment_size 0
		.amdhsa_uses_dynamic_stack 0
		.amdhsa_enable_private_segment 0
		.amdhsa_system_sgpr_workgroup_id_x 1
		.amdhsa_system_sgpr_workgroup_id_y 0
		.amdhsa_system_sgpr_workgroup_id_z 0
		.amdhsa_system_sgpr_workgroup_info 0
		.amdhsa_system_vgpr_workitem_id 0
		.amdhsa_next_free_vgpr 1
		.amdhsa_next_free_sgpr 0
		.amdhsa_accum_offset 4
		.amdhsa_reserve_vcc 0
		.amdhsa_float_round_mode_32 0
		.amdhsa_float_round_mode_16_64 0
		.amdhsa_float_denorm_mode_32 3
		.amdhsa_float_denorm_mode_16_64 3
		.amdhsa_dx10_clamp 1
		.amdhsa_ieee_mode 1
		.amdhsa_fp16_overflow 0
		.amdhsa_tg_split 0
		.amdhsa_exception_fp_ieee_invalid_op 0
		.amdhsa_exception_fp_denorm_src 0
		.amdhsa_exception_fp_ieee_div_zero 0
		.amdhsa_exception_fp_ieee_overflow 0
		.amdhsa_exception_fp_ieee_underflow 0
		.amdhsa_exception_fp_ieee_inexact 0
		.amdhsa_exception_int_div_zero 0
	.end_amdhsa_kernel
	.section	.text._ZN7rocprim17ROCPRIM_400000_NS6detail17trampoline_kernelINS0_14default_configENS1_25partition_config_selectorILNS1_17partition_subalgoE8ElNS0_10empty_typeEbEEZZNS1_14partition_implILS5_8ELb0ES3_jPlPS6_PKS6_NS0_5tupleIJS9_S6_EEENSD_IJSA_SA_EEENS0_18inequality_wrapperIZN2at6native12_GLOBAL__N_124unique_dim_cuda_templateIaEESt5tupleIJNSH_6TensorESM_SM_EERKSM_lbbbEUlllE0_EEPmJS6_EEE10hipError_tPvRmT3_T4_T5_T6_T7_T9_mT8_P12ihipStream_tbDpT10_ENKUlT_T0_E_clISt17integral_constantIbLb1EES1B_IbLb0EEEEDaS17_S18_EUlS17_E_NS1_11comp_targetILNS1_3genE4ELNS1_11target_archE910ELNS1_3gpuE8ELNS1_3repE0EEENS1_30default_config_static_selectorELNS0_4arch9wavefront6targetE1EEEvT1_,"axG",@progbits,_ZN7rocprim17ROCPRIM_400000_NS6detail17trampoline_kernelINS0_14default_configENS1_25partition_config_selectorILNS1_17partition_subalgoE8ElNS0_10empty_typeEbEEZZNS1_14partition_implILS5_8ELb0ES3_jPlPS6_PKS6_NS0_5tupleIJS9_S6_EEENSD_IJSA_SA_EEENS0_18inequality_wrapperIZN2at6native12_GLOBAL__N_124unique_dim_cuda_templateIaEESt5tupleIJNSH_6TensorESM_SM_EERKSM_lbbbEUlllE0_EEPmJS6_EEE10hipError_tPvRmT3_T4_T5_T6_T7_T9_mT8_P12ihipStream_tbDpT10_ENKUlT_T0_E_clISt17integral_constantIbLb1EES1B_IbLb0EEEEDaS17_S18_EUlS17_E_NS1_11comp_targetILNS1_3genE4ELNS1_11target_archE910ELNS1_3gpuE8ELNS1_3repE0EEENS1_30default_config_static_selectorELNS0_4arch9wavefront6targetE1EEEvT1_,comdat
.Lfunc_end339:
	.size	_ZN7rocprim17ROCPRIM_400000_NS6detail17trampoline_kernelINS0_14default_configENS1_25partition_config_selectorILNS1_17partition_subalgoE8ElNS0_10empty_typeEbEEZZNS1_14partition_implILS5_8ELb0ES3_jPlPS6_PKS6_NS0_5tupleIJS9_S6_EEENSD_IJSA_SA_EEENS0_18inequality_wrapperIZN2at6native12_GLOBAL__N_124unique_dim_cuda_templateIaEESt5tupleIJNSH_6TensorESM_SM_EERKSM_lbbbEUlllE0_EEPmJS6_EEE10hipError_tPvRmT3_T4_T5_T6_T7_T9_mT8_P12ihipStream_tbDpT10_ENKUlT_T0_E_clISt17integral_constantIbLb1EES1B_IbLb0EEEEDaS17_S18_EUlS17_E_NS1_11comp_targetILNS1_3genE4ELNS1_11target_archE910ELNS1_3gpuE8ELNS1_3repE0EEENS1_30default_config_static_selectorELNS0_4arch9wavefront6targetE1EEEvT1_, .Lfunc_end339-_ZN7rocprim17ROCPRIM_400000_NS6detail17trampoline_kernelINS0_14default_configENS1_25partition_config_selectorILNS1_17partition_subalgoE8ElNS0_10empty_typeEbEEZZNS1_14partition_implILS5_8ELb0ES3_jPlPS6_PKS6_NS0_5tupleIJS9_S6_EEENSD_IJSA_SA_EEENS0_18inequality_wrapperIZN2at6native12_GLOBAL__N_124unique_dim_cuda_templateIaEESt5tupleIJNSH_6TensorESM_SM_EERKSM_lbbbEUlllE0_EEPmJS6_EEE10hipError_tPvRmT3_T4_T5_T6_T7_T9_mT8_P12ihipStream_tbDpT10_ENKUlT_T0_E_clISt17integral_constantIbLb1EES1B_IbLb0EEEEDaS17_S18_EUlS17_E_NS1_11comp_targetILNS1_3genE4ELNS1_11target_archE910ELNS1_3gpuE8ELNS1_3repE0EEENS1_30default_config_static_selectorELNS0_4arch9wavefront6targetE1EEEvT1_
                                        ; -- End function
	.section	.AMDGPU.csdata,"",@progbits
; Kernel info:
; codeLenInByte = 0
; NumSgprs: 6
; NumVgprs: 0
; NumAgprs: 0
; TotalNumVgprs: 0
; ScratchSize: 0
; MemoryBound: 0
; FloatMode: 240
; IeeeMode: 1
; LDSByteSize: 0 bytes/workgroup (compile time only)
; SGPRBlocks: 0
; VGPRBlocks: 0
; NumSGPRsForWavesPerEU: 6
; NumVGPRsForWavesPerEU: 1
; AccumOffset: 4
; Occupancy: 8
; WaveLimiterHint : 0
; COMPUTE_PGM_RSRC2:SCRATCH_EN: 0
; COMPUTE_PGM_RSRC2:USER_SGPR: 2
; COMPUTE_PGM_RSRC2:TRAP_HANDLER: 0
; COMPUTE_PGM_RSRC2:TGID_X_EN: 1
; COMPUTE_PGM_RSRC2:TGID_Y_EN: 0
; COMPUTE_PGM_RSRC2:TGID_Z_EN: 0
; COMPUTE_PGM_RSRC2:TIDIG_COMP_CNT: 0
; COMPUTE_PGM_RSRC3_GFX90A:ACCUM_OFFSET: 0
; COMPUTE_PGM_RSRC3_GFX90A:TG_SPLIT: 0
	.section	.text._ZN7rocprim17ROCPRIM_400000_NS6detail17trampoline_kernelINS0_14default_configENS1_25partition_config_selectorILNS1_17partition_subalgoE8ElNS0_10empty_typeEbEEZZNS1_14partition_implILS5_8ELb0ES3_jPlPS6_PKS6_NS0_5tupleIJS9_S6_EEENSD_IJSA_SA_EEENS0_18inequality_wrapperIZN2at6native12_GLOBAL__N_124unique_dim_cuda_templateIaEESt5tupleIJNSH_6TensorESM_SM_EERKSM_lbbbEUlllE0_EEPmJS6_EEE10hipError_tPvRmT3_T4_T5_T6_T7_T9_mT8_P12ihipStream_tbDpT10_ENKUlT_T0_E_clISt17integral_constantIbLb1EES1B_IbLb0EEEEDaS17_S18_EUlS17_E_NS1_11comp_targetILNS1_3genE3ELNS1_11target_archE908ELNS1_3gpuE7ELNS1_3repE0EEENS1_30default_config_static_selectorELNS0_4arch9wavefront6targetE1EEEvT1_,"axG",@progbits,_ZN7rocprim17ROCPRIM_400000_NS6detail17trampoline_kernelINS0_14default_configENS1_25partition_config_selectorILNS1_17partition_subalgoE8ElNS0_10empty_typeEbEEZZNS1_14partition_implILS5_8ELb0ES3_jPlPS6_PKS6_NS0_5tupleIJS9_S6_EEENSD_IJSA_SA_EEENS0_18inequality_wrapperIZN2at6native12_GLOBAL__N_124unique_dim_cuda_templateIaEESt5tupleIJNSH_6TensorESM_SM_EERKSM_lbbbEUlllE0_EEPmJS6_EEE10hipError_tPvRmT3_T4_T5_T6_T7_T9_mT8_P12ihipStream_tbDpT10_ENKUlT_T0_E_clISt17integral_constantIbLb1EES1B_IbLb0EEEEDaS17_S18_EUlS17_E_NS1_11comp_targetILNS1_3genE3ELNS1_11target_archE908ELNS1_3gpuE7ELNS1_3repE0EEENS1_30default_config_static_selectorELNS0_4arch9wavefront6targetE1EEEvT1_,comdat
	.globl	_ZN7rocprim17ROCPRIM_400000_NS6detail17trampoline_kernelINS0_14default_configENS1_25partition_config_selectorILNS1_17partition_subalgoE8ElNS0_10empty_typeEbEEZZNS1_14partition_implILS5_8ELb0ES3_jPlPS6_PKS6_NS0_5tupleIJS9_S6_EEENSD_IJSA_SA_EEENS0_18inequality_wrapperIZN2at6native12_GLOBAL__N_124unique_dim_cuda_templateIaEESt5tupleIJNSH_6TensorESM_SM_EERKSM_lbbbEUlllE0_EEPmJS6_EEE10hipError_tPvRmT3_T4_T5_T6_T7_T9_mT8_P12ihipStream_tbDpT10_ENKUlT_T0_E_clISt17integral_constantIbLb1EES1B_IbLb0EEEEDaS17_S18_EUlS17_E_NS1_11comp_targetILNS1_3genE3ELNS1_11target_archE908ELNS1_3gpuE7ELNS1_3repE0EEENS1_30default_config_static_selectorELNS0_4arch9wavefront6targetE1EEEvT1_ ; -- Begin function _ZN7rocprim17ROCPRIM_400000_NS6detail17trampoline_kernelINS0_14default_configENS1_25partition_config_selectorILNS1_17partition_subalgoE8ElNS0_10empty_typeEbEEZZNS1_14partition_implILS5_8ELb0ES3_jPlPS6_PKS6_NS0_5tupleIJS9_S6_EEENSD_IJSA_SA_EEENS0_18inequality_wrapperIZN2at6native12_GLOBAL__N_124unique_dim_cuda_templateIaEESt5tupleIJNSH_6TensorESM_SM_EERKSM_lbbbEUlllE0_EEPmJS6_EEE10hipError_tPvRmT3_T4_T5_T6_T7_T9_mT8_P12ihipStream_tbDpT10_ENKUlT_T0_E_clISt17integral_constantIbLb1EES1B_IbLb0EEEEDaS17_S18_EUlS17_E_NS1_11comp_targetILNS1_3genE3ELNS1_11target_archE908ELNS1_3gpuE7ELNS1_3repE0EEENS1_30default_config_static_selectorELNS0_4arch9wavefront6targetE1EEEvT1_
	.p2align	8
	.type	_ZN7rocprim17ROCPRIM_400000_NS6detail17trampoline_kernelINS0_14default_configENS1_25partition_config_selectorILNS1_17partition_subalgoE8ElNS0_10empty_typeEbEEZZNS1_14partition_implILS5_8ELb0ES3_jPlPS6_PKS6_NS0_5tupleIJS9_S6_EEENSD_IJSA_SA_EEENS0_18inequality_wrapperIZN2at6native12_GLOBAL__N_124unique_dim_cuda_templateIaEESt5tupleIJNSH_6TensorESM_SM_EERKSM_lbbbEUlllE0_EEPmJS6_EEE10hipError_tPvRmT3_T4_T5_T6_T7_T9_mT8_P12ihipStream_tbDpT10_ENKUlT_T0_E_clISt17integral_constantIbLb1EES1B_IbLb0EEEEDaS17_S18_EUlS17_E_NS1_11comp_targetILNS1_3genE3ELNS1_11target_archE908ELNS1_3gpuE7ELNS1_3repE0EEENS1_30default_config_static_selectorELNS0_4arch9wavefront6targetE1EEEvT1_,@function
_ZN7rocprim17ROCPRIM_400000_NS6detail17trampoline_kernelINS0_14default_configENS1_25partition_config_selectorILNS1_17partition_subalgoE8ElNS0_10empty_typeEbEEZZNS1_14partition_implILS5_8ELb0ES3_jPlPS6_PKS6_NS0_5tupleIJS9_S6_EEENSD_IJSA_SA_EEENS0_18inequality_wrapperIZN2at6native12_GLOBAL__N_124unique_dim_cuda_templateIaEESt5tupleIJNSH_6TensorESM_SM_EERKSM_lbbbEUlllE0_EEPmJS6_EEE10hipError_tPvRmT3_T4_T5_T6_T7_T9_mT8_P12ihipStream_tbDpT10_ENKUlT_T0_E_clISt17integral_constantIbLb1EES1B_IbLb0EEEEDaS17_S18_EUlS17_E_NS1_11comp_targetILNS1_3genE3ELNS1_11target_archE908ELNS1_3gpuE7ELNS1_3repE0EEENS1_30default_config_static_selectorELNS0_4arch9wavefront6targetE1EEEvT1_: ; @_ZN7rocprim17ROCPRIM_400000_NS6detail17trampoline_kernelINS0_14default_configENS1_25partition_config_selectorILNS1_17partition_subalgoE8ElNS0_10empty_typeEbEEZZNS1_14partition_implILS5_8ELb0ES3_jPlPS6_PKS6_NS0_5tupleIJS9_S6_EEENSD_IJSA_SA_EEENS0_18inequality_wrapperIZN2at6native12_GLOBAL__N_124unique_dim_cuda_templateIaEESt5tupleIJNSH_6TensorESM_SM_EERKSM_lbbbEUlllE0_EEPmJS6_EEE10hipError_tPvRmT3_T4_T5_T6_T7_T9_mT8_P12ihipStream_tbDpT10_ENKUlT_T0_E_clISt17integral_constantIbLb1EES1B_IbLb0EEEEDaS17_S18_EUlS17_E_NS1_11comp_targetILNS1_3genE3ELNS1_11target_archE908ELNS1_3gpuE7ELNS1_3repE0EEENS1_30default_config_static_selectorELNS0_4arch9wavefront6targetE1EEEvT1_
; %bb.0:
	.section	.rodata,"a",@progbits
	.p2align	6, 0x0
	.amdhsa_kernel _ZN7rocprim17ROCPRIM_400000_NS6detail17trampoline_kernelINS0_14default_configENS1_25partition_config_selectorILNS1_17partition_subalgoE8ElNS0_10empty_typeEbEEZZNS1_14partition_implILS5_8ELb0ES3_jPlPS6_PKS6_NS0_5tupleIJS9_S6_EEENSD_IJSA_SA_EEENS0_18inequality_wrapperIZN2at6native12_GLOBAL__N_124unique_dim_cuda_templateIaEESt5tupleIJNSH_6TensorESM_SM_EERKSM_lbbbEUlllE0_EEPmJS6_EEE10hipError_tPvRmT3_T4_T5_T6_T7_T9_mT8_P12ihipStream_tbDpT10_ENKUlT_T0_E_clISt17integral_constantIbLb1EES1B_IbLb0EEEEDaS17_S18_EUlS17_E_NS1_11comp_targetILNS1_3genE3ELNS1_11target_archE908ELNS1_3gpuE7ELNS1_3repE0EEENS1_30default_config_static_selectorELNS0_4arch9wavefront6targetE1EEEvT1_
		.amdhsa_group_segment_fixed_size 0
		.amdhsa_private_segment_fixed_size 0
		.amdhsa_kernarg_size 120
		.amdhsa_user_sgpr_count 2
		.amdhsa_user_sgpr_dispatch_ptr 0
		.amdhsa_user_sgpr_queue_ptr 0
		.amdhsa_user_sgpr_kernarg_segment_ptr 1
		.amdhsa_user_sgpr_dispatch_id 0
		.amdhsa_user_sgpr_kernarg_preload_length 0
		.amdhsa_user_sgpr_kernarg_preload_offset 0
		.amdhsa_user_sgpr_private_segment_size 0
		.amdhsa_uses_dynamic_stack 0
		.amdhsa_enable_private_segment 0
		.amdhsa_system_sgpr_workgroup_id_x 1
		.amdhsa_system_sgpr_workgroup_id_y 0
		.amdhsa_system_sgpr_workgroup_id_z 0
		.amdhsa_system_sgpr_workgroup_info 0
		.amdhsa_system_vgpr_workitem_id 0
		.amdhsa_next_free_vgpr 1
		.amdhsa_next_free_sgpr 0
		.amdhsa_accum_offset 4
		.amdhsa_reserve_vcc 0
		.amdhsa_float_round_mode_32 0
		.amdhsa_float_round_mode_16_64 0
		.amdhsa_float_denorm_mode_32 3
		.amdhsa_float_denorm_mode_16_64 3
		.amdhsa_dx10_clamp 1
		.amdhsa_ieee_mode 1
		.amdhsa_fp16_overflow 0
		.amdhsa_tg_split 0
		.amdhsa_exception_fp_ieee_invalid_op 0
		.amdhsa_exception_fp_denorm_src 0
		.amdhsa_exception_fp_ieee_div_zero 0
		.amdhsa_exception_fp_ieee_overflow 0
		.amdhsa_exception_fp_ieee_underflow 0
		.amdhsa_exception_fp_ieee_inexact 0
		.amdhsa_exception_int_div_zero 0
	.end_amdhsa_kernel
	.section	.text._ZN7rocprim17ROCPRIM_400000_NS6detail17trampoline_kernelINS0_14default_configENS1_25partition_config_selectorILNS1_17partition_subalgoE8ElNS0_10empty_typeEbEEZZNS1_14partition_implILS5_8ELb0ES3_jPlPS6_PKS6_NS0_5tupleIJS9_S6_EEENSD_IJSA_SA_EEENS0_18inequality_wrapperIZN2at6native12_GLOBAL__N_124unique_dim_cuda_templateIaEESt5tupleIJNSH_6TensorESM_SM_EERKSM_lbbbEUlllE0_EEPmJS6_EEE10hipError_tPvRmT3_T4_T5_T6_T7_T9_mT8_P12ihipStream_tbDpT10_ENKUlT_T0_E_clISt17integral_constantIbLb1EES1B_IbLb0EEEEDaS17_S18_EUlS17_E_NS1_11comp_targetILNS1_3genE3ELNS1_11target_archE908ELNS1_3gpuE7ELNS1_3repE0EEENS1_30default_config_static_selectorELNS0_4arch9wavefront6targetE1EEEvT1_,"axG",@progbits,_ZN7rocprim17ROCPRIM_400000_NS6detail17trampoline_kernelINS0_14default_configENS1_25partition_config_selectorILNS1_17partition_subalgoE8ElNS0_10empty_typeEbEEZZNS1_14partition_implILS5_8ELb0ES3_jPlPS6_PKS6_NS0_5tupleIJS9_S6_EEENSD_IJSA_SA_EEENS0_18inequality_wrapperIZN2at6native12_GLOBAL__N_124unique_dim_cuda_templateIaEESt5tupleIJNSH_6TensorESM_SM_EERKSM_lbbbEUlllE0_EEPmJS6_EEE10hipError_tPvRmT3_T4_T5_T6_T7_T9_mT8_P12ihipStream_tbDpT10_ENKUlT_T0_E_clISt17integral_constantIbLb1EES1B_IbLb0EEEEDaS17_S18_EUlS17_E_NS1_11comp_targetILNS1_3genE3ELNS1_11target_archE908ELNS1_3gpuE7ELNS1_3repE0EEENS1_30default_config_static_selectorELNS0_4arch9wavefront6targetE1EEEvT1_,comdat
.Lfunc_end340:
	.size	_ZN7rocprim17ROCPRIM_400000_NS6detail17trampoline_kernelINS0_14default_configENS1_25partition_config_selectorILNS1_17partition_subalgoE8ElNS0_10empty_typeEbEEZZNS1_14partition_implILS5_8ELb0ES3_jPlPS6_PKS6_NS0_5tupleIJS9_S6_EEENSD_IJSA_SA_EEENS0_18inequality_wrapperIZN2at6native12_GLOBAL__N_124unique_dim_cuda_templateIaEESt5tupleIJNSH_6TensorESM_SM_EERKSM_lbbbEUlllE0_EEPmJS6_EEE10hipError_tPvRmT3_T4_T5_T6_T7_T9_mT8_P12ihipStream_tbDpT10_ENKUlT_T0_E_clISt17integral_constantIbLb1EES1B_IbLb0EEEEDaS17_S18_EUlS17_E_NS1_11comp_targetILNS1_3genE3ELNS1_11target_archE908ELNS1_3gpuE7ELNS1_3repE0EEENS1_30default_config_static_selectorELNS0_4arch9wavefront6targetE1EEEvT1_, .Lfunc_end340-_ZN7rocprim17ROCPRIM_400000_NS6detail17trampoline_kernelINS0_14default_configENS1_25partition_config_selectorILNS1_17partition_subalgoE8ElNS0_10empty_typeEbEEZZNS1_14partition_implILS5_8ELb0ES3_jPlPS6_PKS6_NS0_5tupleIJS9_S6_EEENSD_IJSA_SA_EEENS0_18inequality_wrapperIZN2at6native12_GLOBAL__N_124unique_dim_cuda_templateIaEESt5tupleIJNSH_6TensorESM_SM_EERKSM_lbbbEUlllE0_EEPmJS6_EEE10hipError_tPvRmT3_T4_T5_T6_T7_T9_mT8_P12ihipStream_tbDpT10_ENKUlT_T0_E_clISt17integral_constantIbLb1EES1B_IbLb0EEEEDaS17_S18_EUlS17_E_NS1_11comp_targetILNS1_3genE3ELNS1_11target_archE908ELNS1_3gpuE7ELNS1_3repE0EEENS1_30default_config_static_selectorELNS0_4arch9wavefront6targetE1EEEvT1_
                                        ; -- End function
	.section	.AMDGPU.csdata,"",@progbits
; Kernel info:
; codeLenInByte = 0
; NumSgprs: 6
; NumVgprs: 0
; NumAgprs: 0
; TotalNumVgprs: 0
; ScratchSize: 0
; MemoryBound: 0
; FloatMode: 240
; IeeeMode: 1
; LDSByteSize: 0 bytes/workgroup (compile time only)
; SGPRBlocks: 0
; VGPRBlocks: 0
; NumSGPRsForWavesPerEU: 6
; NumVGPRsForWavesPerEU: 1
; AccumOffset: 4
; Occupancy: 8
; WaveLimiterHint : 0
; COMPUTE_PGM_RSRC2:SCRATCH_EN: 0
; COMPUTE_PGM_RSRC2:USER_SGPR: 2
; COMPUTE_PGM_RSRC2:TRAP_HANDLER: 0
; COMPUTE_PGM_RSRC2:TGID_X_EN: 1
; COMPUTE_PGM_RSRC2:TGID_Y_EN: 0
; COMPUTE_PGM_RSRC2:TGID_Z_EN: 0
; COMPUTE_PGM_RSRC2:TIDIG_COMP_CNT: 0
; COMPUTE_PGM_RSRC3_GFX90A:ACCUM_OFFSET: 0
; COMPUTE_PGM_RSRC3_GFX90A:TG_SPLIT: 0
	.section	.text._ZN7rocprim17ROCPRIM_400000_NS6detail17trampoline_kernelINS0_14default_configENS1_25partition_config_selectorILNS1_17partition_subalgoE8ElNS0_10empty_typeEbEEZZNS1_14partition_implILS5_8ELb0ES3_jPlPS6_PKS6_NS0_5tupleIJS9_S6_EEENSD_IJSA_SA_EEENS0_18inequality_wrapperIZN2at6native12_GLOBAL__N_124unique_dim_cuda_templateIaEESt5tupleIJNSH_6TensorESM_SM_EERKSM_lbbbEUlllE0_EEPmJS6_EEE10hipError_tPvRmT3_T4_T5_T6_T7_T9_mT8_P12ihipStream_tbDpT10_ENKUlT_T0_E_clISt17integral_constantIbLb1EES1B_IbLb0EEEEDaS17_S18_EUlS17_E_NS1_11comp_targetILNS1_3genE2ELNS1_11target_archE906ELNS1_3gpuE6ELNS1_3repE0EEENS1_30default_config_static_selectorELNS0_4arch9wavefront6targetE1EEEvT1_,"axG",@progbits,_ZN7rocprim17ROCPRIM_400000_NS6detail17trampoline_kernelINS0_14default_configENS1_25partition_config_selectorILNS1_17partition_subalgoE8ElNS0_10empty_typeEbEEZZNS1_14partition_implILS5_8ELb0ES3_jPlPS6_PKS6_NS0_5tupleIJS9_S6_EEENSD_IJSA_SA_EEENS0_18inequality_wrapperIZN2at6native12_GLOBAL__N_124unique_dim_cuda_templateIaEESt5tupleIJNSH_6TensorESM_SM_EERKSM_lbbbEUlllE0_EEPmJS6_EEE10hipError_tPvRmT3_T4_T5_T6_T7_T9_mT8_P12ihipStream_tbDpT10_ENKUlT_T0_E_clISt17integral_constantIbLb1EES1B_IbLb0EEEEDaS17_S18_EUlS17_E_NS1_11comp_targetILNS1_3genE2ELNS1_11target_archE906ELNS1_3gpuE6ELNS1_3repE0EEENS1_30default_config_static_selectorELNS0_4arch9wavefront6targetE1EEEvT1_,comdat
	.globl	_ZN7rocprim17ROCPRIM_400000_NS6detail17trampoline_kernelINS0_14default_configENS1_25partition_config_selectorILNS1_17partition_subalgoE8ElNS0_10empty_typeEbEEZZNS1_14partition_implILS5_8ELb0ES3_jPlPS6_PKS6_NS0_5tupleIJS9_S6_EEENSD_IJSA_SA_EEENS0_18inequality_wrapperIZN2at6native12_GLOBAL__N_124unique_dim_cuda_templateIaEESt5tupleIJNSH_6TensorESM_SM_EERKSM_lbbbEUlllE0_EEPmJS6_EEE10hipError_tPvRmT3_T4_T5_T6_T7_T9_mT8_P12ihipStream_tbDpT10_ENKUlT_T0_E_clISt17integral_constantIbLb1EES1B_IbLb0EEEEDaS17_S18_EUlS17_E_NS1_11comp_targetILNS1_3genE2ELNS1_11target_archE906ELNS1_3gpuE6ELNS1_3repE0EEENS1_30default_config_static_selectorELNS0_4arch9wavefront6targetE1EEEvT1_ ; -- Begin function _ZN7rocprim17ROCPRIM_400000_NS6detail17trampoline_kernelINS0_14default_configENS1_25partition_config_selectorILNS1_17partition_subalgoE8ElNS0_10empty_typeEbEEZZNS1_14partition_implILS5_8ELb0ES3_jPlPS6_PKS6_NS0_5tupleIJS9_S6_EEENSD_IJSA_SA_EEENS0_18inequality_wrapperIZN2at6native12_GLOBAL__N_124unique_dim_cuda_templateIaEESt5tupleIJNSH_6TensorESM_SM_EERKSM_lbbbEUlllE0_EEPmJS6_EEE10hipError_tPvRmT3_T4_T5_T6_T7_T9_mT8_P12ihipStream_tbDpT10_ENKUlT_T0_E_clISt17integral_constantIbLb1EES1B_IbLb0EEEEDaS17_S18_EUlS17_E_NS1_11comp_targetILNS1_3genE2ELNS1_11target_archE906ELNS1_3gpuE6ELNS1_3repE0EEENS1_30default_config_static_selectorELNS0_4arch9wavefront6targetE1EEEvT1_
	.p2align	8
	.type	_ZN7rocprim17ROCPRIM_400000_NS6detail17trampoline_kernelINS0_14default_configENS1_25partition_config_selectorILNS1_17partition_subalgoE8ElNS0_10empty_typeEbEEZZNS1_14partition_implILS5_8ELb0ES3_jPlPS6_PKS6_NS0_5tupleIJS9_S6_EEENSD_IJSA_SA_EEENS0_18inequality_wrapperIZN2at6native12_GLOBAL__N_124unique_dim_cuda_templateIaEESt5tupleIJNSH_6TensorESM_SM_EERKSM_lbbbEUlllE0_EEPmJS6_EEE10hipError_tPvRmT3_T4_T5_T6_T7_T9_mT8_P12ihipStream_tbDpT10_ENKUlT_T0_E_clISt17integral_constantIbLb1EES1B_IbLb0EEEEDaS17_S18_EUlS17_E_NS1_11comp_targetILNS1_3genE2ELNS1_11target_archE906ELNS1_3gpuE6ELNS1_3repE0EEENS1_30default_config_static_selectorELNS0_4arch9wavefront6targetE1EEEvT1_,@function
_ZN7rocprim17ROCPRIM_400000_NS6detail17trampoline_kernelINS0_14default_configENS1_25partition_config_selectorILNS1_17partition_subalgoE8ElNS0_10empty_typeEbEEZZNS1_14partition_implILS5_8ELb0ES3_jPlPS6_PKS6_NS0_5tupleIJS9_S6_EEENSD_IJSA_SA_EEENS0_18inequality_wrapperIZN2at6native12_GLOBAL__N_124unique_dim_cuda_templateIaEESt5tupleIJNSH_6TensorESM_SM_EERKSM_lbbbEUlllE0_EEPmJS6_EEE10hipError_tPvRmT3_T4_T5_T6_T7_T9_mT8_P12ihipStream_tbDpT10_ENKUlT_T0_E_clISt17integral_constantIbLb1EES1B_IbLb0EEEEDaS17_S18_EUlS17_E_NS1_11comp_targetILNS1_3genE2ELNS1_11target_archE906ELNS1_3gpuE6ELNS1_3repE0EEENS1_30default_config_static_selectorELNS0_4arch9wavefront6targetE1EEEvT1_: ; @_ZN7rocprim17ROCPRIM_400000_NS6detail17trampoline_kernelINS0_14default_configENS1_25partition_config_selectorILNS1_17partition_subalgoE8ElNS0_10empty_typeEbEEZZNS1_14partition_implILS5_8ELb0ES3_jPlPS6_PKS6_NS0_5tupleIJS9_S6_EEENSD_IJSA_SA_EEENS0_18inequality_wrapperIZN2at6native12_GLOBAL__N_124unique_dim_cuda_templateIaEESt5tupleIJNSH_6TensorESM_SM_EERKSM_lbbbEUlllE0_EEPmJS6_EEE10hipError_tPvRmT3_T4_T5_T6_T7_T9_mT8_P12ihipStream_tbDpT10_ENKUlT_T0_E_clISt17integral_constantIbLb1EES1B_IbLb0EEEEDaS17_S18_EUlS17_E_NS1_11comp_targetILNS1_3genE2ELNS1_11target_archE906ELNS1_3gpuE6ELNS1_3repE0EEENS1_30default_config_static_selectorELNS0_4arch9wavefront6targetE1EEEvT1_
; %bb.0:
	.section	.rodata,"a",@progbits
	.p2align	6, 0x0
	.amdhsa_kernel _ZN7rocprim17ROCPRIM_400000_NS6detail17trampoline_kernelINS0_14default_configENS1_25partition_config_selectorILNS1_17partition_subalgoE8ElNS0_10empty_typeEbEEZZNS1_14partition_implILS5_8ELb0ES3_jPlPS6_PKS6_NS0_5tupleIJS9_S6_EEENSD_IJSA_SA_EEENS0_18inequality_wrapperIZN2at6native12_GLOBAL__N_124unique_dim_cuda_templateIaEESt5tupleIJNSH_6TensorESM_SM_EERKSM_lbbbEUlllE0_EEPmJS6_EEE10hipError_tPvRmT3_T4_T5_T6_T7_T9_mT8_P12ihipStream_tbDpT10_ENKUlT_T0_E_clISt17integral_constantIbLb1EES1B_IbLb0EEEEDaS17_S18_EUlS17_E_NS1_11comp_targetILNS1_3genE2ELNS1_11target_archE906ELNS1_3gpuE6ELNS1_3repE0EEENS1_30default_config_static_selectorELNS0_4arch9wavefront6targetE1EEEvT1_
		.amdhsa_group_segment_fixed_size 0
		.amdhsa_private_segment_fixed_size 0
		.amdhsa_kernarg_size 120
		.amdhsa_user_sgpr_count 2
		.amdhsa_user_sgpr_dispatch_ptr 0
		.amdhsa_user_sgpr_queue_ptr 0
		.amdhsa_user_sgpr_kernarg_segment_ptr 1
		.amdhsa_user_sgpr_dispatch_id 0
		.amdhsa_user_sgpr_kernarg_preload_length 0
		.amdhsa_user_sgpr_kernarg_preload_offset 0
		.amdhsa_user_sgpr_private_segment_size 0
		.amdhsa_uses_dynamic_stack 0
		.amdhsa_enable_private_segment 0
		.amdhsa_system_sgpr_workgroup_id_x 1
		.amdhsa_system_sgpr_workgroup_id_y 0
		.amdhsa_system_sgpr_workgroup_id_z 0
		.amdhsa_system_sgpr_workgroup_info 0
		.amdhsa_system_vgpr_workitem_id 0
		.amdhsa_next_free_vgpr 1
		.amdhsa_next_free_sgpr 0
		.amdhsa_accum_offset 4
		.amdhsa_reserve_vcc 0
		.amdhsa_float_round_mode_32 0
		.amdhsa_float_round_mode_16_64 0
		.amdhsa_float_denorm_mode_32 3
		.amdhsa_float_denorm_mode_16_64 3
		.amdhsa_dx10_clamp 1
		.amdhsa_ieee_mode 1
		.amdhsa_fp16_overflow 0
		.amdhsa_tg_split 0
		.amdhsa_exception_fp_ieee_invalid_op 0
		.amdhsa_exception_fp_denorm_src 0
		.amdhsa_exception_fp_ieee_div_zero 0
		.amdhsa_exception_fp_ieee_overflow 0
		.amdhsa_exception_fp_ieee_underflow 0
		.amdhsa_exception_fp_ieee_inexact 0
		.amdhsa_exception_int_div_zero 0
	.end_amdhsa_kernel
	.section	.text._ZN7rocprim17ROCPRIM_400000_NS6detail17trampoline_kernelINS0_14default_configENS1_25partition_config_selectorILNS1_17partition_subalgoE8ElNS0_10empty_typeEbEEZZNS1_14partition_implILS5_8ELb0ES3_jPlPS6_PKS6_NS0_5tupleIJS9_S6_EEENSD_IJSA_SA_EEENS0_18inequality_wrapperIZN2at6native12_GLOBAL__N_124unique_dim_cuda_templateIaEESt5tupleIJNSH_6TensorESM_SM_EERKSM_lbbbEUlllE0_EEPmJS6_EEE10hipError_tPvRmT3_T4_T5_T6_T7_T9_mT8_P12ihipStream_tbDpT10_ENKUlT_T0_E_clISt17integral_constantIbLb1EES1B_IbLb0EEEEDaS17_S18_EUlS17_E_NS1_11comp_targetILNS1_3genE2ELNS1_11target_archE906ELNS1_3gpuE6ELNS1_3repE0EEENS1_30default_config_static_selectorELNS0_4arch9wavefront6targetE1EEEvT1_,"axG",@progbits,_ZN7rocprim17ROCPRIM_400000_NS6detail17trampoline_kernelINS0_14default_configENS1_25partition_config_selectorILNS1_17partition_subalgoE8ElNS0_10empty_typeEbEEZZNS1_14partition_implILS5_8ELb0ES3_jPlPS6_PKS6_NS0_5tupleIJS9_S6_EEENSD_IJSA_SA_EEENS0_18inequality_wrapperIZN2at6native12_GLOBAL__N_124unique_dim_cuda_templateIaEESt5tupleIJNSH_6TensorESM_SM_EERKSM_lbbbEUlllE0_EEPmJS6_EEE10hipError_tPvRmT3_T4_T5_T6_T7_T9_mT8_P12ihipStream_tbDpT10_ENKUlT_T0_E_clISt17integral_constantIbLb1EES1B_IbLb0EEEEDaS17_S18_EUlS17_E_NS1_11comp_targetILNS1_3genE2ELNS1_11target_archE906ELNS1_3gpuE6ELNS1_3repE0EEENS1_30default_config_static_selectorELNS0_4arch9wavefront6targetE1EEEvT1_,comdat
.Lfunc_end341:
	.size	_ZN7rocprim17ROCPRIM_400000_NS6detail17trampoline_kernelINS0_14default_configENS1_25partition_config_selectorILNS1_17partition_subalgoE8ElNS0_10empty_typeEbEEZZNS1_14partition_implILS5_8ELb0ES3_jPlPS6_PKS6_NS0_5tupleIJS9_S6_EEENSD_IJSA_SA_EEENS0_18inequality_wrapperIZN2at6native12_GLOBAL__N_124unique_dim_cuda_templateIaEESt5tupleIJNSH_6TensorESM_SM_EERKSM_lbbbEUlllE0_EEPmJS6_EEE10hipError_tPvRmT3_T4_T5_T6_T7_T9_mT8_P12ihipStream_tbDpT10_ENKUlT_T0_E_clISt17integral_constantIbLb1EES1B_IbLb0EEEEDaS17_S18_EUlS17_E_NS1_11comp_targetILNS1_3genE2ELNS1_11target_archE906ELNS1_3gpuE6ELNS1_3repE0EEENS1_30default_config_static_selectorELNS0_4arch9wavefront6targetE1EEEvT1_, .Lfunc_end341-_ZN7rocprim17ROCPRIM_400000_NS6detail17trampoline_kernelINS0_14default_configENS1_25partition_config_selectorILNS1_17partition_subalgoE8ElNS0_10empty_typeEbEEZZNS1_14partition_implILS5_8ELb0ES3_jPlPS6_PKS6_NS0_5tupleIJS9_S6_EEENSD_IJSA_SA_EEENS0_18inequality_wrapperIZN2at6native12_GLOBAL__N_124unique_dim_cuda_templateIaEESt5tupleIJNSH_6TensorESM_SM_EERKSM_lbbbEUlllE0_EEPmJS6_EEE10hipError_tPvRmT3_T4_T5_T6_T7_T9_mT8_P12ihipStream_tbDpT10_ENKUlT_T0_E_clISt17integral_constantIbLb1EES1B_IbLb0EEEEDaS17_S18_EUlS17_E_NS1_11comp_targetILNS1_3genE2ELNS1_11target_archE906ELNS1_3gpuE6ELNS1_3repE0EEENS1_30default_config_static_selectorELNS0_4arch9wavefront6targetE1EEEvT1_
                                        ; -- End function
	.section	.AMDGPU.csdata,"",@progbits
; Kernel info:
; codeLenInByte = 0
; NumSgprs: 6
; NumVgprs: 0
; NumAgprs: 0
; TotalNumVgprs: 0
; ScratchSize: 0
; MemoryBound: 0
; FloatMode: 240
; IeeeMode: 1
; LDSByteSize: 0 bytes/workgroup (compile time only)
; SGPRBlocks: 0
; VGPRBlocks: 0
; NumSGPRsForWavesPerEU: 6
; NumVGPRsForWavesPerEU: 1
; AccumOffset: 4
; Occupancy: 8
; WaveLimiterHint : 0
; COMPUTE_PGM_RSRC2:SCRATCH_EN: 0
; COMPUTE_PGM_RSRC2:USER_SGPR: 2
; COMPUTE_PGM_RSRC2:TRAP_HANDLER: 0
; COMPUTE_PGM_RSRC2:TGID_X_EN: 1
; COMPUTE_PGM_RSRC2:TGID_Y_EN: 0
; COMPUTE_PGM_RSRC2:TGID_Z_EN: 0
; COMPUTE_PGM_RSRC2:TIDIG_COMP_CNT: 0
; COMPUTE_PGM_RSRC3_GFX90A:ACCUM_OFFSET: 0
; COMPUTE_PGM_RSRC3_GFX90A:TG_SPLIT: 0
	.section	.text._ZN7rocprim17ROCPRIM_400000_NS6detail17trampoline_kernelINS0_14default_configENS1_25partition_config_selectorILNS1_17partition_subalgoE8ElNS0_10empty_typeEbEEZZNS1_14partition_implILS5_8ELb0ES3_jPlPS6_PKS6_NS0_5tupleIJS9_S6_EEENSD_IJSA_SA_EEENS0_18inequality_wrapperIZN2at6native12_GLOBAL__N_124unique_dim_cuda_templateIaEESt5tupleIJNSH_6TensorESM_SM_EERKSM_lbbbEUlllE0_EEPmJS6_EEE10hipError_tPvRmT3_T4_T5_T6_T7_T9_mT8_P12ihipStream_tbDpT10_ENKUlT_T0_E_clISt17integral_constantIbLb1EES1B_IbLb0EEEEDaS17_S18_EUlS17_E_NS1_11comp_targetILNS1_3genE10ELNS1_11target_archE1200ELNS1_3gpuE4ELNS1_3repE0EEENS1_30default_config_static_selectorELNS0_4arch9wavefront6targetE1EEEvT1_,"axG",@progbits,_ZN7rocprim17ROCPRIM_400000_NS6detail17trampoline_kernelINS0_14default_configENS1_25partition_config_selectorILNS1_17partition_subalgoE8ElNS0_10empty_typeEbEEZZNS1_14partition_implILS5_8ELb0ES3_jPlPS6_PKS6_NS0_5tupleIJS9_S6_EEENSD_IJSA_SA_EEENS0_18inequality_wrapperIZN2at6native12_GLOBAL__N_124unique_dim_cuda_templateIaEESt5tupleIJNSH_6TensorESM_SM_EERKSM_lbbbEUlllE0_EEPmJS6_EEE10hipError_tPvRmT3_T4_T5_T6_T7_T9_mT8_P12ihipStream_tbDpT10_ENKUlT_T0_E_clISt17integral_constantIbLb1EES1B_IbLb0EEEEDaS17_S18_EUlS17_E_NS1_11comp_targetILNS1_3genE10ELNS1_11target_archE1200ELNS1_3gpuE4ELNS1_3repE0EEENS1_30default_config_static_selectorELNS0_4arch9wavefront6targetE1EEEvT1_,comdat
	.globl	_ZN7rocprim17ROCPRIM_400000_NS6detail17trampoline_kernelINS0_14default_configENS1_25partition_config_selectorILNS1_17partition_subalgoE8ElNS0_10empty_typeEbEEZZNS1_14partition_implILS5_8ELb0ES3_jPlPS6_PKS6_NS0_5tupleIJS9_S6_EEENSD_IJSA_SA_EEENS0_18inequality_wrapperIZN2at6native12_GLOBAL__N_124unique_dim_cuda_templateIaEESt5tupleIJNSH_6TensorESM_SM_EERKSM_lbbbEUlllE0_EEPmJS6_EEE10hipError_tPvRmT3_T4_T5_T6_T7_T9_mT8_P12ihipStream_tbDpT10_ENKUlT_T0_E_clISt17integral_constantIbLb1EES1B_IbLb0EEEEDaS17_S18_EUlS17_E_NS1_11comp_targetILNS1_3genE10ELNS1_11target_archE1200ELNS1_3gpuE4ELNS1_3repE0EEENS1_30default_config_static_selectorELNS0_4arch9wavefront6targetE1EEEvT1_ ; -- Begin function _ZN7rocprim17ROCPRIM_400000_NS6detail17trampoline_kernelINS0_14default_configENS1_25partition_config_selectorILNS1_17partition_subalgoE8ElNS0_10empty_typeEbEEZZNS1_14partition_implILS5_8ELb0ES3_jPlPS6_PKS6_NS0_5tupleIJS9_S6_EEENSD_IJSA_SA_EEENS0_18inequality_wrapperIZN2at6native12_GLOBAL__N_124unique_dim_cuda_templateIaEESt5tupleIJNSH_6TensorESM_SM_EERKSM_lbbbEUlllE0_EEPmJS6_EEE10hipError_tPvRmT3_T4_T5_T6_T7_T9_mT8_P12ihipStream_tbDpT10_ENKUlT_T0_E_clISt17integral_constantIbLb1EES1B_IbLb0EEEEDaS17_S18_EUlS17_E_NS1_11comp_targetILNS1_3genE10ELNS1_11target_archE1200ELNS1_3gpuE4ELNS1_3repE0EEENS1_30default_config_static_selectorELNS0_4arch9wavefront6targetE1EEEvT1_
	.p2align	8
	.type	_ZN7rocprim17ROCPRIM_400000_NS6detail17trampoline_kernelINS0_14default_configENS1_25partition_config_selectorILNS1_17partition_subalgoE8ElNS0_10empty_typeEbEEZZNS1_14partition_implILS5_8ELb0ES3_jPlPS6_PKS6_NS0_5tupleIJS9_S6_EEENSD_IJSA_SA_EEENS0_18inequality_wrapperIZN2at6native12_GLOBAL__N_124unique_dim_cuda_templateIaEESt5tupleIJNSH_6TensorESM_SM_EERKSM_lbbbEUlllE0_EEPmJS6_EEE10hipError_tPvRmT3_T4_T5_T6_T7_T9_mT8_P12ihipStream_tbDpT10_ENKUlT_T0_E_clISt17integral_constantIbLb1EES1B_IbLb0EEEEDaS17_S18_EUlS17_E_NS1_11comp_targetILNS1_3genE10ELNS1_11target_archE1200ELNS1_3gpuE4ELNS1_3repE0EEENS1_30default_config_static_selectorELNS0_4arch9wavefront6targetE1EEEvT1_,@function
_ZN7rocprim17ROCPRIM_400000_NS6detail17trampoline_kernelINS0_14default_configENS1_25partition_config_selectorILNS1_17partition_subalgoE8ElNS0_10empty_typeEbEEZZNS1_14partition_implILS5_8ELb0ES3_jPlPS6_PKS6_NS0_5tupleIJS9_S6_EEENSD_IJSA_SA_EEENS0_18inequality_wrapperIZN2at6native12_GLOBAL__N_124unique_dim_cuda_templateIaEESt5tupleIJNSH_6TensorESM_SM_EERKSM_lbbbEUlllE0_EEPmJS6_EEE10hipError_tPvRmT3_T4_T5_T6_T7_T9_mT8_P12ihipStream_tbDpT10_ENKUlT_T0_E_clISt17integral_constantIbLb1EES1B_IbLb0EEEEDaS17_S18_EUlS17_E_NS1_11comp_targetILNS1_3genE10ELNS1_11target_archE1200ELNS1_3gpuE4ELNS1_3repE0EEENS1_30default_config_static_selectorELNS0_4arch9wavefront6targetE1EEEvT1_: ; @_ZN7rocprim17ROCPRIM_400000_NS6detail17trampoline_kernelINS0_14default_configENS1_25partition_config_selectorILNS1_17partition_subalgoE8ElNS0_10empty_typeEbEEZZNS1_14partition_implILS5_8ELb0ES3_jPlPS6_PKS6_NS0_5tupleIJS9_S6_EEENSD_IJSA_SA_EEENS0_18inequality_wrapperIZN2at6native12_GLOBAL__N_124unique_dim_cuda_templateIaEESt5tupleIJNSH_6TensorESM_SM_EERKSM_lbbbEUlllE0_EEPmJS6_EEE10hipError_tPvRmT3_T4_T5_T6_T7_T9_mT8_P12ihipStream_tbDpT10_ENKUlT_T0_E_clISt17integral_constantIbLb1EES1B_IbLb0EEEEDaS17_S18_EUlS17_E_NS1_11comp_targetILNS1_3genE10ELNS1_11target_archE1200ELNS1_3gpuE4ELNS1_3repE0EEENS1_30default_config_static_selectorELNS0_4arch9wavefront6targetE1EEEvT1_
; %bb.0:
	.section	.rodata,"a",@progbits
	.p2align	6, 0x0
	.amdhsa_kernel _ZN7rocprim17ROCPRIM_400000_NS6detail17trampoline_kernelINS0_14default_configENS1_25partition_config_selectorILNS1_17partition_subalgoE8ElNS0_10empty_typeEbEEZZNS1_14partition_implILS5_8ELb0ES3_jPlPS6_PKS6_NS0_5tupleIJS9_S6_EEENSD_IJSA_SA_EEENS0_18inequality_wrapperIZN2at6native12_GLOBAL__N_124unique_dim_cuda_templateIaEESt5tupleIJNSH_6TensorESM_SM_EERKSM_lbbbEUlllE0_EEPmJS6_EEE10hipError_tPvRmT3_T4_T5_T6_T7_T9_mT8_P12ihipStream_tbDpT10_ENKUlT_T0_E_clISt17integral_constantIbLb1EES1B_IbLb0EEEEDaS17_S18_EUlS17_E_NS1_11comp_targetILNS1_3genE10ELNS1_11target_archE1200ELNS1_3gpuE4ELNS1_3repE0EEENS1_30default_config_static_selectorELNS0_4arch9wavefront6targetE1EEEvT1_
		.amdhsa_group_segment_fixed_size 0
		.amdhsa_private_segment_fixed_size 0
		.amdhsa_kernarg_size 120
		.amdhsa_user_sgpr_count 2
		.amdhsa_user_sgpr_dispatch_ptr 0
		.amdhsa_user_sgpr_queue_ptr 0
		.amdhsa_user_sgpr_kernarg_segment_ptr 1
		.amdhsa_user_sgpr_dispatch_id 0
		.amdhsa_user_sgpr_kernarg_preload_length 0
		.amdhsa_user_sgpr_kernarg_preload_offset 0
		.amdhsa_user_sgpr_private_segment_size 0
		.amdhsa_uses_dynamic_stack 0
		.amdhsa_enable_private_segment 0
		.amdhsa_system_sgpr_workgroup_id_x 1
		.amdhsa_system_sgpr_workgroup_id_y 0
		.amdhsa_system_sgpr_workgroup_id_z 0
		.amdhsa_system_sgpr_workgroup_info 0
		.amdhsa_system_vgpr_workitem_id 0
		.amdhsa_next_free_vgpr 1
		.amdhsa_next_free_sgpr 0
		.amdhsa_accum_offset 4
		.amdhsa_reserve_vcc 0
		.amdhsa_float_round_mode_32 0
		.amdhsa_float_round_mode_16_64 0
		.amdhsa_float_denorm_mode_32 3
		.amdhsa_float_denorm_mode_16_64 3
		.amdhsa_dx10_clamp 1
		.amdhsa_ieee_mode 1
		.amdhsa_fp16_overflow 0
		.amdhsa_tg_split 0
		.amdhsa_exception_fp_ieee_invalid_op 0
		.amdhsa_exception_fp_denorm_src 0
		.amdhsa_exception_fp_ieee_div_zero 0
		.amdhsa_exception_fp_ieee_overflow 0
		.amdhsa_exception_fp_ieee_underflow 0
		.amdhsa_exception_fp_ieee_inexact 0
		.amdhsa_exception_int_div_zero 0
	.end_amdhsa_kernel
	.section	.text._ZN7rocprim17ROCPRIM_400000_NS6detail17trampoline_kernelINS0_14default_configENS1_25partition_config_selectorILNS1_17partition_subalgoE8ElNS0_10empty_typeEbEEZZNS1_14partition_implILS5_8ELb0ES3_jPlPS6_PKS6_NS0_5tupleIJS9_S6_EEENSD_IJSA_SA_EEENS0_18inequality_wrapperIZN2at6native12_GLOBAL__N_124unique_dim_cuda_templateIaEESt5tupleIJNSH_6TensorESM_SM_EERKSM_lbbbEUlllE0_EEPmJS6_EEE10hipError_tPvRmT3_T4_T5_T6_T7_T9_mT8_P12ihipStream_tbDpT10_ENKUlT_T0_E_clISt17integral_constantIbLb1EES1B_IbLb0EEEEDaS17_S18_EUlS17_E_NS1_11comp_targetILNS1_3genE10ELNS1_11target_archE1200ELNS1_3gpuE4ELNS1_3repE0EEENS1_30default_config_static_selectorELNS0_4arch9wavefront6targetE1EEEvT1_,"axG",@progbits,_ZN7rocprim17ROCPRIM_400000_NS6detail17trampoline_kernelINS0_14default_configENS1_25partition_config_selectorILNS1_17partition_subalgoE8ElNS0_10empty_typeEbEEZZNS1_14partition_implILS5_8ELb0ES3_jPlPS6_PKS6_NS0_5tupleIJS9_S6_EEENSD_IJSA_SA_EEENS0_18inequality_wrapperIZN2at6native12_GLOBAL__N_124unique_dim_cuda_templateIaEESt5tupleIJNSH_6TensorESM_SM_EERKSM_lbbbEUlllE0_EEPmJS6_EEE10hipError_tPvRmT3_T4_T5_T6_T7_T9_mT8_P12ihipStream_tbDpT10_ENKUlT_T0_E_clISt17integral_constantIbLb1EES1B_IbLb0EEEEDaS17_S18_EUlS17_E_NS1_11comp_targetILNS1_3genE10ELNS1_11target_archE1200ELNS1_3gpuE4ELNS1_3repE0EEENS1_30default_config_static_selectorELNS0_4arch9wavefront6targetE1EEEvT1_,comdat
.Lfunc_end342:
	.size	_ZN7rocprim17ROCPRIM_400000_NS6detail17trampoline_kernelINS0_14default_configENS1_25partition_config_selectorILNS1_17partition_subalgoE8ElNS0_10empty_typeEbEEZZNS1_14partition_implILS5_8ELb0ES3_jPlPS6_PKS6_NS0_5tupleIJS9_S6_EEENSD_IJSA_SA_EEENS0_18inequality_wrapperIZN2at6native12_GLOBAL__N_124unique_dim_cuda_templateIaEESt5tupleIJNSH_6TensorESM_SM_EERKSM_lbbbEUlllE0_EEPmJS6_EEE10hipError_tPvRmT3_T4_T5_T6_T7_T9_mT8_P12ihipStream_tbDpT10_ENKUlT_T0_E_clISt17integral_constantIbLb1EES1B_IbLb0EEEEDaS17_S18_EUlS17_E_NS1_11comp_targetILNS1_3genE10ELNS1_11target_archE1200ELNS1_3gpuE4ELNS1_3repE0EEENS1_30default_config_static_selectorELNS0_4arch9wavefront6targetE1EEEvT1_, .Lfunc_end342-_ZN7rocprim17ROCPRIM_400000_NS6detail17trampoline_kernelINS0_14default_configENS1_25partition_config_selectorILNS1_17partition_subalgoE8ElNS0_10empty_typeEbEEZZNS1_14partition_implILS5_8ELb0ES3_jPlPS6_PKS6_NS0_5tupleIJS9_S6_EEENSD_IJSA_SA_EEENS0_18inequality_wrapperIZN2at6native12_GLOBAL__N_124unique_dim_cuda_templateIaEESt5tupleIJNSH_6TensorESM_SM_EERKSM_lbbbEUlllE0_EEPmJS6_EEE10hipError_tPvRmT3_T4_T5_T6_T7_T9_mT8_P12ihipStream_tbDpT10_ENKUlT_T0_E_clISt17integral_constantIbLb1EES1B_IbLb0EEEEDaS17_S18_EUlS17_E_NS1_11comp_targetILNS1_3genE10ELNS1_11target_archE1200ELNS1_3gpuE4ELNS1_3repE0EEENS1_30default_config_static_selectorELNS0_4arch9wavefront6targetE1EEEvT1_
                                        ; -- End function
	.section	.AMDGPU.csdata,"",@progbits
; Kernel info:
; codeLenInByte = 0
; NumSgprs: 6
; NumVgprs: 0
; NumAgprs: 0
; TotalNumVgprs: 0
; ScratchSize: 0
; MemoryBound: 0
; FloatMode: 240
; IeeeMode: 1
; LDSByteSize: 0 bytes/workgroup (compile time only)
; SGPRBlocks: 0
; VGPRBlocks: 0
; NumSGPRsForWavesPerEU: 6
; NumVGPRsForWavesPerEU: 1
; AccumOffset: 4
; Occupancy: 8
; WaveLimiterHint : 0
; COMPUTE_PGM_RSRC2:SCRATCH_EN: 0
; COMPUTE_PGM_RSRC2:USER_SGPR: 2
; COMPUTE_PGM_RSRC2:TRAP_HANDLER: 0
; COMPUTE_PGM_RSRC2:TGID_X_EN: 1
; COMPUTE_PGM_RSRC2:TGID_Y_EN: 0
; COMPUTE_PGM_RSRC2:TGID_Z_EN: 0
; COMPUTE_PGM_RSRC2:TIDIG_COMP_CNT: 0
; COMPUTE_PGM_RSRC3_GFX90A:ACCUM_OFFSET: 0
; COMPUTE_PGM_RSRC3_GFX90A:TG_SPLIT: 0
	.section	.text._ZN7rocprim17ROCPRIM_400000_NS6detail17trampoline_kernelINS0_14default_configENS1_25partition_config_selectorILNS1_17partition_subalgoE8ElNS0_10empty_typeEbEEZZNS1_14partition_implILS5_8ELb0ES3_jPlPS6_PKS6_NS0_5tupleIJS9_S6_EEENSD_IJSA_SA_EEENS0_18inequality_wrapperIZN2at6native12_GLOBAL__N_124unique_dim_cuda_templateIaEESt5tupleIJNSH_6TensorESM_SM_EERKSM_lbbbEUlllE0_EEPmJS6_EEE10hipError_tPvRmT3_T4_T5_T6_T7_T9_mT8_P12ihipStream_tbDpT10_ENKUlT_T0_E_clISt17integral_constantIbLb1EES1B_IbLb0EEEEDaS17_S18_EUlS17_E_NS1_11comp_targetILNS1_3genE9ELNS1_11target_archE1100ELNS1_3gpuE3ELNS1_3repE0EEENS1_30default_config_static_selectorELNS0_4arch9wavefront6targetE1EEEvT1_,"axG",@progbits,_ZN7rocprim17ROCPRIM_400000_NS6detail17trampoline_kernelINS0_14default_configENS1_25partition_config_selectorILNS1_17partition_subalgoE8ElNS0_10empty_typeEbEEZZNS1_14partition_implILS5_8ELb0ES3_jPlPS6_PKS6_NS0_5tupleIJS9_S6_EEENSD_IJSA_SA_EEENS0_18inequality_wrapperIZN2at6native12_GLOBAL__N_124unique_dim_cuda_templateIaEESt5tupleIJNSH_6TensorESM_SM_EERKSM_lbbbEUlllE0_EEPmJS6_EEE10hipError_tPvRmT3_T4_T5_T6_T7_T9_mT8_P12ihipStream_tbDpT10_ENKUlT_T0_E_clISt17integral_constantIbLb1EES1B_IbLb0EEEEDaS17_S18_EUlS17_E_NS1_11comp_targetILNS1_3genE9ELNS1_11target_archE1100ELNS1_3gpuE3ELNS1_3repE0EEENS1_30default_config_static_selectorELNS0_4arch9wavefront6targetE1EEEvT1_,comdat
	.globl	_ZN7rocprim17ROCPRIM_400000_NS6detail17trampoline_kernelINS0_14default_configENS1_25partition_config_selectorILNS1_17partition_subalgoE8ElNS0_10empty_typeEbEEZZNS1_14partition_implILS5_8ELb0ES3_jPlPS6_PKS6_NS0_5tupleIJS9_S6_EEENSD_IJSA_SA_EEENS0_18inequality_wrapperIZN2at6native12_GLOBAL__N_124unique_dim_cuda_templateIaEESt5tupleIJNSH_6TensorESM_SM_EERKSM_lbbbEUlllE0_EEPmJS6_EEE10hipError_tPvRmT3_T4_T5_T6_T7_T9_mT8_P12ihipStream_tbDpT10_ENKUlT_T0_E_clISt17integral_constantIbLb1EES1B_IbLb0EEEEDaS17_S18_EUlS17_E_NS1_11comp_targetILNS1_3genE9ELNS1_11target_archE1100ELNS1_3gpuE3ELNS1_3repE0EEENS1_30default_config_static_selectorELNS0_4arch9wavefront6targetE1EEEvT1_ ; -- Begin function _ZN7rocprim17ROCPRIM_400000_NS6detail17trampoline_kernelINS0_14default_configENS1_25partition_config_selectorILNS1_17partition_subalgoE8ElNS0_10empty_typeEbEEZZNS1_14partition_implILS5_8ELb0ES3_jPlPS6_PKS6_NS0_5tupleIJS9_S6_EEENSD_IJSA_SA_EEENS0_18inequality_wrapperIZN2at6native12_GLOBAL__N_124unique_dim_cuda_templateIaEESt5tupleIJNSH_6TensorESM_SM_EERKSM_lbbbEUlllE0_EEPmJS6_EEE10hipError_tPvRmT3_T4_T5_T6_T7_T9_mT8_P12ihipStream_tbDpT10_ENKUlT_T0_E_clISt17integral_constantIbLb1EES1B_IbLb0EEEEDaS17_S18_EUlS17_E_NS1_11comp_targetILNS1_3genE9ELNS1_11target_archE1100ELNS1_3gpuE3ELNS1_3repE0EEENS1_30default_config_static_selectorELNS0_4arch9wavefront6targetE1EEEvT1_
	.p2align	8
	.type	_ZN7rocprim17ROCPRIM_400000_NS6detail17trampoline_kernelINS0_14default_configENS1_25partition_config_selectorILNS1_17partition_subalgoE8ElNS0_10empty_typeEbEEZZNS1_14partition_implILS5_8ELb0ES3_jPlPS6_PKS6_NS0_5tupleIJS9_S6_EEENSD_IJSA_SA_EEENS0_18inequality_wrapperIZN2at6native12_GLOBAL__N_124unique_dim_cuda_templateIaEESt5tupleIJNSH_6TensorESM_SM_EERKSM_lbbbEUlllE0_EEPmJS6_EEE10hipError_tPvRmT3_T4_T5_T6_T7_T9_mT8_P12ihipStream_tbDpT10_ENKUlT_T0_E_clISt17integral_constantIbLb1EES1B_IbLb0EEEEDaS17_S18_EUlS17_E_NS1_11comp_targetILNS1_3genE9ELNS1_11target_archE1100ELNS1_3gpuE3ELNS1_3repE0EEENS1_30default_config_static_selectorELNS0_4arch9wavefront6targetE1EEEvT1_,@function
_ZN7rocprim17ROCPRIM_400000_NS6detail17trampoline_kernelINS0_14default_configENS1_25partition_config_selectorILNS1_17partition_subalgoE8ElNS0_10empty_typeEbEEZZNS1_14partition_implILS5_8ELb0ES3_jPlPS6_PKS6_NS0_5tupleIJS9_S6_EEENSD_IJSA_SA_EEENS0_18inequality_wrapperIZN2at6native12_GLOBAL__N_124unique_dim_cuda_templateIaEESt5tupleIJNSH_6TensorESM_SM_EERKSM_lbbbEUlllE0_EEPmJS6_EEE10hipError_tPvRmT3_T4_T5_T6_T7_T9_mT8_P12ihipStream_tbDpT10_ENKUlT_T0_E_clISt17integral_constantIbLb1EES1B_IbLb0EEEEDaS17_S18_EUlS17_E_NS1_11comp_targetILNS1_3genE9ELNS1_11target_archE1100ELNS1_3gpuE3ELNS1_3repE0EEENS1_30default_config_static_selectorELNS0_4arch9wavefront6targetE1EEEvT1_: ; @_ZN7rocprim17ROCPRIM_400000_NS6detail17trampoline_kernelINS0_14default_configENS1_25partition_config_selectorILNS1_17partition_subalgoE8ElNS0_10empty_typeEbEEZZNS1_14partition_implILS5_8ELb0ES3_jPlPS6_PKS6_NS0_5tupleIJS9_S6_EEENSD_IJSA_SA_EEENS0_18inequality_wrapperIZN2at6native12_GLOBAL__N_124unique_dim_cuda_templateIaEESt5tupleIJNSH_6TensorESM_SM_EERKSM_lbbbEUlllE0_EEPmJS6_EEE10hipError_tPvRmT3_T4_T5_T6_T7_T9_mT8_P12ihipStream_tbDpT10_ENKUlT_T0_E_clISt17integral_constantIbLb1EES1B_IbLb0EEEEDaS17_S18_EUlS17_E_NS1_11comp_targetILNS1_3genE9ELNS1_11target_archE1100ELNS1_3gpuE3ELNS1_3repE0EEENS1_30default_config_static_selectorELNS0_4arch9wavefront6targetE1EEEvT1_
; %bb.0:
	.section	.rodata,"a",@progbits
	.p2align	6, 0x0
	.amdhsa_kernel _ZN7rocprim17ROCPRIM_400000_NS6detail17trampoline_kernelINS0_14default_configENS1_25partition_config_selectorILNS1_17partition_subalgoE8ElNS0_10empty_typeEbEEZZNS1_14partition_implILS5_8ELb0ES3_jPlPS6_PKS6_NS0_5tupleIJS9_S6_EEENSD_IJSA_SA_EEENS0_18inequality_wrapperIZN2at6native12_GLOBAL__N_124unique_dim_cuda_templateIaEESt5tupleIJNSH_6TensorESM_SM_EERKSM_lbbbEUlllE0_EEPmJS6_EEE10hipError_tPvRmT3_T4_T5_T6_T7_T9_mT8_P12ihipStream_tbDpT10_ENKUlT_T0_E_clISt17integral_constantIbLb1EES1B_IbLb0EEEEDaS17_S18_EUlS17_E_NS1_11comp_targetILNS1_3genE9ELNS1_11target_archE1100ELNS1_3gpuE3ELNS1_3repE0EEENS1_30default_config_static_selectorELNS0_4arch9wavefront6targetE1EEEvT1_
		.amdhsa_group_segment_fixed_size 0
		.amdhsa_private_segment_fixed_size 0
		.amdhsa_kernarg_size 120
		.amdhsa_user_sgpr_count 2
		.amdhsa_user_sgpr_dispatch_ptr 0
		.amdhsa_user_sgpr_queue_ptr 0
		.amdhsa_user_sgpr_kernarg_segment_ptr 1
		.amdhsa_user_sgpr_dispatch_id 0
		.amdhsa_user_sgpr_kernarg_preload_length 0
		.amdhsa_user_sgpr_kernarg_preload_offset 0
		.amdhsa_user_sgpr_private_segment_size 0
		.amdhsa_uses_dynamic_stack 0
		.amdhsa_enable_private_segment 0
		.amdhsa_system_sgpr_workgroup_id_x 1
		.amdhsa_system_sgpr_workgroup_id_y 0
		.amdhsa_system_sgpr_workgroup_id_z 0
		.amdhsa_system_sgpr_workgroup_info 0
		.amdhsa_system_vgpr_workitem_id 0
		.amdhsa_next_free_vgpr 1
		.amdhsa_next_free_sgpr 0
		.amdhsa_accum_offset 4
		.amdhsa_reserve_vcc 0
		.amdhsa_float_round_mode_32 0
		.amdhsa_float_round_mode_16_64 0
		.amdhsa_float_denorm_mode_32 3
		.amdhsa_float_denorm_mode_16_64 3
		.amdhsa_dx10_clamp 1
		.amdhsa_ieee_mode 1
		.amdhsa_fp16_overflow 0
		.amdhsa_tg_split 0
		.amdhsa_exception_fp_ieee_invalid_op 0
		.amdhsa_exception_fp_denorm_src 0
		.amdhsa_exception_fp_ieee_div_zero 0
		.amdhsa_exception_fp_ieee_overflow 0
		.amdhsa_exception_fp_ieee_underflow 0
		.amdhsa_exception_fp_ieee_inexact 0
		.amdhsa_exception_int_div_zero 0
	.end_amdhsa_kernel
	.section	.text._ZN7rocprim17ROCPRIM_400000_NS6detail17trampoline_kernelINS0_14default_configENS1_25partition_config_selectorILNS1_17partition_subalgoE8ElNS0_10empty_typeEbEEZZNS1_14partition_implILS5_8ELb0ES3_jPlPS6_PKS6_NS0_5tupleIJS9_S6_EEENSD_IJSA_SA_EEENS0_18inequality_wrapperIZN2at6native12_GLOBAL__N_124unique_dim_cuda_templateIaEESt5tupleIJNSH_6TensorESM_SM_EERKSM_lbbbEUlllE0_EEPmJS6_EEE10hipError_tPvRmT3_T4_T5_T6_T7_T9_mT8_P12ihipStream_tbDpT10_ENKUlT_T0_E_clISt17integral_constantIbLb1EES1B_IbLb0EEEEDaS17_S18_EUlS17_E_NS1_11comp_targetILNS1_3genE9ELNS1_11target_archE1100ELNS1_3gpuE3ELNS1_3repE0EEENS1_30default_config_static_selectorELNS0_4arch9wavefront6targetE1EEEvT1_,"axG",@progbits,_ZN7rocprim17ROCPRIM_400000_NS6detail17trampoline_kernelINS0_14default_configENS1_25partition_config_selectorILNS1_17partition_subalgoE8ElNS0_10empty_typeEbEEZZNS1_14partition_implILS5_8ELb0ES3_jPlPS6_PKS6_NS0_5tupleIJS9_S6_EEENSD_IJSA_SA_EEENS0_18inequality_wrapperIZN2at6native12_GLOBAL__N_124unique_dim_cuda_templateIaEESt5tupleIJNSH_6TensorESM_SM_EERKSM_lbbbEUlllE0_EEPmJS6_EEE10hipError_tPvRmT3_T4_T5_T6_T7_T9_mT8_P12ihipStream_tbDpT10_ENKUlT_T0_E_clISt17integral_constantIbLb1EES1B_IbLb0EEEEDaS17_S18_EUlS17_E_NS1_11comp_targetILNS1_3genE9ELNS1_11target_archE1100ELNS1_3gpuE3ELNS1_3repE0EEENS1_30default_config_static_selectorELNS0_4arch9wavefront6targetE1EEEvT1_,comdat
.Lfunc_end343:
	.size	_ZN7rocprim17ROCPRIM_400000_NS6detail17trampoline_kernelINS0_14default_configENS1_25partition_config_selectorILNS1_17partition_subalgoE8ElNS0_10empty_typeEbEEZZNS1_14partition_implILS5_8ELb0ES3_jPlPS6_PKS6_NS0_5tupleIJS9_S6_EEENSD_IJSA_SA_EEENS0_18inequality_wrapperIZN2at6native12_GLOBAL__N_124unique_dim_cuda_templateIaEESt5tupleIJNSH_6TensorESM_SM_EERKSM_lbbbEUlllE0_EEPmJS6_EEE10hipError_tPvRmT3_T4_T5_T6_T7_T9_mT8_P12ihipStream_tbDpT10_ENKUlT_T0_E_clISt17integral_constantIbLb1EES1B_IbLb0EEEEDaS17_S18_EUlS17_E_NS1_11comp_targetILNS1_3genE9ELNS1_11target_archE1100ELNS1_3gpuE3ELNS1_3repE0EEENS1_30default_config_static_selectorELNS0_4arch9wavefront6targetE1EEEvT1_, .Lfunc_end343-_ZN7rocprim17ROCPRIM_400000_NS6detail17trampoline_kernelINS0_14default_configENS1_25partition_config_selectorILNS1_17partition_subalgoE8ElNS0_10empty_typeEbEEZZNS1_14partition_implILS5_8ELb0ES3_jPlPS6_PKS6_NS0_5tupleIJS9_S6_EEENSD_IJSA_SA_EEENS0_18inequality_wrapperIZN2at6native12_GLOBAL__N_124unique_dim_cuda_templateIaEESt5tupleIJNSH_6TensorESM_SM_EERKSM_lbbbEUlllE0_EEPmJS6_EEE10hipError_tPvRmT3_T4_T5_T6_T7_T9_mT8_P12ihipStream_tbDpT10_ENKUlT_T0_E_clISt17integral_constantIbLb1EES1B_IbLb0EEEEDaS17_S18_EUlS17_E_NS1_11comp_targetILNS1_3genE9ELNS1_11target_archE1100ELNS1_3gpuE3ELNS1_3repE0EEENS1_30default_config_static_selectorELNS0_4arch9wavefront6targetE1EEEvT1_
                                        ; -- End function
	.section	.AMDGPU.csdata,"",@progbits
; Kernel info:
; codeLenInByte = 0
; NumSgprs: 6
; NumVgprs: 0
; NumAgprs: 0
; TotalNumVgprs: 0
; ScratchSize: 0
; MemoryBound: 0
; FloatMode: 240
; IeeeMode: 1
; LDSByteSize: 0 bytes/workgroup (compile time only)
; SGPRBlocks: 0
; VGPRBlocks: 0
; NumSGPRsForWavesPerEU: 6
; NumVGPRsForWavesPerEU: 1
; AccumOffset: 4
; Occupancy: 8
; WaveLimiterHint : 0
; COMPUTE_PGM_RSRC2:SCRATCH_EN: 0
; COMPUTE_PGM_RSRC2:USER_SGPR: 2
; COMPUTE_PGM_RSRC2:TRAP_HANDLER: 0
; COMPUTE_PGM_RSRC2:TGID_X_EN: 1
; COMPUTE_PGM_RSRC2:TGID_Y_EN: 0
; COMPUTE_PGM_RSRC2:TGID_Z_EN: 0
; COMPUTE_PGM_RSRC2:TIDIG_COMP_CNT: 0
; COMPUTE_PGM_RSRC3_GFX90A:ACCUM_OFFSET: 0
; COMPUTE_PGM_RSRC3_GFX90A:TG_SPLIT: 0
	.section	.text._ZN7rocprim17ROCPRIM_400000_NS6detail17trampoline_kernelINS0_14default_configENS1_25partition_config_selectorILNS1_17partition_subalgoE8ElNS0_10empty_typeEbEEZZNS1_14partition_implILS5_8ELb0ES3_jPlPS6_PKS6_NS0_5tupleIJS9_S6_EEENSD_IJSA_SA_EEENS0_18inequality_wrapperIZN2at6native12_GLOBAL__N_124unique_dim_cuda_templateIaEESt5tupleIJNSH_6TensorESM_SM_EERKSM_lbbbEUlllE0_EEPmJS6_EEE10hipError_tPvRmT3_T4_T5_T6_T7_T9_mT8_P12ihipStream_tbDpT10_ENKUlT_T0_E_clISt17integral_constantIbLb1EES1B_IbLb0EEEEDaS17_S18_EUlS17_E_NS1_11comp_targetILNS1_3genE8ELNS1_11target_archE1030ELNS1_3gpuE2ELNS1_3repE0EEENS1_30default_config_static_selectorELNS0_4arch9wavefront6targetE1EEEvT1_,"axG",@progbits,_ZN7rocprim17ROCPRIM_400000_NS6detail17trampoline_kernelINS0_14default_configENS1_25partition_config_selectorILNS1_17partition_subalgoE8ElNS0_10empty_typeEbEEZZNS1_14partition_implILS5_8ELb0ES3_jPlPS6_PKS6_NS0_5tupleIJS9_S6_EEENSD_IJSA_SA_EEENS0_18inequality_wrapperIZN2at6native12_GLOBAL__N_124unique_dim_cuda_templateIaEESt5tupleIJNSH_6TensorESM_SM_EERKSM_lbbbEUlllE0_EEPmJS6_EEE10hipError_tPvRmT3_T4_T5_T6_T7_T9_mT8_P12ihipStream_tbDpT10_ENKUlT_T0_E_clISt17integral_constantIbLb1EES1B_IbLb0EEEEDaS17_S18_EUlS17_E_NS1_11comp_targetILNS1_3genE8ELNS1_11target_archE1030ELNS1_3gpuE2ELNS1_3repE0EEENS1_30default_config_static_selectorELNS0_4arch9wavefront6targetE1EEEvT1_,comdat
	.globl	_ZN7rocprim17ROCPRIM_400000_NS6detail17trampoline_kernelINS0_14default_configENS1_25partition_config_selectorILNS1_17partition_subalgoE8ElNS0_10empty_typeEbEEZZNS1_14partition_implILS5_8ELb0ES3_jPlPS6_PKS6_NS0_5tupleIJS9_S6_EEENSD_IJSA_SA_EEENS0_18inequality_wrapperIZN2at6native12_GLOBAL__N_124unique_dim_cuda_templateIaEESt5tupleIJNSH_6TensorESM_SM_EERKSM_lbbbEUlllE0_EEPmJS6_EEE10hipError_tPvRmT3_T4_T5_T6_T7_T9_mT8_P12ihipStream_tbDpT10_ENKUlT_T0_E_clISt17integral_constantIbLb1EES1B_IbLb0EEEEDaS17_S18_EUlS17_E_NS1_11comp_targetILNS1_3genE8ELNS1_11target_archE1030ELNS1_3gpuE2ELNS1_3repE0EEENS1_30default_config_static_selectorELNS0_4arch9wavefront6targetE1EEEvT1_ ; -- Begin function _ZN7rocprim17ROCPRIM_400000_NS6detail17trampoline_kernelINS0_14default_configENS1_25partition_config_selectorILNS1_17partition_subalgoE8ElNS0_10empty_typeEbEEZZNS1_14partition_implILS5_8ELb0ES3_jPlPS6_PKS6_NS0_5tupleIJS9_S6_EEENSD_IJSA_SA_EEENS0_18inequality_wrapperIZN2at6native12_GLOBAL__N_124unique_dim_cuda_templateIaEESt5tupleIJNSH_6TensorESM_SM_EERKSM_lbbbEUlllE0_EEPmJS6_EEE10hipError_tPvRmT3_T4_T5_T6_T7_T9_mT8_P12ihipStream_tbDpT10_ENKUlT_T0_E_clISt17integral_constantIbLb1EES1B_IbLb0EEEEDaS17_S18_EUlS17_E_NS1_11comp_targetILNS1_3genE8ELNS1_11target_archE1030ELNS1_3gpuE2ELNS1_3repE0EEENS1_30default_config_static_selectorELNS0_4arch9wavefront6targetE1EEEvT1_
	.p2align	8
	.type	_ZN7rocprim17ROCPRIM_400000_NS6detail17trampoline_kernelINS0_14default_configENS1_25partition_config_selectorILNS1_17partition_subalgoE8ElNS0_10empty_typeEbEEZZNS1_14partition_implILS5_8ELb0ES3_jPlPS6_PKS6_NS0_5tupleIJS9_S6_EEENSD_IJSA_SA_EEENS0_18inequality_wrapperIZN2at6native12_GLOBAL__N_124unique_dim_cuda_templateIaEESt5tupleIJNSH_6TensorESM_SM_EERKSM_lbbbEUlllE0_EEPmJS6_EEE10hipError_tPvRmT3_T4_T5_T6_T7_T9_mT8_P12ihipStream_tbDpT10_ENKUlT_T0_E_clISt17integral_constantIbLb1EES1B_IbLb0EEEEDaS17_S18_EUlS17_E_NS1_11comp_targetILNS1_3genE8ELNS1_11target_archE1030ELNS1_3gpuE2ELNS1_3repE0EEENS1_30default_config_static_selectorELNS0_4arch9wavefront6targetE1EEEvT1_,@function
_ZN7rocprim17ROCPRIM_400000_NS6detail17trampoline_kernelINS0_14default_configENS1_25partition_config_selectorILNS1_17partition_subalgoE8ElNS0_10empty_typeEbEEZZNS1_14partition_implILS5_8ELb0ES3_jPlPS6_PKS6_NS0_5tupleIJS9_S6_EEENSD_IJSA_SA_EEENS0_18inequality_wrapperIZN2at6native12_GLOBAL__N_124unique_dim_cuda_templateIaEESt5tupleIJNSH_6TensorESM_SM_EERKSM_lbbbEUlllE0_EEPmJS6_EEE10hipError_tPvRmT3_T4_T5_T6_T7_T9_mT8_P12ihipStream_tbDpT10_ENKUlT_T0_E_clISt17integral_constantIbLb1EES1B_IbLb0EEEEDaS17_S18_EUlS17_E_NS1_11comp_targetILNS1_3genE8ELNS1_11target_archE1030ELNS1_3gpuE2ELNS1_3repE0EEENS1_30default_config_static_selectorELNS0_4arch9wavefront6targetE1EEEvT1_: ; @_ZN7rocprim17ROCPRIM_400000_NS6detail17trampoline_kernelINS0_14default_configENS1_25partition_config_selectorILNS1_17partition_subalgoE8ElNS0_10empty_typeEbEEZZNS1_14partition_implILS5_8ELb0ES3_jPlPS6_PKS6_NS0_5tupleIJS9_S6_EEENSD_IJSA_SA_EEENS0_18inequality_wrapperIZN2at6native12_GLOBAL__N_124unique_dim_cuda_templateIaEESt5tupleIJNSH_6TensorESM_SM_EERKSM_lbbbEUlllE0_EEPmJS6_EEE10hipError_tPvRmT3_T4_T5_T6_T7_T9_mT8_P12ihipStream_tbDpT10_ENKUlT_T0_E_clISt17integral_constantIbLb1EES1B_IbLb0EEEEDaS17_S18_EUlS17_E_NS1_11comp_targetILNS1_3genE8ELNS1_11target_archE1030ELNS1_3gpuE2ELNS1_3repE0EEENS1_30default_config_static_selectorELNS0_4arch9wavefront6targetE1EEEvT1_
; %bb.0:
	.section	.rodata,"a",@progbits
	.p2align	6, 0x0
	.amdhsa_kernel _ZN7rocprim17ROCPRIM_400000_NS6detail17trampoline_kernelINS0_14default_configENS1_25partition_config_selectorILNS1_17partition_subalgoE8ElNS0_10empty_typeEbEEZZNS1_14partition_implILS5_8ELb0ES3_jPlPS6_PKS6_NS0_5tupleIJS9_S6_EEENSD_IJSA_SA_EEENS0_18inequality_wrapperIZN2at6native12_GLOBAL__N_124unique_dim_cuda_templateIaEESt5tupleIJNSH_6TensorESM_SM_EERKSM_lbbbEUlllE0_EEPmJS6_EEE10hipError_tPvRmT3_T4_T5_T6_T7_T9_mT8_P12ihipStream_tbDpT10_ENKUlT_T0_E_clISt17integral_constantIbLb1EES1B_IbLb0EEEEDaS17_S18_EUlS17_E_NS1_11comp_targetILNS1_3genE8ELNS1_11target_archE1030ELNS1_3gpuE2ELNS1_3repE0EEENS1_30default_config_static_selectorELNS0_4arch9wavefront6targetE1EEEvT1_
		.amdhsa_group_segment_fixed_size 0
		.amdhsa_private_segment_fixed_size 0
		.amdhsa_kernarg_size 120
		.amdhsa_user_sgpr_count 2
		.amdhsa_user_sgpr_dispatch_ptr 0
		.amdhsa_user_sgpr_queue_ptr 0
		.amdhsa_user_sgpr_kernarg_segment_ptr 1
		.amdhsa_user_sgpr_dispatch_id 0
		.amdhsa_user_sgpr_kernarg_preload_length 0
		.amdhsa_user_sgpr_kernarg_preload_offset 0
		.amdhsa_user_sgpr_private_segment_size 0
		.amdhsa_uses_dynamic_stack 0
		.amdhsa_enable_private_segment 0
		.amdhsa_system_sgpr_workgroup_id_x 1
		.amdhsa_system_sgpr_workgroup_id_y 0
		.amdhsa_system_sgpr_workgroup_id_z 0
		.amdhsa_system_sgpr_workgroup_info 0
		.amdhsa_system_vgpr_workitem_id 0
		.amdhsa_next_free_vgpr 1
		.amdhsa_next_free_sgpr 0
		.amdhsa_accum_offset 4
		.amdhsa_reserve_vcc 0
		.amdhsa_float_round_mode_32 0
		.amdhsa_float_round_mode_16_64 0
		.amdhsa_float_denorm_mode_32 3
		.amdhsa_float_denorm_mode_16_64 3
		.amdhsa_dx10_clamp 1
		.amdhsa_ieee_mode 1
		.amdhsa_fp16_overflow 0
		.amdhsa_tg_split 0
		.amdhsa_exception_fp_ieee_invalid_op 0
		.amdhsa_exception_fp_denorm_src 0
		.amdhsa_exception_fp_ieee_div_zero 0
		.amdhsa_exception_fp_ieee_overflow 0
		.amdhsa_exception_fp_ieee_underflow 0
		.amdhsa_exception_fp_ieee_inexact 0
		.amdhsa_exception_int_div_zero 0
	.end_amdhsa_kernel
	.section	.text._ZN7rocprim17ROCPRIM_400000_NS6detail17trampoline_kernelINS0_14default_configENS1_25partition_config_selectorILNS1_17partition_subalgoE8ElNS0_10empty_typeEbEEZZNS1_14partition_implILS5_8ELb0ES3_jPlPS6_PKS6_NS0_5tupleIJS9_S6_EEENSD_IJSA_SA_EEENS0_18inequality_wrapperIZN2at6native12_GLOBAL__N_124unique_dim_cuda_templateIaEESt5tupleIJNSH_6TensorESM_SM_EERKSM_lbbbEUlllE0_EEPmJS6_EEE10hipError_tPvRmT3_T4_T5_T6_T7_T9_mT8_P12ihipStream_tbDpT10_ENKUlT_T0_E_clISt17integral_constantIbLb1EES1B_IbLb0EEEEDaS17_S18_EUlS17_E_NS1_11comp_targetILNS1_3genE8ELNS1_11target_archE1030ELNS1_3gpuE2ELNS1_3repE0EEENS1_30default_config_static_selectorELNS0_4arch9wavefront6targetE1EEEvT1_,"axG",@progbits,_ZN7rocprim17ROCPRIM_400000_NS6detail17trampoline_kernelINS0_14default_configENS1_25partition_config_selectorILNS1_17partition_subalgoE8ElNS0_10empty_typeEbEEZZNS1_14partition_implILS5_8ELb0ES3_jPlPS6_PKS6_NS0_5tupleIJS9_S6_EEENSD_IJSA_SA_EEENS0_18inequality_wrapperIZN2at6native12_GLOBAL__N_124unique_dim_cuda_templateIaEESt5tupleIJNSH_6TensorESM_SM_EERKSM_lbbbEUlllE0_EEPmJS6_EEE10hipError_tPvRmT3_T4_T5_T6_T7_T9_mT8_P12ihipStream_tbDpT10_ENKUlT_T0_E_clISt17integral_constantIbLb1EES1B_IbLb0EEEEDaS17_S18_EUlS17_E_NS1_11comp_targetILNS1_3genE8ELNS1_11target_archE1030ELNS1_3gpuE2ELNS1_3repE0EEENS1_30default_config_static_selectorELNS0_4arch9wavefront6targetE1EEEvT1_,comdat
.Lfunc_end344:
	.size	_ZN7rocprim17ROCPRIM_400000_NS6detail17trampoline_kernelINS0_14default_configENS1_25partition_config_selectorILNS1_17partition_subalgoE8ElNS0_10empty_typeEbEEZZNS1_14partition_implILS5_8ELb0ES3_jPlPS6_PKS6_NS0_5tupleIJS9_S6_EEENSD_IJSA_SA_EEENS0_18inequality_wrapperIZN2at6native12_GLOBAL__N_124unique_dim_cuda_templateIaEESt5tupleIJNSH_6TensorESM_SM_EERKSM_lbbbEUlllE0_EEPmJS6_EEE10hipError_tPvRmT3_T4_T5_T6_T7_T9_mT8_P12ihipStream_tbDpT10_ENKUlT_T0_E_clISt17integral_constantIbLb1EES1B_IbLb0EEEEDaS17_S18_EUlS17_E_NS1_11comp_targetILNS1_3genE8ELNS1_11target_archE1030ELNS1_3gpuE2ELNS1_3repE0EEENS1_30default_config_static_selectorELNS0_4arch9wavefront6targetE1EEEvT1_, .Lfunc_end344-_ZN7rocprim17ROCPRIM_400000_NS6detail17trampoline_kernelINS0_14default_configENS1_25partition_config_selectorILNS1_17partition_subalgoE8ElNS0_10empty_typeEbEEZZNS1_14partition_implILS5_8ELb0ES3_jPlPS6_PKS6_NS0_5tupleIJS9_S6_EEENSD_IJSA_SA_EEENS0_18inequality_wrapperIZN2at6native12_GLOBAL__N_124unique_dim_cuda_templateIaEESt5tupleIJNSH_6TensorESM_SM_EERKSM_lbbbEUlllE0_EEPmJS6_EEE10hipError_tPvRmT3_T4_T5_T6_T7_T9_mT8_P12ihipStream_tbDpT10_ENKUlT_T0_E_clISt17integral_constantIbLb1EES1B_IbLb0EEEEDaS17_S18_EUlS17_E_NS1_11comp_targetILNS1_3genE8ELNS1_11target_archE1030ELNS1_3gpuE2ELNS1_3repE0EEENS1_30default_config_static_selectorELNS0_4arch9wavefront6targetE1EEEvT1_
                                        ; -- End function
	.section	.AMDGPU.csdata,"",@progbits
; Kernel info:
; codeLenInByte = 0
; NumSgprs: 6
; NumVgprs: 0
; NumAgprs: 0
; TotalNumVgprs: 0
; ScratchSize: 0
; MemoryBound: 0
; FloatMode: 240
; IeeeMode: 1
; LDSByteSize: 0 bytes/workgroup (compile time only)
; SGPRBlocks: 0
; VGPRBlocks: 0
; NumSGPRsForWavesPerEU: 6
; NumVGPRsForWavesPerEU: 1
; AccumOffset: 4
; Occupancy: 8
; WaveLimiterHint : 0
; COMPUTE_PGM_RSRC2:SCRATCH_EN: 0
; COMPUTE_PGM_RSRC2:USER_SGPR: 2
; COMPUTE_PGM_RSRC2:TRAP_HANDLER: 0
; COMPUTE_PGM_RSRC2:TGID_X_EN: 1
; COMPUTE_PGM_RSRC2:TGID_Y_EN: 0
; COMPUTE_PGM_RSRC2:TGID_Z_EN: 0
; COMPUTE_PGM_RSRC2:TIDIG_COMP_CNT: 0
; COMPUTE_PGM_RSRC3_GFX90A:ACCUM_OFFSET: 0
; COMPUTE_PGM_RSRC3_GFX90A:TG_SPLIT: 0
	.section	.text._ZN7rocprim17ROCPRIM_400000_NS6detail17trampoline_kernelINS0_14default_configENS1_25partition_config_selectorILNS1_17partition_subalgoE8ElNS0_10empty_typeEbEEZZNS1_14partition_implILS5_8ELb0ES3_jPlPS6_PKS6_NS0_5tupleIJS9_S6_EEENSD_IJSA_SA_EEENS0_18inequality_wrapperIZN2at6native12_GLOBAL__N_124unique_dim_cuda_templateIaEESt5tupleIJNSH_6TensorESM_SM_EERKSM_lbbbEUlllE0_EEPmJS6_EEE10hipError_tPvRmT3_T4_T5_T6_T7_T9_mT8_P12ihipStream_tbDpT10_ENKUlT_T0_E_clISt17integral_constantIbLb0EES1B_IbLb1EEEEDaS17_S18_EUlS17_E_NS1_11comp_targetILNS1_3genE0ELNS1_11target_archE4294967295ELNS1_3gpuE0ELNS1_3repE0EEENS1_30default_config_static_selectorELNS0_4arch9wavefront6targetE1EEEvT1_,"axG",@progbits,_ZN7rocprim17ROCPRIM_400000_NS6detail17trampoline_kernelINS0_14default_configENS1_25partition_config_selectorILNS1_17partition_subalgoE8ElNS0_10empty_typeEbEEZZNS1_14partition_implILS5_8ELb0ES3_jPlPS6_PKS6_NS0_5tupleIJS9_S6_EEENSD_IJSA_SA_EEENS0_18inequality_wrapperIZN2at6native12_GLOBAL__N_124unique_dim_cuda_templateIaEESt5tupleIJNSH_6TensorESM_SM_EERKSM_lbbbEUlllE0_EEPmJS6_EEE10hipError_tPvRmT3_T4_T5_T6_T7_T9_mT8_P12ihipStream_tbDpT10_ENKUlT_T0_E_clISt17integral_constantIbLb0EES1B_IbLb1EEEEDaS17_S18_EUlS17_E_NS1_11comp_targetILNS1_3genE0ELNS1_11target_archE4294967295ELNS1_3gpuE0ELNS1_3repE0EEENS1_30default_config_static_selectorELNS0_4arch9wavefront6targetE1EEEvT1_,comdat
	.globl	_ZN7rocprim17ROCPRIM_400000_NS6detail17trampoline_kernelINS0_14default_configENS1_25partition_config_selectorILNS1_17partition_subalgoE8ElNS0_10empty_typeEbEEZZNS1_14partition_implILS5_8ELb0ES3_jPlPS6_PKS6_NS0_5tupleIJS9_S6_EEENSD_IJSA_SA_EEENS0_18inequality_wrapperIZN2at6native12_GLOBAL__N_124unique_dim_cuda_templateIaEESt5tupleIJNSH_6TensorESM_SM_EERKSM_lbbbEUlllE0_EEPmJS6_EEE10hipError_tPvRmT3_T4_T5_T6_T7_T9_mT8_P12ihipStream_tbDpT10_ENKUlT_T0_E_clISt17integral_constantIbLb0EES1B_IbLb1EEEEDaS17_S18_EUlS17_E_NS1_11comp_targetILNS1_3genE0ELNS1_11target_archE4294967295ELNS1_3gpuE0ELNS1_3repE0EEENS1_30default_config_static_selectorELNS0_4arch9wavefront6targetE1EEEvT1_ ; -- Begin function _ZN7rocprim17ROCPRIM_400000_NS6detail17trampoline_kernelINS0_14default_configENS1_25partition_config_selectorILNS1_17partition_subalgoE8ElNS0_10empty_typeEbEEZZNS1_14partition_implILS5_8ELb0ES3_jPlPS6_PKS6_NS0_5tupleIJS9_S6_EEENSD_IJSA_SA_EEENS0_18inequality_wrapperIZN2at6native12_GLOBAL__N_124unique_dim_cuda_templateIaEESt5tupleIJNSH_6TensorESM_SM_EERKSM_lbbbEUlllE0_EEPmJS6_EEE10hipError_tPvRmT3_T4_T5_T6_T7_T9_mT8_P12ihipStream_tbDpT10_ENKUlT_T0_E_clISt17integral_constantIbLb0EES1B_IbLb1EEEEDaS17_S18_EUlS17_E_NS1_11comp_targetILNS1_3genE0ELNS1_11target_archE4294967295ELNS1_3gpuE0ELNS1_3repE0EEENS1_30default_config_static_selectorELNS0_4arch9wavefront6targetE1EEEvT1_
	.p2align	8
	.type	_ZN7rocprim17ROCPRIM_400000_NS6detail17trampoline_kernelINS0_14default_configENS1_25partition_config_selectorILNS1_17partition_subalgoE8ElNS0_10empty_typeEbEEZZNS1_14partition_implILS5_8ELb0ES3_jPlPS6_PKS6_NS0_5tupleIJS9_S6_EEENSD_IJSA_SA_EEENS0_18inequality_wrapperIZN2at6native12_GLOBAL__N_124unique_dim_cuda_templateIaEESt5tupleIJNSH_6TensorESM_SM_EERKSM_lbbbEUlllE0_EEPmJS6_EEE10hipError_tPvRmT3_T4_T5_T6_T7_T9_mT8_P12ihipStream_tbDpT10_ENKUlT_T0_E_clISt17integral_constantIbLb0EES1B_IbLb1EEEEDaS17_S18_EUlS17_E_NS1_11comp_targetILNS1_3genE0ELNS1_11target_archE4294967295ELNS1_3gpuE0ELNS1_3repE0EEENS1_30default_config_static_selectorELNS0_4arch9wavefront6targetE1EEEvT1_,@function
_ZN7rocprim17ROCPRIM_400000_NS6detail17trampoline_kernelINS0_14default_configENS1_25partition_config_selectorILNS1_17partition_subalgoE8ElNS0_10empty_typeEbEEZZNS1_14partition_implILS5_8ELb0ES3_jPlPS6_PKS6_NS0_5tupleIJS9_S6_EEENSD_IJSA_SA_EEENS0_18inequality_wrapperIZN2at6native12_GLOBAL__N_124unique_dim_cuda_templateIaEESt5tupleIJNSH_6TensorESM_SM_EERKSM_lbbbEUlllE0_EEPmJS6_EEE10hipError_tPvRmT3_T4_T5_T6_T7_T9_mT8_P12ihipStream_tbDpT10_ENKUlT_T0_E_clISt17integral_constantIbLb0EES1B_IbLb1EEEEDaS17_S18_EUlS17_E_NS1_11comp_targetILNS1_3genE0ELNS1_11target_archE4294967295ELNS1_3gpuE0ELNS1_3repE0EEENS1_30default_config_static_selectorELNS0_4arch9wavefront6targetE1EEEvT1_: ; @_ZN7rocprim17ROCPRIM_400000_NS6detail17trampoline_kernelINS0_14default_configENS1_25partition_config_selectorILNS1_17partition_subalgoE8ElNS0_10empty_typeEbEEZZNS1_14partition_implILS5_8ELb0ES3_jPlPS6_PKS6_NS0_5tupleIJS9_S6_EEENSD_IJSA_SA_EEENS0_18inequality_wrapperIZN2at6native12_GLOBAL__N_124unique_dim_cuda_templateIaEESt5tupleIJNSH_6TensorESM_SM_EERKSM_lbbbEUlllE0_EEPmJS6_EEE10hipError_tPvRmT3_T4_T5_T6_T7_T9_mT8_P12ihipStream_tbDpT10_ENKUlT_T0_E_clISt17integral_constantIbLb0EES1B_IbLb1EEEEDaS17_S18_EUlS17_E_NS1_11comp_targetILNS1_3genE0ELNS1_11target_archE4294967295ELNS1_3gpuE0ELNS1_3repE0EEENS1_30default_config_static_selectorELNS0_4arch9wavefront6targetE1EEEvT1_
; %bb.0:
	.section	.rodata,"a",@progbits
	.p2align	6, 0x0
	.amdhsa_kernel _ZN7rocprim17ROCPRIM_400000_NS6detail17trampoline_kernelINS0_14default_configENS1_25partition_config_selectorILNS1_17partition_subalgoE8ElNS0_10empty_typeEbEEZZNS1_14partition_implILS5_8ELb0ES3_jPlPS6_PKS6_NS0_5tupleIJS9_S6_EEENSD_IJSA_SA_EEENS0_18inequality_wrapperIZN2at6native12_GLOBAL__N_124unique_dim_cuda_templateIaEESt5tupleIJNSH_6TensorESM_SM_EERKSM_lbbbEUlllE0_EEPmJS6_EEE10hipError_tPvRmT3_T4_T5_T6_T7_T9_mT8_P12ihipStream_tbDpT10_ENKUlT_T0_E_clISt17integral_constantIbLb0EES1B_IbLb1EEEEDaS17_S18_EUlS17_E_NS1_11comp_targetILNS1_3genE0ELNS1_11target_archE4294967295ELNS1_3gpuE0ELNS1_3repE0EEENS1_30default_config_static_selectorELNS0_4arch9wavefront6targetE1EEEvT1_
		.amdhsa_group_segment_fixed_size 0
		.amdhsa_private_segment_fixed_size 0
		.amdhsa_kernarg_size 136
		.amdhsa_user_sgpr_count 2
		.amdhsa_user_sgpr_dispatch_ptr 0
		.amdhsa_user_sgpr_queue_ptr 0
		.amdhsa_user_sgpr_kernarg_segment_ptr 1
		.amdhsa_user_sgpr_dispatch_id 0
		.amdhsa_user_sgpr_kernarg_preload_length 0
		.amdhsa_user_sgpr_kernarg_preload_offset 0
		.amdhsa_user_sgpr_private_segment_size 0
		.amdhsa_uses_dynamic_stack 0
		.amdhsa_enable_private_segment 0
		.amdhsa_system_sgpr_workgroup_id_x 1
		.amdhsa_system_sgpr_workgroup_id_y 0
		.amdhsa_system_sgpr_workgroup_id_z 0
		.amdhsa_system_sgpr_workgroup_info 0
		.amdhsa_system_vgpr_workitem_id 0
		.amdhsa_next_free_vgpr 1
		.amdhsa_next_free_sgpr 0
		.amdhsa_accum_offset 4
		.amdhsa_reserve_vcc 0
		.amdhsa_float_round_mode_32 0
		.amdhsa_float_round_mode_16_64 0
		.amdhsa_float_denorm_mode_32 3
		.amdhsa_float_denorm_mode_16_64 3
		.amdhsa_dx10_clamp 1
		.amdhsa_ieee_mode 1
		.amdhsa_fp16_overflow 0
		.amdhsa_tg_split 0
		.amdhsa_exception_fp_ieee_invalid_op 0
		.amdhsa_exception_fp_denorm_src 0
		.amdhsa_exception_fp_ieee_div_zero 0
		.amdhsa_exception_fp_ieee_overflow 0
		.amdhsa_exception_fp_ieee_underflow 0
		.amdhsa_exception_fp_ieee_inexact 0
		.amdhsa_exception_int_div_zero 0
	.end_amdhsa_kernel
	.section	.text._ZN7rocprim17ROCPRIM_400000_NS6detail17trampoline_kernelINS0_14default_configENS1_25partition_config_selectorILNS1_17partition_subalgoE8ElNS0_10empty_typeEbEEZZNS1_14partition_implILS5_8ELb0ES3_jPlPS6_PKS6_NS0_5tupleIJS9_S6_EEENSD_IJSA_SA_EEENS0_18inequality_wrapperIZN2at6native12_GLOBAL__N_124unique_dim_cuda_templateIaEESt5tupleIJNSH_6TensorESM_SM_EERKSM_lbbbEUlllE0_EEPmJS6_EEE10hipError_tPvRmT3_T4_T5_T6_T7_T9_mT8_P12ihipStream_tbDpT10_ENKUlT_T0_E_clISt17integral_constantIbLb0EES1B_IbLb1EEEEDaS17_S18_EUlS17_E_NS1_11comp_targetILNS1_3genE0ELNS1_11target_archE4294967295ELNS1_3gpuE0ELNS1_3repE0EEENS1_30default_config_static_selectorELNS0_4arch9wavefront6targetE1EEEvT1_,"axG",@progbits,_ZN7rocprim17ROCPRIM_400000_NS6detail17trampoline_kernelINS0_14default_configENS1_25partition_config_selectorILNS1_17partition_subalgoE8ElNS0_10empty_typeEbEEZZNS1_14partition_implILS5_8ELb0ES3_jPlPS6_PKS6_NS0_5tupleIJS9_S6_EEENSD_IJSA_SA_EEENS0_18inequality_wrapperIZN2at6native12_GLOBAL__N_124unique_dim_cuda_templateIaEESt5tupleIJNSH_6TensorESM_SM_EERKSM_lbbbEUlllE0_EEPmJS6_EEE10hipError_tPvRmT3_T4_T5_T6_T7_T9_mT8_P12ihipStream_tbDpT10_ENKUlT_T0_E_clISt17integral_constantIbLb0EES1B_IbLb1EEEEDaS17_S18_EUlS17_E_NS1_11comp_targetILNS1_3genE0ELNS1_11target_archE4294967295ELNS1_3gpuE0ELNS1_3repE0EEENS1_30default_config_static_selectorELNS0_4arch9wavefront6targetE1EEEvT1_,comdat
.Lfunc_end345:
	.size	_ZN7rocprim17ROCPRIM_400000_NS6detail17trampoline_kernelINS0_14default_configENS1_25partition_config_selectorILNS1_17partition_subalgoE8ElNS0_10empty_typeEbEEZZNS1_14partition_implILS5_8ELb0ES3_jPlPS6_PKS6_NS0_5tupleIJS9_S6_EEENSD_IJSA_SA_EEENS0_18inequality_wrapperIZN2at6native12_GLOBAL__N_124unique_dim_cuda_templateIaEESt5tupleIJNSH_6TensorESM_SM_EERKSM_lbbbEUlllE0_EEPmJS6_EEE10hipError_tPvRmT3_T4_T5_T6_T7_T9_mT8_P12ihipStream_tbDpT10_ENKUlT_T0_E_clISt17integral_constantIbLb0EES1B_IbLb1EEEEDaS17_S18_EUlS17_E_NS1_11comp_targetILNS1_3genE0ELNS1_11target_archE4294967295ELNS1_3gpuE0ELNS1_3repE0EEENS1_30default_config_static_selectorELNS0_4arch9wavefront6targetE1EEEvT1_, .Lfunc_end345-_ZN7rocprim17ROCPRIM_400000_NS6detail17trampoline_kernelINS0_14default_configENS1_25partition_config_selectorILNS1_17partition_subalgoE8ElNS0_10empty_typeEbEEZZNS1_14partition_implILS5_8ELb0ES3_jPlPS6_PKS6_NS0_5tupleIJS9_S6_EEENSD_IJSA_SA_EEENS0_18inequality_wrapperIZN2at6native12_GLOBAL__N_124unique_dim_cuda_templateIaEESt5tupleIJNSH_6TensorESM_SM_EERKSM_lbbbEUlllE0_EEPmJS6_EEE10hipError_tPvRmT3_T4_T5_T6_T7_T9_mT8_P12ihipStream_tbDpT10_ENKUlT_T0_E_clISt17integral_constantIbLb0EES1B_IbLb1EEEEDaS17_S18_EUlS17_E_NS1_11comp_targetILNS1_3genE0ELNS1_11target_archE4294967295ELNS1_3gpuE0ELNS1_3repE0EEENS1_30default_config_static_selectorELNS0_4arch9wavefront6targetE1EEEvT1_
                                        ; -- End function
	.section	.AMDGPU.csdata,"",@progbits
; Kernel info:
; codeLenInByte = 0
; NumSgprs: 6
; NumVgprs: 0
; NumAgprs: 0
; TotalNumVgprs: 0
; ScratchSize: 0
; MemoryBound: 0
; FloatMode: 240
; IeeeMode: 1
; LDSByteSize: 0 bytes/workgroup (compile time only)
; SGPRBlocks: 0
; VGPRBlocks: 0
; NumSGPRsForWavesPerEU: 6
; NumVGPRsForWavesPerEU: 1
; AccumOffset: 4
; Occupancy: 8
; WaveLimiterHint : 0
; COMPUTE_PGM_RSRC2:SCRATCH_EN: 0
; COMPUTE_PGM_RSRC2:USER_SGPR: 2
; COMPUTE_PGM_RSRC2:TRAP_HANDLER: 0
; COMPUTE_PGM_RSRC2:TGID_X_EN: 1
; COMPUTE_PGM_RSRC2:TGID_Y_EN: 0
; COMPUTE_PGM_RSRC2:TGID_Z_EN: 0
; COMPUTE_PGM_RSRC2:TIDIG_COMP_CNT: 0
; COMPUTE_PGM_RSRC3_GFX90A:ACCUM_OFFSET: 0
; COMPUTE_PGM_RSRC3_GFX90A:TG_SPLIT: 0
	.section	.text._ZN7rocprim17ROCPRIM_400000_NS6detail17trampoline_kernelINS0_14default_configENS1_25partition_config_selectorILNS1_17partition_subalgoE8ElNS0_10empty_typeEbEEZZNS1_14partition_implILS5_8ELb0ES3_jPlPS6_PKS6_NS0_5tupleIJS9_S6_EEENSD_IJSA_SA_EEENS0_18inequality_wrapperIZN2at6native12_GLOBAL__N_124unique_dim_cuda_templateIaEESt5tupleIJNSH_6TensorESM_SM_EERKSM_lbbbEUlllE0_EEPmJS6_EEE10hipError_tPvRmT3_T4_T5_T6_T7_T9_mT8_P12ihipStream_tbDpT10_ENKUlT_T0_E_clISt17integral_constantIbLb0EES1B_IbLb1EEEEDaS17_S18_EUlS17_E_NS1_11comp_targetILNS1_3genE5ELNS1_11target_archE942ELNS1_3gpuE9ELNS1_3repE0EEENS1_30default_config_static_selectorELNS0_4arch9wavefront6targetE1EEEvT1_,"axG",@progbits,_ZN7rocprim17ROCPRIM_400000_NS6detail17trampoline_kernelINS0_14default_configENS1_25partition_config_selectorILNS1_17partition_subalgoE8ElNS0_10empty_typeEbEEZZNS1_14partition_implILS5_8ELb0ES3_jPlPS6_PKS6_NS0_5tupleIJS9_S6_EEENSD_IJSA_SA_EEENS0_18inequality_wrapperIZN2at6native12_GLOBAL__N_124unique_dim_cuda_templateIaEESt5tupleIJNSH_6TensorESM_SM_EERKSM_lbbbEUlllE0_EEPmJS6_EEE10hipError_tPvRmT3_T4_T5_T6_T7_T9_mT8_P12ihipStream_tbDpT10_ENKUlT_T0_E_clISt17integral_constantIbLb0EES1B_IbLb1EEEEDaS17_S18_EUlS17_E_NS1_11comp_targetILNS1_3genE5ELNS1_11target_archE942ELNS1_3gpuE9ELNS1_3repE0EEENS1_30default_config_static_selectorELNS0_4arch9wavefront6targetE1EEEvT1_,comdat
	.globl	_ZN7rocprim17ROCPRIM_400000_NS6detail17trampoline_kernelINS0_14default_configENS1_25partition_config_selectorILNS1_17partition_subalgoE8ElNS0_10empty_typeEbEEZZNS1_14partition_implILS5_8ELb0ES3_jPlPS6_PKS6_NS0_5tupleIJS9_S6_EEENSD_IJSA_SA_EEENS0_18inequality_wrapperIZN2at6native12_GLOBAL__N_124unique_dim_cuda_templateIaEESt5tupleIJNSH_6TensorESM_SM_EERKSM_lbbbEUlllE0_EEPmJS6_EEE10hipError_tPvRmT3_T4_T5_T6_T7_T9_mT8_P12ihipStream_tbDpT10_ENKUlT_T0_E_clISt17integral_constantIbLb0EES1B_IbLb1EEEEDaS17_S18_EUlS17_E_NS1_11comp_targetILNS1_3genE5ELNS1_11target_archE942ELNS1_3gpuE9ELNS1_3repE0EEENS1_30default_config_static_selectorELNS0_4arch9wavefront6targetE1EEEvT1_ ; -- Begin function _ZN7rocprim17ROCPRIM_400000_NS6detail17trampoline_kernelINS0_14default_configENS1_25partition_config_selectorILNS1_17partition_subalgoE8ElNS0_10empty_typeEbEEZZNS1_14partition_implILS5_8ELb0ES3_jPlPS6_PKS6_NS0_5tupleIJS9_S6_EEENSD_IJSA_SA_EEENS0_18inequality_wrapperIZN2at6native12_GLOBAL__N_124unique_dim_cuda_templateIaEESt5tupleIJNSH_6TensorESM_SM_EERKSM_lbbbEUlllE0_EEPmJS6_EEE10hipError_tPvRmT3_T4_T5_T6_T7_T9_mT8_P12ihipStream_tbDpT10_ENKUlT_T0_E_clISt17integral_constantIbLb0EES1B_IbLb1EEEEDaS17_S18_EUlS17_E_NS1_11comp_targetILNS1_3genE5ELNS1_11target_archE942ELNS1_3gpuE9ELNS1_3repE0EEENS1_30default_config_static_selectorELNS0_4arch9wavefront6targetE1EEEvT1_
	.p2align	8
	.type	_ZN7rocprim17ROCPRIM_400000_NS6detail17trampoline_kernelINS0_14default_configENS1_25partition_config_selectorILNS1_17partition_subalgoE8ElNS0_10empty_typeEbEEZZNS1_14partition_implILS5_8ELb0ES3_jPlPS6_PKS6_NS0_5tupleIJS9_S6_EEENSD_IJSA_SA_EEENS0_18inequality_wrapperIZN2at6native12_GLOBAL__N_124unique_dim_cuda_templateIaEESt5tupleIJNSH_6TensorESM_SM_EERKSM_lbbbEUlllE0_EEPmJS6_EEE10hipError_tPvRmT3_T4_T5_T6_T7_T9_mT8_P12ihipStream_tbDpT10_ENKUlT_T0_E_clISt17integral_constantIbLb0EES1B_IbLb1EEEEDaS17_S18_EUlS17_E_NS1_11comp_targetILNS1_3genE5ELNS1_11target_archE942ELNS1_3gpuE9ELNS1_3repE0EEENS1_30default_config_static_selectorELNS0_4arch9wavefront6targetE1EEEvT1_,@function
_ZN7rocprim17ROCPRIM_400000_NS6detail17trampoline_kernelINS0_14default_configENS1_25partition_config_selectorILNS1_17partition_subalgoE8ElNS0_10empty_typeEbEEZZNS1_14partition_implILS5_8ELb0ES3_jPlPS6_PKS6_NS0_5tupleIJS9_S6_EEENSD_IJSA_SA_EEENS0_18inequality_wrapperIZN2at6native12_GLOBAL__N_124unique_dim_cuda_templateIaEESt5tupleIJNSH_6TensorESM_SM_EERKSM_lbbbEUlllE0_EEPmJS6_EEE10hipError_tPvRmT3_T4_T5_T6_T7_T9_mT8_P12ihipStream_tbDpT10_ENKUlT_T0_E_clISt17integral_constantIbLb0EES1B_IbLb1EEEEDaS17_S18_EUlS17_E_NS1_11comp_targetILNS1_3genE5ELNS1_11target_archE942ELNS1_3gpuE9ELNS1_3repE0EEENS1_30default_config_static_selectorELNS0_4arch9wavefront6targetE1EEEvT1_: ; @_ZN7rocprim17ROCPRIM_400000_NS6detail17trampoline_kernelINS0_14default_configENS1_25partition_config_selectorILNS1_17partition_subalgoE8ElNS0_10empty_typeEbEEZZNS1_14partition_implILS5_8ELb0ES3_jPlPS6_PKS6_NS0_5tupleIJS9_S6_EEENSD_IJSA_SA_EEENS0_18inequality_wrapperIZN2at6native12_GLOBAL__N_124unique_dim_cuda_templateIaEESt5tupleIJNSH_6TensorESM_SM_EERKSM_lbbbEUlllE0_EEPmJS6_EEE10hipError_tPvRmT3_T4_T5_T6_T7_T9_mT8_P12ihipStream_tbDpT10_ENKUlT_T0_E_clISt17integral_constantIbLb0EES1B_IbLb1EEEEDaS17_S18_EUlS17_E_NS1_11comp_targetILNS1_3genE5ELNS1_11target_archE942ELNS1_3gpuE9ELNS1_3repE0EEENS1_30default_config_static_selectorELNS0_4arch9wavefront6targetE1EEEvT1_
; %bb.0:
	s_load_dwordx2 s[34:35], s[0:1], 0x28
	s_load_dwordx8 s[20:27], s[0:1], 0x40
	s_load_dwordx4 s[28:31], s[0:1], 0x60
	v_cmp_ne_u32_e64 s[2:3], 0, v0
	v_cmp_eq_u32_e64 s[18:19], 0, v0
	s_and_saveexec_b64 s[4:5], s[18:19]
	s_cbranch_execz .LBB346_4
; %bb.1:
	s_mov_b64 s[8:9], exec
	v_mbcnt_lo_u32_b32 v1, s8, 0
	v_mbcnt_hi_u32_b32 v1, s9, v1
	v_cmp_eq_u32_e32 vcc, 0, v1
                                        ; implicit-def: $vgpr2
	s_and_saveexec_b64 s[6:7], vcc
	s_cbranch_execz .LBB346_3
; %bb.2:
	s_load_dwordx2 s[10:11], s[0:1], 0x78
	s_bcnt1_i32_b64 s8, s[8:9]
	v_mov_b32_e32 v2, 0
	v_mov_b32_e32 v3, s8
	s_waitcnt lgkmcnt(0)
	global_atomic_add v2, v2, v3, s[10:11] sc0
.LBB346_3:
	s_or_b64 exec, exec, s[6:7]
	s_waitcnt vmcnt(0)
	v_readfirstlane_b32 s6, v2
	v_mov_b32_e32 v2, 0
	s_nop 0
	v_add_u32_e32 v1, s6, v1
	ds_write_b32 v2, v1
.LBB346_4:
	s_or_b64 exec, exec, s[4:5]
	v_mov_b32_e32 v3, 0
	s_load_dwordx4 s[4:7], s[0:1], 0x8
	s_load_dword s10, s[0:1], 0x70
	s_waitcnt lgkmcnt(0)
	s_barrier
	ds_read_b32 v1, v3
	s_waitcnt lgkmcnt(0)
	s_barrier
	global_load_dwordx2 v[4:5], v3, s[22:23]
	s_lshl_b64 s[0:1], s[6:7], 3
	s_mul_i32 s12, s10, 0xe00
	s_add_u32 s0, s4, s0
	s_addc_u32 s1, s5, s1
	s_add_i32 s4, s12, s6
	s_add_i32 s10, s10, -1
	s_sub_i32 s52, s24, s4
	s_add_u32 s4, s6, s12
	s_movk_i32 s11, 0xe00
	s_addc_u32 s5, s7, 0
	v_readfirstlane_b32 s33, v1
	v_mov_b32_e32 v6, s24
	v_mov_b32_e32 v7, s25
	v_mul_lo_u32 v2, v1, s11
	s_cmp_eq_u32 s33, s10
	v_cmp_ge_u64_e32 vcc, s[4:5], v[6:7]
	v_lshlrev_b64 v[6:7], 3, v[2:3]
	s_cselect_b64 s[24:25], -1, 0
	v_lshl_add_u64 v[18:19], s[0:1], 0, v[6:7]
	s_and_b64 s[0:1], vcc, s[24:25]
	s_xor_b64 s[36:37], s[0:1], -1
	s_mov_b64 s[8:9], -1
	s_and_b64 vcc, exec, s[36:37]
	s_waitcnt vmcnt(0)
	v_readfirstlane_b32 s22, v4
	v_readfirstlane_b32 s23, v5
	s_cbranch_vccz .LBB346_6
; %bb.5:
	v_lshlrev_b32_e32 v2, 3, v0
	v_lshl_add_u64 v[4:5], v[18:19], 0, v[2:3]
	v_add_co_u32_e32 v8, vcc, 0x1000, v4
	v_readfirstlane_b32 s4, v18
	s_nop 0
	v_addc_co_u32_e32 v9, vcc, 0, v5, vcc
	v_add_co_u32_e32 v10, vcc, 0x2000, v4
	v_readfirstlane_b32 s5, v19
	s_nop 0
	v_addc_co_u32_e32 v11, vcc, 0, v5, vcc
	v_add_co_u32_e32 v12, vcc, 0x3000, v4
	s_mov_b64 s[8:9], 0
	s_nop 0
	v_addc_co_u32_e32 v13, vcc, 0, v5, vcc
	v_add_co_u32_e32 v14, vcc, 0x4000, v4
	global_load_dwordx2 v[6:7], v2, s[4:5]
	s_nop 0
	v_addc_co_u32_e32 v15, vcc, 0, v5, vcc
	global_load_dwordx2 v[16:17], v[8:9], off
	global_load_dwordx2 v[20:21], v[10:11], off
	;; [unrolled: 1-line block ×4, first 2 shown]
	v_add_co_u32_e32 v8, vcc, 0x5000, v4
	s_nop 1
	v_addc_co_u32_e32 v9, vcc, 0, v5, vcc
	v_add_co_u32_e32 v4, vcc, 0x6000, v4
	global_load_dwordx2 v[8:9], v[8:9], off
	s_nop 0
	v_addc_co_u32_e32 v5, vcc, 0, v5, vcc
	global_load_dwordx2 v[4:5], v[4:5], off
	s_waitcnt vmcnt(5)
	ds_write2st64_b64 v2, v[6:7], v[16:17] offset1:8
	s_waitcnt vmcnt(3)
	ds_write2st64_b64 v2, v[20:21], v[22:23] offset0:16 offset1:24
	s_waitcnt vmcnt(1)
	ds_write2st64_b64 v2, v[24:25], v[8:9] offset0:32 offset1:40
	s_waitcnt vmcnt(0)
	ds_write_b64 v2, v[4:5] offset:24576
	s_waitcnt lgkmcnt(0)
	s_barrier
.LBB346_6:
	s_andn2_b64 vcc, exec, s[8:9]
	s_addk_i32 s52, 0xe00
	s_cbranch_vccnz .LBB346_22
; %bb.7:
	v_cmp_gt_u32_e32 vcc, s52, v0
                                        ; implicit-def: $vgpr2_vgpr3_vgpr4_vgpr5_vgpr6_vgpr7_vgpr8_vgpr9_vgpr10_vgpr11_vgpr12_vgpr13_vgpr14_vgpr15_vgpr16_vgpr17
	s_and_saveexec_b64 s[4:5], vcc
	s_cbranch_execz .LBB346_9
; %bb.8:
	v_lshlrev_b32_e32 v1, 3, v0
	v_readfirstlane_b32 s8, v18
	v_readfirstlane_b32 s9, v19
	s_nop 4
	global_load_dwordx2 v[2:3], v1, s[8:9]
.LBB346_9:
	s_or_b64 exec, exec, s[4:5]
	v_or_b32_e32 v1, 0x200, v0
	v_cmp_gt_u32_e32 vcc, s52, v1
	s_and_saveexec_b64 s[4:5], vcc
	s_cbranch_execz .LBB346_11
; %bb.10:
	v_lshlrev_b32_e32 v1, 3, v1
	v_readfirstlane_b32 s8, v18
	v_readfirstlane_b32 s9, v19
	s_nop 4
	global_load_dwordx2 v[4:5], v1, s[8:9]
.LBB346_11:
	s_or_b64 exec, exec, s[4:5]
	v_or_b32_e32 v1, 0x400, v0
	v_cmp_gt_u32_e32 vcc, s52, v1
	;; [unrolled: 12-line block ×6, first 2 shown]
	s_and_saveexec_b64 s[4:5], vcc
	s_cbranch_execz .LBB346_21
; %bb.20:
	v_lshlrev_b32_e32 v1, 3, v1
	v_readfirstlane_b32 s8, v18
	v_readfirstlane_b32 s9, v19
	s_nop 4
	global_load_dwordx2 v[14:15], v1, s[8:9]
.LBB346_21:
	s_or_b64 exec, exec, s[4:5]
	v_lshlrev_b32_e32 v1, 3, v0
	s_waitcnt vmcnt(0)
	ds_write2st64_b64 v1, v[2:3], v[4:5] offset1:8
	ds_write2st64_b64 v1, v[6:7], v[8:9] offset0:16 offset1:24
	ds_write2st64_b64 v1, v[10:11], v[12:13] offset0:32 offset1:40
	ds_write_b64 v1, v[14:15] offset:24576
	s_waitcnt lgkmcnt(0)
	s_barrier
.LBB346_22:
	v_mul_u32_u24_e32 v1, 7, v0
	v_lshlrev_b32_e32 v30, 3, v1
	ds_read2_b64 v[10:13], v30 offset1:1
	ds_read2_b64 v[6:9], v30 offset0:2 offset1:3
	ds_read2_b64 v[2:5], v30 offset0:4 offset1:5
	ds_read_b64 v[14:15], v30 offset:48
	s_cmp_lg_u32 s33, 0
	s_cselect_b64 s[16:17], -1, 0
	s_cmp_lg_u64 s[6:7], 0
	s_cselect_b64 s[4:5], -1, 0
	s_or_b64 s[4:5], s[4:5], s[16:17]
	v_mad_u32_u24 v25, v0, 7, 1
	v_mad_u32_u24 v24, v0, 7, 2
	;; [unrolled: 1-line block ×6, first 2 shown]
	s_mov_b64 s[8:9], 0
	s_and_b64 vcc, exec, s[4:5]
	v_cmp_gt_i64_e64 s[4:5], s[26:27], 0
	s_waitcnt lgkmcnt(0)
	s_barrier
	s_cbranch_vccz .LBB346_31
; %bb.23:
	global_load_dwordx2 v[16:17], v[18:19], off offset:-8
	v_cndmask_b32_e64 v18, 0, 1, s[4:5]
	v_lshlrev_b32_e32 v31, 3, v0
	s_mov_b64 s[6:7], 0
	s_and_b64 vcc, exec, s[36:37]
	v_cmp_ne_u32_e64 s[4:5], 1, v18
	ds_write_b64 v31, v[14:15]
	s_cbranch_vccz .LBB346_33
; %bb.24:
	v_mul_lo_u32 v20, v5, s26
	v_mul_lo_u32 v21, v4, s27
	v_mad_u64_u32 v[18:19], s[8:9], v4, s26, 0
	v_add3_u32 v19, v19, v21, v20
	s_and_b64 vcc, exec, s[4:5]
	v_lshl_add_u64 v[18:19], s[28:29], 0, v[18:19]
	s_cbranch_vccnz .LBB346_36
; %bb.25:
	v_mov_b64_e32 v[20:21], s[28:29]
	v_mad_u64_u32 v[20:21], s[6:7], v14, s26, v[20:21]
	v_mul_lo_u32 v22, v14, s27
	v_mul_lo_u32 v23, v15, s26
	v_add3_u32 v21, v23, v21, v22
	global_load_ubyte v22, v[18:19], off
	global_load_ubyte v23, v[20:21], off
	s_mov_b64 s[6:7], -1
	s_waitcnt vmcnt(0)
	v_cmp_eq_u16_e32 vcc, v22, v23
	s_and_saveexec_b64 s[8:9], vcc
	s_cbranch_execz .LBB346_35
; %bb.26:
	s_mov_b64 s[12:13], 1
	s_mov_b64 s[6:7], 0
                                        ; implicit-def: $sgpr10_sgpr11
	s_branch .LBB346_29
.LBB346_27:                             ;   in Loop: Header=BB346_29 Depth=1
	v_lshl_add_u64 v[22:23], v[18:19], 0, s[12:13]
	v_lshl_add_u64 v[32:33], v[20:21], 0, s[12:13]
	global_load_ubyte v34, v[22:23], off
	global_load_ubyte v35, v[32:33], off
	s_add_u32 s14, s12, 1
	s_addc_u32 s15, s13, 0
	s_andn2_b64 s[10:11], s[10:11], exec
	s_waitcnt vmcnt(0)
	v_cmp_ne_u16_e32 vcc, v34, v35
	s_and_b64 s[38:39], vcc, exec
	s_or_b64 s[10:11], s[10:11], s[38:39]
.LBB346_28:                             ;   in Loop: Header=BB346_29 Depth=1
	s_and_b64 s[38:39], exec, s[10:11]
	s_or_b64 s[6:7], s[38:39], s[6:7]
	v_mov_b64_e32 v[22:23], s[12:13]
	s_mov_b64 s[12:13], s[14:15]
	s_andn2_b64 exec, exec, s[6:7]
	s_cbranch_execz .LBB346_34
.LBB346_29:                             ; =>This Inner Loop Header: Depth=1
	s_or_b64 s[10:11], s[10:11], exec
	s_cmp_eq_u64 s[26:27], s[12:13]
	s_cbranch_scc0 .LBB346_27
; %bb.30:                               ;   in Loop: Header=BB346_29 Depth=1
                                        ; implicit-def: $sgpr14_sgpr15
	s_mov_b64 s[12:13], s[26:27]
	s_branch .LBB346_28
.LBB346_31:
                                        ; implicit-def: $sgpr12_sgpr13
                                        ; implicit-def: $vgpr34
                                        ; implicit-def: $vgpr33
                                        ; implicit-def: $vgpr32
                                        ; implicit-def: $vgpr20
	s_branch .LBB346_174
.LBB346_32:
                                        ; implicit-def: $vgpr16_vgpr17
	s_branch .LBB346_322
.LBB346_33:
                                        ; implicit-def: $sgpr12_sgpr13
                                        ; implicit-def: $vgpr34
                                        ; implicit-def: $vgpr33
                                        ; implicit-def: $vgpr32
                                        ; implicit-def: $vgpr20
	s_cbranch_execnz .LBB346_93
	s_branch .LBB346_173
.LBB346_34:
	s_or_b64 exec, exec, s[6:7]
	v_cmp_gt_i64_e32 vcc, s[26:27], v[22:23]
	s_orn2_b64 s[6:7], vcc, exec
.LBB346_35:
	s_or_b64 exec, exec, s[8:9]
.LBB346_36:
	v_mul_lo_u32 v22, v3, s26
	v_mul_lo_u32 v23, v2, s27
	v_mad_u64_u32 v[20:21], s[8:9], v2, s26, 0
	v_add3_u32 v21, v21, v23, v22
	s_mov_b64 s[8:9], 0
	s_and_b64 vcc, exec, s[4:5]
	v_lshl_add_u64 v[20:21], s[28:29], 0, v[20:21]
	s_mov_b64 s[10:11], 0
	s_cbranch_vccnz .LBB346_45
; %bb.37:
	global_load_ubyte v22, v[20:21], off
	global_load_ubyte v23, v[18:19], off
	s_mov_b64 s[10:11], -1
	s_waitcnt vmcnt(0)
	v_cmp_eq_u16_e32 vcc, v22, v23
	s_and_saveexec_b64 s[12:13], vcc
	s_cbranch_execz .LBB346_44
; %bb.38:
	s_mov_b64 s[38:39], 1
	s_mov_b64 s[10:11], 0
                                        ; implicit-def: $sgpr14_sgpr15
	s_branch .LBB346_41
.LBB346_39:                             ;   in Loop: Header=BB346_41 Depth=1
	v_lshl_add_u64 v[22:23], v[20:21], 0, s[38:39]
	v_lshl_add_u64 v[32:33], v[18:19], 0, s[38:39]
	global_load_ubyte v34, v[22:23], off
	global_load_ubyte v35, v[32:33], off
	s_add_u32 s40, s38, 1
	s_addc_u32 s41, s39, 0
	s_andn2_b64 s[14:15], s[14:15], exec
	s_waitcnt vmcnt(0)
	v_cmp_ne_u16_e32 vcc, v34, v35
	s_and_b64 s[42:43], vcc, exec
	s_or_b64 s[14:15], s[14:15], s[42:43]
.LBB346_40:                             ;   in Loop: Header=BB346_41 Depth=1
	s_and_b64 s[42:43], exec, s[14:15]
	s_or_b64 s[10:11], s[42:43], s[10:11]
	v_mov_b64_e32 v[22:23], s[38:39]
	s_mov_b64 s[38:39], s[40:41]
	s_andn2_b64 exec, exec, s[10:11]
	s_cbranch_execz .LBB346_43
.LBB346_41:                             ; =>This Inner Loop Header: Depth=1
	s_or_b64 s[14:15], s[14:15], exec
	s_cmp_eq_u64 s[26:27], s[38:39]
	s_cbranch_scc0 .LBB346_39
; %bb.42:                               ;   in Loop: Header=BB346_41 Depth=1
                                        ; implicit-def: $sgpr40_sgpr41
	s_mov_b64 s[38:39], s[26:27]
	s_branch .LBB346_40
.LBB346_43:
	s_or_b64 exec, exec, s[10:11]
	v_cmp_gt_i64_e32 vcc, s[26:27], v[22:23]
	s_orn2_b64 s[10:11], vcc, exec
.LBB346_44:
	s_or_b64 exec, exec, s[12:13]
.LBB346_45:
	v_mul_lo_u32 v22, v9, s26
	v_mul_lo_u32 v23, v8, s27
	v_mad_u64_u32 v[18:19], s[12:13], v8, s26, 0
	v_add3_u32 v19, v19, v23, v22
	s_and_b64 vcc, exec, s[4:5]
	v_lshl_add_u64 v[18:19], s[28:29], 0, v[18:19]
	s_cbranch_vccnz .LBB346_54
; %bb.46:
	global_load_ubyte v22, v[18:19], off
	global_load_ubyte v23, v[20:21], off
	s_mov_b64 s[8:9], -1
	s_waitcnt vmcnt(0)
	v_cmp_eq_u16_e32 vcc, v22, v23
	s_and_saveexec_b64 s[12:13], vcc
	s_cbranch_execz .LBB346_53
; %bb.47:
	s_mov_b64 s[38:39], 1
	s_mov_b64 s[8:9], 0
                                        ; implicit-def: $sgpr14_sgpr15
	s_branch .LBB346_50
.LBB346_48:                             ;   in Loop: Header=BB346_50 Depth=1
	v_lshl_add_u64 v[22:23], v[18:19], 0, s[38:39]
	v_lshl_add_u64 v[32:33], v[20:21], 0, s[38:39]
	global_load_ubyte v34, v[22:23], off
	global_load_ubyte v35, v[32:33], off
	s_add_u32 s40, s38, 1
	s_addc_u32 s41, s39, 0
	s_andn2_b64 s[14:15], s[14:15], exec
	s_waitcnt vmcnt(0)
	v_cmp_ne_u16_e32 vcc, v34, v35
	s_and_b64 s[42:43], vcc, exec
	s_or_b64 s[14:15], s[14:15], s[42:43]
.LBB346_49:                             ;   in Loop: Header=BB346_50 Depth=1
	s_and_b64 s[42:43], exec, s[14:15]
	s_or_b64 s[8:9], s[42:43], s[8:9]
	v_mov_b64_e32 v[22:23], s[38:39]
	s_mov_b64 s[38:39], s[40:41]
	s_andn2_b64 exec, exec, s[8:9]
	s_cbranch_execz .LBB346_52
.LBB346_50:                             ; =>This Inner Loop Header: Depth=1
	s_or_b64 s[14:15], s[14:15], exec
	s_cmp_eq_u64 s[26:27], s[38:39]
	s_cbranch_scc0 .LBB346_48
; %bb.51:                               ;   in Loop: Header=BB346_50 Depth=1
                                        ; implicit-def: $sgpr40_sgpr41
	s_mov_b64 s[38:39], s[26:27]
	s_branch .LBB346_49
.LBB346_52:
	s_or_b64 exec, exec, s[8:9]
	v_cmp_gt_i64_e32 vcc, s[26:27], v[22:23]
	s_orn2_b64 s[8:9], vcc, exec
.LBB346_53:
	s_or_b64 exec, exec, s[12:13]
.LBB346_54:
	v_mul_lo_u32 v22, v7, s26
	v_mul_lo_u32 v23, v6, s27
	v_mad_u64_u32 v[20:21], s[12:13], v6, s26, 0
	v_add3_u32 v21, v21, v23, v22
	s_mov_b64 s[12:13], 0
	s_and_b64 vcc, exec, s[4:5]
	v_lshl_add_u64 v[22:23], s[28:29], 0, v[20:21]
	s_mov_b64 s[14:15], 0
	s_cbranch_vccnz .LBB346_63
; %bb.55:
	global_load_ubyte v20, v[22:23], off
	global_load_ubyte v21, v[18:19], off
	s_mov_b64 s[14:15], -1
	s_waitcnt vmcnt(0)
	v_cmp_eq_u16_e32 vcc, v20, v21
	s_and_saveexec_b64 s[38:39], vcc
	s_cbranch_execz .LBB346_62
; %bb.56:
	s_mov_b64 s[42:43], 1
	s_mov_b64 s[14:15], 0
                                        ; implicit-def: $sgpr40_sgpr41
	s_branch .LBB346_59
.LBB346_57:                             ;   in Loop: Header=BB346_59 Depth=1
	v_lshl_add_u64 v[20:21], v[22:23], 0, s[42:43]
	v_lshl_add_u64 v[32:33], v[18:19], 0, s[42:43]
	global_load_ubyte v34, v[20:21], off
	global_load_ubyte v35, v[32:33], off
	s_add_u32 s44, s42, 1
	s_addc_u32 s45, s43, 0
	s_andn2_b64 s[40:41], s[40:41], exec
	s_waitcnt vmcnt(0)
	v_cmp_ne_u16_e32 vcc, v34, v35
	s_and_b64 s[46:47], vcc, exec
	s_or_b64 s[40:41], s[40:41], s[46:47]
.LBB346_58:                             ;   in Loop: Header=BB346_59 Depth=1
	s_and_b64 s[46:47], exec, s[40:41]
	s_or_b64 s[14:15], s[46:47], s[14:15]
	v_mov_b64_e32 v[20:21], s[42:43]
	s_mov_b64 s[42:43], s[44:45]
	s_andn2_b64 exec, exec, s[14:15]
	s_cbranch_execz .LBB346_61
.LBB346_59:                             ; =>This Inner Loop Header: Depth=1
	s_or_b64 s[40:41], s[40:41], exec
	s_cmp_eq_u64 s[26:27], s[42:43]
	s_cbranch_scc0 .LBB346_57
; %bb.60:                               ;   in Loop: Header=BB346_59 Depth=1
                                        ; implicit-def: $sgpr44_sgpr45
	s_mov_b64 s[42:43], s[26:27]
	s_branch .LBB346_58
.LBB346_61:
	s_or_b64 exec, exec, s[14:15]
	v_cmp_gt_i64_e32 vcc, s[26:27], v[20:21]
	s_orn2_b64 s[14:15], vcc, exec
.LBB346_62:
	s_or_b64 exec, exec, s[38:39]
.LBB346_63:
	v_mul_lo_u32 v20, v13, s26
	v_mul_lo_u32 v21, v12, s27
	v_mad_u64_u32 v[18:19], s[38:39], v12, s26, 0
	v_add3_u32 v19, v19, v21, v20
	s_and_b64 vcc, exec, s[4:5]
	v_lshl_add_u64 v[20:21], s[28:29], 0, v[18:19]
	s_cbranch_vccnz .LBB346_72
; %bb.64:
	global_load_ubyte v18, v[20:21], off
	global_load_ubyte v19, v[22:23], off
	s_mov_b64 s[12:13], -1
	s_waitcnt vmcnt(0)
	v_cmp_eq_u16_e32 vcc, v18, v19
	s_and_saveexec_b64 s[38:39], vcc
	s_cbranch_execz .LBB346_71
; %bb.65:
	s_mov_b64 s[42:43], 1
	s_mov_b64 s[12:13], 0
                                        ; implicit-def: $sgpr40_sgpr41
	s_branch .LBB346_68
.LBB346_66:                             ;   in Loop: Header=BB346_68 Depth=1
	v_lshl_add_u64 v[18:19], v[20:21], 0, s[42:43]
	v_lshl_add_u64 v[32:33], v[22:23], 0, s[42:43]
	global_load_ubyte v34, v[18:19], off
	global_load_ubyte v35, v[32:33], off
	s_add_u32 s44, s42, 1
	s_addc_u32 s45, s43, 0
	s_andn2_b64 s[40:41], s[40:41], exec
	s_waitcnt vmcnt(0)
	v_cmp_ne_u16_e32 vcc, v34, v35
	s_and_b64 s[46:47], vcc, exec
	s_or_b64 s[40:41], s[40:41], s[46:47]
.LBB346_67:                             ;   in Loop: Header=BB346_68 Depth=1
	s_and_b64 s[46:47], exec, s[40:41]
	s_or_b64 s[12:13], s[46:47], s[12:13]
	v_mov_b64_e32 v[18:19], s[42:43]
	s_mov_b64 s[42:43], s[44:45]
	s_andn2_b64 exec, exec, s[12:13]
	s_cbranch_execz .LBB346_70
.LBB346_68:                             ; =>This Inner Loop Header: Depth=1
	s_or_b64 s[40:41], s[40:41], exec
	s_cmp_eq_u64 s[26:27], s[42:43]
	s_cbranch_scc0 .LBB346_66
; %bb.69:                               ;   in Loop: Header=BB346_68 Depth=1
                                        ; implicit-def: $sgpr44_sgpr45
	s_mov_b64 s[42:43], s[26:27]
	s_branch .LBB346_67
.LBB346_70:
	s_or_b64 exec, exec, s[12:13]
	v_cmp_gt_i64_e32 vcc, s[26:27], v[18:19]
	s_orn2_b64 s[12:13], vcc, exec
.LBB346_71:
	s_or_b64 exec, exec, s[38:39]
.LBB346_72:
	v_mul_lo_u32 v22, v11, s26
	v_mul_lo_u32 v23, v10, s27
	v_mad_u64_u32 v[18:19], s[38:39], v10, s26, 0
	v_add3_u32 v19, v19, v23, v22
	s_mov_b64 s[40:41], 0
	s_and_b64 vcc, exec, s[4:5]
	v_lshl_add_u64 v[18:19], s[28:29], 0, v[18:19]
	s_cbranch_vccnz .LBB346_81
; %bb.73:
	global_load_ubyte v22, v[18:19], off
	global_load_ubyte v23, v[20:21], off
	s_mov_b64 s[40:41], -1
	s_waitcnt vmcnt(0)
	v_cmp_eq_u16_e32 vcc, v22, v23
	s_and_saveexec_b64 s[38:39], vcc
	s_cbranch_execz .LBB346_80
; %bb.74:
	s_mov_b64 s[44:45], 1
	s_mov_b64 s[40:41], 0
                                        ; implicit-def: $sgpr42_sgpr43
	s_branch .LBB346_77
.LBB346_75:                             ;   in Loop: Header=BB346_77 Depth=1
	v_lshl_add_u64 v[22:23], v[18:19], 0, s[44:45]
	v_lshl_add_u64 v[32:33], v[20:21], 0, s[44:45]
	global_load_ubyte v34, v[22:23], off
	global_load_ubyte v35, v[32:33], off
	s_add_u32 s46, s44, 1
	s_addc_u32 s47, s45, 0
	s_andn2_b64 s[42:43], s[42:43], exec
	s_waitcnt vmcnt(0)
	v_cmp_ne_u16_e32 vcc, v34, v35
	s_and_b64 s[48:49], vcc, exec
	s_or_b64 s[42:43], s[42:43], s[48:49]
.LBB346_76:                             ;   in Loop: Header=BB346_77 Depth=1
	s_and_b64 s[48:49], exec, s[42:43]
	s_or_b64 s[40:41], s[48:49], s[40:41]
	v_mov_b64_e32 v[22:23], s[44:45]
	s_mov_b64 s[44:45], s[46:47]
	s_andn2_b64 exec, exec, s[40:41]
	s_cbranch_execz .LBB346_79
.LBB346_77:                             ; =>This Inner Loop Header: Depth=1
	s_or_b64 s[42:43], s[42:43], exec
	s_cmp_eq_u64 s[26:27], s[44:45]
	s_cbranch_scc0 .LBB346_75
; %bb.78:                               ;   in Loop: Header=BB346_77 Depth=1
                                        ; implicit-def: $sgpr46_sgpr47
	s_mov_b64 s[44:45], s[26:27]
	s_branch .LBB346_76
.LBB346_79:
	s_or_b64 exec, exec, s[40:41]
	v_cmp_gt_i64_e32 vcc, s[26:27], v[22:23]
	s_orn2_b64 s[40:41], vcc, exec
.LBB346_80:
	s_or_b64 exec, exec, s[38:39]
.LBB346_81:
	s_waitcnt vmcnt(0)
	v_mov_b64_e32 v[22:23], v[16:17]
	s_waitcnt lgkmcnt(0)
	s_barrier
	s_and_saveexec_b64 s[38:39], s[2:3]
	s_cbranch_execz .LBB346_83
; %bb.82:
	v_add_u32_e32 v20, -8, v31
	ds_read_b64 v[22:23], v20
.LBB346_83:
	s_or_b64 exec, exec, s[38:39]
	v_cndmask_b32_e64 v21, 0, 1, s[14:15]
	v_cndmask_b32_e64 v20, 0, 1, s[12:13]
	;; [unrolled: 1-line block ×3, first 2 shown]
	v_lshlrev_b16_e32 v21, 8, v21
	v_lshlrev_b16_e32 v35, 8, v32
	v_or_b32_sdwa v36, v20, v21 dst_sel:WORD_1 dst_unused:UNUSED_PAD src0_sel:DWORD src1_sel:DWORD
	s_mov_b64 s[14:15], 0
	s_and_b64 vcc, exec, s[4:5]
	s_mov_b64 s[12:13], 0
	s_cbranch_vccnz .LBB346_92
; %bb.84:
	v_mov_b64_e32 v[20:21], s[28:29]
	s_waitcnt lgkmcnt(0)
	v_mad_u64_u32 v[20:21], s[12:13], v22, s26, v[20:21]
	v_mul_lo_u32 v22, v22, s27
	v_mul_lo_u32 v23, v23, s26
	v_add3_u32 v21, v23, v21, v22
	global_load_ubyte v22, v[20:21], off
	global_load_ubyte v23, v[18:19], off
	s_mov_b64 s[12:13], -1
	s_waitcnt vmcnt(0)
	v_cmp_eq_u16_e32 vcc, v22, v23
	s_and_saveexec_b64 s[38:39], vcc
	s_cbranch_execz .LBB346_91
; %bb.85:
	s_mov_b64 s[42:43], 1
	s_mov_b64 s[12:13], 0
                                        ; implicit-def: $sgpr40_sgpr41
	s_branch .LBB346_88
.LBB346_86:                             ;   in Loop: Header=BB346_88 Depth=1
	v_lshl_add_u64 v[22:23], v[20:21], 0, s[42:43]
	v_lshl_add_u64 v[32:33], v[18:19], 0, s[42:43]
	global_load_ubyte v34, v[22:23], off
	global_load_ubyte v37, v[32:33], off
	s_add_u32 s44, s42, 1
	s_addc_u32 s45, s43, 0
	s_andn2_b64 s[40:41], s[40:41], exec
	s_waitcnt vmcnt(0)
	v_cmp_ne_u16_e32 vcc, v34, v37
	s_and_b64 s[46:47], vcc, exec
	s_or_b64 s[40:41], s[40:41], s[46:47]
.LBB346_87:                             ;   in Loop: Header=BB346_88 Depth=1
	s_and_b64 s[46:47], exec, s[40:41]
	s_or_b64 s[12:13], s[46:47], s[12:13]
	v_mov_b64_e32 v[22:23], s[42:43]
	s_mov_b64 s[42:43], s[44:45]
	s_andn2_b64 exec, exec, s[12:13]
	s_cbranch_execz .LBB346_90
.LBB346_88:                             ; =>This Inner Loop Header: Depth=1
	s_or_b64 s[40:41], s[40:41], exec
	s_cmp_eq_u64 s[26:27], s[42:43]
	s_cbranch_scc0 .LBB346_86
; %bb.89:                               ;   in Loop: Header=BB346_88 Depth=1
                                        ; implicit-def: $sgpr44_sgpr45
	s_mov_b64 s[42:43], s[26:27]
	s_branch .LBB346_87
.LBB346_90:
	s_or_b64 exec, exec, s[12:13]
	v_cmp_gt_i64_e32 vcc, s[26:27], v[22:23]
	s_orn2_b64 s[12:13], vcc, exec
.LBB346_91:
	s_or_b64 exec, exec, s[38:39]
.LBB346_92:
	v_cndmask_b32_e64 v32, 0, 1, s[8:9]
	v_cndmask_b32_e64 v33, 0, 1, s[10:11]
	v_cndmask_b32_e64 v34, 0, 1, s[6:7]
	v_or_b32_e32 v20, v35, v36
	s_and_b64 vcc, exec, s[14:15]
	s_cbranch_vccz .LBB346_173
.LBB346_93:
	v_cmp_gt_u32_e32 vcc, s52, v27
	s_mov_b64 s[8:9], 0
	s_mov_b64 s[6:7], 0
	s_and_saveexec_b64 s[10:11], vcc
	s_cbranch_execz .LBB346_104
; %bb.94:
	s_and_b64 vcc, exec, s[4:5]
	s_mov_b64 s[12:13], 0
	s_cbranch_vccnz .LBB346_103
; %bb.95:
	v_mov_b64_e32 v[20:21], s[28:29]
	v_mad_u64_u32 v[18:19], s[6:7], v4, s26, v[20:21]
	s_waitcnt lgkmcnt(0)
	v_mul_lo_u32 v22, v4, s27
	v_mul_lo_u32 v23, v5, s26
	v_add3_u32 v19, v23, v19, v22
	v_mad_u64_u32 v[20:21], s[6:7], v14, s26, v[20:21]
	v_mul_lo_u32 v22, v14, s27
	v_mul_lo_u32 v23, v15, s26
	v_add3_u32 v21, v23, v21, v22
	global_load_ubyte v22, v[18:19], off
	global_load_ubyte v23, v[20:21], off
	s_mov_b64 s[12:13], -1
	s_waitcnt vmcnt(0)
	v_cmp_eq_u16_e32 vcc, v22, v23
	s_and_saveexec_b64 s[6:7], vcc
	s_cbranch_execz .LBB346_102
; %bb.96:
	s_mov_b64 s[38:39], 1
	s_mov_b64 s[12:13], 0
                                        ; implicit-def: $sgpr14_sgpr15
	s_branch .LBB346_99
.LBB346_97:                             ;   in Loop: Header=BB346_99 Depth=1
	v_lshl_add_u64 v[22:23], v[18:19], 0, s[38:39]
	v_lshl_add_u64 v[32:33], v[20:21], 0, s[38:39]
	global_load_ubyte v34, v[22:23], off
	global_load_ubyte v35, v[32:33], off
	s_add_u32 s40, s38, 1
	s_addc_u32 s41, s39, 0
	s_andn2_b64 s[14:15], s[14:15], exec
	s_waitcnt vmcnt(0)
	v_cmp_ne_u16_e32 vcc, v34, v35
	s_and_b64 s[42:43], vcc, exec
	s_or_b64 s[14:15], s[14:15], s[42:43]
.LBB346_98:                             ;   in Loop: Header=BB346_99 Depth=1
	s_and_b64 s[42:43], exec, s[14:15]
	s_or_b64 s[12:13], s[42:43], s[12:13]
	v_mov_b64_e32 v[22:23], s[38:39]
	s_mov_b64 s[38:39], s[40:41]
	s_andn2_b64 exec, exec, s[12:13]
	s_cbranch_execz .LBB346_101
.LBB346_99:                             ; =>This Inner Loop Header: Depth=1
	s_or_b64 s[14:15], s[14:15], exec
	s_cmp_eq_u64 s[26:27], s[38:39]
	s_cbranch_scc0 .LBB346_97
; %bb.100:                              ;   in Loop: Header=BB346_99 Depth=1
                                        ; implicit-def: $sgpr40_sgpr41
	s_mov_b64 s[38:39], s[26:27]
	s_branch .LBB346_98
.LBB346_101:
	s_or_b64 exec, exec, s[12:13]
	v_cmp_gt_i64_e32 vcc, s[26:27], v[22:23]
	s_orn2_b64 s[12:13], vcc, exec
.LBB346_102:
	s_or_b64 exec, exec, s[6:7]
.LBB346_103:
	s_and_b64 s[6:7], s[12:13], exec
.LBB346_104:
	s_or_b64 exec, exec, s[10:11]
	v_cmp_gt_u32_e32 vcc, s52, v29
	s_and_saveexec_b64 s[10:11], vcc
	s_cbranch_execz .LBB346_115
; %bb.105:
	s_and_b64 vcc, exec, s[4:5]
	s_mov_b64 s[12:13], 0
	s_cbranch_vccnz .LBB346_114
; %bb.106:
	v_mov_b64_e32 v[20:21], s[28:29]
	v_mad_u64_u32 v[18:19], s[8:9], v2, s26, v[20:21]
	s_waitcnt lgkmcnt(0)
	v_mul_lo_u32 v22, v2, s27
	v_mul_lo_u32 v23, v3, s26
	v_add3_u32 v19, v23, v19, v22
	v_mad_u64_u32 v[20:21], s[8:9], v4, s26, v[20:21]
	v_mul_lo_u32 v22, v4, s27
	v_mul_lo_u32 v23, v5, s26
	v_add3_u32 v21, v23, v21, v22
	global_load_ubyte v22, v[18:19], off
	global_load_ubyte v23, v[20:21], off
	s_mov_b64 s[12:13], -1
	s_waitcnt vmcnt(0)
	v_cmp_eq_u16_e32 vcc, v22, v23
	s_and_saveexec_b64 s[8:9], vcc
	s_cbranch_execz .LBB346_113
; %bb.107:
	s_mov_b64 s[38:39], 1
	s_mov_b64 s[12:13], 0
                                        ; implicit-def: $sgpr14_sgpr15
	s_branch .LBB346_110
.LBB346_108:                            ;   in Loop: Header=BB346_110 Depth=1
	v_lshl_add_u64 v[22:23], v[18:19], 0, s[38:39]
	v_lshl_add_u64 v[32:33], v[20:21], 0, s[38:39]
	global_load_ubyte v34, v[22:23], off
	global_load_ubyte v35, v[32:33], off
	s_add_u32 s40, s38, 1
	s_addc_u32 s41, s39, 0
	s_andn2_b64 s[14:15], s[14:15], exec
	s_waitcnt vmcnt(0)
	v_cmp_ne_u16_e32 vcc, v34, v35
	s_and_b64 s[42:43], vcc, exec
	s_or_b64 s[14:15], s[14:15], s[42:43]
.LBB346_109:                            ;   in Loop: Header=BB346_110 Depth=1
	s_and_b64 s[42:43], exec, s[14:15]
	s_or_b64 s[12:13], s[42:43], s[12:13]
	v_mov_b64_e32 v[22:23], s[38:39]
	s_mov_b64 s[38:39], s[40:41]
	s_andn2_b64 exec, exec, s[12:13]
	s_cbranch_execz .LBB346_112
.LBB346_110:                            ; =>This Inner Loop Header: Depth=1
	s_or_b64 s[14:15], s[14:15], exec
	s_cmp_eq_u64 s[26:27], s[38:39]
	s_cbranch_scc0 .LBB346_108
; %bb.111:                              ;   in Loop: Header=BB346_110 Depth=1
                                        ; implicit-def: $sgpr40_sgpr41
	s_mov_b64 s[38:39], s[26:27]
	s_branch .LBB346_109
.LBB346_112:
	s_or_b64 exec, exec, s[12:13]
	v_cmp_gt_i64_e32 vcc, s[26:27], v[22:23]
	s_orn2_b64 s[12:13], vcc, exec
.LBB346_113:
	s_or_b64 exec, exec, s[8:9]
.LBB346_114:
	s_and_b64 s[8:9], s[12:13], exec
.LBB346_115:
	s_or_b64 exec, exec, s[10:11]
	v_cmp_gt_u32_e32 vcc, s52, v26
	s_mov_b64 s[12:13], 0
	s_mov_b64 s[10:11], 0
	s_and_saveexec_b64 s[14:15], vcc
	s_cbranch_execz .LBB346_126
; %bb.116:
	s_and_b64 vcc, exec, s[4:5]
	s_mov_b64 s[38:39], 0
	s_cbranch_vccnz .LBB346_125
; %bb.117:
	v_mov_b64_e32 v[20:21], s[28:29]
	v_mad_u64_u32 v[18:19], s[10:11], v8, s26, v[20:21]
	s_waitcnt lgkmcnt(0)
	v_mul_lo_u32 v22, v8, s27
	v_mul_lo_u32 v23, v9, s26
	v_add3_u32 v19, v23, v19, v22
	v_mad_u64_u32 v[20:21], s[10:11], v2, s26, v[20:21]
	v_mul_lo_u32 v22, v2, s27
	v_mul_lo_u32 v23, v3, s26
	v_add3_u32 v21, v23, v21, v22
	global_load_ubyte v22, v[18:19], off
	global_load_ubyte v23, v[20:21], off
	s_mov_b64 s[38:39], -1
	s_waitcnt vmcnt(0)
	v_cmp_eq_u16_e32 vcc, v22, v23
	s_and_saveexec_b64 s[10:11], vcc
	s_cbranch_execz .LBB346_124
; %bb.118:
	s_mov_b64 s[42:43], 1
	s_mov_b64 s[38:39], 0
                                        ; implicit-def: $sgpr40_sgpr41
	s_branch .LBB346_121
.LBB346_119:                            ;   in Loop: Header=BB346_121 Depth=1
	v_lshl_add_u64 v[22:23], v[18:19], 0, s[42:43]
	v_lshl_add_u64 v[32:33], v[20:21], 0, s[42:43]
	global_load_ubyte v34, v[22:23], off
	global_load_ubyte v35, v[32:33], off
	s_add_u32 s44, s42, 1
	s_addc_u32 s45, s43, 0
	s_andn2_b64 s[40:41], s[40:41], exec
	s_waitcnt vmcnt(0)
	v_cmp_ne_u16_e32 vcc, v34, v35
	s_and_b64 s[46:47], vcc, exec
	s_or_b64 s[40:41], s[40:41], s[46:47]
.LBB346_120:                            ;   in Loop: Header=BB346_121 Depth=1
	s_and_b64 s[46:47], exec, s[40:41]
	s_or_b64 s[38:39], s[46:47], s[38:39]
	v_mov_b64_e32 v[22:23], s[42:43]
	s_mov_b64 s[42:43], s[44:45]
	s_andn2_b64 exec, exec, s[38:39]
	s_cbranch_execz .LBB346_123
.LBB346_121:                            ; =>This Inner Loop Header: Depth=1
	s_or_b64 s[40:41], s[40:41], exec
	s_cmp_eq_u64 s[26:27], s[42:43]
	s_cbranch_scc0 .LBB346_119
; %bb.122:                              ;   in Loop: Header=BB346_121 Depth=1
                                        ; implicit-def: $sgpr44_sgpr45
	s_mov_b64 s[42:43], s[26:27]
	s_branch .LBB346_120
.LBB346_123:
	s_or_b64 exec, exec, s[38:39]
	v_cmp_gt_i64_e32 vcc, s[26:27], v[22:23]
	s_orn2_b64 s[38:39], vcc, exec
.LBB346_124:
	s_or_b64 exec, exec, s[10:11]
.LBB346_125:
	s_and_b64 s[10:11], s[38:39], exec
.LBB346_126:
	s_or_b64 exec, exec, s[14:15]
	v_cmp_gt_u32_e32 vcc, s52, v28
	s_and_saveexec_b64 s[14:15], vcc
	s_cbranch_execz .LBB346_137
; %bb.127:
	s_and_b64 vcc, exec, s[4:5]
	s_mov_b64 s[38:39], 0
	s_cbranch_vccnz .LBB346_136
; %bb.128:
	v_mov_b64_e32 v[20:21], s[28:29]
	v_mad_u64_u32 v[18:19], s[12:13], v6, s26, v[20:21]
	s_waitcnt lgkmcnt(0)
	v_mul_lo_u32 v22, v6, s27
	v_mul_lo_u32 v23, v7, s26
	v_add3_u32 v19, v23, v19, v22
	v_mad_u64_u32 v[20:21], s[12:13], v8, s26, v[20:21]
	v_mul_lo_u32 v22, v8, s27
	v_mul_lo_u32 v23, v9, s26
	v_add3_u32 v21, v23, v21, v22
	global_load_ubyte v22, v[18:19], off
	global_load_ubyte v23, v[20:21], off
	s_mov_b64 s[38:39], -1
	s_waitcnt vmcnt(0)
	v_cmp_eq_u16_e32 vcc, v22, v23
	s_and_saveexec_b64 s[12:13], vcc
	s_cbranch_execz .LBB346_135
; %bb.129:
	s_mov_b64 s[42:43], 1
	s_mov_b64 s[38:39], 0
                                        ; implicit-def: $sgpr40_sgpr41
	s_branch .LBB346_132
.LBB346_130:                            ;   in Loop: Header=BB346_132 Depth=1
	v_lshl_add_u64 v[22:23], v[18:19], 0, s[42:43]
	v_lshl_add_u64 v[32:33], v[20:21], 0, s[42:43]
	global_load_ubyte v34, v[22:23], off
	global_load_ubyte v35, v[32:33], off
	s_add_u32 s44, s42, 1
	s_addc_u32 s45, s43, 0
	s_andn2_b64 s[40:41], s[40:41], exec
	s_waitcnt vmcnt(0)
	v_cmp_ne_u16_e32 vcc, v34, v35
	s_and_b64 s[46:47], vcc, exec
	s_or_b64 s[40:41], s[40:41], s[46:47]
.LBB346_131:                            ;   in Loop: Header=BB346_132 Depth=1
	s_and_b64 s[46:47], exec, s[40:41]
	s_or_b64 s[38:39], s[46:47], s[38:39]
	v_mov_b64_e32 v[22:23], s[42:43]
	s_mov_b64 s[42:43], s[44:45]
	s_andn2_b64 exec, exec, s[38:39]
	s_cbranch_execz .LBB346_134
.LBB346_132:                            ; =>This Inner Loop Header: Depth=1
	s_or_b64 s[40:41], s[40:41], exec
	s_cmp_eq_u64 s[26:27], s[42:43]
	s_cbranch_scc0 .LBB346_130
; %bb.133:                              ;   in Loop: Header=BB346_132 Depth=1
                                        ; implicit-def: $sgpr44_sgpr45
	s_mov_b64 s[42:43], s[26:27]
	s_branch .LBB346_131
.LBB346_134:
	s_or_b64 exec, exec, s[38:39]
	v_cmp_gt_i64_e32 vcc, s[26:27], v[22:23]
	s_orn2_b64 s[38:39], vcc, exec
.LBB346_135:
	s_or_b64 exec, exec, s[12:13]
.LBB346_136:
	s_and_b64 s[12:13], s[38:39], exec
.LBB346_137:
	s_or_b64 exec, exec, s[14:15]
	v_cmp_gt_u32_e32 vcc, s52, v24
	s_mov_b64 s[14:15], 0
	s_mov_b64 s[38:39], 0
	s_and_saveexec_b64 s[40:41], vcc
	s_cbranch_execz .LBB346_148
; %bb.138:
	s_and_b64 vcc, exec, s[4:5]
	s_mov_b64 s[42:43], 0
	s_cbranch_vccnz .LBB346_147
; %bb.139:
	v_mov_b64_e32 v[20:21], s[28:29]
	v_mad_u64_u32 v[18:19], s[38:39], v12, s26, v[20:21]
	s_waitcnt lgkmcnt(0)
	v_mul_lo_u32 v22, v12, s27
	v_mul_lo_u32 v23, v13, s26
	v_add3_u32 v19, v23, v19, v22
	v_mad_u64_u32 v[20:21], s[38:39], v6, s26, v[20:21]
	v_mul_lo_u32 v22, v6, s27
	v_mul_lo_u32 v23, v7, s26
	v_add3_u32 v21, v23, v21, v22
	global_load_ubyte v22, v[18:19], off
	global_load_ubyte v23, v[20:21], off
	s_mov_b64 s[42:43], -1
	s_waitcnt vmcnt(0)
	v_cmp_eq_u16_e32 vcc, v22, v23
	s_and_saveexec_b64 s[38:39], vcc
	s_cbranch_execz .LBB346_146
; %bb.140:
	s_mov_b64 s[46:47], 1
	s_mov_b64 s[42:43], 0
                                        ; implicit-def: $sgpr44_sgpr45
	s_branch .LBB346_143
.LBB346_141:                            ;   in Loop: Header=BB346_143 Depth=1
	v_lshl_add_u64 v[22:23], v[18:19], 0, s[46:47]
	v_lshl_add_u64 v[32:33], v[20:21], 0, s[46:47]
	global_load_ubyte v34, v[22:23], off
	global_load_ubyte v35, v[32:33], off
	s_add_u32 s48, s46, 1
	s_addc_u32 s49, s47, 0
	s_andn2_b64 s[44:45], s[44:45], exec
	s_waitcnt vmcnt(0)
	v_cmp_ne_u16_e32 vcc, v34, v35
	s_and_b64 s[50:51], vcc, exec
	s_or_b64 s[44:45], s[44:45], s[50:51]
.LBB346_142:                            ;   in Loop: Header=BB346_143 Depth=1
	s_and_b64 s[50:51], exec, s[44:45]
	s_or_b64 s[42:43], s[50:51], s[42:43]
	v_mov_b64_e32 v[22:23], s[46:47]
	s_mov_b64 s[46:47], s[48:49]
	s_andn2_b64 exec, exec, s[42:43]
	s_cbranch_execz .LBB346_145
.LBB346_143:                            ; =>This Inner Loop Header: Depth=1
	s_or_b64 s[44:45], s[44:45], exec
	s_cmp_eq_u64 s[26:27], s[46:47]
	s_cbranch_scc0 .LBB346_141
; %bb.144:                              ;   in Loop: Header=BB346_143 Depth=1
                                        ; implicit-def: $sgpr48_sgpr49
	s_mov_b64 s[46:47], s[26:27]
	s_branch .LBB346_142
.LBB346_145:
	s_or_b64 exec, exec, s[42:43]
	v_cmp_gt_i64_e32 vcc, s[26:27], v[22:23]
	s_orn2_b64 s[42:43], vcc, exec
.LBB346_146:
	s_or_b64 exec, exec, s[38:39]
.LBB346_147:
	s_and_b64 s[38:39], s[42:43], exec
.LBB346_148:
	s_or_b64 exec, exec, s[40:41]
	v_cmp_gt_u32_e32 vcc, s52, v25
	s_and_saveexec_b64 s[40:41], vcc
	s_cbranch_execz .LBB346_159
; %bb.149:
	s_and_b64 vcc, exec, s[4:5]
	s_mov_b64 s[42:43], 0
	s_cbranch_vccnz .LBB346_158
; %bb.150:
	v_mov_b64_e32 v[20:21], s[28:29]
	v_mad_u64_u32 v[18:19], s[14:15], v10, s26, v[20:21]
	s_waitcnt lgkmcnt(0)
	v_mul_lo_u32 v22, v10, s27
	v_mul_lo_u32 v23, v11, s26
	v_add3_u32 v19, v23, v19, v22
	v_mad_u64_u32 v[20:21], s[14:15], v12, s26, v[20:21]
	v_mul_lo_u32 v22, v12, s27
	v_mul_lo_u32 v23, v13, s26
	v_add3_u32 v21, v23, v21, v22
	global_load_ubyte v22, v[18:19], off
	global_load_ubyte v23, v[20:21], off
	s_mov_b64 s[42:43], -1
	s_waitcnt vmcnt(0)
	v_cmp_eq_u16_e32 vcc, v22, v23
	s_and_saveexec_b64 s[14:15], vcc
	s_cbranch_execz .LBB346_157
; %bb.151:
	s_mov_b64 s[46:47], 1
	s_mov_b64 s[42:43], 0
                                        ; implicit-def: $sgpr44_sgpr45
	s_branch .LBB346_154
.LBB346_152:                            ;   in Loop: Header=BB346_154 Depth=1
	v_lshl_add_u64 v[22:23], v[18:19], 0, s[46:47]
	v_lshl_add_u64 v[32:33], v[20:21], 0, s[46:47]
	global_load_ubyte v34, v[22:23], off
	global_load_ubyte v35, v[32:33], off
	s_add_u32 s48, s46, 1
	s_addc_u32 s49, s47, 0
	s_andn2_b64 s[44:45], s[44:45], exec
	s_waitcnt vmcnt(0)
	v_cmp_ne_u16_e32 vcc, v34, v35
	s_and_b64 s[50:51], vcc, exec
	s_or_b64 s[44:45], s[44:45], s[50:51]
.LBB346_153:                            ;   in Loop: Header=BB346_154 Depth=1
	s_and_b64 s[50:51], exec, s[44:45]
	s_or_b64 s[42:43], s[50:51], s[42:43]
	v_mov_b64_e32 v[22:23], s[46:47]
	s_mov_b64 s[46:47], s[48:49]
	s_andn2_b64 exec, exec, s[42:43]
	s_cbranch_execz .LBB346_156
.LBB346_154:                            ; =>This Inner Loop Header: Depth=1
	s_or_b64 s[44:45], s[44:45], exec
	s_cmp_eq_u64 s[26:27], s[46:47]
	s_cbranch_scc0 .LBB346_152
; %bb.155:                              ;   in Loop: Header=BB346_154 Depth=1
                                        ; implicit-def: $sgpr48_sgpr49
	s_mov_b64 s[46:47], s[26:27]
	s_branch .LBB346_153
.LBB346_156:
	s_or_b64 exec, exec, s[42:43]
	v_cmp_gt_i64_e32 vcc, s[26:27], v[22:23]
	s_orn2_b64 s[42:43], vcc, exec
.LBB346_157:
	s_or_b64 exec, exec, s[14:15]
.LBB346_158:
	s_and_b64 s[14:15], s[42:43], exec
.LBB346_159:
	s_or_b64 exec, exec, s[40:41]
	s_waitcnt lgkmcnt(0)
	s_barrier
	s_and_saveexec_b64 s[40:41], s[2:3]
	s_cbranch_execz .LBB346_161
; %bb.160:
	s_waitcnt vmcnt(0)
	v_add_u32_e32 v16, -8, v31
	ds_read_b64 v[16:17], v16
.LBB346_161:
	s_or_b64 exec, exec, s[40:41]
	v_cndmask_b32_e64 v19, 0, 1, s[12:13]
	v_cndmask_b32_e64 v18, 0, 1, s[38:39]
	;; [unrolled: 1-line block ×3, first 2 shown]
	v_lshlrev_b16_e32 v19, 8, v19
	v_cmp_gt_u32_e32 vcc, s52, v1
	v_lshlrev_b16_e32 v22, 8, v20
	v_or_b32_sdwa v23, v18, v19 dst_sel:WORD_1 dst_unused:UNUSED_PAD src0_sel:DWORD src1_sel:DWORD
	s_mov_b64 s[12:13], 0
	s_and_saveexec_b64 s[14:15], vcc
	s_cbranch_execz .LBB346_172
; %bb.162:
	s_and_b64 vcc, exec, s[4:5]
	s_cbranch_vccnz .LBB346_171
; %bb.163:
	v_mov_b64_e32 v[20:21], s[28:29]
	s_waitcnt vmcnt(0) lgkmcnt(0)
	v_mad_u64_u32 v[18:19], s[4:5], v16, s26, v[20:21]
	v_mul_lo_u32 v16, v16, s27
	v_mul_lo_u32 v17, v17, s26
	v_add3_u32 v19, v17, v19, v16
	v_mad_u64_u32 v[16:17], s[4:5], v10, s26, v[20:21]
	v_mul_lo_u32 v20, v10, s27
	v_mul_lo_u32 v21, v11, s26
	v_add3_u32 v17, v21, v17, v20
	global_load_ubyte v20, v[18:19], off
	global_load_ubyte v21, v[16:17], off
	s_mov_b64 s[12:13], -1
	s_waitcnt vmcnt(0)
	v_cmp_eq_u16_e32 vcc, v20, v21
	s_and_saveexec_b64 s[4:5], vcc
	s_cbranch_execz .LBB346_170
; %bb.164:
	s_mov_b64 s[40:41], 1
	s_mov_b64 s[12:13], 0
                                        ; implicit-def: $sgpr38_sgpr39
	s_branch .LBB346_167
.LBB346_165:                            ;   in Loop: Header=BB346_167 Depth=1
	v_lshl_add_u64 v[20:21], v[18:19], 0, s[40:41]
	v_lshl_add_u64 v[32:33], v[16:17], 0, s[40:41]
	global_load_ubyte v31, v[20:21], off
	global_load_ubyte v34, v[32:33], off
	s_add_u32 s42, s40, 1
	s_addc_u32 s43, s41, 0
	s_andn2_b64 s[38:39], s[38:39], exec
	s_waitcnt vmcnt(0)
	v_cmp_ne_u16_e32 vcc, v31, v34
	s_and_b64 s[44:45], vcc, exec
	s_or_b64 s[38:39], s[38:39], s[44:45]
.LBB346_166:                            ;   in Loop: Header=BB346_167 Depth=1
	s_and_b64 s[44:45], exec, s[38:39]
	s_or_b64 s[12:13], s[44:45], s[12:13]
	v_mov_b64_e32 v[20:21], s[40:41]
	s_mov_b64 s[40:41], s[42:43]
	s_andn2_b64 exec, exec, s[12:13]
	s_cbranch_execz .LBB346_169
.LBB346_167:                            ; =>This Inner Loop Header: Depth=1
	s_or_b64 s[38:39], s[38:39], exec
	s_cmp_eq_u64 s[26:27], s[40:41]
	s_cbranch_scc0 .LBB346_165
; %bb.168:                              ;   in Loop: Header=BB346_167 Depth=1
                                        ; implicit-def: $sgpr42_sgpr43
	s_mov_b64 s[40:41], s[26:27]
	s_branch .LBB346_166
.LBB346_169:
	s_or_b64 exec, exec, s[12:13]
	v_cmp_gt_i64_e32 vcc, s[26:27], v[20:21]
	s_orn2_b64 s[12:13], vcc, exec
.LBB346_170:
	s_or_b64 exec, exec, s[4:5]
.LBB346_171:
	s_and_b64 s[12:13], s[12:13], exec
.LBB346_172:
	s_or_b64 exec, exec, s[14:15]
	v_cndmask_b32_e64 v32, 0, 1, s[10:11]
	v_cndmask_b32_e64 v33, 0, 1, s[8:9]
	;; [unrolled: 1-line block ×3, first 2 shown]
	v_or_b32_e32 v20, v22, v23
.LBB346_173:
	s_mov_b64 s[8:9], -1
	s_cbranch_execnz .LBB346_32
.LBB346_174:
	s_movk_i32 s4, 0xffd0
	v_mad_i32_i24 v30, v0, s4, v30
	s_mov_b64 s[10:11], 0
	v_cmp_gt_i64_e64 s[6:7], s[26:27], 0
	s_and_b64 vcc, exec, s[36:37]
	ds_write_b64 v30, v[14:15]
	s_cbranch_vccz .LBB346_182
; %bb.175:
	v_mul_lo_u32 v18, v5, s26
	v_mul_lo_u32 v19, v4, s27
	s_waitcnt vmcnt(0) lgkmcnt(1)
	v_mad_u64_u32 v[16:17], s[4:5], v4, s26, 0
	v_add3_u32 v17, v17, v19, v18
	v_cndmask_b32_e64 v18, 0, 1, s[6:7]
	v_cmp_ne_u32_e64 s[4:5], 1, v18
	s_andn2_b64 vcc, exec, s[6:7]
	v_lshl_add_u64 v[16:17], s[28:29], 0, v[16:17]
	s_cbranch_vccnz .LBB346_185
; %bb.176:
	v_mov_b64_e32 v[18:19], s[28:29]
	v_mad_u64_u32 v[18:19], s[10:11], v14, s26, v[18:19]
	v_mul_lo_u32 v20, v14, s27
	v_mul_lo_u32 v21, v15, s26
	v_add3_u32 v19, v21, v19, v20
	global_load_ubyte v20, v[16:17], off
	global_load_ubyte v21, v[18:19], off
	s_mov_b64 s[10:11], -1
	s_waitcnt vmcnt(0)
	v_cmp_eq_u16_e32 vcc, v20, v21
	s_and_saveexec_b64 s[12:13], vcc
	s_cbranch_execz .LBB346_184
; %bb.177:
	s_mov_b64 s[38:39], 1
	s_mov_b64 s[10:11], 0
                                        ; implicit-def: $sgpr14_sgpr15
	s_branch .LBB346_180
.LBB346_178:                            ;   in Loop: Header=BB346_180 Depth=1
	v_lshl_add_u64 v[20:21], v[16:17], 0, s[38:39]
	v_lshl_add_u64 v[22:23], v[18:19], 0, s[38:39]
	global_load_ubyte v31, v[20:21], off
	global_load_ubyte v32, v[22:23], off
	s_add_u32 s40, s38, 1
	s_addc_u32 s41, s39, 0
	s_andn2_b64 s[14:15], s[14:15], exec
	s_waitcnt vmcnt(0)
	v_cmp_ne_u16_e32 vcc, v31, v32
	s_and_b64 s[42:43], vcc, exec
	s_or_b64 s[14:15], s[14:15], s[42:43]
.LBB346_179:                            ;   in Loop: Header=BB346_180 Depth=1
	s_and_b64 s[42:43], exec, s[14:15]
	s_or_b64 s[10:11], s[42:43], s[10:11]
	v_mov_b64_e32 v[20:21], s[38:39]
	s_mov_b64 s[38:39], s[40:41]
	s_andn2_b64 exec, exec, s[10:11]
	s_cbranch_execz .LBB346_183
.LBB346_180:                            ; =>This Inner Loop Header: Depth=1
	s_or_b64 s[14:15], s[14:15], exec
	s_cmp_eq_u64 s[26:27], s[38:39]
	s_cbranch_scc0 .LBB346_178
; %bb.181:                              ;   in Loop: Header=BB346_180 Depth=1
                                        ; implicit-def: $sgpr40_sgpr41
	s_mov_b64 s[38:39], s[26:27]
	s_branch .LBB346_179
.LBB346_182:
                                        ; implicit-def: $sgpr12_sgpr13
                                        ; implicit-def: $vgpr34
                                        ; implicit-def: $vgpr33
                                        ; implicit-def: $vgpr32
                                        ; implicit-def: $vgpr20
                                        ; implicit-def: $vgpr16_vgpr17
	s_cbranch_execnz .LBB346_242
	s_branch .LBB346_322
.LBB346_183:
	s_or_b64 exec, exec, s[10:11]
	v_cmp_gt_i64_e32 vcc, s[26:27], v[20:21]
	s_orn2_b64 s[10:11], vcc, exec
.LBB346_184:
	s_or_b64 exec, exec, s[12:13]
.LBB346_185:
	v_mul_lo_u32 v20, v3, s26
	v_mul_lo_u32 v21, v2, s27
	v_mad_u64_u32 v[18:19], s[12:13], v2, s26, 0
	v_add3_u32 v19, v19, v21, v20
	s_mov_b64 s[12:13], 0
	s_and_b64 vcc, exec, s[4:5]
	v_lshl_add_u64 v[18:19], s[28:29], 0, v[18:19]
	s_mov_b64 s[14:15], 0
	s_cbranch_vccnz .LBB346_194
; %bb.186:
	global_load_ubyte v20, v[18:19], off
	global_load_ubyte v21, v[16:17], off
	s_mov_b64 s[14:15], -1
	s_waitcnt vmcnt(0)
	v_cmp_eq_u16_e32 vcc, v20, v21
	s_and_saveexec_b64 s[38:39], vcc
	s_cbranch_execz .LBB346_193
; %bb.187:
	s_mov_b64 s[42:43], 1
	s_mov_b64 s[14:15], 0
                                        ; implicit-def: $sgpr40_sgpr41
	s_branch .LBB346_190
.LBB346_188:                            ;   in Loop: Header=BB346_190 Depth=1
	v_lshl_add_u64 v[20:21], v[18:19], 0, s[42:43]
	v_lshl_add_u64 v[22:23], v[16:17], 0, s[42:43]
	global_load_ubyte v31, v[20:21], off
	global_load_ubyte v32, v[22:23], off
	s_add_u32 s44, s42, 1
	s_addc_u32 s45, s43, 0
	s_andn2_b64 s[40:41], s[40:41], exec
	s_waitcnt vmcnt(0)
	v_cmp_ne_u16_e32 vcc, v31, v32
	s_and_b64 s[46:47], vcc, exec
	s_or_b64 s[40:41], s[40:41], s[46:47]
.LBB346_189:                            ;   in Loop: Header=BB346_190 Depth=1
	s_and_b64 s[46:47], exec, s[40:41]
	s_or_b64 s[14:15], s[46:47], s[14:15]
	v_mov_b64_e32 v[20:21], s[42:43]
	s_mov_b64 s[42:43], s[44:45]
	s_andn2_b64 exec, exec, s[14:15]
	s_cbranch_execz .LBB346_192
.LBB346_190:                            ; =>This Inner Loop Header: Depth=1
	s_or_b64 s[40:41], s[40:41], exec
	s_cmp_eq_u64 s[26:27], s[42:43]
	s_cbranch_scc0 .LBB346_188
; %bb.191:                              ;   in Loop: Header=BB346_190 Depth=1
                                        ; implicit-def: $sgpr44_sgpr45
	s_mov_b64 s[42:43], s[26:27]
	s_branch .LBB346_189
.LBB346_192:
	s_or_b64 exec, exec, s[14:15]
	v_cmp_gt_i64_e32 vcc, s[26:27], v[20:21]
	s_orn2_b64 s[14:15], vcc, exec
.LBB346_193:
	s_or_b64 exec, exec, s[38:39]
.LBB346_194:
	v_mul_lo_u32 v20, v9, s26
	v_mul_lo_u32 v21, v8, s27
	v_mad_u64_u32 v[16:17], s[38:39], v8, s26, 0
	v_add3_u32 v17, v17, v21, v20
	s_and_b64 vcc, exec, s[4:5]
	v_lshl_add_u64 v[16:17], s[28:29], 0, v[16:17]
	s_cbranch_vccnz .LBB346_203
; %bb.195:
	global_load_ubyte v20, v[16:17], off
	global_load_ubyte v21, v[18:19], off
	s_mov_b64 s[12:13], -1
	s_waitcnt vmcnt(0)
	v_cmp_eq_u16_e32 vcc, v20, v21
	s_and_saveexec_b64 s[38:39], vcc
	s_cbranch_execz .LBB346_202
; %bb.196:
	s_mov_b64 s[42:43], 1
	s_mov_b64 s[12:13], 0
                                        ; implicit-def: $sgpr40_sgpr41
	s_branch .LBB346_199
.LBB346_197:                            ;   in Loop: Header=BB346_199 Depth=1
	v_lshl_add_u64 v[20:21], v[16:17], 0, s[42:43]
	v_lshl_add_u64 v[22:23], v[18:19], 0, s[42:43]
	global_load_ubyte v31, v[20:21], off
	global_load_ubyte v32, v[22:23], off
	s_add_u32 s44, s42, 1
	s_addc_u32 s45, s43, 0
	s_andn2_b64 s[40:41], s[40:41], exec
	s_waitcnt vmcnt(0)
	v_cmp_ne_u16_e32 vcc, v31, v32
	s_and_b64 s[46:47], vcc, exec
	s_or_b64 s[40:41], s[40:41], s[46:47]
.LBB346_198:                            ;   in Loop: Header=BB346_199 Depth=1
	s_and_b64 s[46:47], exec, s[40:41]
	s_or_b64 s[12:13], s[46:47], s[12:13]
	v_mov_b64_e32 v[20:21], s[42:43]
	s_mov_b64 s[42:43], s[44:45]
	s_andn2_b64 exec, exec, s[12:13]
	s_cbranch_execz .LBB346_201
.LBB346_199:                            ; =>This Inner Loop Header: Depth=1
	s_or_b64 s[40:41], s[40:41], exec
	s_cmp_eq_u64 s[26:27], s[42:43]
	s_cbranch_scc0 .LBB346_197
; %bb.200:                              ;   in Loop: Header=BB346_199 Depth=1
                                        ; implicit-def: $sgpr44_sgpr45
	s_mov_b64 s[42:43], s[26:27]
	s_branch .LBB346_198
.LBB346_201:
	s_or_b64 exec, exec, s[12:13]
	v_cmp_gt_i64_e32 vcc, s[26:27], v[20:21]
	s_orn2_b64 s[12:13], vcc, exec
.LBB346_202:
	s_or_b64 exec, exec, s[38:39]
.LBB346_203:
	v_mul_lo_u32 v20, v7, s26
	v_mul_lo_u32 v21, v6, s27
	v_mad_u64_u32 v[18:19], s[38:39], v6, s26, 0
	v_add3_u32 v19, v19, v21, v20
	s_mov_b64 s[38:39], 0
	s_and_b64 vcc, exec, s[4:5]
	v_lshl_add_u64 v[18:19], s[28:29], 0, v[18:19]
	s_mov_b64 s[40:41], 0
	s_cbranch_vccnz .LBB346_212
; %bb.204:
	global_load_ubyte v20, v[18:19], off
	global_load_ubyte v21, v[16:17], off
	s_mov_b64 s[40:41], -1
	s_waitcnt vmcnt(0)
	v_cmp_eq_u16_e32 vcc, v20, v21
	s_and_saveexec_b64 s[42:43], vcc
	s_cbranch_execz .LBB346_211
; %bb.205:
	s_mov_b64 s[46:47], 1
	s_mov_b64 s[40:41], 0
                                        ; implicit-def: $sgpr44_sgpr45
	s_branch .LBB346_208
.LBB346_206:                            ;   in Loop: Header=BB346_208 Depth=1
	v_lshl_add_u64 v[20:21], v[18:19], 0, s[46:47]
	v_lshl_add_u64 v[22:23], v[16:17], 0, s[46:47]
	global_load_ubyte v31, v[20:21], off
	global_load_ubyte v32, v[22:23], off
	s_add_u32 s48, s46, 1
	s_addc_u32 s49, s47, 0
	s_andn2_b64 s[44:45], s[44:45], exec
	s_waitcnt vmcnt(0)
	v_cmp_ne_u16_e32 vcc, v31, v32
	s_and_b64 s[50:51], vcc, exec
	s_or_b64 s[44:45], s[44:45], s[50:51]
.LBB346_207:                            ;   in Loop: Header=BB346_208 Depth=1
	s_and_b64 s[50:51], exec, s[44:45]
	s_or_b64 s[40:41], s[50:51], s[40:41]
	v_mov_b64_e32 v[20:21], s[46:47]
	s_mov_b64 s[46:47], s[48:49]
	s_andn2_b64 exec, exec, s[40:41]
	s_cbranch_execz .LBB346_210
.LBB346_208:                            ; =>This Inner Loop Header: Depth=1
	s_or_b64 s[44:45], s[44:45], exec
	s_cmp_eq_u64 s[26:27], s[46:47]
	s_cbranch_scc0 .LBB346_206
; %bb.209:                              ;   in Loop: Header=BB346_208 Depth=1
                                        ; implicit-def: $sgpr48_sgpr49
	s_mov_b64 s[46:47], s[26:27]
	s_branch .LBB346_207
.LBB346_210:
	s_or_b64 exec, exec, s[40:41]
	v_cmp_gt_i64_e32 vcc, s[26:27], v[20:21]
	s_orn2_b64 s[40:41], vcc, exec
.LBB346_211:
	s_or_b64 exec, exec, s[42:43]
.LBB346_212:
	v_mul_lo_u32 v20, v13, s26
	v_mul_lo_u32 v21, v12, s27
	v_mad_u64_u32 v[16:17], s[42:43], v12, s26, 0
	v_add3_u32 v17, v17, v21, v20
	s_and_b64 vcc, exec, s[4:5]
	v_lshl_add_u64 v[16:17], s[28:29], 0, v[16:17]
	s_cbranch_vccnz .LBB346_221
; %bb.213:
	global_load_ubyte v20, v[16:17], off
	global_load_ubyte v21, v[18:19], off
	s_mov_b64 s[38:39], -1
	s_waitcnt vmcnt(0)
	v_cmp_eq_u16_e32 vcc, v20, v21
	s_and_saveexec_b64 s[42:43], vcc
	s_cbranch_execz .LBB346_220
; %bb.214:
	s_mov_b64 s[46:47], 1
	s_mov_b64 s[38:39], 0
                                        ; implicit-def: $sgpr44_sgpr45
	s_branch .LBB346_217
.LBB346_215:                            ;   in Loop: Header=BB346_217 Depth=1
	v_lshl_add_u64 v[20:21], v[16:17], 0, s[46:47]
	v_lshl_add_u64 v[22:23], v[18:19], 0, s[46:47]
	global_load_ubyte v31, v[20:21], off
	global_load_ubyte v32, v[22:23], off
	s_add_u32 s48, s46, 1
	s_addc_u32 s49, s47, 0
	s_andn2_b64 s[44:45], s[44:45], exec
	s_waitcnt vmcnt(0)
	v_cmp_ne_u16_e32 vcc, v31, v32
	s_and_b64 s[50:51], vcc, exec
	s_or_b64 s[44:45], s[44:45], s[50:51]
.LBB346_216:                            ;   in Loop: Header=BB346_217 Depth=1
	s_and_b64 s[50:51], exec, s[44:45]
	s_or_b64 s[38:39], s[50:51], s[38:39]
	v_mov_b64_e32 v[20:21], s[46:47]
	s_mov_b64 s[46:47], s[48:49]
	s_andn2_b64 exec, exec, s[38:39]
	s_cbranch_execz .LBB346_219
.LBB346_217:                            ; =>This Inner Loop Header: Depth=1
	s_or_b64 s[44:45], s[44:45], exec
	s_cmp_eq_u64 s[26:27], s[46:47]
	s_cbranch_scc0 .LBB346_215
; %bb.218:                              ;   in Loop: Header=BB346_217 Depth=1
                                        ; implicit-def: $sgpr48_sgpr49
	s_mov_b64 s[46:47], s[26:27]
	s_branch .LBB346_216
.LBB346_219:
	s_or_b64 exec, exec, s[38:39]
	v_cmp_gt_i64_e32 vcc, s[26:27], v[20:21]
	s_orn2_b64 s[38:39], vcc, exec
.LBB346_220:
	s_or_b64 exec, exec, s[42:43]
.LBB346_221:
	v_mul_lo_u32 v20, v11, s26
	v_mul_lo_u32 v21, v10, s27
	v_mad_u64_u32 v[18:19], s[42:43], v10, s26, 0
	v_add3_u32 v19, v19, v21, v20
	s_and_b64 vcc, exec, s[4:5]
	s_mov_b64 s[44:45], 0
	s_cbranch_vccnz .LBB346_230
; %bb.222:
	v_lshl_add_u64 v[20:21], s[28:29], 0, v[18:19]
	global_load_ubyte v22, v[20:21], off
	global_load_ubyte v23, v[16:17], off
	s_mov_b64 s[44:45], -1
	s_waitcnt vmcnt(0)
	v_cmp_eq_u16_e32 vcc, v22, v23
	s_and_saveexec_b64 s[42:43], vcc
	s_cbranch_execz .LBB346_229
; %bb.223:
	s_mov_b64 s[48:49], 1
	s_mov_b64 s[44:45], 0
                                        ; implicit-def: $sgpr46_sgpr47
	s_branch .LBB346_226
.LBB346_224:                            ;   in Loop: Header=BB346_226 Depth=1
	v_lshl_add_u64 v[22:23], v[20:21], 0, s[48:49]
	v_lshl_add_u64 v[32:33], v[16:17], 0, s[48:49]
	global_load_ubyte v22, v[22:23], off
	s_nop 0
	global_load_ubyte v23, v[32:33], off
	s_add_u32 s50, s48, 1
	s_addc_u32 s51, s49, 0
	s_andn2_b64 s[46:47], s[46:47], exec
	s_waitcnt vmcnt(0)
	v_cmp_ne_u16_e32 vcc, v22, v23
	s_and_b64 s[54:55], vcc, exec
	s_or_b64 s[46:47], s[46:47], s[54:55]
.LBB346_225:                            ;   in Loop: Header=BB346_226 Depth=1
	s_and_b64 s[54:55], exec, s[46:47]
	s_or_b64 s[44:45], s[54:55], s[44:45]
	v_mov_b64_e32 v[22:23], s[48:49]
	s_mov_b64 s[48:49], s[50:51]
	s_andn2_b64 exec, exec, s[44:45]
	s_cbranch_execz .LBB346_228
.LBB346_226:                            ; =>This Inner Loop Header: Depth=1
	s_or_b64 s[46:47], s[46:47], exec
	s_cmp_eq_u64 s[26:27], s[48:49]
	s_cbranch_scc0 .LBB346_224
; %bb.227:                              ;   in Loop: Header=BB346_226 Depth=1
                                        ; implicit-def: $sgpr50_sgpr51
	s_mov_b64 s[48:49], s[26:27]
	s_branch .LBB346_225
.LBB346_228:
	s_or_b64 exec, exec, s[44:45]
	v_cmp_gt_i64_e32 vcc, s[26:27], v[22:23]
	s_orn2_b64 s[44:45], vcc, exec
.LBB346_229:
	s_or_b64 exec, exec, s[42:43]
.LBB346_230:
	v_cndmask_b32_e64 v17, 0, 1, s[40:41]
	v_cndmask_b32_e64 v16, 0, 1, s[38:39]
	;; [unrolled: 1-line block ×3, first 2 shown]
	v_lshlrev_b16_e32 v17, 8, v17
	v_cndmask_b32_e64 v32, 0, 1, s[12:13]
	v_cndmask_b32_e64 v20, 0, 1, s[44:45]
	v_or_b32_sdwa v16, v16, v17 dst_sel:WORD_1 dst_unused:UNUSED_PAD src0_sel:DWORD src1_sel:DWORD
	v_lshlrev_b16_e32 v17, 8, v33
	v_lshlrev_b16_e32 v20, 8, v20
	v_or_b32_e32 v17, v32, v17
	v_or_b32_e32 v20, 1, v20
	v_and_b32_e32 v17, 0xffff, v17
	v_cndmask_b32_e64 v34, 0, 1, s[10:11]
	v_or_b32_sdwa v16, v20, v16 dst_sel:DWORD dst_unused:UNUSED_PAD src0_sel:WORD_0 src1_sel:DWORD
	v_lshl_or_b32 v17, v34, 16, v17
	s_waitcnt lgkmcnt(0)
	s_barrier
	s_waitcnt lgkmcnt(0)
                                        ; implicit-def: $sgpr12_sgpr13
                                        ; implicit-def: $vgpr20
	s_and_saveexec_b64 s[10:11], s[2:3]
	s_xor_b64 s[10:11], exec, s[10:11]
	s_cbranch_execz .LBB346_241
; %bb.231:
	s_mov_b32 s42, 0x3020104
	s_and_b64 vcc, exec, s[4:5]
	s_mov_b64 s[12:13], 0
	s_cbranch_vccnz .LBB346_240
; %bb.232:
	v_add_u32_e32 v17, -8, v30
	ds_read_b64 v[20:21], v17
	v_mov_b64_e32 v[22:23], s[28:29]
	v_lshl_add_u64 v[18:19], s[28:29], 0, v[18:19]
	s_mov_b64 s[12:13], -1
	s_waitcnt lgkmcnt(0)
	v_mul_lo_u32 v17, v20, s27
	v_mul_lo_u32 v31, v21, s26
	v_mad_u64_u32 v[20:21], s[4:5], v20, s26, v[22:23]
	v_add3_u32 v21, v31, v21, v17
	global_load_ubyte v17, v[18:19], off
	global_load_ubyte v22, v[20:21], off
	s_waitcnt vmcnt(0)
	v_cmp_eq_u16_e32 vcc, v22, v17
	s_and_saveexec_b64 s[4:5], vcc
	s_cbranch_execz .LBB346_239
; %bb.233:
	s_mov_b64 s[38:39], 1
	s_mov_b64 s[12:13], 0
                                        ; implicit-def: $sgpr14_sgpr15
	s_branch .LBB346_236
.LBB346_234:                            ;   in Loop: Header=BB346_236 Depth=1
	v_lshl_add_u64 v[22:23], v[20:21], 0, s[38:39]
	v_lshl_add_u64 v[36:37], v[18:19], 0, s[38:39]
	global_load_ubyte v17, v[22:23], off
	global_load_ubyte v31, v[36:37], off
	s_add_u32 s40, s38, 1
	s_addc_u32 s41, s39, 0
	s_andn2_b64 s[14:15], s[14:15], exec
	s_waitcnt vmcnt(0)
	v_cmp_ne_u16_e32 vcc, v17, v31
	s_and_b64 s[44:45], vcc, exec
	s_or_b64 s[14:15], s[14:15], s[44:45]
.LBB346_235:                            ;   in Loop: Header=BB346_236 Depth=1
	s_and_b64 s[44:45], exec, s[14:15]
	s_or_b64 s[12:13], s[44:45], s[12:13]
	v_mov_b64_e32 v[22:23], s[38:39]
	s_mov_b64 s[38:39], s[40:41]
	s_andn2_b64 exec, exec, s[12:13]
	s_cbranch_execz .LBB346_238
.LBB346_236:                            ; =>This Inner Loop Header: Depth=1
	s_or_b64 s[14:15], s[14:15], exec
	s_cmp_eq_u64 s[26:27], s[38:39]
	s_cbranch_scc0 .LBB346_234
; %bb.237:                              ;   in Loop: Header=BB346_236 Depth=1
                                        ; implicit-def: $sgpr40_sgpr41
	s_mov_b64 s[38:39], s[26:27]
	s_branch .LBB346_235
.LBB346_238:
	s_or_b64 exec, exec, s[12:13]
	v_cmp_gt_i64_e32 vcc, s[26:27], v[22:23]
	s_orn2_b64 s[12:13], vcc, exec
.LBB346_239:
	s_or_b64 exec, exec, s[4:5]
.LBB346_240:
	v_perm_b32 v20, v16, v16, s42
	s_and_b64 s[12:13], s[12:13], exec
	s_or_b64 s[8:9], s[8:9], exec
                                        ; implicit-def: $vgpr16_vgpr17
.LBB346_241:
	s_or_b64 exec, exec, s[10:11]
	s_branch .LBB346_322
.LBB346_242:
	v_cmp_gt_u32_e32 vcc, s52, v27
	s_mov_b64 s[10:11], 0
	s_mov_b64 s[4:5], 0
	s_and_saveexec_b64 s[12:13], vcc
	s_cbranch_execz .LBB346_253
; %bb.243:
	s_andn2_b64 vcc, exec, s[6:7]
	s_mov_b64 s[14:15], 0
	s_cbranch_vccnz .LBB346_252
; %bb.244:
	v_mov_b64_e32 v[18:19], s[28:29]
	s_waitcnt vmcnt(0) lgkmcnt(1)
	v_mad_u64_u32 v[16:17], s[4:5], v4, s26, v[18:19]
	v_mul_lo_u32 v20, v4, s27
	v_mul_lo_u32 v21, v5, s26
	v_add3_u32 v17, v21, v17, v20
	v_mad_u64_u32 v[18:19], s[4:5], v14, s26, v[18:19]
	v_mul_lo_u32 v20, v14, s27
	v_mul_lo_u32 v21, v15, s26
	v_add3_u32 v19, v21, v19, v20
	global_load_ubyte v20, v[16:17], off
	global_load_ubyte v21, v[18:19], off
	s_mov_b64 s[14:15], -1
	s_waitcnt vmcnt(0)
	v_cmp_eq_u16_e32 vcc, v20, v21
	s_and_saveexec_b64 s[4:5], vcc
	s_cbranch_execz .LBB346_251
; %bb.245:
	s_mov_b64 s[40:41], 1
	s_mov_b64 s[14:15], 0
                                        ; implicit-def: $sgpr38_sgpr39
	s_branch .LBB346_248
.LBB346_246:                            ;   in Loop: Header=BB346_248 Depth=1
	v_lshl_add_u64 v[20:21], v[16:17], 0, s[40:41]
	v_lshl_add_u64 v[22:23], v[18:19], 0, s[40:41]
	global_load_ubyte v31, v[20:21], off
	global_load_ubyte v32, v[22:23], off
	s_add_u32 s42, s40, 1
	s_addc_u32 s43, s41, 0
	s_andn2_b64 s[38:39], s[38:39], exec
	s_waitcnt vmcnt(0)
	v_cmp_ne_u16_e32 vcc, v31, v32
	s_and_b64 s[44:45], vcc, exec
	s_or_b64 s[38:39], s[38:39], s[44:45]
.LBB346_247:                            ;   in Loop: Header=BB346_248 Depth=1
	s_and_b64 s[44:45], exec, s[38:39]
	s_or_b64 s[14:15], s[44:45], s[14:15]
	v_mov_b64_e32 v[20:21], s[40:41]
	s_mov_b64 s[40:41], s[42:43]
	s_andn2_b64 exec, exec, s[14:15]
	s_cbranch_execz .LBB346_250
.LBB346_248:                            ; =>This Inner Loop Header: Depth=1
	s_or_b64 s[38:39], s[38:39], exec
	s_cmp_eq_u64 s[26:27], s[40:41]
	s_cbranch_scc0 .LBB346_246
; %bb.249:                              ;   in Loop: Header=BB346_248 Depth=1
                                        ; implicit-def: $sgpr42_sgpr43
	s_mov_b64 s[40:41], s[26:27]
	s_branch .LBB346_247
.LBB346_250:
	s_or_b64 exec, exec, s[14:15]
	v_cmp_gt_i64_e32 vcc, s[26:27], v[20:21]
	s_orn2_b64 s[14:15], vcc, exec
.LBB346_251:
	s_or_b64 exec, exec, s[4:5]
.LBB346_252:
	s_and_b64 s[4:5], s[14:15], exec
.LBB346_253:
	s_or_b64 exec, exec, s[12:13]
	v_cmp_gt_u32_e32 vcc, s52, v29
	s_and_saveexec_b64 s[12:13], vcc
	s_cbranch_execz .LBB346_264
; %bb.254:
	s_andn2_b64 vcc, exec, s[6:7]
	s_mov_b64 s[14:15], 0
	s_cbranch_vccnz .LBB346_263
; %bb.255:
	v_mov_b64_e32 v[18:19], s[28:29]
	s_waitcnt vmcnt(0) lgkmcnt(1)
	v_mad_u64_u32 v[16:17], s[10:11], v2, s26, v[18:19]
	v_mul_lo_u32 v20, v2, s27
	v_mul_lo_u32 v21, v3, s26
	v_add3_u32 v17, v21, v17, v20
	v_mad_u64_u32 v[18:19], s[10:11], v4, s26, v[18:19]
	v_mul_lo_u32 v20, v4, s27
	v_mul_lo_u32 v21, v5, s26
	v_add3_u32 v19, v21, v19, v20
	global_load_ubyte v20, v[16:17], off
	global_load_ubyte v21, v[18:19], off
	s_mov_b64 s[14:15], -1
	s_waitcnt vmcnt(0)
	v_cmp_eq_u16_e32 vcc, v20, v21
	s_and_saveexec_b64 s[10:11], vcc
	s_cbranch_execz .LBB346_262
; %bb.256:
	s_mov_b64 s[40:41], 1
	s_mov_b64 s[14:15], 0
                                        ; implicit-def: $sgpr38_sgpr39
	s_branch .LBB346_259
.LBB346_257:                            ;   in Loop: Header=BB346_259 Depth=1
	v_lshl_add_u64 v[20:21], v[16:17], 0, s[40:41]
	v_lshl_add_u64 v[22:23], v[18:19], 0, s[40:41]
	global_load_ubyte v31, v[20:21], off
	global_load_ubyte v32, v[22:23], off
	s_add_u32 s42, s40, 1
	s_addc_u32 s43, s41, 0
	s_andn2_b64 s[38:39], s[38:39], exec
	s_waitcnt vmcnt(0)
	v_cmp_ne_u16_e32 vcc, v31, v32
	s_and_b64 s[44:45], vcc, exec
	s_or_b64 s[38:39], s[38:39], s[44:45]
.LBB346_258:                            ;   in Loop: Header=BB346_259 Depth=1
	s_and_b64 s[44:45], exec, s[38:39]
	s_or_b64 s[14:15], s[44:45], s[14:15]
	v_mov_b64_e32 v[20:21], s[40:41]
	s_mov_b64 s[40:41], s[42:43]
	s_andn2_b64 exec, exec, s[14:15]
	s_cbranch_execz .LBB346_261
.LBB346_259:                            ; =>This Inner Loop Header: Depth=1
	s_or_b64 s[38:39], s[38:39], exec
	s_cmp_eq_u64 s[26:27], s[40:41]
	s_cbranch_scc0 .LBB346_257
; %bb.260:                              ;   in Loop: Header=BB346_259 Depth=1
                                        ; implicit-def: $sgpr42_sgpr43
	s_mov_b64 s[40:41], s[26:27]
	s_branch .LBB346_258
.LBB346_261:
	s_or_b64 exec, exec, s[14:15]
	v_cmp_gt_i64_e32 vcc, s[26:27], v[20:21]
	s_orn2_b64 s[14:15], vcc, exec
.LBB346_262:
	s_or_b64 exec, exec, s[10:11]
.LBB346_263:
	s_and_b64 s[10:11], s[14:15], exec
.LBB346_264:
	s_or_b64 exec, exec, s[12:13]
	v_cmp_gt_u32_e32 vcc, s52, v26
	s_mov_b64 s[14:15], 0
	s_mov_b64 s[12:13], 0
	s_and_saveexec_b64 s[38:39], vcc
	s_cbranch_execz .LBB346_275
; %bb.265:
	s_andn2_b64 vcc, exec, s[6:7]
	s_mov_b64 s[40:41], 0
	s_cbranch_vccnz .LBB346_274
; %bb.266:
	v_mov_b64_e32 v[18:19], s[28:29]
	s_waitcnt vmcnt(0) lgkmcnt(1)
	v_mad_u64_u32 v[16:17], s[12:13], v8, s26, v[18:19]
	v_mul_lo_u32 v20, v8, s27
	v_mul_lo_u32 v21, v9, s26
	v_add3_u32 v17, v21, v17, v20
	v_mad_u64_u32 v[18:19], s[12:13], v2, s26, v[18:19]
	v_mul_lo_u32 v20, v2, s27
	v_mul_lo_u32 v21, v3, s26
	v_add3_u32 v19, v21, v19, v20
	global_load_ubyte v20, v[16:17], off
	global_load_ubyte v21, v[18:19], off
	s_mov_b64 s[40:41], -1
	s_waitcnt vmcnt(0)
	v_cmp_eq_u16_e32 vcc, v20, v21
	s_and_saveexec_b64 s[12:13], vcc
	s_cbranch_execz .LBB346_273
; %bb.267:
	s_mov_b64 s[44:45], 1
	s_mov_b64 s[40:41], 0
                                        ; implicit-def: $sgpr42_sgpr43
	s_branch .LBB346_270
.LBB346_268:                            ;   in Loop: Header=BB346_270 Depth=1
	v_lshl_add_u64 v[20:21], v[16:17], 0, s[44:45]
	v_lshl_add_u64 v[22:23], v[18:19], 0, s[44:45]
	global_load_ubyte v31, v[20:21], off
	global_load_ubyte v32, v[22:23], off
	s_add_u32 s46, s44, 1
	s_addc_u32 s47, s45, 0
	s_andn2_b64 s[42:43], s[42:43], exec
	s_waitcnt vmcnt(0)
	v_cmp_ne_u16_e32 vcc, v31, v32
	s_and_b64 s[48:49], vcc, exec
	s_or_b64 s[42:43], s[42:43], s[48:49]
.LBB346_269:                            ;   in Loop: Header=BB346_270 Depth=1
	s_and_b64 s[48:49], exec, s[42:43]
	s_or_b64 s[40:41], s[48:49], s[40:41]
	v_mov_b64_e32 v[20:21], s[44:45]
	s_mov_b64 s[44:45], s[46:47]
	s_andn2_b64 exec, exec, s[40:41]
	s_cbranch_execz .LBB346_272
.LBB346_270:                            ; =>This Inner Loop Header: Depth=1
	s_or_b64 s[42:43], s[42:43], exec
	s_cmp_eq_u64 s[26:27], s[44:45]
	s_cbranch_scc0 .LBB346_268
; %bb.271:                              ;   in Loop: Header=BB346_270 Depth=1
                                        ; implicit-def: $sgpr46_sgpr47
	s_mov_b64 s[44:45], s[26:27]
	s_branch .LBB346_269
.LBB346_272:
	s_or_b64 exec, exec, s[40:41]
	v_cmp_gt_i64_e32 vcc, s[26:27], v[20:21]
	s_orn2_b64 s[40:41], vcc, exec
.LBB346_273:
	s_or_b64 exec, exec, s[12:13]
.LBB346_274:
	s_and_b64 s[12:13], s[40:41], exec
.LBB346_275:
	s_or_b64 exec, exec, s[38:39]
	v_cmp_gt_u32_e32 vcc, s52, v28
	s_and_saveexec_b64 s[38:39], vcc
	s_cbranch_execz .LBB346_286
; %bb.276:
	s_andn2_b64 vcc, exec, s[6:7]
	s_mov_b64 s[40:41], 0
	s_cbranch_vccnz .LBB346_285
; %bb.277:
	v_mov_b64_e32 v[18:19], s[28:29]
	s_waitcnt vmcnt(0) lgkmcnt(1)
	v_mad_u64_u32 v[16:17], s[14:15], v6, s26, v[18:19]
	v_mul_lo_u32 v20, v6, s27
	v_mul_lo_u32 v21, v7, s26
	v_add3_u32 v17, v21, v17, v20
	v_mad_u64_u32 v[18:19], s[14:15], v8, s26, v[18:19]
	v_mul_lo_u32 v20, v8, s27
	v_mul_lo_u32 v21, v9, s26
	v_add3_u32 v19, v21, v19, v20
	global_load_ubyte v20, v[16:17], off
	global_load_ubyte v21, v[18:19], off
	s_mov_b64 s[40:41], -1
	s_waitcnt vmcnt(0)
	v_cmp_eq_u16_e32 vcc, v20, v21
	s_and_saveexec_b64 s[14:15], vcc
	s_cbranch_execz .LBB346_284
; %bb.278:
	s_mov_b64 s[44:45], 1
	s_mov_b64 s[40:41], 0
                                        ; implicit-def: $sgpr42_sgpr43
	s_branch .LBB346_281
.LBB346_279:                            ;   in Loop: Header=BB346_281 Depth=1
	v_lshl_add_u64 v[20:21], v[16:17], 0, s[44:45]
	v_lshl_add_u64 v[22:23], v[18:19], 0, s[44:45]
	global_load_ubyte v31, v[20:21], off
	global_load_ubyte v32, v[22:23], off
	s_add_u32 s46, s44, 1
	s_addc_u32 s47, s45, 0
	s_andn2_b64 s[42:43], s[42:43], exec
	s_waitcnt vmcnt(0)
	v_cmp_ne_u16_e32 vcc, v31, v32
	s_and_b64 s[48:49], vcc, exec
	s_or_b64 s[42:43], s[42:43], s[48:49]
.LBB346_280:                            ;   in Loop: Header=BB346_281 Depth=1
	s_and_b64 s[48:49], exec, s[42:43]
	s_or_b64 s[40:41], s[48:49], s[40:41]
	v_mov_b64_e32 v[20:21], s[44:45]
	s_mov_b64 s[44:45], s[46:47]
	s_andn2_b64 exec, exec, s[40:41]
	s_cbranch_execz .LBB346_283
.LBB346_281:                            ; =>This Inner Loop Header: Depth=1
	s_or_b64 s[42:43], s[42:43], exec
	s_cmp_eq_u64 s[26:27], s[44:45]
	s_cbranch_scc0 .LBB346_279
; %bb.282:                              ;   in Loop: Header=BB346_281 Depth=1
                                        ; implicit-def: $sgpr46_sgpr47
	s_mov_b64 s[44:45], s[26:27]
	s_branch .LBB346_280
.LBB346_283:
	s_or_b64 exec, exec, s[40:41]
	v_cmp_gt_i64_e32 vcc, s[26:27], v[20:21]
	s_orn2_b64 s[40:41], vcc, exec
.LBB346_284:
	s_or_b64 exec, exec, s[14:15]
.LBB346_285:
	s_and_b64 s[14:15], s[40:41], exec
.LBB346_286:
	s_or_b64 exec, exec, s[38:39]
	v_cmp_gt_u32_e32 vcc, s52, v24
	s_mov_b64 s[38:39], 0
	s_mov_b64 s[40:41], 0
	s_and_saveexec_b64 s[42:43], vcc
	s_cbranch_execz .LBB346_297
; %bb.287:
	s_andn2_b64 vcc, exec, s[6:7]
	s_mov_b64 s[44:45], 0
	s_cbranch_vccnz .LBB346_296
; %bb.288:
	v_mov_b64_e32 v[18:19], s[28:29]
	s_waitcnt vmcnt(0) lgkmcnt(1)
	v_mad_u64_u32 v[16:17], s[40:41], v12, s26, v[18:19]
	v_mul_lo_u32 v20, v12, s27
	v_mul_lo_u32 v21, v13, s26
	v_add3_u32 v17, v21, v17, v20
	v_mad_u64_u32 v[18:19], s[40:41], v6, s26, v[18:19]
	v_mul_lo_u32 v20, v6, s27
	v_mul_lo_u32 v21, v7, s26
	v_add3_u32 v19, v21, v19, v20
	global_load_ubyte v20, v[16:17], off
	global_load_ubyte v21, v[18:19], off
	s_mov_b64 s[44:45], -1
	s_waitcnt vmcnt(0)
	v_cmp_eq_u16_e32 vcc, v20, v21
	s_and_saveexec_b64 s[40:41], vcc
	s_cbranch_execz .LBB346_295
; %bb.289:
	s_mov_b64 s[48:49], 1
	s_mov_b64 s[44:45], 0
                                        ; implicit-def: $sgpr46_sgpr47
	s_branch .LBB346_292
.LBB346_290:                            ;   in Loop: Header=BB346_292 Depth=1
	v_lshl_add_u64 v[20:21], v[16:17], 0, s[48:49]
	v_lshl_add_u64 v[22:23], v[18:19], 0, s[48:49]
	global_load_ubyte v20, v[20:21], off
	s_nop 0
	global_load_ubyte v21, v[22:23], off
	s_add_u32 s50, s48, 1
	s_addc_u32 s51, s49, 0
	s_andn2_b64 s[46:47], s[46:47], exec
	s_waitcnt vmcnt(0)
	v_cmp_ne_u16_e32 vcc, v20, v21
	s_and_b64 s[54:55], vcc, exec
	s_or_b64 s[46:47], s[46:47], s[54:55]
.LBB346_291:                            ;   in Loop: Header=BB346_292 Depth=1
	s_and_b64 s[54:55], exec, s[46:47]
	s_or_b64 s[44:45], s[54:55], s[44:45]
	v_mov_b64_e32 v[20:21], s[48:49]
	s_mov_b64 s[48:49], s[50:51]
	s_andn2_b64 exec, exec, s[44:45]
	s_cbranch_execz .LBB346_294
.LBB346_292:                            ; =>This Inner Loop Header: Depth=1
	s_or_b64 s[46:47], s[46:47], exec
	s_cmp_eq_u64 s[26:27], s[48:49]
	s_cbranch_scc0 .LBB346_290
; %bb.293:                              ;   in Loop: Header=BB346_292 Depth=1
                                        ; implicit-def: $sgpr50_sgpr51
	s_mov_b64 s[48:49], s[26:27]
	s_branch .LBB346_291
.LBB346_294:
	s_or_b64 exec, exec, s[44:45]
	v_cmp_gt_i64_e32 vcc, s[26:27], v[20:21]
	s_orn2_b64 s[44:45], vcc, exec
.LBB346_295:
	s_or_b64 exec, exec, s[40:41]
.LBB346_296:
	s_and_b64 s[40:41], s[44:45], exec
.LBB346_297:
	s_or_b64 exec, exec, s[42:43]
	v_cmp_gt_u32_e32 vcc, s52, v25
	s_and_saveexec_b64 s[42:43], vcc
	s_cbranch_execz .LBB346_308
; %bb.298:
	s_andn2_b64 vcc, exec, s[6:7]
	s_mov_b64 s[44:45], 0
	s_cbranch_vccnz .LBB346_307
; %bb.299:
	v_mov_b64_e32 v[18:19], s[28:29]
	s_waitcnt vmcnt(0) lgkmcnt(1)
	v_mad_u64_u32 v[16:17], s[38:39], v10, s26, v[18:19]
	v_mul_lo_u32 v20, v10, s27
	v_mul_lo_u32 v21, v11, s26
	v_add3_u32 v17, v21, v17, v20
	v_mad_u64_u32 v[18:19], s[38:39], v12, s26, v[18:19]
	v_mul_lo_u32 v20, v12, s27
	v_mul_lo_u32 v21, v13, s26
	v_add3_u32 v19, v21, v19, v20
	global_load_ubyte v20, v[16:17], off
	global_load_ubyte v21, v[18:19], off
	s_mov_b64 s[44:45], -1
	s_waitcnt vmcnt(0)
	v_cmp_eq_u16_e32 vcc, v20, v21
	s_and_saveexec_b64 s[38:39], vcc
	s_cbranch_execz .LBB346_306
; %bb.300:
	s_mov_b64 s[48:49], 1
	s_mov_b64 s[44:45], 0
                                        ; implicit-def: $sgpr46_sgpr47
	s_branch .LBB346_303
.LBB346_301:                            ;   in Loop: Header=BB346_303 Depth=1
	v_lshl_add_u64 v[20:21], v[16:17], 0, s[48:49]
	v_lshl_add_u64 v[22:23], v[18:19], 0, s[48:49]
	global_load_ubyte v20, v[20:21], off
	s_nop 0
	global_load_ubyte v21, v[22:23], off
	s_add_u32 s50, s48, 1
	s_addc_u32 s51, s49, 0
	s_andn2_b64 s[46:47], s[46:47], exec
	s_waitcnt vmcnt(0)
	v_cmp_ne_u16_e32 vcc, v20, v21
	s_and_b64 s[54:55], vcc, exec
	s_or_b64 s[46:47], s[46:47], s[54:55]
.LBB346_302:                            ;   in Loop: Header=BB346_303 Depth=1
	s_and_b64 s[54:55], exec, s[46:47]
	s_or_b64 s[44:45], s[54:55], s[44:45]
	v_mov_b64_e32 v[20:21], s[48:49]
	s_mov_b64 s[48:49], s[50:51]
	s_andn2_b64 exec, exec, s[44:45]
	s_cbranch_execz .LBB346_305
.LBB346_303:                            ; =>This Inner Loop Header: Depth=1
	s_or_b64 s[46:47], s[46:47], exec
	s_cmp_eq_u64 s[26:27], s[48:49]
	s_cbranch_scc0 .LBB346_301
; %bb.304:                              ;   in Loop: Header=BB346_303 Depth=1
                                        ; implicit-def: $sgpr50_sgpr51
	s_mov_b64 s[48:49], s[26:27]
	s_branch .LBB346_302
.LBB346_305:
	s_or_b64 exec, exec, s[44:45]
	v_cmp_gt_i64_e32 vcc, s[26:27], v[20:21]
	s_orn2_b64 s[44:45], vcc, exec
.LBB346_306:
	s_or_b64 exec, exec, s[38:39]
.LBB346_307:
	s_and_b64 s[38:39], s[44:45], exec
.LBB346_308:
	s_or_b64 exec, exec, s[42:43]
	s_waitcnt vmcnt(0) lgkmcnt(1)
	v_cndmask_b32_e64 v17, 0, 1, s[14:15]
	v_cndmask_b32_e64 v16, 0, 1, s[40:41]
	;; [unrolled: 1-line block ×3, first 2 shown]
	v_lshlrev_b16_e32 v17, 8, v17
	v_cndmask_b32_e64 v32, 0, 1, s[12:13]
	v_cndmask_b32_e64 v18, 0, 1, s[38:39]
	v_or_b32_sdwa v16, v16, v17 dst_sel:WORD_1 dst_unused:UNUSED_PAD src0_sel:DWORD src1_sel:DWORD
	v_lshlrev_b16_e32 v17, 8, v33
	v_lshlrev_b16_e32 v18, 8, v18
	v_or_b32_e32 v17, v32, v17
	v_or_b32_e32 v18, 1, v18
	v_and_b32_e32 v17, 0xffff, v17
	v_cndmask_b32_e64 v34, 0, 1, s[4:5]
	v_or_b32_sdwa v16, v18, v16 dst_sel:DWORD dst_unused:UNUSED_PAD src0_sel:WORD_0 src1_sel:DWORD
	v_lshl_or_b32 v17, v34, 16, v17
	s_waitcnt lgkmcnt(0)
	s_barrier
	s_waitcnt lgkmcnt(0)
                                        ; implicit-def: $sgpr12_sgpr13
                                        ; implicit-def: $vgpr20
	s_and_saveexec_b64 s[4:5], s[2:3]
	s_cbranch_execz .LBB346_321
; %bb.309:
	v_cmp_gt_u32_e32 vcc, s52, v1
	s_mov_b32 s38, 0x3020104
	s_mov_b64 s[10:11], 0
	s_and_saveexec_b64 s[2:3], vcc
	s_cbranch_execz .LBB346_320
; %bb.310:
	s_andn2_b64 vcc, exec, s[6:7]
	s_cbranch_vccnz .LBB346_319
; %bb.311:
	v_add_u32_e32 v17, -8, v30
	ds_read_b64 v[18:19], v17
	v_mov_b64_e32 v[20:21], s[28:29]
	s_mov_b64 s[10:11], -1
	s_waitcnt lgkmcnt(0)
	v_mul_lo_u32 v17, v18, s27
	v_mul_lo_u32 v22, v19, s26
	v_mad_u64_u32 v[18:19], s[6:7], v18, s26, v[20:21]
	v_add3_u32 v19, v22, v19, v17
	v_mad_u64_u32 v[20:21], s[6:7], v10, s26, v[20:21]
	v_mul_lo_u32 v17, v10, s27
	v_mul_lo_u32 v22, v11, s26
	v_add3_u32 v21, v22, v21, v17
	global_load_ubyte v17, v[18:19], off
	global_load_ubyte v22, v[20:21], off
	s_waitcnt vmcnt(0)
	v_cmp_eq_u16_e32 vcc, v17, v22
	s_and_saveexec_b64 s[6:7], vcc
	s_cbranch_execz .LBB346_318
; %bb.312:
	s_mov_b64 s[14:15], 1
	s_mov_b64 s[10:11], 0
                                        ; implicit-def: $sgpr12_sgpr13
	s_branch .LBB346_315
.LBB346_313:                            ;   in Loop: Header=BB346_315 Depth=1
	v_lshl_add_u64 v[22:23], v[18:19], 0, s[14:15]
	v_lshl_add_u64 v[30:31], v[20:21], 0, s[14:15]
	global_load_ubyte v17, v[22:23], off
	global_load_ubyte v35, v[30:31], off
	s_add_u32 s28, s14, 1
	s_addc_u32 s29, s15, 0
	s_andn2_b64 s[12:13], s[12:13], exec
	s_waitcnt vmcnt(0)
	v_cmp_ne_u16_e32 vcc, v17, v35
	s_and_b64 s[40:41], vcc, exec
	s_or_b64 s[12:13], s[12:13], s[40:41]
.LBB346_314:                            ;   in Loop: Header=BB346_315 Depth=1
	s_and_b64 s[40:41], exec, s[12:13]
	s_or_b64 s[10:11], s[40:41], s[10:11]
	v_mov_b64_e32 v[22:23], s[14:15]
	s_mov_b64 s[14:15], s[28:29]
	s_andn2_b64 exec, exec, s[10:11]
	s_cbranch_execz .LBB346_317
.LBB346_315:                            ; =>This Inner Loop Header: Depth=1
	s_or_b64 s[12:13], s[12:13], exec
	s_cmp_eq_u64 s[26:27], s[14:15]
	s_cbranch_scc0 .LBB346_313
; %bb.316:                              ;   in Loop: Header=BB346_315 Depth=1
                                        ; implicit-def: $sgpr28_sgpr29
	s_mov_b64 s[14:15], s[26:27]
	s_branch .LBB346_314
.LBB346_317:
	s_or_b64 exec, exec, s[10:11]
	v_cmp_gt_i64_e32 vcc, s[26:27], v[22:23]
	s_orn2_b64 s[10:11], vcc, exec
.LBB346_318:
	s_or_b64 exec, exec, s[6:7]
.LBB346_319:
	s_and_b64 s[10:11], s[10:11], exec
.LBB346_320:
	s_or_b64 exec, exec, s[2:3]
	v_perm_b32 v20, v16, v16, s38
	s_and_b64 s[12:13], s[10:11], exec
	s_or_b64 s[8:9], s[8:9], exec
                                        ; implicit-def: $vgpr16_vgpr17
.LBB346_321:
	s_or_b64 exec, exec, s[4:5]
.LBB346_322:
	s_and_saveexec_b64 s[2:3], s[8:9]
	s_cbranch_execz .LBB346_324
; %bb.323:
	s_waitcnt vmcnt(0) lgkmcnt(0)
	v_lshlrev_b16_e32 v17, 8, v33
	v_and_b32_e32 v18, 0xff, v34
	v_or_b32_sdwa v17, v32, v17 dst_sel:DWORD dst_unused:UNUSED_PAD src0_sel:BYTE_0 src1_sel:DWORD
	v_lshlrev_b32_e32 v18, 16, v18
	s_movk_i32 s4, 0xff
	v_or_b32_sdwa v17, v17, v18 dst_sel:DWORD dst_unused:UNUSED_PAD src0_sel:WORD_0 src1_sel:DWORD
	v_lshrrev_b32_e32 v18, 24, v20
	v_lshlrev_b16_e32 v18, 8, v18
	v_and_b32_sdwa v19, v20, s4 dst_sel:DWORD dst_unused:UNUSED_PAD src0_sel:WORD_1 src1_sel:DWORD
	v_or_b32_sdwa v18, v19, v18 dst_sel:WORD_1 dst_unused:UNUSED_PAD src0_sel:DWORD src1_sel:DWORD
	v_mov_b32_e32 v19, 8
	v_cndmask_b32_e64 v16, 0, 1, s[12:13]
	v_lshrrev_b32_sdwa v19, v19, v20 dst_sel:BYTE_1 dst_unused:UNUSED_PAD src0_sel:DWORD src1_sel:DWORD
	s_nop 0
	v_or_b32_e32 v16, v16, v19
	v_or_b32_sdwa v16, v16, v18 dst_sel:DWORD dst_unused:UNUSED_PAD src0_sel:WORD_0 src1_sel:DWORD
.LBB346_324:
	s_or_b64 exec, exec, s[2:3]
	s_andn2_b64 vcc, exec, s[0:1]
	s_cbranch_vccnz .LBB346_326
; %bb.325:
	s_waitcnt vmcnt(0) lgkmcnt(0)
	v_and_b32_e32 v18, 0xffff0000, v16
	v_cmp_gt_u32_e32 vcc, s52, v1
	s_mov_b32 s0, 0x40c0100
	s_nop 0
	v_cndmask_b32_e32 v1, v18, v16, vcc
	v_and_b32_e32 v1, 0xffff00ff, v1
	v_cmp_gt_u32_e32 vcc, s52, v25
	s_nop 1
	v_cndmask_b32_e32 v1, v1, v16, vcc
	v_lshrrev_b32_e32 v18, 24, v1
	v_perm_b32 v1, v18, v1, s0
	v_cmp_gt_u32_e32 vcc, s52, v24
	v_and_b32_e32 v18, 0xffffff00, v17
	s_nop 0
	v_cndmask_b32_e32 v1, v1, v16, vcc
	v_and_b32_e32 v1, 0xffffff, v1
	v_cmp_gt_u32_e32 vcc, s52, v28
	s_nop 1
	v_cndmask_b32_e32 v1, v1, v16, vcc
	v_cmp_gt_u32_e32 vcc, s52, v26
	s_nop 1
	v_cndmask_b32_e32 v18, v18, v17, vcc
	v_and_b32_e32 v18, 0xffff00ff, v18
	v_cndmask_b32_e32 v1, v1, v16, vcc
	v_cmp_gt_u32_e32 vcc, s52, v29
	s_nop 1
	v_cndmask_b32_e32 v18, v18, v17, vcc
	v_lshrrev_b32_e32 v19, 24, v18
	v_cndmask_b32_e32 v1, v1, v16, vcc
	v_perm_b32 v18, v19, v18, s0
	v_cmp_gt_u32_e32 vcc, s52, v27
	s_mov_b32 s0, 0x3020104
	s_nop 0
	v_cndmask_b32_e32 v1, v1, v16, vcc
	v_cndmask_b32_e32 v16, v18, v17, vcc
	v_mov_b32_e32 v17, 8
	v_lshrrev_b32_sdwa v17, v17, v16 dst_sel:BYTE_1 dst_unused:UNUSED_PAD src0_sel:DWORD src1_sel:DWORD
	s_nop 0
	v_or_b32_sdwa v17, v16, v17 dst_sel:DWORD dst_unused:UNUSED_PAD src0_sel:BYTE_0 src1_sel:DWORD
	v_and_b32_e32 v17, 0xffff, v17
	v_bfe_u32 v16, v16, 16, 8
	v_lshl_or_b32 v17, v16, 16, v17
	v_perm_b32 v16, v1, v1, s0
.LBB346_326:
	s_waitcnt vmcnt(0) lgkmcnt(0)
	v_and_b32_e32 v1, 0xff, v16
	v_bfe_u32 v29, v16, 8, 8
	v_bfe_u32 v31, v16, 16, 8
	v_alignbit_b32 v18, v17, v16, 24
	v_and_b32_e32 v33, 0xff, v18
	v_and_b32_e32 v35, 0xff, v17
	v_add3_u32 v19, v29, v1, v31
	v_bfe_u32 v36, v17, 8, 8
	v_bfe_u32 v18, v17, 16, 8
	v_add3_u32 v19, v19, v33, v35
	v_add3_u32 v39, v19, v36, v18
	v_mbcnt_lo_u32_b32 v18, -1, 0
	v_mbcnt_hi_u32_b32 v37, -1, v18
	v_and_b32_e32 v18, 15, v37
	v_cmp_eq_u32_e64 s[14:15], 0, v18
	v_cmp_lt_u32_e64 s[12:13], 1, v18
	v_cmp_lt_u32_e64 s[10:11], 3, v18
	;; [unrolled: 1-line block ×3, first 2 shown]
	v_and_b32_e32 v18, 16, v37
	v_cmp_eq_u32_e64 s[6:7], 0, v18
	v_or_b32_e32 v18, 63, v0
	v_cmp_lt_u32_e64 s[2:3], 31, v37
	v_lshrrev_b32_e32 v38, 6, v0
	v_cmp_eq_u32_e64 s[4:5], v18, v0
	s_and_b64 vcc, exec, s[16:17]
	s_barrier
	s_cbranch_vccz .LBB346_353
; %bb.327:
	v_mov_b32_dpp v18, v39 row_shr:1 row_mask:0xf bank_mask:0xf
	v_cndmask_b32_e64 v18, v18, 0, s[14:15]
	v_add_u32_e32 v18, v18, v39
	s_nop 1
	v_mov_b32_dpp v19, v18 row_shr:2 row_mask:0xf bank_mask:0xf
	v_cndmask_b32_e64 v19, 0, v19, s[12:13]
	v_add_u32_e32 v18, v18, v19
	s_nop 1
	;; [unrolled: 4-line block ×4, first 2 shown]
	v_mov_b32_dpp v19, v18 row_bcast:15 row_mask:0xf bank_mask:0xf
	v_cndmask_b32_e64 v19, v19, 0, s[6:7]
	v_add_u32_e32 v18, v18, v19
	s_nop 1
	v_mov_b32_dpp v19, v18 row_bcast:31 row_mask:0xf bank_mask:0xf
	v_cndmask_b32_e64 v19, 0, v19, s[2:3]
	v_add_u32_e32 v18, v18, v19
	s_and_saveexec_b64 s[0:1], s[4:5]
	s_cbranch_execz .LBB346_329
; %bb.328:
	v_lshlrev_b32_e32 v19, 2, v38
	ds_write_b32 v19, v18
.LBB346_329:
	s_or_b64 exec, exec, s[0:1]
	v_cmp_gt_u32_e32 vcc, 8, v0
	s_waitcnt lgkmcnt(0)
	s_barrier
	s_and_saveexec_b64 s[0:1], vcc
	s_cbranch_execz .LBB346_331
; %bb.330:
	v_lshlrev_b32_e32 v19, 2, v0
	ds_read_b32 v20, v19
	v_and_b32_e32 v21, 7, v37
	v_cmp_ne_u32_e32 vcc, 0, v21
	s_waitcnt lgkmcnt(0)
	v_mov_b32_dpp v22, v20 row_shr:1 row_mask:0xf bank_mask:0xf
	v_cndmask_b32_e32 v22, 0, v22, vcc
	v_add_u32_e32 v20, v22, v20
	v_cmp_lt_u32_e32 vcc, 1, v21
	s_nop 0
	v_mov_b32_dpp v22, v20 row_shr:2 row_mask:0xf bank_mask:0xf
	v_cndmask_b32_e32 v22, 0, v22, vcc
	v_add_u32_e32 v20, v20, v22
	v_cmp_lt_u32_e32 vcc, 3, v21
	s_nop 0
	v_mov_b32_dpp v22, v20 row_shr:4 row_mask:0xf bank_mask:0xf
	v_cndmask_b32_e32 v21, 0, v22, vcc
	v_add_u32_e32 v20, v20, v21
	ds_write_b32 v19, v20
.LBB346_331:
	s_or_b64 exec, exec, s[0:1]
	v_cmp_gt_u32_e32 vcc, 64, v0
	v_cmp_lt_u32_e64 s[0:1], 63, v0
	s_waitcnt lgkmcnt(0)
	s_barrier
	s_waitcnt lgkmcnt(0)
                                        ; implicit-def: $vgpr28
	s_and_saveexec_b64 s[16:17], s[0:1]
	s_cbranch_execz .LBB346_333
; %bb.332:
	v_lshl_add_u32 v19, v38, 2, -4
	ds_read_b32 v28, v19
	s_waitcnt lgkmcnt(0)
	v_add_u32_e32 v18, v28, v18
.LBB346_333:
	s_or_b64 exec, exec, s[16:17]
	v_add_u32_e32 v19, -1, v37
	v_and_b32_e32 v20, 64, v37
	v_cmp_lt_i32_e64 s[0:1], v19, v20
	v_cmp_eq_u32_e64 s[16:17], 0, v37
	s_nop 0
	v_cndmask_b32_e64 v19, v19, v37, s[0:1]
	v_lshlrev_b32_e32 v19, 2, v19
	ds_bpermute_b32 v30, v19, v18
	s_and_saveexec_b64 s[0:1], vcc
	s_cbranch_execz .LBB346_352
; %bb.334:
	v_mov_b32_e32 v25, 0
	ds_read_b32 v18, v25 offset:28
	s_and_saveexec_b64 s[26:27], s[16:17]
	s_cbranch_execz .LBB346_336
; %bb.335:
	s_add_i32 s28, s33, 64
	s_mov_b32 s29, 0
	s_lshl_b64 s[28:29], s[28:29], 3
	s_add_u32 s28, s30, s28
	v_mov_b32_e32 v19, 1
	s_addc_u32 s29, s31, s29
	s_waitcnt lgkmcnt(0)
	global_store_dwordx2 v25, v[18:19], s[28:29] sc1
.LBB346_336:
	s_or_b64 exec, exec, s[26:27]
	v_xad_u32 v20, v37, -1, s33
	v_add_u32_e32 v24, 64, v20
	v_lshl_add_u64 v[26:27], v[24:25], 3, s[30:31]
	global_load_dwordx2 v[22:23], v[26:27], off sc1
	s_waitcnt vmcnt(0)
	v_cmp_eq_u16_sdwa s[28:29], v23, v25 src0_sel:BYTE_0 src1_sel:DWORD
	s_and_saveexec_b64 s[26:27], s[28:29]
	s_cbranch_execz .LBB346_340
; %bb.337:
	s_mov_b64 s[28:29], 0
	v_mov_b32_e32 v19, 0
.LBB346_338:                            ; =>This Inner Loop Header: Depth=1
	global_load_dwordx2 v[22:23], v[26:27], off sc1
	s_waitcnt vmcnt(0)
	v_cmp_ne_u16_sdwa s[38:39], v23, v19 src0_sel:BYTE_0 src1_sel:DWORD
	s_or_b64 s[28:29], s[38:39], s[28:29]
	s_andn2_b64 exec, exec, s[28:29]
	s_cbranch_execnz .LBB346_338
; %bb.339:
	s_or_b64 exec, exec, s[28:29]
.LBB346_340:
	s_or_b64 exec, exec, s[26:27]
	v_and_b32_e32 v32, 63, v37
	v_mov_b32_e32 v19, 2
	v_cmp_ne_u32_e32 vcc, 63, v32
	v_cmp_eq_u16_sdwa s[26:27], v23, v19 src0_sel:BYTE_0 src1_sel:DWORD
	v_lshlrev_b64 v[24:25], v37, -1
	v_addc_co_u32_e32 v27, vcc, 0, v37, vcc
	v_and_b32_e32 v21, s27, v25
	v_lshlrev_b32_e32 v34, 2, v27
	v_or_b32_e32 v21, 0x80000000, v21
	ds_bpermute_b32 v27, v34, v22
	v_and_b32_e32 v26, s26, v24
	v_ffbl_b32_e32 v21, v21
	v_add_u32_e32 v21, 32, v21
	v_ffbl_b32_e32 v26, v26
	v_min_u32_e32 v21, v26, v21
	v_cmp_lt_u32_e32 vcc, v32, v21
	v_add_u32_e32 v41, 2, v32
	v_add_u32_e32 v43, 4, v32
	s_waitcnt lgkmcnt(0)
	v_cndmask_b32_e32 v26, 0, v27, vcc
	v_cmp_gt_u32_e32 vcc, 62, v32
	v_add_u32_e32 v22, v26, v22
	v_add_u32_e32 v45, 8, v32
	v_cndmask_b32_e64 v26, 0, 1, vcc
	v_lshlrev_b32_e32 v26, 1, v26
	v_add_lshl_u32 v40, v26, v37, 2
	ds_bpermute_b32 v26, v40, v22
	v_cmp_le_u32_e32 vcc, v41, v21
	v_add_u32_e32 v48, 16, v32
	v_add_u32_e32 v50, 32, v32
	s_waitcnt lgkmcnt(0)
	v_cndmask_b32_e32 v26, 0, v26, vcc
	v_cmp_gt_u32_e32 vcc, 60, v32
	v_add_u32_e32 v22, v22, v26
	s_nop 0
	v_cndmask_b32_e64 v26, 0, 1, vcc
	v_lshlrev_b32_e32 v26, 2, v26
	v_add_lshl_u32 v42, v26, v37, 2
	ds_bpermute_b32 v26, v42, v22
	v_cmp_le_u32_e32 vcc, v43, v21
	s_waitcnt lgkmcnt(0)
	s_nop 0
	v_cndmask_b32_e32 v26, 0, v26, vcc
	v_cmp_gt_u32_e32 vcc, 56, v32
	v_add_u32_e32 v22, v22, v26
	s_nop 0
	v_cndmask_b32_e64 v26, 0, 1, vcc
	v_lshlrev_b32_e32 v26, 3, v26
	v_add_lshl_u32 v44, v26, v37, 2
	ds_bpermute_b32 v26, v44, v22
	v_cmp_le_u32_e32 vcc, v45, v21
	s_waitcnt lgkmcnt(0)
	s_nop 0
	;; [unrolled: 11-line block ×4, first 2 shown]
	v_cndmask_b32_e32 v21, 0, v26, vcc
	v_add_u32_e32 v22, v22, v21
	v_mov_b32_e32 v21, 0
	s_branch .LBB346_342
.LBB346_341:                            ;   in Loop: Header=BB346_342 Depth=1
	s_or_b64 exec, exec, s[26:27]
	v_cmp_eq_u16_sdwa s[26:27], v23, v19 src0_sel:BYTE_0 src1_sel:DWORD
	ds_bpermute_b32 v51, v34, v22
	v_subrev_u32_e32 v20, 64, v20
	v_and_b32_e32 v26, s27, v25
	v_or_b32_e32 v26, 0x80000000, v26
	v_and_b32_e32 v27, s26, v24
	v_ffbl_b32_e32 v26, v26
	v_add_u32_e32 v26, 32, v26
	v_ffbl_b32_e32 v27, v27
	v_min_u32_e32 v26, v27, v26
	v_cmp_lt_u32_e32 vcc, v32, v26
	s_waitcnt lgkmcnt(0)
	s_nop 0
	v_cndmask_b32_e32 v27, 0, v51, vcc
	v_add_u32_e32 v22, v27, v22
	ds_bpermute_b32 v27, v40, v22
	v_cmp_le_u32_e32 vcc, v41, v26
	s_waitcnt lgkmcnt(0)
	s_nop 0
	v_cndmask_b32_e32 v27, 0, v27, vcc
	v_add_u32_e32 v22, v22, v27
	ds_bpermute_b32 v27, v42, v22
	v_cmp_le_u32_e32 vcc, v43, v26
	;; [unrolled: 6-line block ×5, first 2 shown]
	s_waitcnt lgkmcnt(0)
	s_nop 0
	v_cndmask_b32_e32 v26, 0, v27, vcc
	v_add3_u32 v22, v26, v46, v22
.LBB346_342:                            ; =>This Loop Header: Depth=1
                                        ;     Child Loop BB346_345 Depth 2
	v_cmp_ne_u16_sdwa s[26:27], v23, v19 src0_sel:BYTE_0 src1_sel:DWORD
	v_mov_b32_e32 v46, v22
	s_nop 0
	v_cndmask_b32_e64 v23, 0, 1, s[26:27]
	;;#ASMSTART
	;;#ASMEND
	s_nop 0
	v_cmp_ne_u32_e32 vcc, 0, v23
	s_cmp_lg_u64 vcc, exec
	s_cbranch_scc1 .LBB346_347
; %bb.343:                              ;   in Loop: Header=BB346_342 Depth=1
	v_lshl_add_u64 v[26:27], v[20:21], 3, s[30:31]
	global_load_dwordx2 v[22:23], v[26:27], off sc1
	s_waitcnt vmcnt(0)
	v_cmp_eq_u16_sdwa s[28:29], v23, v21 src0_sel:BYTE_0 src1_sel:DWORD
	s_and_saveexec_b64 s[26:27], s[28:29]
	s_cbranch_execz .LBB346_341
; %bb.344:                              ;   in Loop: Header=BB346_342 Depth=1
	s_mov_b64 s[28:29], 0
.LBB346_345:                            ;   Parent Loop BB346_342 Depth=1
                                        ; =>  This Inner Loop Header: Depth=2
	global_load_dwordx2 v[22:23], v[26:27], off sc1
	s_waitcnt vmcnt(0)
	v_cmp_ne_u16_sdwa s[38:39], v23, v21 src0_sel:BYTE_0 src1_sel:DWORD
	s_or_b64 s[28:29], s[38:39], s[28:29]
	s_andn2_b64 exec, exec, s[28:29]
	s_cbranch_execnz .LBB346_345
; %bb.346:                              ;   in Loop: Header=BB346_342 Depth=1
	s_or_b64 exec, exec, s[28:29]
	s_branch .LBB346_341
.LBB346_347:                            ;   in Loop: Header=BB346_342 Depth=1
                                        ; implicit-def: $vgpr22
                                        ; implicit-def: $vgpr23
	s_cbranch_execz .LBB346_342
; %bb.348:
	s_and_saveexec_b64 s[26:27], s[16:17]
	s_cbranch_execz .LBB346_350
; %bb.349:
	s_add_i32 s28, s33, 64
	s_mov_b32 s29, 0
	s_lshl_b64 s[28:29], s[28:29], 3
	s_add_u32 s28, s30, s28
	v_add_u32_e32 v20, v46, v18
	v_mov_b32_e32 v21, 2
	s_addc_u32 s29, s31, s29
	v_mov_b32_e32 v19, 0
	global_store_dwordx2 v19, v[20:21], s[28:29] sc1
	s_movk_i32 s28, 0x7000
	v_add_u32_e64 v19, s28, 0
	ds_write2_b32 v19, v18, v46 offset1:2
.LBB346_350:
	s_or_b64 exec, exec, s[26:27]
	s_and_b64 exec, exec, s[18:19]
	s_cbranch_execz .LBB346_352
; %bb.351:
	v_mov_b32_e32 v18, 0
	ds_write_b32 v18, v46 offset:28
.LBB346_352:
	s_or_b64 exec, exec, s[0:1]
	v_mov_b32_e32 v18, 0
	s_waitcnt lgkmcnt(0)
	s_barrier
	ds_read_b32 v18, v18 offset:28
	v_cndmask_b32_e64 v19, v30, v28, s[16:17]
	v_cndmask_b32_e64 v19, v19, 0, s[18:19]
	s_movk_i32 s0, 0x7000
	s_waitcnt lgkmcnt(0)
	v_add_u32_e32 v34, v18, v19
	v_add_u32_e32 v32, v34, v1
	v_add_u32_e64 v18, s0, 0
	v_add_u32_e32 v30, v32, v29
	s_barrier
	ds_read2_b32 v[18:19], v18 offset1:2
	v_add_u32_e32 v28, v30, v31
	v_add_u32_e32 v26, v28, v33
	;; [unrolled: 1-line block ×4, first 2 shown]
	v_lshrrev_b64 v[20:21], 24, v[16:17]
	s_branch .LBB346_363
.LBB346_353:
                                        ; implicit-def: $vgpr22
                                        ; implicit-def: $vgpr24
                                        ; implicit-def: $vgpr26
                                        ; implicit-def: $vgpr28
                                        ; implicit-def: $vgpr30
                                        ; implicit-def: $vgpr32
                                        ; implicit-def: $vgpr34
                                        ; implicit-def: $vgpr19
	v_lshrrev_b64 v[20:21], 24, v[16:17]
	s_cbranch_execz .LBB346_363
; %bb.354:
	s_waitcnt lgkmcnt(0)
	v_mov_b32_dpp v18, v39 row_shr:1 row_mask:0xf bank_mask:0xf
	v_cndmask_b32_e64 v18, v18, 0, s[14:15]
	v_add_u32_e32 v18, v18, v39
	s_nop 1
	v_mov_b32_dpp v19, v18 row_shr:2 row_mask:0xf bank_mask:0xf
	v_cndmask_b32_e64 v19, 0, v19, s[12:13]
	v_add_u32_e32 v18, v18, v19
	s_nop 1
	;; [unrolled: 4-line block ×4, first 2 shown]
	v_mov_b32_dpp v19, v18 row_bcast:15 row_mask:0xf bank_mask:0xf
	v_cndmask_b32_e64 v19, v19, 0, s[6:7]
	v_add_u32_e32 v18, v18, v19
	s_nop 1
	v_mov_b32_dpp v19, v18 row_bcast:31 row_mask:0xf bank_mask:0xf
	v_cndmask_b32_e64 v19, 0, v19, s[2:3]
	v_add_u32_e32 v18, v18, v19
	s_and_saveexec_b64 s[0:1], s[4:5]
	s_cbranch_execz .LBB346_356
; %bb.355:
	v_lshlrev_b32_e32 v19, 2, v38
	ds_write_b32 v19, v18
.LBB346_356:
	s_or_b64 exec, exec, s[0:1]
	v_cmp_gt_u32_e32 vcc, 8, v0
	s_waitcnt lgkmcnt(0)
	s_barrier
	s_and_saveexec_b64 s[0:1], vcc
	s_cbranch_execz .LBB346_358
; %bb.357:
	v_lshlrev_b32_e32 v19, 2, v0
	ds_read_b32 v21, v19
	v_and_b32_e32 v22, 7, v37
	v_cmp_ne_u32_e32 vcc, 0, v22
	s_waitcnt lgkmcnt(0)
	v_mov_b32_dpp v23, v21 row_shr:1 row_mask:0xf bank_mask:0xf
	v_cndmask_b32_e32 v23, 0, v23, vcc
	v_add_u32_e32 v21, v23, v21
	v_cmp_lt_u32_e32 vcc, 1, v22
	s_nop 0
	v_mov_b32_dpp v23, v21 row_shr:2 row_mask:0xf bank_mask:0xf
	v_cndmask_b32_e32 v23, 0, v23, vcc
	v_add_u32_e32 v21, v21, v23
	v_cmp_lt_u32_e32 vcc, 3, v22
	s_nop 0
	v_mov_b32_dpp v23, v21 row_shr:4 row_mask:0xf bank_mask:0xf
	v_cndmask_b32_e32 v22, 0, v23, vcc
	v_add_u32_e32 v21, v21, v22
	ds_write_b32 v19, v21
.LBB346_358:
	s_or_b64 exec, exec, s[0:1]
	v_cmp_lt_u32_e32 vcc, 63, v0
	v_mov_b32_e32 v19, 0
	v_mov_b32_e32 v21, 0
	s_waitcnt lgkmcnt(0)
	s_barrier
	s_and_saveexec_b64 s[0:1], vcc
	s_cbranch_execz .LBB346_360
; %bb.359:
	v_lshl_add_u32 v21, v38, 2, -4
	ds_read_b32 v21, v21
.LBB346_360:
	s_or_b64 exec, exec, s[0:1]
	v_add_u32_e32 v22, -1, v37
	v_and_b32_e32 v23, 64, v37
	v_cmp_lt_i32_e32 vcc, v22, v23
	s_waitcnt lgkmcnt(0)
	v_add_u32_e32 v18, v21, v18
	v_cndmask_b32_e32 v22, v22, v37, vcc
	v_lshlrev_b32_e32 v22, 2, v22
	ds_bpermute_b32 v22, v22, v18
	ds_read_b32 v18, v19 offset:28
	s_and_saveexec_b64 s[0:1], s[18:19]
	s_cbranch_execz .LBB346_362
; %bb.361:
	v_mov_b32_e32 v23, 0
	v_mov_b32_e32 v19, 2
	s_waitcnt lgkmcnt(0)
	global_store_dwordx2 v23, v[18:19], s[30:31] offset:512 sc1
.LBB346_362:
	s_or_b64 exec, exec, s[0:1]
	v_cmp_eq_u32_e32 vcc, 0, v37
	v_mov_b32_e32 v19, 0
	s_waitcnt lgkmcnt(0)
	v_cndmask_b32_e32 v21, v22, v21, vcc
	v_cndmask_b32_e64 v34, v21, 0, s[18:19]
	v_add_u32_e32 v32, v34, v1
	v_add_u32_e32 v30, v32, v29
	;; [unrolled: 1-line block ×6, first 2 shown]
	s_barrier
.LBB346_363:
	s_movk_i32 s0, 0x201
	s_waitcnt lgkmcnt(0)
	v_cmp_gt_u32_e32 vcc, s0, v18
	v_lshrrev_b32_e32 v21, 8, v16
	v_lshrrev_b32_e32 v1, 8, v17
	s_mov_b64 s[0:1], -1
	s_cbranch_vccnz .LBB346_367
; %bb.364:
	s_and_b64 vcc, exec, s[0:1]
	s_cbranch_vccnz .LBB346_389
.LBB346_365:
	s_and_b64 s[0:1], s[18:19], s[24:25]
	s_and_saveexec_b64 s[2:3], s[0:1]
	s_cbranch_execnz .LBB346_407
.LBB346_366:
	s_endpgm
.LBB346_367:
	v_add_u32_e32 v23, v19, v18
	v_cmp_lt_u32_e32 vcc, v34, v23
	s_or_b64 s[2:3], s[36:37], vcc
	s_and_saveexec_b64 s[0:1], s[2:3]
	s_cbranch_execz .LBB346_370
; %bb.368:
	v_and_b32_e32 v25, 1, v16
	v_cmp_eq_u32_e32 vcc, 1, v25
	s_and_b64 exec, exec, vcc
	s_cbranch_execz .LBB346_370
; %bb.369:
	s_lshl_b64 s[2:3], s[22:23], 3
	s_add_u32 s2, s34, s2
	s_addc_u32 s3, s35, s3
	v_mov_b32_e32 v35, 0
	v_lshl_add_u64 v[36:37], v[34:35], 3, s[2:3]
	global_store_dwordx2 v[36:37], v[10:11], off
.LBB346_370:
	s_or_b64 exec, exec, s[0:1]
	v_cmp_lt_u32_e32 vcc, v32, v23
	s_or_b64 s[2:3], s[36:37], vcc
	s_and_saveexec_b64 s[0:1], s[2:3]
	s_cbranch_execz .LBB346_373
; %bb.371:
	v_and_b32_e32 v25, 1, v21
	v_cmp_eq_u32_e32 vcc, 1, v25
	s_and_b64 exec, exec, vcc
	s_cbranch_execz .LBB346_373
; %bb.372:
	s_lshl_b64 s[2:3], s[22:23], 3
	s_add_u32 s2, s34, s2
	s_addc_u32 s3, s35, s3
	v_mov_b32_e32 v33, 0
	v_lshl_add_u64 v[36:37], v[32:33], 3, s[2:3]
	global_store_dwordx2 v[36:37], v[12:13], off
.LBB346_373:
	s_or_b64 exec, exec, s[0:1]
	v_cmp_lt_u32_e32 vcc, v30, v23
	s_or_b64 s[2:3], s[36:37], vcc
	s_and_saveexec_b64 s[0:1], s[2:3]
	s_cbranch_execz .LBB346_376
; %bb.374:
	v_mov_b32_e32 v25, 1
	v_and_b32_sdwa v25, v25, v16 dst_sel:DWORD dst_unused:UNUSED_PAD src0_sel:DWORD src1_sel:WORD_1
	v_cmp_eq_u32_e32 vcc, 1, v25
	s_and_b64 exec, exec, vcc
	s_cbranch_execz .LBB346_376
; %bb.375:
	s_lshl_b64 s[2:3], s[22:23], 3
	s_add_u32 s2, s34, s2
	s_addc_u32 s3, s35, s3
	v_mov_b32_e32 v31, 0
	v_lshl_add_u64 v[36:37], v[30:31], 3, s[2:3]
	global_store_dwordx2 v[36:37], v[6:7], off
.LBB346_376:
	s_or_b64 exec, exec, s[0:1]
	v_cmp_lt_u32_e32 vcc, v28, v23
	s_or_b64 s[2:3], s[36:37], vcc
	s_and_saveexec_b64 s[0:1], s[2:3]
	s_cbranch_execz .LBB346_379
; %bb.377:
	v_and_b32_e32 v25, 1, v20
	v_cmp_eq_u32_e32 vcc, 1, v25
	s_and_b64 exec, exec, vcc
	s_cbranch_execz .LBB346_379
; %bb.378:
	s_lshl_b64 s[2:3], s[22:23], 3
	s_add_u32 s2, s34, s2
	s_addc_u32 s3, s35, s3
	v_mov_b32_e32 v29, 0
	v_lshl_add_u64 v[36:37], v[28:29], 3, s[2:3]
	global_store_dwordx2 v[36:37], v[8:9], off
.LBB346_379:
	s_or_b64 exec, exec, s[0:1]
	v_cmp_lt_u32_e32 vcc, v26, v23
	s_or_b64 s[2:3], s[36:37], vcc
	s_and_saveexec_b64 s[0:1], s[2:3]
	s_cbranch_execz .LBB346_382
; %bb.380:
	v_and_b32_e32 v25, 1, v17
	v_cmp_eq_u32_e32 vcc, 1, v25
	s_and_b64 exec, exec, vcc
	s_cbranch_execz .LBB346_382
; %bb.381:
	s_lshl_b64 s[2:3], s[22:23], 3
	s_add_u32 s2, s34, s2
	s_addc_u32 s3, s35, s3
	v_mov_b32_e32 v27, 0
	v_lshl_add_u64 v[36:37], v[26:27], 3, s[2:3]
	global_store_dwordx2 v[36:37], v[2:3], off
.LBB346_382:
	s_or_b64 exec, exec, s[0:1]
	v_cmp_lt_u32_e32 vcc, v24, v23
	s_or_b64 s[2:3], s[36:37], vcc
	s_and_saveexec_b64 s[0:1], s[2:3]
	s_cbranch_execz .LBB346_385
; %bb.383:
	v_and_b32_e32 v25, 1, v1
	v_cmp_eq_u32_e32 vcc, 1, v25
	s_and_b64 exec, exec, vcc
	s_cbranch_execz .LBB346_385
; %bb.384:
	s_lshl_b64 s[2:3], s[22:23], 3
	s_add_u32 s2, s34, s2
	s_addc_u32 s3, s35, s3
	v_mov_b32_e32 v25, 0
	v_lshl_add_u64 v[36:37], v[24:25], 3, s[2:3]
	global_store_dwordx2 v[36:37], v[4:5], off
.LBB346_385:
	s_or_b64 exec, exec, s[0:1]
	v_cmp_lt_u32_e32 vcc, v22, v23
	s_or_b64 s[2:3], s[36:37], vcc
	s_and_saveexec_b64 s[0:1], s[2:3]
	s_cbranch_execz .LBB346_388
; %bb.386:
	v_mov_b32_e32 v23, 1
	v_and_b32_sdwa v23, v23, v17 dst_sel:DWORD dst_unused:UNUSED_PAD src0_sel:DWORD src1_sel:WORD_1
	v_cmp_eq_u32_e32 vcc, 1, v23
	s_and_b64 exec, exec, vcc
	s_cbranch_execz .LBB346_388
; %bb.387:
	s_lshl_b64 s[2:3], s[22:23], 3
	s_add_u32 s2, s34, s2
	s_addc_u32 s3, s35, s3
	v_mov_b32_e32 v23, 0
	v_lshl_add_u64 v[36:37], v[22:23], 3, s[2:3]
	global_store_dwordx2 v[36:37], v[14:15], off
.LBB346_388:
	s_or_b64 exec, exec, s[0:1]
	s_branch .LBB346_365
.LBB346_389:
	v_and_b32_e32 v23, 1, v16
	v_cmp_eq_u32_e32 vcc, 1, v23
	s_and_saveexec_b64 s[0:1], vcc
	s_cbranch_execz .LBB346_391
; %bb.390:
	v_sub_u32_e32 v23, v34, v19
	v_lshlrev_b32_e32 v23, 3, v23
	ds_write_b64 v23, v[10:11]
.LBB346_391:
	s_or_b64 exec, exec, s[0:1]
	v_and_b32_e32 v10, 1, v21
	v_cmp_eq_u32_e32 vcc, 1, v10
	s_and_saveexec_b64 s[0:1], vcc
	s_cbranch_execz .LBB346_393
; %bb.392:
	v_sub_u32_e32 v10, v32, v19
	v_lshlrev_b32_e32 v10, 3, v10
	ds_write_b64 v10, v[12:13]
.LBB346_393:
	s_or_b64 exec, exec, s[0:1]
	v_mov_b32_e32 v10, 1
	v_and_b32_sdwa v10, v10, v16 dst_sel:DWORD dst_unused:UNUSED_PAD src0_sel:DWORD src1_sel:WORD_1
	v_cmp_eq_u32_e32 vcc, 1, v10
	s_and_saveexec_b64 s[0:1], vcc
	s_cbranch_execz .LBB346_395
; %bb.394:
	v_sub_u32_e32 v10, v30, v19
	v_lshlrev_b32_e32 v10, 3, v10
	ds_write_b64 v10, v[6:7]
.LBB346_395:
	s_or_b64 exec, exec, s[0:1]
	v_and_b32_e32 v6, 1, v20
	v_cmp_eq_u32_e32 vcc, 1, v6
	s_and_saveexec_b64 s[0:1], vcc
	s_cbranch_execz .LBB346_397
; %bb.396:
	v_sub_u32_e32 v6, v28, v19
	v_lshlrev_b32_e32 v6, 3, v6
	ds_write_b64 v6, v[8:9]
.LBB346_397:
	s_or_b64 exec, exec, s[0:1]
	v_and_b32_e32 v6, 1, v17
	;; [unrolled: 10-line block ×3, first 2 shown]
	v_cmp_eq_u32_e32 vcc, 1, v1
	s_and_saveexec_b64 s[0:1], vcc
	s_cbranch_execz .LBB346_401
; %bb.400:
	v_sub_u32_e32 v1, v24, v19
	v_lshlrev_b32_e32 v1, 3, v1
	ds_write_b64 v1, v[4:5]
.LBB346_401:
	s_or_b64 exec, exec, s[0:1]
	v_mov_b32_e32 v1, 1
	v_and_b32_sdwa v1, v1, v17 dst_sel:DWORD dst_unused:UNUSED_PAD src0_sel:DWORD src1_sel:WORD_1
	v_cmp_eq_u32_e32 vcc, 1, v1
	s_and_saveexec_b64 s[0:1], vcc
	s_cbranch_execz .LBB346_403
; %bb.402:
	v_sub_u32_e32 v1, v22, v19
	v_lshlrev_b32_e32 v1, 3, v1
	ds_write_b64 v1, v[14:15]
.LBB346_403:
	s_or_b64 exec, exec, s[0:1]
	v_cmp_lt_u32_e32 vcc, v0, v18
	s_waitcnt lgkmcnt(0)
	s_barrier
	s_and_saveexec_b64 s[0:1], vcc
	s_cbranch_execz .LBB346_406
; %bb.404:
	v_mov_b32_e32 v5, 0
	v_mov_b32_e32 v4, v19
	s_lshl_b64 s[2:3], s[22:23], 3
	v_lshlrev_b64 v[6:7], 3, v[4:5]
	v_lshl_add_u64 v[6:7], s[2:3], 0, v[6:7]
	v_lshlrev_b32_e32 v2, 3, v0
	v_mov_b32_e32 v3, v5
	v_lshl_add_u64 v[4:5], s[34:35], 0, v[6:7]
	v_lshl_add_u64 v[4:5], v[4:5], 0, v[2:3]
	s_mov_b64 s[2:3], 0
	s_mov_b64 s[4:5], 0x1000
.LBB346_405:                            ; =>This Inner Loop Header: Depth=1
	ds_read_b64 v[6:7], v2
	v_add_u32_e32 v0, 0x200, v0
	v_cmp_ge_u32_e32 vcc, v0, v18
	v_add_u32_e32 v2, 0x1000, v2
	s_or_b64 s[2:3], vcc, s[2:3]
	s_waitcnt lgkmcnt(0)
	global_store_dwordx2 v[4:5], v[6:7], off
	v_lshl_add_u64 v[4:5], v[4:5], 0, s[4:5]
	s_andn2_b64 exec, exec, s[2:3]
	s_cbranch_execnz .LBB346_405
.LBB346_406:
	s_or_b64 exec, exec, s[0:1]
	s_and_b64 s[0:1], s[18:19], s[24:25]
	s_and_saveexec_b64 s[2:3], s[0:1]
	s_cbranch_execz .LBB346_366
.LBB346_407:
	v_mov_b32_e32 v1, 0
	v_mov_b32_e32 v0, v18
	v_lshl_add_u64 v[2:3], s[22:23], 0, v[0:1]
	v_mov_b32_e32 v0, v19
	v_lshl_add_u64 v[2:3], v[2:3], 0, v[0:1]
	global_store_dwordx2 v1, v[2:3], s[20:21]
	s_endpgm
	.section	.rodata,"a",@progbits
	.p2align	6, 0x0
	.amdhsa_kernel _ZN7rocprim17ROCPRIM_400000_NS6detail17trampoline_kernelINS0_14default_configENS1_25partition_config_selectorILNS1_17partition_subalgoE8ElNS0_10empty_typeEbEEZZNS1_14partition_implILS5_8ELb0ES3_jPlPS6_PKS6_NS0_5tupleIJS9_S6_EEENSD_IJSA_SA_EEENS0_18inequality_wrapperIZN2at6native12_GLOBAL__N_124unique_dim_cuda_templateIaEESt5tupleIJNSH_6TensorESM_SM_EERKSM_lbbbEUlllE0_EEPmJS6_EEE10hipError_tPvRmT3_T4_T5_T6_T7_T9_mT8_P12ihipStream_tbDpT10_ENKUlT_T0_E_clISt17integral_constantIbLb0EES1B_IbLb1EEEEDaS17_S18_EUlS17_E_NS1_11comp_targetILNS1_3genE5ELNS1_11target_archE942ELNS1_3gpuE9ELNS1_3repE0EEENS1_30default_config_static_selectorELNS0_4arch9wavefront6targetE1EEEvT1_
		.amdhsa_group_segment_fixed_size 28684
		.amdhsa_private_segment_fixed_size 0
		.amdhsa_kernarg_size 136
		.amdhsa_user_sgpr_count 2
		.amdhsa_user_sgpr_dispatch_ptr 0
		.amdhsa_user_sgpr_queue_ptr 0
		.amdhsa_user_sgpr_kernarg_segment_ptr 1
		.amdhsa_user_sgpr_dispatch_id 0
		.amdhsa_user_sgpr_kernarg_preload_length 0
		.amdhsa_user_sgpr_kernarg_preload_offset 0
		.amdhsa_user_sgpr_private_segment_size 0
		.amdhsa_uses_dynamic_stack 0
		.amdhsa_enable_private_segment 0
		.amdhsa_system_sgpr_workgroup_id_x 1
		.amdhsa_system_sgpr_workgroup_id_y 0
		.amdhsa_system_sgpr_workgroup_id_z 0
		.amdhsa_system_sgpr_workgroup_info 0
		.amdhsa_system_vgpr_workitem_id 0
		.amdhsa_next_free_vgpr 52
		.amdhsa_next_free_sgpr 56
		.amdhsa_accum_offset 52
		.amdhsa_reserve_vcc 1
		.amdhsa_float_round_mode_32 0
		.amdhsa_float_round_mode_16_64 0
		.amdhsa_float_denorm_mode_32 3
		.amdhsa_float_denorm_mode_16_64 3
		.amdhsa_dx10_clamp 1
		.amdhsa_ieee_mode 1
		.amdhsa_fp16_overflow 0
		.amdhsa_tg_split 0
		.amdhsa_exception_fp_ieee_invalid_op 0
		.amdhsa_exception_fp_denorm_src 0
		.amdhsa_exception_fp_ieee_div_zero 0
		.amdhsa_exception_fp_ieee_overflow 0
		.amdhsa_exception_fp_ieee_underflow 0
		.amdhsa_exception_fp_ieee_inexact 0
		.amdhsa_exception_int_div_zero 0
	.end_amdhsa_kernel
	.section	.text._ZN7rocprim17ROCPRIM_400000_NS6detail17trampoline_kernelINS0_14default_configENS1_25partition_config_selectorILNS1_17partition_subalgoE8ElNS0_10empty_typeEbEEZZNS1_14partition_implILS5_8ELb0ES3_jPlPS6_PKS6_NS0_5tupleIJS9_S6_EEENSD_IJSA_SA_EEENS0_18inequality_wrapperIZN2at6native12_GLOBAL__N_124unique_dim_cuda_templateIaEESt5tupleIJNSH_6TensorESM_SM_EERKSM_lbbbEUlllE0_EEPmJS6_EEE10hipError_tPvRmT3_T4_T5_T6_T7_T9_mT8_P12ihipStream_tbDpT10_ENKUlT_T0_E_clISt17integral_constantIbLb0EES1B_IbLb1EEEEDaS17_S18_EUlS17_E_NS1_11comp_targetILNS1_3genE5ELNS1_11target_archE942ELNS1_3gpuE9ELNS1_3repE0EEENS1_30default_config_static_selectorELNS0_4arch9wavefront6targetE1EEEvT1_,"axG",@progbits,_ZN7rocprim17ROCPRIM_400000_NS6detail17trampoline_kernelINS0_14default_configENS1_25partition_config_selectorILNS1_17partition_subalgoE8ElNS0_10empty_typeEbEEZZNS1_14partition_implILS5_8ELb0ES3_jPlPS6_PKS6_NS0_5tupleIJS9_S6_EEENSD_IJSA_SA_EEENS0_18inequality_wrapperIZN2at6native12_GLOBAL__N_124unique_dim_cuda_templateIaEESt5tupleIJNSH_6TensorESM_SM_EERKSM_lbbbEUlllE0_EEPmJS6_EEE10hipError_tPvRmT3_T4_T5_T6_T7_T9_mT8_P12ihipStream_tbDpT10_ENKUlT_T0_E_clISt17integral_constantIbLb0EES1B_IbLb1EEEEDaS17_S18_EUlS17_E_NS1_11comp_targetILNS1_3genE5ELNS1_11target_archE942ELNS1_3gpuE9ELNS1_3repE0EEENS1_30default_config_static_selectorELNS0_4arch9wavefront6targetE1EEEvT1_,comdat
.Lfunc_end346:
	.size	_ZN7rocprim17ROCPRIM_400000_NS6detail17trampoline_kernelINS0_14default_configENS1_25partition_config_selectorILNS1_17partition_subalgoE8ElNS0_10empty_typeEbEEZZNS1_14partition_implILS5_8ELb0ES3_jPlPS6_PKS6_NS0_5tupleIJS9_S6_EEENSD_IJSA_SA_EEENS0_18inequality_wrapperIZN2at6native12_GLOBAL__N_124unique_dim_cuda_templateIaEESt5tupleIJNSH_6TensorESM_SM_EERKSM_lbbbEUlllE0_EEPmJS6_EEE10hipError_tPvRmT3_T4_T5_T6_T7_T9_mT8_P12ihipStream_tbDpT10_ENKUlT_T0_E_clISt17integral_constantIbLb0EES1B_IbLb1EEEEDaS17_S18_EUlS17_E_NS1_11comp_targetILNS1_3genE5ELNS1_11target_archE942ELNS1_3gpuE9ELNS1_3repE0EEENS1_30default_config_static_selectorELNS0_4arch9wavefront6targetE1EEEvT1_, .Lfunc_end346-_ZN7rocprim17ROCPRIM_400000_NS6detail17trampoline_kernelINS0_14default_configENS1_25partition_config_selectorILNS1_17partition_subalgoE8ElNS0_10empty_typeEbEEZZNS1_14partition_implILS5_8ELb0ES3_jPlPS6_PKS6_NS0_5tupleIJS9_S6_EEENSD_IJSA_SA_EEENS0_18inequality_wrapperIZN2at6native12_GLOBAL__N_124unique_dim_cuda_templateIaEESt5tupleIJNSH_6TensorESM_SM_EERKSM_lbbbEUlllE0_EEPmJS6_EEE10hipError_tPvRmT3_T4_T5_T6_T7_T9_mT8_P12ihipStream_tbDpT10_ENKUlT_T0_E_clISt17integral_constantIbLb0EES1B_IbLb1EEEEDaS17_S18_EUlS17_E_NS1_11comp_targetILNS1_3genE5ELNS1_11target_archE942ELNS1_3gpuE9ELNS1_3repE0EEENS1_30default_config_static_selectorELNS0_4arch9wavefront6targetE1EEEvT1_
                                        ; -- End function
	.section	.AMDGPU.csdata,"",@progbits
; Kernel info:
; codeLenInByte = 12332
; NumSgprs: 62
; NumVgprs: 52
; NumAgprs: 0
; TotalNumVgprs: 52
; ScratchSize: 0
; MemoryBound: 0
; FloatMode: 240
; IeeeMode: 1
; LDSByteSize: 28684 bytes/workgroup (compile time only)
; SGPRBlocks: 7
; VGPRBlocks: 6
; NumSGPRsForWavesPerEU: 62
; NumVGPRsForWavesPerEU: 52
; AccumOffset: 52
; Occupancy: 4
; WaveLimiterHint : 1
; COMPUTE_PGM_RSRC2:SCRATCH_EN: 0
; COMPUTE_PGM_RSRC2:USER_SGPR: 2
; COMPUTE_PGM_RSRC2:TRAP_HANDLER: 0
; COMPUTE_PGM_RSRC2:TGID_X_EN: 1
; COMPUTE_PGM_RSRC2:TGID_Y_EN: 0
; COMPUTE_PGM_RSRC2:TGID_Z_EN: 0
; COMPUTE_PGM_RSRC2:TIDIG_COMP_CNT: 0
; COMPUTE_PGM_RSRC3_GFX90A:ACCUM_OFFSET: 12
; COMPUTE_PGM_RSRC3_GFX90A:TG_SPLIT: 0
	.section	.text._ZN7rocprim17ROCPRIM_400000_NS6detail17trampoline_kernelINS0_14default_configENS1_25partition_config_selectorILNS1_17partition_subalgoE8ElNS0_10empty_typeEbEEZZNS1_14partition_implILS5_8ELb0ES3_jPlPS6_PKS6_NS0_5tupleIJS9_S6_EEENSD_IJSA_SA_EEENS0_18inequality_wrapperIZN2at6native12_GLOBAL__N_124unique_dim_cuda_templateIaEESt5tupleIJNSH_6TensorESM_SM_EERKSM_lbbbEUlllE0_EEPmJS6_EEE10hipError_tPvRmT3_T4_T5_T6_T7_T9_mT8_P12ihipStream_tbDpT10_ENKUlT_T0_E_clISt17integral_constantIbLb0EES1B_IbLb1EEEEDaS17_S18_EUlS17_E_NS1_11comp_targetILNS1_3genE4ELNS1_11target_archE910ELNS1_3gpuE8ELNS1_3repE0EEENS1_30default_config_static_selectorELNS0_4arch9wavefront6targetE1EEEvT1_,"axG",@progbits,_ZN7rocprim17ROCPRIM_400000_NS6detail17trampoline_kernelINS0_14default_configENS1_25partition_config_selectorILNS1_17partition_subalgoE8ElNS0_10empty_typeEbEEZZNS1_14partition_implILS5_8ELb0ES3_jPlPS6_PKS6_NS0_5tupleIJS9_S6_EEENSD_IJSA_SA_EEENS0_18inequality_wrapperIZN2at6native12_GLOBAL__N_124unique_dim_cuda_templateIaEESt5tupleIJNSH_6TensorESM_SM_EERKSM_lbbbEUlllE0_EEPmJS6_EEE10hipError_tPvRmT3_T4_T5_T6_T7_T9_mT8_P12ihipStream_tbDpT10_ENKUlT_T0_E_clISt17integral_constantIbLb0EES1B_IbLb1EEEEDaS17_S18_EUlS17_E_NS1_11comp_targetILNS1_3genE4ELNS1_11target_archE910ELNS1_3gpuE8ELNS1_3repE0EEENS1_30default_config_static_selectorELNS0_4arch9wavefront6targetE1EEEvT1_,comdat
	.globl	_ZN7rocprim17ROCPRIM_400000_NS6detail17trampoline_kernelINS0_14default_configENS1_25partition_config_selectorILNS1_17partition_subalgoE8ElNS0_10empty_typeEbEEZZNS1_14partition_implILS5_8ELb0ES3_jPlPS6_PKS6_NS0_5tupleIJS9_S6_EEENSD_IJSA_SA_EEENS0_18inequality_wrapperIZN2at6native12_GLOBAL__N_124unique_dim_cuda_templateIaEESt5tupleIJNSH_6TensorESM_SM_EERKSM_lbbbEUlllE0_EEPmJS6_EEE10hipError_tPvRmT3_T4_T5_T6_T7_T9_mT8_P12ihipStream_tbDpT10_ENKUlT_T0_E_clISt17integral_constantIbLb0EES1B_IbLb1EEEEDaS17_S18_EUlS17_E_NS1_11comp_targetILNS1_3genE4ELNS1_11target_archE910ELNS1_3gpuE8ELNS1_3repE0EEENS1_30default_config_static_selectorELNS0_4arch9wavefront6targetE1EEEvT1_ ; -- Begin function _ZN7rocprim17ROCPRIM_400000_NS6detail17trampoline_kernelINS0_14default_configENS1_25partition_config_selectorILNS1_17partition_subalgoE8ElNS0_10empty_typeEbEEZZNS1_14partition_implILS5_8ELb0ES3_jPlPS6_PKS6_NS0_5tupleIJS9_S6_EEENSD_IJSA_SA_EEENS0_18inequality_wrapperIZN2at6native12_GLOBAL__N_124unique_dim_cuda_templateIaEESt5tupleIJNSH_6TensorESM_SM_EERKSM_lbbbEUlllE0_EEPmJS6_EEE10hipError_tPvRmT3_T4_T5_T6_T7_T9_mT8_P12ihipStream_tbDpT10_ENKUlT_T0_E_clISt17integral_constantIbLb0EES1B_IbLb1EEEEDaS17_S18_EUlS17_E_NS1_11comp_targetILNS1_3genE4ELNS1_11target_archE910ELNS1_3gpuE8ELNS1_3repE0EEENS1_30default_config_static_selectorELNS0_4arch9wavefront6targetE1EEEvT1_
	.p2align	8
	.type	_ZN7rocprim17ROCPRIM_400000_NS6detail17trampoline_kernelINS0_14default_configENS1_25partition_config_selectorILNS1_17partition_subalgoE8ElNS0_10empty_typeEbEEZZNS1_14partition_implILS5_8ELb0ES3_jPlPS6_PKS6_NS0_5tupleIJS9_S6_EEENSD_IJSA_SA_EEENS0_18inequality_wrapperIZN2at6native12_GLOBAL__N_124unique_dim_cuda_templateIaEESt5tupleIJNSH_6TensorESM_SM_EERKSM_lbbbEUlllE0_EEPmJS6_EEE10hipError_tPvRmT3_T4_T5_T6_T7_T9_mT8_P12ihipStream_tbDpT10_ENKUlT_T0_E_clISt17integral_constantIbLb0EES1B_IbLb1EEEEDaS17_S18_EUlS17_E_NS1_11comp_targetILNS1_3genE4ELNS1_11target_archE910ELNS1_3gpuE8ELNS1_3repE0EEENS1_30default_config_static_selectorELNS0_4arch9wavefront6targetE1EEEvT1_,@function
_ZN7rocprim17ROCPRIM_400000_NS6detail17trampoline_kernelINS0_14default_configENS1_25partition_config_selectorILNS1_17partition_subalgoE8ElNS0_10empty_typeEbEEZZNS1_14partition_implILS5_8ELb0ES3_jPlPS6_PKS6_NS0_5tupleIJS9_S6_EEENSD_IJSA_SA_EEENS0_18inequality_wrapperIZN2at6native12_GLOBAL__N_124unique_dim_cuda_templateIaEESt5tupleIJNSH_6TensorESM_SM_EERKSM_lbbbEUlllE0_EEPmJS6_EEE10hipError_tPvRmT3_T4_T5_T6_T7_T9_mT8_P12ihipStream_tbDpT10_ENKUlT_T0_E_clISt17integral_constantIbLb0EES1B_IbLb1EEEEDaS17_S18_EUlS17_E_NS1_11comp_targetILNS1_3genE4ELNS1_11target_archE910ELNS1_3gpuE8ELNS1_3repE0EEENS1_30default_config_static_selectorELNS0_4arch9wavefront6targetE1EEEvT1_: ; @_ZN7rocprim17ROCPRIM_400000_NS6detail17trampoline_kernelINS0_14default_configENS1_25partition_config_selectorILNS1_17partition_subalgoE8ElNS0_10empty_typeEbEEZZNS1_14partition_implILS5_8ELb0ES3_jPlPS6_PKS6_NS0_5tupleIJS9_S6_EEENSD_IJSA_SA_EEENS0_18inequality_wrapperIZN2at6native12_GLOBAL__N_124unique_dim_cuda_templateIaEESt5tupleIJNSH_6TensorESM_SM_EERKSM_lbbbEUlllE0_EEPmJS6_EEE10hipError_tPvRmT3_T4_T5_T6_T7_T9_mT8_P12ihipStream_tbDpT10_ENKUlT_T0_E_clISt17integral_constantIbLb0EES1B_IbLb1EEEEDaS17_S18_EUlS17_E_NS1_11comp_targetILNS1_3genE4ELNS1_11target_archE910ELNS1_3gpuE8ELNS1_3repE0EEENS1_30default_config_static_selectorELNS0_4arch9wavefront6targetE1EEEvT1_
; %bb.0:
	.section	.rodata,"a",@progbits
	.p2align	6, 0x0
	.amdhsa_kernel _ZN7rocprim17ROCPRIM_400000_NS6detail17trampoline_kernelINS0_14default_configENS1_25partition_config_selectorILNS1_17partition_subalgoE8ElNS0_10empty_typeEbEEZZNS1_14partition_implILS5_8ELb0ES3_jPlPS6_PKS6_NS0_5tupleIJS9_S6_EEENSD_IJSA_SA_EEENS0_18inequality_wrapperIZN2at6native12_GLOBAL__N_124unique_dim_cuda_templateIaEESt5tupleIJNSH_6TensorESM_SM_EERKSM_lbbbEUlllE0_EEPmJS6_EEE10hipError_tPvRmT3_T4_T5_T6_T7_T9_mT8_P12ihipStream_tbDpT10_ENKUlT_T0_E_clISt17integral_constantIbLb0EES1B_IbLb1EEEEDaS17_S18_EUlS17_E_NS1_11comp_targetILNS1_3genE4ELNS1_11target_archE910ELNS1_3gpuE8ELNS1_3repE0EEENS1_30default_config_static_selectorELNS0_4arch9wavefront6targetE1EEEvT1_
		.amdhsa_group_segment_fixed_size 0
		.amdhsa_private_segment_fixed_size 0
		.amdhsa_kernarg_size 136
		.amdhsa_user_sgpr_count 2
		.amdhsa_user_sgpr_dispatch_ptr 0
		.amdhsa_user_sgpr_queue_ptr 0
		.amdhsa_user_sgpr_kernarg_segment_ptr 1
		.amdhsa_user_sgpr_dispatch_id 0
		.amdhsa_user_sgpr_kernarg_preload_length 0
		.amdhsa_user_sgpr_kernarg_preload_offset 0
		.amdhsa_user_sgpr_private_segment_size 0
		.amdhsa_uses_dynamic_stack 0
		.amdhsa_enable_private_segment 0
		.amdhsa_system_sgpr_workgroup_id_x 1
		.amdhsa_system_sgpr_workgroup_id_y 0
		.amdhsa_system_sgpr_workgroup_id_z 0
		.amdhsa_system_sgpr_workgroup_info 0
		.amdhsa_system_vgpr_workitem_id 0
		.amdhsa_next_free_vgpr 1
		.amdhsa_next_free_sgpr 0
		.amdhsa_accum_offset 4
		.amdhsa_reserve_vcc 0
		.amdhsa_float_round_mode_32 0
		.amdhsa_float_round_mode_16_64 0
		.amdhsa_float_denorm_mode_32 3
		.amdhsa_float_denorm_mode_16_64 3
		.amdhsa_dx10_clamp 1
		.amdhsa_ieee_mode 1
		.amdhsa_fp16_overflow 0
		.amdhsa_tg_split 0
		.amdhsa_exception_fp_ieee_invalid_op 0
		.amdhsa_exception_fp_denorm_src 0
		.amdhsa_exception_fp_ieee_div_zero 0
		.amdhsa_exception_fp_ieee_overflow 0
		.amdhsa_exception_fp_ieee_underflow 0
		.amdhsa_exception_fp_ieee_inexact 0
		.amdhsa_exception_int_div_zero 0
	.end_amdhsa_kernel
	.section	.text._ZN7rocprim17ROCPRIM_400000_NS6detail17trampoline_kernelINS0_14default_configENS1_25partition_config_selectorILNS1_17partition_subalgoE8ElNS0_10empty_typeEbEEZZNS1_14partition_implILS5_8ELb0ES3_jPlPS6_PKS6_NS0_5tupleIJS9_S6_EEENSD_IJSA_SA_EEENS0_18inequality_wrapperIZN2at6native12_GLOBAL__N_124unique_dim_cuda_templateIaEESt5tupleIJNSH_6TensorESM_SM_EERKSM_lbbbEUlllE0_EEPmJS6_EEE10hipError_tPvRmT3_T4_T5_T6_T7_T9_mT8_P12ihipStream_tbDpT10_ENKUlT_T0_E_clISt17integral_constantIbLb0EES1B_IbLb1EEEEDaS17_S18_EUlS17_E_NS1_11comp_targetILNS1_3genE4ELNS1_11target_archE910ELNS1_3gpuE8ELNS1_3repE0EEENS1_30default_config_static_selectorELNS0_4arch9wavefront6targetE1EEEvT1_,"axG",@progbits,_ZN7rocprim17ROCPRIM_400000_NS6detail17trampoline_kernelINS0_14default_configENS1_25partition_config_selectorILNS1_17partition_subalgoE8ElNS0_10empty_typeEbEEZZNS1_14partition_implILS5_8ELb0ES3_jPlPS6_PKS6_NS0_5tupleIJS9_S6_EEENSD_IJSA_SA_EEENS0_18inequality_wrapperIZN2at6native12_GLOBAL__N_124unique_dim_cuda_templateIaEESt5tupleIJNSH_6TensorESM_SM_EERKSM_lbbbEUlllE0_EEPmJS6_EEE10hipError_tPvRmT3_T4_T5_T6_T7_T9_mT8_P12ihipStream_tbDpT10_ENKUlT_T0_E_clISt17integral_constantIbLb0EES1B_IbLb1EEEEDaS17_S18_EUlS17_E_NS1_11comp_targetILNS1_3genE4ELNS1_11target_archE910ELNS1_3gpuE8ELNS1_3repE0EEENS1_30default_config_static_selectorELNS0_4arch9wavefront6targetE1EEEvT1_,comdat
.Lfunc_end347:
	.size	_ZN7rocprim17ROCPRIM_400000_NS6detail17trampoline_kernelINS0_14default_configENS1_25partition_config_selectorILNS1_17partition_subalgoE8ElNS0_10empty_typeEbEEZZNS1_14partition_implILS5_8ELb0ES3_jPlPS6_PKS6_NS0_5tupleIJS9_S6_EEENSD_IJSA_SA_EEENS0_18inequality_wrapperIZN2at6native12_GLOBAL__N_124unique_dim_cuda_templateIaEESt5tupleIJNSH_6TensorESM_SM_EERKSM_lbbbEUlllE0_EEPmJS6_EEE10hipError_tPvRmT3_T4_T5_T6_T7_T9_mT8_P12ihipStream_tbDpT10_ENKUlT_T0_E_clISt17integral_constantIbLb0EES1B_IbLb1EEEEDaS17_S18_EUlS17_E_NS1_11comp_targetILNS1_3genE4ELNS1_11target_archE910ELNS1_3gpuE8ELNS1_3repE0EEENS1_30default_config_static_selectorELNS0_4arch9wavefront6targetE1EEEvT1_, .Lfunc_end347-_ZN7rocprim17ROCPRIM_400000_NS6detail17trampoline_kernelINS0_14default_configENS1_25partition_config_selectorILNS1_17partition_subalgoE8ElNS0_10empty_typeEbEEZZNS1_14partition_implILS5_8ELb0ES3_jPlPS6_PKS6_NS0_5tupleIJS9_S6_EEENSD_IJSA_SA_EEENS0_18inequality_wrapperIZN2at6native12_GLOBAL__N_124unique_dim_cuda_templateIaEESt5tupleIJNSH_6TensorESM_SM_EERKSM_lbbbEUlllE0_EEPmJS6_EEE10hipError_tPvRmT3_T4_T5_T6_T7_T9_mT8_P12ihipStream_tbDpT10_ENKUlT_T0_E_clISt17integral_constantIbLb0EES1B_IbLb1EEEEDaS17_S18_EUlS17_E_NS1_11comp_targetILNS1_3genE4ELNS1_11target_archE910ELNS1_3gpuE8ELNS1_3repE0EEENS1_30default_config_static_selectorELNS0_4arch9wavefront6targetE1EEEvT1_
                                        ; -- End function
	.section	.AMDGPU.csdata,"",@progbits
; Kernel info:
; codeLenInByte = 0
; NumSgprs: 6
; NumVgprs: 0
; NumAgprs: 0
; TotalNumVgprs: 0
; ScratchSize: 0
; MemoryBound: 0
; FloatMode: 240
; IeeeMode: 1
; LDSByteSize: 0 bytes/workgroup (compile time only)
; SGPRBlocks: 0
; VGPRBlocks: 0
; NumSGPRsForWavesPerEU: 6
; NumVGPRsForWavesPerEU: 1
; AccumOffset: 4
; Occupancy: 8
; WaveLimiterHint : 0
; COMPUTE_PGM_RSRC2:SCRATCH_EN: 0
; COMPUTE_PGM_RSRC2:USER_SGPR: 2
; COMPUTE_PGM_RSRC2:TRAP_HANDLER: 0
; COMPUTE_PGM_RSRC2:TGID_X_EN: 1
; COMPUTE_PGM_RSRC2:TGID_Y_EN: 0
; COMPUTE_PGM_RSRC2:TGID_Z_EN: 0
; COMPUTE_PGM_RSRC2:TIDIG_COMP_CNT: 0
; COMPUTE_PGM_RSRC3_GFX90A:ACCUM_OFFSET: 0
; COMPUTE_PGM_RSRC3_GFX90A:TG_SPLIT: 0
	.section	.text._ZN7rocprim17ROCPRIM_400000_NS6detail17trampoline_kernelINS0_14default_configENS1_25partition_config_selectorILNS1_17partition_subalgoE8ElNS0_10empty_typeEbEEZZNS1_14partition_implILS5_8ELb0ES3_jPlPS6_PKS6_NS0_5tupleIJS9_S6_EEENSD_IJSA_SA_EEENS0_18inequality_wrapperIZN2at6native12_GLOBAL__N_124unique_dim_cuda_templateIaEESt5tupleIJNSH_6TensorESM_SM_EERKSM_lbbbEUlllE0_EEPmJS6_EEE10hipError_tPvRmT3_T4_T5_T6_T7_T9_mT8_P12ihipStream_tbDpT10_ENKUlT_T0_E_clISt17integral_constantIbLb0EES1B_IbLb1EEEEDaS17_S18_EUlS17_E_NS1_11comp_targetILNS1_3genE3ELNS1_11target_archE908ELNS1_3gpuE7ELNS1_3repE0EEENS1_30default_config_static_selectorELNS0_4arch9wavefront6targetE1EEEvT1_,"axG",@progbits,_ZN7rocprim17ROCPRIM_400000_NS6detail17trampoline_kernelINS0_14default_configENS1_25partition_config_selectorILNS1_17partition_subalgoE8ElNS0_10empty_typeEbEEZZNS1_14partition_implILS5_8ELb0ES3_jPlPS6_PKS6_NS0_5tupleIJS9_S6_EEENSD_IJSA_SA_EEENS0_18inequality_wrapperIZN2at6native12_GLOBAL__N_124unique_dim_cuda_templateIaEESt5tupleIJNSH_6TensorESM_SM_EERKSM_lbbbEUlllE0_EEPmJS6_EEE10hipError_tPvRmT3_T4_T5_T6_T7_T9_mT8_P12ihipStream_tbDpT10_ENKUlT_T0_E_clISt17integral_constantIbLb0EES1B_IbLb1EEEEDaS17_S18_EUlS17_E_NS1_11comp_targetILNS1_3genE3ELNS1_11target_archE908ELNS1_3gpuE7ELNS1_3repE0EEENS1_30default_config_static_selectorELNS0_4arch9wavefront6targetE1EEEvT1_,comdat
	.globl	_ZN7rocprim17ROCPRIM_400000_NS6detail17trampoline_kernelINS0_14default_configENS1_25partition_config_selectorILNS1_17partition_subalgoE8ElNS0_10empty_typeEbEEZZNS1_14partition_implILS5_8ELb0ES3_jPlPS6_PKS6_NS0_5tupleIJS9_S6_EEENSD_IJSA_SA_EEENS0_18inequality_wrapperIZN2at6native12_GLOBAL__N_124unique_dim_cuda_templateIaEESt5tupleIJNSH_6TensorESM_SM_EERKSM_lbbbEUlllE0_EEPmJS6_EEE10hipError_tPvRmT3_T4_T5_T6_T7_T9_mT8_P12ihipStream_tbDpT10_ENKUlT_T0_E_clISt17integral_constantIbLb0EES1B_IbLb1EEEEDaS17_S18_EUlS17_E_NS1_11comp_targetILNS1_3genE3ELNS1_11target_archE908ELNS1_3gpuE7ELNS1_3repE0EEENS1_30default_config_static_selectorELNS0_4arch9wavefront6targetE1EEEvT1_ ; -- Begin function _ZN7rocprim17ROCPRIM_400000_NS6detail17trampoline_kernelINS0_14default_configENS1_25partition_config_selectorILNS1_17partition_subalgoE8ElNS0_10empty_typeEbEEZZNS1_14partition_implILS5_8ELb0ES3_jPlPS6_PKS6_NS0_5tupleIJS9_S6_EEENSD_IJSA_SA_EEENS0_18inequality_wrapperIZN2at6native12_GLOBAL__N_124unique_dim_cuda_templateIaEESt5tupleIJNSH_6TensorESM_SM_EERKSM_lbbbEUlllE0_EEPmJS6_EEE10hipError_tPvRmT3_T4_T5_T6_T7_T9_mT8_P12ihipStream_tbDpT10_ENKUlT_T0_E_clISt17integral_constantIbLb0EES1B_IbLb1EEEEDaS17_S18_EUlS17_E_NS1_11comp_targetILNS1_3genE3ELNS1_11target_archE908ELNS1_3gpuE7ELNS1_3repE0EEENS1_30default_config_static_selectorELNS0_4arch9wavefront6targetE1EEEvT1_
	.p2align	8
	.type	_ZN7rocprim17ROCPRIM_400000_NS6detail17trampoline_kernelINS0_14default_configENS1_25partition_config_selectorILNS1_17partition_subalgoE8ElNS0_10empty_typeEbEEZZNS1_14partition_implILS5_8ELb0ES3_jPlPS6_PKS6_NS0_5tupleIJS9_S6_EEENSD_IJSA_SA_EEENS0_18inequality_wrapperIZN2at6native12_GLOBAL__N_124unique_dim_cuda_templateIaEESt5tupleIJNSH_6TensorESM_SM_EERKSM_lbbbEUlllE0_EEPmJS6_EEE10hipError_tPvRmT3_T4_T5_T6_T7_T9_mT8_P12ihipStream_tbDpT10_ENKUlT_T0_E_clISt17integral_constantIbLb0EES1B_IbLb1EEEEDaS17_S18_EUlS17_E_NS1_11comp_targetILNS1_3genE3ELNS1_11target_archE908ELNS1_3gpuE7ELNS1_3repE0EEENS1_30default_config_static_selectorELNS0_4arch9wavefront6targetE1EEEvT1_,@function
_ZN7rocprim17ROCPRIM_400000_NS6detail17trampoline_kernelINS0_14default_configENS1_25partition_config_selectorILNS1_17partition_subalgoE8ElNS0_10empty_typeEbEEZZNS1_14partition_implILS5_8ELb0ES3_jPlPS6_PKS6_NS0_5tupleIJS9_S6_EEENSD_IJSA_SA_EEENS0_18inequality_wrapperIZN2at6native12_GLOBAL__N_124unique_dim_cuda_templateIaEESt5tupleIJNSH_6TensorESM_SM_EERKSM_lbbbEUlllE0_EEPmJS6_EEE10hipError_tPvRmT3_T4_T5_T6_T7_T9_mT8_P12ihipStream_tbDpT10_ENKUlT_T0_E_clISt17integral_constantIbLb0EES1B_IbLb1EEEEDaS17_S18_EUlS17_E_NS1_11comp_targetILNS1_3genE3ELNS1_11target_archE908ELNS1_3gpuE7ELNS1_3repE0EEENS1_30default_config_static_selectorELNS0_4arch9wavefront6targetE1EEEvT1_: ; @_ZN7rocprim17ROCPRIM_400000_NS6detail17trampoline_kernelINS0_14default_configENS1_25partition_config_selectorILNS1_17partition_subalgoE8ElNS0_10empty_typeEbEEZZNS1_14partition_implILS5_8ELb0ES3_jPlPS6_PKS6_NS0_5tupleIJS9_S6_EEENSD_IJSA_SA_EEENS0_18inequality_wrapperIZN2at6native12_GLOBAL__N_124unique_dim_cuda_templateIaEESt5tupleIJNSH_6TensorESM_SM_EERKSM_lbbbEUlllE0_EEPmJS6_EEE10hipError_tPvRmT3_T4_T5_T6_T7_T9_mT8_P12ihipStream_tbDpT10_ENKUlT_T0_E_clISt17integral_constantIbLb0EES1B_IbLb1EEEEDaS17_S18_EUlS17_E_NS1_11comp_targetILNS1_3genE3ELNS1_11target_archE908ELNS1_3gpuE7ELNS1_3repE0EEENS1_30default_config_static_selectorELNS0_4arch9wavefront6targetE1EEEvT1_
; %bb.0:
	.section	.rodata,"a",@progbits
	.p2align	6, 0x0
	.amdhsa_kernel _ZN7rocprim17ROCPRIM_400000_NS6detail17trampoline_kernelINS0_14default_configENS1_25partition_config_selectorILNS1_17partition_subalgoE8ElNS0_10empty_typeEbEEZZNS1_14partition_implILS5_8ELb0ES3_jPlPS6_PKS6_NS0_5tupleIJS9_S6_EEENSD_IJSA_SA_EEENS0_18inequality_wrapperIZN2at6native12_GLOBAL__N_124unique_dim_cuda_templateIaEESt5tupleIJNSH_6TensorESM_SM_EERKSM_lbbbEUlllE0_EEPmJS6_EEE10hipError_tPvRmT3_T4_T5_T6_T7_T9_mT8_P12ihipStream_tbDpT10_ENKUlT_T0_E_clISt17integral_constantIbLb0EES1B_IbLb1EEEEDaS17_S18_EUlS17_E_NS1_11comp_targetILNS1_3genE3ELNS1_11target_archE908ELNS1_3gpuE7ELNS1_3repE0EEENS1_30default_config_static_selectorELNS0_4arch9wavefront6targetE1EEEvT1_
		.amdhsa_group_segment_fixed_size 0
		.amdhsa_private_segment_fixed_size 0
		.amdhsa_kernarg_size 136
		.amdhsa_user_sgpr_count 2
		.amdhsa_user_sgpr_dispatch_ptr 0
		.amdhsa_user_sgpr_queue_ptr 0
		.amdhsa_user_sgpr_kernarg_segment_ptr 1
		.amdhsa_user_sgpr_dispatch_id 0
		.amdhsa_user_sgpr_kernarg_preload_length 0
		.amdhsa_user_sgpr_kernarg_preload_offset 0
		.amdhsa_user_sgpr_private_segment_size 0
		.amdhsa_uses_dynamic_stack 0
		.amdhsa_enable_private_segment 0
		.amdhsa_system_sgpr_workgroup_id_x 1
		.amdhsa_system_sgpr_workgroup_id_y 0
		.amdhsa_system_sgpr_workgroup_id_z 0
		.amdhsa_system_sgpr_workgroup_info 0
		.amdhsa_system_vgpr_workitem_id 0
		.amdhsa_next_free_vgpr 1
		.amdhsa_next_free_sgpr 0
		.amdhsa_accum_offset 4
		.amdhsa_reserve_vcc 0
		.amdhsa_float_round_mode_32 0
		.amdhsa_float_round_mode_16_64 0
		.amdhsa_float_denorm_mode_32 3
		.amdhsa_float_denorm_mode_16_64 3
		.amdhsa_dx10_clamp 1
		.amdhsa_ieee_mode 1
		.amdhsa_fp16_overflow 0
		.amdhsa_tg_split 0
		.amdhsa_exception_fp_ieee_invalid_op 0
		.amdhsa_exception_fp_denorm_src 0
		.amdhsa_exception_fp_ieee_div_zero 0
		.amdhsa_exception_fp_ieee_overflow 0
		.amdhsa_exception_fp_ieee_underflow 0
		.amdhsa_exception_fp_ieee_inexact 0
		.amdhsa_exception_int_div_zero 0
	.end_amdhsa_kernel
	.section	.text._ZN7rocprim17ROCPRIM_400000_NS6detail17trampoline_kernelINS0_14default_configENS1_25partition_config_selectorILNS1_17partition_subalgoE8ElNS0_10empty_typeEbEEZZNS1_14partition_implILS5_8ELb0ES3_jPlPS6_PKS6_NS0_5tupleIJS9_S6_EEENSD_IJSA_SA_EEENS0_18inequality_wrapperIZN2at6native12_GLOBAL__N_124unique_dim_cuda_templateIaEESt5tupleIJNSH_6TensorESM_SM_EERKSM_lbbbEUlllE0_EEPmJS6_EEE10hipError_tPvRmT3_T4_T5_T6_T7_T9_mT8_P12ihipStream_tbDpT10_ENKUlT_T0_E_clISt17integral_constantIbLb0EES1B_IbLb1EEEEDaS17_S18_EUlS17_E_NS1_11comp_targetILNS1_3genE3ELNS1_11target_archE908ELNS1_3gpuE7ELNS1_3repE0EEENS1_30default_config_static_selectorELNS0_4arch9wavefront6targetE1EEEvT1_,"axG",@progbits,_ZN7rocprim17ROCPRIM_400000_NS6detail17trampoline_kernelINS0_14default_configENS1_25partition_config_selectorILNS1_17partition_subalgoE8ElNS0_10empty_typeEbEEZZNS1_14partition_implILS5_8ELb0ES3_jPlPS6_PKS6_NS0_5tupleIJS9_S6_EEENSD_IJSA_SA_EEENS0_18inequality_wrapperIZN2at6native12_GLOBAL__N_124unique_dim_cuda_templateIaEESt5tupleIJNSH_6TensorESM_SM_EERKSM_lbbbEUlllE0_EEPmJS6_EEE10hipError_tPvRmT3_T4_T5_T6_T7_T9_mT8_P12ihipStream_tbDpT10_ENKUlT_T0_E_clISt17integral_constantIbLb0EES1B_IbLb1EEEEDaS17_S18_EUlS17_E_NS1_11comp_targetILNS1_3genE3ELNS1_11target_archE908ELNS1_3gpuE7ELNS1_3repE0EEENS1_30default_config_static_selectorELNS0_4arch9wavefront6targetE1EEEvT1_,comdat
.Lfunc_end348:
	.size	_ZN7rocprim17ROCPRIM_400000_NS6detail17trampoline_kernelINS0_14default_configENS1_25partition_config_selectorILNS1_17partition_subalgoE8ElNS0_10empty_typeEbEEZZNS1_14partition_implILS5_8ELb0ES3_jPlPS6_PKS6_NS0_5tupleIJS9_S6_EEENSD_IJSA_SA_EEENS0_18inequality_wrapperIZN2at6native12_GLOBAL__N_124unique_dim_cuda_templateIaEESt5tupleIJNSH_6TensorESM_SM_EERKSM_lbbbEUlllE0_EEPmJS6_EEE10hipError_tPvRmT3_T4_T5_T6_T7_T9_mT8_P12ihipStream_tbDpT10_ENKUlT_T0_E_clISt17integral_constantIbLb0EES1B_IbLb1EEEEDaS17_S18_EUlS17_E_NS1_11comp_targetILNS1_3genE3ELNS1_11target_archE908ELNS1_3gpuE7ELNS1_3repE0EEENS1_30default_config_static_selectorELNS0_4arch9wavefront6targetE1EEEvT1_, .Lfunc_end348-_ZN7rocprim17ROCPRIM_400000_NS6detail17trampoline_kernelINS0_14default_configENS1_25partition_config_selectorILNS1_17partition_subalgoE8ElNS0_10empty_typeEbEEZZNS1_14partition_implILS5_8ELb0ES3_jPlPS6_PKS6_NS0_5tupleIJS9_S6_EEENSD_IJSA_SA_EEENS0_18inequality_wrapperIZN2at6native12_GLOBAL__N_124unique_dim_cuda_templateIaEESt5tupleIJNSH_6TensorESM_SM_EERKSM_lbbbEUlllE0_EEPmJS6_EEE10hipError_tPvRmT3_T4_T5_T6_T7_T9_mT8_P12ihipStream_tbDpT10_ENKUlT_T0_E_clISt17integral_constantIbLb0EES1B_IbLb1EEEEDaS17_S18_EUlS17_E_NS1_11comp_targetILNS1_3genE3ELNS1_11target_archE908ELNS1_3gpuE7ELNS1_3repE0EEENS1_30default_config_static_selectorELNS0_4arch9wavefront6targetE1EEEvT1_
                                        ; -- End function
	.section	.AMDGPU.csdata,"",@progbits
; Kernel info:
; codeLenInByte = 0
; NumSgprs: 6
; NumVgprs: 0
; NumAgprs: 0
; TotalNumVgprs: 0
; ScratchSize: 0
; MemoryBound: 0
; FloatMode: 240
; IeeeMode: 1
; LDSByteSize: 0 bytes/workgroup (compile time only)
; SGPRBlocks: 0
; VGPRBlocks: 0
; NumSGPRsForWavesPerEU: 6
; NumVGPRsForWavesPerEU: 1
; AccumOffset: 4
; Occupancy: 8
; WaveLimiterHint : 0
; COMPUTE_PGM_RSRC2:SCRATCH_EN: 0
; COMPUTE_PGM_RSRC2:USER_SGPR: 2
; COMPUTE_PGM_RSRC2:TRAP_HANDLER: 0
; COMPUTE_PGM_RSRC2:TGID_X_EN: 1
; COMPUTE_PGM_RSRC2:TGID_Y_EN: 0
; COMPUTE_PGM_RSRC2:TGID_Z_EN: 0
; COMPUTE_PGM_RSRC2:TIDIG_COMP_CNT: 0
; COMPUTE_PGM_RSRC3_GFX90A:ACCUM_OFFSET: 0
; COMPUTE_PGM_RSRC3_GFX90A:TG_SPLIT: 0
	.section	.text._ZN7rocprim17ROCPRIM_400000_NS6detail17trampoline_kernelINS0_14default_configENS1_25partition_config_selectorILNS1_17partition_subalgoE8ElNS0_10empty_typeEbEEZZNS1_14partition_implILS5_8ELb0ES3_jPlPS6_PKS6_NS0_5tupleIJS9_S6_EEENSD_IJSA_SA_EEENS0_18inequality_wrapperIZN2at6native12_GLOBAL__N_124unique_dim_cuda_templateIaEESt5tupleIJNSH_6TensorESM_SM_EERKSM_lbbbEUlllE0_EEPmJS6_EEE10hipError_tPvRmT3_T4_T5_T6_T7_T9_mT8_P12ihipStream_tbDpT10_ENKUlT_T0_E_clISt17integral_constantIbLb0EES1B_IbLb1EEEEDaS17_S18_EUlS17_E_NS1_11comp_targetILNS1_3genE2ELNS1_11target_archE906ELNS1_3gpuE6ELNS1_3repE0EEENS1_30default_config_static_selectorELNS0_4arch9wavefront6targetE1EEEvT1_,"axG",@progbits,_ZN7rocprim17ROCPRIM_400000_NS6detail17trampoline_kernelINS0_14default_configENS1_25partition_config_selectorILNS1_17partition_subalgoE8ElNS0_10empty_typeEbEEZZNS1_14partition_implILS5_8ELb0ES3_jPlPS6_PKS6_NS0_5tupleIJS9_S6_EEENSD_IJSA_SA_EEENS0_18inequality_wrapperIZN2at6native12_GLOBAL__N_124unique_dim_cuda_templateIaEESt5tupleIJNSH_6TensorESM_SM_EERKSM_lbbbEUlllE0_EEPmJS6_EEE10hipError_tPvRmT3_T4_T5_T6_T7_T9_mT8_P12ihipStream_tbDpT10_ENKUlT_T0_E_clISt17integral_constantIbLb0EES1B_IbLb1EEEEDaS17_S18_EUlS17_E_NS1_11comp_targetILNS1_3genE2ELNS1_11target_archE906ELNS1_3gpuE6ELNS1_3repE0EEENS1_30default_config_static_selectorELNS0_4arch9wavefront6targetE1EEEvT1_,comdat
	.globl	_ZN7rocprim17ROCPRIM_400000_NS6detail17trampoline_kernelINS0_14default_configENS1_25partition_config_selectorILNS1_17partition_subalgoE8ElNS0_10empty_typeEbEEZZNS1_14partition_implILS5_8ELb0ES3_jPlPS6_PKS6_NS0_5tupleIJS9_S6_EEENSD_IJSA_SA_EEENS0_18inequality_wrapperIZN2at6native12_GLOBAL__N_124unique_dim_cuda_templateIaEESt5tupleIJNSH_6TensorESM_SM_EERKSM_lbbbEUlllE0_EEPmJS6_EEE10hipError_tPvRmT3_T4_T5_T6_T7_T9_mT8_P12ihipStream_tbDpT10_ENKUlT_T0_E_clISt17integral_constantIbLb0EES1B_IbLb1EEEEDaS17_S18_EUlS17_E_NS1_11comp_targetILNS1_3genE2ELNS1_11target_archE906ELNS1_3gpuE6ELNS1_3repE0EEENS1_30default_config_static_selectorELNS0_4arch9wavefront6targetE1EEEvT1_ ; -- Begin function _ZN7rocprim17ROCPRIM_400000_NS6detail17trampoline_kernelINS0_14default_configENS1_25partition_config_selectorILNS1_17partition_subalgoE8ElNS0_10empty_typeEbEEZZNS1_14partition_implILS5_8ELb0ES3_jPlPS6_PKS6_NS0_5tupleIJS9_S6_EEENSD_IJSA_SA_EEENS0_18inequality_wrapperIZN2at6native12_GLOBAL__N_124unique_dim_cuda_templateIaEESt5tupleIJNSH_6TensorESM_SM_EERKSM_lbbbEUlllE0_EEPmJS6_EEE10hipError_tPvRmT3_T4_T5_T6_T7_T9_mT8_P12ihipStream_tbDpT10_ENKUlT_T0_E_clISt17integral_constantIbLb0EES1B_IbLb1EEEEDaS17_S18_EUlS17_E_NS1_11comp_targetILNS1_3genE2ELNS1_11target_archE906ELNS1_3gpuE6ELNS1_3repE0EEENS1_30default_config_static_selectorELNS0_4arch9wavefront6targetE1EEEvT1_
	.p2align	8
	.type	_ZN7rocprim17ROCPRIM_400000_NS6detail17trampoline_kernelINS0_14default_configENS1_25partition_config_selectorILNS1_17partition_subalgoE8ElNS0_10empty_typeEbEEZZNS1_14partition_implILS5_8ELb0ES3_jPlPS6_PKS6_NS0_5tupleIJS9_S6_EEENSD_IJSA_SA_EEENS0_18inequality_wrapperIZN2at6native12_GLOBAL__N_124unique_dim_cuda_templateIaEESt5tupleIJNSH_6TensorESM_SM_EERKSM_lbbbEUlllE0_EEPmJS6_EEE10hipError_tPvRmT3_T4_T5_T6_T7_T9_mT8_P12ihipStream_tbDpT10_ENKUlT_T0_E_clISt17integral_constantIbLb0EES1B_IbLb1EEEEDaS17_S18_EUlS17_E_NS1_11comp_targetILNS1_3genE2ELNS1_11target_archE906ELNS1_3gpuE6ELNS1_3repE0EEENS1_30default_config_static_selectorELNS0_4arch9wavefront6targetE1EEEvT1_,@function
_ZN7rocprim17ROCPRIM_400000_NS6detail17trampoline_kernelINS0_14default_configENS1_25partition_config_selectorILNS1_17partition_subalgoE8ElNS0_10empty_typeEbEEZZNS1_14partition_implILS5_8ELb0ES3_jPlPS6_PKS6_NS0_5tupleIJS9_S6_EEENSD_IJSA_SA_EEENS0_18inequality_wrapperIZN2at6native12_GLOBAL__N_124unique_dim_cuda_templateIaEESt5tupleIJNSH_6TensorESM_SM_EERKSM_lbbbEUlllE0_EEPmJS6_EEE10hipError_tPvRmT3_T4_T5_T6_T7_T9_mT8_P12ihipStream_tbDpT10_ENKUlT_T0_E_clISt17integral_constantIbLb0EES1B_IbLb1EEEEDaS17_S18_EUlS17_E_NS1_11comp_targetILNS1_3genE2ELNS1_11target_archE906ELNS1_3gpuE6ELNS1_3repE0EEENS1_30default_config_static_selectorELNS0_4arch9wavefront6targetE1EEEvT1_: ; @_ZN7rocprim17ROCPRIM_400000_NS6detail17trampoline_kernelINS0_14default_configENS1_25partition_config_selectorILNS1_17partition_subalgoE8ElNS0_10empty_typeEbEEZZNS1_14partition_implILS5_8ELb0ES3_jPlPS6_PKS6_NS0_5tupleIJS9_S6_EEENSD_IJSA_SA_EEENS0_18inequality_wrapperIZN2at6native12_GLOBAL__N_124unique_dim_cuda_templateIaEESt5tupleIJNSH_6TensorESM_SM_EERKSM_lbbbEUlllE0_EEPmJS6_EEE10hipError_tPvRmT3_T4_T5_T6_T7_T9_mT8_P12ihipStream_tbDpT10_ENKUlT_T0_E_clISt17integral_constantIbLb0EES1B_IbLb1EEEEDaS17_S18_EUlS17_E_NS1_11comp_targetILNS1_3genE2ELNS1_11target_archE906ELNS1_3gpuE6ELNS1_3repE0EEENS1_30default_config_static_selectorELNS0_4arch9wavefront6targetE1EEEvT1_
; %bb.0:
	.section	.rodata,"a",@progbits
	.p2align	6, 0x0
	.amdhsa_kernel _ZN7rocprim17ROCPRIM_400000_NS6detail17trampoline_kernelINS0_14default_configENS1_25partition_config_selectorILNS1_17partition_subalgoE8ElNS0_10empty_typeEbEEZZNS1_14partition_implILS5_8ELb0ES3_jPlPS6_PKS6_NS0_5tupleIJS9_S6_EEENSD_IJSA_SA_EEENS0_18inequality_wrapperIZN2at6native12_GLOBAL__N_124unique_dim_cuda_templateIaEESt5tupleIJNSH_6TensorESM_SM_EERKSM_lbbbEUlllE0_EEPmJS6_EEE10hipError_tPvRmT3_T4_T5_T6_T7_T9_mT8_P12ihipStream_tbDpT10_ENKUlT_T0_E_clISt17integral_constantIbLb0EES1B_IbLb1EEEEDaS17_S18_EUlS17_E_NS1_11comp_targetILNS1_3genE2ELNS1_11target_archE906ELNS1_3gpuE6ELNS1_3repE0EEENS1_30default_config_static_selectorELNS0_4arch9wavefront6targetE1EEEvT1_
		.amdhsa_group_segment_fixed_size 0
		.amdhsa_private_segment_fixed_size 0
		.amdhsa_kernarg_size 136
		.amdhsa_user_sgpr_count 2
		.amdhsa_user_sgpr_dispatch_ptr 0
		.amdhsa_user_sgpr_queue_ptr 0
		.amdhsa_user_sgpr_kernarg_segment_ptr 1
		.amdhsa_user_sgpr_dispatch_id 0
		.amdhsa_user_sgpr_kernarg_preload_length 0
		.amdhsa_user_sgpr_kernarg_preload_offset 0
		.amdhsa_user_sgpr_private_segment_size 0
		.amdhsa_uses_dynamic_stack 0
		.amdhsa_enable_private_segment 0
		.amdhsa_system_sgpr_workgroup_id_x 1
		.amdhsa_system_sgpr_workgroup_id_y 0
		.amdhsa_system_sgpr_workgroup_id_z 0
		.amdhsa_system_sgpr_workgroup_info 0
		.amdhsa_system_vgpr_workitem_id 0
		.amdhsa_next_free_vgpr 1
		.amdhsa_next_free_sgpr 0
		.amdhsa_accum_offset 4
		.amdhsa_reserve_vcc 0
		.amdhsa_float_round_mode_32 0
		.amdhsa_float_round_mode_16_64 0
		.amdhsa_float_denorm_mode_32 3
		.amdhsa_float_denorm_mode_16_64 3
		.amdhsa_dx10_clamp 1
		.amdhsa_ieee_mode 1
		.amdhsa_fp16_overflow 0
		.amdhsa_tg_split 0
		.amdhsa_exception_fp_ieee_invalid_op 0
		.amdhsa_exception_fp_denorm_src 0
		.amdhsa_exception_fp_ieee_div_zero 0
		.amdhsa_exception_fp_ieee_overflow 0
		.amdhsa_exception_fp_ieee_underflow 0
		.amdhsa_exception_fp_ieee_inexact 0
		.amdhsa_exception_int_div_zero 0
	.end_amdhsa_kernel
	.section	.text._ZN7rocprim17ROCPRIM_400000_NS6detail17trampoline_kernelINS0_14default_configENS1_25partition_config_selectorILNS1_17partition_subalgoE8ElNS0_10empty_typeEbEEZZNS1_14partition_implILS5_8ELb0ES3_jPlPS6_PKS6_NS0_5tupleIJS9_S6_EEENSD_IJSA_SA_EEENS0_18inequality_wrapperIZN2at6native12_GLOBAL__N_124unique_dim_cuda_templateIaEESt5tupleIJNSH_6TensorESM_SM_EERKSM_lbbbEUlllE0_EEPmJS6_EEE10hipError_tPvRmT3_T4_T5_T6_T7_T9_mT8_P12ihipStream_tbDpT10_ENKUlT_T0_E_clISt17integral_constantIbLb0EES1B_IbLb1EEEEDaS17_S18_EUlS17_E_NS1_11comp_targetILNS1_3genE2ELNS1_11target_archE906ELNS1_3gpuE6ELNS1_3repE0EEENS1_30default_config_static_selectorELNS0_4arch9wavefront6targetE1EEEvT1_,"axG",@progbits,_ZN7rocprim17ROCPRIM_400000_NS6detail17trampoline_kernelINS0_14default_configENS1_25partition_config_selectorILNS1_17partition_subalgoE8ElNS0_10empty_typeEbEEZZNS1_14partition_implILS5_8ELb0ES3_jPlPS6_PKS6_NS0_5tupleIJS9_S6_EEENSD_IJSA_SA_EEENS0_18inequality_wrapperIZN2at6native12_GLOBAL__N_124unique_dim_cuda_templateIaEESt5tupleIJNSH_6TensorESM_SM_EERKSM_lbbbEUlllE0_EEPmJS6_EEE10hipError_tPvRmT3_T4_T5_T6_T7_T9_mT8_P12ihipStream_tbDpT10_ENKUlT_T0_E_clISt17integral_constantIbLb0EES1B_IbLb1EEEEDaS17_S18_EUlS17_E_NS1_11comp_targetILNS1_3genE2ELNS1_11target_archE906ELNS1_3gpuE6ELNS1_3repE0EEENS1_30default_config_static_selectorELNS0_4arch9wavefront6targetE1EEEvT1_,comdat
.Lfunc_end349:
	.size	_ZN7rocprim17ROCPRIM_400000_NS6detail17trampoline_kernelINS0_14default_configENS1_25partition_config_selectorILNS1_17partition_subalgoE8ElNS0_10empty_typeEbEEZZNS1_14partition_implILS5_8ELb0ES3_jPlPS6_PKS6_NS0_5tupleIJS9_S6_EEENSD_IJSA_SA_EEENS0_18inequality_wrapperIZN2at6native12_GLOBAL__N_124unique_dim_cuda_templateIaEESt5tupleIJNSH_6TensorESM_SM_EERKSM_lbbbEUlllE0_EEPmJS6_EEE10hipError_tPvRmT3_T4_T5_T6_T7_T9_mT8_P12ihipStream_tbDpT10_ENKUlT_T0_E_clISt17integral_constantIbLb0EES1B_IbLb1EEEEDaS17_S18_EUlS17_E_NS1_11comp_targetILNS1_3genE2ELNS1_11target_archE906ELNS1_3gpuE6ELNS1_3repE0EEENS1_30default_config_static_selectorELNS0_4arch9wavefront6targetE1EEEvT1_, .Lfunc_end349-_ZN7rocprim17ROCPRIM_400000_NS6detail17trampoline_kernelINS0_14default_configENS1_25partition_config_selectorILNS1_17partition_subalgoE8ElNS0_10empty_typeEbEEZZNS1_14partition_implILS5_8ELb0ES3_jPlPS6_PKS6_NS0_5tupleIJS9_S6_EEENSD_IJSA_SA_EEENS0_18inequality_wrapperIZN2at6native12_GLOBAL__N_124unique_dim_cuda_templateIaEESt5tupleIJNSH_6TensorESM_SM_EERKSM_lbbbEUlllE0_EEPmJS6_EEE10hipError_tPvRmT3_T4_T5_T6_T7_T9_mT8_P12ihipStream_tbDpT10_ENKUlT_T0_E_clISt17integral_constantIbLb0EES1B_IbLb1EEEEDaS17_S18_EUlS17_E_NS1_11comp_targetILNS1_3genE2ELNS1_11target_archE906ELNS1_3gpuE6ELNS1_3repE0EEENS1_30default_config_static_selectorELNS0_4arch9wavefront6targetE1EEEvT1_
                                        ; -- End function
	.section	.AMDGPU.csdata,"",@progbits
; Kernel info:
; codeLenInByte = 0
; NumSgprs: 6
; NumVgprs: 0
; NumAgprs: 0
; TotalNumVgprs: 0
; ScratchSize: 0
; MemoryBound: 0
; FloatMode: 240
; IeeeMode: 1
; LDSByteSize: 0 bytes/workgroup (compile time only)
; SGPRBlocks: 0
; VGPRBlocks: 0
; NumSGPRsForWavesPerEU: 6
; NumVGPRsForWavesPerEU: 1
; AccumOffset: 4
; Occupancy: 8
; WaveLimiterHint : 0
; COMPUTE_PGM_RSRC2:SCRATCH_EN: 0
; COMPUTE_PGM_RSRC2:USER_SGPR: 2
; COMPUTE_PGM_RSRC2:TRAP_HANDLER: 0
; COMPUTE_PGM_RSRC2:TGID_X_EN: 1
; COMPUTE_PGM_RSRC2:TGID_Y_EN: 0
; COMPUTE_PGM_RSRC2:TGID_Z_EN: 0
; COMPUTE_PGM_RSRC2:TIDIG_COMP_CNT: 0
; COMPUTE_PGM_RSRC3_GFX90A:ACCUM_OFFSET: 0
; COMPUTE_PGM_RSRC3_GFX90A:TG_SPLIT: 0
	.section	.text._ZN7rocprim17ROCPRIM_400000_NS6detail17trampoline_kernelINS0_14default_configENS1_25partition_config_selectorILNS1_17partition_subalgoE8ElNS0_10empty_typeEbEEZZNS1_14partition_implILS5_8ELb0ES3_jPlPS6_PKS6_NS0_5tupleIJS9_S6_EEENSD_IJSA_SA_EEENS0_18inequality_wrapperIZN2at6native12_GLOBAL__N_124unique_dim_cuda_templateIaEESt5tupleIJNSH_6TensorESM_SM_EERKSM_lbbbEUlllE0_EEPmJS6_EEE10hipError_tPvRmT3_T4_T5_T6_T7_T9_mT8_P12ihipStream_tbDpT10_ENKUlT_T0_E_clISt17integral_constantIbLb0EES1B_IbLb1EEEEDaS17_S18_EUlS17_E_NS1_11comp_targetILNS1_3genE10ELNS1_11target_archE1200ELNS1_3gpuE4ELNS1_3repE0EEENS1_30default_config_static_selectorELNS0_4arch9wavefront6targetE1EEEvT1_,"axG",@progbits,_ZN7rocprim17ROCPRIM_400000_NS6detail17trampoline_kernelINS0_14default_configENS1_25partition_config_selectorILNS1_17partition_subalgoE8ElNS0_10empty_typeEbEEZZNS1_14partition_implILS5_8ELb0ES3_jPlPS6_PKS6_NS0_5tupleIJS9_S6_EEENSD_IJSA_SA_EEENS0_18inequality_wrapperIZN2at6native12_GLOBAL__N_124unique_dim_cuda_templateIaEESt5tupleIJNSH_6TensorESM_SM_EERKSM_lbbbEUlllE0_EEPmJS6_EEE10hipError_tPvRmT3_T4_T5_T6_T7_T9_mT8_P12ihipStream_tbDpT10_ENKUlT_T0_E_clISt17integral_constantIbLb0EES1B_IbLb1EEEEDaS17_S18_EUlS17_E_NS1_11comp_targetILNS1_3genE10ELNS1_11target_archE1200ELNS1_3gpuE4ELNS1_3repE0EEENS1_30default_config_static_selectorELNS0_4arch9wavefront6targetE1EEEvT1_,comdat
	.globl	_ZN7rocprim17ROCPRIM_400000_NS6detail17trampoline_kernelINS0_14default_configENS1_25partition_config_selectorILNS1_17partition_subalgoE8ElNS0_10empty_typeEbEEZZNS1_14partition_implILS5_8ELb0ES3_jPlPS6_PKS6_NS0_5tupleIJS9_S6_EEENSD_IJSA_SA_EEENS0_18inequality_wrapperIZN2at6native12_GLOBAL__N_124unique_dim_cuda_templateIaEESt5tupleIJNSH_6TensorESM_SM_EERKSM_lbbbEUlllE0_EEPmJS6_EEE10hipError_tPvRmT3_T4_T5_T6_T7_T9_mT8_P12ihipStream_tbDpT10_ENKUlT_T0_E_clISt17integral_constantIbLb0EES1B_IbLb1EEEEDaS17_S18_EUlS17_E_NS1_11comp_targetILNS1_3genE10ELNS1_11target_archE1200ELNS1_3gpuE4ELNS1_3repE0EEENS1_30default_config_static_selectorELNS0_4arch9wavefront6targetE1EEEvT1_ ; -- Begin function _ZN7rocprim17ROCPRIM_400000_NS6detail17trampoline_kernelINS0_14default_configENS1_25partition_config_selectorILNS1_17partition_subalgoE8ElNS0_10empty_typeEbEEZZNS1_14partition_implILS5_8ELb0ES3_jPlPS6_PKS6_NS0_5tupleIJS9_S6_EEENSD_IJSA_SA_EEENS0_18inequality_wrapperIZN2at6native12_GLOBAL__N_124unique_dim_cuda_templateIaEESt5tupleIJNSH_6TensorESM_SM_EERKSM_lbbbEUlllE0_EEPmJS6_EEE10hipError_tPvRmT3_T4_T5_T6_T7_T9_mT8_P12ihipStream_tbDpT10_ENKUlT_T0_E_clISt17integral_constantIbLb0EES1B_IbLb1EEEEDaS17_S18_EUlS17_E_NS1_11comp_targetILNS1_3genE10ELNS1_11target_archE1200ELNS1_3gpuE4ELNS1_3repE0EEENS1_30default_config_static_selectorELNS0_4arch9wavefront6targetE1EEEvT1_
	.p2align	8
	.type	_ZN7rocprim17ROCPRIM_400000_NS6detail17trampoline_kernelINS0_14default_configENS1_25partition_config_selectorILNS1_17partition_subalgoE8ElNS0_10empty_typeEbEEZZNS1_14partition_implILS5_8ELb0ES3_jPlPS6_PKS6_NS0_5tupleIJS9_S6_EEENSD_IJSA_SA_EEENS0_18inequality_wrapperIZN2at6native12_GLOBAL__N_124unique_dim_cuda_templateIaEESt5tupleIJNSH_6TensorESM_SM_EERKSM_lbbbEUlllE0_EEPmJS6_EEE10hipError_tPvRmT3_T4_T5_T6_T7_T9_mT8_P12ihipStream_tbDpT10_ENKUlT_T0_E_clISt17integral_constantIbLb0EES1B_IbLb1EEEEDaS17_S18_EUlS17_E_NS1_11comp_targetILNS1_3genE10ELNS1_11target_archE1200ELNS1_3gpuE4ELNS1_3repE0EEENS1_30default_config_static_selectorELNS0_4arch9wavefront6targetE1EEEvT1_,@function
_ZN7rocprim17ROCPRIM_400000_NS6detail17trampoline_kernelINS0_14default_configENS1_25partition_config_selectorILNS1_17partition_subalgoE8ElNS0_10empty_typeEbEEZZNS1_14partition_implILS5_8ELb0ES3_jPlPS6_PKS6_NS0_5tupleIJS9_S6_EEENSD_IJSA_SA_EEENS0_18inequality_wrapperIZN2at6native12_GLOBAL__N_124unique_dim_cuda_templateIaEESt5tupleIJNSH_6TensorESM_SM_EERKSM_lbbbEUlllE0_EEPmJS6_EEE10hipError_tPvRmT3_T4_T5_T6_T7_T9_mT8_P12ihipStream_tbDpT10_ENKUlT_T0_E_clISt17integral_constantIbLb0EES1B_IbLb1EEEEDaS17_S18_EUlS17_E_NS1_11comp_targetILNS1_3genE10ELNS1_11target_archE1200ELNS1_3gpuE4ELNS1_3repE0EEENS1_30default_config_static_selectorELNS0_4arch9wavefront6targetE1EEEvT1_: ; @_ZN7rocprim17ROCPRIM_400000_NS6detail17trampoline_kernelINS0_14default_configENS1_25partition_config_selectorILNS1_17partition_subalgoE8ElNS0_10empty_typeEbEEZZNS1_14partition_implILS5_8ELb0ES3_jPlPS6_PKS6_NS0_5tupleIJS9_S6_EEENSD_IJSA_SA_EEENS0_18inequality_wrapperIZN2at6native12_GLOBAL__N_124unique_dim_cuda_templateIaEESt5tupleIJNSH_6TensorESM_SM_EERKSM_lbbbEUlllE0_EEPmJS6_EEE10hipError_tPvRmT3_T4_T5_T6_T7_T9_mT8_P12ihipStream_tbDpT10_ENKUlT_T0_E_clISt17integral_constantIbLb0EES1B_IbLb1EEEEDaS17_S18_EUlS17_E_NS1_11comp_targetILNS1_3genE10ELNS1_11target_archE1200ELNS1_3gpuE4ELNS1_3repE0EEENS1_30default_config_static_selectorELNS0_4arch9wavefront6targetE1EEEvT1_
; %bb.0:
	.section	.rodata,"a",@progbits
	.p2align	6, 0x0
	.amdhsa_kernel _ZN7rocprim17ROCPRIM_400000_NS6detail17trampoline_kernelINS0_14default_configENS1_25partition_config_selectorILNS1_17partition_subalgoE8ElNS0_10empty_typeEbEEZZNS1_14partition_implILS5_8ELb0ES3_jPlPS6_PKS6_NS0_5tupleIJS9_S6_EEENSD_IJSA_SA_EEENS0_18inequality_wrapperIZN2at6native12_GLOBAL__N_124unique_dim_cuda_templateIaEESt5tupleIJNSH_6TensorESM_SM_EERKSM_lbbbEUlllE0_EEPmJS6_EEE10hipError_tPvRmT3_T4_T5_T6_T7_T9_mT8_P12ihipStream_tbDpT10_ENKUlT_T0_E_clISt17integral_constantIbLb0EES1B_IbLb1EEEEDaS17_S18_EUlS17_E_NS1_11comp_targetILNS1_3genE10ELNS1_11target_archE1200ELNS1_3gpuE4ELNS1_3repE0EEENS1_30default_config_static_selectorELNS0_4arch9wavefront6targetE1EEEvT1_
		.amdhsa_group_segment_fixed_size 0
		.amdhsa_private_segment_fixed_size 0
		.amdhsa_kernarg_size 136
		.amdhsa_user_sgpr_count 2
		.amdhsa_user_sgpr_dispatch_ptr 0
		.amdhsa_user_sgpr_queue_ptr 0
		.amdhsa_user_sgpr_kernarg_segment_ptr 1
		.amdhsa_user_sgpr_dispatch_id 0
		.amdhsa_user_sgpr_kernarg_preload_length 0
		.amdhsa_user_sgpr_kernarg_preload_offset 0
		.amdhsa_user_sgpr_private_segment_size 0
		.amdhsa_uses_dynamic_stack 0
		.amdhsa_enable_private_segment 0
		.amdhsa_system_sgpr_workgroup_id_x 1
		.amdhsa_system_sgpr_workgroup_id_y 0
		.amdhsa_system_sgpr_workgroup_id_z 0
		.amdhsa_system_sgpr_workgroup_info 0
		.amdhsa_system_vgpr_workitem_id 0
		.amdhsa_next_free_vgpr 1
		.amdhsa_next_free_sgpr 0
		.amdhsa_accum_offset 4
		.amdhsa_reserve_vcc 0
		.amdhsa_float_round_mode_32 0
		.amdhsa_float_round_mode_16_64 0
		.amdhsa_float_denorm_mode_32 3
		.amdhsa_float_denorm_mode_16_64 3
		.amdhsa_dx10_clamp 1
		.amdhsa_ieee_mode 1
		.amdhsa_fp16_overflow 0
		.amdhsa_tg_split 0
		.amdhsa_exception_fp_ieee_invalid_op 0
		.amdhsa_exception_fp_denorm_src 0
		.amdhsa_exception_fp_ieee_div_zero 0
		.amdhsa_exception_fp_ieee_overflow 0
		.amdhsa_exception_fp_ieee_underflow 0
		.amdhsa_exception_fp_ieee_inexact 0
		.amdhsa_exception_int_div_zero 0
	.end_amdhsa_kernel
	.section	.text._ZN7rocprim17ROCPRIM_400000_NS6detail17trampoline_kernelINS0_14default_configENS1_25partition_config_selectorILNS1_17partition_subalgoE8ElNS0_10empty_typeEbEEZZNS1_14partition_implILS5_8ELb0ES3_jPlPS6_PKS6_NS0_5tupleIJS9_S6_EEENSD_IJSA_SA_EEENS0_18inequality_wrapperIZN2at6native12_GLOBAL__N_124unique_dim_cuda_templateIaEESt5tupleIJNSH_6TensorESM_SM_EERKSM_lbbbEUlllE0_EEPmJS6_EEE10hipError_tPvRmT3_T4_T5_T6_T7_T9_mT8_P12ihipStream_tbDpT10_ENKUlT_T0_E_clISt17integral_constantIbLb0EES1B_IbLb1EEEEDaS17_S18_EUlS17_E_NS1_11comp_targetILNS1_3genE10ELNS1_11target_archE1200ELNS1_3gpuE4ELNS1_3repE0EEENS1_30default_config_static_selectorELNS0_4arch9wavefront6targetE1EEEvT1_,"axG",@progbits,_ZN7rocprim17ROCPRIM_400000_NS6detail17trampoline_kernelINS0_14default_configENS1_25partition_config_selectorILNS1_17partition_subalgoE8ElNS0_10empty_typeEbEEZZNS1_14partition_implILS5_8ELb0ES3_jPlPS6_PKS6_NS0_5tupleIJS9_S6_EEENSD_IJSA_SA_EEENS0_18inequality_wrapperIZN2at6native12_GLOBAL__N_124unique_dim_cuda_templateIaEESt5tupleIJNSH_6TensorESM_SM_EERKSM_lbbbEUlllE0_EEPmJS6_EEE10hipError_tPvRmT3_T4_T5_T6_T7_T9_mT8_P12ihipStream_tbDpT10_ENKUlT_T0_E_clISt17integral_constantIbLb0EES1B_IbLb1EEEEDaS17_S18_EUlS17_E_NS1_11comp_targetILNS1_3genE10ELNS1_11target_archE1200ELNS1_3gpuE4ELNS1_3repE0EEENS1_30default_config_static_selectorELNS0_4arch9wavefront6targetE1EEEvT1_,comdat
.Lfunc_end350:
	.size	_ZN7rocprim17ROCPRIM_400000_NS6detail17trampoline_kernelINS0_14default_configENS1_25partition_config_selectorILNS1_17partition_subalgoE8ElNS0_10empty_typeEbEEZZNS1_14partition_implILS5_8ELb0ES3_jPlPS6_PKS6_NS0_5tupleIJS9_S6_EEENSD_IJSA_SA_EEENS0_18inequality_wrapperIZN2at6native12_GLOBAL__N_124unique_dim_cuda_templateIaEESt5tupleIJNSH_6TensorESM_SM_EERKSM_lbbbEUlllE0_EEPmJS6_EEE10hipError_tPvRmT3_T4_T5_T6_T7_T9_mT8_P12ihipStream_tbDpT10_ENKUlT_T0_E_clISt17integral_constantIbLb0EES1B_IbLb1EEEEDaS17_S18_EUlS17_E_NS1_11comp_targetILNS1_3genE10ELNS1_11target_archE1200ELNS1_3gpuE4ELNS1_3repE0EEENS1_30default_config_static_selectorELNS0_4arch9wavefront6targetE1EEEvT1_, .Lfunc_end350-_ZN7rocprim17ROCPRIM_400000_NS6detail17trampoline_kernelINS0_14default_configENS1_25partition_config_selectorILNS1_17partition_subalgoE8ElNS0_10empty_typeEbEEZZNS1_14partition_implILS5_8ELb0ES3_jPlPS6_PKS6_NS0_5tupleIJS9_S6_EEENSD_IJSA_SA_EEENS0_18inequality_wrapperIZN2at6native12_GLOBAL__N_124unique_dim_cuda_templateIaEESt5tupleIJNSH_6TensorESM_SM_EERKSM_lbbbEUlllE0_EEPmJS6_EEE10hipError_tPvRmT3_T4_T5_T6_T7_T9_mT8_P12ihipStream_tbDpT10_ENKUlT_T0_E_clISt17integral_constantIbLb0EES1B_IbLb1EEEEDaS17_S18_EUlS17_E_NS1_11comp_targetILNS1_3genE10ELNS1_11target_archE1200ELNS1_3gpuE4ELNS1_3repE0EEENS1_30default_config_static_selectorELNS0_4arch9wavefront6targetE1EEEvT1_
                                        ; -- End function
	.section	.AMDGPU.csdata,"",@progbits
; Kernel info:
; codeLenInByte = 0
; NumSgprs: 6
; NumVgprs: 0
; NumAgprs: 0
; TotalNumVgprs: 0
; ScratchSize: 0
; MemoryBound: 0
; FloatMode: 240
; IeeeMode: 1
; LDSByteSize: 0 bytes/workgroup (compile time only)
; SGPRBlocks: 0
; VGPRBlocks: 0
; NumSGPRsForWavesPerEU: 6
; NumVGPRsForWavesPerEU: 1
; AccumOffset: 4
; Occupancy: 8
; WaveLimiterHint : 0
; COMPUTE_PGM_RSRC2:SCRATCH_EN: 0
; COMPUTE_PGM_RSRC2:USER_SGPR: 2
; COMPUTE_PGM_RSRC2:TRAP_HANDLER: 0
; COMPUTE_PGM_RSRC2:TGID_X_EN: 1
; COMPUTE_PGM_RSRC2:TGID_Y_EN: 0
; COMPUTE_PGM_RSRC2:TGID_Z_EN: 0
; COMPUTE_PGM_RSRC2:TIDIG_COMP_CNT: 0
; COMPUTE_PGM_RSRC3_GFX90A:ACCUM_OFFSET: 0
; COMPUTE_PGM_RSRC3_GFX90A:TG_SPLIT: 0
	.section	.text._ZN7rocprim17ROCPRIM_400000_NS6detail17trampoline_kernelINS0_14default_configENS1_25partition_config_selectorILNS1_17partition_subalgoE8ElNS0_10empty_typeEbEEZZNS1_14partition_implILS5_8ELb0ES3_jPlPS6_PKS6_NS0_5tupleIJS9_S6_EEENSD_IJSA_SA_EEENS0_18inequality_wrapperIZN2at6native12_GLOBAL__N_124unique_dim_cuda_templateIaEESt5tupleIJNSH_6TensorESM_SM_EERKSM_lbbbEUlllE0_EEPmJS6_EEE10hipError_tPvRmT3_T4_T5_T6_T7_T9_mT8_P12ihipStream_tbDpT10_ENKUlT_T0_E_clISt17integral_constantIbLb0EES1B_IbLb1EEEEDaS17_S18_EUlS17_E_NS1_11comp_targetILNS1_3genE9ELNS1_11target_archE1100ELNS1_3gpuE3ELNS1_3repE0EEENS1_30default_config_static_selectorELNS0_4arch9wavefront6targetE1EEEvT1_,"axG",@progbits,_ZN7rocprim17ROCPRIM_400000_NS6detail17trampoline_kernelINS0_14default_configENS1_25partition_config_selectorILNS1_17partition_subalgoE8ElNS0_10empty_typeEbEEZZNS1_14partition_implILS5_8ELb0ES3_jPlPS6_PKS6_NS0_5tupleIJS9_S6_EEENSD_IJSA_SA_EEENS0_18inequality_wrapperIZN2at6native12_GLOBAL__N_124unique_dim_cuda_templateIaEESt5tupleIJNSH_6TensorESM_SM_EERKSM_lbbbEUlllE0_EEPmJS6_EEE10hipError_tPvRmT3_T4_T5_T6_T7_T9_mT8_P12ihipStream_tbDpT10_ENKUlT_T0_E_clISt17integral_constantIbLb0EES1B_IbLb1EEEEDaS17_S18_EUlS17_E_NS1_11comp_targetILNS1_3genE9ELNS1_11target_archE1100ELNS1_3gpuE3ELNS1_3repE0EEENS1_30default_config_static_selectorELNS0_4arch9wavefront6targetE1EEEvT1_,comdat
	.globl	_ZN7rocprim17ROCPRIM_400000_NS6detail17trampoline_kernelINS0_14default_configENS1_25partition_config_selectorILNS1_17partition_subalgoE8ElNS0_10empty_typeEbEEZZNS1_14partition_implILS5_8ELb0ES3_jPlPS6_PKS6_NS0_5tupleIJS9_S6_EEENSD_IJSA_SA_EEENS0_18inequality_wrapperIZN2at6native12_GLOBAL__N_124unique_dim_cuda_templateIaEESt5tupleIJNSH_6TensorESM_SM_EERKSM_lbbbEUlllE0_EEPmJS6_EEE10hipError_tPvRmT3_T4_T5_T6_T7_T9_mT8_P12ihipStream_tbDpT10_ENKUlT_T0_E_clISt17integral_constantIbLb0EES1B_IbLb1EEEEDaS17_S18_EUlS17_E_NS1_11comp_targetILNS1_3genE9ELNS1_11target_archE1100ELNS1_3gpuE3ELNS1_3repE0EEENS1_30default_config_static_selectorELNS0_4arch9wavefront6targetE1EEEvT1_ ; -- Begin function _ZN7rocprim17ROCPRIM_400000_NS6detail17trampoline_kernelINS0_14default_configENS1_25partition_config_selectorILNS1_17partition_subalgoE8ElNS0_10empty_typeEbEEZZNS1_14partition_implILS5_8ELb0ES3_jPlPS6_PKS6_NS0_5tupleIJS9_S6_EEENSD_IJSA_SA_EEENS0_18inequality_wrapperIZN2at6native12_GLOBAL__N_124unique_dim_cuda_templateIaEESt5tupleIJNSH_6TensorESM_SM_EERKSM_lbbbEUlllE0_EEPmJS6_EEE10hipError_tPvRmT3_T4_T5_T6_T7_T9_mT8_P12ihipStream_tbDpT10_ENKUlT_T0_E_clISt17integral_constantIbLb0EES1B_IbLb1EEEEDaS17_S18_EUlS17_E_NS1_11comp_targetILNS1_3genE9ELNS1_11target_archE1100ELNS1_3gpuE3ELNS1_3repE0EEENS1_30default_config_static_selectorELNS0_4arch9wavefront6targetE1EEEvT1_
	.p2align	8
	.type	_ZN7rocprim17ROCPRIM_400000_NS6detail17trampoline_kernelINS0_14default_configENS1_25partition_config_selectorILNS1_17partition_subalgoE8ElNS0_10empty_typeEbEEZZNS1_14partition_implILS5_8ELb0ES3_jPlPS6_PKS6_NS0_5tupleIJS9_S6_EEENSD_IJSA_SA_EEENS0_18inequality_wrapperIZN2at6native12_GLOBAL__N_124unique_dim_cuda_templateIaEESt5tupleIJNSH_6TensorESM_SM_EERKSM_lbbbEUlllE0_EEPmJS6_EEE10hipError_tPvRmT3_T4_T5_T6_T7_T9_mT8_P12ihipStream_tbDpT10_ENKUlT_T0_E_clISt17integral_constantIbLb0EES1B_IbLb1EEEEDaS17_S18_EUlS17_E_NS1_11comp_targetILNS1_3genE9ELNS1_11target_archE1100ELNS1_3gpuE3ELNS1_3repE0EEENS1_30default_config_static_selectorELNS0_4arch9wavefront6targetE1EEEvT1_,@function
_ZN7rocprim17ROCPRIM_400000_NS6detail17trampoline_kernelINS0_14default_configENS1_25partition_config_selectorILNS1_17partition_subalgoE8ElNS0_10empty_typeEbEEZZNS1_14partition_implILS5_8ELb0ES3_jPlPS6_PKS6_NS0_5tupleIJS9_S6_EEENSD_IJSA_SA_EEENS0_18inequality_wrapperIZN2at6native12_GLOBAL__N_124unique_dim_cuda_templateIaEESt5tupleIJNSH_6TensorESM_SM_EERKSM_lbbbEUlllE0_EEPmJS6_EEE10hipError_tPvRmT3_T4_T5_T6_T7_T9_mT8_P12ihipStream_tbDpT10_ENKUlT_T0_E_clISt17integral_constantIbLb0EES1B_IbLb1EEEEDaS17_S18_EUlS17_E_NS1_11comp_targetILNS1_3genE9ELNS1_11target_archE1100ELNS1_3gpuE3ELNS1_3repE0EEENS1_30default_config_static_selectorELNS0_4arch9wavefront6targetE1EEEvT1_: ; @_ZN7rocprim17ROCPRIM_400000_NS6detail17trampoline_kernelINS0_14default_configENS1_25partition_config_selectorILNS1_17partition_subalgoE8ElNS0_10empty_typeEbEEZZNS1_14partition_implILS5_8ELb0ES3_jPlPS6_PKS6_NS0_5tupleIJS9_S6_EEENSD_IJSA_SA_EEENS0_18inequality_wrapperIZN2at6native12_GLOBAL__N_124unique_dim_cuda_templateIaEESt5tupleIJNSH_6TensorESM_SM_EERKSM_lbbbEUlllE0_EEPmJS6_EEE10hipError_tPvRmT3_T4_T5_T6_T7_T9_mT8_P12ihipStream_tbDpT10_ENKUlT_T0_E_clISt17integral_constantIbLb0EES1B_IbLb1EEEEDaS17_S18_EUlS17_E_NS1_11comp_targetILNS1_3genE9ELNS1_11target_archE1100ELNS1_3gpuE3ELNS1_3repE0EEENS1_30default_config_static_selectorELNS0_4arch9wavefront6targetE1EEEvT1_
; %bb.0:
	.section	.rodata,"a",@progbits
	.p2align	6, 0x0
	.amdhsa_kernel _ZN7rocprim17ROCPRIM_400000_NS6detail17trampoline_kernelINS0_14default_configENS1_25partition_config_selectorILNS1_17partition_subalgoE8ElNS0_10empty_typeEbEEZZNS1_14partition_implILS5_8ELb0ES3_jPlPS6_PKS6_NS0_5tupleIJS9_S6_EEENSD_IJSA_SA_EEENS0_18inequality_wrapperIZN2at6native12_GLOBAL__N_124unique_dim_cuda_templateIaEESt5tupleIJNSH_6TensorESM_SM_EERKSM_lbbbEUlllE0_EEPmJS6_EEE10hipError_tPvRmT3_T4_T5_T6_T7_T9_mT8_P12ihipStream_tbDpT10_ENKUlT_T0_E_clISt17integral_constantIbLb0EES1B_IbLb1EEEEDaS17_S18_EUlS17_E_NS1_11comp_targetILNS1_3genE9ELNS1_11target_archE1100ELNS1_3gpuE3ELNS1_3repE0EEENS1_30default_config_static_selectorELNS0_4arch9wavefront6targetE1EEEvT1_
		.amdhsa_group_segment_fixed_size 0
		.amdhsa_private_segment_fixed_size 0
		.amdhsa_kernarg_size 136
		.amdhsa_user_sgpr_count 2
		.amdhsa_user_sgpr_dispatch_ptr 0
		.amdhsa_user_sgpr_queue_ptr 0
		.amdhsa_user_sgpr_kernarg_segment_ptr 1
		.amdhsa_user_sgpr_dispatch_id 0
		.amdhsa_user_sgpr_kernarg_preload_length 0
		.amdhsa_user_sgpr_kernarg_preload_offset 0
		.amdhsa_user_sgpr_private_segment_size 0
		.amdhsa_uses_dynamic_stack 0
		.amdhsa_enable_private_segment 0
		.amdhsa_system_sgpr_workgroup_id_x 1
		.amdhsa_system_sgpr_workgroup_id_y 0
		.amdhsa_system_sgpr_workgroup_id_z 0
		.amdhsa_system_sgpr_workgroup_info 0
		.amdhsa_system_vgpr_workitem_id 0
		.amdhsa_next_free_vgpr 1
		.amdhsa_next_free_sgpr 0
		.amdhsa_accum_offset 4
		.amdhsa_reserve_vcc 0
		.amdhsa_float_round_mode_32 0
		.amdhsa_float_round_mode_16_64 0
		.amdhsa_float_denorm_mode_32 3
		.amdhsa_float_denorm_mode_16_64 3
		.amdhsa_dx10_clamp 1
		.amdhsa_ieee_mode 1
		.amdhsa_fp16_overflow 0
		.amdhsa_tg_split 0
		.amdhsa_exception_fp_ieee_invalid_op 0
		.amdhsa_exception_fp_denorm_src 0
		.amdhsa_exception_fp_ieee_div_zero 0
		.amdhsa_exception_fp_ieee_overflow 0
		.amdhsa_exception_fp_ieee_underflow 0
		.amdhsa_exception_fp_ieee_inexact 0
		.amdhsa_exception_int_div_zero 0
	.end_amdhsa_kernel
	.section	.text._ZN7rocprim17ROCPRIM_400000_NS6detail17trampoline_kernelINS0_14default_configENS1_25partition_config_selectorILNS1_17partition_subalgoE8ElNS0_10empty_typeEbEEZZNS1_14partition_implILS5_8ELb0ES3_jPlPS6_PKS6_NS0_5tupleIJS9_S6_EEENSD_IJSA_SA_EEENS0_18inequality_wrapperIZN2at6native12_GLOBAL__N_124unique_dim_cuda_templateIaEESt5tupleIJNSH_6TensorESM_SM_EERKSM_lbbbEUlllE0_EEPmJS6_EEE10hipError_tPvRmT3_T4_T5_T6_T7_T9_mT8_P12ihipStream_tbDpT10_ENKUlT_T0_E_clISt17integral_constantIbLb0EES1B_IbLb1EEEEDaS17_S18_EUlS17_E_NS1_11comp_targetILNS1_3genE9ELNS1_11target_archE1100ELNS1_3gpuE3ELNS1_3repE0EEENS1_30default_config_static_selectorELNS0_4arch9wavefront6targetE1EEEvT1_,"axG",@progbits,_ZN7rocprim17ROCPRIM_400000_NS6detail17trampoline_kernelINS0_14default_configENS1_25partition_config_selectorILNS1_17partition_subalgoE8ElNS0_10empty_typeEbEEZZNS1_14partition_implILS5_8ELb0ES3_jPlPS6_PKS6_NS0_5tupleIJS9_S6_EEENSD_IJSA_SA_EEENS0_18inequality_wrapperIZN2at6native12_GLOBAL__N_124unique_dim_cuda_templateIaEESt5tupleIJNSH_6TensorESM_SM_EERKSM_lbbbEUlllE0_EEPmJS6_EEE10hipError_tPvRmT3_T4_T5_T6_T7_T9_mT8_P12ihipStream_tbDpT10_ENKUlT_T0_E_clISt17integral_constantIbLb0EES1B_IbLb1EEEEDaS17_S18_EUlS17_E_NS1_11comp_targetILNS1_3genE9ELNS1_11target_archE1100ELNS1_3gpuE3ELNS1_3repE0EEENS1_30default_config_static_selectorELNS0_4arch9wavefront6targetE1EEEvT1_,comdat
.Lfunc_end351:
	.size	_ZN7rocprim17ROCPRIM_400000_NS6detail17trampoline_kernelINS0_14default_configENS1_25partition_config_selectorILNS1_17partition_subalgoE8ElNS0_10empty_typeEbEEZZNS1_14partition_implILS5_8ELb0ES3_jPlPS6_PKS6_NS0_5tupleIJS9_S6_EEENSD_IJSA_SA_EEENS0_18inequality_wrapperIZN2at6native12_GLOBAL__N_124unique_dim_cuda_templateIaEESt5tupleIJNSH_6TensorESM_SM_EERKSM_lbbbEUlllE0_EEPmJS6_EEE10hipError_tPvRmT3_T4_T5_T6_T7_T9_mT8_P12ihipStream_tbDpT10_ENKUlT_T0_E_clISt17integral_constantIbLb0EES1B_IbLb1EEEEDaS17_S18_EUlS17_E_NS1_11comp_targetILNS1_3genE9ELNS1_11target_archE1100ELNS1_3gpuE3ELNS1_3repE0EEENS1_30default_config_static_selectorELNS0_4arch9wavefront6targetE1EEEvT1_, .Lfunc_end351-_ZN7rocprim17ROCPRIM_400000_NS6detail17trampoline_kernelINS0_14default_configENS1_25partition_config_selectorILNS1_17partition_subalgoE8ElNS0_10empty_typeEbEEZZNS1_14partition_implILS5_8ELb0ES3_jPlPS6_PKS6_NS0_5tupleIJS9_S6_EEENSD_IJSA_SA_EEENS0_18inequality_wrapperIZN2at6native12_GLOBAL__N_124unique_dim_cuda_templateIaEESt5tupleIJNSH_6TensorESM_SM_EERKSM_lbbbEUlllE0_EEPmJS6_EEE10hipError_tPvRmT3_T4_T5_T6_T7_T9_mT8_P12ihipStream_tbDpT10_ENKUlT_T0_E_clISt17integral_constantIbLb0EES1B_IbLb1EEEEDaS17_S18_EUlS17_E_NS1_11comp_targetILNS1_3genE9ELNS1_11target_archE1100ELNS1_3gpuE3ELNS1_3repE0EEENS1_30default_config_static_selectorELNS0_4arch9wavefront6targetE1EEEvT1_
                                        ; -- End function
	.section	.AMDGPU.csdata,"",@progbits
; Kernel info:
; codeLenInByte = 0
; NumSgprs: 6
; NumVgprs: 0
; NumAgprs: 0
; TotalNumVgprs: 0
; ScratchSize: 0
; MemoryBound: 0
; FloatMode: 240
; IeeeMode: 1
; LDSByteSize: 0 bytes/workgroup (compile time only)
; SGPRBlocks: 0
; VGPRBlocks: 0
; NumSGPRsForWavesPerEU: 6
; NumVGPRsForWavesPerEU: 1
; AccumOffset: 4
; Occupancy: 8
; WaveLimiterHint : 0
; COMPUTE_PGM_RSRC2:SCRATCH_EN: 0
; COMPUTE_PGM_RSRC2:USER_SGPR: 2
; COMPUTE_PGM_RSRC2:TRAP_HANDLER: 0
; COMPUTE_PGM_RSRC2:TGID_X_EN: 1
; COMPUTE_PGM_RSRC2:TGID_Y_EN: 0
; COMPUTE_PGM_RSRC2:TGID_Z_EN: 0
; COMPUTE_PGM_RSRC2:TIDIG_COMP_CNT: 0
; COMPUTE_PGM_RSRC3_GFX90A:ACCUM_OFFSET: 0
; COMPUTE_PGM_RSRC3_GFX90A:TG_SPLIT: 0
	.section	.text._ZN7rocprim17ROCPRIM_400000_NS6detail17trampoline_kernelINS0_14default_configENS1_25partition_config_selectorILNS1_17partition_subalgoE8ElNS0_10empty_typeEbEEZZNS1_14partition_implILS5_8ELb0ES3_jPlPS6_PKS6_NS0_5tupleIJS9_S6_EEENSD_IJSA_SA_EEENS0_18inequality_wrapperIZN2at6native12_GLOBAL__N_124unique_dim_cuda_templateIaEESt5tupleIJNSH_6TensorESM_SM_EERKSM_lbbbEUlllE0_EEPmJS6_EEE10hipError_tPvRmT3_T4_T5_T6_T7_T9_mT8_P12ihipStream_tbDpT10_ENKUlT_T0_E_clISt17integral_constantIbLb0EES1B_IbLb1EEEEDaS17_S18_EUlS17_E_NS1_11comp_targetILNS1_3genE8ELNS1_11target_archE1030ELNS1_3gpuE2ELNS1_3repE0EEENS1_30default_config_static_selectorELNS0_4arch9wavefront6targetE1EEEvT1_,"axG",@progbits,_ZN7rocprim17ROCPRIM_400000_NS6detail17trampoline_kernelINS0_14default_configENS1_25partition_config_selectorILNS1_17partition_subalgoE8ElNS0_10empty_typeEbEEZZNS1_14partition_implILS5_8ELb0ES3_jPlPS6_PKS6_NS0_5tupleIJS9_S6_EEENSD_IJSA_SA_EEENS0_18inequality_wrapperIZN2at6native12_GLOBAL__N_124unique_dim_cuda_templateIaEESt5tupleIJNSH_6TensorESM_SM_EERKSM_lbbbEUlllE0_EEPmJS6_EEE10hipError_tPvRmT3_T4_T5_T6_T7_T9_mT8_P12ihipStream_tbDpT10_ENKUlT_T0_E_clISt17integral_constantIbLb0EES1B_IbLb1EEEEDaS17_S18_EUlS17_E_NS1_11comp_targetILNS1_3genE8ELNS1_11target_archE1030ELNS1_3gpuE2ELNS1_3repE0EEENS1_30default_config_static_selectorELNS0_4arch9wavefront6targetE1EEEvT1_,comdat
	.globl	_ZN7rocprim17ROCPRIM_400000_NS6detail17trampoline_kernelINS0_14default_configENS1_25partition_config_selectorILNS1_17partition_subalgoE8ElNS0_10empty_typeEbEEZZNS1_14partition_implILS5_8ELb0ES3_jPlPS6_PKS6_NS0_5tupleIJS9_S6_EEENSD_IJSA_SA_EEENS0_18inequality_wrapperIZN2at6native12_GLOBAL__N_124unique_dim_cuda_templateIaEESt5tupleIJNSH_6TensorESM_SM_EERKSM_lbbbEUlllE0_EEPmJS6_EEE10hipError_tPvRmT3_T4_T5_T6_T7_T9_mT8_P12ihipStream_tbDpT10_ENKUlT_T0_E_clISt17integral_constantIbLb0EES1B_IbLb1EEEEDaS17_S18_EUlS17_E_NS1_11comp_targetILNS1_3genE8ELNS1_11target_archE1030ELNS1_3gpuE2ELNS1_3repE0EEENS1_30default_config_static_selectorELNS0_4arch9wavefront6targetE1EEEvT1_ ; -- Begin function _ZN7rocprim17ROCPRIM_400000_NS6detail17trampoline_kernelINS0_14default_configENS1_25partition_config_selectorILNS1_17partition_subalgoE8ElNS0_10empty_typeEbEEZZNS1_14partition_implILS5_8ELb0ES3_jPlPS6_PKS6_NS0_5tupleIJS9_S6_EEENSD_IJSA_SA_EEENS0_18inequality_wrapperIZN2at6native12_GLOBAL__N_124unique_dim_cuda_templateIaEESt5tupleIJNSH_6TensorESM_SM_EERKSM_lbbbEUlllE0_EEPmJS6_EEE10hipError_tPvRmT3_T4_T5_T6_T7_T9_mT8_P12ihipStream_tbDpT10_ENKUlT_T0_E_clISt17integral_constantIbLb0EES1B_IbLb1EEEEDaS17_S18_EUlS17_E_NS1_11comp_targetILNS1_3genE8ELNS1_11target_archE1030ELNS1_3gpuE2ELNS1_3repE0EEENS1_30default_config_static_selectorELNS0_4arch9wavefront6targetE1EEEvT1_
	.p2align	8
	.type	_ZN7rocprim17ROCPRIM_400000_NS6detail17trampoline_kernelINS0_14default_configENS1_25partition_config_selectorILNS1_17partition_subalgoE8ElNS0_10empty_typeEbEEZZNS1_14partition_implILS5_8ELb0ES3_jPlPS6_PKS6_NS0_5tupleIJS9_S6_EEENSD_IJSA_SA_EEENS0_18inequality_wrapperIZN2at6native12_GLOBAL__N_124unique_dim_cuda_templateIaEESt5tupleIJNSH_6TensorESM_SM_EERKSM_lbbbEUlllE0_EEPmJS6_EEE10hipError_tPvRmT3_T4_T5_T6_T7_T9_mT8_P12ihipStream_tbDpT10_ENKUlT_T0_E_clISt17integral_constantIbLb0EES1B_IbLb1EEEEDaS17_S18_EUlS17_E_NS1_11comp_targetILNS1_3genE8ELNS1_11target_archE1030ELNS1_3gpuE2ELNS1_3repE0EEENS1_30default_config_static_selectorELNS0_4arch9wavefront6targetE1EEEvT1_,@function
_ZN7rocprim17ROCPRIM_400000_NS6detail17trampoline_kernelINS0_14default_configENS1_25partition_config_selectorILNS1_17partition_subalgoE8ElNS0_10empty_typeEbEEZZNS1_14partition_implILS5_8ELb0ES3_jPlPS6_PKS6_NS0_5tupleIJS9_S6_EEENSD_IJSA_SA_EEENS0_18inequality_wrapperIZN2at6native12_GLOBAL__N_124unique_dim_cuda_templateIaEESt5tupleIJNSH_6TensorESM_SM_EERKSM_lbbbEUlllE0_EEPmJS6_EEE10hipError_tPvRmT3_T4_T5_T6_T7_T9_mT8_P12ihipStream_tbDpT10_ENKUlT_T0_E_clISt17integral_constantIbLb0EES1B_IbLb1EEEEDaS17_S18_EUlS17_E_NS1_11comp_targetILNS1_3genE8ELNS1_11target_archE1030ELNS1_3gpuE2ELNS1_3repE0EEENS1_30default_config_static_selectorELNS0_4arch9wavefront6targetE1EEEvT1_: ; @_ZN7rocprim17ROCPRIM_400000_NS6detail17trampoline_kernelINS0_14default_configENS1_25partition_config_selectorILNS1_17partition_subalgoE8ElNS0_10empty_typeEbEEZZNS1_14partition_implILS5_8ELb0ES3_jPlPS6_PKS6_NS0_5tupleIJS9_S6_EEENSD_IJSA_SA_EEENS0_18inequality_wrapperIZN2at6native12_GLOBAL__N_124unique_dim_cuda_templateIaEESt5tupleIJNSH_6TensorESM_SM_EERKSM_lbbbEUlllE0_EEPmJS6_EEE10hipError_tPvRmT3_T4_T5_T6_T7_T9_mT8_P12ihipStream_tbDpT10_ENKUlT_T0_E_clISt17integral_constantIbLb0EES1B_IbLb1EEEEDaS17_S18_EUlS17_E_NS1_11comp_targetILNS1_3genE8ELNS1_11target_archE1030ELNS1_3gpuE2ELNS1_3repE0EEENS1_30default_config_static_selectorELNS0_4arch9wavefront6targetE1EEEvT1_
; %bb.0:
	.section	.rodata,"a",@progbits
	.p2align	6, 0x0
	.amdhsa_kernel _ZN7rocprim17ROCPRIM_400000_NS6detail17trampoline_kernelINS0_14default_configENS1_25partition_config_selectorILNS1_17partition_subalgoE8ElNS0_10empty_typeEbEEZZNS1_14partition_implILS5_8ELb0ES3_jPlPS6_PKS6_NS0_5tupleIJS9_S6_EEENSD_IJSA_SA_EEENS0_18inequality_wrapperIZN2at6native12_GLOBAL__N_124unique_dim_cuda_templateIaEESt5tupleIJNSH_6TensorESM_SM_EERKSM_lbbbEUlllE0_EEPmJS6_EEE10hipError_tPvRmT3_T4_T5_T6_T7_T9_mT8_P12ihipStream_tbDpT10_ENKUlT_T0_E_clISt17integral_constantIbLb0EES1B_IbLb1EEEEDaS17_S18_EUlS17_E_NS1_11comp_targetILNS1_3genE8ELNS1_11target_archE1030ELNS1_3gpuE2ELNS1_3repE0EEENS1_30default_config_static_selectorELNS0_4arch9wavefront6targetE1EEEvT1_
		.amdhsa_group_segment_fixed_size 0
		.amdhsa_private_segment_fixed_size 0
		.amdhsa_kernarg_size 136
		.amdhsa_user_sgpr_count 2
		.amdhsa_user_sgpr_dispatch_ptr 0
		.amdhsa_user_sgpr_queue_ptr 0
		.amdhsa_user_sgpr_kernarg_segment_ptr 1
		.amdhsa_user_sgpr_dispatch_id 0
		.amdhsa_user_sgpr_kernarg_preload_length 0
		.amdhsa_user_sgpr_kernarg_preload_offset 0
		.amdhsa_user_sgpr_private_segment_size 0
		.amdhsa_uses_dynamic_stack 0
		.amdhsa_enable_private_segment 0
		.amdhsa_system_sgpr_workgroup_id_x 1
		.amdhsa_system_sgpr_workgroup_id_y 0
		.amdhsa_system_sgpr_workgroup_id_z 0
		.amdhsa_system_sgpr_workgroup_info 0
		.amdhsa_system_vgpr_workitem_id 0
		.amdhsa_next_free_vgpr 1
		.amdhsa_next_free_sgpr 0
		.amdhsa_accum_offset 4
		.amdhsa_reserve_vcc 0
		.amdhsa_float_round_mode_32 0
		.amdhsa_float_round_mode_16_64 0
		.amdhsa_float_denorm_mode_32 3
		.amdhsa_float_denorm_mode_16_64 3
		.amdhsa_dx10_clamp 1
		.amdhsa_ieee_mode 1
		.amdhsa_fp16_overflow 0
		.amdhsa_tg_split 0
		.amdhsa_exception_fp_ieee_invalid_op 0
		.amdhsa_exception_fp_denorm_src 0
		.amdhsa_exception_fp_ieee_div_zero 0
		.amdhsa_exception_fp_ieee_overflow 0
		.amdhsa_exception_fp_ieee_underflow 0
		.amdhsa_exception_fp_ieee_inexact 0
		.amdhsa_exception_int_div_zero 0
	.end_amdhsa_kernel
	.section	.text._ZN7rocprim17ROCPRIM_400000_NS6detail17trampoline_kernelINS0_14default_configENS1_25partition_config_selectorILNS1_17partition_subalgoE8ElNS0_10empty_typeEbEEZZNS1_14partition_implILS5_8ELb0ES3_jPlPS6_PKS6_NS0_5tupleIJS9_S6_EEENSD_IJSA_SA_EEENS0_18inequality_wrapperIZN2at6native12_GLOBAL__N_124unique_dim_cuda_templateIaEESt5tupleIJNSH_6TensorESM_SM_EERKSM_lbbbEUlllE0_EEPmJS6_EEE10hipError_tPvRmT3_T4_T5_T6_T7_T9_mT8_P12ihipStream_tbDpT10_ENKUlT_T0_E_clISt17integral_constantIbLb0EES1B_IbLb1EEEEDaS17_S18_EUlS17_E_NS1_11comp_targetILNS1_3genE8ELNS1_11target_archE1030ELNS1_3gpuE2ELNS1_3repE0EEENS1_30default_config_static_selectorELNS0_4arch9wavefront6targetE1EEEvT1_,"axG",@progbits,_ZN7rocprim17ROCPRIM_400000_NS6detail17trampoline_kernelINS0_14default_configENS1_25partition_config_selectorILNS1_17partition_subalgoE8ElNS0_10empty_typeEbEEZZNS1_14partition_implILS5_8ELb0ES3_jPlPS6_PKS6_NS0_5tupleIJS9_S6_EEENSD_IJSA_SA_EEENS0_18inequality_wrapperIZN2at6native12_GLOBAL__N_124unique_dim_cuda_templateIaEESt5tupleIJNSH_6TensorESM_SM_EERKSM_lbbbEUlllE0_EEPmJS6_EEE10hipError_tPvRmT3_T4_T5_T6_T7_T9_mT8_P12ihipStream_tbDpT10_ENKUlT_T0_E_clISt17integral_constantIbLb0EES1B_IbLb1EEEEDaS17_S18_EUlS17_E_NS1_11comp_targetILNS1_3genE8ELNS1_11target_archE1030ELNS1_3gpuE2ELNS1_3repE0EEENS1_30default_config_static_selectorELNS0_4arch9wavefront6targetE1EEEvT1_,comdat
.Lfunc_end352:
	.size	_ZN7rocprim17ROCPRIM_400000_NS6detail17trampoline_kernelINS0_14default_configENS1_25partition_config_selectorILNS1_17partition_subalgoE8ElNS0_10empty_typeEbEEZZNS1_14partition_implILS5_8ELb0ES3_jPlPS6_PKS6_NS0_5tupleIJS9_S6_EEENSD_IJSA_SA_EEENS0_18inequality_wrapperIZN2at6native12_GLOBAL__N_124unique_dim_cuda_templateIaEESt5tupleIJNSH_6TensorESM_SM_EERKSM_lbbbEUlllE0_EEPmJS6_EEE10hipError_tPvRmT3_T4_T5_T6_T7_T9_mT8_P12ihipStream_tbDpT10_ENKUlT_T0_E_clISt17integral_constantIbLb0EES1B_IbLb1EEEEDaS17_S18_EUlS17_E_NS1_11comp_targetILNS1_3genE8ELNS1_11target_archE1030ELNS1_3gpuE2ELNS1_3repE0EEENS1_30default_config_static_selectorELNS0_4arch9wavefront6targetE1EEEvT1_, .Lfunc_end352-_ZN7rocprim17ROCPRIM_400000_NS6detail17trampoline_kernelINS0_14default_configENS1_25partition_config_selectorILNS1_17partition_subalgoE8ElNS0_10empty_typeEbEEZZNS1_14partition_implILS5_8ELb0ES3_jPlPS6_PKS6_NS0_5tupleIJS9_S6_EEENSD_IJSA_SA_EEENS0_18inequality_wrapperIZN2at6native12_GLOBAL__N_124unique_dim_cuda_templateIaEESt5tupleIJNSH_6TensorESM_SM_EERKSM_lbbbEUlllE0_EEPmJS6_EEE10hipError_tPvRmT3_T4_T5_T6_T7_T9_mT8_P12ihipStream_tbDpT10_ENKUlT_T0_E_clISt17integral_constantIbLb0EES1B_IbLb1EEEEDaS17_S18_EUlS17_E_NS1_11comp_targetILNS1_3genE8ELNS1_11target_archE1030ELNS1_3gpuE2ELNS1_3repE0EEENS1_30default_config_static_selectorELNS0_4arch9wavefront6targetE1EEEvT1_
                                        ; -- End function
	.section	.AMDGPU.csdata,"",@progbits
; Kernel info:
; codeLenInByte = 0
; NumSgprs: 6
; NumVgprs: 0
; NumAgprs: 0
; TotalNumVgprs: 0
; ScratchSize: 0
; MemoryBound: 0
; FloatMode: 240
; IeeeMode: 1
; LDSByteSize: 0 bytes/workgroup (compile time only)
; SGPRBlocks: 0
; VGPRBlocks: 0
; NumSGPRsForWavesPerEU: 6
; NumVGPRsForWavesPerEU: 1
; AccumOffset: 4
; Occupancy: 8
; WaveLimiterHint : 0
; COMPUTE_PGM_RSRC2:SCRATCH_EN: 0
; COMPUTE_PGM_RSRC2:USER_SGPR: 2
; COMPUTE_PGM_RSRC2:TRAP_HANDLER: 0
; COMPUTE_PGM_RSRC2:TGID_X_EN: 1
; COMPUTE_PGM_RSRC2:TGID_Y_EN: 0
; COMPUTE_PGM_RSRC2:TGID_Z_EN: 0
; COMPUTE_PGM_RSRC2:TIDIG_COMP_CNT: 0
; COMPUTE_PGM_RSRC3_GFX90A:ACCUM_OFFSET: 0
; COMPUTE_PGM_RSRC3_GFX90A:TG_SPLIT: 0
	.section	.text._ZN7rocprim17ROCPRIM_400000_NS6detail17trampoline_kernelINS0_14default_configENS1_25partition_config_selectorILNS1_17partition_subalgoE9EllbEEZZNS1_14partition_implILS5_9ELb0ES3_jPlS8_PNS0_10empty_typeENS0_5tupleIJS8_S9_EEENSB_IJS8_SA_EEENS0_18inequality_wrapperIZN2at6native12_GLOBAL__N_124unique_dim_cuda_templateIaEESt5tupleIJNSF_6TensorESK_SK_EERKSK_lbbbEUlllE0_EEPmJS9_EEE10hipError_tPvRmT3_T4_T5_T6_T7_T9_mT8_P12ihipStream_tbDpT10_ENKUlT_T0_E_clISt17integral_constantIbLb0EES1A_EEDaS15_S16_EUlS15_E_NS1_11comp_targetILNS1_3genE0ELNS1_11target_archE4294967295ELNS1_3gpuE0ELNS1_3repE0EEENS1_30default_config_static_selectorELNS0_4arch9wavefront6targetE1EEEvT1_,"axG",@progbits,_ZN7rocprim17ROCPRIM_400000_NS6detail17trampoline_kernelINS0_14default_configENS1_25partition_config_selectorILNS1_17partition_subalgoE9EllbEEZZNS1_14partition_implILS5_9ELb0ES3_jPlS8_PNS0_10empty_typeENS0_5tupleIJS8_S9_EEENSB_IJS8_SA_EEENS0_18inequality_wrapperIZN2at6native12_GLOBAL__N_124unique_dim_cuda_templateIaEESt5tupleIJNSF_6TensorESK_SK_EERKSK_lbbbEUlllE0_EEPmJS9_EEE10hipError_tPvRmT3_T4_T5_T6_T7_T9_mT8_P12ihipStream_tbDpT10_ENKUlT_T0_E_clISt17integral_constantIbLb0EES1A_EEDaS15_S16_EUlS15_E_NS1_11comp_targetILNS1_3genE0ELNS1_11target_archE4294967295ELNS1_3gpuE0ELNS1_3repE0EEENS1_30default_config_static_selectorELNS0_4arch9wavefront6targetE1EEEvT1_,comdat
	.globl	_ZN7rocprim17ROCPRIM_400000_NS6detail17trampoline_kernelINS0_14default_configENS1_25partition_config_selectorILNS1_17partition_subalgoE9EllbEEZZNS1_14partition_implILS5_9ELb0ES3_jPlS8_PNS0_10empty_typeENS0_5tupleIJS8_S9_EEENSB_IJS8_SA_EEENS0_18inequality_wrapperIZN2at6native12_GLOBAL__N_124unique_dim_cuda_templateIaEESt5tupleIJNSF_6TensorESK_SK_EERKSK_lbbbEUlllE0_EEPmJS9_EEE10hipError_tPvRmT3_T4_T5_T6_T7_T9_mT8_P12ihipStream_tbDpT10_ENKUlT_T0_E_clISt17integral_constantIbLb0EES1A_EEDaS15_S16_EUlS15_E_NS1_11comp_targetILNS1_3genE0ELNS1_11target_archE4294967295ELNS1_3gpuE0ELNS1_3repE0EEENS1_30default_config_static_selectorELNS0_4arch9wavefront6targetE1EEEvT1_ ; -- Begin function _ZN7rocprim17ROCPRIM_400000_NS6detail17trampoline_kernelINS0_14default_configENS1_25partition_config_selectorILNS1_17partition_subalgoE9EllbEEZZNS1_14partition_implILS5_9ELb0ES3_jPlS8_PNS0_10empty_typeENS0_5tupleIJS8_S9_EEENSB_IJS8_SA_EEENS0_18inequality_wrapperIZN2at6native12_GLOBAL__N_124unique_dim_cuda_templateIaEESt5tupleIJNSF_6TensorESK_SK_EERKSK_lbbbEUlllE0_EEPmJS9_EEE10hipError_tPvRmT3_T4_T5_T6_T7_T9_mT8_P12ihipStream_tbDpT10_ENKUlT_T0_E_clISt17integral_constantIbLb0EES1A_EEDaS15_S16_EUlS15_E_NS1_11comp_targetILNS1_3genE0ELNS1_11target_archE4294967295ELNS1_3gpuE0ELNS1_3repE0EEENS1_30default_config_static_selectorELNS0_4arch9wavefront6targetE1EEEvT1_
	.p2align	8
	.type	_ZN7rocprim17ROCPRIM_400000_NS6detail17trampoline_kernelINS0_14default_configENS1_25partition_config_selectorILNS1_17partition_subalgoE9EllbEEZZNS1_14partition_implILS5_9ELb0ES3_jPlS8_PNS0_10empty_typeENS0_5tupleIJS8_S9_EEENSB_IJS8_SA_EEENS0_18inequality_wrapperIZN2at6native12_GLOBAL__N_124unique_dim_cuda_templateIaEESt5tupleIJNSF_6TensorESK_SK_EERKSK_lbbbEUlllE0_EEPmJS9_EEE10hipError_tPvRmT3_T4_T5_T6_T7_T9_mT8_P12ihipStream_tbDpT10_ENKUlT_T0_E_clISt17integral_constantIbLb0EES1A_EEDaS15_S16_EUlS15_E_NS1_11comp_targetILNS1_3genE0ELNS1_11target_archE4294967295ELNS1_3gpuE0ELNS1_3repE0EEENS1_30default_config_static_selectorELNS0_4arch9wavefront6targetE1EEEvT1_,@function
_ZN7rocprim17ROCPRIM_400000_NS6detail17trampoline_kernelINS0_14default_configENS1_25partition_config_selectorILNS1_17partition_subalgoE9EllbEEZZNS1_14partition_implILS5_9ELb0ES3_jPlS8_PNS0_10empty_typeENS0_5tupleIJS8_S9_EEENSB_IJS8_SA_EEENS0_18inequality_wrapperIZN2at6native12_GLOBAL__N_124unique_dim_cuda_templateIaEESt5tupleIJNSF_6TensorESK_SK_EERKSK_lbbbEUlllE0_EEPmJS9_EEE10hipError_tPvRmT3_T4_T5_T6_T7_T9_mT8_P12ihipStream_tbDpT10_ENKUlT_T0_E_clISt17integral_constantIbLb0EES1A_EEDaS15_S16_EUlS15_E_NS1_11comp_targetILNS1_3genE0ELNS1_11target_archE4294967295ELNS1_3gpuE0ELNS1_3repE0EEENS1_30default_config_static_selectorELNS0_4arch9wavefront6targetE1EEEvT1_: ; @_ZN7rocprim17ROCPRIM_400000_NS6detail17trampoline_kernelINS0_14default_configENS1_25partition_config_selectorILNS1_17partition_subalgoE9EllbEEZZNS1_14partition_implILS5_9ELb0ES3_jPlS8_PNS0_10empty_typeENS0_5tupleIJS8_S9_EEENSB_IJS8_SA_EEENS0_18inequality_wrapperIZN2at6native12_GLOBAL__N_124unique_dim_cuda_templateIaEESt5tupleIJNSF_6TensorESK_SK_EERKSK_lbbbEUlllE0_EEPmJS9_EEE10hipError_tPvRmT3_T4_T5_T6_T7_T9_mT8_P12ihipStream_tbDpT10_ENKUlT_T0_E_clISt17integral_constantIbLb0EES1A_EEDaS15_S16_EUlS15_E_NS1_11comp_targetILNS1_3genE0ELNS1_11target_archE4294967295ELNS1_3gpuE0ELNS1_3repE0EEENS1_30default_config_static_selectorELNS0_4arch9wavefront6targetE1EEEvT1_
; %bb.0:
	.section	.rodata,"a",@progbits
	.p2align	6, 0x0
	.amdhsa_kernel _ZN7rocprim17ROCPRIM_400000_NS6detail17trampoline_kernelINS0_14default_configENS1_25partition_config_selectorILNS1_17partition_subalgoE9EllbEEZZNS1_14partition_implILS5_9ELb0ES3_jPlS8_PNS0_10empty_typeENS0_5tupleIJS8_S9_EEENSB_IJS8_SA_EEENS0_18inequality_wrapperIZN2at6native12_GLOBAL__N_124unique_dim_cuda_templateIaEESt5tupleIJNSF_6TensorESK_SK_EERKSK_lbbbEUlllE0_EEPmJS9_EEE10hipError_tPvRmT3_T4_T5_T6_T7_T9_mT8_P12ihipStream_tbDpT10_ENKUlT_T0_E_clISt17integral_constantIbLb0EES1A_EEDaS15_S16_EUlS15_E_NS1_11comp_targetILNS1_3genE0ELNS1_11target_archE4294967295ELNS1_3gpuE0ELNS1_3repE0EEENS1_30default_config_static_selectorELNS0_4arch9wavefront6targetE1EEEvT1_
		.amdhsa_group_segment_fixed_size 0
		.amdhsa_private_segment_fixed_size 0
		.amdhsa_kernarg_size 120
		.amdhsa_user_sgpr_count 2
		.amdhsa_user_sgpr_dispatch_ptr 0
		.amdhsa_user_sgpr_queue_ptr 0
		.amdhsa_user_sgpr_kernarg_segment_ptr 1
		.amdhsa_user_sgpr_dispatch_id 0
		.amdhsa_user_sgpr_kernarg_preload_length 0
		.amdhsa_user_sgpr_kernarg_preload_offset 0
		.amdhsa_user_sgpr_private_segment_size 0
		.amdhsa_uses_dynamic_stack 0
		.amdhsa_enable_private_segment 0
		.amdhsa_system_sgpr_workgroup_id_x 1
		.amdhsa_system_sgpr_workgroup_id_y 0
		.amdhsa_system_sgpr_workgroup_id_z 0
		.amdhsa_system_sgpr_workgroup_info 0
		.amdhsa_system_vgpr_workitem_id 0
		.amdhsa_next_free_vgpr 1
		.amdhsa_next_free_sgpr 0
		.amdhsa_accum_offset 4
		.amdhsa_reserve_vcc 0
		.amdhsa_float_round_mode_32 0
		.amdhsa_float_round_mode_16_64 0
		.amdhsa_float_denorm_mode_32 3
		.amdhsa_float_denorm_mode_16_64 3
		.amdhsa_dx10_clamp 1
		.amdhsa_ieee_mode 1
		.amdhsa_fp16_overflow 0
		.amdhsa_tg_split 0
		.amdhsa_exception_fp_ieee_invalid_op 0
		.amdhsa_exception_fp_denorm_src 0
		.amdhsa_exception_fp_ieee_div_zero 0
		.amdhsa_exception_fp_ieee_overflow 0
		.amdhsa_exception_fp_ieee_underflow 0
		.amdhsa_exception_fp_ieee_inexact 0
		.amdhsa_exception_int_div_zero 0
	.end_amdhsa_kernel
	.section	.text._ZN7rocprim17ROCPRIM_400000_NS6detail17trampoline_kernelINS0_14default_configENS1_25partition_config_selectorILNS1_17partition_subalgoE9EllbEEZZNS1_14partition_implILS5_9ELb0ES3_jPlS8_PNS0_10empty_typeENS0_5tupleIJS8_S9_EEENSB_IJS8_SA_EEENS0_18inequality_wrapperIZN2at6native12_GLOBAL__N_124unique_dim_cuda_templateIaEESt5tupleIJNSF_6TensorESK_SK_EERKSK_lbbbEUlllE0_EEPmJS9_EEE10hipError_tPvRmT3_T4_T5_T6_T7_T9_mT8_P12ihipStream_tbDpT10_ENKUlT_T0_E_clISt17integral_constantIbLb0EES1A_EEDaS15_S16_EUlS15_E_NS1_11comp_targetILNS1_3genE0ELNS1_11target_archE4294967295ELNS1_3gpuE0ELNS1_3repE0EEENS1_30default_config_static_selectorELNS0_4arch9wavefront6targetE1EEEvT1_,"axG",@progbits,_ZN7rocprim17ROCPRIM_400000_NS6detail17trampoline_kernelINS0_14default_configENS1_25partition_config_selectorILNS1_17partition_subalgoE9EllbEEZZNS1_14partition_implILS5_9ELb0ES3_jPlS8_PNS0_10empty_typeENS0_5tupleIJS8_S9_EEENSB_IJS8_SA_EEENS0_18inequality_wrapperIZN2at6native12_GLOBAL__N_124unique_dim_cuda_templateIaEESt5tupleIJNSF_6TensorESK_SK_EERKSK_lbbbEUlllE0_EEPmJS9_EEE10hipError_tPvRmT3_T4_T5_T6_T7_T9_mT8_P12ihipStream_tbDpT10_ENKUlT_T0_E_clISt17integral_constantIbLb0EES1A_EEDaS15_S16_EUlS15_E_NS1_11comp_targetILNS1_3genE0ELNS1_11target_archE4294967295ELNS1_3gpuE0ELNS1_3repE0EEENS1_30default_config_static_selectorELNS0_4arch9wavefront6targetE1EEEvT1_,comdat
.Lfunc_end353:
	.size	_ZN7rocprim17ROCPRIM_400000_NS6detail17trampoline_kernelINS0_14default_configENS1_25partition_config_selectorILNS1_17partition_subalgoE9EllbEEZZNS1_14partition_implILS5_9ELb0ES3_jPlS8_PNS0_10empty_typeENS0_5tupleIJS8_S9_EEENSB_IJS8_SA_EEENS0_18inequality_wrapperIZN2at6native12_GLOBAL__N_124unique_dim_cuda_templateIaEESt5tupleIJNSF_6TensorESK_SK_EERKSK_lbbbEUlllE0_EEPmJS9_EEE10hipError_tPvRmT3_T4_T5_T6_T7_T9_mT8_P12ihipStream_tbDpT10_ENKUlT_T0_E_clISt17integral_constantIbLb0EES1A_EEDaS15_S16_EUlS15_E_NS1_11comp_targetILNS1_3genE0ELNS1_11target_archE4294967295ELNS1_3gpuE0ELNS1_3repE0EEENS1_30default_config_static_selectorELNS0_4arch9wavefront6targetE1EEEvT1_, .Lfunc_end353-_ZN7rocprim17ROCPRIM_400000_NS6detail17trampoline_kernelINS0_14default_configENS1_25partition_config_selectorILNS1_17partition_subalgoE9EllbEEZZNS1_14partition_implILS5_9ELb0ES3_jPlS8_PNS0_10empty_typeENS0_5tupleIJS8_S9_EEENSB_IJS8_SA_EEENS0_18inequality_wrapperIZN2at6native12_GLOBAL__N_124unique_dim_cuda_templateIaEESt5tupleIJNSF_6TensorESK_SK_EERKSK_lbbbEUlllE0_EEPmJS9_EEE10hipError_tPvRmT3_T4_T5_T6_T7_T9_mT8_P12ihipStream_tbDpT10_ENKUlT_T0_E_clISt17integral_constantIbLb0EES1A_EEDaS15_S16_EUlS15_E_NS1_11comp_targetILNS1_3genE0ELNS1_11target_archE4294967295ELNS1_3gpuE0ELNS1_3repE0EEENS1_30default_config_static_selectorELNS0_4arch9wavefront6targetE1EEEvT1_
                                        ; -- End function
	.section	.AMDGPU.csdata,"",@progbits
; Kernel info:
; codeLenInByte = 0
; NumSgprs: 6
; NumVgprs: 0
; NumAgprs: 0
; TotalNumVgprs: 0
; ScratchSize: 0
; MemoryBound: 0
; FloatMode: 240
; IeeeMode: 1
; LDSByteSize: 0 bytes/workgroup (compile time only)
; SGPRBlocks: 0
; VGPRBlocks: 0
; NumSGPRsForWavesPerEU: 6
; NumVGPRsForWavesPerEU: 1
; AccumOffset: 4
; Occupancy: 8
; WaveLimiterHint : 0
; COMPUTE_PGM_RSRC2:SCRATCH_EN: 0
; COMPUTE_PGM_RSRC2:USER_SGPR: 2
; COMPUTE_PGM_RSRC2:TRAP_HANDLER: 0
; COMPUTE_PGM_RSRC2:TGID_X_EN: 1
; COMPUTE_PGM_RSRC2:TGID_Y_EN: 0
; COMPUTE_PGM_RSRC2:TGID_Z_EN: 0
; COMPUTE_PGM_RSRC2:TIDIG_COMP_CNT: 0
; COMPUTE_PGM_RSRC3_GFX90A:ACCUM_OFFSET: 0
; COMPUTE_PGM_RSRC3_GFX90A:TG_SPLIT: 0
	.section	.text._ZN7rocprim17ROCPRIM_400000_NS6detail17trampoline_kernelINS0_14default_configENS1_25partition_config_selectorILNS1_17partition_subalgoE9EllbEEZZNS1_14partition_implILS5_9ELb0ES3_jPlS8_PNS0_10empty_typeENS0_5tupleIJS8_S9_EEENSB_IJS8_SA_EEENS0_18inequality_wrapperIZN2at6native12_GLOBAL__N_124unique_dim_cuda_templateIaEESt5tupleIJNSF_6TensorESK_SK_EERKSK_lbbbEUlllE0_EEPmJS9_EEE10hipError_tPvRmT3_T4_T5_T6_T7_T9_mT8_P12ihipStream_tbDpT10_ENKUlT_T0_E_clISt17integral_constantIbLb0EES1A_EEDaS15_S16_EUlS15_E_NS1_11comp_targetILNS1_3genE5ELNS1_11target_archE942ELNS1_3gpuE9ELNS1_3repE0EEENS1_30default_config_static_selectorELNS0_4arch9wavefront6targetE1EEEvT1_,"axG",@progbits,_ZN7rocprim17ROCPRIM_400000_NS6detail17trampoline_kernelINS0_14default_configENS1_25partition_config_selectorILNS1_17partition_subalgoE9EllbEEZZNS1_14partition_implILS5_9ELb0ES3_jPlS8_PNS0_10empty_typeENS0_5tupleIJS8_S9_EEENSB_IJS8_SA_EEENS0_18inequality_wrapperIZN2at6native12_GLOBAL__N_124unique_dim_cuda_templateIaEESt5tupleIJNSF_6TensorESK_SK_EERKSK_lbbbEUlllE0_EEPmJS9_EEE10hipError_tPvRmT3_T4_T5_T6_T7_T9_mT8_P12ihipStream_tbDpT10_ENKUlT_T0_E_clISt17integral_constantIbLb0EES1A_EEDaS15_S16_EUlS15_E_NS1_11comp_targetILNS1_3genE5ELNS1_11target_archE942ELNS1_3gpuE9ELNS1_3repE0EEENS1_30default_config_static_selectorELNS0_4arch9wavefront6targetE1EEEvT1_,comdat
	.globl	_ZN7rocprim17ROCPRIM_400000_NS6detail17trampoline_kernelINS0_14default_configENS1_25partition_config_selectorILNS1_17partition_subalgoE9EllbEEZZNS1_14partition_implILS5_9ELb0ES3_jPlS8_PNS0_10empty_typeENS0_5tupleIJS8_S9_EEENSB_IJS8_SA_EEENS0_18inequality_wrapperIZN2at6native12_GLOBAL__N_124unique_dim_cuda_templateIaEESt5tupleIJNSF_6TensorESK_SK_EERKSK_lbbbEUlllE0_EEPmJS9_EEE10hipError_tPvRmT3_T4_T5_T6_T7_T9_mT8_P12ihipStream_tbDpT10_ENKUlT_T0_E_clISt17integral_constantIbLb0EES1A_EEDaS15_S16_EUlS15_E_NS1_11comp_targetILNS1_3genE5ELNS1_11target_archE942ELNS1_3gpuE9ELNS1_3repE0EEENS1_30default_config_static_selectorELNS0_4arch9wavefront6targetE1EEEvT1_ ; -- Begin function _ZN7rocprim17ROCPRIM_400000_NS6detail17trampoline_kernelINS0_14default_configENS1_25partition_config_selectorILNS1_17partition_subalgoE9EllbEEZZNS1_14partition_implILS5_9ELb0ES3_jPlS8_PNS0_10empty_typeENS0_5tupleIJS8_S9_EEENSB_IJS8_SA_EEENS0_18inequality_wrapperIZN2at6native12_GLOBAL__N_124unique_dim_cuda_templateIaEESt5tupleIJNSF_6TensorESK_SK_EERKSK_lbbbEUlllE0_EEPmJS9_EEE10hipError_tPvRmT3_T4_T5_T6_T7_T9_mT8_P12ihipStream_tbDpT10_ENKUlT_T0_E_clISt17integral_constantIbLb0EES1A_EEDaS15_S16_EUlS15_E_NS1_11comp_targetILNS1_3genE5ELNS1_11target_archE942ELNS1_3gpuE9ELNS1_3repE0EEENS1_30default_config_static_selectorELNS0_4arch9wavefront6targetE1EEEvT1_
	.p2align	8
	.type	_ZN7rocprim17ROCPRIM_400000_NS6detail17trampoline_kernelINS0_14default_configENS1_25partition_config_selectorILNS1_17partition_subalgoE9EllbEEZZNS1_14partition_implILS5_9ELb0ES3_jPlS8_PNS0_10empty_typeENS0_5tupleIJS8_S9_EEENSB_IJS8_SA_EEENS0_18inequality_wrapperIZN2at6native12_GLOBAL__N_124unique_dim_cuda_templateIaEESt5tupleIJNSF_6TensorESK_SK_EERKSK_lbbbEUlllE0_EEPmJS9_EEE10hipError_tPvRmT3_T4_T5_T6_T7_T9_mT8_P12ihipStream_tbDpT10_ENKUlT_T0_E_clISt17integral_constantIbLb0EES1A_EEDaS15_S16_EUlS15_E_NS1_11comp_targetILNS1_3genE5ELNS1_11target_archE942ELNS1_3gpuE9ELNS1_3repE0EEENS1_30default_config_static_selectorELNS0_4arch9wavefront6targetE1EEEvT1_,@function
_ZN7rocprim17ROCPRIM_400000_NS6detail17trampoline_kernelINS0_14default_configENS1_25partition_config_selectorILNS1_17partition_subalgoE9EllbEEZZNS1_14partition_implILS5_9ELb0ES3_jPlS8_PNS0_10empty_typeENS0_5tupleIJS8_S9_EEENSB_IJS8_SA_EEENS0_18inequality_wrapperIZN2at6native12_GLOBAL__N_124unique_dim_cuda_templateIaEESt5tupleIJNSF_6TensorESK_SK_EERKSK_lbbbEUlllE0_EEPmJS9_EEE10hipError_tPvRmT3_T4_T5_T6_T7_T9_mT8_P12ihipStream_tbDpT10_ENKUlT_T0_E_clISt17integral_constantIbLb0EES1A_EEDaS15_S16_EUlS15_E_NS1_11comp_targetILNS1_3genE5ELNS1_11target_archE942ELNS1_3gpuE9ELNS1_3repE0EEENS1_30default_config_static_selectorELNS0_4arch9wavefront6targetE1EEEvT1_: ; @_ZN7rocprim17ROCPRIM_400000_NS6detail17trampoline_kernelINS0_14default_configENS1_25partition_config_selectorILNS1_17partition_subalgoE9EllbEEZZNS1_14partition_implILS5_9ELb0ES3_jPlS8_PNS0_10empty_typeENS0_5tupleIJS8_S9_EEENSB_IJS8_SA_EEENS0_18inequality_wrapperIZN2at6native12_GLOBAL__N_124unique_dim_cuda_templateIaEESt5tupleIJNSF_6TensorESK_SK_EERKSK_lbbbEUlllE0_EEPmJS9_EEE10hipError_tPvRmT3_T4_T5_T6_T7_T9_mT8_P12ihipStream_tbDpT10_ENKUlT_T0_E_clISt17integral_constantIbLb0EES1A_EEDaS15_S16_EUlS15_E_NS1_11comp_targetILNS1_3genE5ELNS1_11target_archE942ELNS1_3gpuE9ELNS1_3repE0EEENS1_30default_config_static_selectorELNS0_4arch9wavefront6targetE1EEEvT1_
; %bb.0:
	s_load_dwordx8 s[20:27], s[0:1], 0x40
	s_load_dwordx4 s[4:7], s[0:1], 0x8
	s_load_dwordx2 s[10:11], s[0:1], 0x18
	s_load_dword s3, s[0:1], 0x70
	s_mul_i32 s12, s2, 0xe00
	s_waitcnt lgkmcnt(0)
	v_mov_b32_e32 v2, s24
	s_lshl_b64 s[14:15], s[6:7], 3
	s_add_u32 s18, s4, s14
	s_mul_i32 s4, s3, 0xe00
	s_addc_u32 s19, s5, s15
	s_add_i32 s8, s3, -1
	s_add_i32 s3, s4, s6
	s_sub_i32 s3, s24, s3
	s_addk_i32 s3, 0xe00
	s_add_u32 s4, s6, s4
	s_addc_u32 s5, s7, 0
	v_mov_b32_e32 v3, s25
	s_cmp_eq_u32 s2, s8
	s_load_dwordx2 s[22:23], s[22:23], 0x0
	v_cmp_ge_u64_e32 vcc, s[4:5], v[2:3]
	s_cselect_b64 s[24:25], -1, 0
	s_mov_b32 s13, 0
	s_and_b64 s[8:9], s[24:25], vcc
	s_xor_b64 s[34:35], s[8:9], -1
	s_lshl_b64 s[16:17], s[12:13], 3
	s_add_u32 s12, s18, s16
	s_mov_b64 s[4:5], -1
	s_addc_u32 s13, s19, s17
	s_and_b64 vcc, exec, s[34:35]
	s_cbranch_vccz .LBB354_2
; %bb.1:
	v_lshlrev_b32_e32 v2, 3, v0
	v_mov_b32_e32 v3, 0
	v_lshl_add_u64 v[4:5], s[12:13], 0, v[2:3]
	v_add_co_u32_e32 v8, vcc, 0x1000, v4
	global_load_dwordx2 v[6:7], v2, s[12:13]
	s_nop 0
	v_addc_co_u32_e32 v9, vcc, 0, v5, vcc
	v_add_co_u32_e32 v10, vcc, 0x2000, v4
	s_mov_b64 s[4:5], 0
	s_nop 0
	v_addc_co_u32_e32 v11, vcc, 0, v5, vcc
	v_add_co_u32_e32 v12, vcc, 0x3000, v4
	s_nop 1
	v_addc_co_u32_e32 v13, vcc, 0, v5, vcc
	v_add_co_u32_e32 v14, vcc, 0x4000, v4
	s_nop 1
	v_addc_co_u32_e32 v15, vcc, 0, v5, vcc
	global_load_dwordx2 v[16:17], v[8:9], off
	global_load_dwordx2 v[18:19], v[10:11], off
	;; [unrolled: 1-line block ×4, first 2 shown]
	v_add_co_u32_e32 v8, vcc, 0x5000, v4
	s_nop 1
	v_addc_co_u32_e32 v9, vcc, 0, v5, vcc
	v_add_co_u32_e32 v4, vcc, 0x6000, v4
	global_load_dwordx2 v[8:9], v[8:9], off
	s_nop 0
	v_addc_co_u32_e32 v5, vcc, 0, v5, vcc
	global_load_dwordx2 v[4:5], v[4:5], off
	s_waitcnt vmcnt(5)
	ds_write2st64_b64 v2, v[6:7], v[16:17] offset1:8
	s_waitcnt vmcnt(3)
	ds_write2st64_b64 v2, v[18:19], v[20:21] offset0:16 offset1:24
	s_waitcnt vmcnt(1)
	ds_write2st64_b64 v2, v[22:23], v[8:9] offset0:32 offset1:40
	s_waitcnt vmcnt(0)
	ds_write_b64 v2, v[4:5] offset:24576
	s_waitcnt lgkmcnt(0)
	s_barrier
.LBB354_2:
	s_load_dwordx4 s[28:31], s[0:1], 0x60
	s_andn2_b64 vcc, exec, s[4:5]
	v_cmp_gt_u32_e64 s[4:5], s3, v0
	s_cbranch_vccnz .LBB354_18
; %bb.3:
                                        ; implicit-def: $vgpr2_vgpr3_vgpr4_vgpr5_vgpr6_vgpr7_vgpr8_vgpr9_vgpr10_vgpr11_vgpr12_vgpr13_vgpr14_vgpr15_vgpr16_vgpr17
	s_and_saveexec_b64 s[18:19], s[4:5]
	s_cbranch_execz .LBB354_5
; %bb.4:
	v_lshlrev_b32_e32 v1, 3, v0
	global_load_dwordx2 v[2:3], v1, s[12:13]
.LBB354_5:
	s_or_b64 exec, exec, s[18:19]
	v_or_b32_e32 v1, 0x200, v0
	v_cmp_gt_u32_e32 vcc, s3, v1
	s_and_saveexec_b64 s[4:5], vcc
	s_cbranch_execz .LBB354_7
; %bb.6:
	v_lshlrev_b32_e32 v1, 3, v1
	global_load_dwordx2 v[4:5], v1, s[12:13]
.LBB354_7:
	s_or_b64 exec, exec, s[4:5]
	v_or_b32_e32 v1, 0x400, v0
	v_cmp_gt_u32_e32 vcc, s3, v1
	s_and_saveexec_b64 s[4:5], vcc
	;; [unrolled: 9-line block ×6, first 2 shown]
	s_cbranch_execz .LBB354_17
; %bb.16:
	v_lshlrev_b32_e32 v1, 3, v1
	global_load_dwordx2 v[14:15], v1, s[12:13]
.LBB354_17:
	s_or_b64 exec, exec, s[4:5]
	v_lshlrev_b32_e32 v1, 3, v0
	s_waitcnt vmcnt(0)
	ds_write2st64_b64 v1, v[2:3], v[4:5] offset1:8
	ds_write2st64_b64 v1, v[6:7], v[8:9] offset0:16 offset1:24
	ds_write2st64_b64 v1, v[10:11], v[12:13] offset0:32 offset1:40
	ds_write_b64 v1, v[14:15] offset:24576
	s_waitcnt lgkmcnt(0)
	s_barrier
.LBB354_18:
	v_mul_u32_u24_e32 v1, 7, v0
	v_lshlrev_b32_e32 v36, 3, v1
	s_waitcnt lgkmcnt(0)
	ds_read2_b64 v[22:25], v36 offset1:1
	ds_read2_b64 v[18:21], v36 offset0:2 offset1:3
	ds_read2_b64 v[14:17], v36 offset0:4 offset1:5
	ds_read_b64 v[28:29], v36 offset:48
	s_add_u32 s4, s10, s14
	s_addc_u32 s5, s11, s15
	s_add_u32 s4, s4, s16
	s_addc_u32 s5, s5, s17
	s_mov_b64 s[10:11], -1
	s_and_b64 vcc, exec, s[34:35]
	s_waitcnt lgkmcnt(0)
	s_barrier
	s_cbranch_vccz .LBB354_20
; %bb.19:
	v_lshlrev_b32_e32 v2, 3, v0
	v_mov_b32_e32 v3, 0
	v_lshl_add_u64 v[4:5], s[4:5], 0, v[2:3]
	v_add_co_u32_e32 v8, vcc, 0x1000, v4
	global_load_dwordx2 v[6:7], v2, s[4:5]
	s_nop 0
	v_addc_co_u32_e32 v9, vcc, 0, v5, vcc
	v_add_co_u32_e32 v10, vcc, 0x2000, v4
	s_mov_b64 s[10:11], 0
	s_nop 0
	v_addc_co_u32_e32 v11, vcc, 0, v5, vcc
	v_add_co_u32_e32 v12, vcc, 0x3000, v4
	s_nop 1
	v_addc_co_u32_e32 v13, vcc, 0, v5, vcc
	v_add_co_u32_e32 v26, vcc, 0x4000, v4
	s_nop 1
	v_addc_co_u32_e32 v27, vcc, 0, v5, vcc
	global_load_dwordx2 v[30:31], v[8:9], off
	global_load_dwordx2 v[32:33], v[10:11], off
	;; [unrolled: 1-line block ×4, first 2 shown]
	v_add_co_u32_e32 v8, vcc, 0x5000, v4
	s_nop 1
	v_addc_co_u32_e32 v9, vcc, 0, v5, vcc
	v_add_co_u32_e32 v4, vcc, 0x6000, v4
	global_load_dwordx2 v[8:9], v[8:9], off
	s_nop 0
	v_addc_co_u32_e32 v5, vcc, 0, v5, vcc
	global_load_dwordx2 v[4:5], v[4:5], off
	s_waitcnt vmcnt(5)
	ds_write2st64_b64 v2, v[6:7], v[30:31] offset1:8
	s_waitcnt vmcnt(3)
	ds_write2st64_b64 v2, v[32:33], v[34:35] offset0:16 offset1:24
	s_waitcnt vmcnt(1)
	ds_write2st64_b64 v2, v[38:39], v[8:9] offset0:32 offset1:40
	s_waitcnt vmcnt(0)
	ds_write_b64 v2, v[4:5] offset:24576
	s_waitcnt lgkmcnt(0)
	s_barrier
.LBB354_20:
	s_andn2_b64 vcc, exec, s[10:11]
	s_cbranch_vccnz .LBB354_36
; %bb.21:
	v_cmp_gt_u32_e32 vcc, s3, v0
                                        ; implicit-def: $vgpr2_vgpr3
	s_and_saveexec_b64 s[10:11], vcc
	s_cbranch_execz .LBB354_23
; %bb.22:
	v_lshlrev_b32_e32 v2, 3, v0
	global_load_dwordx2 v[2:3], v2, s[4:5]
.LBB354_23:
	s_or_b64 exec, exec, s[10:11]
	v_or_b32_e32 v6, 0x200, v0
	v_cmp_gt_u32_e32 vcc, s3, v6
                                        ; implicit-def: $vgpr4_vgpr5
	s_and_saveexec_b64 s[10:11], vcc
	s_cbranch_execz .LBB354_25
; %bb.24:
	v_lshlrev_b32_e32 v4, 3, v6
	global_load_dwordx2 v[4:5], v4, s[4:5]
.LBB354_25:
	s_or_b64 exec, exec, s[10:11]
	v_or_b32_e32 v8, 0x400, v0
	v_cmp_gt_u32_e32 vcc, s3, v8
                                        ; implicit-def: $vgpr6_vgpr7
	s_and_saveexec_b64 s[10:11], vcc
	s_cbranch_execz .LBB354_27
; %bb.26:
	v_lshlrev_b32_e32 v6, 3, v8
	global_load_dwordx2 v[6:7], v6, s[4:5]
.LBB354_27:
	s_or_b64 exec, exec, s[10:11]
	v_or_b32_e32 v10, 0x600, v0
	v_cmp_gt_u32_e32 vcc, s3, v10
                                        ; implicit-def: $vgpr8_vgpr9
	s_and_saveexec_b64 s[10:11], vcc
	s_cbranch_execz .LBB354_29
; %bb.28:
	v_lshlrev_b32_e32 v8, 3, v10
	global_load_dwordx2 v[8:9], v8, s[4:5]
.LBB354_29:
	s_or_b64 exec, exec, s[10:11]
	v_or_b32_e32 v12, 0x800, v0
	v_cmp_gt_u32_e32 vcc, s3, v12
                                        ; implicit-def: $vgpr10_vgpr11
	s_and_saveexec_b64 s[10:11], vcc
	s_cbranch_execz .LBB354_31
; %bb.30:
	v_lshlrev_b32_e32 v10, 3, v12
	global_load_dwordx2 v[10:11], v10, s[4:5]
.LBB354_31:
	s_or_b64 exec, exec, s[10:11]
	v_or_b32_e32 v26, 0xa00, v0
	v_cmp_gt_u32_e32 vcc, s3, v26
                                        ; implicit-def: $vgpr12_vgpr13
	s_and_saveexec_b64 s[10:11], vcc
	s_cbranch_execz .LBB354_33
; %bb.32:
	v_lshlrev_b32_e32 v12, 3, v26
	global_load_dwordx2 v[12:13], v12, s[4:5]
.LBB354_33:
	s_or_b64 exec, exec, s[10:11]
	v_or_b32_e32 v30, 0xc00, v0
	v_cmp_gt_u32_e32 vcc, s3, v30
                                        ; implicit-def: $vgpr26_vgpr27
	s_and_saveexec_b64 s[10:11], vcc
	s_cbranch_execz .LBB354_35
; %bb.34:
	v_lshlrev_b32_e32 v26, 3, v30
	global_load_dwordx2 v[26:27], v26, s[4:5]
.LBB354_35:
	s_or_b64 exec, exec, s[10:11]
	s_movk_i32 s4, 0xffd0
	v_mad_i32_i24 v30, v0, s4, v36
	s_waitcnt vmcnt(0)
	ds_write2st64_b64 v30, v[2:3], v[4:5] offset1:8
	ds_write2st64_b64 v30, v[6:7], v[8:9] offset0:16 offset1:24
	ds_write2st64_b64 v30, v[10:11], v[12:13] offset0:32 offset1:40
	ds_write_b64 v30, v[26:27] offset:24576
	s_waitcnt lgkmcnt(0)
	s_barrier
.LBB354_36:
	ds_read2_b64 v[10:13], v36 offset1:1
	ds_read2_b64 v[6:9], v36 offset0:2 offset1:3
	ds_read2_b64 v[2:5], v36 offset0:4 offset1:5
	ds_read_b64 v[26:27], v36 offset:48
	s_cmp_lg_u32 s2, 0
	s_cselect_b64 s[16:17], -1, 0
	s_cmp_lg_u64 s[6:7], 0
	s_cselect_b64 s[4:5], -1, 0
	s_or_b64 s[4:5], s[16:17], s[4:5]
	v_add_u32_e32 v41, 1, v1
	v_add_u32_e32 v38, 2, v1
	;; [unrolled: 1-line block ×6, first 2 shown]
	s_mov_b64 s[10:11], 0
	s_and_b64 vcc, exec, s[4:5]
	v_cmp_gt_i64_e64 s[4:5], s[26:27], 0
	s_waitcnt lgkmcnt(0)
	s_barrier
	s_cbranch_vccz .LBB354_45
; %bb.37:
	s_add_u32 s6, s12, -8
	s_addc_u32 s7, s13, -1
	s_load_dwordx2 s[6:7], s[6:7], 0x0
	v_cndmask_b32_e64 v30, 0, 1, s[4:5]
	v_lshlrev_b32_e32 v37, 3, v0
	s_and_b64 vcc, exec, s[34:35]
	v_cmp_ne_u32_e64 s[4:5], 1, v30
	ds_write_b64 v37, v[28:29]
	s_cbranch_vccz .LBB354_47
; %bb.38:
	v_mul_lo_u32 v32, v17, s26
	v_mul_lo_u32 v33, v16, s27
	v_mad_u64_u32 v[30:31], s[12:13], v16, s26, 0
	v_add3_u32 v31, v31, v33, v32
	s_and_b64 vcc, exec, s[4:5]
	v_lshl_add_u64 v[30:31], s[28:29], 0, v[30:31]
	s_cbranch_vccnz .LBB354_50
; %bb.39:
	v_mov_b64_e32 v[32:33], s[28:29]
	v_mad_u64_u32 v[32:33], s[10:11], v28, s26, v[32:33]
	v_mul_lo_u32 v34, v28, s27
	v_mul_lo_u32 v35, v29, s26
	v_add3_u32 v33, v35, v33, v34
	global_load_ubyte v34, v[30:31], off
	global_load_ubyte v35, v[32:33], off
	s_mov_b64 s[10:11], -1
	s_waitcnt vmcnt(0)
	v_cmp_eq_u16_e32 vcc, v34, v35
	s_and_saveexec_b64 s[12:13], vcc
	s_cbranch_execz .LBB354_49
; %bb.40:
	s_mov_b64 s[18:19], 1
	s_mov_b64 s[10:11], 0
                                        ; implicit-def: $sgpr14_sgpr15
	s_branch .LBB354_43
.LBB354_41:                             ;   in Loop: Header=BB354_43 Depth=1
	v_lshl_add_u64 v[34:35], v[30:31], 0, s[18:19]
	v_lshl_add_u64 v[44:45], v[32:33], 0, s[18:19]
	global_load_ubyte v46, v[34:35], off
	global_load_ubyte v47, v[44:45], off
	s_add_u32 s36, s18, 1
	s_addc_u32 s37, s19, 0
	s_andn2_b64 s[14:15], s[14:15], exec
	s_waitcnt vmcnt(0)
	v_cmp_ne_u16_e32 vcc, v46, v47
	s_and_b64 s[38:39], vcc, exec
	s_or_b64 s[14:15], s[14:15], s[38:39]
.LBB354_42:                             ;   in Loop: Header=BB354_43 Depth=1
	s_and_b64 s[38:39], exec, s[14:15]
	s_or_b64 s[10:11], s[38:39], s[10:11]
	v_mov_b64_e32 v[34:35], s[18:19]
	s_mov_b64 s[18:19], s[36:37]
	s_andn2_b64 exec, exec, s[10:11]
	s_cbranch_execz .LBB354_48
.LBB354_43:                             ; =>This Inner Loop Header: Depth=1
	s_or_b64 s[14:15], s[14:15], exec
	s_cmp_eq_u64 s[26:27], s[18:19]
	s_cbranch_scc0 .LBB354_41
; %bb.44:                               ;   in Loop: Header=BB354_43 Depth=1
                                        ; implicit-def: $sgpr36_sgpr37
	s_mov_b64 s[18:19], s[26:27]
	s_branch .LBB354_42
.LBB354_45:
                                        ; implicit-def: $sgpr18_sgpr19
                                        ; implicit-def: $vgpr47
                                        ; implicit-def: $vgpr46
                                        ; implicit-def: $vgpr45
                                        ; implicit-def: $vgpr34
	s_branch .LBB354_188
.LBB354_46:
                                        ; implicit-def: $vgpr30_vgpr31
	s_branch .LBB354_336
.LBB354_47:
                                        ; implicit-def: $sgpr18_sgpr19
                                        ; implicit-def: $vgpr47
                                        ; implicit-def: $vgpr46
                                        ; implicit-def: $vgpr45
                                        ; implicit-def: $vgpr34
	s_cbranch_execnz .LBB354_107
	s_branch .LBB354_187
.LBB354_48:
	s_or_b64 exec, exec, s[10:11]
	v_cmp_gt_i64_e32 vcc, s[26:27], v[34:35]
	s_orn2_b64 s[10:11], vcc, exec
.LBB354_49:
	s_or_b64 exec, exec, s[12:13]
.LBB354_50:
	v_mul_lo_u32 v34, v15, s26
	v_mul_lo_u32 v35, v14, s27
	v_mad_u64_u32 v[32:33], s[12:13], v14, s26, 0
	v_add3_u32 v33, v33, v35, v34
	s_mov_b64 s[12:13], 0
	s_and_b64 vcc, exec, s[4:5]
	v_lshl_add_u64 v[32:33], s[28:29], 0, v[32:33]
	s_mov_b64 s[14:15], 0
	s_cbranch_vccnz .LBB354_59
; %bb.51:
	global_load_ubyte v34, v[32:33], off
	global_load_ubyte v35, v[30:31], off
	s_mov_b64 s[14:15], -1
	s_waitcnt vmcnt(0)
	v_cmp_eq_u16_e32 vcc, v34, v35
	s_and_saveexec_b64 s[18:19], vcc
	s_cbranch_execz .LBB354_58
; %bb.52:
	s_mov_b64 s[38:39], 1
	s_mov_b64 s[14:15], 0
                                        ; implicit-def: $sgpr36_sgpr37
	s_branch .LBB354_55
.LBB354_53:                             ;   in Loop: Header=BB354_55 Depth=1
	v_lshl_add_u64 v[34:35], v[32:33], 0, s[38:39]
	v_lshl_add_u64 v[44:45], v[30:31], 0, s[38:39]
	global_load_ubyte v46, v[34:35], off
	global_load_ubyte v47, v[44:45], off
	s_add_u32 s40, s38, 1
	s_addc_u32 s41, s39, 0
	s_andn2_b64 s[36:37], s[36:37], exec
	s_waitcnt vmcnt(0)
	v_cmp_ne_u16_e32 vcc, v46, v47
	s_and_b64 s[42:43], vcc, exec
	s_or_b64 s[36:37], s[36:37], s[42:43]
.LBB354_54:                             ;   in Loop: Header=BB354_55 Depth=1
	s_and_b64 s[42:43], exec, s[36:37]
	s_or_b64 s[14:15], s[42:43], s[14:15]
	v_mov_b64_e32 v[34:35], s[38:39]
	s_mov_b64 s[38:39], s[40:41]
	s_andn2_b64 exec, exec, s[14:15]
	s_cbranch_execz .LBB354_57
.LBB354_55:                             ; =>This Inner Loop Header: Depth=1
	s_or_b64 s[36:37], s[36:37], exec
	s_cmp_eq_u64 s[26:27], s[38:39]
	s_cbranch_scc0 .LBB354_53
; %bb.56:                               ;   in Loop: Header=BB354_55 Depth=1
                                        ; implicit-def: $sgpr40_sgpr41
	s_mov_b64 s[38:39], s[26:27]
	s_branch .LBB354_54
.LBB354_57:
	s_or_b64 exec, exec, s[14:15]
	v_cmp_gt_i64_e32 vcc, s[26:27], v[34:35]
	s_orn2_b64 s[14:15], vcc, exec
.LBB354_58:
	s_or_b64 exec, exec, s[18:19]
.LBB354_59:
	v_mul_lo_u32 v34, v21, s26
	v_mul_lo_u32 v35, v20, s27
	v_mad_u64_u32 v[30:31], s[18:19], v20, s26, 0
	v_add3_u32 v31, v31, v35, v34
	s_and_b64 vcc, exec, s[4:5]
	v_lshl_add_u64 v[30:31], s[28:29], 0, v[30:31]
	s_cbranch_vccnz .LBB354_68
; %bb.60:
	global_load_ubyte v34, v[30:31], off
	global_load_ubyte v35, v[32:33], off
	s_mov_b64 s[12:13], -1
	s_waitcnt vmcnt(0)
	v_cmp_eq_u16_e32 vcc, v34, v35
	s_and_saveexec_b64 s[18:19], vcc
	s_cbranch_execz .LBB354_67
; %bb.61:
	s_mov_b64 s[38:39], 1
	s_mov_b64 s[12:13], 0
                                        ; implicit-def: $sgpr36_sgpr37
	s_branch .LBB354_64
.LBB354_62:                             ;   in Loop: Header=BB354_64 Depth=1
	v_lshl_add_u64 v[34:35], v[30:31], 0, s[38:39]
	v_lshl_add_u64 v[44:45], v[32:33], 0, s[38:39]
	global_load_ubyte v46, v[34:35], off
	global_load_ubyte v47, v[44:45], off
	s_add_u32 s40, s38, 1
	s_addc_u32 s41, s39, 0
	s_andn2_b64 s[36:37], s[36:37], exec
	s_waitcnt vmcnt(0)
	v_cmp_ne_u16_e32 vcc, v46, v47
	s_and_b64 s[42:43], vcc, exec
	s_or_b64 s[36:37], s[36:37], s[42:43]
.LBB354_63:                             ;   in Loop: Header=BB354_64 Depth=1
	s_and_b64 s[42:43], exec, s[36:37]
	s_or_b64 s[12:13], s[42:43], s[12:13]
	v_mov_b64_e32 v[34:35], s[38:39]
	s_mov_b64 s[38:39], s[40:41]
	s_andn2_b64 exec, exec, s[12:13]
	s_cbranch_execz .LBB354_66
.LBB354_64:                             ; =>This Inner Loop Header: Depth=1
	s_or_b64 s[36:37], s[36:37], exec
	s_cmp_eq_u64 s[26:27], s[38:39]
	s_cbranch_scc0 .LBB354_62
; %bb.65:                               ;   in Loop: Header=BB354_64 Depth=1
                                        ; implicit-def: $sgpr40_sgpr41
	s_mov_b64 s[38:39], s[26:27]
	s_branch .LBB354_63
.LBB354_66:
	s_or_b64 exec, exec, s[12:13]
	v_cmp_gt_i64_e32 vcc, s[26:27], v[34:35]
	s_orn2_b64 s[12:13], vcc, exec
.LBB354_67:
	s_or_b64 exec, exec, s[18:19]
.LBB354_68:
	v_mul_lo_u32 v34, v19, s26
	v_mul_lo_u32 v35, v18, s27
	v_mad_u64_u32 v[32:33], s[18:19], v18, s26, 0
	v_add3_u32 v33, v33, v35, v34
	s_mov_b64 s[18:19], 0
	s_and_b64 vcc, exec, s[4:5]
	v_lshl_add_u64 v[34:35], s[28:29], 0, v[32:33]
	s_mov_b64 s[36:37], 0
	s_cbranch_vccnz .LBB354_77
; %bb.69:
	global_load_ubyte v32, v[34:35], off
	global_load_ubyte v33, v[30:31], off
	s_mov_b64 s[36:37], -1
	s_waitcnt vmcnt(0)
	v_cmp_eq_u16_e32 vcc, v32, v33
	s_and_saveexec_b64 s[38:39], vcc
	s_cbranch_execz .LBB354_76
; %bb.70:
	s_mov_b64 s[42:43], 1
	s_mov_b64 s[36:37], 0
                                        ; implicit-def: $sgpr40_sgpr41
	s_branch .LBB354_73
.LBB354_71:                             ;   in Loop: Header=BB354_73 Depth=1
	v_lshl_add_u64 v[32:33], v[34:35], 0, s[42:43]
	v_lshl_add_u64 v[44:45], v[30:31], 0, s[42:43]
	global_load_ubyte v46, v[32:33], off
	global_load_ubyte v47, v[44:45], off
	s_add_u32 s44, s42, 1
	s_addc_u32 s45, s43, 0
	s_andn2_b64 s[40:41], s[40:41], exec
	s_waitcnt vmcnt(0)
	v_cmp_ne_u16_e32 vcc, v46, v47
	s_and_b64 s[46:47], vcc, exec
	s_or_b64 s[40:41], s[40:41], s[46:47]
.LBB354_72:                             ;   in Loop: Header=BB354_73 Depth=1
	s_and_b64 s[46:47], exec, s[40:41]
	s_or_b64 s[36:37], s[46:47], s[36:37]
	v_mov_b64_e32 v[32:33], s[42:43]
	s_mov_b64 s[42:43], s[44:45]
	s_andn2_b64 exec, exec, s[36:37]
	s_cbranch_execz .LBB354_75
.LBB354_73:                             ; =>This Inner Loop Header: Depth=1
	s_or_b64 s[40:41], s[40:41], exec
	s_cmp_eq_u64 s[26:27], s[42:43]
	s_cbranch_scc0 .LBB354_71
; %bb.74:                               ;   in Loop: Header=BB354_73 Depth=1
                                        ; implicit-def: $sgpr44_sgpr45
	s_mov_b64 s[42:43], s[26:27]
	s_branch .LBB354_72
.LBB354_75:
	s_or_b64 exec, exec, s[36:37]
	v_cmp_gt_i64_e32 vcc, s[26:27], v[32:33]
	s_orn2_b64 s[36:37], vcc, exec
.LBB354_76:
	s_or_b64 exec, exec, s[38:39]
.LBB354_77:
	v_mul_lo_u32 v32, v25, s26
	v_mul_lo_u32 v33, v24, s27
	v_mad_u64_u32 v[30:31], s[38:39], v24, s26, 0
	v_add3_u32 v31, v31, v33, v32
	s_and_b64 vcc, exec, s[4:5]
	v_lshl_add_u64 v[32:33], s[28:29], 0, v[30:31]
	s_cbranch_vccnz .LBB354_86
; %bb.78:
	global_load_ubyte v30, v[32:33], off
	global_load_ubyte v31, v[34:35], off
	s_mov_b64 s[18:19], -1
	s_waitcnt vmcnt(0)
	v_cmp_eq_u16_e32 vcc, v30, v31
	s_and_saveexec_b64 s[38:39], vcc
	s_cbranch_execz .LBB354_85
; %bb.79:
	s_mov_b64 s[42:43], 1
	s_mov_b64 s[18:19], 0
                                        ; implicit-def: $sgpr40_sgpr41
	s_branch .LBB354_82
.LBB354_80:                             ;   in Loop: Header=BB354_82 Depth=1
	v_lshl_add_u64 v[30:31], v[32:33], 0, s[42:43]
	v_lshl_add_u64 v[44:45], v[34:35], 0, s[42:43]
	global_load_ubyte v46, v[30:31], off
	global_load_ubyte v47, v[44:45], off
	s_add_u32 s44, s42, 1
	s_addc_u32 s45, s43, 0
	s_andn2_b64 s[40:41], s[40:41], exec
	s_waitcnt vmcnt(0)
	v_cmp_ne_u16_e32 vcc, v46, v47
	s_and_b64 s[46:47], vcc, exec
	s_or_b64 s[40:41], s[40:41], s[46:47]
.LBB354_81:                             ;   in Loop: Header=BB354_82 Depth=1
	s_and_b64 s[46:47], exec, s[40:41]
	s_or_b64 s[18:19], s[46:47], s[18:19]
	v_mov_b64_e32 v[30:31], s[42:43]
	s_mov_b64 s[42:43], s[44:45]
	s_andn2_b64 exec, exec, s[18:19]
	s_cbranch_execz .LBB354_84
.LBB354_82:                             ; =>This Inner Loop Header: Depth=1
	s_or_b64 s[40:41], s[40:41], exec
	s_cmp_eq_u64 s[26:27], s[42:43]
	s_cbranch_scc0 .LBB354_80
; %bb.83:                               ;   in Loop: Header=BB354_82 Depth=1
                                        ; implicit-def: $sgpr44_sgpr45
	s_mov_b64 s[42:43], s[26:27]
	s_branch .LBB354_81
.LBB354_84:
	s_or_b64 exec, exec, s[18:19]
	v_cmp_gt_i64_e32 vcc, s[26:27], v[30:31]
	s_orn2_b64 s[18:19], vcc, exec
.LBB354_85:
	s_or_b64 exec, exec, s[38:39]
.LBB354_86:
	v_mul_lo_u32 v34, v23, s26
	v_mul_lo_u32 v35, v22, s27
	v_mad_u64_u32 v[30:31], s[38:39], v22, s26, 0
	v_add3_u32 v31, v31, v35, v34
	s_mov_b64 s[40:41], 0
	s_and_b64 vcc, exec, s[4:5]
	v_lshl_add_u64 v[30:31], s[28:29], 0, v[30:31]
	s_cbranch_vccnz .LBB354_95
; %bb.87:
	global_load_ubyte v34, v[30:31], off
	global_load_ubyte v35, v[32:33], off
	s_mov_b64 s[40:41], -1
	s_waitcnt vmcnt(0)
	v_cmp_eq_u16_e32 vcc, v34, v35
	s_and_saveexec_b64 s[38:39], vcc
	s_cbranch_execz .LBB354_94
; %bb.88:
	s_mov_b64 s[44:45], 1
	s_mov_b64 s[40:41], 0
                                        ; implicit-def: $sgpr42_sgpr43
	s_branch .LBB354_91
.LBB354_89:                             ;   in Loop: Header=BB354_91 Depth=1
	v_lshl_add_u64 v[34:35], v[30:31], 0, s[44:45]
	v_lshl_add_u64 v[44:45], v[32:33], 0, s[44:45]
	global_load_ubyte v46, v[34:35], off
	global_load_ubyte v47, v[44:45], off
	s_add_u32 s46, s44, 1
	s_addc_u32 s47, s45, 0
	s_andn2_b64 s[42:43], s[42:43], exec
	s_waitcnt vmcnt(0)
	v_cmp_ne_u16_e32 vcc, v46, v47
	s_and_b64 s[48:49], vcc, exec
	s_or_b64 s[42:43], s[42:43], s[48:49]
.LBB354_90:                             ;   in Loop: Header=BB354_91 Depth=1
	s_and_b64 s[48:49], exec, s[42:43]
	s_or_b64 s[40:41], s[48:49], s[40:41]
	v_mov_b64_e32 v[34:35], s[44:45]
	s_mov_b64 s[44:45], s[46:47]
	s_andn2_b64 exec, exec, s[40:41]
	s_cbranch_execz .LBB354_93
.LBB354_91:                             ; =>This Inner Loop Header: Depth=1
	s_or_b64 s[42:43], s[42:43], exec
	s_cmp_eq_u64 s[26:27], s[44:45]
	s_cbranch_scc0 .LBB354_89
; %bb.92:                               ;   in Loop: Header=BB354_91 Depth=1
                                        ; implicit-def: $sgpr46_sgpr47
	s_mov_b64 s[44:45], s[26:27]
	s_branch .LBB354_90
.LBB354_93:
	s_or_b64 exec, exec, s[40:41]
	v_cmp_gt_i64_e32 vcc, s[26:27], v[34:35]
	s_orn2_b64 s[40:41], vcc, exec
.LBB354_94:
	s_or_b64 exec, exec, s[38:39]
.LBB354_95:
	v_cmp_ne_u32_e32 vcc, 0, v0
	s_waitcnt lgkmcnt(0)
	v_mov_b64_e32 v[34:35], s[6:7]
	s_barrier
	s_and_saveexec_b64 s[38:39], vcc
	s_cbranch_execz .LBB354_97
; %bb.96:
	v_add_u32_e32 v32, -8, v37
	ds_read_b64 v[34:35], v32
.LBB354_97:
	s_or_b64 exec, exec, s[38:39]
	v_cndmask_b32_e64 v33, 0, 1, s[36:37]
	v_cndmask_b32_e64 v32, 0, 1, s[18:19]
	v_cndmask_b32_e64 v44, 0, 1, s[40:41]
	v_lshlrev_b16_e32 v33, 8, v33
	v_lshlrev_b16_e32 v44, 8, v44
	v_or_b32_sdwa v48, v32, v33 dst_sel:WORD_1 dst_unused:UNUSED_PAD src0_sel:DWORD src1_sel:DWORD
	s_mov_b64 s[36:37], 0
	s_and_b64 vcc, exec, s[4:5]
	s_mov_b64 s[18:19], 0
	s_cbranch_vccnz .LBB354_106
; %bb.98:
	v_mov_b64_e32 v[32:33], s[28:29]
	s_waitcnt lgkmcnt(0)
	v_mad_u64_u32 v[32:33], s[18:19], v34, s26, v[32:33]
	v_mul_lo_u32 v34, v34, s27
	v_mul_lo_u32 v35, v35, s26
	v_add3_u32 v33, v35, v33, v34
	global_load_ubyte v34, v[32:33], off
	global_load_ubyte v35, v[30:31], off
	s_mov_b64 s[18:19], -1
	s_waitcnt vmcnt(0)
	v_cmp_eq_u16_e32 vcc, v34, v35
	s_and_saveexec_b64 s[38:39], vcc
	s_cbranch_execz .LBB354_105
; %bb.99:
	s_mov_b64 s[42:43], 1
	s_mov_b64 s[18:19], 0
                                        ; implicit-def: $sgpr40_sgpr41
	s_branch .LBB354_102
.LBB354_100:                            ;   in Loop: Header=BB354_102 Depth=1
	v_lshl_add_u64 v[34:35], v[32:33], 0, s[42:43]
	v_lshl_add_u64 v[46:47], v[30:31], 0, s[42:43]
	global_load_ubyte v45, v[34:35], off
	global_load_ubyte v49, v[46:47], off
	s_add_u32 s44, s42, 1
	s_addc_u32 s45, s43, 0
	s_andn2_b64 s[40:41], s[40:41], exec
	s_waitcnt vmcnt(0)
	v_cmp_ne_u16_e32 vcc, v45, v49
	s_and_b64 s[46:47], vcc, exec
	s_or_b64 s[40:41], s[40:41], s[46:47]
.LBB354_101:                            ;   in Loop: Header=BB354_102 Depth=1
	s_and_b64 s[46:47], exec, s[40:41]
	s_or_b64 s[18:19], s[46:47], s[18:19]
	v_mov_b64_e32 v[34:35], s[42:43]
	s_mov_b64 s[42:43], s[44:45]
	s_andn2_b64 exec, exec, s[18:19]
	s_cbranch_execz .LBB354_104
.LBB354_102:                            ; =>This Inner Loop Header: Depth=1
	s_or_b64 s[40:41], s[40:41], exec
	s_cmp_eq_u64 s[26:27], s[42:43]
	s_cbranch_scc0 .LBB354_100
; %bb.103:                              ;   in Loop: Header=BB354_102 Depth=1
                                        ; implicit-def: $sgpr44_sgpr45
	s_mov_b64 s[42:43], s[26:27]
	s_branch .LBB354_101
.LBB354_104:
	s_or_b64 exec, exec, s[18:19]
	v_cmp_gt_i64_e32 vcc, s[26:27], v[34:35]
	s_orn2_b64 s[18:19], vcc, exec
.LBB354_105:
	s_or_b64 exec, exec, s[38:39]
.LBB354_106:
	v_cndmask_b32_e64 v45, 0, 1, s[12:13]
	v_cndmask_b32_e64 v46, 0, 1, s[14:15]
	;; [unrolled: 1-line block ×3, first 2 shown]
	s_waitcnt lgkmcnt(0)
	v_or_b32_e32 v34, v44, v48
	s_and_b64 vcc, exec, s[36:37]
	s_cbranch_vccz .LBB354_187
.LBB354_107:
	v_cmp_gt_u32_e32 vcc, s3, v40
	s_mov_b64 s[12:13], 0
	s_mov_b64 s[10:11], 0
	s_and_saveexec_b64 s[14:15], vcc
	s_cbranch_execz .LBB354_118
; %bb.108:
	s_and_b64 vcc, exec, s[4:5]
	s_mov_b64 s[18:19], 0
	s_cbranch_vccnz .LBB354_117
; %bb.109:
	v_mov_b64_e32 v[32:33], s[28:29]
	v_mad_u64_u32 v[30:31], s[10:11], v16, s26, v[32:33]
	v_mul_lo_u32 v34, v16, s27
	v_mul_lo_u32 v35, v17, s26
	v_add3_u32 v31, v35, v31, v34
	v_mad_u64_u32 v[32:33], s[10:11], v28, s26, v[32:33]
	v_mul_lo_u32 v34, v28, s27
	v_mul_lo_u32 v35, v29, s26
	v_add3_u32 v33, v35, v33, v34
	global_load_ubyte v34, v[30:31], off
	global_load_ubyte v35, v[32:33], off
	s_mov_b64 s[18:19], -1
	s_waitcnt vmcnt(0)
	v_cmp_eq_u16_e32 vcc, v34, v35
	s_and_saveexec_b64 s[10:11], vcc
	s_cbranch_execz .LBB354_116
; %bb.110:
	s_mov_b64 s[38:39], 1
	s_mov_b64 s[18:19], 0
                                        ; implicit-def: $sgpr36_sgpr37
	s_branch .LBB354_113
.LBB354_111:                            ;   in Loop: Header=BB354_113 Depth=1
	v_lshl_add_u64 v[34:35], v[30:31], 0, s[38:39]
	v_lshl_add_u64 v[44:45], v[32:33], 0, s[38:39]
	global_load_ubyte v46, v[34:35], off
	global_load_ubyte v47, v[44:45], off
	s_add_u32 s40, s38, 1
	s_addc_u32 s41, s39, 0
	s_andn2_b64 s[36:37], s[36:37], exec
	s_waitcnt vmcnt(0)
	v_cmp_ne_u16_e32 vcc, v46, v47
	s_and_b64 s[42:43], vcc, exec
	s_or_b64 s[36:37], s[36:37], s[42:43]
.LBB354_112:                            ;   in Loop: Header=BB354_113 Depth=1
	s_and_b64 s[42:43], exec, s[36:37]
	s_or_b64 s[18:19], s[42:43], s[18:19]
	v_mov_b64_e32 v[34:35], s[38:39]
	s_mov_b64 s[38:39], s[40:41]
	s_andn2_b64 exec, exec, s[18:19]
	s_cbranch_execz .LBB354_115
.LBB354_113:                            ; =>This Inner Loop Header: Depth=1
	s_or_b64 s[36:37], s[36:37], exec
	s_cmp_eq_u64 s[26:27], s[38:39]
	s_cbranch_scc0 .LBB354_111
; %bb.114:                              ;   in Loop: Header=BB354_113 Depth=1
                                        ; implicit-def: $sgpr40_sgpr41
	s_mov_b64 s[38:39], s[26:27]
	s_branch .LBB354_112
.LBB354_115:
	s_or_b64 exec, exec, s[18:19]
	v_cmp_gt_i64_e32 vcc, s[26:27], v[34:35]
	s_orn2_b64 s[18:19], vcc, exec
.LBB354_116:
	s_or_b64 exec, exec, s[10:11]
.LBB354_117:
	s_and_b64 s[10:11], s[18:19], exec
.LBB354_118:
	s_or_b64 exec, exec, s[14:15]
	v_cmp_gt_u32_e32 vcc, s3, v43
	s_and_saveexec_b64 s[14:15], vcc
	s_cbranch_execz .LBB354_129
; %bb.119:
	s_and_b64 vcc, exec, s[4:5]
	s_mov_b64 s[18:19], 0
	s_cbranch_vccnz .LBB354_128
; %bb.120:
	v_mov_b64_e32 v[32:33], s[28:29]
	v_mad_u64_u32 v[30:31], s[12:13], v14, s26, v[32:33]
	v_mul_lo_u32 v34, v14, s27
	v_mul_lo_u32 v35, v15, s26
	v_add3_u32 v31, v35, v31, v34
	v_mad_u64_u32 v[32:33], s[12:13], v16, s26, v[32:33]
	v_mul_lo_u32 v34, v16, s27
	v_mul_lo_u32 v35, v17, s26
	v_add3_u32 v33, v35, v33, v34
	global_load_ubyte v34, v[30:31], off
	global_load_ubyte v35, v[32:33], off
	s_mov_b64 s[18:19], -1
	s_waitcnt vmcnt(0)
	v_cmp_eq_u16_e32 vcc, v34, v35
	s_and_saveexec_b64 s[12:13], vcc
	s_cbranch_execz .LBB354_127
; %bb.121:
	s_mov_b64 s[38:39], 1
	s_mov_b64 s[18:19], 0
                                        ; implicit-def: $sgpr36_sgpr37
	s_branch .LBB354_124
.LBB354_122:                            ;   in Loop: Header=BB354_124 Depth=1
	v_lshl_add_u64 v[34:35], v[30:31], 0, s[38:39]
	v_lshl_add_u64 v[44:45], v[32:33], 0, s[38:39]
	global_load_ubyte v46, v[34:35], off
	global_load_ubyte v47, v[44:45], off
	s_add_u32 s40, s38, 1
	s_addc_u32 s41, s39, 0
	s_andn2_b64 s[36:37], s[36:37], exec
	s_waitcnt vmcnt(0)
	v_cmp_ne_u16_e32 vcc, v46, v47
	s_and_b64 s[42:43], vcc, exec
	s_or_b64 s[36:37], s[36:37], s[42:43]
.LBB354_123:                            ;   in Loop: Header=BB354_124 Depth=1
	s_and_b64 s[42:43], exec, s[36:37]
	s_or_b64 s[18:19], s[42:43], s[18:19]
	v_mov_b64_e32 v[34:35], s[38:39]
	s_mov_b64 s[38:39], s[40:41]
	s_andn2_b64 exec, exec, s[18:19]
	s_cbranch_execz .LBB354_126
.LBB354_124:                            ; =>This Inner Loop Header: Depth=1
	s_or_b64 s[36:37], s[36:37], exec
	s_cmp_eq_u64 s[26:27], s[38:39]
	s_cbranch_scc0 .LBB354_122
; %bb.125:                              ;   in Loop: Header=BB354_124 Depth=1
                                        ; implicit-def: $sgpr40_sgpr41
	s_mov_b64 s[38:39], s[26:27]
	s_branch .LBB354_123
.LBB354_126:
	s_or_b64 exec, exec, s[18:19]
	v_cmp_gt_i64_e32 vcc, s[26:27], v[34:35]
	s_orn2_b64 s[18:19], vcc, exec
.LBB354_127:
	s_or_b64 exec, exec, s[12:13]
.LBB354_128:
	s_and_b64 s[12:13], s[18:19], exec
.LBB354_129:
	s_or_b64 exec, exec, s[14:15]
	v_cmp_gt_u32_e32 vcc, s3, v39
	s_mov_b64 s[18:19], 0
	s_mov_b64 s[14:15], 0
	s_and_saveexec_b64 s[36:37], vcc
	s_cbranch_execz .LBB354_140
; %bb.130:
	s_and_b64 vcc, exec, s[4:5]
	s_mov_b64 s[38:39], 0
	s_cbranch_vccnz .LBB354_139
; %bb.131:
	v_mov_b64_e32 v[32:33], s[28:29]
	v_mad_u64_u32 v[30:31], s[14:15], v20, s26, v[32:33]
	v_mul_lo_u32 v34, v20, s27
	v_mul_lo_u32 v35, v21, s26
	v_add3_u32 v31, v35, v31, v34
	v_mad_u64_u32 v[32:33], s[14:15], v14, s26, v[32:33]
	v_mul_lo_u32 v34, v14, s27
	v_mul_lo_u32 v35, v15, s26
	v_add3_u32 v33, v35, v33, v34
	global_load_ubyte v34, v[30:31], off
	global_load_ubyte v35, v[32:33], off
	s_mov_b64 s[38:39], -1
	s_waitcnt vmcnt(0)
	v_cmp_eq_u16_e32 vcc, v34, v35
	s_and_saveexec_b64 s[14:15], vcc
	s_cbranch_execz .LBB354_138
; %bb.132:
	s_mov_b64 s[42:43], 1
	s_mov_b64 s[38:39], 0
                                        ; implicit-def: $sgpr40_sgpr41
	s_branch .LBB354_135
.LBB354_133:                            ;   in Loop: Header=BB354_135 Depth=1
	v_lshl_add_u64 v[34:35], v[30:31], 0, s[42:43]
	v_lshl_add_u64 v[44:45], v[32:33], 0, s[42:43]
	global_load_ubyte v46, v[34:35], off
	global_load_ubyte v47, v[44:45], off
	s_add_u32 s44, s42, 1
	s_addc_u32 s45, s43, 0
	s_andn2_b64 s[40:41], s[40:41], exec
	s_waitcnt vmcnt(0)
	v_cmp_ne_u16_e32 vcc, v46, v47
	s_and_b64 s[46:47], vcc, exec
	s_or_b64 s[40:41], s[40:41], s[46:47]
.LBB354_134:                            ;   in Loop: Header=BB354_135 Depth=1
	s_and_b64 s[46:47], exec, s[40:41]
	s_or_b64 s[38:39], s[46:47], s[38:39]
	v_mov_b64_e32 v[34:35], s[42:43]
	s_mov_b64 s[42:43], s[44:45]
	s_andn2_b64 exec, exec, s[38:39]
	s_cbranch_execz .LBB354_137
.LBB354_135:                            ; =>This Inner Loop Header: Depth=1
	s_or_b64 s[40:41], s[40:41], exec
	s_cmp_eq_u64 s[26:27], s[42:43]
	s_cbranch_scc0 .LBB354_133
; %bb.136:                              ;   in Loop: Header=BB354_135 Depth=1
                                        ; implicit-def: $sgpr44_sgpr45
	s_mov_b64 s[42:43], s[26:27]
	s_branch .LBB354_134
.LBB354_137:
	s_or_b64 exec, exec, s[38:39]
	v_cmp_gt_i64_e32 vcc, s[26:27], v[34:35]
	s_orn2_b64 s[38:39], vcc, exec
.LBB354_138:
	s_or_b64 exec, exec, s[14:15]
.LBB354_139:
	s_and_b64 s[14:15], s[38:39], exec
.LBB354_140:
	s_or_b64 exec, exec, s[36:37]
	v_cmp_gt_u32_e32 vcc, s3, v42
	s_and_saveexec_b64 s[36:37], vcc
	s_cbranch_execz .LBB354_151
; %bb.141:
	s_and_b64 vcc, exec, s[4:5]
	s_mov_b64 s[38:39], 0
	s_cbranch_vccnz .LBB354_150
; %bb.142:
	v_mov_b64_e32 v[32:33], s[28:29]
	v_mad_u64_u32 v[30:31], s[18:19], v18, s26, v[32:33]
	v_mul_lo_u32 v34, v18, s27
	v_mul_lo_u32 v35, v19, s26
	v_add3_u32 v31, v35, v31, v34
	v_mad_u64_u32 v[32:33], s[18:19], v20, s26, v[32:33]
	v_mul_lo_u32 v34, v20, s27
	v_mul_lo_u32 v35, v21, s26
	v_add3_u32 v33, v35, v33, v34
	global_load_ubyte v34, v[30:31], off
	global_load_ubyte v35, v[32:33], off
	s_mov_b64 s[38:39], -1
	s_waitcnt vmcnt(0)
	v_cmp_eq_u16_e32 vcc, v34, v35
	s_and_saveexec_b64 s[18:19], vcc
	s_cbranch_execz .LBB354_149
; %bb.143:
	s_mov_b64 s[42:43], 1
	s_mov_b64 s[38:39], 0
                                        ; implicit-def: $sgpr40_sgpr41
	s_branch .LBB354_146
.LBB354_144:                            ;   in Loop: Header=BB354_146 Depth=1
	v_lshl_add_u64 v[34:35], v[30:31], 0, s[42:43]
	v_lshl_add_u64 v[44:45], v[32:33], 0, s[42:43]
	global_load_ubyte v46, v[34:35], off
	global_load_ubyte v47, v[44:45], off
	s_add_u32 s44, s42, 1
	s_addc_u32 s45, s43, 0
	s_andn2_b64 s[40:41], s[40:41], exec
	s_waitcnt vmcnt(0)
	v_cmp_ne_u16_e32 vcc, v46, v47
	s_and_b64 s[46:47], vcc, exec
	s_or_b64 s[40:41], s[40:41], s[46:47]
.LBB354_145:                            ;   in Loop: Header=BB354_146 Depth=1
	s_and_b64 s[46:47], exec, s[40:41]
	s_or_b64 s[38:39], s[46:47], s[38:39]
	v_mov_b64_e32 v[34:35], s[42:43]
	s_mov_b64 s[42:43], s[44:45]
	s_andn2_b64 exec, exec, s[38:39]
	s_cbranch_execz .LBB354_148
.LBB354_146:                            ; =>This Inner Loop Header: Depth=1
	s_or_b64 s[40:41], s[40:41], exec
	s_cmp_eq_u64 s[26:27], s[42:43]
	s_cbranch_scc0 .LBB354_144
; %bb.147:                              ;   in Loop: Header=BB354_146 Depth=1
                                        ; implicit-def: $sgpr44_sgpr45
	s_mov_b64 s[42:43], s[26:27]
	s_branch .LBB354_145
.LBB354_148:
	s_or_b64 exec, exec, s[38:39]
	v_cmp_gt_i64_e32 vcc, s[26:27], v[34:35]
	s_orn2_b64 s[38:39], vcc, exec
.LBB354_149:
	s_or_b64 exec, exec, s[18:19]
.LBB354_150:
	s_and_b64 s[18:19], s[38:39], exec
.LBB354_151:
	s_or_b64 exec, exec, s[36:37]
	v_cmp_gt_u32_e32 vcc, s3, v38
	s_mov_b64 s[36:37], 0
	s_mov_b64 s[38:39], 0
	s_and_saveexec_b64 s[40:41], vcc
	s_cbranch_execz .LBB354_162
; %bb.152:
	s_and_b64 vcc, exec, s[4:5]
	s_mov_b64 s[42:43], 0
	s_cbranch_vccnz .LBB354_161
; %bb.153:
	v_mov_b64_e32 v[32:33], s[28:29]
	v_mad_u64_u32 v[30:31], s[38:39], v24, s26, v[32:33]
	v_mul_lo_u32 v34, v24, s27
	v_mul_lo_u32 v35, v25, s26
	v_add3_u32 v31, v35, v31, v34
	v_mad_u64_u32 v[32:33], s[38:39], v18, s26, v[32:33]
	v_mul_lo_u32 v34, v18, s27
	v_mul_lo_u32 v35, v19, s26
	v_add3_u32 v33, v35, v33, v34
	global_load_ubyte v34, v[30:31], off
	global_load_ubyte v35, v[32:33], off
	s_mov_b64 s[42:43], -1
	s_waitcnt vmcnt(0)
	v_cmp_eq_u16_e32 vcc, v34, v35
	s_and_saveexec_b64 s[38:39], vcc
	s_cbranch_execz .LBB354_160
; %bb.154:
	s_mov_b64 s[46:47], 1
	s_mov_b64 s[42:43], 0
                                        ; implicit-def: $sgpr44_sgpr45
	s_branch .LBB354_157
.LBB354_155:                            ;   in Loop: Header=BB354_157 Depth=1
	v_lshl_add_u64 v[34:35], v[30:31], 0, s[46:47]
	v_lshl_add_u64 v[44:45], v[32:33], 0, s[46:47]
	global_load_ubyte v46, v[34:35], off
	global_load_ubyte v47, v[44:45], off
	s_add_u32 s48, s46, 1
	s_addc_u32 s49, s47, 0
	s_andn2_b64 s[44:45], s[44:45], exec
	s_waitcnt vmcnt(0)
	v_cmp_ne_u16_e32 vcc, v46, v47
	s_and_b64 s[50:51], vcc, exec
	s_or_b64 s[44:45], s[44:45], s[50:51]
.LBB354_156:                            ;   in Loop: Header=BB354_157 Depth=1
	s_and_b64 s[50:51], exec, s[44:45]
	s_or_b64 s[42:43], s[50:51], s[42:43]
	v_mov_b64_e32 v[34:35], s[46:47]
	s_mov_b64 s[46:47], s[48:49]
	s_andn2_b64 exec, exec, s[42:43]
	s_cbranch_execz .LBB354_159
.LBB354_157:                            ; =>This Inner Loop Header: Depth=1
	s_or_b64 s[44:45], s[44:45], exec
	s_cmp_eq_u64 s[26:27], s[46:47]
	s_cbranch_scc0 .LBB354_155
; %bb.158:                              ;   in Loop: Header=BB354_157 Depth=1
                                        ; implicit-def: $sgpr48_sgpr49
	s_mov_b64 s[46:47], s[26:27]
	s_branch .LBB354_156
.LBB354_159:
	s_or_b64 exec, exec, s[42:43]
	v_cmp_gt_i64_e32 vcc, s[26:27], v[34:35]
	s_orn2_b64 s[42:43], vcc, exec
.LBB354_160:
	s_or_b64 exec, exec, s[38:39]
.LBB354_161:
	s_and_b64 s[38:39], s[42:43], exec
.LBB354_162:
	s_or_b64 exec, exec, s[40:41]
	v_cmp_gt_u32_e32 vcc, s3, v41
	s_and_saveexec_b64 s[40:41], vcc
	s_cbranch_execz .LBB354_173
; %bb.163:
	s_and_b64 vcc, exec, s[4:5]
	s_mov_b64 s[42:43], 0
	s_cbranch_vccnz .LBB354_172
; %bb.164:
	v_mov_b64_e32 v[32:33], s[28:29]
	v_mad_u64_u32 v[30:31], s[36:37], v22, s26, v[32:33]
	v_mul_lo_u32 v34, v22, s27
	v_mul_lo_u32 v35, v23, s26
	v_add3_u32 v31, v35, v31, v34
	v_mad_u64_u32 v[32:33], s[36:37], v24, s26, v[32:33]
	v_mul_lo_u32 v34, v24, s27
	v_mul_lo_u32 v35, v25, s26
	v_add3_u32 v33, v35, v33, v34
	global_load_ubyte v34, v[30:31], off
	global_load_ubyte v35, v[32:33], off
	s_mov_b64 s[42:43], -1
	s_waitcnt vmcnt(0)
	v_cmp_eq_u16_e32 vcc, v34, v35
	s_and_saveexec_b64 s[36:37], vcc
	s_cbranch_execz .LBB354_171
; %bb.165:
	s_mov_b64 s[46:47], 1
	s_mov_b64 s[42:43], 0
                                        ; implicit-def: $sgpr44_sgpr45
	s_branch .LBB354_168
.LBB354_166:                            ;   in Loop: Header=BB354_168 Depth=1
	v_lshl_add_u64 v[34:35], v[30:31], 0, s[46:47]
	v_lshl_add_u64 v[44:45], v[32:33], 0, s[46:47]
	global_load_ubyte v46, v[34:35], off
	global_load_ubyte v47, v[44:45], off
	s_add_u32 s48, s46, 1
	s_addc_u32 s49, s47, 0
	s_andn2_b64 s[44:45], s[44:45], exec
	s_waitcnt vmcnt(0)
	v_cmp_ne_u16_e32 vcc, v46, v47
	s_and_b64 s[50:51], vcc, exec
	s_or_b64 s[44:45], s[44:45], s[50:51]
.LBB354_167:                            ;   in Loop: Header=BB354_168 Depth=1
	s_and_b64 s[50:51], exec, s[44:45]
	s_or_b64 s[42:43], s[50:51], s[42:43]
	v_mov_b64_e32 v[34:35], s[46:47]
	s_mov_b64 s[46:47], s[48:49]
	s_andn2_b64 exec, exec, s[42:43]
	s_cbranch_execz .LBB354_170
.LBB354_168:                            ; =>This Inner Loop Header: Depth=1
	s_or_b64 s[44:45], s[44:45], exec
	s_cmp_eq_u64 s[26:27], s[46:47]
	s_cbranch_scc0 .LBB354_166
; %bb.169:                              ;   in Loop: Header=BB354_168 Depth=1
                                        ; implicit-def: $sgpr48_sgpr49
	s_mov_b64 s[46:47], s[26:27]
	s_branch .LBB354_167
.LBB354_170:
	s_or_b64 exec, exec, s[42:43]
	v_cmp_gt_i64_e32 vcc, s[26:27], v[34:35]
	s_orn2_b64 s[42:43], vcc, exec
.LBB354_171:
	s_or_b64 exec, exec, s[36:37]
.LBB354_172:
	s_and_b64 s[36:37], s[42:43], exec
.LBB354_173:
	s_or_b64 exec, exec, s[40:41]
	v_cmp_ne_u32_e32 vcc, 0, v0
	s_waitcnt lgkmcnt(0)
	v_mov_b64_e32 v[32:33], s[6:7]
	s_barrier
	s_and_saveexec_b64 s[6:7], vcc
	s_cbranch_execz .LBB354_175
; %bb.174:
	v_add_u32_e32 v30, -8, v37
	ds_read_b64 v[32:33], v30
.LBB354_175:
	s_or_b64 exec, exec, s[6:7]
	v_cndmask_b32_e64 v31, 0, 1, s[18:19]
	v_cndmask_b32_e64 v30, 0, 1, s[38:39]
	v_cndmask_b32_e64 v34, 0, 1, s[36:37]
	v_lshlrev_b16_e32 v31, 8, v31
	v_cmp_gt_u32_e32 vcc, s3, v1
	v_lshlrev_b16_e32 v37, 8, v34
	v_or_b32_sdwa v44, v30, v31 dst_sel:WORD_1 dst_unused:UNUSED_PAD src0_sel:DWORD src1_sel:DWORD
	s_mov_b64 s[18:19], 0
	s_and_saveexec_b64 s[6:7], vcc
	s_cbranch_execz .LBB354_186
; %bb.176:
	s_and_b64 vcc, exec, s[4:5]
	s_cbranch_vccnz .LBB354_185
; %bb.177:
	v_mov_b64_e32 v[34:35], s[28:29]
	s_waitcnt lgkmcnt(0)
	v_mad_u64_u32 v[30:31], s[4:5], v32, s26, v[34:35]
	v_mul_lo_u32 v32, v32, s27
	v_mul_lo_u32 v33, v33, s26
	v_add3_u32 v31, v33, v31, v32
	v_mad_u64_u32 v[32:33], s[4:5], v22, s26, v[34:35]
	v_mul_lo_u32 v34, v22, s27
	v_mul_lo_u32 v35, v23, s26
	v_add3_u32 v33, v35, v33, v34
	global_load_ubyte v34, v[30:31], off
	global_load_ubyte v35, v[32:33], off
	s_mov_b64 s[18:19], -1
	s_waitcnt vmcnt(0)
	v_cmp_eq_u16_e32 vcc, v34, v35
	s_and_saveexec_b64 s[4:5], vcc
	s_cbranch_execz .LBB354_184
; %bb.178:
	s_mov_b64 s[38:39], 1
	s_mov_b64 s[18:19], 0
                                        ; implicit-def: $sgpr36_sgpr37
	s_branch .LBB354_181
.LBB354_179:                            ;   in Loop: Header=BB354_181 Depth=1
	v_lshl_add_u64 v[34:35], v[30:31], 0, s[38:39]
	v_lshl_add_u64 v[46:47], v[32:33], 0, s[38:39]
	global_load_ubyte v45, v[34:35], off
	global_load_ubyte v48, v[46:47], off
	s_add_u32 s40, s38, 1
	s_addc_u32 s41, s39, 0
	s_andn2_b64 s[36:37], s[36:37], exec
	s_waitcnt vmcnt(0)
	v_cmp_ne_u16_e32 vcc, v45, v48
	s_and_b64 s[42:43], vcc, exec
	s_or_b64 s[36:37], s[36:37], s[42:43]
.LBB354_180:                            ;   in Loop: Header=BB354_181 Depth=1
	s_and_b64 s[42:43], exec, s[36:37]
	s_or_b64 s[18:19], s[42:43], s[18:19]
	v_mov_b64_e32 v[34:35], s[38:39]
	s_mov_b64 s[38:39], s[40:41]
	s_andn2_b64 exec, exec, s[18:19]
	s_cbranch_execz .LBB354_183
.LBB354_181:                            ; =>This Inner Loop Header: Depth=1
	s_or_b64 s[36:37], s[36:37], exec
	s_cmp_eq_u64 s[26:27], s[38:39]
	s_cbranch_scc0 .LBB354_179
; %bb.182:                              ;   in Loop: Header=BB354_181 Depth=1
                                        ; implicit-def: $sgpr40_sgpr41
	s_mov_b64 s[38:39], s[26:27]
	s_branch .LBB354_180
.LBB354_183:
	s_or_b64 exec, exec, s[18:19]
	v_cmp_gt_i64_e32 vcc, s[26:27], v[34:35]
	s_orn2_b64 s[18:19], vcc, exec
.LBB354_184:
	s_or_b64 exec, exec, s[4:5]
.LBB354_185:
	s_and_b64 s[18:19], s[18:19], exec
.LBB354_186:
	s_or_b64 exec, exec, s[6:7]
	v_cndmask_b32_e64 v45, 0, 1, s[14:15]
	v_cndmask_b32_e64 v46, 0, 1, s[12:13]
	;; [unrolled: 1-line block ×3, first 2 shown]
	v_or_b32_e32 v34, v37, v44
.LBB354_187:
	s_mov_b64 s[10:11], -1
	s_cbranch_execnz .LBB354_46
.LBB354_188:
	s_movk_i32 s4, 0xffd0
	v_mad_i32_i24 v44, v0, s4, v36
	s_mov_b64 s[12:13], 0
	s_waitcnt lgkmcnt(0)
	v_cmp_gt_i64_e64 s[6:7], s[26:27], 0
	s_and_b64 vcc, exec, s[34:35]
	ds_write_b64 v44, v[28:29]
	s_cbranch_vccz .LBB354_196
; %bb.189:
	v_mul_lo_u32 v32, v17, s26
	v_mul_lo_u32 v33, v16, s27
	v_mad_u64_u32 v[30:31], s[4:5], v16, s26, 0
	v_add3_u32 v31, v31, v33, v32
	v_cndmask_b32_e64 v32, 0, 1, s[6:7]
	v_cmp_ne_u32_e64 s[4:5], 1, v32
	s_andn2_b64 vcc, exec, s[6:7]
	v_lshl_add_u64 v[30:31], s[28:29], 0, v[30:31]
	s_cbranch_vccnz .LBB354_199
; %bb.190:
	v_mov_b64_e32 v[32:33], s[28:29]
	v_mad_u64_u32 v[32:33], s[12:13], v28, s26, v[32:33]
	v_mul_lo_u32 v34, v28, s27
	v_mul_lo_u32 v35, v29, s26
	v_add3_u32 v33, v35, v33, v34
	global_load_ubyte v34, v[30:31], off
	global_load_ubyte v35, v[32:33], off
	s_mov_b64 s[12:13], -1
	s_waitcnt vmcnt(0)
	v_cmp_eq_u16_e32 vcc, v34, v35
	s_and_saveexec_b64 s[14:15], vcc
	s_cbranch_execz .LBB354_198
; %bb.191:
	s_mov_b64 s[36:37], 1
	s_mov_b64 s[12:13], 0
                                        ; implicit-def: $sgpr18_sgpr19
	s_branch .LBB354_194
.LBB354_192:                            ;   in Loop: Header=BB354_194 Depth=1
	v_lshl_add_u64 v[34:35], v[30:31], 0, s[36:37]
	v_lshl_add_u64 v[36:37], v[32:33], 0, s[36:37]
	global_load_ubyte v45, v[34:35], off
	global_load_ubyte v46, v[36:37], off
	s_add_u32 s38, s36, 1
	s_addc_u32 s39, s37, 0
	s_andn2_b64 s[18:19], s[18:19], exec
	s_waitcnt vmcnt(0)
	v_cmp_ne_u16_e32 vcc, v45, v46
	s_and_b64 s[40:41], vcc, exec
	s_or_b64 s[18:19], s[18:19], s[40:41]
.LBB354_193:                            ;   in Loop: Header=BB354_194 Depth=1
	s_and_b64 s[40:41], exec, s[18:19]
	s_or_b64 s[12:13], s[40:41], s[12:13]
	v_mov_b64_e32 v[34:35], s[36:37]
	s_mov_b64 s[36:37], s[38:39]
	s_andn2_b64 exec, exec, s[12:13]
	s_cbranch_execz .LBB354_197
.LBB354_194:                            ; =>This Inner Loop Header: Depth=1
	s_or_b64 s[18:19], s[18:19], exec
	s_cmp_eq_u64 s[26:27], s[36:37]
	s_cbranch_scc0 .LBB354_192
; %bb.195:                              ;   in Loop: Header=BB354_194 Depth=1
                                        ; implicit-def: $sgpr38_sgpr39
	s_mov_b64 s[36:37], s[26:27]
	s_branch .LBB354_193
.LBB354_196:
                                        ; implicit-def: $sgpr18_sgpr19
                                        ; implicit-def: $vgpr47
                                        ; implicit-def: $vgpr46
                                        ; implicit-def: $vgpr45
                                        ; implicit-def: $vgpr34
                                        ; implicit-def: $vgpr30_vgpr31
	s_cbranch_execnz .LBB354_256
	s_branch .LBB354_336
.LBB354_197:
	s_or_b64 exec, exec, s[12:13]
	v_cmp_gt_i64_e32 vcc, s[26:27], v[34:35]
	s_orn2_b64 s[12:13], vcc, exec
.LBB354_198:
	s_or_b64 exec, exec, s[14:15]
.LBB354_199:
	v_mul_lo_u32 v34, v15, s26
	v_mul_lo_u32 v35, v14, s27
	v_mad_u64_u32 v[32:33], s[14:15], v14, s26, 0
	v_add3_u32 v33, v33, v35, v34
	s_mov_b64 s[14:15], 0
	s_and_b64 vcc, exec, s[4:5]
	v_lshl_add_u64 v[32:33], s[28:29], 0, v[32:33]
	s_mov_b64 s[18:19], 0
	s_cbranch_vccnz .LBB354_208
; %bb.200:
	global_load_ubyte v34, v[32:33], off
	global_load_ubyte v35, v[30:31], off
	s_mov_b64 s[18:19], -1
	s_waitcnt vmcnt(0)
	v_cmp_eq_u16_e32 vcc, v34, v35
	s_and_saveexec_b64 s[36:37], vcc
	s_cbranch_execz .LBB354_207
; %bb.201:
	s_mov_b64 s[40:41], 1
	s_mov_b64 s[18:19], 0
                                        ; implicit-def: $sgpr38_sgpr39
	s_branch .LBB354_204
.LBB354_202:                            ;   in Loop: Header=BB354_204 Depth=1
	v_lshl_add_u64 v[34:35], v[32:33], 0, s[40:41]
	v_lshl_add_u64 v[36:37], v[30:31], 0, s[40:41]
	global_load_ubyte v45, v[34:35], off
	global_load_ubyte v46, v[36:37], off
	s_add_u32 s42, s40, 1
	s_addc_u32 s43, s41, 0
	s_andn2_b64 s[38:39], s[38:39], exec
	s_waitcnt vmcnt(0)
	v_cmp_ne_u16_e32 vcc, v45, v46
	s_and_b64 s[44:45], vcc, exec
	s_or_b64 s[38:39], s[38:39], s[44:45]
.LBB354_203:                            ;   in Loop: Header=BB354_204 Depth=1
	s_and_b64 s[44:45], exec, s[38:39]
	s_or_b64 s[18:19], s[44:45], s[18:19]
	v_mov_b64_e32 v[34:35], s[40:41]
	s_mov_b64 s[40:41], s[42:43]
	s_andn2_b64 exec, exec, s[18:19]
	s_cbranch_execz .LBB354_206
.LBB354_204:                            ; =>This Inner Loop Header: Depth=1
	s_or_b64 s[38:39], s[38:39], exec
	s_cmp_eq_u64 s[26:27], s[40:41]
	s_cbranch_scc0 .LBB354_202
; %bb.205:                              ;   in Loop: Header=BB354_204 Depth=1
                                        ; implicit-def: $sgpr42_sgpr43
	s_mov_b64 s[40:41], s[26:27]
	s_branch .LBB354_203
.LBB354_206:
	s_or_b64 exec, exec, s[18:19]
	v_cmp_gt_i64_e32 vcc, s[26:27], v[34:35]
	s_orn2_b64 s[18:19], vcc, exec
.LBB354_207:
	s_or_b64 exec, exec, s[36:37]
.LBB354_208:
	v_mul_lo_u32 v34, v21, s26
	v_mul_lo_u32 v35, v20, s27
	v_mad_u64_u32 v[30:31], s[36:37], v20, s26, 0
	v_add3_u32 v31, v31, v35, v34
	s_and_b64 vcc, exec, s[4:5]
	v_lshl_add_u64 v[30:31], s[28:29], 0, v[30:31]
	s_cbranch_vccnz .LBB354_217
; %bb.209:
	global_load_ubyte v34, v[30:31], off
	global_load_ubyte v35, v[32:33], off
	s_mov_b64 s[14:15], -1
	s_waitcnt vmcnt(0)
	v_cmp_eq_u16_e32 vcc, v34, v35
	s_and_saveexec_b64 s[36:37], vcc
	s_cbranch_execz .LBB354_216
; %bb.210:
	s_mov_b64 s[40:41], 1
	s_mov_b64 s[14:15], 0
                                        ; implicit-def: $sgpr38_sgpr39
	s_branch .LBB354_213
.LBB354_211:                            ;   in Loop: Header=BB354_213 Depth=1
	v_lshl_add_u64 v[34:35], v[30:31], 0, s[40:41]
	v_lshl_add_u64 v[36:37], v[32:33], 0, s[40:41]
	global_load_ubyte v45, v[34:35], off
	global_load_ubyte v46, v[36:37], off
	s_add_u32 s42, s40, 1
	s_addc_u32 s43, s41, 0
	s_andn2_b64 s[38:39], s[38:39], exec
	s_waitcnt vmcnt(0)
	v_cmp_ne_u16_e32 vcc, v45, v46
	s_and_b64 s[44:45], vcc, exec
	s_or_b64 s[38:39], s[38:39], s[44:45]
.LBB354_212:                            ;   in Loop: Header=BB354_213 Depth=1
	s_and_b64 s[44:45], exec, s[38:39]
	s_or_b64 s[14:15], s[44:45], s[14:15]
	v_mov_b64_e32 v[34:35], s[40:41]
	s_mov_b64 s[40:41], s[42:43]
	s_andn2_b64 exec, exec, s[14:15]
	s_cbranch_execz .LBB354_215
.LBB354_213:                            ; =>This Inner Loop Header: Depth=1
	s_or_b64 s[38:39], s[38:39], exec
	s_cmp_eq_u64 s[26:27], s[40:41]
	s_cbranch_scc0 .LBB354_211
; %bb.214:                              ;   in Loop: Header=BB354_213 Depth=1
                                        ; implicit-def: $sgpr42_sgpr43
	s_mov_b64 s[40:41], s[26:27]
	s_branch .LBB354_212
.LBB354_215:
	s_or_b64 exec, exec, s[14:15]
	v_cmp_gt_i64_e32 vcc, s[26:27], v[34:35]
	s_orn2_b64 s[14:15], vcc, exec
.LBB354_216:
	s_or_b64 exec, exec, s[36:37]
.LBB354_217:
	v_mul_lo_u32 v34, v19, s26
	v_mul_lo_u32 v35, v18, s27
	v_mad_u64_u32 v[32:33], s[36:37], v18, s26, 0
	v_add3_u32 v33, v33, v35, v34
	s_mov_b64 s[36:37], 0
	s_and_b64 vcc, exec, s[4:5]
	v_lshl_add_u64 v[32:33], s[28:29], 0, v[32:33]
	s_mov_b64 s[38:39], 0
	s_cbranch_vccnz .LBB354_226
; %bb.218:
	global_load_ubyte v34, v[32:33], off
	global_load_ubyte v35, v[30:31], off
	s_mov_b64 s[38:39], -1
	s_waitcnt vmcnt(0)
	v_cmp_eq_u16_e32 vcc, v34, v35
	s_and_saveexec_b64 s[40:41], vcc
	s_cbranch_execz .LBB354_225
; %bb.219:
	s_mov_b64 s[44:45], 1
	s_mov_b64 s[38:39], 0
                                        ; implicit-def: $sgpr42_sgpr43
	s_branch .LBB354_222
.LBB354_220:                            ;   in Loop: Header=BB354_222 Depth=1
	v_lshl_add_u64 v[34:35], v[32:33], 0, s[44:45]
	v_lshl_add_u64 v[36:37], v[30:31], 0, s[44:45]
	global_load_ubyte v45, v[34:35], off
	global_load_ubyte v46, v[36:37], off
	s_add_u32 s46, s44, 1
	s_addc_u32 s47, s45, 0
	s_andn2_b64 s[42:43], s[42:43], exec
	s_waitcnt vmcnt(0)
	v_cmp_ne_u16_e32 vcc, v45, v46
	s_and_b64 s[48:49], vcc, exec
	s_or_b64 s[42:43], s[42:43], s[48:49]
.LBB354_221:                            ;   in Loop: Header=BB354_222 Depth=1
	s_and_b64 s[48:49], exec, s[42:43]
	s_or_b64 s[38:39], s[48:49], s[38:39]
	v_mov_b64_e32 v[34:35], s[44:45]
	s_mov_b64 s[44:45], s[46:47]
	s_andn2_b64 exec, exec, s[38:39]
	s_cbranch_execz .LBB354_224
.LBB354_222:                            ; =>This Inner Loop Header: Depth=1
	s_or_b64 s[42:43], s[42:43], exec
	s_cmp_eq_u64 s[26:27], s[44:45]
	s_cbranch_scc0 .LBB354_220
; %bb.223:                              ;   in Loop: Header=BB354_222 Depth=1
                                        ; implicit-def: $sgpr46_sgpr47
	s_mov_b64 s[44:45], s[26:27]
	s_branch .LBB354_221
.LBB354_224:
	s_or_b64 exec, exec, s[38:39]
	v_cmp_gt_i64_e32 vcc, s[26:27], v[34:35]
	s_orn2_b64 s[38:39], vcc, exec
.LBB354_225:
	s_or_b64 exec, exec, s[40:41]
.LBB354_226:
	v_mul_lo_u32 v34, v25, s26
	v_mul_lo_u32 v35, v24, s27
	v_mad_u64_u32 v[30:31], s[40:41], v24, s26, 0
	v_add3_u32 v31, v31, v35, v34
	s_and_b64 vcc, exec, s[4:5]
	v_lshl_add_u64 v[30:31], s[28:29], 0, v[30:31]
	s_cbranch_vccnz .LBB354_235
; %bb.227:
	global_load_ubyte v34, v[30:31], off
	global_load_ubyte v35, v[32:33], off
	s_mov_b64 s[36:37], -1
	s_waitcnt vmcnt(0)
	v_cmp_eq_u16_e32 vcc, v34, v35
	s_and_saveexec_b64 s[40:41], vcc
	s_cbranch_execz .LBB354_234
; %bb.228:
	s_mov_b64 s[44:45], 1
	s_mov_b64 s[36:37], 0
                                        ; implicit-def: $sgpr42_sgpr43
	s_branch .LBB354_231
.LBB354_229:                            ;   in Loop: Header=BB354_231 Depth=1
	v_lshl_add_u64 v[34:35], v[30:31], 0, s[44:45]
	v_lshl_add_u64 v[36:37], v[32:33], 0, s[44:45]
	global_load_ubyte v45, v[34:35], off
	global_load_ubyte v46, v[36:37], off
	s_add_u32 s46, s44, 1
	s_addc_u32 s47, s45, 0
	s_andn2_b64 s[42:43], s[42:43], exec
	s_waitcnt vmcnt(0)
	v_cmp_ne_u16_e32 vcc, v45, v46
	s_and_b64 s[48:49], vcc, exec
	s_or_b64 s[42:43], s[42:43], s[48:49]
.LBB354_230:                            ;   in Loop: Header=BB354_231 Depth=1
	s_and_b64 s[48:49], exec, s[42:43]
	s_or_b64 s[36:37], s[48:49], s[36:37]
	v_mov_b64_e32 v[34:35], s[44:45]
	s_mov_b64 s[44:45], s[46:47]
	s_andn2_b64 exec, exec, s[36:37]
	s_cbranch_execz .LBB354_233
.LBB354_231:                            ; =>This Inner Loop Header: Depth=1
	s_or_b64 s[42:43], s[42:43], exec
	s_cmp_eq_u64 s[26:27], s[44:45]
	s_cbranch_scc0 .LBB354_229
; %bb.232:                              ;   in Loop: Header=BB354_231 Depth=1
                                        ; implicit-def: $sgpr46_sgpr47
	s_mov_b64 s[44:45], s[26:27]
	s_branch .LBB354_230
.LBB354_233:
	s_or_b64 exec, exec, s[36:37]
	v_cmp_gt_i64_e32 vcc, s[26:27], v[34:35]
	s_orn2_b64 s[36:37], vcc, exec
.LBB354_234:
	s_or_b64 exec, exec, s[40:41]
.LBB354_235:
	v_mul_lo_u32 v34, v23, s26
	v_mul_lo_u32 v35, v22, s27
	v_mad_u64_u32 v[32:33], s[40:41], v22, s26, 0
	v_add3_u32 v33, v33, v35, v34
	s_and_b64 vcc, exec, s[4:5]
	s_mov_b64 s[42:43], 0
	s_cbranch_vccnz .LBB354_244
; %bb.236:
	v_lshl_add_u64 v[34:35], s[28:29], 0, v[32:33]
	global_load_ubyte v36, v[34:35], off
	global_load_ubyte v37, v[30:31], off
	s_mov_b64 s[42:43], -1
	s_waitcnt vmcnt(0)
	v_cmp_eq_u16_e32 vcc, v36, v37
	s_and_saveexec_b64 s[40:41], vcc
	s_cbranch_execz .LBB354_243
; %bb.237:
	s_mov_b64 s[46:47], 1
	s_mov_b64 s[42:43], 0
                                        ; implicit-def: $sgpr44_sgpr45
	s_branch .LBB354_240
.LBB354_238:                            ;   in Loop: Header=BB354_240 Depth=1
	v_lshl_add_u64 v[36:37], v[34:35], 0, s[46:47]
	v_lshl_add_u64 v[46:47], v[30:31], 0, s[46:47]
	global_load_ubyte v45, v[36:37], off
	global_load_ubyte v48, v[46:47], off
	s_add_u32 s48, s46, 1
	s_addc_u32 s49, s47, 0
	s_andn2_b64 s[44:45], s[44:45], exec
	s_waitcnt vmcnt(0)
	v_cmp_ne_u16_e32 vcc, v45, v48
	s_and_b64 s[50:51], vcc, exec
	s_or_b64 s[44:45], s[44:45], s[50:51]
.LBB354_239:                            ;   in Loop: Header=BB354_240 Depth=1
	s_and_b64 s[50:51], exec, s[44:45]
	s_or_b64 s[42:43], s[50:51], s[42:43]
	v_mov_b64_e32 v[36:37], s[46:47]
	s_mov_b64 s[46:47], s[48:49]
	s_andn2_b64 exec, exec, s[42:43]
	s_cbranch_execz .LBB354_242
.LBB354_240:                            ; =>This Inner Loop Header: Depth=1
	s_or_b64 s[44:45], s[44:45], exec
	s_cmp_eq_u64 s[26:27], s[46:47]
	s_cbranch_scc0 .LBB354_238
; %bb.241:                              ;   in Loop: Header=BB354_240 Depth=1
                                        ; implicit-def: $sgpr48_sgpr49
	s_mov_b64 s[46:47], s[26:27]
	s_branch .LBB354_239
.LBB354_242:
	s_or_b64 exec, exec, s[42:43]
	v_cmp_gt_i64_e32 vcc, s[26:27], v[36:37]
	s_orn2_b64 s[42:43], vcc, exec
.LBB354_243:
	s_or_b64 exec, exec, s[40:41]
.LBB354_244:
	v_cndmask_b32_e64 v31, 0, 1, s[38:39]
	v_cndmask_b32_e64 v30, 0, 1, s[36:37]
	v_cndmask_b32_e64 v46, 0, 1, s[18:19]
	v_lshlrev_b16_e32 v31, 8, v31
	v_cndmask_b32_e64 v45, 0, 1, s[14:15]
	v_cndmask_b32_e64 v34, 0, 1, s[42:43]
	v_or_b32_sdwa v30, v30, v31 dst_sel:WORD_1 dst_unused:UNUSED_PAD src0_sel:DWORD src1_sel:DWORD
	v_lshlrev_b16_e32 v31, 8, v46
	v_lshlrev_b16_e32 v34, 8, v34
	v_or_b32_e32 v31, v45, v31
	v_or_b32_e32 v34, 1, v34
	v_and_b32_e32 v31, 0xffff, v31
	v_cndmask_b32_e64 v47, 0, 1, s[12:13]
	v_or_b32_sdwa v30, v34, v30 dst_sel:DWORD dst_unused:UNUSED_PAD src0_sel:WORD_0 src1_sel:DWORD
	v_lshl_or_b32 v31, v47, 16, v31
	v_cmp_ne_u32_e32 vcc, 0, v0
	s_waitcnt lgkmcnt(0)
	s_barrier
	s_waitcnt lgkmcnt(0)
                                        ; implicit-def: $sgpr18_sgpr19
                                        ; implicit-def: $vgpr34
	s_and_saveexec_b64 s[12:13], vcc
	s_xor_b64 s[12:13], exec, s[12:13]
	s_cbranch_execz .LBB354_255
; %bb.245:
	s_mov_b32 s33, 0x3020104
	s_and_b64 vcc, exec, s[4:5]
	s_mov_b64 s[14:15], 0
	s_cbranch_vccnz .LBB354_254
; %bb.246:
	v_add_u32_e32 v31, -8, v44
	ds_read_b64 v[34:35], v31
	v_mov_b64_e32 v[36:37], s[28:29]
	v_lshl_add_u64 v[32:33], s[28:29], 0, v[32:33]
	s_mov_b64 s[14:15], -1
	s_waitcnt lgkmcnt(0)
	v_mul_lo_u32 v31, v34, s27
	v_mul_lo_u32 v48, v35, s26
	v_mad_u64_u32 v[34:35], s[4:5], v34, s26, v[36:37]
	v_add3_u32 v35, v48, v35, v31
	global_load_ubyte v31, v[32:33], off
	global_load_ubyte v36, v[34:35], off
	s_waitcnt vmcnt(0)
	v_cmp_eq_u16_e32 vcc, v36, v31
	s_and_saveexec_b64 s[4:5], vcc
	s_cbranch_execz .LBB354_253
; %bb.247:
	s_mov_b64 s[36:37], 1
	s_mov_b64 s[14:15], 0
                                        ; implicit-def: $sgpr18_sgpr19
	s_branch .LBB354_250
.LBB354_248:                            ;   in Loop: Header=BB354_250 Depth=1
	v_lshl_add_u64 v[36:37], v[34:35], 0, s[36:37]
	v_lshl_add_u64 v[48:49], v[32:33], 0, s[36:37]
	global_load_ubyte v31, v[36:37], off
	global_load_ubyte v50, v[48:49], off
	s_add_u32 s38, s36, 1
	s_addc_u32 s39, s37, 0
	s_andn2_b64 s[18:19], s[18:19], exec
	s_waitcnt vmcnt(0)
	v_cmp_ne_u16_e32 vcc, v31, v50
	s_and_b64 s[40:41], vcc, exec
	s_or_b64 s[18:19], s[18:19], s[40:41]
.LBB354_249:                            ;   in Loop: Header=BB354_250 Depth=1
	s_and_b64 s[40:41], exec, s[18:19]
	s_or_b64 s[14:15], s[40:41], s[14:15]
	v_mov_b64_e32 v[36:37], s[36:37]
	s_mov_b64 s[36:37], s[38:39]
	s_andn2_b64 exec, exec, s[14:15]
	s_cbranch_execz .LBB354_252
.LBB354_250:                            ; =>This Inner Loop Header: Depth=1
	s_or_b64 s[18:19], s[18:19], exec
	s_cmp_eq_u64 s[26:27], s[36:37]
	s_cbranch_scc0 .LBB354_248
; %bb.251:                              ;   in Loop: Header=BB354_250 Depth=1
                                        ; implicit-def: $sgpr38_sgpr39
	s_mov_b64 s[36:37], s[26:27]
	s_branch .LBB354_249
.LBB354_252:
	s_or_b64 exec, exec, s[14:15]
	v_cmp_gt_i64_e32 vcc, s[26:27], v[36:37]
	s_orn2_b64 s[14:15], vcc, exec
.LBB354_253:
	s_or_b64 exec, exec, s[4:5]
.LBB354_254:
	v_perm_b32 v34, v30, v30, s33
	s_and_b64 s[18:19], s[14:15], exec
	s_or_b64 s[10:11], s[10:11], exec
                                        ; implicit-def: $vgpr30_vgpr31
.LBB354_255:
	s_or_b64 exec, exec, s[12:13]
	s_branch .LBB354_336
.LBB354_256:
	v_cmp_gt_u32_e32 vcc, s3, v40
	s_mov_b64 s[12:13], 0
	s_mov_b64 s[4:5], 0
	s_and_saveexec_b64 s[14:15], vcc
	s_cbranch_execz .LBB354_267
; %bb.257:
	s_andn2_b64 vcc, exec, s[6:7]
	s_mov_b64 s[18:19], 0
	s_cbranch_vccnz .LBB354_266
; %bb.258:
	v_mov_b64_e32 v[32:33], s[28:29]
	v_mad_u64_u32 v[30:31], s[4:5], v16, s26, v[32:33]
	v_mul_lo_u32 v34, v16, s27
	v_mul_lo_u32 v35, v17, s26
	v_add3_u32 v31, v35, v31, v34
	v_mad_u64_u32 v[32:33], s[4:5], v28, s26, v[32:33]
	v_mul_lo_u32 v34, v28, s27
	v_mul_lo_u32 v35, v29, s26
	v_add3_u32 v33, v35, v33, v34
	global_load_ubyte v34, v[30:31], off
	global_load_ubyte v35, v[32:33], off
	s_mov_b64 s[18:19], -1
	s_waitcnt vmcnt(0)
	v_cmp_eq_u16_e32 vcc, v34, v35
	s_and_saveexec_b64 s[4:5], vcc
	s_cbranch_execz .LBB354_265
; %bb.259:
	s_mov_b64 s[38:39], 1
	s_mov_b64 s[18:19], 0
                                        ; implicit-def: $sgpr36_sgpr37
	s_branch .LBB354_262
.LBB354_260:                            ;   in Loop: Header=BB354_262 Depth=1
	v_lshl_add_u64 v[34:35], v[30:31], 0, s[38:39]
	v_lshl_add_u64 v[36:37], v[32:33], 0, s[38:39]
	global_load_ubyte v45, v[34:35], off
	global_load_ubyte v46, v[36:37], off
	s_add_u32 s40, s38, 1
	s_addc_u32 s41, s39, 0
	s_andn2_b64 s[36:37], s[36:37], exec
	s_waitcnt vmcnt(0)
	v_cmp_ne_u16_e32 vcc, v45, v46
	s_and_b64 s[42:43], vcc, exec
	s_or_b64 s[36:37], s[36:37], s[42:43]
.LBB354_261:                            ;   in Loop: Header=BB354_262 Depth=1
	s_and_b64 s[42:43], exec, s[36:37]
	s_or_b64 s[18:19], s[42:43], s[18:19]
	v_mov_b64_e32 v[34:35], s[38:39]
	s_mov_b64 s[38:39], s[40:41]
	s_andn2_b64 exec, exec, s[18:19]
	s_cbranch_execz .LBB354_264
.LBB354_262:                            ; =>This Inner Loop Header: Depth=1
	s_or_b64 s[36:37], s[36:37], exec
	s_cmp_eq_u64 s[26:27], s[38:39]
	s_cbranch_scc0 .LBB354_260
; %bb.263:                              ;   in Loop: Header=BB354_262 Depth=1
                                        ; implicit-def: $sgpr40_sgpr41
	s_mov_b64 s[38:39], s[26:27]
	s_branch .LBB354_261
.LBB354_264:
	s_or_b64 exec, exec, s[18:19]
	v_cmp_gt_i64_e32 vcc, s[26:27], v[34:35]
	s_orn2_b64 s[18:19], vcc, exec
.LBB354_265:
	s_or_b64 exec, exec, s[4:5]
.LBB354_266:
	s_and_b64 s[4:5], s[18:19], exec
.LBB354_267:
	s_or_b64 exec, exec, s[14:15]
	v_cmp_gt_u32_e32 vcc, s3, v43
	s_and_saveexec_b64 s[14:15], vcc
	s_cbranch_execz .LBB354_278
; %bb.268:
	s_andn2_b64 vcc, exec, s[6:7]
	s_mov_b64 s[18:19], 0
	s_cbranch_vccnz .LBB354_277
; %bb.269:
	v_mov_b64_e32 v[32:33], s[28:29]
	v_mad_u64_u32 v[30:31], s[12:13], v14, s26, v[32:33]
	v_mul_lo_u32 v34, v14, s27
	v_mul_lo_u32 v35, v15, s26
	v_add3_u32 v31, v35, v31, v34
	v_mad_u64_u32 v[32:33], s[12:13], v16, s26, v[32:33]
	v_mul_lo_u32 v34, v16, s27
	v_mul_lo_u32 v35, v17, s26
	v_add3_u32 v33, v35, v33, v34
	global_load_ubyte v34, v[30:31], off
	global_load_ubyte v35, v[32:33], off
	s_mov_b64 s[18:19], -1
	s_waitcnt vmcnt(0)
	v_cmp_eq_u16_e32 vcc, v34, v35
	s_and_saveexec_b64 s[12:13], vcc
	s_cbranch_execz .LBB354_276
; %bb.270:
	s_mov_b64 s[38:39], 1
	s_mov_b64 s[18:19], 0
                                        ; implicit-def: $sgpr36_sgpr37
	s_branch .LBB354_273
.LBB354_271:                            ;   in Loop: Header=BB354_273 Depth=1
	v_lshl_add_u64 v[34:35], v[30:31], 0, s[38:39]
	v_lshl_add_u64 v[36:37], v[32:33], 0, s[38:39]
	global_load_ubyte v45, v[34:35], off
	global_load_ubyte v46, v[36:37], off
	s_add_u32 s40, s38, 1
	s_addc_u32 s41, s39, 0
	s_andn2_b64 s[36:37], s[36:37], exec
	s_waitcnt vmcnt(0)
	v_cmp_ne_u16_e32 vcc, v45, v46
	s_and_b64 s[42:43], vcc, exec
	s_or_b64 s[36:37], s[36:37], s[42:43]
.LBB354_272:                            ;   in Loop: Header=BB354_273 Depth=1
	s_and_b64 s[42:43], exec, s[36:37]
	s_or_b64 s[18:19], s[42:43], s[18:19]
	v_mov_b64_e32 v[34:35], s[38:39]
	s_mov_b64 s[38:39], s[40:41]
	s_andn2_b64 exec, exec, s[18:19]
	s_cbranch_execz .LBB354_275
.LBB354_273:                            ; =>This Inner Loop Header: Depth=1
	s_or_b64 s[36:37], s[36:37], exec
	s_cmp_eq_u64 s[26:27], s[38:39]
	s_cbranch_scc0 .LBB354_271
; %bb.274:                              ;   in Loop: Header=BB354_273 Depth=1
                                        ; implicit-def: $sgpr40_sgpr41
	s_mov_b64 s[38:39], s[26:27]
	s_branch .LBB354_272
.LBB354_275:
	s_or_b64 exec, exec, s[18:19]
	v_cmp_gt_i64_e32 vcc, s[26:27], v[34:35]
	s_orn2_b64 s[18:19], vcc, exec
.LBB354_276:
	s_or_b64 exec, exec, s[12:13]
.LBB354_277:
	s_and_b64 s[12:13], s[18:19], exec
.LBB354_278:
	s_or_b64 exec, exec, s[14:15]
	v_cmp_gt_u32_e32 vcc, s3, v39
	s_mov_b64 s[18:19], 0
	s_mov_b64 s[14:15], 0
	s_and_saveexec_b64 s[36:37], vcc
	s_cbranch_execz .LBB354_289
; %bb.279:
	s_andn2_b64 vcc, exec, s[6:7]
	s_mov_b64 s[38:39], 0
	s_cbranch_vccnz .LBB354_288
; %bb.280:
	v_mov_b64_e32 v[32:33], s[28:29]
	v_mad_u64_u32 v[30:31], s[14:15], v20, s26, v[32:33]
	v_mul_lo_u32 v34, v20, s27
	v_mul_lo_u32 v35, v21, s26
	v_add3_u32 v31, v35, v31, v34
	v_mad_u64_u32 v[32:33], s[14:15], v14, s26, v[32:33]
	v_mul_lo_u32 v34, v14, s27
	v_mul_lo_u32 v35, v15, s26
	v_add3_u32 v33, v35, v33, v34
	global_load_ubyte v34, v[30:31], off
	global_load_ubyte v35, v[32:33], off
	s_mov_b64 s[38:39], -1
	s_waitcnt vmcnt(0)
	v_cmp_eq_u16_e32 vcc, v34, v35
	s_and_saveexec_b64 s[14:15], vcc
	s_cbranch_execz .LBB354_287
; %bb.281:
	s_mov_b64 s[42:43], 1
	s_mov_b64 s[38:39], 0
                                        ; implicit-def: $sgpr40_sgpr41
	s_branch .LBB354_284
.LBB354_282:                            ;   in Loop: Header=BB354_284 Depth=1
	v_lshl_add_u64 v[34:35], v[30:31], 0, s[42:43]
	v_lshl_add_u64 v[36:37], v[32:33], 0, s[42:43]
	global_load_ubyte v45, v[34:35], off
	global_load_ubyte v46, v[36:37], off
	s_add_u32 s44, s42, 1
	s_addc_u32 s45, s43, 0
	s_andn2_b64 s[40:41], s[40:41], exec
	s_waitcnt vmcnt(0)
	v_cmp_ne_u16_e32 vcc, v45, v46
	s_and_b64 s[46:47], vcc, exec
	s_or_b64 s[40:41], s[40:41], s[46:47]
.LBB354_283:                            ;   in Loop: Header=BB354_284 Depth=1
	s_and_b64 s[46:47], exec, s[40:41]
	s_or_b64 s[38:39], s[46:47], s[38:39]
	v_mov_b64_e32 v[34:35], s[42:43]
	s_mov_b64 s[42:43], s[44:45]
	s_andn2_b64 exec, exec, s[38:39]
	s_cbranch_execz .LBB354_286
.LBB354_284:                            ; =>This Inner Loop Header: Depth=1
	s_or_b64 s[40:41], s[40:41], exec
	s_cmp_eq_u64 s[26:27], s[42:43]
	s_cbranch_scc0 .LBB354_282
; %bb.285:                              ;   in Loop: Header=BB354_284 Depth=1
                                        ; implicit-def: $sgpr44_sgpr45
	s_mov_b64 s[42:43], s[26:27]
	s_branch .LBB354_283
.LBB354_286:
	s_or_b64 exec, exec, s[38:39]
	v_cmp_gt_i64_e32 vcc, s[26:27], v[34:35]
	s_orn2_b64 s[38:39], vcc, exec
.LBB354_287:
	s_or_b64 exec, exec, s[14:15]
.LBB354_288:
	s_and_b64 s[14:15], s[38:39], exec
.LBB354_289:
	s_or_b64 exec, exec, s[36:37]
	v_cmp_gt_u32_e32 vcc, s3, v42
	s_and_saveexec_b64 s[36:37], vcc
	s_cbranch_execz .LBB354_300
; %bb.290:
	s_andn2_b64 vcc, exec, s[6:7]
	s_mov_b64 s[38:39], 0
	s_cbranch_vccnz .LBB354_299
; %bb.291:
	v_mov_b64_e32 v[32:33], s[28:29]
	v_mad_u64_u32 v[30:31], s[18:19], v18, s26, v[32:33]
	v_mul_lo_u32 v34, v18, s27
	v_mul_lo_u32 v35, v19, s26
	v_add3_u32 v31, v35, v31, v34
	v_mad_u64_u32 v[32:33], s[18:19], v20, s26, v[32:33]
	v_mul_lo_u32 v34, v20, s27
	v_mul_lo_u32 v35, v21, s26
	v_add3_u32 v33, v35, v33, v34
	global_load_ubyte v34, v[30:31], off
	global_load_ubyte v35, v[32:33], off
	s_mov_b64 s[38:39], -1
	s_waitcnt vmcnt(0)
	v_cmp_eq_u16_e32 vcc, v34, v35
	s_and_saveexec_b64 s[18:19], vcc
	s_cbranch_execz .LBB354_298
; %bb.292:
	s_mov_b64 s[42:43], 1
	s_mov_b64 s[38:39], 0
                                        ; implicit-def: $sgpr40_sgpr41
	s_branch .LBB354_295
.LBB354_293:                            ;   in Loop: Header=BB354_295 Depth=1
	v_lshl_add_u64 v[34:35], v[30:31], 0, s[42:43]
	v_lshl_add_u64 v[36:37], v[32:33], 0, s[42:43]
	global_load_ubyte v45, v[34:35], off
	global_load_ubyte v46, v[36:37], off
	s_add_u32 s44, s42, 1
	s_addc_u32 s45, s43, 0
	s_andn2_b64 s[40:41], s[40:41], exec
	s_waitcnt vmcnt(0)
	v_cmp_ne_u16_e32 vcc, v45, v46
	s_and_b64 s[46:47], vcc, exec
	s_or_b64 s[40:41], s[40:41], s[46:47]
.LBB354_294:                            ;   in Loop: Header=BB354_295 Depth=1
	s_and_b64 s[46:47], exec, s[40:41]
	s_or_b64 s[38:39], s[46:47], s[38:39]
	v_mov_b64_e32 v[34:35], s[42:43]
	s_mov_b64 s[42:43], s[44:45]
	s_andn2_b64 exec, exec, s[38:39]
	s_cbranch_execz .LBB354_297
.LBB354_295:                            ; =>This Inner Loop Header: Depth=1
	s_or_b64 s[40:41], s[40:41], exec
	s_cmp_eq_u64 s[26:27], s[42:43]
	s_cbranch_scc0 .LBB354_293
; %bb.296:                              ;   in Loop: Header=BB354_295 Depth=1
                                        ; implicit-def: $sgpr44_sgpr45
	s_mov_b64 s[42:43], s[26:27]
	s_branch .LBB354_294
.LBB354_297:
	s_or_b64 exec, exec, s[38:39]
	v_cmp_gt_i64_e32 vcc, s[26:27], v[34:35]
	s_orn2_b64 s[38:39], vcc, exec
.LBB354_298:
	s_or_b64 exec, exec, s[18:19]
.LBB354_299:
	s_and_b64 s[18:19], s[38:39], exec
.LBB354_300:
	s_or_b64 exec, exec, s[36:37]
	v_cmp_gt_u32_e32 vcc, s3, v38
	s_mov_b64 s[36:37], 0
	s_mov_b64 s[38:39], 0
	s_and_saveexec_b64 s[40:41], vcc
	s_cbranch_execz .LBB354_311
; %bb.301:
	s_andn2_b64 vcc, exec, s[6:7]
	s_mov_b64 s[42:43], 0
	s_cbranch_vccnz .LBB354_310
; %bb.302:
	v_mov_b64_e32 v[32:33], s[28:29]
	v_mad_u64_u32 v[30:31], s[38:39], v24, s26, v[32:33]
	v_mul_lo_u32 v34, v24, s27
	v_mul_lo_u32 v35, v25, s26
	v_add3_u32 v31, v35, v31, v34
	v_mad_u64_u32 v[32:33], s[38:39], v18, s26, v[32:33]
	v_mul_lo_u32 v34, v18, s27
	v_mul_lo_u32 v35, v19, s26
	v_add3_u32 v33, v35, v33, v34
	global_load_ubyte v34, v[30:31], off
	global_load_ubyte v35, v[32:33], off
	s_mov_b64 s[42:43], -1
	s_waitcnt vmcnt(0)
	v_cmp_eq_u16_e32 vcc, v34, v35
	s_and_saveexec_b64 s[38:39], vcc
	s_cbranch_execz .LBB354_309
; %bb.303:
	s_mov_b64 s[46:47], 1
	s_mov_b64 s[42:43], 0
                                        ; implicit-def: $sgpr44_sgpr45
	s_branch .LBB354_306
.LBB354_304:                            ;   in Loop: Header=BB354_306 Depth=1
	v_lshl_add_u64 v[34:35], v[30:31], 0, s[46:47]
	v_lshl_add_u64 v[36:37], v[32:33], 0, s[46:47]
	global_load_ubyte v45, v[34:35], off
	global_load_ubyte v46, v[36:37], off
	s_add_u32 s48, s46, 1
	s_addc_u32 s49, s47, 0
	s_andn2_b64 s[44:45], s[44:45], exec
	s_waitcnt vmcnt(0)
	v_cmp_ne_u16_e32 vcc, v45, v46
	s_and_b64 s[50:51], vcc, exec
	s_or_b64 s[44:45], s[44:45], s[50:51]
.LBB354_305:                            ;   in Loop: Header=BB354_306 Depth=1
	s_and_b64 s[50:51], exec, s[44:45]
	s_or_b64 s[42:43], s[50:51], s[42:43]
	v_mov_b64_e32 v[34:35], s[46:47]
	s_mov_b64 s[46:47], s[48:49]
	s_andn2_b64 exec, exec, s[42:43]
	s_cbranch_execz .LBB354_308
.LBB354_306:                            ; =>This Inner Loop Header: Depth=1
	s_or_b64 s[44:45], s[44:45], exec
	s_cmp_eq_u64 s[26:27], s[46:47]
	s_cbranch_scc0 .LBB354_304
; %bb.307:                              ;   in Loop: Header=BB354_306 Depth=1
                                        ; implicit-def: $sgpr48_sgpr49
	s_mov_b64 s[46:47], s[26:27]
	s_branch .LBB354_305
.LBB354_308:
	s_or_b64 exec, exec, s[42:43]
	v_cmp_gt_i64_e32 vcc, s[26:27], v[34:35]
	s_orn2_b64 s[42:43], vcc, exec
.LBB354_309:
	s_or_b64 exec, exec, s[38:39]
.LBB354_310:
	s_and_b64 s[38:39], s[42:43], exec
.LBB354_311:
	s_or_b64 exec, exec, s[40:41]
	v_cmp_gt_u32_e32 vcc, s3, v41
	s_and_saveexec_b64 s[40:41], vcc
	s_cbranch_execz .LBB354_322
; %bb.312:
	s_andn2_b64 vcc, exec, s[6:7]
	s_mov_b64 s[42:43], 0
	s_cbranch_vccnz .LBB354_321
; %bb.313:
	v_mov_b64_e32 v[32:33], s[28:29]
	v_mad_u64_u32 v[30:31], s[36:37], v22, s26, v[32:33]
	v_mul_lo_u32 v34, v22, s27
	v_mul_lo_u32 v35, v23, s26
	v_add3_u32 v31, v35, v31, v34
	v_mad_u64_u32 v[32:33], s[36:37], v24, s26, v[32:33]
	v_mul_lo_u32 v34, v24, s27
	v_mul_lo_u32 v35, v25, s26
	v_add3_u32 v33, v35, v33, v34
	global_load_ubyte v34, v[30:31], off
	global_load_ubyte v35, v[32:33], off
	s_mov_b64 s[42:43], -1
	s_waitcnt vmcnt(0)
	v_cmp_eq_u16_e32 vcc, v34, v35
	s_and_saveexec_b64 s[36:37], vcc
	s_cbranch_execz .LBB354_320
; %bb.314:
	s_mov_b64 s[46:47], 1
	s_mov_b64 s[42:43], 0
                                        ; implicit-def: $sgpr44_sgpr45
	s_branch .LBB354_317
.LBB354_315:                            ;   in Loop: Header=BB354_317 Depth=1
	v_lshl_add_u64 v[34:35], v[30:31], 0, s[46:47]
	v_lshl_add_u64 v[36:37], v[32:33], 0, s[46:47]
	global_load_ubyte v45, v[34:35], off
	global_load_ubyte v46, v[36:37], off
	s_add_u32 s48, s46, 1
	s_addc_u32 s49, s47, 0
	s_andn2_b64 s[44:45], s[44:45], exec
	s_waitcnt vmcnt(0)
	v_cmp_ne_u16_e32 vcc, v45, v46
	s_and_b64 s[50:51], vcc, exec
	s_or_b64 s[44:45], s[44:45], s[50:51]
.LBB354_316:                            ;   in Loop: Header=BB354_317 Depth=1
	s_and_b64 s[50:51], exec, s[44:45]
	s_or_b64 s[42:43], s[50:51], s[42:43]
	v_mov_b64_e32 v[34:35], s[46:47]
	s_mov_b64 s[46:47], s[48:49]
	s_andn2_b64 exec, exec, s[42:43]
	s_cbranch_execz .LBB354_319
.LBB354_317:                            ; =>This Inner Loop Header: Depth=1
	s_or_b64 s[44:45], s[44:45], exec
	s_cmp_eq_u64 s[26:27], s[46:47]
	s_cbranch_scc0 .LBB354_315
; %bb.318:                              ;   in Loop: Header=BB354_317 Depth=1
                                        ; implicit-def: $sgpr48_sgpr49
	s_mov_b64 s[46:47], s[26:27]
	s_branch .LBB354_316
.LBB354_319:
	s_or_b64 exec, exec, s[42:43]
	v_cmp_gt_i64_e32 vcc, s[26:27], v[34:35]
	s_orn2_b64 s[42:43], vcc, exec
.LBB354_320:
	s_or_b64 exec, exec, s[36:37]
.LBB354_321:
	s_and_b64 s[36:37], s[42:43], exec
.LBB354_322:
	s_or_b64 exec, exec, s[40:41]
	v_cndmask_b32_e64 v31, 0, 1, s[18:19]
	v_cndmask_b32_e64 v30, 0, 1, s[38:39]
	;; [unrolled: 1-line block ×3, first 2 shown]
	v_lshlrev_b16_e32 v31, 8, v31
	v_cndmask_b32_e64 v45, 0, 1, s[14:15]
	v_cndmask_b32_e64 v32, 0, 1, s[36:37]
	v_or_b32_sdwa v30, v30, v31 dst_sel:WORD_1 dst_unused:UNUSED_PAD src0_sel:DWORD src1_sel:DWORD
	v_lshlrev_b16_e32 v31, 8, v46
	v_lshlrev_b16_e32 v32, 8, v32
	v_or_b32_e32 v31, v45, v31
	v_or_b32_e32 v32, 1, v32
	v_and_b32_e32 v31, 0xffff, v31
	v_cndmask_b32_e64 v47, 0, 1, s[4:5]
	v_or_b32_sdwa v30, v32, v30 dst_sel:DWORD dst_unused:UNUSED_PAD src0_sel:WORD_0 src1_sel:DWORD
	v_lshl_or_b32 v31, v47, 16, v31
	v_cmp_ne_u32_e32 vcc, 0, v0
	s_waitcnt lgkmcnt(0)
	s_barrier
	s_waitcnt lgkmcnt(0)
                                        ; implicit-def: $sgpr18_sgpr19
                                        ; implicit-def: $vgpr34
	s_and_saveexec_b64 s[4:5], vcc
	s_cbranch_execz .LBB354_335
; %bb.323:
	v_cmp_gt_u32_e32 vcc, s3, v1
	s_mov_b32 s33, 0x3020104
	s_mov_b64 s[14:15], 0
	s_and_saveexec_b64 s[12:13], vcc
	s_cbranch_execz .LBB354_334
; %bb.324:
	s_andn2_b64 vcc, exec, s[6:7]
	s_cbranch_vccnz .LBB354_333
; %bb.325:
	v_add_u32_e32 v31, -8, v44
	ds_read_b64 v[32:33], v31
	v_mov_b64_e32 v[34:35], s[28:29]
	s_mov_b64 s[14:15], -1
	s_waitcnt lgkmcnt(0)
	v_mul_lo_u32 v31, v32, s27
	v_mul_lo_u32 v36, v33, s26
	v_mad_u64_u32 v[32:33], s[6:7], v32, s26, v[34:35]
	v_add3_u32 v33, v36, v33, v31
	v_mad_u64_u32 v[34:35], s[6:7], v22, s26, v[34:35]
	v_mul_lo_u32 v31, v22, s27
	v_mul_lo_u32 v36, v23, s26
	v_add3_u32 v35, v36, v35, v31
	global_load_ubyte v31, v[32:33], off
	global_load_ubyte v36, v[34:35], off
	s_waitcnt vmcnt(0)
	v_cmp_eq_u16_e32 vcc, v31, v36
	s_and_saveexec_b64 s[6:7], vcc
	s_cbranch_execz .LBB354_332
; %bb.326:
	s_mov_b64 s[28:29], 1
	s_mov_b64 s[14:15], 0
                                        ; implicit-def: $sgpr18_sgpr19
	s_branch .LBB354_329
.LBB354_327:                            ;   in Loop: Header=BB354_329 Depth=1
	v_lshl_add_u64 v[36:37], v[32:33], 0, s[28:29]
	v_lshl_add_u64 v[48:49], v[34:35], 0, s[28:29]
	global_load_ubyte v31, v[36:37], off
	global_load_ubyte v44, v[48:49], off
	s_add_u32 s36, s28, 1
	s_addc_u32 s37, s29, 0
	s_andn2_b64 s[18:19], s[18:19], exec
	s_waitcnt vmcnt(0)
	v_cmp_ne_u16_e32 vcc, v31, v44
	s_and_b64 s[38:39], vcc, exec
	s_or_b64 s[18:19], s[18:19], s[38:39]
.LBB354_328:                            ;   in Loop: Header=BB354_329 Depth=1
	s_and_b64 s[38:39], exec, s[18:19]
	s_or_b64 s[14:15], s[38:39], s[14:15]
	v_mov_b64_e32 v[36:37], s[28:29]
	s_mov_b64 s[28:29], s[36:37]
	s_andn2_b64 exec, exec, s[14:15]
	s_cbranch_execz .LBB354_331
.LBB354_329:                            ; =>This Inner Loop Header: Depth=1
	s_or_b64 s[18:19], s[18:19], exec
	s_cmp_eq_u64 s[26:27], s[28:29]
	s_cbranch_scc0 .LBB354_327
; %bb.330:                              ;   in Loop: Header=BB354_329 Depth=1
                                        ; implicit-def: $sgpr36_sgpr37
	s_mov_b64 s[28:29], s[26:27]
	s_branch .LBB354_328
.LBB354_331:
	s_or_b64 exec, exec, s[14:15]
	v_cmp_gt_i64_e32 vcc, s[26:27], v[36:37]
	s_orn2_b64 s[14:15], vcc, exec
.LBB354_332:
	s_or_b64 exec, exec, s[6:7]
.LBB354_333:
	s_and_b64 s[14:15], s[14:15], exec
.LBB354_334:
	s_or_b64 exec, exec, s[12:13]
	v_perm_b32 v34, v30, v30, s33
	s_and_b64 s[18:19], s[14:15], exec
	s_or_b64 s[10:11], s[10:11], exec
                                        ; implicit-def: $vgpr30_vgpr31
.LBB354_335:
	s_or_b64 exec, exec, s[4:5]
.LBB354_336:
	s_and_saveexec_b64 s[4:5], s[10:11]
	s_cbranch_execz .LBB354_338
; %bb.337:
	v_lshlrev_b16_e32 v31, 8, v46
	s_waitcnt lgkmcnt(0)
	v_and_b32_e32 v32, 0xff, v47
	v_or_b32_sdwa v31, v45, v31 dst_sel:DWORD dst_unused:UNUSED_PAD src0_sel:BYTE_0 src1_sel:DWORD
	v_lshlrev_b32_e32 v32, 16, v32
	s_movk_i32 s6, 0xff
	v_or_b32_sdwa v31, v31, v32 dst_sel:DWORD dst_unused:UNUSED_PAD src0_sel:WORD_0 src1_sel:DWORD
	v_lshrrev_b32_e32 v32, 24, v34
	v_lshlrev_b16_e32 v32, 8, v32
	v_and_b32_sdwa v33, v34, s6 dst_sel:DWORD dst_unused:UNUSED_PAD src0_sel:WORD_1 src1_sel:DWORD
	v_or_b32_sdwa v32, v33, v32 dst_sel:WORD_1 dst_unused:UNUSED_PAD src0_sel:DWORD src1_sel:DWORD
	v_mov_b32_e32 v33, 8
	v_cndmask_b32_e64 v30, 0, 1, s[18:19]
	v_lshrrev_b32_sdwa v33, v33, v34 dst_sel:BYTE_1 dst_unused:UNUSED_PAD src0_sel:DWORD src1_sel:DWORD
	s_nop 0
	v_or_b32_e32 v30, v30, v33
	v_or_b32_sdwa v30, v30, v32 dst_sel:DWORD dst_unused:UNUSED_PAD src0_sel:WORD_0 src1_sel:DWORD
.LBB354_338:
	s_or_b64 exec, exec, s[4:5]
	s_andn2_b64 vcc, exec, s[8:9]
	s_cbranch_vccnz .LBB354_340
; %bb.339:
	s_waitcnt lgkmcnt(0)
	v_and_b32_e32 v32, 0xffff0000, v30
	v_cmp_gt_u32_e32 vcc, s3, v1
	s_mov_b32 s4, 0x40c0100
	s_nop 0
	v_cndmask_b32_e32 v1, v32, v30, vcc
	v_and_b32_e32 v1, 0xffff00ff, v1
	v_cmp_gt_u32_e32 vcc, s3, v41
	s_nop 1
	v_cndmask_b32_e32 v1, v1, v30, vcc
	v_lshrrev_b32_e32 v32, 24, v1
	v_perm_b32 v1, v32, v1, s4
	v_cmp_gt_u32_e32 vcc, s3, v38
	v_and_b32_e32 v32, 0xffffff00, v31
	s_nop 0
	v_cndmask_b32_e32 v1, v1, v30, vcc
	v_and_b32_e32 v1, 0xffffff, v1
	v_cmp_gt_u32_e32 vcc, s3, v42
	s_nop 1
	v_cndmask_b32_e32 v1, v1, v30, vcc
	v_cmp_gt_u32_e32 vcc, s3, v39
	s_nop 1
	v_cndmask_b32_e32 v32, v32, v31, vcc
	v_and_b32_e32 v32, 0xffff00ff, v32
	v_cndmask_b32_e32 v1, v1, v30, vcc
	v_cmp_gt_u32_e32 vcc, s3, v43
	s_nop 1
	v_cndmask_b32_e32 v32, v32, v31, vcc
	v_lshrrev_b32_e32 v33, 24, v32
	v_cndmask_b32_e32 v1, v1, v30, vcc
	v_perm_b32 v32, v33, v32, s4
	v_cmp_gt_u32_e32 vcc, s3, v40
	s_mov_b32 s3, 0x3020104
	s_nop 0
	v_cndmask_b32_e32 v1, v1, v30, vcc
	v_cndmask_b32_e32 v30, v32, v31, vcc
	v_mov_b32_e32 v31, 8
	v_lshrrev_b32_sdwa v31, v31, v30 dst_sel:BYTE_1 dst_unused:UNUSED_PAD src0_sel:DWORD src1_sel:DWORD
	s_nop 0
	v_or_b32_sdwa v31, v30, v31 dst_sel:DWORD dst_unused:UNUSED_PAD src0_sel:BYTE_0 src1_sel:DWORD
	v_and_b32_e32 v31, 0xffff, v31
	v_bfe_u32 v30, v30, 16, 8
	v_lshl_or_b32 v31, v30, 16, v31
	v_perm_b32 v30, v1, v1, s3
.LBB354_340:
	v_and_b32_e32 v1, 0xff, v30
	v_bfe_u32 v43, v30, 8, 8
	v_bfe_u32 v45, v30, 16, 8
	s_waitcnt lgkmcnt(0)
	v_alignbit_b32 v32, v31, v30, 24
	v_and_b32_e32 v47, 0xff, v32
	v_and_b32_e32 v48, 0xff, v31
	v_add3_u32 v33, v43, v1, v45
	v_bfe_u32 v49, v31, 8, 8
	v_bfe_u32 v32, v31, 16, 8
	v_add3_u32 v33, v33, v47, v48
	v_add3_u32 v52, v33, v49, v32
	v_mbcnt_lo_u32_b32 v32, -1, 0
	v_mbcnt_hi_u32_b32 v50, -1, v32
	v_and_b32_e32 v32, 15, v50
	v_cmp_eq_u32_e64 s[14:15], 0, v32
	v_cmp_lt_u32_e64 s[12:13], 1, v32
	v_cmp_lt_u32_e64 s[10:11], 3, v32
	v_cmp_lt_u32_e64 s[8:9], 7, v32
	v_and_b32_e32 v32, 16, v50
	v_cmp_eq_u32_e64 s[6:7], 0, v32
	v_or_b32_e32 v32, 63, v0
	v_cmp_lt_u32_e64 s[18:19], 31, v50
	v_lshrrev_b32_e32 v51, 6, v0
	v_cmp_eq_u32_e64 s[4:5], v32, v0
	s_and_b64 vcc, exec, s[16:17]
	s_barrier
	s_cbranch_vccz .LBB354_367
; %bb.341:
	v_mov_b32_dpp v32, v52 row_shr:1 row_mask:0xf bank_mask:0xf
	v_cndmask_b32_e64 v32, v32, 0, s[14:15]
	v_add_u32_e32 v32, v32, v52
	s_nop 1
	v_mov_b32_dpp v33, v32 row_shr:2 row_mask:0xf bank_mask:0xf
	v_cndmask_b32_e64 v33, 0, v33, s[12:13]
	v_add_u32_e32 v32, v32, v33
	s_nop 1
	;; [unrolled: 4-line block ×4, first 2 shown]
	v_mov_b32_dpp v33, v32 row_bcast:15 row_mask:0xf bank_mask:0xf
	v_cndmask_b32_e64 v33, v33, 0, s[6:7]
	v_add_u32_e32 v32, v32, v33
	s_nop 1
	v_mov_b32_dpp v33, v32 row_bcast:31 row_mask:0xf bank_mask:0xf
	v_cndmask_b32_e64 v33, 0, v33, s[18:19]
	v_add_u32_e32 v32, v32, v33
	s_and_saveexec_b64 s[16:17], s[4:5]
	s_cbranch_execz .LBB354_343
; %bb.342:
	v_lshlrev_b32_e32 v33, 2, v51
	ds_write_b32 v33, v32
.LBB354_343:
	s_or_b64 exec, exec, s[16:17]
	v_cmp_gt_u32_e32 vcc, 8, v0
	s_waitcnt lgkmcnt(0)
	s_barrier
	s_and_saveexec_b64 s[16:17], vcc
	s_cbranch_execz .LBB354_345
; %bb.344:
	v_lshlrev_b32_e32 v33, 2, v0
	ds_read_b32 v34, v33
	v_and_b32_e32 v35, 7, v50
	v_cmp_ne_u32_e32 vcc, 0, v35
	s_waitcnt lgkmcnt(0)
	v_mov_b32_dpp v36, v34 row_shr:1 row_mask:0xf bank_mask:0xf
	v_cndmask_b32_e32 v36, 0, v36, vcc
	v_add_u32_e32 v34, v36, v34
	v_cmp_lt_u32_e32 vcc, 1, v35
	s_nop 0
	v_mov_b32_dpp v36, v34 row_shr:2 row_mask:0xf bank_mask:0xf
	v_cndmask_b32_e32 v36, 0, v36, vcc
	v_add_u32_e32 v34, v34, v36
	v_cmp_lt_u32_e32 vcc, 3, v35
	s_nop 0
	v_mov_b32_dpp v36, v34 row_shr:4 row_mask:0xf bank_mask:0xf
	v_cndmask_b32_e32 v35, 0, v36, vcc
	v_add_u32_e32 v34, v34, v35
	ds_write_b32 v33, v34
.LBB354_345:
	s_or_b64 exec, exec, s[16:17]
	v_cmp_gt_u32_e32 vcc, 64, v0
	v_cmp_lt_u32_e64 s[16:17], 63, v0
	s_waitcnt lgkmcnt(0)
	s_barrier
	s_waitcnt lgkmcnt(0)
                                        ; implicit-def: $vgpr42
	s_and_saveexec_b64 s[26:27], s[16:17]
	s_cbranch_execz .LBB354_347
; %bb.346:
	v_lshl_add_u32 v33, v51, 2, -4
	ds_read_b32 v42, v33
	s_waitcnt lgkmcnt(0)
	v_add_u32_e32 v32, v42, v32
.LBB354_347:
	s_or_b64 exec, exec, s[26:27]
	v_add_u32_e32 v33, -1, v50
	v_and_b32_e32 v34, 64, v50
	v_cmp_lt_i32_e64 s[16:17], v33, v34
	s_nop 1
	v_cndmask_b32_e64 v33, v33, v50, s[16:17]
	v_lshlrev_b32_e32 v33, 2, v33
	ds_bpermute_b32 v44, v33, v32
	v_cmp_eq_u32_e64 s[16:17], 0, v50
	s_and_saveexec_b64 s[26:27], vcc
	s_cbranch_execz .LBB354_366
; %bb.348:
	v_mov_b32_e32 v39, 0
	ds_read_b32 v32, v39 offset:28
	s_and_saveexec_b64 s[28:29], s[16:17]
	s_cbranch_execz .LBB354_350
; %bb.349:
	s_add_i32 s36, s2, 64
	s_mov_b32 s37, 0
	s_lshl_b64 s[36:37], s[36:37], 3
	s_add_u32 s36, s30, s36
	v_mov_b32_e32 v33, 1
	s_addc_u32 s37, s31, s37
	s_waitcnt lgkmcnt(0)
	global_store_dwordx2 v39, v[32:33], s[36:37] sc1
.LBB354_350:
	s_or_b64 exec, exec, s[28:29]
	v_xad_u32 v34, v50, -1, s2
	v_add_u32_e32 v38, 64, v34
	v_lshl_add_u64 v[40:41], v[38:39], 3, s[30:31]
	global_load_dwordx2 v[36:37], v[40:41], off sc1
	s_waitcnt vmcnt(0)
	v_cmp_eq_u16_sdwa s[36:37], v37, v39 src0_sel:BYTE_0 src1_sel:DWORD
	s_and_saveexec_b64 s[28:29], s[36:37]
	s_cbranch_execz .LBB354_354
; %bb.351:
	s_mov_b64 s[36:37], 0
	v_mov_b32_e32 v33, 0
.LBB354_352:                            ; =>This Inner Loop Header: Depth=1
	global_load_dwordx2 v[36:37], v[40:41], off sc1
	s_waitcnt vmcnt(0)
	v_cmp_ne_u16_sdwa s[38:39], v37, v33 src0_sel:BYTE_0 src1_sel:DWORD
	s_or_b64 s[36:37], s[38:39], s[36:37]
	s_andn2_b64 exec, exec, s[36:37]
	s_cbranch_execnz .LBB354_352
; %bb.353:
	s_or_b64 exec, exec, s[36:37]
.LBB354_354:
	s_or_b64 exec, exec, s[28:29]
	v_and_b32_e32 v46, 63, v50
	v_mov_b32_e32 v33, 2
	v_cmp_ne_u32_e32 vcc, 63, v46
	v_cmp_eq_u16_sdwa s[28:29], v37, v33 src0_sel:BYTE_0 src1_sel:DWORD
	v_lshlrev_b64 v[38:39], v50, -1
	v_addc_co_u32_e32 v41, vcc, 0, v50, vcc
	v_and_b32_e32 v35, s29, v39
	v_lshlrev_b32_e32 v53, 2, v41
	v_or_b32_e32 v35, 0x80000000, v35
	ds_bpermute_b32 v41, v53, v36
	v_and_b32_e32 v40, s28, v38
	v_ffbl_b32_e32 v35, v35
	v_add_u32_e32 v35, 32, v35
	v_ffbl_b32_e32 v40, v40
	v_min_u32_e32 v35, v40, v35
	v_cmp_lt_u32_e32 vcc, v46, v35
	v_add_u32_e32 v55, 2, v46
	v_add_u32_e32 v57, 4, v46
	s_waitcnt lgkmcnt(0)
	v_cndmask_b32_e32 v40, 0, v41, vcc
	v_cmp_gt_u32_e32 vcc, 62, v46
	v_add_u32_e32 v36, v40, v36
	v_add_u32_e32 v59, 8, v46
	v_cndmask_b32_e64 v40, 0, 1, vcc
	v_lshlrev_b32_e32 v40, 1, v40
	v_add_lshl_u32 v54, v40, v50, 2
	ds_bpermute_b32 v40, v54, v36
	v_cmp_le_u32_e32 vcc, v55, v35
	v_add_u32_e32 v62, 16, v46
	v_add_u32_e32 v64, 32, v46
	s_waitcnt lgkmcnt(0)
	v_cndmask_b32_e32 v40, 0, v40, vcc
	v_cmp_gt_u32_e32 vcc, 60, v46
	v_add_u32_e32 v36, v36, v40
	s_nop 0
	v_cndmask_b32_e64 v40, 0, 1, vcc
	v_lshlrev_b32_e32 v40, 2, v40
	v_add_lshl_u32 v56, v40, v50, 2
	ds_bpermute_b32 v40, v56, v36
	v_cmp_le_u32_e32 vcc, v57, v35
	s_waitcnt lgkmcnt(0)
	s_nop 0
	v_cndmask_b32_e32 v40, 0, v40, vcc
	v_cmp_gt_u32_e32 vcc, 56, v46
	v_add_u32_e32 v36, v36, v40
	s_nop 0
	v_cndmask_b32_e64 v40, 0, 1, vcc
	v_lshlrev_b32_e32 v40, 3, v40
	v_add_lshl_u32 v58, v40, v50, 2
	ds_bpermute_b32 v40, v58, v36
	v_cmp_le_u32_e32 vcc, v59, v35
	s_waitcnt lgkmcnt(0)
	s_nop 0
	;; [unrolled: 11-line block ×4, first 2 shown]
	v_cndmask_b32_e32 v35, 0, v40, vcc
	v_add_u32_e32 v36, v36, v35
	v_mov_b32_e32 v35, 0
	s_branch .LBB354_356
.LBB354_355:                            ;   in Loop: Header=BB354_356 Depth=1
	s_or_b64 exec, exec, s[28:29]
	v_cmp_eq_u16_sdwa s[28:29], v37, v33 src0_sel:BYTE_0 src1_sel:DWORD
	ds_bpermute_b32 v65, v53, v36
	v_subrev_u32_e32 v34, 64, v34
	v_and_b32_e32 v40, s29, v39
	v_or_b32_e32 v40, 0x80000000, v40
	v_and_b32_e32 v41, s28, v38
	v_ffbl_b32_e32 v40, v40
	v_add_u32_e32 v40, 32, v40
	v_ffbl_b32_e32 v41, v41
	v_min_u32_e32 v40, v41, v40
	v_cmp_lt_u32_e32 vcc, v46, v40
	s_waitcnt lgkmcnt(0)
	s_nop 0
	v_cndmask_b32_e32 v41, 0, v65, vcc
	v_add_u32_e32 v36, v41, v36
	ds_bpermute_b32 v41, v54, v36
	v_cmp_le_u32_e32 vcc, v55, v40
	s_waitcnt lgkmcnt(0)
	s_nop 0
	v_cndmask_b32_e32 v41, 0, v41, vcc
	v_add_u32_e32 v36, v36, v41
	ds_bpermute_b32 v41, v56, v36
	v_cmp_le_u32_e32 vcc, v57, v40
	;; [unrolled: 6-line block ×5, first 2 shown]
	s_waitcnt lgkmcnt(0)
	s_nop 0
	v_cndmask_b32_e32 v40, 0, v41, vcc
	v_add3_u32 v36, v40, v60, v36
.LBB354_356:                            ; =>This Loop Header: Depth=1
                                        ;     Child Loop BB354_359 Depth 2
	v_cmp_ne_u16_sdwa s[28:29], v37, v33 src0_sel:BYTE_0 src1_sel:DWORD
	v_mov_b32_e32 v60, v36
	s_nop 0
	v_cndmask_b32_e64 v37, 0, 1, s[28:29]
	;;#ASMSTART
	;;#ASMEND
	s_nop 0
	v_cmp_ne_u32_e32 vcc, 0, v37
	s_cmp_lg_u64 vcc, exec
	s_cbranch_scc1 .LBB354_361
; %bb.357:                              ;   in Loop: Header=BB354_356 Depth=1
	v_lshl_add_u64 v[40:41], v[34:35], 3, s[30:31]
	global_load_dwordx2 v[36:37], v[40:41], off sc1
	s_waitcnt vmcnt(0)
	v_cmp_eq_u16_sdwa s[36:37], v37, v35 src0_sel:BYTE_0 src1_sel:DWORD
	s_and_saveexec_b64 s[28:29], s[36:37]
	s_cbranch_execz .LBB354_355
; %bb.358:                              ;   in Loop: Header=BB354_356 Depth=1
	s_mov_b64 s[36:37], 0
.LBB354_359:                            ;   Parent Loop BB354_356 Depth=1
                                        ; =>  This Inner Loop Header: Depth=2
	global_load_dwordx2 v[36:37], v[40:41], off sc1
	s_waitcnt vmcnt(0)
	v_cmp_ne_u16_sdwa s[38:39], v37, v35 src0_sel:BYTE_0 src1_sel:DWORD
	s_or_b64 s[36:37], s[38:39], s[36:37]
	s_andn2_b64 exec, exec, s[36:37]
	s_cbranch_execnz .LBB354_359
; %bb.360:                              ;   in Loop: Header=BB354_356 Depth=1
	s_or_b64 exec, exec, s[36:37]
	s_branch .LBB354_355
.LBB354_361:                            ;   in Loop: Header=BB354_356 Depth=1
                                        ; implicit-def: $vgpr36
                                        ; implicit-def: $vgpr37
	s_cbranch_execz .LBB354_356
; %bb.362:
	s_and_saveexec_b64 s[28:29], s[16:17]
	s_cbranch_execz .LBB354_364
; %bb.363:
	s_add_i32 s2, s2, 64
	s_mov_b32 s3, 0
	s_lshl_b64 s[2:3], s[2:3], 3
	s_add_u32 s2, s30, s2
	v_add_u32_e32 v34, v60, v32
	v_mov_b32_e32 v35, 2
	s_addc_u32 s3, s31, s3
	v_mov_b32_e32 v33, 0
	global_store_dwordx2 v33, v[34:35], s[2:3] sc1
	s_movk_i32 s2, 0x7000
	v_add_u32_e64 v33, s2, 0
	ds_write2_b32 v33, v32, v60 offset1:2
.LBB354_364:
	s_or_b64 exec, exec, s[28:29]
	v_cmp_eq_u32_e32 vcc, 0, v0
	s_and_b64 exec, exec, vcc
	s_cbranch_execz .LBB354_366
; %bb.365:
	v_mov_b32_e32 v32, 0
	ds_write_b32 v32, v60 offset:28
.LBB354_366:
	s_or_b64 exec, exec, s[26:27]
	v_mov_b32_e32 v32, 0
	s_waitcnt lgkmcnt(0)
	s_barrier
	ds_read_b32 v32, v32 offset:28
	v_cndmask_b32_e64 v33, v44, v42, s[16:17]
	v_cmp_ne_u32_e32 vcc, 0, v0
	s_movk_i32 s2, 0x7000
	s_waitcnt lgkmcnt(0)
	v_cndmask_b32_e32 v33, 0, v33, vcc
	v_add_u32_e32 v46, v32, v33
	v_add_u32_e64 v32, s2, 0
	v_add_u32_e32 v44, v46, v1
	s_barrier
	ds_read2_b32 v[32:33], v32 offset1:2
	v_add_u32_e32 v42, v44, v43
	v_add_u32_e32 v40, v42, v45
	;; [unrolled: 1-line block ×5, first 2 shown]
	s_waitcnt lgkmcnt(0)
	v_readfirstlane_b32 s26, v32
	v_readfirstlane_b32 s16, v33
	v_lshrrev_b64 v[32:33], 24, v[30:31]
	s_branch .LBB354_377
.LBB354_367:
                                        ; implicit-def: $vgpr34
                                        ; implicit-def: $vgpr36
                                        ; implicit-def: $vgpr38
                                        ; implicit-def: $vgpr40
                                        ; implicit-def: $vgpr42
                                        ; implicit-def: $vgpr44
                                        ; implicit-def: $vgpr46
                                        ; implicit-def: $sgpr16
                                        ; implicit-def: $sgpr26
	v_lshrrev_b64 v[32:33], 24, v[30:31]
	s_cbranch_execz .LBB354_377
; %bb.368:
	s_nop 0
	v_mov_b32_dpp v33, v52 row_shr:1 row_mask:0xf bank_mask:0xf
	v_cndmask_b32_e64 v33, v33, 0, s[14:15]
	v_add_u32_e32 v33, v33, v52
	s_nop 1
	v_mov_b32_dpp v34, v33 row_shr:2 row_mask:0xf bank_mask:0xf
	v_cndmask_b32_e64 v34, 0, v34, s[12:13]
	v_add_u32_e32 v33, v33, v34
	;; [unrolled: 4-line block ×4, first 2 shown]
	s_nop 1
	v_mov_b32_dpp v34, v33 row_bcast:15 row_mask:0xf bank_mask:0xf
	v_cndmask_b32_e64 v34, v34, 0, s[6:7]
	v_add_u32_e32 v33, v33, v34
	s_nop 1
	v_mov_b32_dpp v34, v33 row_bcast:31 row_mask:0xf bank_mask:0xf
	v_cndmask_b32_e64 v34, 0, v34, s[18:19]
	v_add_u32_e32 v33, v33, v34
	s_and_saveexec_b64 s[2:3], s[4:5]
	s_cbranch_execz .LBB354_370
; %bb.369:
	v_lshlrev_b32_e32 v34, 2, v51
	ds_write_b32 v34, v33
.LBB354_370:
	s_or_b64 exec, exec, s[2:3]
	v_cmp_gt_u32_e32 vcc, 8, v0
	s_waitcnt lgkmcnt(0)
	s_barrier
	s_and_saveexec_b64 s[2:3], vcc
	s_cbranch_execz .LBB354_372
; %bb.371:
	v_lshlrev_b32_e32 v34, 2, v0
	ds_read_b32 v35, v34
	v_and_b32_e32 v36, 7, v50
	v_cmp_ne_u32_e32 vcc, 0, v36
	s_waitcnt lgkmcnt(0)
	v_mov_b32_dpp v37, v35 row_shr:1 row_mask:0xf bank_mask:0xf
	v_cndmask_b32_e32 v37, 0, v37, vcc
	v_add_u32_e32 v35, v37, v35
	v_cmp_lt_u32_e32 vcc, 1, v36
	s_nop 0
	v_mov_b32_dpp v37, v35 row_shr:2 row_mask:0xf bank_mask:0xf
	v_cndmask_b32_e32 v37, 0, v37, vcc
	v_add_u32_e32 v35, v35, v37
	v_cmp_lt_u32_e32 vcc, 3, v36
	s_nop 0
	v_mov_b32_dpp v37, v35 row_shr:4 row_mask:0xf bank_mask:0xf
	v_cndmask_b32_e32 v36, 0, v37, vcc
	v_add_u32_e32 v35, v35, v36
	ds_write_b32 v34, v35
.LBB354_372:
	s_or_b64 exec, exec, s[2:3]
	v_cmp_lt_u32_e32 vcc, 63, v0
	v_mov_b32_e32 v35, 0
	v_mov_b32_e32 v34, 0
	s_waitcnt lgkmcnt(0)
	s_barrier
	s_and_saveexec_b64 s[2:3], vcc
	s_cbranch_execz .LBB354_374
; %bb.373:
	v_lshl_add_u32 v34, v51, 2, -4
	ds_read_b32 v34, v34
.LBB354_374:
	s_or_b64 exec, exec, s[2:3]
	v_add_u32_e32 v36, -1, v50
	v_and_b32_e32 v37, 64, v50
	v_cmp_lt_i32_e32 vcc, v36, v37
	s_waitcnt lgkmcnt(0)
	v_add_u32_e32 v33, v34, v33
	ds_read_b32 v35, v35 offset:28
	v_cndmask_b32_e32 v36, v36, v50, vcc
	v_lshlrev_b32_e32 v36, 2, v36
	ds_bpermute_b32 v33, v36, v33
	s_mov_b32 s16, 0
	v_cmp_eq_u32_e32 vcc, 0, v0
	s_waitcnt lgkmcnt(1)
	v_readfirstlane_b32 s26, v35
	s_and_saveexec_b64 s[2:3], vcc
	s_cbranch_execz .LBB354_376
; %bb.375:
	v_mov_b32_e32 v35, 0
	v_mov_b32_e32 v36, s26
	;; [unrolled: 1-line block ×3, first 2 shown]
	global_store_dwordx2 v35, v[36:37], s[30:31] offset:512 sc1
.LBB354_376:
	s_or_b64 exec, exec, s[2:3]
	v_cmp_eq_u32_e64 s[2:3], 0, v50
	s_waitcnt lgkmcnt(0)
	s_barrier
	v_cndmask_b32_e64 v33, v33, v34, s[2:3]
	v_cndmask_b32_e64 v46, v33, 0, vcc
	v_add_u32_e32 v44, v46, v1
	v_add_u32_e32 v42, v44, v43
	;; [unrolled: 1-line block ×6, first 2 shown]
.LBB354_377:
	s_load_dwordx4 s[4:7], s[0:1], 0x28
	s_cmpk_lt_u32 s26, 0x201
	s_cselect_b64 s[2:3], -1, 0
	v_lshrrev_b32_e32 v33, 8, v30
	v_lshrrev_b32_e32 v1, 8, v31
	s_mov_b64 s[0:1], -1
	s_and_b64 vcc, exec, s[2:3]
	s_cbranch_vccz .LBB354_400
; %bb.378:
	s_add_i32 s8, s16, s26
	v_cmp_gt_u32_e32 vcc, s8, v46
	s_or_b64 s[10:11], s[34:35], vcc
	s_and_saveexec_b64 s[0:1], s[10:11]
	s_cbranch_execz .LBB354_381
; %bb.379:
	v_and_b32_e32 v35, 1, v30
	v_cmp_eq_u32_e32 vcc, 1, v35
	s_and_b64 exec, exec, vcc
	s_cbranch_execz .LBB354_381
; %bb.380:
	s_lshl_b64 s[10:11], s[22:23], 3
	s_waitcnt lgkmcnt(0)
	s_add_u32 s10, s4, s10
	s_addc_u32 s11, s5, s11
	v_mov_b32_e32 v47, 0
	v_lshl_add_u64 v[48:49], v[46:47], 3, s[10:11]
	global_store_dwordx2 v[48:49], v[22:23], off
.LBB354_381:
	s_or_b64 exec, exec, s[0:1]
	v_cmp_gt_u32_e32 vcc, s8, v44
	s_or_b64 s[10:11], s[34:35], vcc
	s_and_saveexec_b64 s[0:1], s[10:11]
	s_cbranch_execz .LBB354_384
; %bb.382:
	v_and_b32_e32 v35, 1, v33
	v_cmp_eq_u32_e32 vcc, 1, v35
	s_and_b64 exec, exec, vcc
	s_cbranch_execz .LBB354_384
; %bb.383:
	s_lshl_b64 s[10:11], s[22:23], 3
	s_waitcnt lgkmcnt(0)
	s_add_u32 s10, s4, s10
	s_addc_u32 s11, s5, s11
	v_mov_b32_e32 v45, 0
	v_lshl_add_u64 v[48:49], v[44:45], 3, s[10:11]
	global_store_dwordx2 v[48:49], v[24:25], off
.LBB354_384:
	s_or_b64 exec, exec, s[0:1]
	v_cmp_gt_u32_e32 vcc, s8, v42
	s_or_b64 s[10:11], s[34:35], vcc
	s_and_saveexec_b64 s[0:1], s[10:11]
	s_cbranch_execz .LBB354_387
; %bb.385:
	v_mov_b32_e32 v35, 1
	v_and_b32_sdwa v35, v35, v30 dst_sel:DWORD dst_unused:UNUSED_PAD src0_sel:DWORD src1_sel:WORD_1
	v_cmp_eq_u32_e32 vcc, 1, v35
	s_and_b64 exec, exec, vcc
	s_cbranch_execz .LBB354_387
; %bb.386:
	s_lshl_b64 s[10:11], s[22:23], 3
	s_waitcnt lgkmcnt(0)
	s_add_u32 s10, s4, s10
	s_addc_u32 s11, s5, s11
	v_mov_b32_e32 v43, 0
	v_lshl_add_u64 v[48:49], v[42:43], 3, s[10:11]
	global_store_dwordx2 v[48:49], v[18:19], off
.LBB354_387:
	s_or_b64 exec, exec, s[0:1]
	v_cmp_gt_u32_e32 vcc, s8, v40
	s_or_b64 s[10:11], s[34:35], vcc
	s_and_saveexec_b64 s[0:1], s[10:11]
	s_cbranch_execz .LBB354_390
; %bb.388:
	v_and_b32_e32 v35, 1, v32
	v_cmp_eq_u32_e32 vcc, 1, v35
	s_and_b64 exec, exec, vcc
	s_cbranch_execz .LBB354_390
; %bb.389:
	s_lshl_b64 s[10:11], s[22:23], 3
	s_waitcnt lgkmcnt(0)
	s_add_u32 s10, s4, s10
	s_addc_u32 s11, s5, s11
	v_mov_b32_e32 v41, 0
	v_lshl_add_u64 v[48:49], v[40:41], 3, s[10:11]
	global_store_dwordx2 v[48:49], v[20:21], off
.LBB354_390:
	s_or_b64 exec, exec, s[0:1]
	v_cmp_gt_u32_e32 vcc, s8, v38
	s_or_b64 s[10:11], s[34:35], vcc
	s_and_saveexec_b64 s[0:1], s[10:11]
	s_cbranch_execz .LBB354_393
; %bb.391:
	v_and_b32_e32 v35, 1, v31
	v_cmp_eq_u32_e32 vcc, 1, v35
	s_and_b64 exec, exec, vcc
	s_cbranch_execz .LBB354_393
; %bb.392:
	s_lshl_b64 s[10:11], s[22:23], 3
	s_waitcnt lgkmcnt(0)
	s_add_u32 s10, s4, s10
	s_addc_u32 s11, s5, s11
	v_mov_b32_e32 v39, 0
	v_lshl_add_u64 v[48:49], v[38:39], 3, s[10:11]
	global_store_dwordx2 v[48:49], v[14:15], off
.LBB354_393:
	s_or_b64 exec, exec, s[0:1]
	v_cmp_gt_u32_e32 vcc, s8, v36
	s_or_b64 s[10:11], s[34:35], vcc
	s_and_saveexec_b64 s[0:1], s[10:11]
	s_cbranch_execz .LBB354_396
; %bb.394:
	v_and_b32_e32 v35, 1, v1
	v_cmp_eq_u32_e32 vcc, 1, v35
	s_and_b64 exec, exec, vcc
	s_cbranch_execz .LBB354_396
; %bb.395:
	s_lshl_b64 s[10:11], s[22:23], 3
	s_waitcnt lgkmcnt(0)
	s_add_u32 s10, s4, s10
	s_addc_u32 s11, s5, s11
	v_mov_b32_e32 v37, 0
	v_lshl_add_u64 v[48:49], v[36:37], 3, s[10:11]
	global_store_dwordx2 v[48:49], v[16:17], off
.LBB354_396:
	s_or_b64 exec, exec, s[0:1]
	v_cmp_gt_u32_e32 vcc, s8, v34
	s_or_b64 s[8:9], s[34:35], vcc
	s_and_saveexec_b64 s[0:1], s[8:9]
	s_cbranch_execz .LBB354_399
; %bb.397:
	v_mov_b32_e32 v35, 1
	v_and_b32_sdwa v35, v35, v31 dst_sel:DWORD dst_unused:UNUSED_PAD src0_sel:DWORD src1_sel:WORD_1
	v_cmp_eq_u32_e32 vcc, 1, v35
	s_and_b64 exec, exec, vcc
	s_cbranch_execz .LBB354_399
; %bb.398:
	s_lshl_b64 s[8:9], s[22:23], 3
	s_waitcnt lgkmcnt(0)
	s_add_u32 s8, s4, s8
	s_addc_u32 s9, s5, s9
	v_mov_b32_e32 v35, 0
	v_lshl_add_u64 v[48:49], v[34:35], 3, s[8:9]
	global_store_dwordx2 v[48:49], v[28:29], off
.LBB354_399:
	s_or_b64 exec, exec, s[0:1]
	s_mov_b64 s[0:1], 0
.LBB354_400:
	v_and_b32_e32 v48, 1, v30
	s_and_b64 vcc, exec, s[0:1]
	v_cmp_eq_u32_e64 s[0:1], 1, v48
	s_cbranch_vccz .LBB354_419
; %bb.401:
	s_and_saveexec_b64 s[8:9], s[0:1]
	s_cbranch_execz .LBB354_403
; %bb.402:
	v_subrev_u32_e32 v35, s16, v46
	v_lshlrev_b32_e32 v35, 3, v35
	ds_write_b64 v35, v[22:23]
.LBB354_403:
	s_or_b64 exec, exec, s[8:9]
	v_and_b32_e32 v22, 1, v33
	v_cmp_eq_u32_e32 vcc, 1, v22
	s_and_saveexec_b64 s[0:1], vcc
	s_cbranch_execz .LBB354_405
; %bb.404:
	v_subrev_u32_e32 v22, s16, v44
	v_lshlrev_b32_e32 v22, 3, v22
	ds_write_b64 v22, v[24:25]
.LBB354_405:
	s_or_b64 exec, exec, s[0:1]
	v_mov_b32_e32 v22, 1
	v_and_b32_sdwa v22, v22, v30 dst_sel:DWORD dst_unused:UNUSED_PAD src0_sel:DWORD src1_sel:WORD_1
	v_cmp_eq_u32_e32 vcc, 1, v22
	s_and_saveexec_b64 s[0:1], vcc
	s_cbranch_execz .LBB354_407
; %bb.406:
	v_subrev_u32_e32 v22, s16, v42
	v_lshlrev_b32_e32 v22, 3, v22
	ds_write_b64 v22, v[18:19]
.LBB354_407:
	s_or_b64 exec, exec, s[0:1]
	v_and_b32_e32 v18, 1, v32
	v_cmp_eq_u32_e32 vcc, 1, v18
	s_and_saveexec_b64 s[0:1], vcc
	s_cbranch_execz .LBB354_409
; %bb.408:
	v_subrev_u32_e32 v18, s16, v40
	v_lshlrev_b32_e32 v18, 3, v18
	ds_write_b64 v18, v[20:21]
.LBB354_409:
	s_or_b64 exec, exec, s[0:1]
	v_and_b32_e32 v18, 1, v31
	;; [unrolled: 10-line block ×3, first 2 shown]
	v_cmp_eq_u32_e32 vcc, 1, v14
	s_and_saveexec_b64 s[0:1], vcc
	s_cbranch_execz .LBB354_413
; %bb.412:
	v_subrev_u32_e32 v14, s16, v36
	v_lshlrev_b32_e32 v14, 3, v14
	ds_write_b64 v14, v[16:17]
.LBB354_413:
	s_or_b64 exec, exec, s[0:1]
	v_mov_b32_e32 v14, 1
	v_and_b32_sdwa v14, v14, v31 dst_sel:DWORD dst_unused:UNUSED_PAD src0_sel:DWORD src1_sel:WORD_1
	v_cmp_eq_u32_e32 vcc, 1, v14
	s_and_saveexec_b64 s[0:1], vcc
	s_cbranch_execz .LBB354_415
; %bb.414:
	v_subrev_u32_e32 v14, s16, v34
	v_lshlrev_b32_e32 v14, 3, v14
	ds_write_b64 v14, v[28:29]
.LBB354_415:
	s_or_b64 exec, exec, s[0:1]
	v_cmp_gt_u32_e32 vcc, s26, v0
	s_waitcnt lgkmcnt(0)
	s_barrier
	s_and_saveexec_b64 s[0:1], vcc
	s_cbranch_execz .LBB354_418
; %bb.416:
	s_mov_b32 s17, 0
	s_lshl_b64 s[8:9], s[22:23], 3
	s_lshl_b64 s[10:11], s[16:17], 3
	s_add_u32 s8, s8, s10
	s_addc_u32 s9, s9, s11
	s_add_u32 s4, s4, s8
	v_lshlrev_b32_e32 v14, 3, v0
	v_mov_b32_e32 v15, 0
	s_addc_u32 s5, s5, s9
	v_lshl_add_u64 v[16:17], s[4:5], 0, v[14:15]
	s_mov_b64 s[4:5], 0
	s_mov_b64 s[8:9], 0x1000
	v_mov_b32_e32 v15, v0
.LBB354_417:                            ; =>This Inner Loop Header: Depth=1
	ds_read_b64 v[18:19], v14
	v_add_u32_e32 v15, 0x200, v15
	v_cmp_le_u32_e32 vcc, s26, v15
	v_add_u32_e32 v14, 0x1000, v14
	s_or_b64 s[4:5], vcc, s[4:5]
	s_waitcnt lgkmcnt(0)
	global_store_dwordx2 v[16:17], v[18:19], off
	v_lshl_add_u64 v[16:17], v[16:17], 0, s[8:9]
	s_andn2_b64 exec, exec, s[4:5]
	s_cbranch_execnz .LBB354_417
.LBB354_418:
	s_or_b64 exec, exec, s[0:1]
.LBB354_419:
	s_mov_b64 s[0:1], -1
	s_and_b64 vcc, exec, s[2:3]
	s_waitcnt lgkmcnt(0)
	s_barrier
	s_cbranch_vccnz .LBB354_423
; %bb.420:
	s_and_b64 vcc, exec, s[0:1]
	s_cbranch_vccnz .LBB354_445
.LBB354_421:
	v_cmp_eq_u32_e32 vcc, 0, v0
	s_and_b64 s[0:1], vcc, s[24:25]
	s_and_saveexec_b64 s[2:3], s[0:1]
	s_cbranch_execnz .LBB354_463
.LBB354_422:
	s_endpgm
.LBB354_423:
	s_add_i32 s2, s16, s26
	v_cmp_gt_u32_e32 vcc, s2, v46
	s_or_b64 s[4:5], s[34:35], vcc
	s_and_saveexec_b64 s[0:1], s[4:5]
	s_cbranch_execz .LBB354_426
; %bb.424:
	v_cmp_eq_u32_e32 vcc, 1, v48
	s_and_b64 exec, exec, vcc
	s_cbranch_execz .LBB354_426
; %bb.425:
	s_lshl_b64 s[4:5], s[22:23], 3
	s_add_u32 s4, s6, s4
	s_addc_u32 s5, s7, s5
	v_mov_b32_e32 v47, 0
	v_lshl_add_u64 v[14:15], v[46:47], 3, s[4:5]
	global_store_dwordx2 v[14:15], v[10:11], off
.LBB354_426:
	s_or_b64 exec, exec, s[0:1]
	v_cmp_gt_u32_e32 vcc, s2, v44
	s_or_b64 s[4:5], s[34:35], vcc
	s_and_saveexec_b64 s[0:1], s[4:5]
	s_cbranch_execz .LBB354_429
; %bb.427:
	v_and_b32_e32 v14, 1, v33
	v_cmp_eq_u32_e32 vcc, 1, v14
	s_and_b64 exec, exec, vcc
	s_cbranch_execz .LBB354_429
; %bb.428:
	s_lshl_b64 s[4:5], s[22:23], 3
	s_add_u32 s4, s6, s4
	s_addc_u32 s5, s7, s5
	v_mov_b32_e32 v45, 0
	v_lshl_add_u64 v[14:15], v[44:45], 3, s[4:5]
	global_store_dwordx2 v[14:15], v[12:13], off
.LBB354_429:
	s_or_b64 exec, exec, s[0:1]
	v_cmp_gt_u32_e32 vcc, s2, v42
	s_or_b64 s[4:5], s[34:35], vcc
	s_and_saveexec_b64 s[0:1], s[4:5]
	s_cbranch_execz .LBB354_432
; %bb.430:
	v_mov_b32_e32 v14, 1
	v_and_b32_sdwa v14, v14, v30 dst_sel:DWORD dst_unused:UNUSED_PAD src0_sel:DWORD src1_sel:WORD_1
	v_cmp_eq_u32_e32 vcc, 1, v14
	s_and_b64 exec, exec, vcc
	s_cbranch_execz .LBB354_432
; %bb.431:
	s_lshl_b64 s[4:5], s[22:23], 3
	s_add_u32 s4, s6, s4
	s_addc_u32 s5, s7, s5
	v_mov_b32_e32 v43, 0
	v_lshl_add_u64 v[14:15], v[42:43], 3, s[4:5]
	global_store_dwordx2 v[14:15], v[6:7], off
.LBB354_432:
	s_or_b64 exec, exec, s[0:1]
	v_cmp_gt_u32_e32 vcc, s2, v40
	s_or_b64 s[4:5], s[34:35], vcc
	s_and_saveexec_b64 s[0:1], s[4:5]
	s_cbranch_execz .LBB354_435
; %bb.433:
	v_and_b32_e32 v14, 1, v32
	v_cmp_eq_u32_e32 vcc, 1, v14
	s_and_b64 exec, exec, vcc
	s_cbranch_execz .LBB354_435
; %bb.434:
	s_lshl_b64 s[4:5], s[22:23], 3
	s_add_u32 s4, s6, s4
	s_addc_u32 s5, s7, s5
	v_mov_b32_e32 v41, 0
	v_lshl_add_u64 v[14:15], v[40:41], 3, s[4:5]
	global_store_dwordx2 v[14:15], v[8:9], off
.LBB354_435:
	s_or_b64 exec, exec, s[0:1]
	v_cmp_gt_u32_e32 vcc, s2, v38
	s_or_b64 s[4:5], s[34:35], vcc
	s_and_saveexec_b64 s[0:1], s[4:5]
	s_cbranch_execz .LBB354_438
; %bb.436:
	v_and_b32_e32 v14, 1, v31
	v_cmp_eq_u32_e32 vcc, 1, v14
	s_and_b64 exec, exec, vcc
	s_cbranch_execz .LBB354_438
; %bb.437:
	s_lshl_b64 s[4:5], s[22:23], 3
	s_add_u32 s4, s6, s4
	s_addc_u32 s5, s7, s5
	v_mov_b32_e32 v39, 0
	v_lshl_add_u64 v[14:15], v[38:39], 3, s[4:5]
	global_store_dwordx2 v[14:15], v[2:3], off
.LBB354_438:
	;; [unrolled: 18-line block ×3, first 2 shown]
	s_or_b64 exec, exec, s[0:1]
	v_cmp_gt_u32_e32 vcc, s2, v34
	s_or_b64 s[2:3], s[34:35], vcc
	s_and_saveexec_b64 s[0:1], s[2:3]
	s_cbranch_execz .LBB354_444
; %bb.442:
	v_mov_b32_e32 v14, 1
	v_and_b32_sdwa v14, v14, v31 dst_sel:DWORD dst_unused:UNUSED_PAD src0_sel:DWORD src1_sel:WORD_1
	v_cmp_eq_u32_e32 vcc, 1, v14
	s_and_b64 exec, exec, vcc
	s_cbranch_execz .LBB354_444
; %bb.443:
	s_lshl_b64 s[2:3], s[22:23], 3
	s_add_u32 s2, s6, s2
	s_addc_u32 s3, s7, s3
	v_mov_b32_e32 v35, 0
	v_lshl_add_u64 v[14:15], v[34:35], 3, s[2:3]
	global_store_dwordx2 v[14:15], v[26:27], off
.LBB354_444:
	s_or_b64 exec, exec, s[0:1]
	s_branch .LBB354_421
.LBB354_445:
	v_cmp_eq_u32_e32 vcc, 1, v48
	s_and_saveexec_b64 s[0:1], vcc
	s_cbranch_execz .LBB354_447
; %bb.446:
	v_subrev_u32_e32 v14, s16, v46
	v_lshlrev_b32_e32 v14, 3, v14
	ds_write_b64 v14, v[10:11]
.LBB354_447:
	s_or_b64 exec, exec, s[0:1]
	v_and_b32_e32 v10, 1, v33
	v_cmp_eq_u32_e32 vcc, 1, v10
	s_and_saveexec_b64 s[0:1], vcc
	s_cbranch_execz .LBB354_449
; %bb.448:
	v_subrev_u32_e32 v10, s16, v44
	v_lshlrev_b32_e32 v10, 3, v10
	ds_write_b64 v10, v[12:13]
.LBB354_449:
	s_or_b64 exec, exec, s[0:1]
	v_mov_b32_e32 v10, 1
	v_and_b32_sdwa v10, v10, v30 dst_sel:DWORD dst_unused:UNUSED_PAD src0_sel:DWORD src1_sel:WORD_1
	v_cmp_eq_u32_e32 vcc, 1, v10
	s_and_saveexec_b64 s[0:1], vcc
	s_cbranch_execz .LBB354_451
; %bb.450:
	v_subrev_u32_e32 v10, s16, v42
	v_lshlrev_b32_e32 v10, 3, v10
	ds_write_b64 v10, v[6:7]
.LBB354_451:
	s_or_b64 exec, exec, s[0:1]
	v_and_b32_e32 v6, 1, v32
	v_cmp_eq_u32_e32 vcc, 1, v6
	s_and_saveexec_b64 s[0:1], vcc
	s_cbranch_execz .LBB354_453
; %bb.452:
	v_subrev_u32_e32 v6, s16, v40
	v_lshlrev_b32_e32 v6, 3, v6
	ds_write_b64 v6, v[8:9]
.LBB354_453:
	s_or_b64 exec, exec, s[0:1]
	v_and_b32_e32 v6, 1, v31
	;; [unrolled: 10-line block ×3, first 2 shown]
	v_cmp_eq_u32_e32 vcc, 1, v1
	s_and_saveexec_b64 s[0:1], vcc
	s_cbranch_execz .LBB354_457
; %bb.456:
	v_subrev_u32_e32 v1, s16, v36
	v_lshlrev_b32_e32 v1, 3, v1
	ds_write_b64 v1, v[4:5]
.LBB354_457:
	s_or_b64 exec, exec, s[0:1]
	v_mov_b32_e32 v1, 1
	v_and_b32_sdwa v1, v1, v31 dst_sel:DWORD dst_unused:UNUSED_PAD src0_sel:DWORD src1_sel:WORD_1
	v_cmp_eq_u32_e32 vcc, 1, v1
	s_and_saveexec_b64 s[0:1], vcc
	s_cbranch_execz .LBB354_459
; %bb.458:
	v_subrev_u32_e32 v1, s16, v34
	v_lshlrev_b32_e32 v1, 3, v1
	ds_write_b64 v1, v[26:27]
.LBB354_459:
	s_or_b64 exec, exec, s[0:1]
	v_cmp_gt_u32_e32 vcc, s26, v0
	s_waitcnt lgkmcnt(0)
	s_barrier
	s_and_saveexec_b64 s[0:1], vcc
	s_cbranch_execz .LBB354_462
; %bb.460:
	s_mov_b32 s17, 0
	s_lshl_b64 s[2:3], s[22:23], 3
	s_lshl_b64 s[4:5], s[16:17], 3
	s_add_u32 s2, s2, s4
	s_addc_u32 s3, s3, s5
	s_add_u32 s2, s6, s2
	v_lshlrev_b32_e32 v2, 3, v0
	v_mov_b32_e32 v3, 0
	s_addc_u32 s3, s7, s3
	v_lshl_add_u64 v[4:5], s[2:3], 0, v[2:3]
	s_mov_b64 s[2:3], 0
	s_mov_b64 s[4:5], 0x1000
	v_mov_b32_e32 v1, v0
.LBB354_461:                            ; =>This Inner Loop Header: Depth=1
	ds_read_b64 v[6:7], v2
	v_add_u32_e32 v1, 0x200, v1
	v_cmp_le_u32_e32 vcc, s26, v1
	v_add_u32_e32 v2, 0x1000, v2
	s_or_b64 s[2:3], vcc, s[2:3]
	s_waitcnt lgkmcnt(0)
	global_store_dwordx2 v[4:5], v[6:7], off
	v_lshl_add_u64 v[4:5], v[4:5], 0, s[4:5]
	s_andn2_b64 exec, exec, s[2:3]
	s_cbranch_execnz .LBB354_461
.LBB354_462:
	s_or_b64 exec, exec, s[0:1]
	v_cmp_eq_u32_e32 vcc, 0, v0
	s_and_b64 s[0:1], vcc, s[24:25]
	s_and_saveexec_b64 s[2:3], s[0:1]
	s_cbranch_execz .LBB354_422
.LBB354_463:
	s_add_u32 s0, s22, s26
	s_addc_u32 s1, s23, 0
	s_add_u32 s0, s0, s16
	s_addc_u32 s1, s1, 0
	v_mov_b32_e32 v2, 0
	v_mov_b64_e32 v[0:1], s[0:1]
	global_store_dwordx2 v2, v[0:1], s[20:21]
	s_endpgm
	.section	.rodata,"a",@progbits
	.p2align	6, 0x0
	.amdhsa_kernel _ZN7rocprim17ROCPRIM_400000_NS6detail17trampoline_kernelINS0_14default_configENS1_25partition_config_selectorILNS1_17partition_subalgoE9EllbEEZZNS1_14partition_implILS5_9ELb0ES3_jPlS8_PNS0_10empty_typeENS0_5tupleIJS8_S9_EEENSB_IJS8_SA_EEENS0_18inequality_wrapperIZN2at6native12_GLOBAL__N_124unique_dim_cuda_templateIaEESt5tupleIJNSF_6TensorESK_SK_EERKSK_lbbbEUlllE0_EEPmJS9_EEE10hipError_tPvRmT3_T4_T5_T6_T7_T9_mT8_P12ihipStream_tbDpT10_ENKUlT_T0_E_clISt17integral_constantIbLb0EES1A_EEDaS15_S16_EUlS15_E_NS1_11comp_targetILNS1_3genE5ELNS1_11target_archE942ELNS1_3gpuE9ELNS1_3repE0EEENS1_30default_config_static_selectorELNS0_4arch9wavefront6targetE1EEEvT1_
		.amdhsa_group_segment_fixed_size 28684
		.amdhsa_private_segment_fixed_size 0
		.amdhsa_kernarg_size 120
		.amdhsa_user_sgpr_count 2
		.amdhsa_user_sgpr_dispatch_ptr 0
		.amdhsa_user_sgpr_queue_ptr 0
		.amdhsa_user_sgpr_kernarg_segment_ptr 1
		.amdhsa_user_sgpr_dispatch_id 0
		.amdhsa_user_sgpr_kernarg_preload_length 0
		.amdhsa_user_sgpr_kernarg_preload_offset 0
		.amdhsa_user_sgpr_private_segment_size 0
		.amdhsa_uses_dynamic_stack 0
		.amdhsa_enable_private_segment 0
		.amdhsa_system_sgpr_workgroup_id_x 1
		.amdhsa_system_sgpr_workgroup_id_y 0
		.amdhsa_system_sgpr_workgroup_id_z 0
		.amdhsa_system_sgpr_workgroup_info 0
		.amdhsa_system_vgpr_workitem_id 0
		.amdhsa_next_free_vgpr 66
		.amdhsa_next_free_sgpr 52
		.amdhsa_accum_offset 68
		.amdhsa_reserve_vcc 1
		.amdhsa_float_round_mode_32 0
		.amdhsa_float_round_mode_16_64 0
		.amdhsa_float_denorm_mode_32 3
		.amdhsa_float_denorm_mode_16_64 3
		.amdhsa_dx10_clamp 1
		.amdhsa_ieee_mode 1
		.amdhsa_fp16_overflow 0
		.amdhsa_tg_split 0
		.amdhsa_exception_fp_ieee_invalid_op 0
		.amdhsa_exception_fp_denorm_src 0
		.amdhsa_exception_fp_ieee_div_zero 0
		.amdhsa_exception_fp_ieee_overflow 0
		.amdhsa_exception_fp_ieee_underflow 0
		.amdhsa_exception_fp_ieee_inexact 0
		.amdhsa_exception_int_div_zero 0
	.end_amdhsa_kernel
	.section	.text._ZN7rocprim17ROCPRIM_400000_NS6detail17trampoline_kernelINS0_14default_configENS1_25partition_config_selectorILNS1_17partition_subalgoE9EllbEEZZNS1_14partition_implILS5_9ELb0ES3_jPlS8_PNS0_10empty_typeENS0_5tupleIJS8_S9_EEENSB_IJS8_SA_EEENS0_18inequality_wrapperIZN2at6native12_GLOBAL__N_124unique_dim_cuda_templateIaEESt5tupleIJNSF_6TensorESK_SK_EERKSK_lbbbEUlllE0_EEPmJS9_EEE10hipError_tPvRmT3_T4_T5_T6_T7_T9_mT8_P12ihipStream_tbDpT10_ENKUlT_T0_E_clISt17integral_constantIbLb0EES1A_EEDaS15_S16_EUlS15_E_NS1_11comp_targetILNS1_3genE5ELNS1_11target_archE942ELNS1_3gpuE9ELNS1_3repE0EEENS1_30default_config_static_selectorELNS0_4arch9wavefront6targetE1EEEvT1_,"axG",@progbits,_ZN7rocprim17ROCPRIM_400000_NS6detail17trampoline_kernelINS0_14default_configENS1_25partition_config_selectorILNS1_17partition_subalgoE9EllbEEZZNS1_14partition_implILS5_9ELb0ES3_jPlS8_PNS0_10empty_typeENS0_5tupleIJS8_S9_EEENSB_IJS8_SA_EEENS0_18inequality_wrapperIZN2at6native12_GLOBAL__N_124unique_dim_cuda_templateIaEESt5tupleIJNSF_6TensorESK_SK_EERKSK_lbbbEUlllE0_EEPmJS9_EEE10hipError_tPvRmT3_T4_T5_T6_T7_T9_mT8_P12ihipStream_tbDpT10_ENKUlT_T0_E_clISt17integral_constantIbLb0EES1A_EEDaS15_S16_EUlS15_E_NS1_11comp_targetILNS1_3genE5ELNS1_11target_archE942ELNS1_3gpuE9ELNS1_3repE0EEENS1_30default_config_static_selectorELNS0_4arch9wavefront6targetE1EEEvT1_,comdat
.Lfunc_end354:
	.size	_ZN7rocprim17ROCPRIM_400000_NS6detail17trampoline_kernelINS0_14default_configENS1_25partition_config_selectorILNS1_17partition_subalgoE9EllbEEZZNS1_14partition_implILS5_9ELb0ES3_jPlS8_PNS0_10empty_typeENS0_5tupleIJS8_S9_EEENSB_IJS8_SA_EEENS0_18inequality_wrapperIZN2at6native12_GLOBAL__N_124unique_dim_cuda_templateIaEESt5tupleIJNSF_6TensorESK_SK_EERKSK_lbbbEUlllE0_EEPmJS9_EEE10hipError_tPvRmT3_T4_T5_T6_T7_T9_mT8_P12ihipStream_tbDpT10_ENKUlT_T0_E_clISt17integral_constantIbLb0EES1A_EEDaS15_S16_EUlS15_E_NS1_11comp_targetILNS1_3genE5ELNS1_11target_archE942ELNS1_3gpuE9ELNS1_3repE0EEENS1_30default_config_static_selectorELNS0_4arch9wavefront6targetE1EEEvT1_, .Lfunc_end354-_ZN7rocprim17ROCPRIM_400000_NS6detail17trampoline_kernelINS0_14default_configENS1_25partition_config_selectorILNS1_17partition_subalgoE9EllbEEZZNS1_14partition_implILS5_9ELb0ES3_jPlS8_PNS0_10empty_typeENS0_5tupleIJS8_S9_EEENSB_IJS8_SA_EEENS0_18inequality_wrapperIZN2at6native12_GLOBAL__N_124unique_dim_cuda_templateIaEESt5tupleIJNSF_6TensorESK_SK_EERKSK_lbbbEUlllE0_EEPmJS9_EEE10hipError_tPvRmT3_T4_T5_T6_T7_T9_mT8_P12ihipStream_tbDpT10_ENKUlT_T0_E_clISt17integral_constantIbLb0EES1A_EEDaS15_S16_EUlS15_E_NS1_11comp_targetILNS1_3genE5ELNS1_11target_archE942ELNS1_3gpuE9ELNS1_3repE0EEENS1_30default_config_static_selectorELNS0_4arch9wavefront6targetE1EEEvT1_
                                        ; -- End function
	.section	.AMDGPU.csdata,"",@progbits
; Kernel info:
; codeLenInByte = 13628
; NumSgprs: 58
; NumVgprs: 66
; NumAgprs: 0
; TotalNumVgprs: 66
; ScratchSize: 0
; MemoryBound: 0
; FloatMode: 240
; IeeeMode: 1
; LDSByteSize: 28684 bytes/workgroup (compile time only)
; SGPRBlocks: 7
; VGPRBlocks: 8
; NumSGPRsForWavesPerEU: 58
; NumVGPRsForWavesPerEU: 66
; AccumOffset: 68
; Occupancy: 4
; WaveLimiterHint : 1
; COMPUTE_PGM_RSRC2:SCRATCH_EN: 0
; COMPUTE_PGM_RSRC2:USER_SGPR: 2
; COMPUTE_PGM_RSRC2:TRAP_HANDLER: 0
; COMPUTE_PGM_RSRC2:TGID_X_EN: 1
; COMPUTE_PGM_RSRC2:TGID_Y_EN: 0
; COMPUTE_PGM_RSRC2:TGID_Z_EN: 0
; COMPUTE_PGM_RSRC2:TIDIG_COMP_CNT: 0
; COMPUTE_PGM_RSRC3_GFX90A:ACCUM_OFFSET: 16
; COMPUTE_PGM_RSRC3_GFX90A:TG_SPLIT: 0
	.section	.text._ZN7rocprim17ROCPRIM_400000_NS6detail17trampoline_kernelINS0_14default_configENS1_25partition_config_selectorILNS1_17partition_subalgoE9EllbEEZZNS1_14partition_implILS5_9ELb0ES3_jPlS8_PNS0_10empty_typeENS0_5tupleIJS8_S9_EEENSB_IJS8_SA_EEENS0_18inequality_wrapperIZN2at6native12_GLOBAL__N_124unique_dim_cuda_templateIaEESt5tupleIJNSF_6TensorESK_SK_EERKSK_lbbbEUlllE0_EEPmJS9_EEE10hipError_tPvRmT3_T4_T5_T6_T7_T9_mT8_P12ihipStream_tbDpT10_ENKUlT_T0_E_clISt17integral_constantIbLb0EES1A_EEDaS15_S16_EUlS15_E_NS1_11comp_targetILNS1_3genE4ELNS1_11target_archE910ELNS1_3gpuE8ELNS1_3repE0EEENS1_30default_config_static_selectorELNS0_4arch9wavefront6targetE1EEEvT1_,"axG",@progbits,_ZN7rocprim17ROCPRIM_400000_NS6detail17trampoline_kernelINS0_14default_configENS1_25partition_config_selectorILNS1_17partition_subalgoE9EllbEEZZNS1_14partition_implILS5_9ELb0ES3_jPlS8_PNS0_10empty_typeENS0_5tupleIJS8_S9_EEENSB_IJS8_SA_EEENS0_18inequality_wrapperIZN2at6native12_GLOBAL__N_124unique_dim_cuda_templateIaEESt5tupleIJNSF_6TensorESK_SK_EERKSK_lbbbEUlllE0_EEPmJS9_EEE10hipError_tPvRmT3_T4_T5_T6_T7_T9_mT8_P12ihipStream_tbDpT10_ENKUlT_T0_E_clISt17integral_constantIbLb0EES1A_EEDaS15_S16_EUlS15_E_NS1_11comp_targetILNS1_3genE4ELNS1_11target_archE910ELNS1_3gpuE8ELNS1_3repE0EEENS1_30default_config_static_selectorELNS0_4arch9wavefront6targetE1EEEvT1_,comdat
	.globl	_ZN7rocprim17ROCPRIM_400000_NS6detail17trampoline_kernelINS0_14default_configENS1_25partition_config_selectorILNS1_17partition_subalgoE9EllbEEZZNS1_14partition_implILS5_9ELb0ES3_jPlS8_PNS0_10empty_typeENS0_5tupleIJS8_S9_EEENSB_IJS8_SA_EEENS0_18inequality_wrapperIZN2at6native12_GLOBAL__N_124unique_dim_cuda_templateIaEESt5tupleIJNSF_6TensorESK_SK_EERKSK_lbbbEUlllE0_EEPmJS9_EEE10hipError_tPvRmT3_T4_T5_T6_T7_T9_mT8_P12ihipStream_tbDpT10_ENKUlT_T0_E_clISt17integral_constantIbLb0EES1A_EEDaS15_S16_EUlS15_E_NS1_11comp_targetILNS1_3genE4ELNS1_11target_archE910ELNS1_3gpuE8ELNS1_3repE0EEENS1_30default_config_static_selectorELNS0_4arch9wavefront6targetE1EEEvT1_ ; -- Begin function _ZN7rocprim17ROCPRIM_400000_NS6detail17trampoline_kernelINS0_14default_configENS1_25partition_config_selectorILNS1_17partition_subalgoE9EllbEEZZNS1_14partition_implILS5_9ELb0ES3_jPlS8_PNS0_10empty_typeENS0_5tupleIJS8_S9_EEENSB_IJS8_SA_EEENS0_18inequality_wrapperIZN2at6native12_GLOBAL__N_124unique_dim_cuda_templateIaEESt5tupleIJNSF_6TensorESK_SK_EERKSK_lbbbEUlllE0_EEPmJS9_EEE10hipError_tPvRmT3_T4_T5_T6_T7_T9_mT8_P12ihipStream_tbDpT10_ENKUlT_T0_E_clISt17integral_constantIbLb0EES1A_EEDaS15_S16_EUlS15_E_NS1_11comp_targetILNS1_3genE4ELNS1_11target_archE910ELNS1_3gpuE8ELNS1_3repE0EEENS1_30default_config_static_selectorELNS0_4arch9wavefront6targetE1EEEvT1_
	.p2align	8
	.type	_ZN7rocprim17ROCPRIM_400000_NS6detail17trampoline_kernelINS0_14default_configENS1_25partition_config_selectorILNS1_17partition_subalgoE9EllbEEZZNS1_14partition_implILS5_9ELb0ES3_jPlS8_PNS0_10empty_typeENS0_5tupleIJS8_S9_EEENSB_IJS8_SA_EEENS0_18inequality_wrapperIZN2at6native12_GLOBAL__N_124unique_dim_cuda_templateIaEESt5tupleIJNSF_6TensorESK_SK_EERKSK_lbbbEUlllE0_EEPmJS9_EEE10hipError_tPvRmT3_T4_T5_T6_T7_T9_mT8_P12ihipStream_tbDpT10_ENKUlT_T0_E_clISt17integral_constantIbLb0EES1A_EEDaS15_S16_EUlS15_E_NS1_11comp_targetILNS1_3genE4ELNS1_11target_archE910ELNS1_3gpuE8ELNS1_3repE0EEENS1_30default_config_static_selectorELNS0_4arch9wavefront6targetE1EEEvT1_,@function
_ZN7rocprim17ROCPRIM_400000_NS6detail17trampoline_kernelINS0_14default_configENS1_25partition_config_selectorILNS1_17partition_subalgoE9EllbEEZZNS1_14partition_implILS5_9ELb0ES3_jPlS8_PNS0_10empty_typeENS0_5tupleIJS8_S9_EEENSB_IJS8_SA_EEENS0_18inequality_wrapperIZN2at6native12_GLOBAL__N_124unique_dim_cuda_templateIaEESt5tupleIJNSF_6TensorESK_SK_EERKSK_lbbbEUlllE0_EEPmJS9_EEE10hipError_tPvRmT3_T4_T5_T6_T7_T9_mT8_P12ihipStream_tbDpT10_ENKUlT_T0_E_clISt17integral_constantIbLb0EES1A_EEDaS15_S16_EUlS15_E_NS1_11comp_targetILNS1_3genE4ELNS1_11target_archE910ELNS1_3gpuE8ELNS1_3repE0EEENS1_30default_config_static_selectorELNS0_4arch9wavefront6targetE1EEEvT1_: ; @_ZN7rocprim17ROCPRIM_400000_NS6detail17trampoline_kernelINS0_14default_configENS1_25partition_config_selectorILNS1_17partition_subalgoE9EllbEEZZNS1_14partition_implILS5_9ELb0ES3_jPlS8_PNS0_10empty_typeENS0_5tupleIJS8_S9_EEENSB_IJS8_SA_EEENS0_18inequality_wrapperIZN2at6native12_GLOBAL__N_124unique_dim_cuda_templateIaEESt5tupleIJNSF_6TensorESK_SK_EERKSK_lbbbEUlllE0_EEPmJS9_EEE10hipError_tPvRmT3_T4_T5_T6_T7_T9_mT8_P12ihipStream_tbDpT10_ENKUlT_T0_E_clISt17integral_constantIbLb0EES1A_EEDaS15_S16_EUlS15_E_NS1_11comp_targetILNS1_3genE4ELNS1_11target_archE910ELNS1_3gpuE8ELNS1_3repE0EEENS1_30default_config_static_selectorELNS0_4arch9wavefront6targetE1EEEvT1_
; %bb.0:
	.section	.rodata,"a",@progbits
	.p2align	6, 0x0
	.amdhsa_kernel _ZN7rocprim17ROCPRIM_400000_NS6detail17trampoline_kernelINS0_14default_configENS1_25partition_config_selectorILNS1_17partition_subalgoE9EllbEEZZNS1_14partition_implILS5_9ELb0ES3_jPlS8_PNS0_10empty_typeENS0_5tupleIJS8_S9_EEENSB_IJS8_SA_EEENS0_18inequality_wrapperIZN2at6native12_GLOBAL__N_124unique_dim_cuda_templateIaEESt5tupleIJNSF_6TensorESK_SK_EERKSK_lbbbEUlllE0_EEPmJS9_EEE10hipError_tPvRmT3_T4_T5_T6_T7_T9_mT8_P12ihipStream_tbDpT10_ENKUlT_T0_E_clISt17integral_constantIbLb0EES1A_EEDaS15_S16_EUlS15_E_NS1_11comp_targetILNS1_3genE4ELNS1_11target_archE910ELNS1_3gpuE8ELNS1_3repE0EEENS1_30default_config_static_selectorELNS0_4arch9wavefront6targetE1EEEvT1_
		.amdhsa_group_segment_fixed_size 0
		.amdhsa_private_segment_fixed_size 0
		.amdhsa_kernarg_size 120
		.amdhsa_user_sgpr_count 2
		.amdhsa_user_sgpr_dispatch_ptr 0
		.amdhsa_user_sgpr_queue_ptr 0
		.amdhsa_user_sgpr_kernarg_segment_ptr 1
		.amdhsa_user_sgpr_dispatch_id 0
		.amdhsa_user_sgpr_kernarg_preload_length 0
		.amdhsa_user_sgpr_kernarg_preload_offset 0
		.amdhsa_user_sgpr_private_segment_size 0
		.amdhsa_uses_dynamic_stack 0
		.amdhsa_enable_private_segment 0
		.amdhsa_system_sgpr_workgroup_id_x 1
		.amdhsa_system_sgpr_workgroup_id_y 0
		.amdhsa_system_sgpr_workgroup_id_z 0
		.amdhsa_system_sgpr_workgroup_info 0
		.amdhsa_system_vgpr_workitem_id 0
		.amdhsa_next_free_vgpr 1
		.amdhsa_next_free_sgpr 0
		.amdhsa_accum_offset 4
		.amdhsa_reserve_vcc 0
		.amdhsa_float_round_mode_32 0
		.amdhsa_float_round_mode_16_64 0
		.amdhsa_float_denorm_mode_32 3
		.amdhsa_float_denorm_mode_16_64 3
		.amdhsa_dx10_clamp 1
		.amdhsa_ieee_mode 1
		.amdhsa_fp16_overflow 0
		.amdhsa_tg_split 0
		.amdhsa_exception_fp_ieee_invalid_op 0
		.amdhsa_exception_fp_denorm_src 0
		.amdhsa_exception_fp_ieee_div_zero 0
		.amdhsa_exception_fp_ieee_overflow 0
		.amdhsa_exception_fp_ieee_underflow 0
		.amdhsa_exception_fp_ieee_inexact 0
		.amdhsa_exception_int_div_zero 0
	.end_amdhsa_kernel
	.section	.text._ZN7rocprim17ROCPRIM_400000_NS6detail17trampoline_kernelINS0_14default_configENS1_25partition_config_selectorILNS1_17partition_subalgoE9EllbEEZZNS1_14partition_implILS5_9ELb0ES3_jPlS8_PNS0_10empty_typeENS0_5tupleIJS8_S9_EEENSB_IJS8_SA_EEENS0_18inequality_wrapperIZN2at6native12_GLOBAL__N_124unique_dim_cuda_templateIaEESt5tupleIJNSF_6TensorESK_SK_EERKSK_lbbbEUlllE0_EEPmJS9_EEE10hipError_tPvRmT3_T4_T5_T6_T7_T9_mT8_P12ihipStream_tbDpT10_ENKUlT_T0_E_clISt17integral_constantIbLb0EES1A_EEDaS15_S16_EUlS15_E_NS1_11comp_targetILNS1_3genE4ELNS1_11target_archE910ELNS1_3gpuE8ELNS1_3repE0EEENS1_30default_config_static_selectorELNS0_4arch9wavefront6targetE1EEEvT1_,"axG",@progbits,_ZN7rocprim17ROCPRIM_400000_NS6detail17trampoline_kernelINS0_14default_configENS1_25partition_config_selectorILNS1_17partition_subalgoE9EllbEEZZNS1_14partition_implILS5_9ELb0ES3_jPlS8_PNS0_10empty_typeENS0_5tupleIJS8_S9_EEENSB_IJS8_SA_EEENS0_18inequality_wrapperIZN2at6native12_GLOBAL__N_124unique_dim_cuda_templateIaEESt5tupleIJNSF_6TensorESK_SK_EERKSK_lbbbEUlllE0_EEPmJS9_EEE10hipError_tPvRmT3_T4_T5_T6_T7_T9_mT8_P12ihipStream_tbDpT10_ENKUlT_T0_E_clISt17integral_constantIbLb0EES1A_EEDaS15_S16_EUlS15_E_NS1_11comp_targetILNS1_3genE4ELNS1_11target_archE910ELNS1_3gpuE8ELNS1_3repE0EEENS1_30default_config_static_selectorELNS0_4arch9wavefront6targetE1EEEvT1_,comdat
.Lfunc_end355:
	.size	_ZN7rocprim17ROCPRIM_400000_NS6detail17trampoline_kernelINS0_14default_configENS1_25partition_config_selectorILNS1_17partition_subalgoE9EllbEEZZNS1_14partition_implILS5_9ELb0ES3_jPlS8_PNS0_10empty_typeENS0_5tupleIJS8_S9_EEENSB_IJS8_SA_EEENS0_18inequality_wrapperIZN2at6native12_GLOBAL__N_124unique_dim_cuda_templateIaEESt5tupleIJNSF_6TensorESK_SK_EERKSK_lbbbEUlllE0_EEPmJS9_EEE10hipError_tPvRmT3_T4_T5_T6_T7_T9_mT8_P12ihipStream_tbDpT10_ENKUlT_T0_E_clISt17integral_constantIbLb0EES1A_EEDaS15_S16_EUlS15_E_NS1_11comp_targetILNS1_3genE4ELNS1_11target_archE910ELNS1_3gpuE8ELNS1_3repE0EEENS1_30default_config_static_selectorELNS0_4arch9wavefront6targetE1EEEvT1_, .Lfunc_end355-_ZN7rocprim17ROCPRIM_400000_NS6detail17trampoline_kernelINS0_14default_configENS1_25partition_config_selectorILNS1_17partition_subalgoE9EllbEEZZNS1_14partition_implILS5_9ELb0ES3_jPlS8_PNS0_10empty_typeENS0_5tupleIJS8_S9_EEENSB_IJS8_SA_EEENS0_18inequality_wrapperIZN2at6native12_GLOBAL__N_124unique_dim_cuda_templateIaEESt5tupleIJNSF_6TensorESK_SK_EERKSK_lbbbEUlllE0_EEPmJS9_EEE10hipError_tPvRmT3_T4_T5_T6_T7_T9_mT8_P12ihipStream_tbDpT10_ENKUlT_T0_E_clISt17integral_constantIbLb0EES1A_EEDaS15_S16_EUlS15_E_NS1_11comp_targetILNS1_3genE4ELNS1_11target_archE910ELNS1_3gpuE8ELNS1_3repE0EEENS1_30default_config_static_selectorELNS0_4arch9wavefront6targetE1EEEvT1_
                                        ; -- End function
	.section	.AMDGPU.csdata,"",@progbits
; Kernel info:
; codeLenInByte = 0
; NumSgprs: 6
; NumVgprs: 0
; NumAgprs: 0
; TotalNumVgprs: 0
; ScratchSize: 0
; MemoryBound: 0
; FloatMode: 240
; IeeeMode: 1
; LDSByteSize: 0 bytes/workgroup (compile time only)
; SGPRBlocks: 0
; VGPRBlocks: 0
; NumSGPRsForWavesPerEU: 6
; NumVGPRsForWavesPerEU: 1
; AccumOffset: 4
; Occupancy: 8
; WaveLimiterHint : 0
; COMPUTE_PGM_RSRC2:SCRATCH_EN: 0
; COMPUTE_PGM_RSRC2:USER_SGPR: 2
; COMPUTE_PGM_RSRC2:TRAP_HANDLER: 0
; COMPUTE_PGM_RSRC2:TGID_X_EN: 1
; COMPUTE_PGM_RSRC2:TGID_Y_EN: 0
; COMPUTE_PGM_RSRC2:TGID_Z_EN: 0
; COMPUTE_PGM_RSRC2:TIDIG_COMP_CNT: 0
; COMPUTE_PGM_RSRC3_GFX90A:ACCUM_OFFSET: 0
; COMPUTE_PGM_RSRC3_GFX90A:TG_SPLIT: 0
	.section	.text._ZN7rocprim17ROCPRIM_400000_NS6detail17trampoline_kernelINS0_14default_configENS1_25partition_config_selectorILNS1_17partition_subalgoE9EllbEEZZNS1_14partition_implILS5_9ELb0ES3_jPlS8_PNS0_10empty_typeENS0_5tupleIJS8_S9_EEENSB_IJS8_SA_EEENS0_18inequality_wrapperIZN2at6native12_GLOBAL__N_124unique_dim_cuda_templateIaEESt5tupleIJNSF_6TensorESK_SK_EERKSK_lbbbEUlllE0_EEPmJS9_EEE10hipError_tPvRmT3_T4_T5_T6_T7_T9_mT8_P12ihipStream_tbDpT10_ENKUlT_T0_E_clISt17integral_constantIbLb0EES1A_EEDaS15_S16_EUlS15_E_NS1_11comp_targetILNS1_3genE3ELNS1_11target_archE908ELNS1_3gpuE7ELNS1_3repE0EEENS1_30default_config_static_selectorELNS0_4arch9wavefront6targetE1EEEvT1_,"axG",@progbits,_ZN7rocprim17ROCPRIM_400000_NS6detail17trampoline_kernelINS0_14default_configENS1_25partition_config_selectorILNS1_17partition_subalgoE9EllbEEZZNS1_14partition_implILS5_9ELb0ES3_jPlS8_PNS0_10empty_typeENS0_5tupleIJS8_S9_EEENSB_IJS8_SA_EEENS0_18inequality_wrapperIZN2at6native12_GLOBAL__N_124unique_dim_cuda_templateIaEESt5tupleIJNSF_6TensorESK_SK_EERKSK_lbbbEUlllE0_EEPmJS9_EEE10hipError_tPvRmT3_T4_T5_T6_T7_T9_mT8_P12ihipStream_tbDpT10_ENKUlT_T0_E_clISt17integral_constantIbLb0EES1A_EEDaS15_S16_EUlS15_E_NS1_11comp_targetILNS1_3genE3ELNS1_11target_archE908ELNS1_3gpuE7ELNS1_3repE0EEENS1_30default_config_static_selectorELNS0_4arch9wavefront6targetE1EEEvT1_,comdat
	.globl	_ZN7rocprim17ROCPRIM_400000_NS6detail17trampoline_kernelINS0_14default_configENS1_25partition_config_selectorILNS1_17partition_subalgoE9EllbEEZZNS1_14partition_implILS5_9ELb0ES3_jPlS8_PNS0_10empty_typeENS0_5tupleIJS8_S9_EEENSB_IJS8_SA_EEENS0_18inequality_wrapperIZN2at6native12_GLOBAL__N_124unique_dim_cuda_templateIaEESt5tupleIJNSF_6TensorESK_SK_EERKSK_lbbbEUlllE0_EEPmJS9_EEE10hipError_tPvRmT3_T4_T5_T6_T7_T9_mT8_P12ihipStream_tbDpT10_ENKUlT_T0_E_clISt17integral_constantIbLb0EES1A_EEDaS15_S16_EUlS15_E_NS1_11comp_targetILNS1_3genE3ELNS1_11target_archE908ELNS1_3gpuE7ELNS1_3repE0EEENS1_30default_config_static_selectorELNS0_4arch9wavefront6targetE1EEEvT1_ ; -- Begin function _ZN7rocprim17ROCPRIM_400000_NS6detail17trampoline_kernelINS0_14default_configENS1_25partition_config_selectorILNS1_17partition_subalgoE9EllbEEZZNS1_14partition_implILS5_9ELb0ES3_jPlS8_PNS0_10empty_typeENS0_5tupleIJS8_S9_EEENSB_IJS8_SA_EEENS0_18inequality_wrapperIZN2at6native12_GLOBAL__N_124unique_dim_cuda_templateIaEESt5tupleIJNSF_6TensorESK_SK_EERKSK_lbbbEUlllE0_EEPmJS9_EEE10hipError_tPvRmT3_T4_T5_T6_T7_T9_mT8_P12ihipStream_tbDpT10_ENKUlT_T0_E_clISt17integral_constantIbLb0EES1A_EEDaS15_S16_EUlS15_E_NS1_11comp_targetILNS1_3genE3ELNS1_11target_archE908ELNS1_3gpuE7ELNS1_3repE0EEENS1_30default_config_static_selectorELNS0_4arch9wavefront6targetE1EEEvT1_
	.p2align	8
	.type	_ZN7rocprim17ROCPRIM_400000_NS6detail17trampoline_kernelINS0_14default_configENS1_25partition_config_selectorILNS1_17partition_subalgoE9EllbEEZZNS1_14partition_implILS5_9ELb0ES3_jPlS8_PNS0_10empty_typeENS0_5tupleIJS8_S9_EEENSB_IJS8_SA_EEENS0_18inequality_wrapperIZN2at6native12_GLOBAL__N_124unique_dim_cuda_templateIaEESt5tupleIJNSF_6TensorESK_SK_EERKSK_lbbbEUlllE0_EEPmJS9_EEE10hipError_tPvRmT3_T4_T5_T6_T7_T9_mT8_P12ihipStream_tbDpT10_ENKUlT_T0_E_clISt17integral_constantIbLb0EES1A_EEDaS15_S16_EUlS15_E_NS1_11comp_targetILNS1_3genE3ELNS1_11target_archE908ELNS1_3gpuE7ELNS1_3repE0EEENS1_30default_config_static_selectorELNS0_4arch9wavefront6targetE1EEEvT1_,@function
_ZN7rocprim17ROCPRIM_400000_NS6detail17trampoline_kernelINS0_14default_configENS1_25partition_config_selectorILNS1_17partition_subalgoE9EllbEEZZNS1_14partition_implILS5_9ELb0ES3_jPlS8_PNS0_10empty_typeENS0_5tupleIJS8_S9_EEENSB_IJS8_SA_EEENS0_18inequality_wrapperIZN2at6native12_GLOBAL__N_124unique_dim_cuda_templateIaEESt5tupleIJNSF_6TensorESK_SK_EERKSK_lbbbEUlllE0_EEPmJS9_EEE10hipError_tPvRmT3_T4_T5_T6_T7_T9_mT8_P12ihipStream_tbDpT10_ENKUlT_T0_E_clISt17integral_constantIbLb0EES1A_EEDaS15_S16_EUlS15_E_NS1_11comp_targetILNS1_3genE3ELNS1_11target_archE908ELNS1_3gpuE7ELNS1_3repE0EEENS1_30default_config_static_selectorELNS0_4arch9wavefront6targetE1EEEvT1_: ; @_ZN7rocprim17ROCPRIM_400000_NS6detail17trampoline_kernelINS0_14default_configENS1_25partition_config_selectorILNS1_17partition_subalgoE9EllbEEZZNS1_14partition_implILS5_9ELb0ES3_jPlS8_PNS0_10empty_typeENS0_5tupleIJS8_S9_EEENSB_IJS8_SA_EEENS0_18inequality_wrapperIZN2at6native12_GLOBAL__N_124unique_dim_cuda_templateIaEESt5tupleIJNSF_6TensorESK_SK_EERKSK_lbbbEUlllE0_EEPmJS9_EEE10hipError_tPvRmT3_T4_T5_T6_T7_T9_mT8_P12ihipStream_tbDpT10_ENKUlT_T0_E_clISt17integral_constantIbLb0EES1A_EEDaS15_S16_EUlS15_E_NS1_11comp_targetILNS1_3genE3ELNS1_11target_archE908ELNS1_3gpuE7ELNS1_3repE0EEENS1_30default_config_static_selectorELNS0_4arch9wavefront6targetE1EEEvT1_
; %bb.0:
	.section	.rodata,"a",@progbits
	.p2align	6, 0x0
	.amdhsa_kernel _ZN7rocprim17ROCPRIM_400000_NS6detail17trampoline_kernelINS0_14default_configENS1_25partition_config_selectorILNS1_17partition_subalgoE9EllbEEZZNS1_14partition_implILS5_9ELb0ES3_jPlS8_PNS0_10empty_typeENS0_5tupleIJS8_S9_EEENSB_IJS8_SA_EEENS0_18inequality_wrapperIZN2at6native12_GLOBAL__N_124unique_dim_cuda_templateIaEESt5tupleIJNSF_6TensorESK_SK_EERKSK_lbbbEUlllE0_EEPmJS9_EEE10hipError_tPvRmT3_T4_T5_T6_T7_T9_mT8_P12ihipStream_tbDpT10_ENKUlT_T0_E_clISt17integral_constantIbLb0EES1A_EEDaS15_S16_EUlS15_E_NS1_11comp_targetILNS1_3genE3ELNS1_11target_archE908ELNS1_3gpuE7ELNS1_3repE0EEENS1_30default_config_static_selectorELNS0_4arch9wavefront6targetE1EEEvT1_
		.amdhsa_group_segment_fixed_size 0
		.amdhsa_private_segment_fixed_size 0
		.amdhsa_kernarg_size 120
		.amdhsa_user_sgpr_count 2
		.amdhsa_user_sgpr_dispatch_ptr 0
		.amdhsa_user_sgpr_queue_ptr 0
		.amdhsa_user_sgpr_kernarg_segment_ptr 1
		.amdhsa_user_sgpr_dispatch_id 0
		.amdhsa_user_sgpr_kernarg_preload_length 0
		.amdhsa_user_sgpr_kernarg_preload_offset 0
		.amdhsa_user_sgpr_private_segment_size 0
		.amdhsa_uses_dynamic_stack 0
		.amdhsa_enable_private_segment 0
		.amdhsa_system_sgpr_workgroup_id_x 1
		.amdhsa_system_sgpr_workgroup_id_y 0
		.amdhsa_system_sgpr_workgroup_id_z 0
		.amdhsa_system_sgpr_workgroup_info 0
		.amdhsa_system_vgpr_workitem_id 0
		.amdhsa_next_free_vgpr 1
		.amdhsa_next_free_sgpr 0
		.amdhsa_accum_offset 4
		.amdhsa_reserve_vcc 0
		.amdhsa_float_round_mode_32 0
		.amdhsa_float_round_mode_16_64 0
		.amdhsa_float_denorm_mode_32 3
		.amdhsa_float_denorm_mode_16_64 3
		.amdhsa_dx10_clamp 1
		.amdhsa_ieee_mode 1
		.amdhsa_fp16_overflow 0
		.amdhsa_tg_split 0
		.amdhsa_exception_fp_ieee_invalid_op 0
		.amdhsa_exception_fp_denorm_src 0
		.amdhsa_exception_fp_ieee_div_zero 0
		.amdhsa_exception_fp_ieee_overflow 0
		.amdhsa_exception_fp_ieee_underflow 0
		.amdhsa_exception_fp_ieee_inexact 0
		.amdhsa_exception_int_div_zero 0
	.end_amdhsa_kernel
	.section	.text._ZN7rocprim17ROCPRIM_400000_NS6detail17trampoline_kernelINS0_14default_configENS1_25partition_config_selectorILNS1_17partition_subalgoE9EllbEEZZNS1_14partition_implILS5_9ELb0ES3_jPlS8_PNS0_10empty_typeENS0_5tupleIJS8_S9_EEENSB_IJS8_SA_EEENS0_18inequality_wrapperIZN2at6native12_GLOBAL__N_124unique_dim_cuda_templateIaEESt5tupleIJNSF_6TensorESK_SK_EERKSK_lbbbEUlllE0_EEPmJS9_EEE10hipError_tPvRmT3_T4_T5_T6_T7_T9_mT8_P12ihipStream_tbDpT10_ENKUlT_T0_E_clISt17integral_constantIbLb0EES1A_EEDaS15_S16_EUlS15_E_NS1_11comp_targetILNS1_3genE3ELNS1_11target_archE908ELNS1_3gpuE7ELNS1_3repE0EEENS1_30default_config_static_selectorELNS0_4arch9wavefront6targetE1EEEvT1_,"axG",@progbits,_ZN7rocprim17ROCPRIM_400000_NS6detail17trampoline_kernelINS0_14default_configENS1_25partition_config_selectorILNS1_17partition_subalgoE9EllbEEZZNS1_14partition_implILS5_9ELb0ES3_jPlS8_PNS0_10empty_typeENS0_5tupleIJS8_S9_EEENSB_IJS8_SA_EEENS0_18inequality_wrapperIZN2at6native12_GLOBAL__N_124unique_dim_cuda_templateIaEESt5tupleIJNSF_6TensorESK_SK_EERKSK_lbbbEUlllE0_EEPmJS9_EEE10hipError_tPvRmT3_T4_T5_T6_T7_T9_mT8_P12ihipStream_tbDpT10_ENKUlT_T0_E_clISt17integral_constantIbLb0EES1A_EEDaS15_S16_EUlS15_E_NS1_11comp_targetILNS1_3genE3ELNS1_11target_archE908ELNS1_3gpuE7ELNS1_3repE0EEENS1_30default_config_static_selectorELNS0_4arch9wavefront6targetE1EEEvT1_,comdat
.Lfunc_end356:
	.size	_ZN7rocprim17ROCPRIM_400000_NS6detail17trampoline_kernelINS0_14default_configENS1_25partition_config_selectorILNS1_17partition_subalgoE9EllbEEZZNS1_14partition_implILS5_9ELb0ES3_jPlS8_PNS0_10empty_typeENS0_5tupleIJS8_S9_EEENSB_IJS8_SA_EEENS0_18inequality_wrapperIZN2at6native12_GLOBAL__N_124unique_dim_cuda_templateIaEESt5tupleIJNSF_6TensorESK_SK_EERKSK_lbbbEUlllE0_EEPmJS9_EEE10hipError_tPvRmT3_T4_T5_T6_T7_T9_mT8_P12ihipStream_tbDpT10_ENKUlT_T0_E_clISt17integral_constantIbLb0EES1A_EEDaS15_S16_EUlS15_E_NS1_11comp_targetILNS1_3genE3ELNS1_11target_archE908ELNS1_3gpuE7ELNS1_3repE0EEENS1_30default_config_static_selectorELNS0_4arch9wavefront6targetE1EEEvT1_, .Lfunc_end356-_ZN7rocprim17ROCPRIM_400000_NS6detail17trampoline_kernelINS0_14default_configENS1_25partition_config_selectorILNS1_17partition_subalgoE9EllbEEZZNS1_14partition_implILS5_9ELb0ES3_jPlS8_PNS0_10empty_typeENS0_5tupleIJS8_S9_EEENSB_IJS8_SA_EEENS0_18inequality_wrapperIZN2at6native12_GLOBAL__N_124unique_dim_cuda_templateIaEESt5tupleIJNSF_6TensorESK_SK_EERKSK_lbbbEUlllE0_EEPmJS9_EEE10hipError_tPvRmT3_T4_T5_T6_T7_T9_mT8_P12ihipStream_tbDpT10_ENKUlT_T0_E_clISt17integral_constantIbLb0EES1A_EEDaS15_S16_EUlS15_E_NS1_11comp_targetILNS1_3genE3ELNS1_11target_archE908ELNS1_3gpuE7ELNS1_3repE0EEENS1_30default_config_static_selectorELNS0_4arch9wavefront6targetE1EEEvT1_
                                        ; -- End function
	.section	.AMDGPU.csdata,"",@progbits
; Kernel info:
; codeLenInByte = 0
; NumSgprs: 6
; NumVgprs: 0
; NumAgprs: 0
; TotalNumVgprs: 0
; ScratchSize: 0
; MemoryBound: 0
; FloatMode: 240
; IeeeMode: 1
; LDSByteSize: 0 bytes/workgroup (compile time only)
; SGPRBlocks: 0
; VGPRBlocks: 0
; NumSGPRsForWavesPerEU: 6
; NumVGPRsForWavesPerEU: 1
; AccumOffset: 4
; Occupancy: 8
; WaveLimiterHint : 0
; COMPUTE_PGM_RSRC2:SCRATCH_EN: 0
; COMPUTE_PGM_RSRC2:USER_SGPR: 2
; COMPUTE_PGM_RSRC2:TRAP_HANDLER: 0
; COMPUTE_PGM_RSRC2:TGID_X_EN: 1
; COMPUTE_PGM_RSRC2:TGID_Y_EN: 0
; COMPUTE_PGM_RSRC2:TGID_Z_EN: 0
; COMPUTE_PGM_RSRC2:TIDIG_COMP_CNT: 0
; COMPUTE_PGM_RSRC3_GFX90A:ACCUM_OFFSET: 0
; COMPUTE_PGM_RSRC3_GFX90A:TG_SPLIT: 0
	.section	.text._ZN7rocprim17ROCPRIM_400000_NS6detail17trampoline_kernelINS0_14default_configENS1_25partition_config_selectorILNS1_17partition_subalgoE9EllbEEZZNS1_14partition_implILS5_9ELb0ES3_jPlS8_PNS0_10empty_typeENS0_5tupleIJS8_S9_EEENSB_IJS8_SA_EEENS0_18inequality_wrapperIZN2at6native12_GLOBAL__N_124unique_dim_cuda_templateIaEESt5tupleIJNSF_6TensorESK_SK_EERKSK_lbbbEUlllE0_EEPmJS9_EEE10hipError_tPvRmT3_T4_T5_T6_T7_T9_mT8_P12ihipStream_tbDpT10_ENKUlT_T0_E_clISt17integral_constantIbLb0EES1A_EEDaS15_S16_EUlS15_E_NS1_11comp_targetILNS1_3genE2ELNS1_11target_archE906ELNS1_3gpuE6ELNS1_3repE0EEENS1_30default_config_static_selectorELNS0_4arch9wavefront6targetE1EEEvT1_,"axG",@progbits,_ZN7rocprim17ROCPRIM_400000_NS6detail17trampoline_kernelINS0_14default_configENS1_25partition_config_selectorILNS1_17partition_subalgoE9EllbEEZZNS1_14partition_implILS5_9ELb0ES3_jPlS8_PNS0_10empty_typeENS0_5tupleIJS8_S9_EEENSB_IJS8_SA_EEENS0_18inequality_wrapperIZN2at6native12_GLOBAL__N_124unique_dim_cuda_templateIaEESt5tupleIJNSF_6TensorESK_SK_EERKSK_lbbbEUlllE0_EEPmJS9_EEE10hipError_tPvRmT3_T4_T5_T6_T7_T9_mT8_P12ihipStream_tbDpT10_ENKUlT_T0_E_clISt17integral_constantIbLb0EES1A_EEDaS15_S16_EUlS15_E_NS1_11comp_targetILNS1_3genE2ELNS1_11target_archE906ELNS1_3gpuE6ELNS1_3repE0EEENS1_30default_config_static_selectorELNS0_4arch9wavefront6targetE1EEEvT1_,comdat
	.globl	_ZN7rocprim17ROCPRIM_400000_NS6detail17trampoline_kernelINS0_14default_configENS1_25partition_config_selectorILNS1_17partition_subalgoE9EllbEEZZNS1_14partition_implILS5_9ELb0ES3_jPlS8_PNS0_10empty_typeENS0_5tupleIJS8_S9_EEENSB_IJS8_SA_EEENS0_18inequality_wrapperIZN2at6native12_GLOBAL__N_124unique_dim_cuda_templateIaEESt5tupleIJNSF_6TensorESK_SK_EERKSK_lbbbEUlllE0_EEPmJS9_EEE10hipError_tPvRmT3_T4_T5_T6_T7_T9_mT8_P12ihipStream_tbDpT10_ENKUlT_T0_E_clISt17integral_constantIbLb0EES1A_EEDaS15_S16_EUlS15_E_NS1_11comp_targetILNS1_3genE2ELNS1_11target_archE906ELNS1_3gpuE6ELNS1_3repE0EEENS1_30default_config_static_selectorELNS0_4arch9wavefront6targetE1EEEvT1_ ; -- Begin function _ZN7rocprim17ROCPRIM_400000_NS6detail17trampoline_kernelINS0_14default_configENS1_25partition_config_selectorILNS1_17partition_subalgoE9EllbEEZZNS1_14partition_implILS5_9ELb0ES3_jPlS8_PNS0_10empty_typeENS0_5tupleIJS8_S9_EEENSB_IJS8_SA_EEENS0_18inequality_wrapperIZN2at6native12_GLOBAL__N_124unique_dim_cuda_templateIaEESt5tupleIJNSF_6TensorESK_SK_EERKSK_lbbbEUlllE0_EEPmJS9_EEE10hipError_tPvRmT3_T4_T5_T6_T7_T9_mT8_P12ihipStream_tbDpT10_ENKUlT_T0_E_clISt17integral_constantIbLb0EES1A_EEDaS15_S16_EUlS15_E_NS1_11comp_targetILNS1_3genE2ELNS1_11target_archE906ELNS1_3gpuE6ELNS1_3repE0EEENS1_30default_config_static_selectorELNS0_4arch9wavefront6targetE1EEEvT1_
	.p2align	8
	.type	_ZN7rocprim17ROCPRIM_400000_NS6detail17trampoline_kernelINS0_14default_configENS1_25partition_config_selectorILNS1_17partition_subalgoE9EllbEEZZNS1_14partition_implILS5_9ELb0ES3_jPlS8_PNS0_10empty_typeENS0_5tupleIJS8_S9_EEENSB_IJS8_SA_EEENS0_18inequality_wrapperIZN2at6native12_GLOBAL__N_124unique_dim_cuda_templateIaEESt5tupleIJNSF_6TensorESK_SK_EERKSK_lbbbEUlllE0_EEPmJS9_EEE10hipError_tPvRmT3_T4_T5_T6_T7_T9_mT8_P12ihipStream_tbDpT10_ENKUlT_T0_E_clISt17integral_constantIbLb0EES1A_EEDaS15_S16_EUlS15_E_NS1_11comp_targetILNS1_3genE2ELNS1_11target_archE906ELNS1_3gpuE6ELNS1_3repE0EEENS1_30default_config_static_selectorELNS0_4arch9wavefront6targetE1EEEvT1_,@function
_ZN7rocprim17ROCPRIM_400000_NS6detail17trampoline_kernelINS0_14default_configENS1_25partition_config_selectorILNS1_17partition_subalgoE9EllbEEZZNS1_14partition_implILS5_9ELb0ES3_jPlS8_PNS0_10empty_typeENS0_5tupleIJS8_S9_EEENSB_IJS8_SA_EEENS0_18inequality_wrapperIZN2at6native12_GLOBAL__N_124unique_dim_cuda_templateIaEESt5tupleIJNSF_6TensorESK_SK_EERKSK_lbbbEUlllE0_EEPmJS9_EEE10hipError_tPvRmT3_T4_T5_T6_T7_T9_mT8_P12ihipStream_tbDpT10_ENKUlT_T0_E_clISt17integral_constantIbLb0EES1A_EEDaS15_S16_EUlS15_E_NS1_11comp_targetILNS1_3genE2ELNS1_11target_archE906ELNS1_3gpuE6ELNS1_3repE0EEENS1_30default_config_static_selectorELNS0_4arch9wavefront6targetE1EEEvT1_: ; @_ZN7rocprim17ROCPRIM_400000_NS6detail17trampoline_kernelINS0_14default_configENS1_25partition_config_selectorILNS1_17partition_subalgoE9EllbEEZZNS1_14partition_implILS5_9ELb0ES3_jPlS8_PNS0_10empty_typeENS0_5tupleIJS8_S9_EEENSB_IJS8_SA_EEENS0_18inequality_wrapperIZN2at6native12_GLOBAL__N_124unique_dim_cuda_templateIaEESt5tupleIJNSF_6TensorESK_SK_EERKSK_lbbbEUlllE0_EEPmJS9_EEE10hipError_tPvRmT3_T4_T5_T6_T7_T9_mT8_P12ihipStream_tbDpT10_ENKUlT_T0_E_clISt17integral_constantIbLb0EES1A_EEDaS15_S16_EUlS15_E_NS1_11comp_targetILNS1_3genE2ELNS1_11target_archE906ELNS1_3gpuE6ELNS1_3repE0EEENS1_30default_config_static_selectorELNS0_4arch9wavefront6targetE1EEEvT1_
; %bb.0:
	.section	.rodata,"a",@progbits
	.p2align	6, 0x0
	.amdhsa_kernel _ZN7rocprim17ROCPRIM_400000_NS6detail17trampoline_kernelINS0_14default_configENS1_25partition_config_selectorILNS1_17partition_subalgoE9EllbEEZZNS1_14partition_implILS5_9ELb0ES3_jPlS8_PNS0_10empty_typeENS0_5tupleIJS8_S9_EEENSB_IJS8_SA_EEENS0_18inequality_wrapperIZN2at6native12_GLOBAL__N_124unique_dim_cuda_templateIaEESt5tupleIJNSF_6TensorESK_SK_EERKSK_lbbbEUlllE0_EEPmJS9_EEE10hipError_tPvRmT3_T4_T5_T6_T7_T9_mT8_P12ihipStream_tbDpT10_ENKUlT_T0_E_clISt17integral_constantIbLb0EES1A_EEDaS15_S16_EUlS15_E_NS1_11comp_targetILNS1_3genE2ELNS1_11target_archE906ELNS1_3gpuE6ELNS1_3repE0EEENS1_30default_config_static_selectorELNS0_4arch9wavefront6targetE1EEEvT1_
		.amdhsa_group_segment_fixed_size 0
		.amdhsa_private_segment_fixed_size 0
		.amdhsa_kernarg_size 120
		.amdhsa_user_sgpr_count 2
		.amdhsa_user_sgpr_dispatch_ptr 0
		.amdhsa_user_sgpr_queue_ptr 0
		.amdhsa_user_sgpr_kernarg_segment_ptr 1
		.amdhsa_user_sgpr_dispatch_id 0
		.amdhsa_user_sgpr_kernarg_preload_length 0
		.amdhsa_user_sgpr_kernarg_preload_offset 0
		.amdhsa_user_sgpr_private_segment_size 0
		.amdhsa_uses_dynamic_stack 0
		.amdhsa_enable_private_segment 0
		.amdhsa_system_sgpr_workgroup_id_x 1
		.amdhsa_system_sgpr_workgroup_id_y 0
		.amdhsa_system_sgpr_workgroup_id_z 0
		.amdhsa_system_sgpr_workgroup_info 0
		.amdhsa_system_vgpr_workitem_id 0
		.amdhsa_next_free_vgpr 1
		.amdhsa_next_free_sgpr 0
		.amdhsa_accum_offset 4
		.amdhsa_reserve_vcc 0
		.amdhsa_float_round_mode_32 0
		.amdhsa_float_round_mode_16_64 0
		.amdhsa_float_denorm_mode_32 3
		.amdhsa_float_denorm_mode_16_64 3
		.amdhsa_dx10_clamp 1
		.amdhsa_ieee_mode 1
		.amdhsa_fp16_overflow 0
		.amdhsa_tg_split 0
		.amdhsa_exception_fp_ieee_invalid_op 0
		.amdhsa_exception_fp_denorm_src 0
		.amdhsa_exception_fp_ieee_div_zero 0
		.amdhsa_exception_fp_ieee_overflow 0
		.amdhsa_exception_fp_ieee_underflow 0
		.amdhsa_exception_fp_ieee_inexact 0
		.amdhsa_exception_int_div_zero 0
	.end_amdhsa_kernel
	.section	.text._ZN7rocprim17ROCPRIM_400000_NS6detail17trampoline_kernelINS0_14default_configENS1_25partition_config_selectorILNS1_17partition_subalgoE9EllbEEZZNS1_14partition_implILS5_9ELb0ES3_jPlS8_PNS0_10empty_typeENS0_5tupleIJS8_S9_EEENSB_IJS8_SA_EEENS0_18inequality_wrapperIZN2at6native12_GLOBAL__N_124unique_dim_cuda_templateIaEESt5tupleIJNSF_6TensorESK_SK_EERKSK_lbbbEUlllE0_EEPmJS9_EEE10hipError_tPvRmT3_T4_T5_T6_T7_T9_mT8_P12ihipStream_tbDpT10_ENKUlT_T0_E_clISt17integral_constantIbLb0EES1A_EEDaS15_S16_EUlS15_E_NS1_11comp_targetILNS1_3genE2ELNS1_11target_archE906ELNS1_3gpuE6ELNS1_3repE0EEENS1_30default_config_static_selectorELNS0_4arch9wavefront6targetE1EEEvT1_,"axG",@progbits,_ZN7rocprim17ROCPRIM_400000_NS6detail17trampoline_kernelINS0_14default_configENS1_25partition_config_selectorILNS1_17partition_subalgoE9EllbEEZZNS1_14partition_implILS5_9ELb0ES3_jPlS8_PNS0_10empty_typeENS0_5tupleIJS8_S9_EEENSB_IJS8_SA_EEENS0_18inequality_wrapperIZN2at6native12_GLOBAL__N_124unique_dim_cuda_templateIaEESt5tupleIJNSF_6TensorESK_SK_EERKSK_lbbbEUlllE0_EEPmJS9_EEE10hipError_tPvRmT3_T4_T5_T6_T7_T9_mT8_P12ihipStream_tbDpT10_ENKUlT_T0_E_clISt17integral_constantIbLb0EES1A_EEDaS15_S16_EUlS15_E_NS1_11comp_targetILNS1_3genE2ELNS1_11target_archE906ELNS1_3gpuE6ELNS1_3repE0EEENS1_30default_config_static_selectorELNS0_4arch9wavefront6targetE1EEEvT1_,comdat
.Lfunc_end357:
	.size	_ZN7rocprim17ROCPRIM_400000_NS6detail17trampoline_kernelINS0_14default_configENS1_25partition_config_selectorILNS1_17partition_subalgoE9EllbEEZZNS1_14partition_implILS5_9ELb0ES3_jPlS8_PNS0_10empty_typeENS0_5tupleIJS8_S9_EEENSB_IJS8_SA_EEENS0_18inequality_wrapperIZN2at6native12_GLOBAL__N_124unique_dim_cuda_templateIaEESt5tupleIJNSF_6TensorESK_SK_EERKSK_lbbbEUlllE0_EEPmJS9_EEE10hipError_tPvRmT3_T4_T5_T6_T7_T9_mT8_P12ihipStream_tbDpT10_ENKUlT_T0_E_clISt17integral_constantIbLb0EES1A_EEDaS15_S16_EUlS15_E_NS1_11comp_targetILNS1_3genE2ELNS1_11target_archE906ELNS1_3gpuE6ELNS1_3repE0EEENS1_30default_config_static_selectorELNS0_4arch9wavefront6targetE1EEEvT1_, .Lfunc_end357-_ZN7rocprim17ROCPRIM_400000_NS6detail17trampoline_kernelINS0_14default_configENS1_25partition_config_selectorILNS1_17partition_subalgoE9EllbEEZZNS1_14partition_implILS5_9ELb0ES3_jPlS8_PNS0_10empty_typeENS0_5tupleIJS8_S9_EEENSB_IJS8_SA_EEENS0_18inequality_wrapperIZN2at6native12_GLOBAL__N_124unique_dim_cuda_templateIaEESt5tupleIJNSF_6TensorESK_SK_EERKSK_lbbbEUlllE0_EEPmJS9_EEE10hipError_tPvRmT3_T4_T5_T6_T7_T9_mT8_P12ihipStream_tbDpT10_ENKUlT_T0_E_clISt17integral_constantIbLb0EES1A_EEDaS15_S16_EUlS15_E_NS1_11comp_targetILNS1_3genE2ELNS1_11target_archE906ELNS1_3gpuE6ELNS1_3repE0EEENS1_30default_config_static_selectorELNS0_4arch9wavefront6targetE1EEEvT1_
                                        ; -- End function
	.section	.AMDGPU.csdata,"",@progbits
; Kernel info:
; codeLenInByte = 0
; NumSgprs: 6
; NumVgprs: 0
; NumAgprs: 0
; TotalNumVgprs: 0
; ScratchSize: 0
; MemoryBound: 0
; FloatMode: 240
; IeeeMode: 1
; LDSByteSize: 0 bytes/workgroup (compile time only)
; SGPRBlocks: 0
; VGPRBlocks: 0
; NumSGPRsForWavesPerEU: 6
; NumVGPRsForWavesPerEU: 1
; AccumOffset: 4
; Occupancy: 8
; WaveLimiterHint : 0
; COMPUTE_PGM_RSRC2:SCRATCH_EN: 0
; COMPUTE_PGM_RSRC2:USER_SGPR: 2
; COMPUTE_PGM_RSRC2:TRAP_HANDLER: 0
; COMPUTE_PGM_RSRC2:TGID_X_EN: 1
; COMPUTE_PGM_RSRC2:TGID_Y_EN: 0
; COMPUTE_PGM_RSRC2:TGID_Z_EN: 0
; COMPUTE_PGM_RSRC2:TIDIG_COMP_CNT: 0
; COMPUTE_PGM_RSRC3_GFX90A:ACCUM_OFFSET: 0
; COMPUTE_PGM_RSRC3_GFX90A:TG_SPLIT: 0
	.section	.text._ZN7rocprim17ROCPRIM_400000_NS6detail17trampoline_kernelINS0_14default_configENS1_25partition_config_selectorILNS1_17partition_subalgoE9EllbEEZZNS1_14partition_implILS5_9ELb0ES3_jPlS8_PNS0_10empty_typeENS0_5tupleIJS8_S9_EEENSB_IJS8_SA_EEENS0_18inequality_wrapperIZN2at6native12_GLOBAL__N_124unique_dim_cuda_templateIaEESt5tupleIJNSF_6TensorESK_SK_EERKSK_lbbbEUlllE0_EEPmJS9_EEE10hipError_tPvRmT3_T4_T5_T6_T7_T9_mT8_P12ihipStream_tbDpT10_ENKUlT_T0_E_clISt17integral_constantIbLb0EES1A_EEDaS15_S16_EUlS15_E_NS1_11comp_targetILNS1_3genE10ELNS1_11target_archE1200ELNS1_3gpuE4ELNS1_3repE0EEENS1_30default_config_static_selectorELNS0_4arch9wavefront6targetE1EEEvT1_,"axG",@progbits,_ZN7rocprim17ROCPRIM_400000_NS6detail17trampoline_kernelINS0_14default_configENS1_25partition_config_selectorILNS1_17partition_subalgoE9EllbEEZZNS1_14partition_implILS5_9ELb0ES3_jPlS8_PNS0_10empty_typeENS0_5tupleIJS8_S9_EEENSB_IJS8_SA_EEENS0_18inequality_wrapperIZN2at6native12_GLOBAL__N_124unique_dim_cuda_templateIaEESt5tupleIJNSF_6TensorESK_SK_EERKSK_lbbbEUlllE0_EEPmJS9_EEE10hipError_tPvRmT3_T4_T5_T6_T7_T9_mT8_P12ihipStream_tbDpT10_ENKUlT_T0_E_clISt17integral_constantIbLb0EES1A_EEDaS15_S16_EUlS15_E_NS1_11comp_targetILNS1_3genE10ELNS1_11target_archE1200ELNS1_3gpuE4ELNS1_3repE0EEENS1_30default_config_static_selectorELNS0_4arch9wavefront6targetE1EEEvT1_,comdat
	.globl	_ZN7rocprim17ROCPRIM_400000_NS6detail17trampoline_kernelINS0_14default_configENS1_25partition_config_selectorILNS1_17partition_subalgoE9EllbEEZZNS1_14partition_implILS5_9ELb0ES3_jPlS8_PNS0_10empty_typeENS0_5tupleIJS8_S9_EEENSB_IJS8_SA_EEENS0_18inequality_wrapperIZN2at6native12_GLOBAL__N_124unique_dim_cuda_templateIaEESt5tupleIJNSF_6TensorESK_SK_EERKSK_lbbbEUlllE0_EEPmJS9_EEE10hipError_tPvRmT3_T4_T5_T6_T7_T9_mT8_P12ihipStream_tbDpT10_ENKUlT_T0_E_clISt17integral_constantIbLb0EES1A_EEDaS15_S16_EUlS15_E_NS1_11comp_targetILNS1_3genE10ELNS1_11target_archE1200ELNS1_3gpuE4ELNS1_3repE0EEENS1_30default_config_static_selectorELNS0_4arch9wavefront6targetE1EEEvT1_ ; -- Begin function _ZN7rocprim17ROCPRIM_400000_NS6detail17trampoline_kernelINS0_14default_configENS1_25partition_config_selectorILNS1_17partition_subalgoE9EllbEEZZNS1_14partition_implILS5_9ELb0ES3_jPlS8_PNS0_10empty_typeENS0_5tupleIJS8_S9_EEENSB_IJS8_SA_EEENS0_18inequality_wrapperIZN2at6native12_GLOBAL__N_124unique_dim_cuda_templateIaEESt5tupleIJNSF_6TensorESK_SK_EERKSK_lbbbEUlllE0_EEPmJS9_EEE10hipError_tPvRmT3_T4_T5_T6_T7_T9_mT8_P12ihipStream_tbDpT10_ENKUlT_T0_E_clISt17integral_constantIbLb0EES1A_EEDaS15_S16_EUlS15_E_NS1_11comp_targetILNS1_3genE10ELNS1_11target_archE1200ELNS1_3gpuE4ELNS1_3repE0EEENS1_30default_config_static_selectorELNS0_4arch9wavefront6targetE1EEEvT1_
	.p2align	8
	.type	_ZN7rocprim17ROCPRIM_400000_NS6detail17trampoline_kernelINS0_14default_configENS1_25partition_config_selectorILNS1_17partition_subalgoE9EllbEEZZNS1_14partition_implILS5_9ELb0ES3_jPlS8_PNS0_10empty_typeENS0_5tupleIJS8_S9_EEENSB_IJS8_SA_EEENS0_18inequality_wrapperIZN2at6native12_GLOBAL__N_124unique_dim_cuda_templateIaEESt5tupleIJNSF_6TensorESK_SK_EERKSK_lbbbEUlllE0_EEPmJS9_EEE10hipError_tPvRmT3_T4_T5_T6_T7_T9_mT8_P12ihipStream_tbDpT10_ENKUlT_T0_E_clISt17integral_constantIbLb0EES1A_EEDaS15_S16_EUlS15_E_NS1_11comp_targetILNS1_3genE10ELNS1_11target_archE1200ELNS1_3gpuE4ELNS1_3repE0EEENS1_30default_config_static_selectorELNS0_4arch9wavefront6targetE1EEEvT1_,@function
_ZN7rocprim17ROCPRIM_400000_NS6detail17trampoline_kernelINS0_14default_configENS1_25partition_config_selectorILNS1_17partition_subalgoE9EllbEEZZNS1_14partition_implILS5_9ELb0ES3_jPlS8_PNS0_10empty_typeENS0_5tupleIJS8_S9_EEENSB_IJS8_SA_EEENS0_18inequality_wrapperIZN2at6native12_GLOBAL__N_124unique_dim_cuda_templateIaEESt5tupleIJNSF_6TensorESK_SK_EERKSK_lbbbEUlllE0_EEPmJS9_EEE10hipError_tPvRmT3_T4_T5_T6_T7_T9_mT8_P12ihipStream_tbDpT10_ENKUlT_T0_E_clISt17integral_constantIbLb0EES1A_EEDaS15_S16_EUlS15_E_NS1_11comp_targetILNS1_3genE10ELNS1_11target_archE1200ELNS1_3gpuE4ELNS1_3repE0EEENS1_30default_config_static_selectorELNS0_4arch9wavefront6targetE1EEEvT1_: ; @_ZN7rocprim17ROCPRIM_400000_NS6detail17trampoline_kernelINS0_14default_configENS1_25partition_config_selectorILNS1_17partition_subalgoE9EllbEEZZNS1_14partition_implILS5_9ELb0ES3_jPlS8_PNS0_10empty_typeENS0_5tupleIJS8_S9_EEENSB_IJS8_SA_EEENS0_18inequality_wrapperIZN2at6native12_GLOBAL__N_124unique_dim_cuda_templateIaEESt5tupleIJNSF_6TensorESK_SK_EERKSK_lbbbEUlllE0_EEPmJS9_EEE10hipError_tPvRmT3_T4_T5_T6_T7_T9_mT8_P12ihipStream_tbDpT10_ENKUlT_T0_E_clISt17integral_constantIbLb0EES1A_EEDaS15_S16_EUlS15_E_NS1_11comp_targetILNS1_3genE10ELNS1_11target_archE1200ELNS1_3gpuE4ELNS1_3repE0EEENS1_30default_config_static_selectorELNS0_4arch9wavefront6targetE1EEEvT1_
; %bb.0:
	.section	.rodata,"a",@progbits
	.p2align	6, 0x0
	.amdhsa_kernel _ZN7rocprim17ROCPRIM_400000_NS6detail17trampoline_kernelINS0_14default_configENS1_25partition_config_selectorILNS1_17partition_subalgoE9EllbEEZZNS1_14partition_implILS5_9ELb0ES3_jPlS8_PNS0_10empty_typeENS0_5tupleIJS8_S9_EEENSB_IJS8_SA_EEENS0_18inequality_wrapperIZN2at6native12_GLOBAL__N_124unique_dim_cuda_templateIaEESt5tupleIJNSF_6TensorESK_SK_EERKSK_lbbbEUlllE0_EEPmJS9_EEE10hipError_tPvRmT3_T4_T5_T6_T7_T9_mT8_P12ihipStream_tbDpT10_ENKUlT_T0_E_clISt17integral_constantIbLb0EES1A_EEDaS15_S16_EUlS15_E_NS1_11comp_targetILNS1_3genE10ELNS1_11target_archE1200ELNS1_3gpuE4ELNS1_3repE0EEENS1_30default_config_static_selectorELNS0_4arch9wavefront6targetE1EEEvT1_
		.amdhsa_group_segment_fixed_size 0
		.amdhsa_private_segment_fixed_size 0
		.amdhsa_kernarg_size 120
		.amdhsa_user_sgpr_count 2
		.amdhsa_user_sgpr_dispatch_ptr 0
		.amdhsa_user_sgpr_queue_ptr 0
		.amdhsa_user_sgpr_kernarg_segment_ptr 1
		.amdhsa_user_sgpr_dispatch_id 0
		.amdhsa_user_sgpr_kernarg_preload_length 0
		.amdhsa_user_sgpr_kernarg_preload_offset 0
		.amdhsa_user_sgpr_private_segment_size 0
		.amdhsa_uses_dynamic_stack 0
		.amdhsa_enable_private_segment 0
		.amdhsa_system_sgpr_workgroup_id_x 1
		.amdhsa_system_sgpr_workgroup_id_y 0
		.amdhsa_system_sgpr_workgroup_id_z 0
		.amdhsa_system_sgpr_workgroup_info 0
		.amdhsa_system_vgpr_workitem_id 0
		.amdhsa_next_free_vgpr 1
		.amdhsa_next_free_sgpr 0
		.amdhsa_accum_offset 4
		.amdhsa_reserve_vcc 0
		.amdhsa_float_round_mode_32 0
		.amdhsa_float_round_mode_16_64 0
		.amdhsa_float_denorm_mode_32 3
		.amdhsa_float_denorm_mode_16_64 3
		.amdhsa_dx10_clamp 1
		.amdhsa_ieee_mode 1
		.amdhsa_fp16_overflow 0
		.amdhsa_tg_split 0
		.amdhsa_exception_fp_ieee_invalid_op 0
		.amdhsa_exception_fp_denorm_src 0
		.amdhsa_exception_fp_ieee_div_zero 0
		.amdhsa_exception_fp_ieee_overflow 0
		.amdhsa_exception_fp_ieee_underflow 0
		.amdhsa_exception_fp_ieee_inexact 0
		.amdhsa_exception_int_div_zero 0
	.end_amdhsa_kernel
	.section	.text._ZN7rocprim17ROCPRIM_400000_NS6detail17trampoline_kernelINS0_14default_configENS1_25partition_config_selectorILNS1_17partition_subalgoE9EllbEEZZNS1_14partition_implILS5_9ELb0ES3_jPlS8_PNS0_10empty_typeENS0_5tupleIJS8_S9_EEENSB_IJS8_SA_EEENS0_18inequality_wrapperIZN2at6native12_GLOBAL__N_124unique_dim_cuda_templateIaEESt5tupleIJNSF_6TensorESK_SK_EERKSK_lbbbEUlllE0_EEPmJS9_EEE10hipError_tPvRmT3_T4_T5_T6_T7_T9_mT8_P12ihipStream_tbDpT10_ENKUlT_T0_E_clISt17integral_constantIbLb0EES1A_EEDaS15_S16_EUlS15_E_NS1_11comp_targetILNS1_3genE10ELNS1_11target_archE1200ELNS1_3gpuE4ELNS1_3repE0EEENS1_30default_config_static_selectorELNS0_4arch9wavefront6targetE1EEEvT1_,"axG",@progbits,_ZN7rocprim17ROCPRIM_400000_NS6detail17trampoline_kernelINS0_14default_configENS1_25partition_config_selectorILNS1_17partition_subalgoE9EllbEEZZNS1_14partition_implILS5_9ELb0ES3_jPlS8_PNS0_10empty_typeENS0_5tupleIJS8_S9_EEENSB_IJS8_SA_EEENS0_18inequality_wrapperIZN2at6native12_GLOBAL__N_124unique_dim_cuda_templateIaEESt5tupleIJNSF_6TensorESK_SK_EERKSK_lbbbEUlllE0_EEPmJS9_EEE10hipError_tPvRmT3_T4_T5_T6_T7_T9_mT8_P12ihipStream_tbDpT10_ENKUlT_T0_E_clISt17integral_constantIbLb0EES1A_EEDaS15_S16_EUlS15_E_NS1_11comp_targetILNS1_3genE10ELNS1_11target_archE1200ELNS1_3gpuE4ELNS1_3repE0EEENS1_30default_config_static_selectorELNS0_4arch9wavefront6targetE1EEEvT1_,comdat
.Lfunc_end358:
	.size	_ZN7rocprim17ROCPRIM_400000_NS6detail17trampoline_kernelINS0_14default_configENS1_25partition_config_selectorILNS1_17partition_subalgoE9EllbEEZZNS1_14partition_implILS5_9ELb0ES3_jPlS8_PNS0_10empty_typeENS0_5tupleIJS8_S9_EEENSB_IJS8_SA_EEENS0_18inequality_wrapperIZN2at6native12_GLOBAL__N_124unique_dim_cuda_templateIaEESt5tupleIJNSF_6TensorESK_SK_EERKSK_lbbbEUlllE0_EEPmJS9_EEE10hipError_tPvRmT3_T4_T5_T6_T7_T9_mT8_P12ihipStream_tbDpT10_ENKUlT_T0_E_clISt17integral_constantIbLb0EES1A_EEDaS15_S16_EUlS15_E_NS1_11comp_targetILNS1_3genE10ELNS1_11target_archE1200ELNS1_3gpuE4ELNS1_3repE0EEENS1_30default_config_static_selectorELNS0_4arch9wavefront6targetE1EEEvT1_, .Lfunc_end358-_ZN7rocprim17ROCPRIM_400000_NS6detail17trampoline_kernelINS0_14default_configENS1_25partition_config_selectorILNS1_17partition_subalgoE9EllbEEZZNS1_14partition_implILS5_9ELb0ES3_jPlS8_PNS0_10empty_typeENS0_5tupleIJS8_S9_EEENSB_IJS8_SA_EEENS0_18inequality_wrapperIZN2at6native12_GLOBAL__N_124unique_dim_cuda_templateIaEESt5tupleIJNSF_6TensorESK_SK_EERKSK_lbbbEUlllE0_EEPmJS9_EEE10hipError_tPvRmT3_T4_T5_T6_T7_T9_mT8_P12ihipStream_tbDpT10_ENKUlT_T0_E_clISt17integral_constantIbLb0EES1A_EEDaS15_S16_EUlS15_E_NS1_11comp_targetILNS1_3genE10ELNS1_11target_archE1200ELNS1_3gpuE4ELNS1_3repE0EEENS1_30default_config_static_selectorELNS0_4arch9wavefront6targetE1EEEvT1_
                                        ; -- End function
	.section	.AMDGPU.csdata,"",@progbits
; Kernel info:
; codeLenInByte = 0
; NumSgprs: 6
; NumVgprs: 0
; NumAgprs: 0
; TotalNumVgprs: 0
; ScratchSize: 0
; MemoryBound: 0
; FloatMode: 240
; IeeeMode: 1
; LDSByteSize: 0 bytes/workgroup (compile time only)
; SGPRBlocks: 0
; VGPRBlocks: 0
; NumSGPRsForWavesPerEU: 6
; NumVGPRsForWavesPerEU: 1
; AccumOffset: 4
; Occupancy: 8
; WaveLimiterHint : 0
; COMPUTE_PGM_RSRC2:SCRATCH_EN: 0
; COMPUTE_PGM_RSRC2:USER_SGPR: 2
; COMPUTE_PGM_RSRC2:TRAP_HANDLER: 0
; COMPUTE_PGM_RSRC2:TGID_X_EN: 1
; COMPUTE_PGM_RSRC2:TGID_Y_EN: 0
; COMPUTE_PGM_RSRC2:TGID_Z_EN: 0
; COMPUTE_PGM_RSRC2:TIDIG_COMP_CNT: 0
; COMPUTE_PGM_RSRC3_GFX90A:ACCUM_OFFSET: 0
; COMPUTE_PGM_RSRC3_GFX90A:TG_SPLIT: 0
	.section	.text._ZN7rocprim17ROCPRIM_400000_NS6detail17trampoline_kernelINS0_14default_configENS1_25partition_config_selectorILNS1_17partition_subalgoE9EllbEEZZNS1_14partition_implILS5_9ELb0ES3_jPlS8_PNS0_10empty_typeENS0_5tupleIJS8_S9_EEENSB_IJS8_SA_EEENS0_18inequality_wrapperIZN2at6native12_GLOBAL__N_124unique_dim_cuda_templateIaEESt5tupleIJNSF_6TensorESK_SK_EERKSK_lbbbEUlllE0_EEPmJS9_EEE10hipError_tPvRmT3_T4_T5_T6_T7_T9_mT8_P12ihipStream_tbDpT10_ENKUlT_T0_E_clISt17integral_constantIbLb0EES1A_EEDaS15_S16_EUlS15_E_NS1_11comp_targetILNS1_3genE9ELNS1_11target_archE1100ELNS1_3gpuE3ELNS1_3repE0EEENS1_30default_config_static_selectorELNS0_4arch9wavefront6targetE1EEEvT1_,"axG",@progbits,_ZN7rocprim17ROCPRIM_400000_NS6detail17trampoline_kernelINS0_14default_configENS1_25partition_config_selectorILNS1_17partition_subalgoE9EllbEEZZNS1_14partition_implILS5_9ELb0ES3_jPlS8_PNS0_10empty_typeENS0_5tupleIJS8_S9_EEENSB_IJS8_SA_EEENS0_18inequality_wrapperIZN2at6native12_GLOBAL__N_124unique_dim_cuda_templateIaEESt5tupleIJNSF_6TensorESK_SK_EERKSK_lbbbEUlllE0_EEPmJS9_EEE10hipError_tPvRmT3_T4_T5_T6_T7_T9_mT8_P12ihipStream_tbDpT10_ENKUlT_T0_E_clISt17integral_constantIbLb0EES1A_EEDaS15_S16_EUlS15_E_NS1_11comp_targetILNS1_3genE9ELNS1_11target_archE1100ELNS1_3gpuE3ELNS1_3repE0EEENS1_30default_config_static_selectorELNS0_4arch9wavefront6targetE1EEEvT1_,comdat
	.globl	_ZN7rocprim17ROCPRIM_400000_NS6detail17trampoline_kernelINS0_14default_configENS1_25partition_config_selectorILNS1_17partition_subalgoE9EllbEEZZNS1_14partition_implILS5_9ELb0ES3_jPlS8_PNS0_10empty_typeENS0_5tupleIJS8_S9_EEENSB_IJS8_SA_EEENS0_18inequality_wrapperIZN2at6native12_GLOBAL__N_124unique_dim_cuda_templateIaEESt5tupleIJNSF_6TensorESK_SK_EERKSK_lbbbEUlllE0_EEPmJS9_EEE10hipError_tPvRmT3_T4_T5_T6_T7_T9_mT8_P12ihipStream_tbDpT10_ENKUlT_T0_E_clISt17integral_constantIbLb0EES1A_EEDaS15_S16_EUlS15_E_NS1_11comp_targetILNS1_3genE9ELNS1_11target_archE1100ELNS1_3gpuE3ELNS1_3repE0EEENS1_30default_config_static_selectorELNS0_4arch9wavefront6targetE1EEEvT1_ ; -- Begin function _ZN7rocprim17ROCPRIM_400000_NS6detail17trampoline_kernelINS0_14default_configENS1_25partition_config_selectorILNS1_17partition_subalgoE9EllbEEZZNS1_14partition_implILS5_9ELb0ES3_jPlS8_PNS0_10empty_typeENS0_5tupleIJS8_S9_EEENSB_IJS8_SA_EEENS0_18inequality_wrapperIZN2at6native12_GLOBAL__N_124unique_dim_cuda_templateIaEESt5tupleIJNSF_6TensorESK_SK_EERKSK_lbbbEUlllE0_EEPmJS9_EEE10hipError_tPvRmT3_T4_T5_T6_T7_T9_mT8_P12ihipStream_tbDpT10_ENKUlT_T0_E_clISt17integral_constantIbLb0EES1A_EEDaS15_S16_EUlS15_E_NS1_11comp_targetILNS1_3genE9ELNS1_11target_archE1100ELNS1_3gpuE3ELNS1_3repE0EEENS1_30default_config_static_selectorELNS0_4arch9wavefront6targetE1EEEvT1_
	.p2align	8
	.type	_ZN7rocprim17ROCPRIM_400000_NS6detail17trampoline_kernelINS0_14default_configENS1_25partition_config_selectorILNS1_17partition_subalgoE9EllbEEZZNS1_14partition_implILS5_9ELb0ES3_jPlS8_PNS0_10empty_typeENS0_5tupleIJS8_S9_EEENSB_IJS8_SA_EEENS0_18inequality_wrapperIZN2at6native12_GLOBAL__N_124unique_dim_cuda_templateIaEESt5tupleIJNSF_6TensorESK_SK_EERKSK_lbbbEUlllE0_EEPmJS9_EEE10hipError_tPvRmT3_T4_T5_T6_T7_T9_mT8_P12ihipStream_tbDpT10_ENKUlT_T0_E_clISt17integral_constantIbLb0EES1A_EEDaS15_S16_EUlS15_E_NS1_11comp_targetILNS1_3genE9ELNS1_11target_archE1100ELNS1_3gpuE3ELNS1_3repE0EEENS1_30default_config_static_selectorELNS0_4arch9wavefront6targetE1EEEvT1_,@function
_ZN7rocprim17ROCPRIM_400000_NS6detail17trampoline_kernelINS0_14default_configENS1_25partition_config_selectorILNS1_17partition_subalgoE9EllbEEZZNS1_14partition_implILS5_9ELb0ES3_jPlS8_PNS0_10empty_typeENS0_5tupleIJS8_S9_EEENSB_IJS8_SA_EEENS0_18inequality_wrapperIZN2at6native12_GLOBAL__N_124unique_dim_cuda_templateIaEESt5tupleIJNSF_6TensorESK_SK_EERKSK_lbbbEUlllE0_EEPmJS9_EEE10hipError_tPvRmT3_T4_T5_T6_T7_T9_mT8_P12ihipStream_tbDpT10_ENKUlT_T0_E_clISt17integral_constantIbLb0EES1A_EEDaS15_S16_EUlS15_E_NS1_11comp_targetILNS1_3genE9ELNS1_11target_archE1100ELNS1_3gpuE3ELNS1_3repE0EEENS1_30default_config_static_selectorELNS0_4arch9wavefront6targetE1EEEvT1_: ; @_ZN7rocprim17ROCPRIM_400000_NS6detail17trampoline_kernelINS0_14default_configENS1_25partition_config_selectorILNS1_17partition_subalgoE9EllbEEZZNS1_14partition_implILS5_9ELb0ES3_jPlS8_PNS0_10empty_typeENS0_5tupleIJS8_S9_EEENSB_IJS8_SA_EEENS0_18inequality_wrapperIZN2at6native12_GLOBAL__N_124unique_dim_cuda_templateIaEESt5tupleIJNSF_6TensorESK_SK_EERKSK_lbbbEUlllE0_EEPmJS9_EEE10hipError_tPvRmT3_T4_T5_T6_T7_T9_mT8_P12ihipStream_tbDpT10_ENKUlT_T0_E_clISt17integral_constantIbLb0EES1A_EEDaS15_S16_EUlS15_E_NS1_11comp_targetILNS1_3genE9ELNS1_11target_archE1100ELNS1_3gpuE3ELNS1_3repE0EEENS1_30default_config_static_selectorELNS0_4arch9wavefront6targetE1EEEvT1_
; %bb.0:
	.section	.rodata,"a",@progbits
	.p2align	6, 0x0
	.amdhsa_kernel _ZN7rocprim17ROCPRIM_400000_NS6detail17trampoline_kernelINS0_14default_configENS1_25partition_config_selectorILNS1_17partition_subalgoE9EllbEEZZNS1_14partition_implILS5_9ELb0ES3_jPlS8_PNS0_10empty_typeENS0_5tupleIJS8_S9_EEENSB_IJS8_SA_EEENS0_18inequality_wrapperIZN2at6native12_GLOBAL__N_124unique_dim_cuda_templateIaEESt5tupleIJNSF_6TensorESK_SK_EERKSK_lbbbEUlllE0_EEPmJS9_EEE10hipError_tPvRmT3_T4_T5_T6_T7_T9_mT8_P12ihipStream_tbDpT10_ENKUlT_T0_E_clISt17integral_constantIbLb0EES1A_EEDaS15_S16_EUlS15_E_NS1_11comp_targetILNS1_3genE9ELNS1_11target_archE1100ELNS1_3gpuE3ELNS1_3repE0EEENS1_30default_config_static_selectorELNS0_4arch9wavefront6targetE1EEEvT1_
		.amdhsa_group_segment_fixed_size 0
		.amdhsa_private_segment_fixed_size 0
		.amdhsa_kernarg_size 120
		.amdhsa_user_sgpr_count 2
		.amdhsa_user_sgpr_dispatch_ptr 0
		.amdhsa_user_sgpr_queue_ptr 0
		.amdhsa_user_sgpr_kernarg_segment_ptr 1
		.amdhsa_user_sgpr_dispatch_id 0
		.amdhsa_user_sgpr_kernarg_preload_length 0
		.amdhsa_user_sgpr_kernarg_preload_offset 0
		.amdhsa_user_sgpr_private_segment_size 0
		.amdhsa_uses_dynamic_stack 0
		.amdhsa_enable_private_segment 0
		.amdhsa_system_sgpr_workgroup_id_x 1
		.amdhsa_system_sgpr_workgroup_id_y 0
		.amdhsa_system_sgpr_workgroup_id_z 0
		.amdhsa_system_sgpr_workgroup_info 0
		.amdhsa_system_vgpr_workitem_id 0
		.amdhsa_next_free_vgpr 1
		.amdhsa_next_free_sgpr 0
		.amdhsa_accum_offset 4
		.amdhsa_reserve_vcc 0
		.amdhsa_float_round_mode_32 0
		.amdhsa_float_round_mode_16_64 0
		.amdhsa_float_denorm_mode_32 3
		.amdhsa_float_denorm_mode_16_64 3
		.amdhsa_dx10_clamp 1
		.amdhsa_ieee_mode 1
		.amdhsa_fp16_overflow 0
		.amdhsa_tg_split 0
		.amdhsa_exception_fp_ieee_invalid_op 0
		.amdhsa_exception_fp_denorm_src 0
		.amdhsa_exception_fp_ieee_div_zero 0
		.amdhsa_exception_fp_ieee_overflow 0
		.amdhsa_exception_fp_ieee_underflow 0
		.amdhsa_exception_fp_ieee_inexact 0
		.amdhsa_exception_int_div_zero 0
	.end_amdhsa_kernel
	.section	.text._ZN7rocprim17ROCPRIM_400000_NS6detail17trampoline_kernelINS0_14default_configENS1_25partition_config_selectorILNS1_17partition_subalgoE9EllbEEZZNS1_14partition_implILS5_9ELb0ES3_jPlS8_PNS0_10empty_typeENS0_5tupleIJS8_S9_EEENSB_IJS8_SA_EEENS0_18inequality_wrapperIZN2at6native12_GLOBAL__N_124unique_dim_cuda_templateIaEESt5tupleIJNSF_6TensorESK_SK_EERKSK_lbbbEUlllE0_EEPmJS9_EEE10hipError_tPvRmT3_T4_T5_T6_T7_T9_mT8_P12ihipStream_tbDpT10_ENKUlT_T0_E_clISt17integral_constantIbLb0EES1A_EEDaS15_S16_EUlS15_E_NS1_11comp_targetILNS1_3genE9ELNS1_11target_archE1100ELNS1_3gpuE3ELNS1_3repE0EEENS1_30default_config_static_selectorELNS0_4arch9wavefront6targetE1EEEvT1_,"axG",@progbits,_ZN7rocprim17ROCPRIM_400000_NS6detail17trampoline_kernelINS0_14default_configENS1_25partition_config_selectorILNS1_17partition_subalgoE9EllbEEZZNS1_14partition_implILS5_9ELb0ES3_jPlS8_PNS0_10empty_typeENS0_5tupleIJS8_S9_EEENSB_IJS8_SA_EEENS0_18inequality_wrapperIZN2at6native12_GLOBAL__N_124unique_dim_cuda_templateIaEESt5tupleIJNSF_6TensorESK_SK_EERKSK_lbbbEUlllE0_EEPmJS9_EEE10hipError_tPvRmT3_T4_T5_T6_T7_T9_mT8_P12ihipStream_tbDpT10_ENKUlT_T0_E_clISt17integral_constantIbLb0EES1A_EEDaS15_S16_EUlS15_E_NS1_11comp_targetILNS1_3genE9ELNS1_11target_archE1100ELNS1_3gpuE3ELNS1_3repE0EEENS1_30default_config_static_selectorELNS0_4arch9wavefront6targetE1EEEvT1_,comdat
.Lfunc_end359:
	.size	_ZN7rocprim17ROCPRIM_400000_NS6detail17trampoline_kernelINS0_14default_configENS1_25partition_config_selectorILNS1_17partition_subalgoE9EllbEEZZNS1_14partition_implILS5_9ELb0ES3_jPlS8_PNS0_10empty_typeENS0_5tupleIJS8_S9_EEENSB_IJS8_SA_EEENS0_18inequality_wrapperIZN2at6native12_GLOBAL__N_124unique_dim_cuda_templateIaEESt5tupleIJNSF_6TensorESK_SK_EERKSK_lbbbEUlllE0_EEPmJS9_EEE10hipError_tPvRmT3_T4_T5_T6_T7_T9_mT8_P12ihipStream_tbDpT10_ENKUlT_T0_E_clISt17integral_constantIbLb0EES1A_EEDaS15_S16_EUlS15_E_NS1_11comp_targetILNS1_3genE9ELNS1_11target_archE1100ELNS1_3gpuE3ELNS1_3repE0EEENS1_30default_config_static_selectorELNS0_4arch9wavefront6targetE1EEEvT1_, .Lfunc_end359-_ZN7rocprim17ROCPRIM_400000_NS6detail17trampoline_kernelINS0_14default_configENS1_25partition_config_selectorILNS1_17partition_subalgoE9EllbEEZZNS1_14partition_implILS5_9ELb0ES3_jPlS8_PNS0_10empty_typeENS0_5tupleIJS8_S9_EEENSB_IJS8_SA_EEENS0_18inequality_wrapperIZN2at6native12_GLOBAL__N_124unique_dim_cuda_templateIaEESt5tupleIJNSF_6TensorESK_SK_EERKSK_lbbbEUlllE0_EEPmJS9_EEE10hipError_tPvRmT3_T4_T5_T6_T7_T9_mT8_P12ihipStream_tbDpT10_ENKUlT_T0_E_clISt17integral_constantIbLb0EES1A_EEDaS15_S16_EUlS15_E_NS1_11comp_targetILNS1_3genE9ELNS1_11target_archE1100ELNS1_3gpuE3ELNS1_3repE0EEENS1_30default_config_static_selectorELNS0_4arch9wavefront6targetE1EEEvT1_
                                        ; -- End function
	.section	.AMDGPU.csdata,"",@progbits
; Kernel info:
; codeLenInByte = 0
; NumSgprs: 6
; NumVgprs: 0
; NumAgprs: 0
; TotalNumVgprs: 0
; ScratchSize: 0
; MemoryBound: 0
; FloatMode: 240
; IeeeMode: 1
; LDSByteSize: 0 bytes/workgroup (compile time only)
; SGPRBlocks: 0
; VGPRBlocks: 0
; NumSGPRsForWavesPerEU: 6
; NumVGPRsForWavesPerEU: 1
; AccumOffset: 4
; Occupancy: 8
; WaveLimiterHint : 0
; COMPUTE_PGM_RSRC2:SCRATCH_EN: 0
; COMPUTE_PGM_RSRC2:USER_SGPR: 2
; COMPUTE_PGM_RSRC2:TRAP_HANDLER: 0
; COMPUTE_PGM_RSRC2:TGID_X_EN: 1
; COMPUTE_PGM_RSRC2:TGID_Y_EN: 0
; COMPUTE_PGM_RSRC2:TGID_Z_EN: 0
; COMPUTE_PGM_RSRC2:TIDIG_COMP_CNT: 0
; COMPUTE_PGM_RSRC3_GFX90A:ACCUM_OFFSET: 0
; COMPUTE_PGM_RSRC3_GFX90A:TG_SPLIT: 0
	.section	.text._ZN7rocprim17ROCPRIM_400000_NS6detail17trampoline_kernelINS0_14default_configENS1_25partition_config_selectorILNS1_17partition_subalgoE9EllbEEZZNS1_14partition_implILS5_9ELb0ES3_jPlS8_PNS0_10empty_typeENS0_5tupleIJS8_S9_EEENSB_IJS8_SA_EEENS0_18inequality_wrapperIZN2at6native12_GLOBAL__N_124unique_dim_cuda_templateIaEESt5tupleIJNSF_6TensorESK_SK_EERKSK_lbbbEUlllE0_EEPmJS9_EEE10hipError_tPvRmT3_T4_T5_T6_T7_T9_mT8_P12ihipStream_tbDpT10_ENKUlT_T0_E_clISt17integral_constantIbLb0EES1A_EEDaS15_S16_EUlS15_E_NS1_11comp_targetILNS1_3genE8ELNS1_11target_archE1030ELNS1_3gpuE2ELNS1_3repE0EEENS1_30default_config_static_selectorELNS0_4arch9wavefront6targetE1EEEvT1_,"axG",@progbits,_ZN7rocprim17ROCPRIM_400000_NS6detail17trampoline_kernelINS0_14default_configENS1_25partition_config_selectorILNS1_17partition_subalgoE9EllbEEZZNS1_14partition_implILS5_9ELb0ES3_jPlS8_PNS0_10empty_typeENS0_5tupleIJS8_S9_EEENSB_IJS8_SA_EEENS0_18inequality_wrapperIZN2at6native12_GLOBAL__N_124unique_dim_cuda_templateIaEESt5tupleIJNSF_6TensorESK_SK_EERKSK_lbbbEUlllE0_EEPmJS9_EEE10hipError_tPvRmT3_T4_T5_T6_T7_T9_mT8_P12ihipStream_tbDpT10_ENKUlT_T0_E_clISt17integral_constantIbLb0EES1A_EEDaS15_S16_EUlS15_E_NS1_11comp_targetILNS1_3genE8ELNS1_11target_archE1030ELNS1_3gpuE2ELNS1_3repE0EEENS1_30default_config_static_selectorELNS0_4arch9wavefront6targetE1EEEvT1_,comdat
	.globl	_ZN7rocprim17ROCPRIM_400000_NS6detail17trampoline_kernelINS0_14default_configENS1_25partition_config_selectorILNS1_17partition_subalgoE9EllbEEZZNS1_14partition_implILS5_9ELb0ES3_jPlS8_PNS0_10empty_typeENS0_5tupleIJS8_S9_EEENSB_IJS8_SA_EEENS0_18inequality_wrapperIZN2at6native12_GLOBAL__N_124unique_dim_cuda_templateIaEESt5tupleIJNSF_6TensorESK_SK_EERKSK_lbbbEUlllE0_EEPmJS9_EEE10hipError_tPvRmT3_T4_T5_T6_T7_T9_mT8_P12ihipStream_tbDpT10_ENKUlT_T0_E_clISt17integral_constantIbLb0EES1A_EEDaS15_S16_EUlS15_E_NS1_11comp_targetILNS1_3genE8ELNS1_11target_archE1030ELNS1_3gpuE2ELNS1_3repE0EEENS1_30default_config_static_selectorELNS0_4arch9wavefront6targetE1EEEvT1_ ; -- Begin function _ZN7rocprim17ROCPRIM_400000_NS6detail17trampoline_kernelINS0_14default_configENS1_25partition_config_selectorILNS1_17partition_subalgoE9EllbEEZZNS1_14partition_implILS5_9ELb0ES3_jPlS8_PNS0_10empty_typeENS0_5tupleIJS8_S9_EEENSB_IJS8_SA_EEENS0_18inequality_wrapperIZN2at6native12_GLOBAL__N_124unique_dim_cuda_templateIaEESt5tupleIJNSF_6TensorESK_SK_EERKSK_lbbbEUlllE0_EEPmJS9_EEE10hipError_tPvRmT3_T4_T5_T6_T7_T9_mT8_P12ihipStream_tbDpT10_ENKUlT_T0_E_clISt17integral_constantIbLb0EES1A_EEDaS15_S16_EUlS15_E_NS1_11comp_targetILNS1_3genE8ELNS1_11target_archE1030ELNS1_3gpuE2ELNS1_3repE0EEENS1_30default_config_static_selectorELNS0_4arch9wavefront6targetE1EEEvT1_
	.p2align	8
	.type	_ZN7rocprim17ROCPRIM_400000_NS6detail17trampoline_kernelINS0_14default_configENS1_25partition_config_selectorILNS1_17partition_subalgoE9EllbEEZZNS1_14partition_implILS5_9ELb0ES3_jPlS8_PNS0_10empty_typeENS0_5tupleIJS8_S9_EEENSB_IJS8_SA_EEENS0_18inequality_wrapperIZN2at6native12_GLOBAL__N_124unique_dim_cuda_templateIaEESt5tupleIJNSF_6TensorESK_SK_EERKSK_lbbbEUlllE0_EEPmJS9_EEE10hipError_tPvRmT3_T4_T5_T6_T7_T9_mT8_P12ihipStream_tbDpT10_ENKUlT_T0_E_clISt17integral_constantIbLb0EES1A_EEDaS15_S16_EUlS15_E_NS1_11comp_targetILNS1_3genE8ELNS1_11target_archE1030ELNS1_3gpuE2ELNS1_3repE0EEENS1_30default_config_static_selectorELNS0_4arch9wavefront6targetE1EEEvT1_,@function
_ZN7rocprim17ROCPRIM_400000_NS6detail17trampoline_kernelINS0_14default_configENS1_25partition_config_selectorILNS1_17partition_subalgoE9EllbEEZZNS1_14partition_implILS5_9ELb0ES3_jPlS8_PNS0_10empty_typeENS0_5tupleIJS8_S9_EEENSB_IJS8_SA_EEENS0_18inequality_wrapperIZN2at6native12_GLOBAL__N_124unique_dim_cuda_templateIaEESt5tupleIJNSF_6TensorESK_SK_EERKSK_lbbbEUlllE0_EEPmJS9_EEE10hipError_tPvRmT3_T4_T5_T6_T7_T9_mT8_P12ihipStream_tbDpT10_ENKUlT_T0_E_clISt17integral_constantIbLb0EES1A_EEDaS15_S16_EUlS15_E_NS1_11comp_targetILNS1_3genE8ELNS1_11target_archE1030ELNS1_3gpuE2ELNS1_3repE0EEENS1_30default_config_static_selectorELNS0_4arch9wavefront6targetE1EEEvT1_: ; @_ZN7rocprim17ROCPRIM_400000_NS6detail17trampoline_kernelINS0_14default_configENS1_25partition_config_selectorILNS1_17partition_subalgoE9EllbEEZZNS1_14partition_implILS5_9ELb0ES3_jPlS8_PNS0_10empty_typeENS0_5tupleIJS8_S9_EEENSB_IJS8_SA_EEENS0_18inequality_wrapperIZN2at6native12_GLOBAL__N_124unique_dim_cuda_templateIaEESt5tupleIJNSF_6TensorESK_SK_EERKSK_lbbbEUlllE0_EEPmJS9_EEE10hipError_tPvRmT3_T4_T5_T6_T7_T9_mT8_P12ihipStream_tbDpT10_ENKUlT_T0_E_clISt17integral_constantIbLb0EES1A_EEDaS15_S16_EUlS15_E_NS1_11comp_targetILNS1_3genE8ELNS1_11target_archE1030ELNS1_3gpuE2ELNS1_3repE0EEENS1_30default_config_static_selectorELNS0_4arch9wavefront6targetE1EEEvT1_
; %bb.0:
	.section	.rodata,"a",@progbits
	.p2align	6, 0x0
	.amdhsa_kernel _ZN7rocprim17ROCPRIM_400000_NS6detail17trampoline_kernelINS0_14default_configENS1_25partition_config_selectorILNS1_17partition_subalgoE9EllbEEZZNS1_14partition_implILS5_9ELb0ES3_jPlS8_PNS0_10empty_typeENS0_5tupleIJS8_S9_EEENSB_IJS8_SA_EEENS0_18inequality_wrapperIZN2at6native12_GLOBAL__N_124unique_dim_cuda_templateIaEESt5tupleIJNSF_6TensorESK_SK_EERKSK_lbbbEUlllE0_EEPmJS9_EEE10hipError_tPvRmT3_T4_T5_T6_T7_T9_mT8_P12ihipStream_tbDpT10_ENKUlT_T0_E_clISt17integral_constantIbLb0EES1A_EEDaS15_S16_EUlS15_E_NS1_11comp_targetILNS1_3genE8ELNS1_11target_archE1030ELNS1_3gpuE2ELNS1_3repE0EEENS1_30default_config_static_selectorELNS0_4arch9wavefront6targetE1EEEvT1_
		.amdhsa_group_segment_fixed_size 0
		.amdhsa_private_segment_fixed_size 0
		.amdhsa_kernarg_size 120
		.amdhsa_user_sgpr_count 2
		.amdhsa_user_sgpr_dispatch_ptr 0
		.amdhsa_user_sgpr_queue_ptr 0
		.amdhsa_user_sgpr_kernarg_segment_ptr 1
		.amdhsa_user_sgpr_dispatch_id 0
		.amdhsa_user_sgpr_kernarg_preload_length 0
		.amdhsa_user_sgpr_kernarg_preload_offset 0
		.amdhsa_user_sgpr_private_segment_size 0
		.amdhsa_uses_dynamic_stack 0
		.amdhsa_enable_private_segment 0
		.amdhsa_system_sgpr_workgroup_id_x 1
		.amdhsa_system_sgpr_workgroup_id_y 0
		.amdhsa_system_sgpr_workgroup_id_z 0
		.amdhsa_system_sgpr_workgroup_info 0
		.amdhsa_system_vgpr_workitem_id 0
		.amdhsa_next_free_vgpr 1
		.amdhsa_next_free_sgpr 0
		.amdhsa_accum_offset 4
		.amdhsa_reserve_vcc 0
		.amdhsa_float_round_mode_32 0
		.amdhsa_float_round_mode_16_64 0
		.amdhsa_float_denorm_mode_32 3
		.amdhsa_float_denorm_mode_16_64 3
		.amdhsa_dx10_clamp 1
		.amdhsa_ieee_mode 1
		.amdhsa_fp16_overflow 0
		.amdhsa_tg_split 0
		.amdhsa_exception_fp_ieee_invalid_op 0
		.amdhsa_exception_fp_denorm_src 0
		.amdhsa_exception_fp_ieee_div_zero 0
		.amdhsa_exception_fp_ieee_overflow 0
		.amdhsa_exception_fp_ieee_underflow 0
		.amdhsa_exception_fp_ieee_inexact 0
		.amdhsa_exception_int_div_zero 0
	.end_amdhsa_kernel
	.section	.text._ZN7rocprim17ROCPRIM_400000_NS6detail17trampoline_kernelINS0_14default_configENS1_25partition_config_selectorILNS1_17partition_subalgoE9EllbEEZZNS1_14partition_implILS5_9ELb0ES3_jPlS8_PNS0_10empty_typeENS0_5tupleIJS8_S9_EEENSB_IJS8_SA_EEENS0_18inequality_wrapperIZN2at6native12_GLOBAL__N_124unique_dim_cuda_templateIaEESt5tupleIJNSF_6TensorESK_SK_EERKSK_lbbbEUlllE0_EEPmJS9_EEE10hipError_tPvRmT3_T4_T5_T6_T7_T9_mT8_P12ihipStream_tbDpT10_ENKUlT_T0_E_clISt17integral_constantIbLb0EES1A_EEDaS15_S16_EUlS15_E_NS1_11comp_targetILNS1_3genE8ELNS1_11target_archE1030ELNS1_3gpuE2ELNS1_3repE0EEENS1_30default_config_static_selectorELNS0_4arch9wavefront6targetE1EEEvT1_,"axG",@progbits,_ZN7rocprim17ROCPRIM_400000_NS6detail17trampoline_kernelINS0_14default_configENS1_25partition_config_selectorILNS1_17partition_subalgoE9EllbEEZZNS1_14partition_implILS5_9ELb0ES3_jPlS8_PNS0_10empty_typeENS0_5tupleIJS8_S9_EEENSB_IJS8_SA_EEENS0_18inequality_wrapperIZN2at6native12_GLOBAL__N_124unique_dim_cuda_templateIaEESt5tupleIJNSF_6TensorESK_SK_EERKSK_lbbbEUlllE0_EEPmJS9_EEE10hipError_tPvRmT3_T4_T5_T6_T7_T9_mT8_P12ihipStream_tbDpT10_ENKUlT_T0_E_clISt17integral_constantIbLb0EES1A_EEDaS15_S16_EUlS15_E_NS1_11comp_targetILNS1_3genE8ELNS1_11target_archE1030ELNS1_3gpuE2ELNS1_3repE0EEENS1_30default_config_static_selectorELNS0_4arch9wavefront6targetE1EEEvT1_,comdat
.Lfunc_end360:
	.size	_ZN7rocprim17ROCPRIM_400000_NS6detail17trampoline_kernelINS0_14default_configENS1_25partition_config_selectorILNS1_17partition_subalgoE9EllbEEZZNS1_14partition_implILS5_9ELb0ES3_jPlS8_PNS0_10empty_typeENS0_5tupleIJS8_S9_EEENSB_IJS8_SA_EEENS0_18inequality_wrapperIZN2at6native12_GLOBAL__N_124unique_dim_cuda_templateIaEESt5tupleIJNSF_6TensorESK_SK_EERKSK_lbbbEUlllE0_EEPmJS9_EEE10hipError_tPvRmT3_T4_T5_T6_T7_T9_mT8_P12ihipStream_tbDpT10_ENKUlT_T0_E_clISt17integral_constantIbLb0EES1A_EEDaS15_S16_EUlS15_E_NS1_11comp_targetILNS1_3genE8ELNS1_11target_archE1030ELNS1_3gpuE2ELNS1_3repE0EEENS1_30default_config_static_selectorELNS0_4arch9wavefront6targetE1EEEvT1_, .Lfunc_end360-_ZN7rocprim17ROCPRIM_400000_NS6detail17trampoline_kernelINS0_14default_configENS1_25partition_config_selectorILNS1_17partition_subalgoE9EllbEEZZNS1_14partition_implILS5_9ELb0ES3_jPlS8_PNS0_10empty_typeENS0_5tupleIJS8_S9_EEENSB_IJS8_SA_EEENS0_18inequality_wrapperIZN2at6native12_GLOBAL__N_124unique_dim_cuda_templateIaEESt5tupleIJNSF_6TensorESK_SK_EERKSK_lbbbEUlllE0_EEPmJS9_EEE10hipError_tPvRmT3_T4_T5_T6_T7_T9_mT8_P12ihipStream_tbDpT10_ENKUlT_T0_E_clISt17integral_constantIbLb0EES1A_EEDaS15_S16_EUlS15_E_NS1_11comp_targetILNS1_3genE8ELNS1_11target_archE1030ELNS1_3gpuE2ELNS1_3repE0EEENS1_30default_config_static_selectorELNS0_4arch9wavefront6targetE1EEEvT1_
                                        ; -- End function
	.section	.AMDGPU.csdata,"",@progbits
; Kernel info:
; codeLenInByte = 0
; NumSgprs: 6
; NumVgprs: 0
; NumAgprs: 0
; TotalNumVgprs: 0
; ScratchSize: 0
; MemoryBound: 0
; FloatMode: 240
; IeeeMode: 1
; LDSByteSize: 0 bytes/workgroup (compile time only)
; SGPRBlocks: 0
; VGPRBlocks: 0
; NumSGPRsForWavesPerEU: 6
; NumVGPRsForWavesPerEU: 1
; AccumOffset: 4
; Occupancy: 8
; WaveLimiterHint : 0
; COMPUTE_PGM_RSRC2:SCRATCH_EN: 0
; COMPUTE_PGM_RSRC2:USER_SGPR: 2
; COMPUTE_PGM_RSRC2:TRAP_HANDLER: 0
; COMPUTE_PGM_RSRC2:TGID_X_EN: 1
; COMPUTE_PGM_RSRC2:TGID_Y_EN: 0
; COMPUTE_PGM_RSRC2:TGID_Z_EN: 0
; COMPUTE_PGM_RSRC2:TIDIG_COMP_CNT: 0
; COMPUTE_PGM_RSRC3_GFX90A:ACCUM_OFFSET: 0
; COMPUTE_PGM_RSRC3_GFX90A:TG_SPLIT: 0
	.section	.text._ZN7rocprim17ROCPRIM_400000_NS6detail17trampoline_kernelINS0_14default_configENS1_25partition_config_selectorILNS1_17partition_subalgoE9EllbEEZZNS1_14partition_implILS5_9ELb0ES3_jPlS8_PNS0_10empty_typeENS0_5tupleIJS8_S9_EEENSB_IJS8_SA_EEENS0_18inequality_wrapperIZN2at6native12_GLOBAL__N_124unique_dim_cuda_templateIaEESt5tupleIJNSF_6TensorESK_SK_EERKSK_lbbbEUlllE0_EEPmJS9_EEE10hipError_tPvRmT3_T4_T5_T6_T7_T9_mT8_P12ihipStream_tbDpT10_ENKUlT_T0_E_clISt17integral_constantIbLb1EES1A_EEDaS15_S16_EUlS15_E_NS1_11comp_targetILNS1_3genE0ELNS1_11target_archE4294967295ELNS1_3gpuE0ELNS1_3repE0EEENS1_30default_config_static_selectorELNS0_4arch9wavefront6targetE1EEEvT1_,"axG",@progbits,_ZN7rocprim17ROCPRIM_400000_NS6detail17trampoline_kernelINS0_14default_configENS1_25partition_config_selectorILNS1_17partition_subalgoE9EllbEEZZNS1_14partition_implILS5_9ELb0ES3_jPlS8_PNS0_10empty_typeENS0_5tupleIJS8_S9_EEENSB_IJS8_SA_EEENS0_18inequality_wrapperIZN2at6native12_GLOBAL__N_124unique_dim_cuda_templateIaEESt5tupleIJNSF_6TensorESK_SK_EERKSK_lbbbEUlllE0_EEPmJS9_EEE10hipError_tPvRmT3_T4_T5_T6_T7_T9_mT8_P12ihipStream_tbDpT10_ENKUlT_T0_E_clISt17integral_constantIbLb1EES1A_EEDaS15_S16_EUlS15_E_NS1_11comp_targetILNS1_3genE0ELNS1_11target_archE4294967295ELNS1_3gpuE0ELNS1_3repE0EEENS1_30default_config_static_selectorELNS0_4arch9wavefront6targetE1EEEvT1_,comdat
	.globl	_ZN7rocprim17ROCPRIM_400000_NS6detail17trampoline_kernelINS0_14default_configENS1_25partition_config_selectorILNS1_17partition_subalgoE9EllbEEZZNS1_14partition_implILS5_9ELb0ES3_jPlS8_PNS0_10empty_typeENS0_5tupleIJS8_S9_EEENSB_IJS8_SA_EEENS0_18inequality_wrapperIZN2at6native12_GLOBAL__N_124unique_dim_cuda_templateIaEESt5tupleIJNSF_6TensorESK_SK_EERKSK_lbbbEUlllE0_EEPmJS9_EEE10hipError_tPvRmT3_T4_T5_T6_T7_T9_mT8_P12ihipStream_tbDpT10_ENKUlT_T0_E_clISt17integral_constantIbLb1EES1A_EEDaS15_S16_EUlS15_E_NS1_11comp_targetILNS1_3genE0ELNS1_11target_archE4294967295ELNS1_3gpuE0ELNS1_3repE0EEENS1_30default_config_static_selectorELNS0_4arch9wavefront6targetE1EEEvT1_ ; -- Begin function _ZN7rocprim17ROCPRIM_400000_NS6detail17trampoline_kernelINS0_14default_configENS1_25partition_config_selectorILNS1_17partition_subalgoE9EllbEEZZNS1_14partition_implILS5_9ELb0ES3_jPlS8_PNS0_10empty_typeENS0_5tupleIJS8_S9_EEENSB_IJS8_SA_EEENS0_18inequality_wrapperIZN2at6native12_GLOBAL__N_124unique_dim_cuda_templateIaEESt5tupleIJNSF_6TensorESK_SK_EERKSK_lbbbEUlllE0_EEPmJS9_EEE10hipError_tPvRmT3_T4_T5_T6_T7_T9_mT8_P12ihipStream_tbDpT10_ENKUlT_T0_E_clISt17integral_constantIbLb1EES1A_EEDaS15_S16_EUlS15_E_NS1_11comp_targetILNS1_3genE0ELNS1_11target_archE4294967295ELNS1_3gpuE0ELNS1_3repE0EEENS1_30default_config_static_selectorELNS0_4arch9wavefront6targetE1EEEvT1_
	.p2align	8
	.type	_ZN7rocprim17ROCPRIM_400000_NS6detail17trampoline_kernelINS0_14default_configENS1_25partition_config_selectorILNS1_17partition_subalgoE9EllbEEZZNS1_14partition_implILS5_9ELb0ES3_jPlS8_PNS0_10empty_typeENS0_5tupleIJS8_S9_EEENSB_IJS8_SA_EEENS0_18inequality_wrapperIZN2at6native12_GLOBAL__N_124unique_dim_cuda_templateIaEESt5tupleIJNSF_6TensorESK_SK_EERKSK_lbbbEUlllE0_EEPmJS9_EEE10hipError_tPvRmT3_T4_T5_T6_T7_T9_mT8_P12ihipStream_tbDpT10_ENKUlT_T0_E_clISt17integral_constantIbLb1EES1A_EEDaS15_S16_EUlS15_E_NS1_11comp_targetILNS1_3genE0ELNS1_11target_archE4294967295ELNS1_3gpuE0ELNS1_3repE0EEENS1_30default_config_static_selectorELNS0_4arch9wavefront6targetE1EEEvT1_,@function
_ZN7rocprim17ROCPRIM_400000_NS6detail17trampoline_kernelINS0_14default_configENS1_25partition_config_selectorILNS1_17partition_subalgoE9EllbEEZZNS1_14partition_implILS5_9ELb0ES3_jPlS8_PNS0_10empty_typeENS0_5tupleIJS8_S9_EEENSB_IJS8_SA_EEENS0_18inequality_wrapperIZN2at6native12_GLOBAL__N_124unique_dim_cuda_templateIaEESt5tupleIJNSF_6TensorESK_SK_EERKSK_lbbbEUlllE0_EEPmJS9_EEE10hipError_tPvRmT3_T4_T5_T6_T7_T9_mT8_P12ihipStream_tbDpT10_ENKUlT_T0_E_clISt17integral_constantIbLb1EES1A_EEDaS15_S16_EUlS15_E_NS1_11comp_targetILNS1_3genE0ELNS1_11target_archE4294967295ELNS1_3gpuE0ELNS1_3repE0EEENS1_30default_config_static_selectorELNS0_4arch9wavefront6targetE1EEEvT1_: ; @_ZN7rocprim17ROCPRIM_400000_NS6detail17trampoline_kernelINS0_14default_configENS1_25partition_config_selectorILNS1_17partition_subalgoE9EllbEEZZNS1_14partition_implILS5_9ELb0ES3_jPlS8_PNS0_10empty_typeENS0_5tupleIJS8_S9_EEENSB_IJS8_SA_EEENS0_18inequality_wrapperIZN2at6native12_GLOBAL__N_124unique_dim_cuda_templateIaEESt5tupleIJNSF_6TensorESK_SK_EERKSK_lbbbEUlllE0_EEPmJS9_EEE10hipError_tPvRmT3_T4_T5_T6_T7_T9_mT8_P12ihipStream_tbDpT10_ENKUlT_T0_E_clISt17integral_constantIbLb1EES1A_EEDaS15_S16_EUlS15_E_NS1_11comp_targetILNS1_3genE0ELNS1_11target_archE4294967295ELNS1_3gpuE0ELNS1_3repE0EEENS1_30default_config_static_selectorELNS0_4arch9wavefront6targetE1EEEvT1_
; %bb.0:
	.section	.rodata,"a",@progbits
	.p2align	6, 0x0
	.amdhsa_kernel _ZN7rocprim17ROCPRIM_400000_NS6detail17trampoline_kernelINS0_14default_configENS1_25partition_config_selectorILNS1_17partition_subalgoE9EllbEEZZNS1_14partition_implILS5_9ELb0ES3_jPlS8_PNS0_10empty_typeENS0_5tupleIJS8_S9_EEENSB_IJS8_SA_EEENS0_18inequality_wrapperIZN2at6native12_GLOBAL__N_124unique_dim_cuda_templateIaEESt5tupleIJNSF_6TensorESK_SK_EERKSK_lbbbEUlllE0_EEPmJS9_EEE10hipError_tPvRmT3_T4_T5_T6_T7_T9_mT8_P12ihipStream_tbDpT10_ENKUlT_T0_E_clISt17integral_constantIbLb1EES1A_EEDaS15_S16_EUlS15_E_NS1_11comp_targetILNS1_3genE0ELNS1_11target_archE4294967295ELNS1_3gpuE0ELNS1_3repE0EEENS1_30default_config_static_selectorELNS0_4arch9wavefront6targetE1EEEvT1_
		.amdhsa_group_segment_fixed_size 0
		.amdhsa_private_segment_fixed_size 0
		.amdhsa_kernarg_size 136
		.amdhsa_user_sgpr_count 2
		.amdhsa_user_sgpr_dispatch_ptr 0
		.amdhsa_user_sgpr_queue_ptr 0
		.amdhsa_user_sgpr_kernarg_segment_ptr 1
		.amdhsa_user_sgpr_dispatch_id 0
		.amdhsa_user_sgpr_kernarg_preload_length 0
		.amdhsa_user_sgpr_kernarg_preload_offset 0
		.amdhsa_user_sgpr_private_segment_size 0
		.amdhsa_uses_dynamic_stack 0
		.amdhsa_enable_private_segment 0
		.amdhsa_system_sgpr_workgroup_id_x 1
		.amdhsa_system_sgpr_workgroup_id_y 0
		.amdhsa_system_sgpr_workgroup_id_z 0
		.amdhsa_system_sgpr_workgroup_info 0
		.amdhsa_system_vgpr_workitem_id 0
		.amdhsa_next_free_vgpr 1
		.amdhsa_next_free_sgpr 0
		.amdhsa_accum_offset 4
		.amdhsa_reserve_vcc 0
		.amdhsa_float_round_mode_32 0
		.amdhsa_float_round_mode_16_64 0
		.amdhsa_float_denorm_mode_32 3
		.amdhsa_float_denorm_mode_16_64 3
		.amdhsa_dx10_clamp 1
		.amdhsa_ieee_mode 1
		.amdhsa_fp16_overflow 0
		.amdhsa_tg_split 0
		.amdhsa_exception_fp_ieee_invalid_op 0
		.amdhsa_exception_fp_denorm_src 0
		.amdhsa_exception_fp_ieee_div_zero 0
		.amdhsa_exception_fp_ieee_overflow 0
		.amdhsa_exception_fp_ieee_underflow 0
		.amdhsa_exception_fp_ieee_inexact 0
		.amdhsa_exception_int_div_zero 0
	.end_amdhsa_kernel
	.section	.text._ZN7rocprim17ROCPRIM_400000_NS6detail17trampoline_kernelINS0_14default_configENS1_25partition_config_selectorILNS1_17partition_subalgoE9EllbEEZZNS1_14partition_implILS5_9ELb0ES3_jPlS8_PNS0_10empty_typeENS0_5tupleIJS8_S9_EEENSB_IJS8_SA_EEENS0_18inequality_wrapperIZN2at6native12_GLOBAL__N_124unique_dim_cuda_templateIaEESt5tupleIJNSF_6TensorESK_SK_EERKSK_lbbbEUlllE0_EEPmJS9_EEE10hipError_tPvRmT3_T4_T5_T6_T7_T9_mT8_P12ihipStream_tbDpT10_ENKUlT_T0_E_clISt17integral_constantIbLb1EES1A_EEDaS15_S16_EUlS15_E_NS1_11comp_targetILNS1_3genE0ELNS1_11target_archE4294967295ELNS1_3gpuE0ELNS1_3repE0EEENS1_30default_config_static_selectorELNS0_4arch9wavefront6targetE1EEEvT1_,"axG",@progbits,_ZN7rocprim17ROCPRIM_400000_NS6detail17trampoline_kernelINS0_14default_configENS1_25partition_config_selectorILNS1_17partition_subalgoE9EllbEEZZNS1_14partition_implILS5_9ELb0ES3_jPlS8_PNS0_10empty_typeENS0_5tupleIJS8_S9_EEENSB_IJS8_SA_EEENS0_18inequality_wrapperIZN2at6native12_GLOBAL__N_124unique_dim_cuda_templateIaEESt5tupleIJNSF_6TensorESK_SK_EERKSK_lbbbEUlllE0_EEPmJS9_EEE10hipError_tPvRmT3_T4_T5_T6_T7_T9_mT8_P12ihipStream_tbDpT10_ENKUlT_T0_E_clISt17integral_constantIbLb1EES1A_EEDaS15_S16_EUlS15_E_NS1_11comp_targetILNS1_3genE0ELNS1_11target_archE4294967295ELNS1_3gpuE0ELNS1_3repE0EEENS1_30default_config_static_selectorELNS0_4arch9wavefront6targetE1EEEvT1_,comdat
.Lfunc_end361:
	.size	_ZN7rocprim17ROCPRIM_400000_NS6detail17trampoline_kernelINS0_14default_configENS1_25partition_config_selectorILNS1_17partition_subalgoE9EllbEEZZNS1_14partition_implILS5_9ELb0ES3_jPlS8_PNS0_10empty_typeENS0_5tupleIJS8_S9_EEENSB_IJS8_SA_EEENS0_18inequality_wrapperIZN2at6native12_GLOBAL__N_124unique_dim_cuda_templateIaEESt5tupleIJNSF_6TensorESK_SK_EERKSK_lbbbEUlllE0_EEPmJS9_EEE10hipError_tPvRmT3_T4_T5_T6_T7_T9_mT8_P12ihipStream_tbDpT10_ENKUlT_T0_E_clISt17integral_constantIbLb1EES1A_EEDaS15_S16_EUlS15_E_NS1_11comp_targetILNS1_3genE0ELNS1_11target_archE4294967295ELNS1_3gpuE0ELNS1_3repE0EEENS1_30default_config_static_selectorELNS0_4arch9wavefront6targetE1EEEvT1_, .Lfunc_end361-_ZN7rocprim17ROCPRIM_400000_NS6detail17trampoline_kernelINS0_14default_configENS1_25partition_config_selectorILNS1_17partition_subalgoE9EllbEEZZNS1_14partition_implILS5_9ELb0ES3_jPlS8_PNS0_10empty_typeENS0_5tupleIJS8_S9_EEENSB_IJS8_SA_EEENS0_18inequality_wrapperIZN2at6native12_GLOBAL__N_124unique_dim_cuda_templateIaEESt5tupleIJNSF_6TensorESK_SK_EERKSK_lbbbEUlllE0_EEPmJS9_EEE10hipError_tPvRmT3_T4_T5_T6_T7_T9_mT8_P12ihipStream_tbDpT10_ENKUlT_T0_E_clISt17integral_constantIbLb1EES1A_EEDaS15_S16_EUlS15_E_NS1_11comp_targetILNS1_3genE0ELNS1_11target_archE4294967295ELNS1_3gpuE0ELNS1_3repE0EEENS1_30default_config_static_selectorELNS0_4arch9wavefront6targetE1EEEvT1_
                                        ; -- End function
	.section	.AMDGPU.csdata,"",@progbits
; Kernel info:
; codeLenInByte = 0
; NumSgprs: 6
; NumVgprs: 0
; NumAgprs: 0
; TotalNumVgprs: 0
; ScratchSize: 0
; MemoryBound: 0
; FloatMode: 240
; IeeeMode: 1
; LDSByteSize: 0 bytes/workgroup (compile time only)
; SGPRBlocks: 0
; VGPRBlocks: 0
; NumSGPRsForWavesPerEU: 6
; NumVGPRsForWavesPerEU: 1
; AccumOffset: 4
; Occupancy: 8
; WaveLimiterHint : 0
; COMPUTE_PGM_RSRC2:SCRATCH_EN: 0
; COMPUTE_PGM_RSRC2:USER_SGPR: 2
; COMPUTE_PGM_RSRC2:TRAP_HANDLER: 0
; COMPUTE_PGM_RSRC2:TGID_X_EN: 1
; COMPUTE_PGM_RSRC2:TGID_Y_EN: 0
; COMPUTE_PGM_RSRC2:TGID_Z_EN: 0
; COMPUTE_PGM_RSRC2:TIDIG_COMP_CNT: 0
; COMPUTE_PGM_RSRC3_GFX90A:ACCUM_OFFSET: 0
; COMPUTE_PGM_RSRC3_GFX90A:TG_SPLIT: 0
	.section	.text._ZN7rocprim17ROCPRIM_400000_NS6detail17trampoline_kernelINS0_14default_configENS1_25partition_config_selectorILNS1_17partition_subalgoE9EllbEEZZNS1_14partition_implILS5_9ELb0ES3_jPlS8_PNS0_10empty_typeENS0_5tupleIJS8_S9_EEENSB_IJS8_SA_EEENS0_18inequality_wrapperIZN2at6native12_GLOBAL__N_124unique_dim_cuda_templateIaEESt5tupleIJNSF_6TensorESK_SK_EERKSK_lbbbEUlllE0_EEPmJS9_EEE10hipError_tPvRmT3_T4_T5_T6_T7_T9_mT8_P12ihipStream_tbDpT10_ENKUlT_T0_E_clISt17integral_constantIbLb1EES1A_EEDaS15_S16_EUlS15_E_NS1_11comp_targetILNS1_3genE5ELNS1_11target_archE942ELNS1_3gpuE9ELNS1_3repE0EEENS1_30default_config_static_selectorELNS0_4arch9wavefront6targetE1EEEvT1_,"axG",@progbits,_ZN7rocprim17ROCPRIM_400000_NS6detail17trampoline_kernelINS0_14default_configENS1_25partition_config_selectorILNS1_17partition_subalgoE9EllbEEZZNS1_14partition_implILS5_9ELb0ES3_jPlS8_PNS0_10empty_typeENS0_5tupleIJS8_S9_EEENSB_IJS8_SA_EEENS0_18inequality_wrapperIZN2at6native12_GLOBAL__N_124unique_dim_cuda_templateIaEESt5tupleIJNSF_6TensorESK_SK_EERKSK_lbbbEUlllE0_EEPmJS9_EEE10hipError_tPvRmT3_T4_T5_T6_T7_T9_mT8_P12ihipStream_tbDpT10_ENKUlT_T0_E_clISt17integral_constantIbLb1EES1A_EEDaS15_S16_EUlS15_E_NS1_11comp_targetILNS1_3genE5ELNS1_11target_archE942ELNS1_3gpuE9ELNS1_3repE0EEENS1_30default_config_static_selectorELNS0_4arch9wavefront6targetE1EEEvT1_,comdat
	.globl	_ZN7rocprim17ROCPRIM_400000_NS6detail17trampoline_kernelINS0_14default_configENS1_25partition_config_selectorILNS1_17partition_subalgoE9EllbEEZZNS1_14partition_implILS5_9ELb0ES3_jPlS8_PNS0_10empty_typeENS0_5tupleIJS8_S9_EEENSB_IJS8_SA_EEENS0_18inequality_wrapperIZN2at6native12_GLOBAL__N_124unique_dim_cuda_templateIaEESt5tupleIJNSF_6TensorESK_SK_EERKSK_lbbbEUlllE0_EEPmJS9_EEE10hipError_tPvRmT3_T4_T5_T6_T7_T9_mT8_P12ihipStream_tbDpT10_ENKUlT_T0_E_clISt17integral_constantIbLb1EES1A_EEDaS15_S16_EUlS15_E_NS1_11comp_targetILNS1_3genE5ELNS1_11target_archE942ELNS1_3gpuE9ELNS1_3repE0EEENS1_30default_config_static_selectorELNS0_4arch9wavefront6targetE1EEEvT1_ ; -- Begin function _ZN7rocprim17ROCPRIM_400000_NS6detail17trampoline_kernelINS0_14default_configENS1_25partition_config_selectorILNS1_17partition_subalgoE9EllbEEZZNS1_14partition_implILS5_9ELb0ES3_jPlS8_PNS0_10empty_typeENS0_5tupleIJS8_S9_EEENSB_IJS8_SA_EEENS0_18inequality_wrapperIZN2at6native12_GLOBAL__N_124unique_dim_cuda_templateIaEESt5tupleIJNSF_6TensorESK_SK_EERKSK_lbbbEUlllE0_EEPmJS9_EEE10hipError_tPvRmT3_T4_T5_T6_T7_T9_mT8_P12ihipStream_tbDpT10_ENKUlT_T0_E_clISt17integral_constantIbLb1EES1A_EEDaS15_S16_EUlS15_E_NS1_11comp_targetILNS1_3genE5ELNS1_11target_archE942ELNS1_3gpuE9ELNS1_3repE0EEENS1_30default_config_static_selectorELNS0_4arch9wavefront6targetE1EEEvT1_
	.p2align	8
	.type	_ZN7rocprim17ROCPRIM_400000_NS6detail17trampoline_kernelINS0_14default_configENS1_25partition_config_selectorILNS1_17partition_subalgoE9EllbEEZZNS1_14partition_implILS5_9ELb0ES3_jPlS8_PNS0_10empty_typeENS0_5tupleIJS8_S9_EEENSB_IJS8_SA_EEENS0_18inequality_wrapperIZN2at6native12_GLOBAL__N_124unique_dim_cuda_templateIaEESt5tupleIJNSF_6TensorESK_SK_EERKSK_lbbbEUlllE0_EEPmJS9_EEE10hipError_tPvRmT3_T4_T5_T6_T7_T9_mT8_P12ihipStream_tbDpT10_ENKUlT_T0_E_clISt17integral_constantIbLb1EES1A_EEDaS15_S16_EUlS15_E_NS1_11comp_targetILNS1_3genE5ELNS1_11target_archE942ELNS1_3gpuE9ELNS1_3repE0EEENS1_30default_config_static_selectorELNS0_4arch9wavefront6targetE1EEEvT1_,@function
_ZN7rocprim17ROCPRIM_400000_NS6detail17trampoline_kernelINS0_14default_configENS1_25partition_config_selectorILNS1_17partition_subalgoE9EllbEEZZNS1_14partition_implILS5_9ELb0ES3_jPlS8_PNS0_10empty_typeENS0_5tupleIJS8_S9_EEENSB_IJS8_SA_EEENS0_18inequality_wrapperIZN2at6native12_GLOBAL__N_124unique_dim_cuda_templateIaEESt5tupleIJNSF_6TensorESK_SK_EERKSK_lbbbEUlllE0_EEPmJS9_EEE10hipError_tPvRmT3_T4_T5_T6_T7_T9_mT8_P12ihipStream_tbDpT10_ENKUlT_T0_E_clISt17integral_constantIbLb1EES1A_EEDaS15_S16_EUlS15_E_NS1_11comp_targetILNS1_3genE5ELNS1_11target_archE942ELNS1_3gpuE9ELNS1_3repE0EEENS1_30default_config_static_selectorELNS0_4arch9wavefront6targetE1EEEvT1_: ; @_ZN7rocprim17ROCPRIM_400000_NS6detail17trampoline_kernelINS0_14default_configENS1_25partition_config_selectorILNS1_17partition_subalgoE9EllbEEZZNS1_14partition_implILS5_9ELb0ES3_jPlS8_PNS0_10empty_typeENS0_5tupleIJS8_S9_EEENSB_IJS8_SA_EEENS0_18inequality_wrapperIZN2at6native12_GLOBAL__N_124unique_dim_cuda_templateIaEESt5tupleIJNSF_6TensorESK_SK_EERKSK_lbbbEUlllE0_EEPmJS9_EEE10hipError_tPvRmT3_T4_T5_T6_T7_T9_mT8_P12ihipStream_tbDpT10_ENKUlT_T0_E_clISt17integral_constantIbLb1EES1A_EEDaS15_S16_EUlS15_E_NS1_11comp_targetILNS1_3genE5ELNS1_11target_archE942ELNS1_3gpuE9ELNS1_3repE0EEENS1_30default_config_static_selectorELNS0_4arch9wavefront6targetE1EEEvT1_
; %bb.0:
	s_load_dwordx4 s[4:7], s[0:1], 0x8
	s_load_dwordx2 s[10:11], s[0:1], 0x18
	s_load_dwordx8 s[20:27], s[0:1], 0x40
	s_load_dwordx4 s[36:39], s[0:1], 0x60
	v_cmp_ne_u32_e64 s[2:3], 0, v0
	v_cmp_eq_u32_e64 s[18:19], 0, v0
	s_and_saveexec_b64 s[8:9], s[18:19]
	s_cbranch_execz .LBB362_4
; %bb.1:
	s_mov_b64 s[14:15], exec
	v_mbcnt_lo_u32_b32 v1, s14, 0
	v_mbcnt_hi_u32_b32 v1, s15, v1
	v_cmp_eq_u32_e32 vcc, 0, v1
                                        ; implicit-def: $vgpr2
	s_and_saveexec_b64 s[12:13], vcc
	s_cbranch_execz .LBB362_3
; %bb.2:
	s_load_dwordx2 s[16:17], s[0:1], 0x78
	s_bcnt1_i32_b64 s14, s[14:15]
	v_mov_b32_e32 v2, 0
	v_mov_b32_e32 v3, s14
	s_waitcnt lgkmcnt(0)
	global_atomic_add v2, v2, v3, s[16:17] sc0
.LBB362_3:
	s_or_b64 exec, exec, s[12:13]
	s_waitcnt vmcnt(0)
	v_readfirstlane_b32 s12, v2
	v_mov_b32_e32 v2, 0
	s_nop 0
	v_add_u32_e32 v1, s12, v1
	ds_write_b32 v2, v1
.LBB362_4:
	s_or_b64 exec, exec, s[8:9]
	v_mov_b32_e32 v3, 0
	s_load_dwordx4 s[28:31], s[0:1], 0x28
	s_load_dword s8, s[0:1], 0x70
	s_waitcnt lgkmcnt(0)
	s_barrier
	ds_read_b32 v1, v3
	s_waitcnt lgkmcnt(0)
	s_barrier
	global_load_dwordx2 v[4:5], v3, s[22:23]
	s_lshl_b64 s[12:13], s[6:7], 3
	s_mul_i32 s14, s8, 0xe00
	s_add_u32 s16, s4, s12
	s_addc_u32 s17, s5, s13
	s_add_i32 s4, s14, s6
	s_sub_i32 s54, s24, s4
	s_add_i32 s15, s8, -1
	s_addk_i32 s54, 0xe00
	s_add_u32 s4, s6, s14
	v_readfirstlane_b32 s33, v1
	s_addc_u32 s5, s7, 0
	v_mov_b32_e32 v6, s24
	v_mov_b32_e32 v7, s25
	s_cmp_eq_u32 s33, s15
	s_mov_b32 s9, 0
	s_mul_i32 s8, s33, 0xe00
	v_cmp_ge_u64_e32 vcc, s[4:5], v[6:7]
	s_cselect_b64 s[24:25], -1, 0
	s_lshl_b64 s[14:15], s[8:9], 3
	s_and_b64 s[8:9], vcc, s[24:25]
	s_xor_b64 s[34:35], s[8:9], -1
	s_add_u32 s4, s16, s14
	s_mov_b64 s[0:1], -1
	s_addc_u32 s5, s17, s15
	s_and_b64 vcc, exec, s[34:35]
	s_waitcnt vmcnt(0)
	v_readfirstlane_b32 s22, v4
	v_readfirstlane_b32 s23, v5
	s_cbranch_vccz .LBB362_6
; %bb.5:
	v_lshlrev_b32_e32 v2, 3, v0
	v_lshl_add_u64 v[4:5], s[4:5], 0, v[2:3]
	v_add_co_u32_e32 v8, vcc, 0x1000, v4
	global_load_dwordx2 v[6:7], v2, s[4:5]
	s_nop 0
	v_addc_co_u32_e32 v9, vcc, 0, v5, vcc
	v_add_co_u32_e32 v10, vcc, 0x2000, v4
	s_mov_b64 s[0:1], 0
	s_nop 0
	v_addc_co_u32_e32 v11, vcc, 0, v5, vcc
	v_add_co_u32_e32 v12, vcc, 0x3000, v4
	s_nop 1
	v_addc_co_u32_e32 v13, vcc, 0, v5, vcc
	v_add_co_u32_e32 v14, vcc, 0x4000, v4
	s_nop 1
	v_addc_co_u32_e32 v15, vcc, 0, v5, vcc
	global_load_dwordx2 v[16:17], v[8:9], off
	global_load_dwordx2 v[18:19], v[10:11], off
	;; [unrolled: 1-line block ×4, first 2 shown]
	v_add_co_u32_e32 v8, vcc, 0x5000, v4
	s_nop 1
	v_addc_co_u32_e32 v9, vcc, 0, v5, vcc
	v_add_co_u32_e32 v4, vcc, 0x6000, v4
	global_load_dwordx2 v[8:9], v[8:9], off
	s_nop 0
	v_addc_co_u32_e32 v5, vcc, 0, v5, vcc
	global_load_dwordx2 v[4:5], v[4:5], off
	s_waitcnt vmcnt(5)
	ds_write2st64_b64 v2, v[6:7], v[16:17] offset1:8
	s_waitcnt vmcnt(3)
	ds_write2st64_b64 v2, v[18:19], v[20:21] offset0:16 offset1:24
	s_waitcnt vmcnt(1)
	ds_write2st64_b64 v2, v[22:23], v[8:9] offset0:32 offset1:40
	s_waitcnt vmcnt(0)
	ds_write_b64 v2, v[4:5] offset:24576
	s_waitcnt lgkmcnt(0)
	s_barrier
.LBB362_6:
	s_andn2_b64 vcc, exec, s[0:1]
	v_cmp_gt_u32_e64 s[0:1], s54, v0
	s_cbranch_vccnz .LBB362_22
; %bb.7:
                                        ; implicit-def: $vgpr2_vgpr3_vgpr4_vgpr5_vgpr6_vgpr7_vgpr8_vgpr9_vgpr10_vgpr11_vgpr12_vgpr13_vgpr14_vgpr15_vgpr16_vgpr17
	s_and_saveexec_b64 s[16:17], s[0:1]
	s_cbranch_execz .LBB362_9
; %bb.8:
	v_lshlrev_b32_e32 v1, 3, v0
	global_load_dwordx2 v[2:3], v1, s[4:5]
.LBB362_9:
	s_or_b64 exec, exec, s[16:17]
	v_or_b32_e32 v1, 0x200, v0
	v_cmp_gt_u32_e32 vcc, s54, v1
	s_and_saveexec_b64 s[0:1], vcc
	s_cbranch_execz .LBB362_11
; %bb.10:
	v_lshlrev_b32_e32 v1, 3, v1
	global_load_dwordx2 v[4:5], v1, s[4:5]
.LBB362_11:
	s_or_b64 exec, exec, s[0:1]
	v_or_b32_e32 v1, 0x400, v0
	v_cmp_gt_u32_e32 vcc, s54, v1
	s_and_saveexec_b64 s[0:1], vcc
	;; [unrolled: 9-line block ×6, first 2 shown]
	s_cbranch_execz .LBB362_21
; %bb.20:
	v_lshlrev_b32_e32 v1, 3, v1
	global_load_dwordx2 v[14:15], v1, s[4:5]
.LBB362_21:
	s_or_b64 exec, exec, s[0:1]
	v_lshlrev_b32_e32 v1, 3, v0
	s_waitcnt vmcnt(0)
	ds_write2st64_b64 v1, v[2:3], v[4:5] offset1:8
	ds_write2st64_b64 v1, v[6:7], v[8:9] offset0:16 offset1:24
	ds_write2st64_b64 v1, v[10:11], v[12:13] offset0:32 offset1:40
	ds_write_b64 v1, v[14:15] offset:24576
	s_waitcnt lgkmcnt(0)
	s_barrier
.LBB362_22:
	v_mul_u32_u24_e32 v1, 7, v0
	v_lshlrev_b32_e32 v44, 3, v1
	ds_read2_b64 v[22:25], v44 offset1:1
	ds_read2_b64 v[18:21], v44 offset0:2 offset1:3
	ds_read2_b64 v[14:17], v44 offset0:4 offset1:5
	ds_read_b64 v[28:29], v44 offset:48
	s_add_u32 s0, s10, s12
	s_addc_u32 s1, s11, s13
	s_add_u32 s0, s0, s14
	s_addc_u32 s1, s1, s15
	s_mov_b64 s[10:11], -1
	s_and_b64 vcc, exec, s[34:35]
	s_waitcnt lgkmcnt(0)
	s_barrier
	s_cbranch_vccz .LBB362_24
; %bb.23:
	v_lshlrev_b32_e32 v2, 3, v0
	v_mov_b32_e32 v3, 0
	v_lshl_add_u64 v[4:5], s[0:1], 0, v[2:3]
	v_add_co_u32_e32 v8, vcc, 0x1000, v4
	global_load_dwordx2 v[6:7], v2, s[0:1]
	s_nop 0
	v_addc_co_u32_e32 v9, vcc, 0, v5, vcc
	v_add_co_u32_e32 v10, vcc, 0x2000, v4
	s_mov_b64 s[10:11], 0
	s_nop 0
	v_addc_co_u32_e32 v11, vcc, 0, v5, vcc
	v_add_co_u32_e32 v12, vcc, 0x3000, v4
	s_nop 1
	v_addc_co_u32_e32 v13, vcc, 0, v5, vcc
	v_add_co_u32_e32 v26, vcc, 0x4000, v4
	s_nop 1
	v_addc_co_u32_e32 v27, vcc, 0, v5, vcc
	global_load_dwordx2 v[30:31], v[8:9], off
	global_load_dwordx2 v[32:33], v[10:11], off
	;; [unrolled: 1-line block ×4, first 2 shown]
	v_add_co_u32_e32 v8, vcc, 0x5000, v4
	s_nop 1
	v_addc_co_u32_e32 v9, vcc, 0, v5, vcc
	v_add_co_u32_e32 v4, vcc, 0x6000, v4
	global_load_dwordx2 v[8:9], v[8:9], off
	s_nop 0
	v_addc_co_u32_e32 v5, vcc, 0, v5, vcc
	global_load_dwordx2 v[4:5], v[4:5], off
	s_waitcnt vmcnt(5)
	ds_write2st64_b64 v2, v[6:7], v[30:31] offset1:8
	s_waitcnt vmcnt(3)
	ds_write2st64_b64 v2, v[32:33], v[34:35] offset0:16 offset1:24
	s_waitcnt vmcnt(1)
	ds_write2st64_b64 v2, v[36:37], v[8:9] offset0:32 offset1:40
	s_waitcnt vmcnt(0)
	ds_write_b64 v2, v[4:5] offset:24576
	s_waitcnt lgkmcnt(0)
	s_barrier
.LBB362_24:
	s_andn2_b64 vcc, exec, s[10:11]
	s_cbranch_vccnz .LBB362_40
; %bb.25:
	v_cmp_gt_u32_e32 vcc, s54, v0
                                        ; implicit-def: $vgpr2_vgpr3
	s_and_saveexec_b64 s[10:11], vcc
	s_cbranch_execz .LBB362_27
; %bb.26:
	v_lshlrev_b32_e32 v2, 3, v0
	global_load_dwordx2 v[2:3], v2, s[0:1]
.LBB362_27:
	s_or_b64 exec, exec, s[10:11]
	v_or_b32_e32 v6, 0x200, v0
	v_cmp_gt_u32_e32 vcc, s54, v6
                                        ; implicit-def: $vgpr4_vgpr5
	s_and_saveexec_b64 s[10:11], vcc
	s_cbranch_execz .LBB362_29
; %bb.28:
	v_lshlrev_b32_e32 v4, 3, v6
	global_load_dwordx2 v[4:5], v4, s[0:1]
.LBB362_29:
	s_or_b64 exec, exec, s[10:11]
	v_or_b32_e32 v8, 0x400, v0
	v_cmp_gt_u32_e32 vcc, s54, v8
                                        ; implicit-def: $vgpr6_vgpr7
	s_and_saveexec_b64 s[10:11], vcc
	s_cbranch_execz .LBB362_31
; %bb.30:
	v_lshlrev_b32_e32 v6, 3, v8
	global_load_dwordx2 v[6:7], v6, s[0:1]
.LBB362_31:
	s_or_b64 exec, exec, s[10:11]
	v_or_b32_e32 v10, 0x600, v0
	v_cmp_gt_u32_e32 vcc, s54, v10
                                        ; implicit-def: $vgpr8_vgpr9
	s_and_saveexec_b64 s[10:11], vcc
	s_cbranch_execz .LBB362_33
; %bb.32:
	v_lshlrev_b32_e32 v8, 3, v10
	global_load_dwordx2 v[8:9], v8, s[0:1]
.LBB362_33:
	s_or_b64 exec, exec, s[10:11]
	v_or_b32_e32 v12, 0x800, v0
	v_cmp_gt_u32_e32 vcc, s54, v12
                                        ; implicit-def: $vgpr10_vgpr11
	s_and_saveexec_b64 s[10:11], vcc
	s_cbranch_execz .LBB362_35
; %bb.34:
	v_lshlrev_b32_e32 v10, 3, v12
	global_load_dwordx2 v[10:11], v10, s[0:1]
.LBB362_35:
	s_or_b64 exec, exec, s[10:11]
	v_or_b32_e32 v26, 0xa00, v0
	v_cmp_gt_u32_e32 vcc, s54, v26
                                        ; implicit-def: $vgpr12_vgpr13
	s_and_saveexec_b64 s[10:11], vcc
	s_cbranch_execz .LBB362_37
; %bb.36:
	v_lshlrev_b32_e32 v12, 3, v26
	global_load_dwordx2 v[12:13], v12, s[0:1]
.LBB362_37:
	s_or_b64 exec, exec, s[10:11]
	v_or_b32_e32 v30, 0xc00, v0
	v_cmp_gt_u32_e32 vcc, s54, v30
                                        ; implicit-def: $vgpr26_vgpr27
	s_and_saveexec_b64 s[10:11], vcc
	s_cbranch_execz .LBB362_39
; %bb.38:
	v_lshlrev_b32_e32 v26, 3, v30
	global_load_dwordx2 v[26:27], v26, s[0:1]
.LBB362_39:
	s_or_b64 exec, exec, s[10:11]
	s_movk_i32 s0, 0xffd0
	v_mad_i32_i24 v30, v0, s0, v44
	s_waitcnt vmcnt(0)
	ds_write2st64_b64 v30, v[2:3], v[4:5] offset1:8
	ds_write2st64_b64 v30, v[6:7], v[8:9] offset0:16 offset1:24
	ds_write2st64_b64 v30, v[10:11], v[12:13] offset0:32 offset1:40
	ds_write_b64 v30, v[26:27] offset:24576
	s_waitcnt lgkmcnt(0)
	s_barrier
.LBB362_40:
	ds_read2_b64 v[10:13], v44 offset1:1
	ds_read2_b64 v[6:9], v44 offset0:2 offset1:3
	ds_read2_b64 v[2:5], v44 offset0:4 offset1:5
	ds_read_b64 v[26:27], v44 offset:48
	s_cmp_lg_u32 s33, 0
	s_cselect_b64 s[0:1], -1, 0
	s_cmp_lg_u64 s[6:7], 0
	s_cselect_b64 s[6:7], -1, 0
	s_or_b64 s[6:7], s[6:7], s[0:1]
	v_add_u32_e32 v41, 1, v1
	v_add_u32_e32 v38, 2, v1
	;; [unrolled: 1-line block ×6, first 2 shown]
	s_mov_b64 s[10:11], 0
	s_and_b64 vcc, exec, s[6:7]
	v_cmp_gt_i64_e64 s[12:13], s[26:27], 0
	s_waitcnt lgkmcnt(0)
	s_barrier
	s_cbranch_vccz .LBB362_49
; %bb.41:
	v_mov_b32_e32 v30, 0
	global_load_dwordx2 v[30:31], v30, s[4:5] offset:-8
	v_cndmask_b32_e64 v32, 0, 1, s[12:13]
	v_lshlrev_b32_e32 v45, 3, v0
	s_mov_b64 s[6:7], 0
	s_and_b64 vcc, exec, s[34:35]
	v_cmp_ne_u32_e64 s[4:5], 1, v32
	ds_write_b64 v45, v[28:29]
	s_cbranch_vccz .LBB362_51
; %bb.42:
	v_mul_lo_u32 v34, v17, s26
	v_mul_lo_u32 v35, v16, s27
	v_mad_u64_u32 v[32:33], s[10:11], v16, s26, 0
	v_add3_u32 v33, v33, v35, v34
	s_and_b64 vcc, exec, s[4:5]
	v_lshl_add_u64 v[32:33], s[36:37], 0, v[32:33]
	s_cbranch_vccnz .LBB362_54
; %bb.43:
	v_mov_b64_e32 v[34:35], s[36:37]
	v_mad_u64_u32 v[34:35], s[6:7], v28, s26, v[34:35]
	v_mul_lo_u32 v36, v28, s27
	v_mul_lo_u32 v37, v29, s26
	v_add3_u32 v35, v37, v35, v36
	global_load_ubyte v36, v[32:33], off
	global_load_ubyte v37, v[34:35], off
	s_mov_b64 s[6:7], -1
	s_waitcnt vmcnt(0)
	v_cmp_eq_u16_e32 vcc, v36, v37
	s_and_saveexec_b64 s[10:11], vcc
	s_cbranch_execz .LBB362_53
; %bb.44:
	s_mov_b64 s[14:15], 1
	s_mov_b64 s[6:7], 0
                                        ; implicit-def: $sgpr12_sgpr13
	s_branch .LBB362_47
.LBB362_45:                             ;   in Loop: Header=BB362_47 Depth=1
	v_lshl_add_u64 v[36:37], v[32:33], 0, s[14:15]
	v_lshl_add_u64 v[46:47], v[34:35], 0, s[14:15]
	global_load_ubyte v48, v[36:37], off
	global_load_ubyte v49, v[46:47], off
	s_add_u32 s16, s14, 1
	s_addc_u32 s17, s15, 0
	s_andn2_b64 s[12:13], s[12:13], exec
	s_waitcnt vmcnt(0)
	v_cmp_ne_u16_e32 vcc, v48, v49
	s_and_b64 s[40:41], vcc, exec
	s_or_b64 s[12:13], s[12:13], s[40:41]
.LBB362_46:                             ;   in Loop: Header=BB362_47 Depth=1
	s_and_b64 s[40:41], exec, s[12:13]
	s_or_b64 s[6:7], s[40:41], s[6:7]
	v_mov_b64_e32 v[36:37], s[14:15]
	s_mov_b64 s[14:15], s[16:17]
	s_andn2_b64 exec, exec, s[6:7]
	s_cbranch_execz .LBB362_52
.LBB362_47:                             ; =>This Inner Loop Header: Depth=1
	s_or_b64 s[12:13], s[12:13], exec
	s_cmp_eq_u64 s[26:27], s[14:15]
	s_cbranch_scc0 .LBB362_45
; %bb.48:                               ;   in Loop: Header=BB362_47 Depth=1
                                        ; implicit-def: $sgpr16_sgpr17
	s_mov_b64 s[14:15], s[26:27]
	s_branch .LBB362_46
.LBB362_49:
                                        ; implicit-def: $sgpr14_sgpr15
                                        ; implicit-def: $vgpr48
                                        ; implicit-def: $vgpr47
                                        ; implicit-def: $vgpr46
                                        ; implicit-def: $vgpr34
	s_branch .LBB362_192
.LBB362_50:
                                        ; implicit-def: $vgpr30_vgpr31
	s_branch .LBB362_340
.LBB362_51:
                                        ; implicit-def: $sgpr14_sgpr15
                                        ; implicit-def: $vgpr48
                                        ; implicit-def: $vgpr47
                                        ; implicit-def: $vgpr46
                                        ; implicit-def: $vgpr34
	s_cbranch_execnz .LBB362_111
	s_branch .LBB362_191
.LBB362_52:
	s_or_b64 exec, exec, s[6:7]
	v_cmp_gt_i64_e32 vcc, s[26:27], v[36:37]
	s_orn2_b64 s[6:7], vcc, exec
.LBB362_53:
	s_or_b64 exec, exec, s[10:11]
.LBB362_54:
	v_mul_lo_u32 v36, v15, s26
	v_mul_lo_u32 v37, v14, s27
	v_mad_u64_u32 v[34:35], s[10:11], v14, s26, 0
	v_add3_u32 v35, v35, v37, v36
	s_mov_b64 s[10:11], 0
	s_and_b64 vcc, exec, s[4:5]
	v_lshl_add_u64 v[34:35], s[36:37], 0, v[34:35]
	s_mov_b64 s[12:13], 0
	s_cbranch_vccnz .LBB362_63
; %bb.55:
	global_load_ubyte v36, v[34:35], off
	global_load_ubyte v37, v[32:33], off
	s_mov_b64 s[12:13], -1
	s_waitcnt vmcnt(0)
	v_cmp_eq_u16_e32 vcc, v36, v37
	s_and_saveexec_b64 s[14:15], vcc
	s_cbranch_execz .LBB362_62
; %bb.56:
	s_mov_b64 s[40:41], 1
	s_mov_b64 s[12:13], 0
                                        ; implicit-def: $sgpr16_sgpr17
	s_branch .LBB362_59
.LBB362_57:                             ;   in Loop: Header=BB362_59 Depth=1
	v_lshl_add_u64 v[36:37], v[34:35], 0, s[40:41]
	v_lshl_add_u64 v[46:47], v[32:33], 0, s[40:41]
	global_load_ubyte v48, v[36:37], off
	global_load_ubyte v49, v[46:47], off
	s_add_u32 s42, s40, 1
	s_addc_u32 s43, s41, 0
	s_andn2_b64 s[16:17], s[16:17], exec
	s_waitcnt vmcnt(0)
	v_cmp_ne_u16_e32 vcc, v48, v49
	s_and_b64 s[44:45], vcc, exec
	s_or_b64 s[16:17], s[16:17], s[44:45]
.LBB362_58:                             ;   in Loop: Header=BB362_59 Depth=1
	s_and_b64 s[44:45], exec, s[16:17]
	s_or_b64 s[12:13], s[44:45], s[12:13]
	v_mov_b64_e32 v[36:37], s[40:41]
	s_mov_b64 s[40:41], s[42:43]
	s_andn2_b64 exec, exec, s[12:13]
	s_cbranch_execz .LBB362_61
.LBB362_59:                             ; =>This Inner Loop Header: Depth=1
	s_or_b64 s[16:17], s[16:17], exec
	s_cmp_eq_u64 s[26:27], s[40:41]
	s_cbranch_scc0 .LBB362_57
; %bb.60:                               ;   in Loop: Header=BB362_59 Depth=1
                                        ; implicit-def: $sgpr42_sgpr43
	s_mov_b64 s[40:41], s[26:27]
	s_branch .LBB362_58
.LBB362_61:
	s_or_b64 exec, exec, s[12:13]
	v_cmp_gt_i64_e32 vcc, s[26:27], v[36:37]
	s_orn2_b64 s[12:13], vcc, exec
.LBB362_62:
	s_or_b64 exec, exec, s[14:15]
.LBB362_63:
	v_mul_lo_u32 v36, v21, s26
	v_mul_lo_u32 v37, v20, s27
	v_mad_u64_u32 v[32:33], s[14:15], v20, s26, 0
	v_add3_u32 v33, v33, v37, v36
	s_and_b64 vcc, exec, s[4:5]
	v_lshl_add_u64 v[32:33], s[36:37], 0, v[32:33]
	s_cbranch_vccnz .LBB362_72
; %bb.64:
	global_load_ubyte v36, v[32:33], off
	global_load_ubyte v37, v[34:35], off
	s_mov_b64 s[10:11], -1
	s_waitcnt vmcnt(0)
	v_cmp_eq_u16_e32 vcc, v36, v37
	s_and_saveexec_b64 s[14:15], vcc
	s_cbranch_execz .LBB362_71
; %bb.65:
	s_mov_b64 s[40:41], 1
	s_mov_b64 s[10:11], 0
                                        ; implicit-def: $sgpr16_sgpr17
	s_branch .LBB362_68
.LBB362_66:                             ;   in Loop: Header=BB362_68 Depth=1
	v_lshl_add_u64 v[36:37], v[32:33], 0, s[40:41]
	v_lshl_add_u64 v[46:47], v[34:35], 0, s[40:41]
	global_load_ubyte v48, v[36:37], off
	global_load_ubyte v49, v[46:47], off
	s_add_u32 s42, s40, 1
	s_addc_u32 s43, s41, 0
	s_andn2_b64 s[16:17], s[16:17], exec
	s_waitcnt vmcnt(0)
	v_cmp_ne_u16_e32 vcc, v48, v49
	s_and_b64 s[44:45], vcc, exec
	s_or_b64 s[16:17], s[16:17], s[44:45]
.LBB362_67:                             ;   in Loop: Header=BB362_68 Depth=1
	s_and_b64 s[44:45], exec, s[16:17]
	s_or_b64 s[10:11], s[44:45], s[10:11]
	v_mov_b64_e32 v[36:37], s[40:41]
	s_mov_b64 s[40:41], s[42:43]
	s_andn2_b64 exec, exec, s[10:11]
	s_cbranch_execz .LBB362_70
.LBB362_68:                             ; =>This Inner Loop Header: Depth=1
	s_or_b64 s[16:17], s[16:17], exec
	s_cmp_eq_u64 s[26:27], s[40:41]
	s_cbranch_scc0 .LBB362_66
; %bb.69:                               ;   in Loop: Header=BB362_68 Depth=1
                                        ; implicit-def: $sgpr42_sgpr43
	s_mov_b64 s[40:41], s[26:27]
	s_branch .LBB362_67
.LBB362_70:
	s_or_b64 exec, exec, s[10:11]
	v_cmp_gt_i64_e32 vcc, s[26:27], v[36:37]
	s_orn2_b64 s[10:11], vcc, exec
.LBB362_71:
	s_or_b64 exec, exec, s[14:15]
.LBB362_72:
	v_mul_lo_u32 v36, v19, s26
	v_mul_lo_u32 v37, v18, s27
	v_mad_u64_u32 v[34:35], s[14:15], v18, s26, 0
	v_add3_u32 v35, v35, v37, v36
	s_mov_b64 s[14:15], 0
	s_and_b64 vcc, exec, s[4:5]
	v_lshl_add_u64 v[36:37], s[36:37], 0, v[34:35]
	s_mov_b64 s[16:17], 0
	s_cbranch_vccnz .LBB362_81
; %bb.73:
	global_load_ubyte v34, v[36:37], off
	global_load_ubyte v35, v[32:33], off
	s_mov_b64 s[16:17], -1
	s_waitcnt vmcnt(0)
	v_cmp_eq_u16_e32 vcc, v34, v35
	s_and_saveexec_b64 s[40:41], vcc
	s_cbranch_execz .LBB362_80
; %bb.74:
	s_mov_b64 s[44:45], 1
	s_mov_b64 s[16:17], 0
                                        ; implicit-def: $sgpr42_sgpr43
	s_branch .LBB362_77
.LBB362_75:                             ;   in Loop: Header=BB362_77 Depth=1
	v_lshl_add_u64 v[34:35], v[36:37], 0, s[44:45]
	v_lshl_add_u64 v[46:47], v[32:33], 0, s[44:45]
	global_load_ubyte v48, v[34:35], off
	global_load_ubyte v49, v[46:47], off
	s_add_u32 s46, s44, 1
	s_addc_u32 s47, s45, 0
	s_andn2_b64 s[42:43], s[42:43], exec
	s_waitcnt vmcnt(0)
	v_cmp_ne_u16_e32 vcc, v48, v49
	s_and_b64 s[48:49], vcc, exec
	s_or_b64 s[42:43], s[42:43], s[48:49]
.LBB362_76:                             ;   in Loop: Header=BB362_77 Depth=1
	s_and_b64 s[48:49], exec, s[42:43]
	s_or_b64 s[16:17], s[48:49], s[16:17]
	v_mov_b64_e32 v[34:35], s[44:45]
	s_mov_b64 s[44:45], s[46:47]
	s_andn2_b64 exec, exec, s[16:17]
	s_cbranch_execz .LBB362_79
.LBB362_77:                             ; =>This Inner Loop Header: Depth=1
	s_or_b64 s[42:43], s[42:43], exec
	s_cmp_eq_u64 s[26:27], s[44:45]
	s_cbranch_scc0 .LBB362_75
; %bb.78:                               ;   in Loop: Header=BB362_77 Depth=1
                                        ; implicit-def: $sgpr46_sgpr47
	s_mov_b64 s[44:45], s[26:27]
	s_branch .LBB362_76
.LBB362_79:
	s_or_b64 exec, exec, s[16:17]
	v_cmp_gt_i64_e32 vcc, s[26:27], v[34:35]
	s_orn2_b64 s[16:17], vcc, exec
.LBB362_80:
	s_or_b64 exec, exec, s[40:41]
.LBB362_81:
	v_mul_lo_u32 v34, v25, s26
	v_mul_lo_u32 v35, v24, s27
	v_mad_u64_u32 v[32:33], s[40:41], v24, s26, 0
	v_add3_u32 v33, v33, v35, v34
	s_and_b64 vcc, exec, s[4:5]
	v_lshl_add_u64 v[34:35], s[36:37], 0, v[32:33]
	s_cbranch_vccnz .LBB362_90
; %bb.82:
	global_load_ubyte v32, v[34:35], off
	global_load_ubyte v33, v[36:37], off
	s_mov_b64 s[14:15], -1
	s_waitcnt vmcnt(0)
	v_cmp_eq_u16_e32 vcc, v32, v33
	s_and_saveexec_b64 s[40:41], vcc
	s_cbranch_execz .LBB362_89
; %bb.83:
	s_mov_b64 s[44:45], 1
	s_mov_b64 s[14:15], 0
                                        ; implicit-def: $sgpr42_sgpr43
	s_branch .LBB362_86
.LBB362_84:                             ;   in Loop: Header=BB362_86 Depth=1
	v_lshl_add_u64 v[32:33], v[34:35], 0, s[44:45]
	v_lshl_add_u64 v[46:47], v[36:37], 0, s[44:45]
	global_load_ubyte v48, v[32:33], off
	global_load_ubyte v49, v[46:47], off
	s_add_u32 s46, s44, 1
	s_addc_u32 s47, s45, 0
	s_andn2_b64 s[42:43], s[42:43], exec
	s_waitcnt vmcnt(0)
	v_cmp_ne_u16_e32 vcc, v48, v49
	s_and_b64 s[48:49], vcc, exec
	s_or_b64 s[42:43], s[42:43], s[48:49]
.LBB362_85:                             ;   in Loop: Header=BB362_86 Depth=1
	s_and_b64 s[48:49], exec, s[42:43]
	s_or_b64 s[14:15], s[48:49], s[14:15]
	v_mov_b64_e32 v[32:33], s[44:45]
	s_mov_b64 s[44:45], s[46:47]
	s_andn2_b64 exec, exec, s[14:15]
	s_cbranch_execz .LBB362_88
.LBB362_86:                             ; =>This Inner Loop Header: Depth=1
	s_or_b64 s[42:43], s[42:43], exec
	s_cmp_eq_u64 s[26:27], s[44:45]
	s_cbranch_scc0 .LBB362_84
; %bb.87:                               ;   in Loop: Header=BB362_86 Depth=1
                                        ; implicit-def: $sgpr46_sgpr47
	s_mov_b64 s[44:45], s[26:27]
	s_branch .LBB362_85
.LBB362_88:
	s_or_b64 exec, exec, s[14:15]
	v_cmp_gt_i64_e32 vcc, s[26:27], v[32:33]
	s_orn2_b64 s[14:15], vcc, exec
.LBB362_89:
	s_or_b64 exec, exec, s[40:41]
.LBB362_90:
	v_mul_lo_u32 v36, v23, s26
	v_mul_lo_u32 v37, v22, s27
	v_mad_u64_u32 v[32:33], s[40:41], v22, s26, 0
	v_add3_u32 v33, v33, v37, v36
	s_mov_b64 s[42:43], 0
	s_and_b64 vcc, exec, s[4:5]
	v_lshl_add_u64 v[32:33], s[36:37], 0, v[32:33]
	s_cbranch_vccnz .LBB362_99
; %bb.91:
	global_load_ubyte v36, v[32:33], off
	global_load_ubyte v37, v[34:35], off
	s_mov_b64 s[42:43], -1
	s_waitcnt vmcnt(0)
	v_cmp_eq_u16_e32 vcc, v36, v37
	s_and_saveexec_b64 s[40:41], vcc
	s_cbranch_execz .LBB362_98
; %bb.92:
	s_mov_b64 s[46:47], 1
	s_mov_b64 s[42:43], 0
                                        ; implicit-def: $sgpr44_sgpr45
	s_branch .LBB362_95
.LBB362_93:                             ;   in Loop: Header=BB362_95 Depth=1
	v_lshl_add_u64 v[36:37], v[32:33], 0, s[46:47]
	v_lshl_add_u64 v[46:47], v[34:35], 0, s[46:47]
	global_load_ubyte v48, v[36:37], off
	global_load_ubyte v49, v[46:47], off
	s_add_u32 s48, s46, 1
	s_addc_u32 s49, s47, 0
	s_andn2_b64 s[44:45], s[44:45], exec
	s_waitcnt vmcnt(0)
	v_cmp_ne_u16_e32 vcc, v48, v49
	s_and_b64 s[50:51], vcc, exec
	s_or_b64 s[44:45], s[44:45], s[50:51]
.LBB362_94:                             ;   in Loop: Header=BB362_95 Depth=1
	s_and_b64 s[50:51], exec, s[44:45]
	s_or_b64 s[42:43], s[50:51], s[42:43]
	v_mov_b64_e32 v[36:37], s[46:47]
	s_mov_b64 s[46:47], s[48:49]
	s_andn2_b64 exec, exec, s[42:43]
	s_cbranch_execz .LBB362_97
.LBB362_95:                             ; =>This Inner Loop Header: Depth=1
	s_or_b64 s[44:45], s[44:45], exec
	s_cmp_eq_u64 s[26:27], s[46:47]
	s_cbranch_scc0 .LBB362_93
; %bb.96:                               ;   in Loop: Header=BB362_95 Depth=1
                                        ; implicit-def: $sgpr48_sgpr49
	s_mov_b64 s[46:47], s[26:27]
	s_branch .LBB362_94
.LBB362_97:
	s_or_b64 exec, exec, s[42:43]
	v_cmp_gt_i64_e32 vcc, s[26:27], v[36:37]
	s_orn2_b64 s[42:43], vcc, exec
.LBB362_98:
	s_or_b64 exec, exec, s[40:41]
.LBB362_99:
	s_waitcnt vmcnt(0)
	v_mov_b64_e32 v[36:37], v[30:31]
	s_waitcnt lgkmcnt(0)
	s_barrier
	s_and_saveexec_b64 s[40:41], s[2:3]
	s_cbranch_execz .LBB362_101
; %bb.100:
	v_add_u32_e32 v34, -8, v45
	ds_read_b64 v[36:37], v34
.LBB362_101:
	s_or_b64 exec, exec, s[40:41]
	v_cndmask_b32_e64 v35, 0, 1, s[16:17]
	v_cndmask_b32_e64 v34, 0, 1, s[14:15]
	v_cndmask_b32_e64 v46, 0, 1, s[42:43]
	v_lshlrev_b16_e32 v35, 8, v35
	v_lshlrev_b16_e32 v49, 8, v46
	v_or_b32_sdwa v50, v34, v35 dst_sel:WORD_1 dst_unused:UNUSED_PAD src0_sel:DWORD src1_sel:DWORD
	s_mov_b64 s[16:17], 0
	s_and_b64 vcc, exec, s[4:5]
	s_mov_b64 s[14:15], 0
	s_cbranch_vccnz .LBB362_110
; %bb.102:
	v_mov_b64_e32 v[34:35], s[36:37]
	s_waitcnt lgkmcnt(0)
	v_mad_u64_u32 v[34:35], s[14:15], v36, s26, v[34:35]
	v_mul_lo_u32 v36, v36, s27
	v_mul_lo_u32 v37, v37, s26
	v_add3_u32 v35, v37, v35, v36
	global_load_ubyte v36, v[34:35], off
	global_load_ubyte v37, v[32:33], off
	s_mov_b64 s[14:15], -1
	s_waitcnt vmcnt(0)
	v_cmp_eq_u16_e32 vcc, v36, v37
	s_and_saveexec_b64 s[40:41], vcc
	s_cbranch_execz .LBB362_109
; %bb.103:
	s_mov_b64 s[44:45], 1
	s_mov_b64 s[14:15], 0
                                        ; implicit-def: $sgpr42_sgpr43
	s_branch .LBB362_106
.LBB362_104:                            ;   in Loop: Header=BB362_106 Depth=1
	v_lshl_add_u64 v[36:37], v[34:35], 0, s[44:45]
	v_lshl_add_u64 v[46:47], v[32:33], 0, s[44:45]
	global_load_ubyte v48, v[36:37], off
	global_load_ubyte v51, v[46:47], off
	s_add_u32 s46, s44, 1
	s_addc_u32 s47, s45, 0
	s_andn2_b64 s[42:43], s[42:43], exec
	s_waitcnt vmcnt(0)
	v_cmp_ne_u16_e32 vcc, v48, v51
	s_and_b64 s[48:49], vcc, exec
	s_or_b64 s[42:43], s[42:43], s[48:49]
.LBB362_105:                            ;   in Loop: Header=BB362_106 Depth=1
	s_and_b64 s[48:49], exec, s[42:43]
	s_or_b64 s[14:15], s[48:49], s[14:15]
	v_mov_b64_e32 v[36:37], s[44:45]
	s_mov_b64 s[44:45], s[46:47]
	s_andn2_b64 exec, exec, s[14:15]
	s_cbranch_execz .LBB362_108
.LBB362_106:                            ; =>This Inner Loop Header: Depth=1
	s_or_b64 s[42:43], s[42:43], exec
	s_cmp_eq_u64 s[26:27], s[44:45]
	s_cbranch_scc0 .LBB362_104
; %bb.107:                              ;   in Loop: Header=BB362_106 Depth=1
                                        ; implicit-def: $sgpr46_sgpr47
	s_mov_b64 s[44:45], s[26:27]
	s_branch .LBB362_105
.LBB362_108:
	s_or_b64 exec, exec, s[14:15]
	v_cmp_gt_i64_e32 vcc, s[26:27], v[36:37]
	s_orn2_b64 s[14:15], vcc, exec
.LBB362_109:
	s_or_b64 exec, exec, s[40:41]
.LBB362_110:
	v_cndmask_b32_e64 v46, 0, 1, s[10:11]
	v_cndmask_b32_e64 v47, 0, 1, s[12:13]
	;; [unrolled: 1-line block ×3, first 2 shown]
	v_or_b32_e32 v34, v49, v50
	s_and_b64 vcc, exec, s[16:17]
	s_cbranch_vccz .LBB362_191
.LBB362_111:
	v_cmp_gt_u32_e32 vcc, s54, v40
	s_mov_b64 s[10:11], 0
	s_mov_b64 s[6:7], 0
	s_and_saveexec_b64 s[12:13], vcc
	s_cbranch_execz .LBB362_122
; %bb.112:
	s_and_b64 vcc, exec, s[4:5]
	s_mov_b64 s[14:15], 0
	s_cbranch_vccnz .LBB362_121
; %bb.113:
	v_mov_b64_e32 v[34:35], s[36:37]
	v_mad_u64_u32 v[32:33], s[6:7], v16, s26, v[34:35]
	s_waitcnt lgkmcnt(0)
	v_mul_lo_u32 v36, v16, s27
	v_mul_lo_u32 v37, v17, s26
	v_add3_u32 v33, v37, v33, v36
	v_mad_u64_u32 v[34:35], s[6:7], v28, s26, v[34:35]
	v_mul_lo_u32 v36, v28, s27
	v_mul_lo_u32 v37, v29, s26
	v_add3_u32 v35, v37, v35, v36
	global_load_ubyte v36, v[32:33], off
	global_load_ubyte v37, v[34:35], off
	s_mov_b64 s[14:15], -1
	s_waitcnt vmcnt(0)
	v_cmp_eq_u16_e32 vcc, v36, v37
	s_and_saveexec_b64 s[6:7], vcc
	s_cbranch_execz .LBB362_120
; %bb.114:
	s_mov_b64 s[40:41], 1
	s_mov_b64 s[14:15], 0
                                        ; implicit-def: $sgpr16_sgpr17
	s_branch .LBB362_117
.LBB362_115:                            ;   in Loop: Header=BB362_117 Depth=1
	v_lshl_add_u64 v[36:37], v[32:33], 0, s[40:41]
	v_lshl_add_u64 v[46:47], v[34:35], 0, s[40:41]
	global_load_ubyte v48, v[36:37], off
	global_load_ubyte v49, v[46:47], off
	s_add_u32 s42, s40, 1
	s_addc_u32 s43, s41, 0
	s_andn2_b64 s[16:17], s[16:17], exec
	s_waitcnt vmcnt(0)
	v_cmp_ne_u16_e32 vcc, v48, v49
	s_and_b64 s[44:45], vcc, exec
	s_or_b64 s[16:17], s[16:17], s[44:45]
.LBB362_116:                            ;   in Loop: Header=BB362_117 Depth=1
	s_and_b64 s[44:45], exec, s[16:17]
	s_or_b64 s[14:15], s[44:45], s[14:15]
	v_mov_b64_e32 v[36:37], s[40:41]
	s_mov_b64 s[40:41], s[42:43]
	s_andn2_b64 exec, exec, s[14:15]
	s_cbranch_execz .LBB362_119
.LBB362_117:                            ; =>This Inner Loop Header: Depth=1
	s_or_b64 s[16:17], s[16:17], exec
	s_cmp_eq_u64 s[26:27], s[40:41]
	s_cbranch_scc0 .LBB362_115
; %bb.118:                              ;   in Loop: Header=BB362_117 Depth=1
                                        ; implicit-def: $sgpr42_sgpr43
	s_mov_b64 s[40:41], s[26:27]
	s_branch .LBB362_116
.LBB362_119:
	s_or_b64 exec, exec, s[14:15]
	v_cmp_gt_i64_e32 vcc, s[26:27], v[36:37]
	s_orn2_b64 s[14:15], vcc, exec
.LBB362_120:
	s_or_b64 exec, exec, s[6:7]
.LBB362_121:
	s_and_b64 s[6:7], s[14:15], exec
.LBB362_122:
	s_or_b64 exec, exec, s[12:13]
	v_cmp_gt_u32_e32 vcc, s54, v43
	s_and_saveexec_b64 s[12:13], vcc
	s_cbranch_execz .LBB362_133
; %bb.123:
	s_and_b64 vcc, exec, s[4:5]
	s_mov_b64 s[14:15], 0
	s_cbranch_vccnz .LBB362_132
; %bb.124:
	v_mov_b64_e32 v[34:35], s[36:37]
	v_mad_u64_u32 v[32:33], s[10:11], v14, s26, v[34:35]
	s_waitcnt lgkmcnt(0)
	v_mul_lo_u32 v36, v14, s27
	v_mul_lo_u32 v37, v15, s26
	v_add3_u32 v33, v37, v33, v36
	v_mad_u64_u32 v[34:35], s[10:11], v16, s26, v[34:35]
	v_mul_lo_u32 v36, v16, s27
	v_mul_lo_u32 v37, v17, s26
	v_add3_u32 v35, v37, v35, v36
	global_load_ubyte v36, v[32:33], off
	global_load_ubyte v37, v[34:35], off
	s_mov_b64 s[14:15], -1
	s_waitcnt vmcnt(0)
	v_cmp_eq_u16_e32 vcc, v36, v37
	s_and_saveexec_b64 s[10:11], vcc
	s_cbranch_execz .LBB362_131
; %bb.125:
	s_mov_b64 s[40:41], 1
	s_mov_b64 s[14:15], 0
                                        ; implicit-def: $sgpr16_sgpr17
	s_branch .LBB362_128
.LBB362_126:                            ;   in Loop: Header=BB362_128 Depth=1
	v_lshl_add_u64 v[36:37], v[32:33], 0, s[40:41]
	v_lshl_add_u64 v[46:47], v[34:35], 0, s[40:41]
	global_load_ubyte v48, v[36:37], off
	global_load_ubyte v49, v[46:47], off
	s_add_u32 s42, s40, 1
	s_addc_u32 s43, s41, 0
	s_andn2_b64 s[16:17], s[16:17], exec
	s_waitcnt vmcnt(0)
	v_cmp_ne_u16_e32 vcc, v48, v49
	s_and_b64 s[44:45], vcc, exec
	s_or_b64 s[16:17], s[16:17], s[44:45]
.LBB362_127:                            ;   in Loop: Header=BB362_128 Depth=1
	s_and_b64 s[44:45], exec, s[16:17]
	s_or_b64 s[14:15], s[44:45], s[14:15]
	v_mov_b64_e32 v[36:37], s[40:41]
	s_mov_b64 s[40:41], s[42:43]
	s_andn2_b64 exec, exec, s[14:15]
	s_cbranch_execz .LBB362_130
.LBB362_128:                            ; =>This Inner Loop Header: Depth=1
	s_or_b64 s[16:17], s[16:17], exec
	s_cmp_eq_u64 s[26:27], s[40:41]
	s_cbranch_scc0 .LBB362_126
; %bb.129:                              ;   in Loop: Header=BB362_128 Depth=1
                                        ; implicit-def: $sgpr42_sgpr43
	s_mov_b64 s[40:41], s[26:27]
	s_branch .LBB362_127
.LBB362_130:
	s_or_b64 exec, exec, s[14:15]
	v_cmp_gt_i64_e32 vcc, s[26:27], v[36:37]
	s_orn2_b64 s[14:15], vcc, exec
.LBB362_131:
	s_or_b64 exec, exec, s[10:11]
.LBB362_132:
	s_and_b64 s[10:11], s[14:15], exec
.LBB362_133:
	s_or_b64 exec, exec, s[12:13]
	v_cmp_gt_u32_e32 vcc, s54, v39
	s_mov_b64 s[14:15], 0
	s_mov_b64 s[12:13], 0
	s_and_saveexec_b64 s[16:17], vcc
	s_cbranch_execz .LBB362_144
; %bb.134:
	s_and_b64 vcc, exec, s[4:5]
	s_mov_b64 s[40:41], 0
	s_cbranch_vccnz .LBB362_143
; %bb.135:
	v_mov_b64_e32 v[34:35], s[36:37]
	v_mad_u64_u32 v[32:33], s[12:13], v20, s26, v[34:35]
	s_waitcnt lgkmcnt(0)
	v_mul_lo_u32 v36, v20, s27
	v_mul_lo_u32 v37, v21, s26
	v_add3_u32 v33, v37, v33, v36
	v_mad_u64_u32 v[34:35], s[12:13], v14, s26, v[34:35]
	v_mul_lo_u32 v36, v14, s27
	v_mul_lo_u32 v37, v15, s26
	v_add3_u32 v35, v37, v35, v36
	global_load_ubyte v36, v[32:33], off
	global_load_ubyte v37, v[34:35], off
	s_mov_b64 s[40:41], -1
	s_waitcnt vmcnt(0)
	v_cmp_eq_u16_e32 vcc, v36, v37
	s_and_saveexec_b64 s[12:13], vcc
	s_cbranch_execz .LBB362_142
; %bb.136:
	s_mov_b64 s[44:45], 1
	s_mov_b64 s[40:41], 0
                                        ; implicit-def: $sgpr42_sgpr43
	s_branch .LBB362_139
.LBB362_137:                            ;   in Loop: Header=BB362_139 Depth=1
	v_lshl_add_u64 v[36:37], v[32:33], 0, s[44:45]
	v_lshl_add_u64 v[46:47], v[34:35], 0, s[44:45]
	global_load_ubyte v48, v[36:37], off
	global_load_ubyte v49, v[46:47], off
	s_add_u32 s46, s44, 1
	s_addc_u32 s47, s45, 0
	s_andn2_b64 s[42:43], s[42:43], exec
	s_waitcnt vmcnt(0)
	v_cmp_ne_u16_e32 vcc, v48, v49
	s_and_b64 s[48:49], vcc, exec
	s_or_b64 s[42:43], s[42:43], s[48:49]
.LBB362_138:                            ;   in Loop: Header=BB362_139 Depth=1
	s_and_b64 s[48:49], exec, s[42:43]
	s_or_b64 s[40:41], s[48:49], s[40:41]
	v_mov_b64_e32 v[36:37], s[44:45]
	s_mov_b64 s[44:45], s[46:47]
	s_andn2_b64 exec, exec, s[40:41]
	s_cbranch_execz .LBB362_141
.LBB362_139:                            ; =>This Inner Loop Header: Depth=1
	s_or_b64 s[42:43], s[42:43], exec
	s_cmp_eq_u64 s[26:27], s[44:45]
	s_cbranch_scc0 .LBB362_137
; %bb.140:                              ;   in Loop: Header=BB362_139 Depth=1
                                        ; implicit-def: $sgpr46_sgpr47
	s_mov_b64 s[44:45], s[26:27]
	s_branch .LBB362_138
.LBB362_141:
	s_or_b64 exec, exec, s[40:41]
	v_cmp_gt_i64_e32 vcc, s[26:27], v[36:37]
	s_orn2_b64 s[40:41], vcc, exec
.LBB362_142:
	s_or_b64 exec, exec, s[12:13]
.LBB362_143:
	s_and_b64 s[12:13], s[40:41], exec
.LBB362_144:
	s_or_b64 exec, exec, s[16:17]
	v_cmp_gt_u32_e32 vcc, s54, v42
	s_and_saveexec_b64 s[16:17], vcc
	s_cbranch_execz .LBB362_155
; %bb.145:
	s_and_b64 vcc, exec, s[4:5]
	s_mov_b64 s[40:41], 0
	s_cbranch_vccnz .LBB362_154
; %bb.146:
	v_mov_b64_e32 v[34:35], s[36:37]
	v_mad_u64_u32 v[32:33], s[14:15], v18, s26, v[34:35]
	s_waitcnt lgkmcnt(0)
	v_mul_lo_u32 v36, v18, s27
	v_mul_lo_u32 v37, v19, s26
	v_add3_u32 v33, v37, v33, v36
	v_mad_u64_u32 v[34:35], s[14:15], v20, s26, v[34:35]
	v_mul_lo_u32 v36, v20, s27
	v_mul_lo_u32 v37, v21, s26
	v_add3_u32 v35, v37, v35, v36
	global_load_ubyte v36, v[32:33], off
	global_load_ubyte v37, v[34:35], off
	s_mov_b64 s[40:41], -1
	s_waitcnt vmcnt(0)
	v_cmp_eq_u16_e32 vcc, v36, v37
	s_and_saveexec_b64 s[14:15], vcc
	s_cbranch_execz .LBB362_153
; %bb.147:
	s_mov_b64 s[44:45], 1
	s_mov_b64 s[40:41], 0
                                        ; implicit-def: $sgpr42_sgpr43
	s_branch .LBB362_150
.LBB362_148:                            ;   in Loop: Header=BB362_150 Depth=1
	v_lshl_add_u64 v[36:37], v[32:33], 0, s[44:45]
	v_lshl_add_u64 v[46:47], v[34:35], 0, s[44:45]
	global_load_ubyte v48, v[36:37], off
	global_load_ubyte v49, v[46:47], off
	s_add_u32 s46, s44, 1
	s_addc_u32 s47, s45, 0
	s_andn2_b64 s[42:43], s[42:43], exec
	s_waitcnt vmcnt(0)
	v_cmp_ne_u16_e32 vcc, v48, v49
	s_and_b64 s[48:49], vcc, exec
	s_or_b64 s[42:43], s[42:43], s[48:49]
.LBB362_149:                            ;   in Loop: Header=BB362_150 Depth=1
	s_and_b64 s[48:49], exec, s[42:43]
	s_or_b64 s[40:41], s[48:49], s[40:41]
	v_mov_b64_e32 v[36:37], s[44:45]
	s_mov_b64 s[44:45], s[46:47]
	s_andn2_b64 exec, exec, s[40:41]
	s_cbranch_execz .LBB362_152
.LBB362_150:                            ; =>This Inner Loop Header: Depth=1
	s_or_b64 s[42:43], s[42:43], exec
	s_cmp_eq_u64 s[26:27], s[44:45]
	s_cbranch_scc0 .LBB362_148
; %bb.151:                              ;   in Loop: Header=BB362_150 Depth=1
                                        ; implicit-def: $sgpr46_sgpr47
	s_mov_b64 s[44:45], s[26:27]
	s_branch .LBB362_149
.LBB362_152:
	s_or_b64 exec, exec, s[40:41]
	v_cmp_gt_i64_e32 vcc, s[26:27], v[36:37]
	s_orn2_b64 s[40:41], vcc, exec
.LBB362_153:
	s_or_b64 exec, exec, s[14:15]
.LBB362_154:
	s_and_b64 s[14:15], s[40:41], exec
.LBB362_155:
	s_or_b64 exec, exec, s[16:17]
	v_cmp_gt_u32_e32 vcc, s54, v38
	s_mov_b64 s[16:17], 0
	s_mov_b64 s[40:41], 0
	s_and_saveexec_b64 s[42:43], vcc
	s_cbranch_execz .LBB362_166
; %bb.156:
	s_and_b64 vcc, exec, s[4:5]
	s_mov_b64 s[44:45], 0
	s_cbranch_vccnz .LBB362_165
; %bb.157:
	v_mov_b64_e32 v[34:35], s[36:37]
	v_mad_u64_u32 v[32:33], s[40:41], v24, s26, v[34:35]
	s_waitcnt lgkmcnt(0)
	v_mul_lo_u32 v36, v24, s27
	v_mul_lo_u32 v37, v25, s26
	v_add3_u32 v33, v37, v33, v36
	v_mad_u64_u32 v[34:35], s[40:41], v18, s26, v[34:35]
	v_mul_lo_u32 v36, v18, s27
	v_mul_lo_u32 v37, v19, s26
	v_add3_u32 v35, v37, v35, v36
	global_load_ubyte v36, v[32:33], off
	global_load_ubyte v37, v[34:35], off
	s_mov_b64 s[44:45], -1
	s_waitcnt vmcnt(0)
	v_cmp_eq_u16_e32 vcc, v36, v37
	s_and_saveexec_b64 s[40:41], vcc
	s_cbranch_execz .LBB362_164
; %bb.158:
	s_mov_b64 s[48:49], 1
	s_mov_b64 s[44:45], 0
                                        ; implicit-def: $sgpr46_sgpr47
	s_branch .LBB362_161
.LBB362_159:                            ;   in Loop: Header=BB362_161 Depth=1
	v_lshl_add_u64 v[36:37], v[32:33], 0, s[48:49]
	v_lshl_add_u64 v[46:47], v[34:35], 0, s[48:49]
	global_load_ubyte v36, v[36:37], off
	s_nop 0
	global_load_ubyte v37, v[46:47], off
	s_add_u32 s50, s48, 1
	s_addc_u32 s51, s49, 0
	s_andn2_b64 s[46:47], s[46:47], exec
	s_waitcnt vmcnt(0)
	v_cmp_ne_u16_e32 vcc, v36, v37
	s_and_b64 s[52:53], vcc, exec
	s_or_b64 s[46:47], s[46:47], s[52:53]
.LBB362_160:                            ;   in Loop: Header=BB362_161 Depth=1
	s_and_b64 s[52:53], exec, s[46:47]
	s_or_b64 s[44:45], s[52:53], s[44:45]
	v_mov_b64_e32 v[36:37], s[48:49]
	s_mov_b64 s[48:49], s[50:51]
	s_andn2_b64 exec, exec, s[44:45]
	s_cbranch_execz .LBB362_163
.LBB362_161:                            ; =>This Inner Loop Header: Depth=1
	s_or_b64 s[46:47], s[46:47], exec
	s_cmp_eq_u64 s[26:27], s[48:49]
	s_cbranch_scc0 .LBB362_159
; %bb.162:                              ;   in Loop: Header=BB362_161 Depth=1
                                        ; implicit-def: $sgpr50_sgpr51
	s_mov_b64 s[48:49], s[26:27]
	s_branch .LBB362_160
.LBB362_163:
	s_or_b64 exec, exec, s[44:45]
	v_cmp_gt_i64_e32 vcc, s[26:27], v[36:37]
	s_orn2_b64 s[44:45], vcc, exec
.LBB362_164:
	s_or_b64 exec, exec, s[40:41]
.LBB362_165:
	s_and_b64 s[40:41], s[44:45], exec
.LBB362_166:
	s_or_b64 exec, exec, s[42:43]
	v_cmp_gt_u32_e32 vcc, s54, v41
	s_and_saveexec_b64 s[42:43], vcc
	s_cbranch_execz .LBB362_177
; %bb.167:
	s_and_b64 vcc, exec, s[4:5]
	s_mov_b64 s[44:45], 0
	s_cbranch_vccnz .LBB362_176
; %bb.168:
	v_mov_b64_e32 v[34:35], s[36:37]
	v_mad_u64_u32 v[32:33], s[16:17], v22, s26, v[34:35]
	s_waitcnt lgkmcnt(0)
	v_mul_lo_u32 v36, v22, s27
	v_mul_lo_u32 v37, v23, s26
	v_add3_u32 v33, v37, v33, v36
	v_mad_u64_u32 v[34:35], s[16:17], v24, s26, v[34:35]
	v_mul_lo_u32 v36, v24, s27
	v_mul_lo_u32 v37, v25, s26
	v_add3_u32 v35, v37, v35, v36
	global_load_ubyte v36, v[32:33], off
	global_load_ubyte v37, v[34:35], off
	s_mov_b64 s[44:45], -1
	s_waitcnt vmcnt(0)
	v_cmp_eq_u16_e32 vcc, v36, v37
	s_and_saveexec_b64 s[16:17], vcc
	s_cbranch_execz .LBB362_175
; %bb.169:
	s_mov_b64 s[48:49], 1
	s_mov_b64 s[44:45], 0
                                        ; implicit-def: $sgpr46_sgpr47
	s_branch .LBB362_172
.LBB362_170:                            ;   in Loop: Header=BB362_172 Depth=1
	v_lshl_add_u64 v[36:37], v[32:33], 0, s[48:49]
	v_lshl_add_u64 v[46:47], v[34:35], 0, s[48:49]
	global_load_ubyte v36, v[36:37], off
	s_nop 0
	global_load_ubyte v37, v[46:47], off
	s_add_u32 s50, s48, 1
	s_addc_u32 s51, s49, 0
	s_andn2_b64 s[46:47], s[46:47], exec
	s_waitcnt vmcnt(0)
	v_cmp_ne_u16_e32 vcc, v36, v37
	s_and_b64 s[52:53], vcc, exec
	s_or_b64 s[46:47], s[46:47], s[52:53]
.LBB362_171:                            ;   in Loop: Header=BB362_172 Depth=1
	s_and_b64 s[52:53], exec, s[46:47]
	s_or_b64 s[44:45], s[52:53], s[44:45]
	v_mov_b64_e32 v[36:37], s[48:49]
	s_mov_b64 s[48:49], s[50:51]
	s_andn2_b64 exec, exec, s[44:45]
	s_cbranch_execz .LBB362_174
.LBB362_172:                            ; =>This Inner Loop Header: Depth=1
	s_or_b64 s[46:47], s[46:47], exec
	s_cmp_eq_u64 s[26:27], s[48:49]
	s_cbranch_scc0 .LBB362_170
; %bb.173:                              ;   in Loop: Header=BB362_172 Depth=1
                                        ; implicit-def: $sgpr50_sgpr51
	s_mov_b64 s[48:49], s[26:27]
	s_branch .LBB362_171
.LBB362_174:
	s_or_b64 exec, exec, s[44:45]
	v_cmp_gt_i64_e32 vcc, s[26:27], v[36:37]
	s_orn2_b64 s[44:45], vcc, exec
.LBB362_175:
	s_or_b64 exec, exec, s[16:17]
.LBB362_176:
	s_and_b64 s[16:17], s[44:45], exec
.LBB362_177:
	s_or_b64 exec, exec, s[42:43]
	s_waitcnt lgkmcnt(0)
	s_barrier
	s_and_saveexec_b64 s[42:43], s[2:3]
	s_cbranch_execz .LBB362_179
; %bb.178:
	s_waitcnt vmcnt(0)
	v_add_u32_e32 v30, -8, v45
	ds_read_b64 v[30:31], v30
.LBB362_179:
	s_or_b64 exec, exec, s[42:43]
	v_cndmask_b32_e64 v33, 0, 1, s[14:15]
	v_cndmask_b32_e64 v32, 0, 1, s[40:41]
	;; [unrolled: 1-line block ×3, first 2 shown]
	v_lshlrev_b16_e32 v33, 8, v33
	v_cmp_gt_u32_e32 vcc, s54, v1
	v_lshlrev_b16_e32 v36, 8, v34
	v_or_b32_sdwa v37, v32, v33 dst_sel:WORD_1 dst_unused:UNUSED_PAD src0_sel:DWORD src1_sel:DWORD
	s_mov_b64 s[14:15], 0
	s_and_saveexec_b64 s[16:17], vcc
	s_cbranch_execz .LBB362_190
; %bb.180:
	s_and_b64 vcc, exec, s[4:5]
	s_cbranch_vccnz .LBB362_189
; %bb.181:
	v_mov_b64_e32 v[34:35], s[36:37]
	s_waitcnt vmcnt(0) lgkmcnt(0)
	v_mad_u64_u32 v[32:33], s[4:5], v30, s26, v[34:35]
	v_mul_lo_u32 v30, v30, s27
	v_mul_lo_u32 v31, v31, s26
	v_add3_u32 v33, v31, v33, v30
	v_mad_u64_u32 v[30:31], s[4:5], v22, s26, v[34:35]
	v_mul_lo_u32 v34, v22, s27
	v_mul_lo_u32 v35, v23, s26
	v_add3_u32 v31, v35, v31, v34
	global_load_ubyte v34, v[32:33], off
	global_load_ubyte v35, v[30:31], off
	s_mov_b64 s[14:15], -1
	s_waitcnt vmcnt(0)
	v_cmp_eq_u16_e32 vcc, v34, v35
	s_and_saveexec_b64 s[4:5], vcc
	s_cbranch_execz .LBB362_188
; %bb.182:
	s_mov_b64 s[42:43], 1
	s_mov_b64 s[14:15], 0
                                        ; implicit-def: $sgpr40_sgpr41
	s_branch .LBB362_185
.LBB362_183:                            ;   in Loop: Header=BB362_185 Depth=1
	v_lshl_add_u64 v[34:35], v[32:33], 0, s[42:43]
	v_lshl_add_u64 v[46:47], v[30:31], 0, s[42:43]
	global_load_ubyte v45, v[34:35], off
	global_load_ubyte v48, v[46:47], off
	s_add_u32 s44, s42, 1
	s_addc_u32 s45, s43, 0
	s_andn2_b64 s[40:41], s[40:41], exec
	s_waitcnt vmcnt(0)
	v_cmp_ne_u16_e32 vcc, v45, v48
	s_and_b64 s[46:47], vcc, exec
	s_or_b64 s[40:41], s[40:41], s[46:47]
.LBB362_184:                            ;   in Loop: Header=BB362_185 Depth=1
	s_and_b64 s[46:47], exec, s[40:41]
	s_or_b64 s[14:15], s[46:47], s[14:15]
	v_mov_b64_e32 v[34:35], s[42:43]
	s_mov_b64 s[42:43], s[44:45]
	s_andn2_b64 exec, exec, s[14:15]
	s_cbranch_execz .LBB362_187
.LBB362_185:                            ; =>This Inner Loop Header: Depth=1
	s_or_b64 s[40:41], s[40:41], exec
	s_cmp_eq_u64 s[26:27], s[42:43]
	s_cbranch_scc0 .LBB362_183
; %bb.186:                              ;   in Loop: Header=BB362_185 Depth=1
                                        ; implicit-def: $sgpr44_sgpr45
	s_mov_b64 s[42:43], s[26:27]
	s_branch .LBB362_184
.LBB362_187:
	s_or_b64 exec, exec, s[14:15]
	v_cmp_gt_i64_e32 vcc, s[26:27], v[34:35]
	s_orn2_b64 s[14:15], vcc, exec
.LBB362_188:
	s_or_b64 exec, exec, s[4:5]
.LBB362_189:
	s_and_b64 s[14:15], s[14:15], exec
.LBB362_190:
	s_or_b64 exec, exec, s[16:17]
	v_cndmask_b32_e64 v46, 0, 1, s[12:13]
	v_cndmask_b32_e64 v47, 0, 1, s[10:11]
	;; [unrolled: 1-line block ×3, first 2 shown]
	v_or_b32_e32 v34, v36, v37
.LBB362_191:
	s_mov_b64 s[10:11], -1
	s_cbranch_execnz .LBB362_50
.LBB362_192:
	s_movk_i32 s4, 0xffd0
	v_mad_i32_i24 v44, v0, s4, v44
	s_mov_b64 s[12:13], 0
	v_cmp_gt_i64_e64 s[6:7], s[26:27], 0
	s_and_b64 vcc, exec, s[34:35]
	ds_write_b64 v44, v[28:29]
	s_cbranch_vccz .LBB362_200
; %bb.193:
	v_mul_lo_u32 v32, v17, s26
	v_mul_lo_u32 v33, v16, s27
	s_waitcnt vmcnt(0) lgkmcnt(1)
	v_mad_u64_u32 v[30:31], s[4:5], v16, s26, 0
	v_add3_u32 v31, v31, v33, v32
	v_cndmask_b32_e64 v32, 0, 1, s[6:7]
	v_cmp_ne_u32_e64 s[4:5], 1, v32
	s_andn2_b64 vcc, exec, s[6:7]
	v_lshl_add_u64 v[30:31], s[36:37], 0, v[30:31]
	s_cbranch_vccnz .LBB362_203
; %bb.194:
	v_mov_b64_e32 v[32:33], s[36:37]
	v_mad_u64_u32 v[32:33], s[12:13], v28, s26, v[32:33]
	v_mul_lo_u32 v34, v28, s27
	v_mul_lo_u32 v35, v29, s26
	v_add3_u32 v33, v35, v33, v34
	global_load_ubyte v34, v[30:31], off
	global_load_ubyte v35, v[32:33], off
	s_mov_b64 s[12:13], -1
	s_waitcnt vmcnt(0)
	v_cmp_eq_u16_e32 vcc, v34, v35
	s_and_saveexec_b64 s[14:15], vcc
	s_cbranch_execz .LBB362_202
; %bb.195:
	s_mov_b64 s[40:41], 1
	s_mov_b64 s[12:13], 0
                                        ; implicit-def: $sgpr16_sgpr17
	s_branch .LBB362_198
.LBB362_196:                            ;   in Loop: Header=BB362_198 Depth=1
	v_lshl_add_u64 v[34:35], v[30:31], 0, s[40:41]
	v_lshl_add_u64 v[36:37], v[32:33], 0, s[40:41]
	global_load_ubyte v45, v[34:35], off
	global_load_ubyte v46, v[36:37], off
	s_add_u32 s42, s40, 1
	s_addc_u32 s43, s41, 0
	s_andn2_b64 s[16:17], s[16:17], exec
	s_waitcnt vmcnt(0)
	v_cmp_ne_u16_e32 vcc, v45, v46
	s_and_b64 s[44:45], vcc, exec
	s_or_b64 s[16:17], s[16:17], s[44:45]
.LBB362_197:                            ;   in Loop: Header=BB362_198 Depth=1
	s_and_b64 s[44:45], exec, s[16:17]
	s_or_b64 s[12:13], s[44:45], s[12:13]
	v_mov_b64_e32 v[34:35], s[40:41]
	s_mov_b64 s[40:41], s[42:43]
	s_andn2_b64 exec, exec, s[12:13]
	s_cbranch_execz .LBB362_201
.LBB362_198:                            ; =>This Inner Loop Header: Depth=1
	s_or_b64 s[16:17], s[16:17], exec
	s_cmp_eq_u64 s[26:27], s[40:41]
	s_cbranch_scc0 .LBB362_196
; %bb.199:                              ;   in Loop: Header=BB362_198 Depth=1
                                        ; implicit-def: $sgpr42_sgpr43
	s_mov_b64 s[40:41], s[26:27]
	s_branch .LBB362_197
.LBB362_200:
                                        ; implicit-def: $sgpr14_sgpr15
                                        ; implicit-def: $vgpr48
                                        ; implicit-def: $vgpr47
                                        ; implicit-def: $vgpr46
                                        ; implicit-def: $vgpr34
                                        ; implicit-def: $vgpr30_vgpr31
	s_cbranch_execnz .LBB362_260
	s_branch .LBB362_340
.LBB362_201:
	s_or_b64 exec, exec, s[12:13]
	v_cmp_gt_i64_e32 vcc, s[26:27], v[34:35]
	s_orn2_b64 s[12:13], vcc, exec
.LBB362_202:
	s_or_b64 exec, exec, s[14:15]
.LBB362_203:
	v_mul_lo_u32 v34, v15, s26
	v_mul_lo_u32 v35, v14, s27
	v_mad_u64_u32 v[32:33], s[14:15], v14, s26, 0
	v_add3_u32 v33, v33, v35, v34
	s_mov_b64 s[14:15], 0
	s_and_b64 vcc, exec, s[4:5]
	v_lshl_add_u64 v[32:33], s[36:37], 0, v[32:33]
	s_mov_b64 s[16:17], 0
	s_cbranch_vccnz .LBB362_212
; %bb.204:
	global_load_ubyte v34, v[32:33], off
	global_load_ubyte v35, v[30:31], off
	s_mov_b64 s[16:17], -1
	s_waitcnt vmcnt(0)
	v_cmp_eq_u16_e32 vcc, v34, v35
	s_and_saveexec_b64 s[40:41], vcc
	s_cbranch_execz .LBB362_211
; %bb.205:
	s_mov_b64 s[44:45], 1
	s_mov_b64 s[16:17], 0
                                        ; implicit-def: $sgpr42_sgpr43
	s_branch .LBB362_208
.LBB362_206:                            ;   in Loop: Header=BB362_208 Depth=1
	v_lshl_add_u64 v[34:35], v[32:33], 0, s[44:45]
	v_lshl_add_u64 v[36:37], v[30:31], 0, s[44:45]
	global_load_ubyte v45, v[34:35], off
	global_load_ubyte v46, v[36:37], off
	s_add_u32 s46, s44, 1
	s_addc_u32 s47, s45, 0
	s_andn2_b64 s[42:43], s[42:43], exec
	s_waitcnt vmcnt(0)
	v_cmp_ne_u16_e32 vcc, v45, v46
	s_and_b64 s[48:49], vcc, exec
	s_or_b64 s[42:43], s[42:43], s[48:49]
.LBB362_207:                            ;   in Loop: Header=BB362_208 Depth=1
	s_and_b64 s[48:49], exec, s[42:43]
	s_or_b64 s[16:17], s[48:49], s[16:17]
	v_mov_b64_e32 v[34:35], s[44:45]
	s_mov_b64 s[44:45], s[46:47]
	s_andn2_b64 exec, exec, s[16:17]
	s_cbranch_execz .LBB362_210
.LBB362_208:                            ; =>This Inner Loop Header: Depth=1
	s_or_b64 s[42:43], s[42:43], exec
	s_cmp_eq_u64 s[26:27], s[44:45]
	s_cbranch_scc0 .LBB362_206
; %bb.209:                              ;   in Loop: Header=BB362_208 Depth=1
                                        ; implicit-def: $sgpr46_sgpr47
	s_mov_b64 s[44:45], s[26:27]
	s_branch .LBB362_207
.LBB362_210:
	s_or_b64 exec, exec, s[16:17]
	v_cmp_gt_i64_e32 vcc, s[26:27], v[34:35]
	s_orn2_b64 s[16:17], vcc, exec
.LBB362_211:
	s_or_b64 exec, exec, s[40:41]
.LBB362_212:
	v_mul_lo_u32 v34, v21, s26
	v_mul_lo_u32 v35, v20, s27
	v_mad_u64_u32 v[30:31], s[40:41], v20, s26, 0
	v_add3_u32 v31, v31, v35, v34
	s_and_b64 vcc, exec, s[4:5]
	v_lshl_add_u64 v[30:31], s[36:37], 0, v[30:31]
	s_cbranch_vccnz .LBB362_221
; %bb.213:
	global_load_ubyte v34, v[30:31], off
	global_load_ubyte v35, v[32:33], off
	s_mov_b64 s[14:15], -1
	s_waitcnt vmcnt(0)
	v_cmp_eq_u16_e32 vcc, v34, v35
	s_and_saveexec_b64 s[40:41], vcc
	s_cbranch_execz .LBB362_220
; %bb.214:
	s_mov_b64 s[44:45], 1
	s_mov_b64 s[14:15], 0
                                        ; implicit-def: $sgpr42_sgpr43
	s_branch .LBB362_217
.LBB362_215:                            ;   in Loop: Header=BB362_217 Depth=1
	v_lshl_add_u64 v[34:35], v[30:31], 0, s[44:45]
	v_lshl_add_u64 v[36:37], v[32:33], 0, s[44:45]
	global_load_ubyte v45, v[34:35], off
	global_load_ubyte v46, v[36:37], off
	s_add_u32 s46, s44, 1
	s_addc_u32 s47, s45, 0
	s_andn2_b64 s[42:43], s[42:43], exec
	s_waitcnt vmcnt(0)
	v_cmp_ne_u16_e32 vcc, v45, v46
	s_and_b64 s[48:49], vcc, exec
	s_or_b64 s[42:43], s[42:43], s[48:49]
.LBB362_216:                            ;   in Loop: Header=BB362_217 Depth=1
	s_and_b64 s[48:49], exec, s[42:43]
	s_or_b64 s[14:15], s[48:49], s[14:15]
	v_mov_b64_e32 v[34:35], s[44:45]
	s_mov_b64 s[44:45], s[46:47]
	s_andn2_b64 exec, exec, s[14:15]
	s_cbranch_execz .LBB362_219
.LBB362_217:                            ; =>This Inner Loop Header: Depth=1
	s_or_b64 s[42:43], s[42:43], exec
	s_cmp_eq_u64 s[26:27], s[44:45]
	s_cbranch_scc0 .LBB362_215
; %bb.218:                              ;   in Loop: Header=BB362_217 Depth=1
                                        ; implicit-def: $sgpr46_sgpr47
	s_mov_b64 s[44:45], s[26:27]
	s_branch .LBB362_216
.LBB362_219:
	s_or_b64 exec, exec, s[14:15]
	v_cmp_gt_i64_e32 vcc, s[26:27], v[34:35]
	s_orn2_b64 s[14:15], vcc, exec
.LBB362_220:
	s_or_b64 exec, exec, s[40:41]
.LBB362_221:
	v_mul_lo_u32 v34, v19, s26
	v_mul_lo_u32 v35, v18, s27
	v_mad_u64_u32 v[32:33], s[40:41], v18, s26, 0
	v_add3_u32 v33, v33, v35, v34
	s_mov_b64 s[40:41], 0
	s_and_b64 vcc, exec, s[4:5]
	v_lshl_add_u64 v[32:33], s[36:37], 0, v[32:33]
	s_mov_b64 s[42:43], 0
	s_cbranch_vccnz .LBB362_230
; %bb.222:
	global_load_ubyte v34, v[32:33], off
	global_load_ubyte v35, v[30:31], off
	s_mov_b64 s[42:43], -1
	s_waitcnt vmcnt(0)
	v_cmp_eq_u16_e32 vcc, v34, v35
	s_and_saveexec_b64 s[44:45], vcc
	s_cbranch_execz .LBB362_229
; %bb.223:
	s_mov_b64 s[48:49], 1
	s_mov_b64 s[42:43], 0
                                        ; implicit-def: $sgpr46_sgpr47
	s_branch .LBB362_226
.LBB362_224:                            ;   in Loop: Header=BB362_226 Depth=1
	v_lshl_add_u64 v[34:35], v[32:33], 0, s[48:49]
	v_lshl_add_u64 v[36:37], v[30:31], 0, s[48:49]
	global_load_ubyte v34, v[34:35], off
	s_nop 0
	global_load_ubyte v35, v[36:37], off
	s_add_u32 s50, s48, 1
	s_addc_u32 s51, s49, 0
	s_andn2_b64 s[46:47], s[46:47], exec
	s_waitcnt vmcnt(0)
	v_cmp_ne_u16_e32 vcc, v34, v35
	s_and_b64 s[52:53], vcc, exec
	s_or_b64 s[46:47], s[46:47], s[52:53]
.LBB362_225:                            ;   in Loop: Header=BB362_226 Depth=1
	s_and_b64 s[52:53], exec, s[46:47]
	s_or_b64 s[42:43], s[52:53], s[42:43]
	v_mov_b64_e32 v[34:35], s[48:49]
	s_mov_b64 s[48:49], s[50:51]
	s_andn2_b64 exec, exec, s[42:43]
	s_cbranch_execz .LBB362_228
.LBB362_226:                            ; =>This Inner Loop Header: Depth=1
	s_or_b64 s[46:47], s[46:47], exec
	s_cmp_eq_u64 s[26:27], s[48:49]
	s_cbranch_scc0 .LBB362_224
; %bb.227:                              ;   in Loop: Header=BB362_226 Depth=1
                                        ; implicit-def: $sgpr50_sgpr51
	s_mov_b64 s[48:49], s[26:27]
	s_branch .LBB362_225
.LBB362_228:
	s_or_b64 exec, exec, s[42:43]
	v_cmp_gt_i64_e32 vcc, s[26:27], v[34:35]
	s_orn2_b64 s[42:43], vcc, exec
.LBB362_229:
	s_or_b64 exec, exec, s[44:45]
.LBB362_230:
	v_mul_lo_u32 v34, v25, s26
	v_mul_lo_u32 v35, v24, s27
	v_mad_u64_u32 v[30:31], s[44:45], v24, s26, 0
	v_add3_u32 v31, v31, v35, v34
	s_and_b64 vcc, exec, s[4:5]
	v_lshl_add_u64 v[30:31], s[36:37], 0, v[30:31]
	s_cbranch_vccnz .LBB362_239
; %bb.231:
	global_load_ubyte v34, v[30:31], off
	global_load_ubyte v35, v[32:33], off
	s_mov_b64 s[40:41], -1
	s_waitcnt vmcnt(0)
	v_cmp_eq_u16_e32 vcc, v34, v35
	s_and_saveexec_b64 s[44:45], vcc
	s_cbranch_execz .LBB362_238
; %bb.232:
	s_mov_b64 s[48:49], 1
	s_mov_b64 s[40:41], 0
                                        ; implicit-def: $sgpr46_sgpr47
	s_branch .LBB362_235
.LBB362_233:                            ;   in Loop: Header=BB362_235 Depth=1
	v_lshl_add_u64 v[34:35], v[30:31], 0, s[48:49]
	v_lshl_add_u64 v[36:37], v[32:33], 0, s[48:49]
	global_load_ubyte v34, v[34:35], off
	s_nop 0
	global_load_ubyte v35, v[36:37], off
	s_add_u32 s50, s48, 1
	s_addc_u32 s51, s49, 0
	s_andn2_b64 s[46:47], s[46:47], exec
	s_waitcnt vmcnt(0)
	v_cmp_ne_u16_e32 vcc, v34, v35
	s_and_b64 s[52:53], vcc, exec
	s_or_b64 s[46:47], s[46:47], s[52:53]
.LBB362_234:                            ;   in Loop: Header=BB362_235 Depth=1
	s_and_b64 s[52:53], exec, s[46:47]
	s_or_b64 s[40:41], s[52:53], s[40:41]
	v_mov_b64_e32 v[34:35], s[48:49]
	s_mov_b64 s[48:49], s[50:51]
	s_andn2_b64 exec, exec, s[40:41]
	s_cbranch_execz .LBB362_237
.LBB362_235:                            ; =>This Inner Loop Header: Depth=1
	s_or_b64 s[46:47], s[46:47], exec
	s_cmp_eq_u64 s[26:27], s[48:49]
	s_cbranch_scc0 .LBB362_233
; %bb.236:                              ;   in Loop: Header=BB362_235 Depth=1
                                        ; implicit-def: $sgpr50_sgpr51
	s_mov_b64 s[48:49], s[26:27]
	s_branch .LBB362_234
.LBB362_237:
	s_or_b64 exec, exec, s[40:41]
	v_cmp_gt_i64_e32 vcc, s[26:27], v[34:35]
	s_orn2_b64 s[40:41], vcc, exec
.LBB362_238:
	s_or_b64 exec, exec, s[44:45]
.LBB362_239:
	v_mul_lo_u32 v34, v23, s26
	v_mul_lo_u32 v35, v22, s27
	v_mad_u64_u32 v[32:33], s[44:45], v22, s26, 0
	v_add3_u32 v33, v33, v35, v34
	s_and_b64 vcc, exec, s[4:5]
	s_mov_b64 s[46:47], 0
	s_cbranch_vccnz .LBB362_248
; %bb.240:
	v_lshl_add_u64 v[34:35], s[36:37], 0, v[32:33]
	global_load_ubyte v36, v[34:35], off
	global_load_ubyte v37, v[30:31], off
	s_mov_b64 s[46:47], -1
	s_waitcnt vmcnt(0)
	v_cmp_eq_u16_e32 vcc, v36, v37
	s_and_saveexec_b64 s[44:45], vcc
	s_cbranch_execz .LBB362_247
; %bb.241:
	s_mov_b64 s[50:51], 1
	s_mov_b64 s[46:47], 0
                                        ; implicit-def: $sgpr48_sgpr49
	s_branch .LBB362_244
.LBB362_242:                            ;   in Loop: Header=BB362_244 Depth=1
	v_lshl_add_u64 v[36:37], v[34:35], 0, s[50:51]
	v_lshl_add_u64 v[46:47], v[30:31], 0, s[50:51]
	global_load_ubyte v36, v[36:37], off
	s_nop 0
	global_load_ubyte v37, v[46:47], off
	s_add_u32 s52, s50, 1
	s_addc_u32 s53, s51, 0
	s_andn2_b64 s[48:49], s[48:49], exec
	s_waitcnt vmcnt(0)
	v_cmp_ne_u16_e32 vcc, v36, v37
	s_and_b64 s[56:57], vcc, exec
	s_or_b64 s[48:49], s[48:49], s[56:57]
.LBB362_243:                            ;   in Loop: Header=BB362_244 Depth=1
	s_and_b64 s[56:57], exec, s[48:49]
	s_or_b64 s[46:47], s[56:57], s[46:47]
	v_mov_b64_e32 v[36:37], s[50:51]
	s_mov_b64 s[50:51], s[52:53]
	s_andn2_b64 exec, exec, s[46:47]
	s_cbranch_execz .LBB362_246
.LBB362_244:                            ; =>This Inner Loop Header: Depth=1
	s_or_b64 s[48:49], s[48:49], exec
	s_cmp_eq_u64 s[26:27], s[50:51]
	s_cbranch_scc0 .LBB362_242
; %bb.245:                              ;   in Loop: Header=BB362_244 Depth=1
                                        ; implicit-def: $sgpr52_sgpr53
	s_mov_b64 s[50:51], s[26:27]
	s_branch .LBB362_243
.LBB362_246:
	s_or_b64 exec, exec, s[46:47]
	v_cmp_gt_i64_e32 vcc, s[26:27], v[36:37]
	s_orn2_b64 s[46:47], vcc, exec
.LBB362_247:
	s_or_b64 exec, exec, s[44:45]
.LBB362_248:
	v_cndmask_b32_e64 v31, 0, 1, s[42:43]
	v_cndmask_b32_e64 v30, 0, 1, s[40:41]
	v_cndmask_b32_e64 v47, 0, 1, s[16:17]
	v_lshlrev_b16_e32 v31, 8, v31
	v_cndmask_b32_e64 v46, 0, 1, s[14:15]
	v_cndmask_b32_e64 v34, 0, 1, s[46:47]
	v_or_b32_sdwa v30, v30, v31 dst_sel:WORD_1 dst_unused:UNUSED_PAD src0_sel:DWORD src1_sel:DWORD
	v_lshlrev_b16_e32 v31, 8, v47
	v_lshlrev_b16_e32 v34, 8, v34
	v_or_b32_e32 v31, v46, v31
	v_or_b32_e32 v34, 1, v34
	v_and_b32_e32 v31, 0xffff, v31
	v_cndmask_b32_e64 v48, 0, 1, s[12:13]
	v_or_b32_sdwa v30, v34, v30 dst_sel:DWORD dst_unused:UNUSED_PAD src0_sel:WORD_0 src1_sel:DWORD
	v_lshl_or_b32 v31, v48, 16, v31
	s_waitcnt lgkmcnt(0)
	s_barrier
	s_waitcnt lgkmcnt(0)
                                        ; implicit-def: $sgpr14_sgpr15
                                        ; implicit-def: $vgpr34
	s_and_saveexec_b64 s[12:13], s[2:3]
	s_xor_b64 s[12:13], exec, s[12:13]
	s_cbranch_execz .LBB362_259
; %bb.249:
	s_mov_b32 s44, 0x3020104
	s_and_b64 vcc, exec, s[4:5]
	s_mov_b64 s[14:15], 0
	s_cbranch_vccnz .LBB362_258
; %bb.250:
	v_add_u32_e32 v31, -8, v44
	ds_read_b64 v[34:35], v31
	v_mov_b64_e32 v[36:37], s[36:37]
	v_lshl_add_u64 v[32:33], s[36:37], 0, v[32:33]
	s_mov_b64 s[14:15], -1
	s_waitcnt lgkmcnt(0)
	v_mul_lo_u32 v31, v34, s27
	v_mul_lo_u32 v45, v35, s26
	v_mad_u64_u32 v[34:35], s[4:5], v34, s26, v[36:37]
	v_add3_u32 v35, v45, v35, v31
	global_load_ubyte v31, v[32:33], off
	global_load_ubyte v36, v[34:35], off
	s_waitcnt vmcnt(0)
	v_cmp_eq_u16_e32 vcc, v36, v31
	s_and_saveexec_b64 s[4:5], vcc
	s_cbranch_execz .LBB362_257
; %bb.251:
	s_mov_b64 s[40:41], 1
	s_mov_b64 s[14:15], 0
                                        ; implicit-def: $sgpr16_sgpr17
	s_branch .LBB362_254
.LBB362_252:                            ;   in Loop: Header=BB362_254 Depth=1
	v_lshl_add_u64 v[36:37], v[34:35], 0, s[40:41]
	v_lshl_add_u64 v[50:51], v[32:33], 0, s[40:41]
	global_load_ubyte v31, v[36:37], off
	global_load_ubyte v45, v[50:51], off
	s_add_u32 s42, s40, 1
	s_addc_u32 s43, s41, 0
	s_andn2_b64 s[16:17], s[16:17], exec
	s_waitcnt vmcnt(0)
	v_cmp_ne_u16_e32 vcc, v31, v45
	s_and_b64 s[46:47], vcc, exec
	s_or_b64 s[16:17], s[16:17], s[46:47]
.LBB362_253:                            ;   in Loop: Header=BB362_254 Depth=1
	s_and_b64 s[46:47], exec, s[16:17]
	s_or_b64 s[14:15], s[46:47], s[14:15]
	v_mov_b64_e32 v[36:37], s[40:41]
	s_mov_b64 s[40:41], s[42:43]
	s_andn2_b64 exec, exec, s[14:15]
	s_cbranch_execz .LBB362_256
.LBB362_254:                            ; =>This Inner Loop Header: Depth=1
	s_or_b64 s[16:17], s[16:17], exec
	s_cmp_eq_u64 s[26:27], s[40:41]
	s_cbranch_scc0 .LBB362_252
; %bb.255:                              ;   in Loop: Header=BB362_254 Depth=1
                                        ; implicit-def: $sgpr42_sgpr43
	s_mov_b64 s[40:41], s[26:27]
	s_branch .LBB362_253
.LBB362_256:
	s_or_b64 exec, exec, s[14:15]
	v_cmp_gt_i64_e32 vcc, s[26:27], v[36:37]
	s_orn2_b64 s[14:15], vcc, exec
.LBB362_257:
	s_or_b64 exec, exec, s[4:5]
.LBB362_258:
	v_perm_b32 v34, v30, v30, s44
	s_and_b64 s[14:15], s[14:15], exec
	s_or_b64 s[10:11], s[10:11], exec
                                        ; implicit-def: $vgpr30_vgpr31
.LBB362_259:
	s_or_b64 exec, exec, s[12:13]
	s_branch .LBB362_340
.LBB362_260:
	v_cmp_gt_u32_e32 vcc, s54, v40
	s_mov_b64 s[12:13], 0
	s_mov_b64 s[4:5], 0
	s_and_saveexec_b64 s[14:15], vcc
	s_cbranch_execz .LBB362_271
; %bb.261:
	s_andn2_b64 vcc, exec, s[6:7]
	s_mov_b64 s[16:17], 0
	s_cbranch_vccnz .LBB362_270
; %bb.262:
	v_mov_b64_e32 v[32:33], s[36:37]
	s_waitcnt vmcnt(0) lgkmcnt(1)
	v_mad_u64_u32 v[30:31], s[4:5], v16, s26, v[32:33]
	v_mul_lo_u32 v34, v16, s27
	v_mul_lo_u32 v35, v17, s26
	v_add3_u32 v31, v35, v31, v34
	v_mad_u64_u32 v[32:33], s[4:5], v28, s26, v[32:33]
	v_mul_lo_u32 v34, v28, s27
	v_mul_lo_u32 v35, v29, s26
	v_add3_u32 v33, v35, v33, v34
	global_load_ubyte v34, v[30:31], off
	global_load_ubyte v35, v[32:33], off
	s_mov_b64 s[16:17], -1
	s_waitcnt vmcnt(0)
	v_cmp_eq_u16_e32 vcc, v34, v35
	s_and_saveexec_b64 s[4:5], vcc
	s_cbranch_execz .LBB362_269
; %bb.263:
	s_mov_b64 s[42:43], 1
	s_mov_b64 s[16:17], 0
                                        ; implicit-def: $sgpr40_sgpr41
	s_branch .LBB362_266
.LBB362_264:                            ;   in Loop: Header=BB362_266 Depth=1
	v_lshl_add_u64 v[34:35], v[30:31], 0, s[42:43]
	v_lshl_add_u64 v[36:37], v[32:33], 0, s[42:43]
	global_load_ubyte v45, v[34:35], off
	global_load_ubyte v46, v[36:37], off
	s_add_u32 s44, s42, 1
	s_addc_u32 s45, s43, 0
	s_andn2_b64 s[40:41], s[40:41], exec
	s_waitcnt vmcnt(0)
	v_cmp_ne_u16_e32 vcc, v45, v46
	s_and_b64 s[46:47], vcc, exec
	s_or_b64 s[40:41], s[40:41], s[46:47]
.LBB362_265:                            ;   in Loop: Header=BB362_266 Depth=1
	s_and_b64 s[46:47], exec, s[40:41]
	s_or_b64 s[16:17], s[46:47], s[16:17]
	v_mov_b64_e32 v[34:35], s[42:43]
	s_mov_b64 s[42:43], s[44:45]
	s_andn2_b64 exec, exec, s[16:17]
	s_cbranch_execz .LBB362_268
.LBB362_266:                            ; =>This Inner Loop Header: Depth=1
	s_or_b64 s[40:41], s[40:41], exec
	s_cmp_eq_u64 s[26:27], s[42:43]
	s_cbranch_scc0 .LBB362_264
; %bb.267:                              ;   in Loop: Header=BB362_266 Depth=1
                                        ; implicit-def: $sgpr44_sgpr45
	s_mov_b64 s[42:43], s[26:27]
	s_branch .LBB362_265
.LBB362_268:
	s_or_b64 exec, exec, s[16:17]
	v_cmp_gt_i64_e32 vcc, s[26:27], v[34:35]
	s_orn2_b64 s[16:17], vcc, exec
.LBB362_269:
	s_or_b64 exec, exec, s[4:5]
.LBB362_270:
	s_and_b64 s[4:5], s[16:17], exec
.LBB362_271:
	s_or_b64 exec, exec, s[14:15]
	v_cmp_gt_u32_e32 vcc, s54, v43
	s_and_saveexec_b64 s[14:15], vcc
	s_cbranch_execz .LBB362_282
; %bb.272:
	s_andn2_b64 vcc, exec, s[6:7]
	s_mov_b64 s[16:17], 0
	s_cbranch_vccnz .LBB362_281
; %bb.273:
	v_mov_b64_e32 v[32:33], s[36:37]
	s_waitcnt vmcnt(0) lgkmcnt(1)
	v_mad_u64_u32 v[30:31], s[12:13], v14, s26, v[32:33]
	v_mul_lo_u32 v34, v14, s27
	v_mul_lo_u32 v35, v15, s26
	v_add3_u32 v31, v35, v31, v34
	v_mad_u64_u32 v[32:33], s[12:13], v16, s26, v[32:33]
	v_mul_lo_u32 v34, v16, s27
	v_mul_lo_u32 v35, v17, s26
	v_add3_u32 v33, v35, v33, v34
	global_load_ubyte v34, v[30:31], off
	global_load_ubyte v35, v[32:33], off
	s_mov_b64 s[16:17], -1
	s_waitcnt vmcnt(0)
	v_cmp_eq_u16_e32 vcc, v34, v35
	s_and_saveexec_b64 s[12:13], vcc
	s_cbranch_execz .LBB362_280
; %bb.274:
	s_mov_b64 s[42:43], 1
	s_mov_b64 s[16:17], 0
                                        ; implicit-def: $sgpr40_sgpr41
	s_branch .LBB362_277
.LBB362_275:                            ;   in Loop: Header=BB362_277 Depth=1
	v_lshl_add_u64 v[34:35], v[30:31], 0, s[42:43]
	v_lshl_add_u64 v[36:37], v[32:33], 0, s[42:43]
	global_load_ubyte v45, v[34:35], off
	global_load_ubyte v46, v[36:37], off
	s_add_u32 s44, s42, 1
	s_addc_u32 s45, s43, 0
	s_andn2_b64 s[40:41], s[40:41], exec
	s_waitcnt vmcnt(0)
	v_cmp_ne_u16_e32 vcc, v45, v46
	s_and_b64 s[46:47], vcc, exec
	s_or_b64 s[40:41], s[40:41], s[46:47]
.LBB362_276:                            ;   in Loop: Header=BB362_277 Depth=1
	s_and_b64 s[46:47], exec, s[40:41]
	s_or_b64 s[16:17], s[46:47], s[16:17]
	v_mov_b64_e32 v[34:35], s[42:43]
	s_mov_b64 s[42:43], s[44:45]
	s_andn2_b64 exec, exec, s[16:17]
	s_cbranch_execz .LBB362_279
.LBB362_277:                            ; =>This Inner Loop Header: Depth=1
	s_or_b64 s[40:41], s[40:41], exec
	s_cmp_eq_u64 s[26:27], s[42:43]
	s_cbranch_scc0 .LBB362_275
; %bb.278:                              ;   in Loop: Header=BB362_277 Depth=1
                                        ; implicit-def: $sgpr44_sgpr45
	s_mov_b64 s[42:43], s[26:27]
	s_branch .LBB362_276
.LBB362_279:
	s_or_b64 exec, exec, s[16:17]
	v_cmp_gt_i64_e32 vcc, s[26:27], v[34:35]
	s_orn2_b64 s[16:17], vcc, exec
.LBB362_280:
	s_or_b64 exec, exec, s[12:13]
.LBB362_281:
	s_and_b64 s[12:13], s[16:17], exec
.LBB362_282:
	s_or_b64 exec, exec, s[14:15]
	v_cmp_gt_u32_e32 vcc, s54, v39
	s_mov_b64 s[16:17], 0
	s_mov_b64 s[14:15], 0
	s_and_saveexec_b64 s[40:41], vcc
	s_cbranch_execz .LBB362_293
; %bb.283:
	s_andn2_b64 vcc, exec, s[6:7]
	s_mov_b64 s[42:43], 0
	s_cbranch_vccnz .LBB362_292
; %bb.284:
	v_mov_b64_e32 v[32:33], s[36:37]
	s_waitcnt vmcnt(0) lgkmcnt(1)
	v_mad_u64_u32 v[30:31], s[14:15], v20, s26, v[32:33]
	v_mul_lo_u32 v34, v20, s27
	v_mul_lo_u32 v35, v21, s26
	v_add3_u32 v31, v35, v31, v34
	v_mad_u64_u32 v[32:33], s[14:15], v14, s26, v[32:33]
	v_mul_lo_u32 v34, v14, s27
	v_mul_lo_u32 v35, v15, s26
	v_add3_u32 v33, v35, v33, v34
	global_load_ubyte v34, v[30:31], off
	global_load_ubyte v35, v[32:33], off
	s_mov_b64 s[42:43], -1
	s_waitcnt vmcnt(0)
	v_cmp_eq_u16_e32 vcc, v34, v35
	s_and_saveexec_b64 s[14:15], vcc
	s_cbranch_execz .LBB362_291
; %bb.285:
	s_mov_b64 s[46:47], 1
	s_mov_b64 s[42:43], 0
                                        ; implicit-def: $sgpr44_sgpr45
	s_branch .LBB362_288
.LBB362_286:                            ;   in Loop: Header=BB362_288 Depth=1
	v_lshl_add_u64 v[34:35], v[30:31], 0, s[46:47]
	v_lshl_add_u64 v[36:37], v[32:33], 0, s[46:47]
	global_load_ubyte v45, v[34:35], off
	global_load_ubyte v46, v[36:37], off
	s_add_u32 s48, s46, 1
	s_addc_u32 s49, s47, 0
	s_andn2_b64 s[44:45], s[44:45], exec
	s_waitcnt vmcnt(0)
	v_cmp_ne_u16_e32 vcc, v45, v46
	s_and_b64 s[50:51], vcc, exec
	s_or_b64 s[44:45], s[44:45], s[50:51]
.LBB362_287:                            ;   in Loop: Header=BB362_288 Depth=1
	s_and_b64 s[50:51], exec, s[44:45]
	s_or_b64 s[42:43], s[50:51], s[42:43]
	v_mov_b64_e32 v[34:35], s[46:47]
	s_mov_b64 s[46:47], s[48:49]
	s_andn2_b64 exec, exec, s[42:43]
	s_cbranch_execz .LBB362_290
.LBB362_288:                            ; =>This Inner Loop Header: Depth=1
	s_or_b64 s[44:45], s[44:45], exec
	s_cmp_eq_u64 s[26:27], s[46:47]
	s_cbranch_scc0 .LBB362_286
; %bb.289:                              ;   in Loop: Header=BB362_288 Depth=1
                                        ; implicit-def: $sgpr48_sgpr49
	s_mov_b64 s[46:47], s[26:27]
	s_branch .LBB362_287
.LBB362_290:
	s_or_b64 exec, exec, s[42:43]
	v_cmp_gt_i64_e32 vcc, s[26:27], v[34:35]
	s_orn2_b64 s[42:43], vcc, exec
.LBB362_291:
	s_or_b64 exec, exec, s[14:15]
.LBB362_292:
	s_and_b64 s[14:15], s[42:43], exec
.LBB362_293:
	s_or_b64 exec, exec, s[40:41]
	v_cmp_gt_u32_e32 vcc, s54, v42
	s_and_saveexec_b64 s[40:41], vcc
	s_cbranch_execz .LBB362_304
; %bb.294:
	s_andn2_b64 vcc, exec, s[6:7]
	s_mov_b64 s[42:43], 0
	s_cbranch_vccnz .LBB362_303
; %bb.295:
	v_mov_b64_e32 v[32:33], s[36:37]
	s_waitcnt vmcnt(0) lgkmcnt(1)
	v_mad_u64_u32 v[30:31], s[16:17], v18, s26, v[32:33]
	v_mul_lo_u32 v34, v18, s27
	v_mul_lo_u32 v35, v19, s26
	v_add3_u32 v31, v35, v31, v34
	v_mad_u64_u32 v[32:33], s[16:17], v20, s26, v[32:33]
	v_mul_lo_u32 v34, v20, s27
	v_mul_lo_u32 v35, v21, s26
	v_add3_u32 v33, v35, v33, v34
	global_load_ubyte v34, v[30:31], off
	global_load_ubyte v35, v[32:33], off
	s_mov_b64 s[42:43], -1
	s_waitcnt vmcnt(0)
	v_cmp_eq_u16_e32 vcc, v34, v35
	s_and_saveexec_b64 s[16:17], vcc
	s_cbranch_execz .LBB362_302
; %bb.296:
	s_mov_b64 s[46:47], 1
	s_mov_b64 s[42:43], 0
                                        ; implicit-def: $sgpr44_sgpr45
	s_branch .LBB362_299
.LBB362_297:                            ;   in Loop: Header=BB362_299 Depth=1
	v_lshl_add_u64 v[34:35], v[30:31], 0, s[46:47]
	v_lshl_add_u64 v[36:37], v[32:33], 0, s[46:47]
	global_load_ubyte v45, v[34:35], off
	global_load_ubyte v46, v[36:37], off
	s_add_u32 s48, s46, 1
	s_addc_u32 s49, s47, 0
	s_andn2_b64 s[44:45], s[44:45], exec
	s_waitcnt vmcnt(0)
	v_cmp_ne_u16_e32 vcc, v45, v46
	s_and_b64 s[50:51], vcc, exec
	s_or_b64 s[44:45], s[44:45], s[50:51]
.LBB362_298:                            ;   in Loop: Header=BB362_299 Depth=1
	s_and_b64 s[50:51], exec, s[44:45]
	s_or_b64 s[42:43], s[50:51], s[42:43]
	v_mov_b64_e32 v[34:35], s[46:47]
	s_mov_b64 s[46:47], s[48:49]
	s_andn2_b64 exec, exec, s[42:43]
	s_cbranch_execz .LBB362_301
.LBB362_299:                            ; =>This Inner Loop Header: Depth=1
	s_or_b64 s[44:45], s[44:45], exec
	s_cmp_eq_u64 s[26:27], s[46:47]
	s_cbranch_scc0 .LBB362_297
; %bb.300:                              ;   in Loop: Header=BB362_299 Depth=1
                                        ; implicit-def: $sgpr48_sgpr49
	s_mov_b64 s[46:47], s[26:27]
	s_branch .LBB362_298
.LBB362_301:
	s_or_b64 exec, exec, s[42:43]
	v_cmp_gt_i64_e32 vcc, s[26:27], v[34:35]
	s_orn2_b64 s[42:43], vcc, exec
.LBB362_302:
	s_or_b64 exec, exec, s[16:17]
.LBB362_303:
	s_and_b64 s[16:17], s[42:43], exec
.LBB362_304:
	s_or_b64 exec, exec, s[40:41]
	v_cmp_gt_u32_e32 vcc, s54, v38
	s_mov_b64 s[40:41], 0
	s_mov_b64 s[42:43], 0
	s_and_saveexec_b64 s[44:45], vcc
	s_cbranch_execz .LBB362_315
; %bb.305:
	s_andn2_b64 vcc, exec, s[6:7]
	s_mov_b64 s[46:47], 0
	s_cbranch_vccnz .LBB362_314
; %bb.306:
	v_mov_b64_e32 v[32:33], s[36:37]
	s_waitcnt vmcnt(0) lgkmcnt(1)
	v_mad_u64_u32 v[30:31], s[42:43], v24, s26, v[32:33]
	v_mul_lo_u32 v34, v24, s27
	v_mul_lo_u32 v35, v25, s26
	v_add3_u32 v31, v35, v31, v34
	v_mad_u64_u32 v[32:33], s[42:43], v18, s26, v[32:33]
	v_mul_lo_u32 v34, v18, s27
	v_mul_lo_u32 v35, v19, s26
	v_add3_u32 v33, v35, v33, v34
	global_load_ubyte v34, v[30:31], off
	global_load_ubyte v35, v[32:33], off
	s_mov_b64 s[46:47], -1
	s_waitcnt vmcnt(0)
	v_cmp_eq_u16_e32 vcc, v34, v35
	s_and_saveexec_b64 s[42:43], vcc
	s_cbranch_execz .LBB362_313
; %bb.307:
	s_mov_b64 s[50:51], 1
	s_mov_b64 s[46:47], 0
                                        ; implicit-def: $sgpr48_sgpr49
	s_branch .LBB362_310
.LBB362_308:                            ;   in Loop: Header=BB362_310 Depth=1
	v_lshl_add_u64 v[34:35], v[30:31], 0, s[50:51]
	v_lshl_add_u64 v[36:37], v[32:33], 0, s[50:51]
	global_load_ubyte v34, v[34:35], off
	s_nop 0
	global_load_ubyte v35, v[36:37], off
	s_add_u32 s52, s50, 1
	s_addc_u32 s53, s51, 0
	s_andn2_b64 s[48:49], s[48:49], exec
	s_waitcnt vmcnt(0)
	v_cmp_ne_u16_e32 vcc, v34, v35
	s_and_b64 s[56:57], vcc, exec
	s_or_b64 s[48:49], s[48:49], s[56:57]
.LBB362_309:                            ;   in Loop: Header=BB362_310 Depth=1
	s_and_b64 s[56:57], exec, s[48:49]
	s_or_b64 s[46:47], s[56:57], s[46:47]
	v_mov_b64_e32 v[34:35], s[50:51]
	s_mov_b64 s[50:51], s[52:53]
	s_andn2_b64 exec, exec, s[46:47]
	s_cbranch_execz .LBB362_312
.LBB362_310:                            ; =>This Inner Loop Header: Depth=1
	s_or_b64 s[48:49], s[48:49], exec
	s_cmp_eq_u64 s[26:27], s[50:51]
	s_cbranch_scc0 .LBB362_308
; %bb.311:                              ;   in Loop: Header=BB362_310 Depth=1
                                        ; implicit-def: $sgpr52_sgpr53
	s_mov_b64 s[50:51], s[26:27]
	s_branch .LBB362_309
.LBB362_312:
	s_or_b64 exec, exec, s[46:47]
	v_cmp_gt_i64_e32 vcc, s[26:27], v[34:35]
	s_orn2_b64 s[46:47], vcc, exec
.LBB362_313:
	s_or_b64 exec, exec, s[42:43]
.LBB362_314:
	s_and_b64 s[42:43], s[46:47], exec
.LBB362_315:
	s_or_b64 exec, exec, s[44:45]
	v_cmp_gt_u32_e32 vcc, s54, v41
	s_and_saveexec_b64 s[44:45], vcc
	s_cbranch_execz .LBB362_326
; %bb.316:
	s_andn2_b64 vcc, exec, s[6:7]
	s_mov_b64 s[46:47], 0
	s_cbranch_vccnz .LBB362_325
; %bb.317:
	v_mov_b64_e32 v[32:33], s[36:37]
	s_waitcnt vmcnt(0) lgkmcnt(1)
	v_mad_u64_u32 v[30:31], s[40:41], v22, s26, v[32:33]
	v_mul_lo_u32 v34, v22, s27
	v_mul_lo_u32 v35, v23, s26
	v_add3_u32 v31, v35, v31, v34
	v_mad_u64_u32 v[32:33], s[40:41], v24, s26, v[32:33]
	v_mul_lo_u32 v34, v24, s27
	v_mul_lo_u32 v35, v25, s26
	v_add3_u32 v33, v35, v33, v34
	global_load_ubyte v34, v[30:31], off
	global_load_ubyte v35, v[32:33], off
	s_mov_b64 s[46:47], -1
	s_waitcnt vmcnt(0)
	v_cmp_eq_u16_e32 vcc, v34, v35
	s_and_saveexec_b64 s[40:41], vcc
	s_cbranch_execz .LBB362_324
; %bb.318:
	s_mov_b64 s[50:51], 1
	s_mov_b64 s[46:47], 0
                                        ; implicit-def: $sgpr48_sgpr49
	s_branch .LBB362_321
.LBB362_319:                            ;   in Loop: Header=BB362_321 Depth=1
	v_lshl_add_u64 v[34:35], v[30:31], 0, s[50:51]
	v_lshl_add_u64 v[36:37], v[32:33], 0, s[50:51]
	global_load_ubyte v34, v[34:35], off
	s_nop 0
	global_load_ubyte v35, v[36:37], off
	s_add_u32 s52, s50, 1
	s_addc_u32 s53, s51, 0
	s_andn2_b64 s[48:49], s[48:49], exec
	s_waitcnt vmcnt(0)
	v_cmp_ne_u16_e32 vcc, v34, v35
	s_and_b64 s[56:57], vcc, exec
	s_or_b64 s[48:49], s[48:49], s[56:57]
.LBB362_320:                            ;   in Loop: Header=BB362_321 Depth=1
	s_and_b64 s[56:57], exec, s[48:49]
	s_or_b64 s[46:47], s[56:57], s[46:47]
	v_mov_b64_e32 v[34:35], s[50:51]
	s_mov_b64 s[50:51], s[52:53]
	s_andn2_b64 exec, exec, s[46:47]
	s_cbranch_execz .LBB362_323
.LBB362_321:                            ; =>This Inner Loop Header: Depth=1
	s_or_b64 s[48:49], s[48:49], exec
	s_cmp_eq_u64 s[26:27], s[50:51]
	s_cbranch_scc0 .LBB362_319
; %bb.322:                              ;   in Loop: Header=BB362_321 Depth=1
                                        ; implicit-def: $sgpr52_sgpr53
	s_mov_b64 s[50:51], s[26:27]
	s_branch .LBB362_320
.LBB362_323:
	s_or_b64 exec, exec, s[46:47]
	v_cmp_gt_i64_e32 vcc, s[26:27], v[34:35]
	s_orn2_b64 s[46:47], vcc, exec
.LBB362_324:
	s_or_b64 exec, exec, s[40:41]
.LBB362_325:
	s_and_b64 s[40:41], s[46:47], exec
.LBB362_326:
	s_or_b64 exec, exec, s[44:45]
	s_waitcnt vmcnt(0) lgkmcnt(1)
	v_cndmask_b32_e64 v31, 0, 1, s[16:17]
	v_cndmask_b32_e64 v30, 0, 1, s[42:43]
	;; [unrolled: 1-line block ×3, first 2 shown]
	v_lshlrev_b16_e32 v31, 8, v31
	v_cndmask_b32_e64 v46, 0, 1, s[14:15]
	v_cndmask_b32_e64 v32, 0, 1, s[40:41]
	v_or_b32_sdwa v30, v30, v31 dst_sel:WORD_1 dst_unused:UNUSED_PAD src0_sel:DWORD src1_sel:DWORD
	v_lshlrev_b16_e32 v31, 8, v47
	v_lshlrev_b16_e32 v32, 8, v32
	v_or_b32_e32 v31, v46, v31
	v_or_b32_e32 v32, 1, v32
	v_and_b32_e32 v31, 0xffff, v31
	v_cndmask_b32_e64 v48, 0, 1, s[4:5]
	v_or_b32_sdwa v30, v32, v30 dst_sel:DWORD dst_unused:UNUSED_PAD src0_sel:WORD_0 src1_sel:DWORD
	v_lshl_or_b32 v31, v48, 16, v31
	s_waitcnt lgkmcnt(0)
	s_barrier
	s_waitcnt lgkmcnt(0)
                                        ; implicit-def: $sgpr14_sgpr15
                                        ; implicit-def: $vgpr34
	s_and_saveexec_b64 s[4:5], s[2:3]
	s_cbranch_execz .LBB362_339
; %bb.327:
	v_cmp_gt_u32_e32 vcc, s54, v1
	s_mov_b32 s40, 0x3020104
	s_mov_b64 s[12:13], 0
	s_and_saveexec_b64 s[2:3], vcc
	s_cbranch_execz .LBB362_338
; %bb.328:
	s_andn2_b64 vcc, exec, s[6:7]
	s_cbranch_vccnz .LBB362_337
; %bb.329:
	v_add_u32_e32 v31, -8, v44
	ds_read_b64 v[32:33], v31
	v_mov_b64_e32 v[34:35], s[36:37]
	s_mov_b64 s[12:13], -1
	s_waitcnt lgkmcnt(0)
	v_mul_lo_u32 v31, v32, s27
	v_mul_lo_u32 v36, v33, s26
	v_mad_u64_u32 v[32:33], s[6:7], v32, s26, v[34:35]
	v_add3_u32 v33, v36, v33, v31
	v_mad_u64_u32 v[34:35], s[6:7], v22, s26, v[34:35]
	v_mul_lo_u32 v31, v22, s27
	v_mul_lo_u32 v36, v23, s26
	v_add3_u32 v35, v36, v35, v31
	global_load_ubyte v31, v[32:33], off
	global_load_ubyte v36, v[34:35], off
	s_waitcnt vmcnt(0)
	v_cmp_eq_u16_e32 vcc, v31, v36
	s_and_saveexec_b64 s[6:7], vcc
	s_cbranch_execz .LBB362_336
; %bb.330:
	s_mov_b64 s[16:17], 1
	s_mov_b64 s[12:13], 0
                                        ; implicit-def: $sgpr14_sgpr15
	s_branch .LBB362_333
.LBB362_331:                            ;   in Loop: Header=BB362_333 Depth=1
	v_lshl_add_u64 v[36:37], v[32:33], 0, s[16:17]
	v_lshl_add_u64 v[44:45], v[34:35], 0, s[16:17]
	global_load_ubyte v31, v[36:37], off
	global_load_ubyte v49, v[44:45], off
	s_add_u32 s36, s16, 1
	s_addc_u32 s37, s17, 0
	s_andn2_b64 s[14:15], s[14:15], exec
	s_waitcnt vmcnt(0)
	v_cmp_ne_u16_e32 vcc, v31, v49
	s_and_b64 s[42:43], vcc, exec
	s_or_b64 s[14:15], s[14:15], s[42:43]
.LBB362_332:                            ;   in Loop: Header=BB362_333 Depth=1
	s_and_b64 s[42:43], exec, s[14:15]
	s_or_b64 s[12:13], s[42:43], s[12:13]
	v_mov_b64_e32 v[36:37], s[16:17]
	s_mov_b64 s[16:17], s[36:37]
	s_andn2_b64 exec, exec, s[12:13]
	s_cbranch_execz .LBB362_335
.LBB362_333:                            ; =>This Inner Loop Header: Depth=1
	s_or_b64 s[14:15], s[14:15], exec
	s_cmp_eq_u64 s[26:27], s[16:17]
	s_cbranch_scc0 .LBB362_331
; %bb.334:                              ;   in Loop: Header=BB362_333 Depth=1
                                        ; implicit-def: $sgpr36_sgpr37
	s_mov_b64 s[16:17], s[26:27]
	s_branch .LBB362_332
.LBB362_335:
	s_or_b64 exec, exec, s[12:13]
	v_cmp_gt_i64_e32 vcc, s[26:27], v[36:37]
	s_orn2_b64 s[12:13], vcc, exec
.LBB362_336:
	s_or_b64 exec, exec, s[6:7]
.LBB362_337:
	s_and_b64 s[12:13], s[12:13], exec
.LBB362_338:
	s_or_b64 exec, exec, s[2:3]
	v_perm_b32 v34, v30, v30, s40
	s_and_b64 s[14:15], s[12:13], exec
	s_or_b64 s[10:11], s[10:11], exec
                                        ; implicit-def: $vgpr30_vgpr31
.LBB362_339:
	s_or_b64 exec, exec, s[4:5]
.LBB362_340:
	s_and_saveexec_b64 s[2:3], s[10:11]
	s_cbranch_execz .LBB362_342
; %bb.341:
	s_waitcnt vmcnt(0) lgkmcnt(0)
	v_lshlrev_b16_e32 v31, 8, v47
	v_and_b32_e32 v32, 0xff, v48
	v_or_b32_sdwa v31, v46, v31 dst_sel:DWORD dst_unused:UNUSED_PAD src0_sel:BYTE_0 src1_sel:DWORD
	v_lshlrev_b32_e32 v32, 16, v32
	s_movk_i32 s4, 0xff
	v_or_b32_sdwa v31, v31, v32 dst_sel:DWORD dst_unused:UNUSED_PAD src0_sel:WORD_0 src1_sel:DWORD
	v_lshrrev_b32_e32 v32, 24, v34
	v_lshlrev_b16_e32 v32, 8, v32
	v_and_b32_sdwa v33, v34, s4 dst_sel:DWORD dst_unused:UNUSED_PAD src0_sel:WORD_1 src1_sel:DWORD
	v_or_b32_sdwa v32, v33, v32 dst_sel:WORD_1 dst_unused:UNUSED_PAD src0_sel:DWORD src1_sel:DWORD
	v_mov_b32_e32 v33, 8
	v_cndmask_b32_e64 v30, 0, 1, s[14:15]
	v_lshrrev_b32_sdwa v33, v33, v34 dst_sel:BYTE_1 dst_unused:UNUSED_PAD src0_sel:DWORD src1_sel:DWORD
	s_nop 0
	v_or_b32_e32 v30, v30, v33
	v_or_b32_sdwa v30, v30, v32 dst_sel:DWORD dst_unused:UNUSED_PAD src0_sel:WORD_0 src1_sel:DWORD
.LBB362_342:
	s_or_b64 exec, exec, s[2:3]
	s_andn2_b64 vcc, exec, s[8:9]
	s_cbranch_vccnz .LBB362_344
; %bb.343:
	s_waitcnt vmcnt(0) lgkmcnt(0)
	v_and_b32_e32 v32, 0xffff0000, v30
	v_cmp_gt_u32_e32 vcc, s54, v1
	s_mov_b32 s2, 0x40c0100
	s_nop 0
	v_cndmask_b32_e32 v1, v32, v30, vcc
	v_and_b32_e32 v1, 0xffff00ff, v1
	v_cmp_gt_u32_e32 vcc, s54, v41
	s_nop 1
	v_cndmask_b32_e32 v1, v1, v30, vcc
	v_lshrrev_b32_e32 v32, 24, v1
	v_perm_b32 v1, v32, v1, s2
	v_cmp_gt_u32_e32 vcc, s54, v38
	v_and_b32_e32 v32, 0xffffff00, v31
	s_nop 0
	v_cndmask_b32_e32 v1, v1, v30, vcc
	v_and_b32_e32 v1, 0xffffff, v1
	v_cmp_gt_u32_e32 vcc, s54, v42
	s_nop 1
	v_cndmask_b32_e32 v1, v1, v30, vcc
	v_cmp_gt_u32_e32 vcc, s54, v39
	s_nop 1
	v_cndmask_b32_e32 v32, v32, v31, vcc
	v_and_b32_e32 v32, 0xffff00ff, v32
	v_cndmask_b32_e32 v1, v1, v30, vcc
	v_cmp_gt_u32_e32 vcc, s54, v43
	s_nop 1
	v_cndmask_b32_e32 v32, v32, v31, vcc
	v_lshrrev_b32_e32 v33, 24, v32
	v_cndmask_b32_e32 v1, v1, v30, vcc
	v_perm_b32 v32, v33, v32, s2
	v_cmp_gt_u32_e32 vcc, s54, v40
	s_mov_b32 s2, 0x3020104
	s_nop 0
	v_cndmask_b32_e32 v1, v1, v30, vcc
	v_cndmask_b32_e32 v30, v32, v31, vcc
	v_mov_b32_e32 v31, 8
	v_lshrrev_b32_sdwa v31, v31, v30 dst_sel:BYTE_1 dst_unused:UNUSED_PAD src0_sel:DWORD src1_sel:DWORD
	s_nop 0
	v_or_b32_sdwa v31, v30, v31 dst_sel:DWORD dst_unused:UNUSED_PAD src0_sel:BYTE_0 src1_sel:DWORD
	v_and_b32_e32 v31, 0xffff, v31
	v_bfe_u32 v30, v30, 16, 8
	v_lshl_or_b32 v31, v30, 16, v31
	v_perm_b32 v30, v1, v1, s2
.LBB362_344:
	s_waitcnt vmcnt(0) lgkmcnt(0)
	v_and_b32_e32 v1, 0xff, v30
	v_bfe_u32 v43, v30, 8, 8
	v_bfe_u32 v45, v30, 16, 8
	v_alignbit_b32 v32, v31, v30, 24
	v_and_b32_e32 v47, 0xff, v32
	v_and_b32_e32 v48, 0xff, v31
	v_add3_u32 v33, v43, v1, v45
	v_bfe_u32 v49, v31, 8, 8
	v_bfe_u32 v32, v31, 16, 8
	v_add3_u32 v33, v33, v47, v48
	v_add3_u32 v52, v33, v49, v32
	v_mbcnt_lo_u32_b32 v32, -1, 0
	v_mbcnt_hi_u32_b32 v50, -1, v32
	v_and_b32_e32 v32, 15, v50
	v_cmp_eq_u32_e64 s[14:15], 0, v32
	v_cmp_lt_u32_e64 s[12:13], 1, v32
	v_cmp_lt_u32_e64 s[10:11], 3, v32
	v_cmp_lt_u32_e64 s[8:9], 7, v32
	v_and_b32_e32 v32, 16, v50
	v_cmp_eq_u32_e64 s[6:7], 0, v32
	v_or_b32_e32 v32, 63, v0
	v_cmp_lt_u32_e64 s[2:3], 31, v50
	v_lshrrev_b32_e32 v51, 6, v0
	v_cmp_eq_u32_e64 s[4:5], v32, v0
	s_and_b64 vcc, exec, s[0:1]
	s_barrier
	s_cbranch_vccz .LBB362_375
; %bb.345:
	v_mov_b32_dpp v32, v52 row_shr:1 row_mask:0xf bank_mask:0xf
	v_cndmask_b32_e64 v32, v32, 0, s[14:15]
	v_add_u32_e32 v32, v32, v52
	s_nop 1
	v_mov_b32_dpp v33, v32 row_shr:2 row_mask:0xf bank_mask:0xf
	v_cndmask_b32_e64 v33, 0, v33, s[12:13]
	v_add_u32_e32 v32, v32, v33
	s_nop 1
	v_mov_b32_dpp v33, v32 row_shr:4 row_mask:0xf bank_mask:0xf
	v_cndmask_b32_e64 v33, 0, v33, s[10:11]
	v_add_u32_e32 v32, v32, v33
	s_nop 1
	v_mov_b32_dpp v33, v32 row_shr:8 row_mask:0xf bank_mask:0xf
	v_cndmask_b32_e64 v33, 0, v33, s[8:9]
	v_add_u32_e32 v32, v32, v33
	s_nop 1
	v_mov_b32_dpp v33, v32 row_bcast:15 row_mask:0xf bank_mask:0xf
	v_cndmask_b32_e64 v33, v33, 0, s[6:7]
	v_add_u32_e32 v32, v32, v33
	s_nop 1
	v_mov_b32_dpp v33, v32 row_bcast:31 row_mask:0xf bank_mask:0xf
	v_cndmask_b32_e64 v33, 0, v33, s[2:3]
	v_add_u32_e32 v32, v32, v33
	s_and_saveexec_b64 s[0:1], s[4:5]
	s_cbranch_execz .LBB362_347
; %bb.346:
	v_lshlrev_b32_e32 v33, 2, v51
	ds_write_b32 v33, v32
.LBB362_347:
	s_or_b64 exec, exec, s[0:1]
	v_cmp_gt_u32_e32 vcc, 8, v0
	s_waitcnt lgkmcnt(0)
	s_barrier
	s_and_saveexec_b64 s[0:1], vcc
	s_cbranch_execz .LBB362_349
; %bb.348:
	v_lshlrev_b32_e32 v33, 2, v0
	ds_read_b32 v34, v33
	v_and_b32_e32 v35, 7, v50
	v_cmp_ne_u32_e32 vcc, 0, v35
	s_waitcnt lgkmcnt(0)
	v_mov_b32_dpp v36, v34 row_shr:1 row_mask:0xf bank_mask:0xf
	v_cndmask_b32_e32 v36, 0, v36, vcc
	v_add_u32_e32 v34, v36, v34
	v_cmp_lt_u32_e32 vcc, 1, v35
	s_nop 0
	v_mov_b32_dpp v36, v34 row_shr:2 row_mask:0xf bank_mask:0xf
	v_cndmask_b32_e32 v36, 0, v36, vcc
	v_add_u32_e32 v34, v34, v36
	v_cmp_lt_u32_e32 vcc, 3, v35
	s_nop 0
	v_mov_b32_dpp v36, v34 row_shr:4 row_mask:0xf bank_mask:0xf
	v_cndmask_b32_e32 v35, 0, v36, vcc
	v_add_u32_e32 v34, v34, v35
	ds_write_b32 v33, v34
.LBB362_349:
	s_or_b64 exec, exec, s[0:1]
	v_cmp_gt_u32_e32 vcc, 64, v0
	v_cmp_lt_u32_e64 s[0:1], 63, v0
	s_waitcnt lgkmcnt(0)
	s_barrier
	s_waitcnt lgkmcnt(0)
                                        ; implicit-def: $vgpr42
	s_and_saveexec_b64 s[16:17], s[0:1]
	s_cbranch_execz .LBB362_351
; %bb.350:
	v_lshl_add_u32 v33, v51, 2, -4
	ds_read_b32 v42, v33
	s_waitcnt lgkmcnt(0)
	v_add_u32_e32 v32, v42, v32
.LBB362_351:
	s_or_b64 exec, exec, s[16:17]
	v_add_u32_e32 v33, -1, v50
	v_and_b32_e32 v34, 64, v50
	v_cmp_lt_i32_e64 s[0:1], v33, v34
	v_cmp_eq_u32_e64 s[16:17], 0, v50
	s_nop 0
	v_cndmask_b32_e64 v33, v33, v50, s[0:1]
	v_lshlrev_b32_e32 v33, 2, v33
	ds_bpermute_b32 v44, v33, v32
	s_and_saveexec_b64 s[0:1], vcc
	s_cbranch_execz .LBB362_374
; %bb.352:
	v_mov_b32_e32 v41, 0
	ds_read_b32 v32, v41 offset:28
	s_and_saveexec_b64 s[26:27], s[16:17]
	s_cbranch_execz .LBB362_354
; %bb.353:
	s_add_i32 s36, s33, 64
	s_mov_b32 s37, 0
	s_lshl_b64 s[36:37], s[36:37], 3
	s_add_u32 s36, s38, s36
	v_mov_b32_e32 v33, 1
	s_addc_u32 s37, s39, s37
	s_waitcnt lgkmcnt(0)
	global_store_dwordx2 v41, v[32:33], s[36:37] sc1
.LBB362_354:
	s_or_b64 exec, exec, s[26:27]
	v_xad_u32 v34, v50, -1, s33
	v_add_u32_e32 v40, 64, v34
	v_lshl_add_u64 v[36:37], v[40:41], 3, s[38:39]
	global_load_dwordx2 v[38:39], v[36:37], off sc1
	s_waitcnt vmcnt(0)
	v_cmp_eq_u16_sdwa s[36:37], v39, v41 src0_sel:BYTE_0 src1_sel:DWORD
	s_and_saveexec_b64 s[26:27], s[36:37]
	s_cbranch_execz .LBB362_360
; %bb.355:
	s_mov_b32 s40, 1
	s_mov_b64 s[36:37], 0
	v_mov_b32_e32 v33, 0
.LBB362_356:                            ; =>This Loop Header: Depth=1
                                        ;     Child Loop BB362_357 Depth 2
	s_max_u32 s41, s40, 1
.LBB362_357:                            ;   Parent Loop BB362_356 Depth=1
                                        ; =>  This Inner Loop Header: Depth=2
	s_add_i32 s41, s41, -1
	s_cmp_eq_u32 s41, 0
	s_sleep 1
	s_cbranch_scc0 .LBB362_357
; %bb.358:                              ;   in Loop: Header=BB362_356 Depth=1
	global_load_dwordx2 v[38:39], v[36:37], off sc1
	s_cmp_lt_u32 s40, 32
	s_cselect_b64 s[42:43], -1, 0
	s_cmp_lg_u64 s[42:43], 0
	s_addc_u32 s40, s40, 0
	s_waitcnt vmcnt(0)
	v_cmp_ne_u16_sdwa s[42:43], v39, v33 src0_sel:BYTE_0 src1_sel:DWORD
	s_or_b64 s[36:37], s[42:43], s[36:37]
	s_andn2_b64 exec, exec, s[36:37]
	s_cbranch_execnz .LBB362_356
; %bb.359:
	s_or_b64 exec, exec, s[36:37]
.LBB362_360:
	s_or_b64 exec, exec, s[26:27]
	v_and_b32_e32 v46, 63, v50
	v_mov_b32_e32 v33, 2
	v_cmp_ne_u32_e32 vcc, 63, v46
	v_cmp_eq_u16_sdwa s[26:27], v39, v33 src0_sel:BYTE_0 src1_sel:DWORD
	v_lshlrev_b64 v[36:37], v50, -1
	v_addc_co_u32_e32 v41, vcc, 0, v50, vcc
	v_and_b32_e32 v35, s27, v37
	v_lshlrev_b32_e32 v53, 2, v41
	v_or_b32_e32 v35, 0x80000000, v35
	ds_bpermute_b32 v41, v53, v38
	v_and_b32_e32 v40, s26, v36
	v_ffbl_b32_e32 v35, v35
	v_add_u32_e32 v35, 32, v35
	v_ffbl_b32_e32 v40, v40
	v_min_u32_e32 v35, v40, v35
	v_cmp_lt_u32_e32 vcc, v46, v35
	v_add_u32_e32 v55, 2, v46
	v_add_u32_e32 v57, 4, v46
	s_waitcnt lgkmcnt(0)
	v_cndmask_b32_e32 v40, 0, v41, vcc
	v_cmp_gt_u32_e32 vcc, 62, v46
	v_add_u32_e32 v38, v40, v38
	v_add_u32_e32 v59, 8, v46
	v_cndmask_b32_e64 v40, 0, 1, vcc
	v_lshlrev_b32_e32 v40, 1, v40
	v_add_lshl_u32 v54, v40, v50, 2
	ds_bpermute_b32 v40, v54, v38
	v_cmp_le_u32_e32 vcc, v55, v35
	v_add_u32_e32 v62, 16, v46
	v_add_u32_e32 v64, 32, v46
	s_waitcnt lgkmcnt(0)
	v_cndmask_b32_e32 v40, 0, v40, vcc
	v_cmp_gt_u32_e32 vcc, 60, v46
	v_add_u32_e32 v38, v38, v40
	s_nop 0
	v_cndmask_b32_e64 v40, 0, 1, vcc
	v_lshlrev_b32_e32 v40, 2, v40
	v_add_lshl_u32 v56, v40, v50, 2
	ds_bpermute_b32 v40, v56, v38
	v_cmp_le_u32_e32 vcc, v57, v35
	s_waitcnt lgkmcnt(0)
	s_nop 0
	v_cndmask_b32_e32 v40, 0, v40, vcc
	v_cmp_gt_u32_e32 vcc, 56, v46
	v_add_u32_e32 v38, v38, v40
	s_nop 0
	v_cndmask_b32_e64 v40, 0, 1, vcc
	v_lshlrev_b32_e32 v40, 3, v40
	v_add_lshl_u32 v58, v40, v50, 2
	ds_bpermute_b32 v40, v58, v38
	v_cmp_le_u32_e32 vcc, v59, v35
	s_waitcnt lgkmcnt(0)
	s_nop 0
	;; [unrolled: 11-line block ×4, first 2 shown]
	v_cndmask_b32_e32 v35, 0, v40, vcc
	v_add_u32_e32 v38, v38, v35
	v_mov_b32_e32 v35, 0
	s_branch .LBB362_362
.LBB362_361:                            ;   in Loop: Header=BB362_362 Depth=1
	s_or_b64 exec, exec, s[26:27]
	v_cmp_eq_u16_sdwa s[26:27], v39, v33 src0_sel:BYTE_0 src1_sel:DWORD
	ds_bpermute_b32 v65, v53, v38
	v_subrev_u32_e32 v34, 64, v34
	v_and_b32_e32 v40, s27, v37
	v_or_b32_e32 v40, 0x80000000, v40
	v_and_b32_e32 v41, s26, v36
	v_ffbl_b32_e32 v40, v40
	v_add_u32_e32 v40, 32, v40
	v_ffbl_b32_e32 v41, v41
	v_min_u32_e32 v40, v41, v40
	v_cmp_lt_u32_e32 vcc, v46, v40
	s_waitcnt lgkmcnt(0)
	s_nop 0
	v_cndmask_b32_e32 v41, 0, v65, vcc
	v_add_u32_e32 v38, v41, v38
	ds_bpermute_b32 v41, v54, v38
	v_cmp_le_u32_e32 vcc, v55, v40
	s_waitcnt lgkmcnt(0)
	s_nop 0
	v_cndmask_b32_e32 v41, 0, v41, vcc
	v_add_u32_e32 v38, v38, v41
	ds_bpermute_b32 v41, v56, v38
	v_cmp_le_u32_e32 vcc, v57, v40
	;; [unrolled: 6-line block ×5, first 2 shown]
	s_waitcnt lgkmcnt(0)
	s_nop 0
	v_cndmask_b32_e32 v40, 0, v41, vcc
	v_add3_u32 v38, v40, v60, v38
.LBB362_362:                            ; =>This Loop Header: Depth=1
                                        ;     Child Loop BB362_365 Depth 2
                                        ;       Child Loop BB362_366 Depth 3
	v_cmp_ne_u16_sdwa s[26:27], v39, v33 src0_sel:BYTE_0 src1_sel:DWORD
	v_mov_b32_e32 v60, v38
	s_nop 0
	v_cndmask_b32_e64 v39, 0, 1, s[26:27]
	;;#ASMSTART
	;;#ASMEND
	s_nop 0
	v_cmp_ne_u32_e32 vcc, 0, v39
	s_cmp_lg_u64 vcc, exec
	s_cbranch_scc1 .LBB362_369
; %bb.363:                              ;   in Loop: Header=BB362_362 Depth=1
	v_lshl_add_u64 v[40:41], v[34:35], 3, s[38:39]
	global_load_dwordx2 v[38:39], v[40:41], off sc1
	s_waitcnt vmcnt(0)
	v_cmp_eq_u16_sdwa s[36:37], v39, v35 src0_sel:BYTE_0 src1_sel:DWORD
	s_and_saveexec_b64 s[26:27], s[36:37]
	s_cbranch_execz .LBB362_361
; %bb.364:                              ;   in Loop: Header=BB362_362 Depth=1
	s_mov_b32 s40, 1
	s_mov_b64 s[36:37], 0
.LBB362_365:                            ;   Parent Loop BB362_362 Depth=1
                                        ; =>  This Loop Header: Depth=2
                                        ;       Child Loop BB362_366 Depth 3
	s_max_u32 s41, s40, 1
.LBB362_366:                            ;   Parent Loop BB362_362 Depth=1
                                        ;     Parent Loop BB362_365 Depth=2
                                        ; =>    This Inner Loop Header: Depth=3
	s_add_i32 s41, s41, -1
	s_cmp_eq_u32 s41, 0
	s_sleep 1
	s_cbranch_scc0 .LBB362_366
; %bb.367:                              ;   in Loop: Header=BB362_365 Depth=2
	global_load_dwordx2 v[38:39], v[40:41], off sc1
	s_cmp_lt_u32 s40, 32
	s_cselect_b64 s[42:43], -1, 0
	s_cmp_lg_u64 s[42:43], 0
	s_addc_u32 s40, s40, 0
	s_waitcnt vmcnt(0)
	v_cmp_ne_u16_sdwa s[42:43], v39, v35 src0_sel:BYTE_0 src1_sel:DWORD
	s_or_b64 s[36:37], s[42:43], s[36:37]
	s_andn2_b64 exec, exec, s[36:37]
	s_cbranch_execnz .LBB362_365
; %bb.368:                              ;   in Loop: Header=BB362_362 Depth=1
	s_or_b64 exec, exec, s[36:37]
	s_branch .LBB362_361
.LBB362_369:                            ;   in Loop: Header=BB362_362 Depth=1
                                        ; implicit-def: $vgpr38
                                        ; implicit-def: $vgpr39
	s_cbranch_execz .LBB362_362
; %bb.370:
	s_and_saveexec_b64 s[26:27], s[16:17]
	s_cbranch_execz .LBB362_372
; %bb.371:
	s_add_i32 s36, s33, 64
	s_mov_b32 s37, 0
	s_lshl_b64 s[36:37], s[36:37], 3
	s_add_u32 s36, s38, s36
	v_add_u32_e32 v34, v60, v32
	v_mov_b32_e32 v35, 2
	s_addc_u32 s37, s39, s37
	v_mov_b32_e32 v33, 0
	s_movk_i32 s33, 0x7000
	global_store_dwordx2 v33, v[34:35], s[36:37] sc1
	v_add_u32_e64 v33, s33, 0
	ds_write2_b32 v33, v32, v60 offset1:2
.LBB362_372:
	s_or_b64 exec, exec, s[26:27]
	s_and_b64 exec, exec, s[18:19]
	s_cbranch_execz .LBB362_374
; %bb.373:
	v_mov_b32_e32 v32, 0
	ds_write_b32 v32, v60 offset:28
.LBB362_374:
	s_or_b64 exec, exec, s[0:1]
	v_mov_b32_e32 v32, 0
	s_waitcnt lgkmcnt(0)
	s_barrier
	ds_read_b32 v32, v32 offset:28
	v_cndmask_b32_e64 v33, v44, v42, s[16:17]
	v_cndmask_b32_e64 v33, v33, 0, s[18:19]
	s_movk_i32 s0, 0x7000
	s_waitcnt lgkmcnt(0)
	v_add_u32_e32 v46, v32, v33
	v_add_u32_e64 v32, s0, 0
	v_add_u32_e32 v44, v46, v1
	s_barrier
	ds_read2_b32 v[32:33], v32 offset1:2
	v_add_u32_e32 v42, v44, v43
	v_add_u32_e32 v40, v42, v45
	;; [unrolled: 1-line block ×5, first 2 shown]
	s_waitcnt lgkmcnt(0)
	v_readfirstlane_b32 s26, v32
	v_readfirstlane_b32 s16, v33
	v_lshrrev_b64 v[32:33], 24, v[30:31]
	s_branch .LBB362_385
.LBB362_375:
                                        ; implicit-def: $vgpr34
                                        ; implicit-def: $vgpr36
                                        ; implicit-def: $vgpr38
                                        ; implicit-def: $vgpr40
                                        ; implicit-def: $vgpr42
                                        ; implicit-def: $vgpr44
                                        ; implicit-def: $vgpr46
                                        ; implicit-def: $sgpr16
                                        ; implicit-def: $sgpr26
	v_lshrrev_b64 v[32:33], 24, v[30:31]
	s_cbranch_execz .LBB362_385
; %bb.376:
	s_nop 0
	v_mov_b32_dpp v33, v52 row_shr:1 row_mask:0xf bank_mask:0xf
	v_cndmask_b32_e64 v33, v33, 0, s[14:15]
	v_add_u32_e32 v33, v33, v52
	s_nop 1
	v_mov_b32_dpp v34, v33 row_shr:2 row_mask:0xf bank_mask:0xf
	v_cndmask_b32_e64 v34, 0, v34, s[12:13]
	v_add_u32_e32 v33, v33, v34
	;; [unrolled: 4-line block ×4, first 2 shown]
	s_nop 1
	v_mov_b32_dpp v34, v33 row_bcast:15 row_mask:0xf bank_mask:0xf
	v_cndmask_b32_e64 v34, v34, 0, s[6:7]
	v_add_u32_e32 v33, v33, v34
	s_nop 1
	v_mov_b32_dpp v34, v33 row_bcast:31 row_mask:0xf bank_mask:0xf
	v_cndmask_b32_e64 v34, 0, v34, s[2:3]
	v_add_u32_e32 v33, v33, v34
	s_and_saveexec_b64 s[0:1], s[4:5]
	s_cbranch_execz .LBB362_378
; %bb.377:
	v_lshlrev_b32_e32 v34, 2, v51
	ds_write_b32 v34, v33
.LBB362_378:
	s_or_b64 exec, exec, s[0:1]
	v_cmp_gt_u32_e32 vcc, 8, v0
	s_waitcnt lgkmcnt(0)
	s_barrier
	s_and_saveexec_b64 s[0:1], vcc
	s_cbranch_execz .LBB362_380
; %bb.379:
	v_lshlrev_b32_e32 v34, 2, v0
	ds_read_b32 v35, v34
	v_and_b32_e32 v36, 7, v50
	v_cmp_ne_u32_e32 vcc, 0, v36
	s_waitcnt lgkmcnt(0)
	v_mov_b32_dpp v37, v35 row_shr:1 row_mask:0xf bank_mask:0xf
	v_cndmask_b32_e32 v37, 0, v37, vcc
	v_add_u32_e32 v35, v37, v35
	v_cmp_lt_u32_e32 vcc, 1, v36
	s_nop 0
	v_mov_b32_dpp v37, v35 row_shr:2 row_mask:0xf bank_mask:0xf
	v_cndmask_b32_e32 v37, 0, v37, vcc
	v_add_u32_e32 v35, v35, v37
	v_cmp_lt_u32_e32 vcc, 3, v36
	s_nop 0
	v_mov_b32_dpp v37, v35 row_shr:4 row_mask:0xf bank_mask:0xf
	v_cndmask_b32_e32 v36, 0, v37, vcc
	v_add_u32_e32 v35, v35, v36
	ds_write_b32 v34, v35
.LBB362_380:
	s_or_b64 exec, exec, s[0:1]
	v_cmp_lt_u32_e32 vcc, 63, v0
	v_mov_b32_e32 v35, 0
	v_mov_b32_e32 v34, 0
	s_waitcnt lgkmcnt(0)
	s_barrier
	s_and_saveexec_b64 s[0:1], vcc
	s_cbranch_execz .LBB362_382
; %bb.381:
	v_lshl_add_u32 v34, v51, 2, -4
	ds_read_b32 v34, v34
.LBB362_382:
	s_or_b64 exec, exec, s[0:1]
	v_add_u32_e32 v36, -1, v50
	v_and_b32_e32 v37, 64, v50
	v_cmp_lt_i32_e32 vcc, v36, v37
	s_waitcnt lgkmcnt(0)
	v_add_u32_e32 v33, v34, v33
	ds_read_b32 v35, v35 offset:28
	v_cndmask_b32_e32 v36, v36, v50, vcc
	v_lshlrev_b32_e32 v36, 2, v36
	ds_bpermute_b32 v33, v36, v33
	s_waitcnt lgkmcnt(1)
	v_readfirstlane_b32 s26, v35
	s_and_saveexec_b64 s[0:1], s[18:19]
	s_cbranch_execz .LBB362_384
; %bb.383:
	v_mov_b32_e32 v35, 0
	v_mov_b32_e32 v36, s26
	v_mov_b32_e32 v37, 2
	global_store_dwordx2 v35, v[36:37], s[38:39] offset:512 sc1
.LBB362_384:
	s_or_b64 exec, exec, s[0:1]
	v_cmp_eq_u32_e32 vcc, 0, v50
	s_mov_b32 s16, 0
	s_waitcnt lgkmcnt(0)
	v_cndmask_b32_e32 v33, v33, v34, vcc
	v_cndmask_b32_e64 v46, v33, 0, s[18:19]
	v_add_u32_e32 v44, v46, v1
	v_add_u32_e32 v42, v44, v43
	;; [unrolled: 1-line block ×6, first 2 shown]
	s_barrier
.LBB362_385:
	s_cmpk_lt_u32 s26, 0x201
	s_cselect_b64 s[2:3], -1, 0
	v_lshrrev_b32_e32 v33, 8, v30
	v_lshrrev_b32_e32 v1, 8, v31
	s_mov_b64 s[0:1], -1
	s_and_b64 vcc, exec, s[2:3]
	s_cbranch_vccz .LBB362_408
; %bb.386:
	s_add_i32 s4, s16, s26
	v_cmp_gt_u32_e32 vcc, s4, v46
	s_or_b64 s[6:7], s[34:35], vcc
	s_and_saveexec_b64 s[0:1], s[6:7]
	s_cbranch_execz .LBB362_389
; %bb.387:
	v_and_b32_e32 v35, 1, v30
	v_cmp_eq_u32_e32 vcc, 1, v35
	s_and_b64 exec, exec, vcc
	s_cbranch_execz .LBB362_389
; %bb.388:
	s_lshl_b64 s[6:7], s[22:23], 3
	s_add_u32 s6, s28, s6
	s_addc_u32 s7, s29, s7
	v_mov_b32_e32 v47, 0
	v_lshl_add_u64 v[48:49], v[46:47], 3, s[6:7]
	global_store_dwordx2 v[48:49], v[22:23], off
.LBB362_389:
	s_or_b64 exec, exec, s[0:1]
	v_cmp_gt_u32_e32 vcc, s4, v44
	s_or_b64 s[6:7], s[34:35], vcc
	s_and_saveexec_b64 s[0:1], s[6:7]
	s_cbranch_execz .LBB362_392
; %bb.390:
	v_and_b32_e32 v35, 1, v33
	v_cmp_eq_u32_e32 vcc, 1, v35
	s_and_b64 exec, exec, vcc
	s_cbranch_execz .LBB362_392
; %bb.391:
	s_lshl_b64 s[6:7], s[22:23], 3
	s_add_u32 s6, s28, s6
	s_addc_u32 s7, s29, s7
	v_mov_b32_e32 v45, 0
	v_lshl_add_u64 v[48:49], v[44:45], 3, s[6:7]
	global_store_dwordx2 v[48:49], v[24:25], off
.LBB362_392:
	s_or_b64 exec, exec, s[0:1]
	v_cmp_gt_u32_e32 vcc, s4, v42
	s_or_b64 s[6:7], s[34:35], vcc
	s_and_saveexec_b64 s[0:1], s[6:7]
	s_cbranch_execz .LBB362_395
; %bb.393:
	v_mov_b32_e32 v35, 1
	v_and_b32_sdwa v35, v35, v30 dst_sel:DWORD dst_unused:UNUSED_PAD src0_sel:DWORD src1_sel:WORD_1
	v_cmp_eq_u32_e32 vcc, 1, v35
	s_and_b64 exec, exec, vcc
	s_cbranch_execz .LBB362_395
; %bb.394:
	s_lshl_b64 s[6:7], s[22:23], 3
	s_add_u32 s6, s28, s6
	s_addc_u32 s7, s29, s7
	v_mov_b32_e32 v43, 0
	v_lshl_add_u64 v[48:49], v[42:43], 3, s[6:7]
	global_store_dwordx2 v[48:49], v[18:19], off
.LBB362_395:
	s_or_b64 exec, exec, s[0:1]
	v_cmp_gt_u32_e32 vcc, s4, v40
	s_or_b64 s[6:7], s[34:35], vcc
	s_and_saveexec_b64 s[0:1], s[6:7]
	s_cbranch_execz .LBB362_398
; %bb.396:
	v_and_b32_e32 v35, 1, v32
	v_cmp_eq_u32_e32 vcc, 1, v35
	s_and_b64 exec, exec, vcc
	s_cbranch_execz .LBB362_398
; %bb.397:
	s_lshl_b64 s[6:7], s[22:23], 3
	s_add_u32 s6, s28, s6
	s_addc_u32 s7, s29, s7
	v_mov_b32_e32 v41, 0
	v_lshl_add_u64 v[48:49], v[40:41], 3, s[6:7]
	global_store_dwordx2 v[48:49], v[20:21], off
.LBB362_398:
	s_or_b64 exec, exec, s[0:1]
	v_cmp_gt_u32_e32 vcc, s4, v38
	s_or_b64 s[6:7], s[34:35], vcc
	s_and_saveexec_b64 s[0:1], s[6:7]
	s_cbranch_execz .LBB362_401
; %bb.399:
	v_and_b32_e32 v35, 1, v31
	v_cmp_eq_u32_e32 vcc, 1, v35
	s_and_b64 exec, exec, vcc
	s_cbranch_execz .LBB362_401
; %bb.400:
	s_lshl_b64 s[6:7], s[22:23], 3
	s_add_u32 s6, s28, s6
	s_addc_u32 s7, s29, s7
	v_mov_b32_e32 v39, 0
	v_lshl_add_u64 v[48:49], v[38:39], 3, s[6:7]
	global_store_dwordx2 v[48:49], v[14:15], off
.LBB362_401:
	;; [unrolled: 18-line block ×3, first 2 shown]
	s_or_b64 exec, exec, s[0:1]
	v_cmp_gt_u32_e32 vcc, s4, v34
	s_or_b64 s[4:5], s[34:35], vcc
	s_and_saveexec_b64 s[0:1], s[4:5]
	s_cbranch_execz .LBB362_407
; %bb.405:
	v_mov_b32_e32 v35, 1
	v_and_b32_sdwa v35, v35, v31 dst_sel:DWORD dst_unused:UNUSED_PAD src0_sel:DWORD src1_sel:WORD_1
	v_cmp_eq_u32_e32 vcc, 1, v35
	s_and_b64 exec, exec, vcc
	s_cbranch_execz .LBB362_407
; %bb.406:
	s_lshl_b64 s[4:5], s[22:23], 3
	s_add_u32 s4, s28, s4
	s_addc_u32 s5, s29, s5
	v_mov_b32_e32 v35, 0
	v_lshl_add_u64 v[48:49], v[34:35], 3, s[4:5]
	global_store_dwordx2 v[48:49], v[28:29], off
.LBB362_407:
	s_or_b64 exec, exec, s[0:1]
	s_mov_b64 s[0:1], 0
.LBB362_408:
	v_and_b32_e32 v48, 1, v30
	s_and_b64 vcc, exec, s[0:1]
	v_cmp_eq_u32_e64 s[0:1], 1, v48
	s_cbranch_vccz .LBB362_427
; %bb.409:
	s_and_saveexec_b64 s[4:5], s[0:1]
	s_cbranch_execz .LBB362_411
; %bb.410:
	v_subrev_u32_e32 v35, s16, v46
	v_lshlrev_b32_e32 v35, 3, v35
	ds_write_b64 v35, v[22:23]
.LBB362_411:
	s_or_b64 exec, exec, s[4:5]
	v_and_b32_e32 v22, 1, v33
	v_cmp_eq_u32_e32 vcc, 1, v22
	s_and_saveexec_b64 s[0:1], vcc
	s_cbranch_execz .LBB362_413
; %bb.412:
	v_subrev_u32_e32 v22, s16, v44
	v_lshlrev_b32_e32 v22, 3, v22
	ds_write_b64 v22, v[24:25]
.LBB362_413:
	s_or_b64 exec, exec, s[0:1]
	v_mov_b32_e32 v22, 1
	v_and_b32_sdwa v22, v22, v30 dst_sel:DWORD dst_unused:UNUSED_PAD src0_sel:DWORD src1_sel:WORD_1
	v_cmp_eq_u32_e32 vcc, 1, v22
	s_and_saveexec_b64 s[0:1], vcc
	s_cbranch_execz .LBB362_415
; %bb.414:
	v_subrev_u32_e32 v22, s16, v42
	v_lshlrev_b32_e32 v22, 3, v22
	ds_write_b64 v22, v[18:19]
.LBB362_415:
	s_or_b64 exec, exec, s[0:1]
	v_and_b32_e32 v18, 1, v32
	v_cmp_eq_u32_e32 vcc, 1, v18
	s_and_saveexec_b64 s[0:1], vcc
	s_cbranch_execz .LBB362_417
; %bb.416:
	v_subrev_u32_e32 v18, s16, v40
	v_lshlrev_b32_e32 v18, 3, v18
	ds_write_b64 v18, v[20:21]
.LBB362_417:
	s_or_b64 exec, exec, s[0:1]
	v_and_b32_e32 v18, 1, v31
	;; [unrolled: 10-line block ×3, first 2 shown]
	v_cmp_eq_u32_e32 vcc, 1, v14
	s_and_saveexec_b64 s[0:1], vcc
	s_cbranch_execz .LBB362_421
; %bb.420:
	v_subrev_u32_e32 v14, s16, v36
	v_lshlrev_b32_e32 v14, 3, v14
	ds_write_b64 v14, v[16:17]
.LBB362_421:
	s_or_b64 exec, exec, s[0:1]
	v_mov_b32_e32 v14, 1
	v_and_b32_sdwa v14, v14, v31 dst_sel:DWORD dst_unused:UNUSED_PAD src0_sel:DWORD src1_sel:WORD_1
	v_cmp_eq_u32_e32 vcc, 1, v14
	s_and_saveexec_b64 s[0:1], vcc
	s_cbranch_execz .LBB362_423
; %bb.422:
	v_subrev_u32_e32 v14, s16, v34
	v_lshlrev_b32_e32 v14, 3, v14
	ds_write_b64 v14, v[28:29]
.LBB362_423:
	s_or_b64 exec, exec, s[0:1]
	v_cmp_gt_u32_e32 vcc, s26, v0
	s_waitcnt lgkmcnt(0)
	s_barrier
	s_and_saveexec_b64 s[0:1], vcc
	s_cbranch_execz .LBB362_426
; %bb.424:
	s_mov_b32 s17, 0
	s_lshl_b64 s[4:5], s[22:23], 3
	s_lshl_b64 s[6:7], s[16:17], 3
	s_add_u32 s4, s4, s6
	s_addc_u32 s5, s5, s7
	s_add_u32 s4, s28, s4
	v_lshlrev_b32_e32 v14, 3, v0
	v_mov_b32_e32 v15, 0
	s_addc_u32 s5, s29, s5
	v_lshl_add_u64 v[16:17], s[4:5], 0, v[14:15]
	s_mov_b64 s[4:5], 0
	s_mov_b64 s[6:7], 0x1000
	v_mov_b32_e32 v15, v0
.LBB362_425:                            ; =>This Inner Loop Header: Depth=1
	ds_read_b64 v[18:19], v14
	v_add_u32_e32 v15, 0x200, v15
	v_cmp_le_u32_e32 vcc, s26, v15
	v_add_u32_e32 v14, 0x1000, v14
	s_or_b64 s[4:5], vcc, s[4:5]
	s_waitcnt lgkmcnt(0)
	global_store_dwordx2 v[16:17], v[18:19], off
	v_lshl_add_u64 v[16:17], v[16:17], 0, s[6:7]
	s_andn2_b64 exec, exec, s[4:5]
	s_cbranch_execnz .LBB362_425
.LBB362_426:
	s_or_b64 exec, exec, s[0:1]
.LBB362_427:
	s_mov_b64 s[0:1], -1
	s_and_b64 vcc, exec, s[2:3]
	s_barrier
	s_cbranch_vccnz .LBB362_431
; %bb.428:
	s_and_b64 vcc, exec, s[0:1]
	s_cbranch_vccnz .LBB362_453
.LBB362_429:
	s_and_b64 s[0:1], s[18:19], s[24:25]
	s_and_saveexec_b64 s[2:3], s[0:1]
	s_cbranch_execnz .LBB362_471
.LBB362_430:
	s_endpgm
.LBB362_431:
	s_add_i32 s2, s16, s26
	v_cmp_gt_u32_e32 vcc, s2, v46
	s_or_b64 s[4:5], s[34:35], vcc
	s_and_saveexec_b64 s[0:1], s[4:5]
	s_cbranch_execz .LBB362_434
; %bb.432:
	v_cmp_eq_u32_e32 vcc, 1, v48
	s_and_b64 exec, exec, vcc
	s_cbranch_execz .LBB362_434
; %bb.433:
	s_lshl_b64 s[4:5], s[22:23], 3
	s_add_u32 s4, s30, s4
	s_addc_u32 s5, s31, s5
	v_mov_b32_e32 v47, 0
	v_lshl_add_u64 v[14:15], v[46:47], 3, s[4:5]
	global_store_dwordx2 v[14:15], v[10:11], off
.LBB362_434:
	s_or_b64 exec, exec, s[0:1]
	v_cmp_gt_u32_e32 vcc, s2, v44
	s_or_b64 s[4:5], s[34:35], vcc
	s_and_saveexec_b64 s[0:1], s[4:5]
	s_cbranch_execz .LBB362_437
; %bb.435:
	v_and_b32_e32 v14, 1, v33
	v_cmp_eq_u32_e32 vcc, 1, v14
	s_and_b64 exec, exec, vcc
	s_cbranch_execz .LBB362_437
; %bb.436:
	s_lshl_b64 s[4:5], s[22:23], 3
	s_add_u32 s4, s30, s4
	s_addc_u32 s5, s31, s5
	v_mov_b32_e32 v45, 0
	v_lshl_add_u64 v[14:15], v[44:45], 3, s[4:5]
	global_store_dwordx2 v[14:15], v[12:13], off
.LBB362_437:
	s_or_b64 exec, exec, s[0:1]
	v_cmp_gt_u32_e32 vcc, s2, v42
	s_or_b64 s[4:5], s[34:35], vcc
	s_and_saveexec_b64 s[0:1], s[4:5]
	s_cbranch_execz .LBB362_440
; %bb.438:
	v_mov_b32_e32 v14, 1
	v_and_b32_sdwa v14, v14, v30 dst_sel:DWORD dst_unused:UNUSED_PAD src0_sel:DWORD src1_sel:WORD_1
	v_cmp_eq_u32_e32 vcc, 1, v14
	s_and_b64 exec, exec, vcc
	s_cbranch_execz .LBB362_440
; %bb.439:
	s_lshl_b64 s[4:5], s[22:23], 3
	s_add_u32 s4, s30, s4
	s_addc_u32 s5, s31, s5
	v_mov_b32_e32 v43, 0
	v_lshl_add_u64 v[14:15], v[42:43], 3, s[4:5]
	global_store_dwordx2 v[14:15], v[6:7], off
.LBB362_440:
	s_or_b64 exec, exec, s[0:1]
	v_cmp_gt_u32_e32 vcc, s2, v40
	s_or_b64 s[4:5], s[34:35], vcc
	s_and_saveexec_b64 s[0:1], s[4:5]
	s_cbranch_execz .LBB362_443
; %bb.441:
	v_and_b32_e32 v14, 1, v32
	v_cmp_eq_u32_e32 vcc, 1, v14
	s_and_b64 exec, exec, vcc
	s_cbranch_execz .LBB362_443
; %bb.442:
	s_lshl_b64 s[4:5], s[22:23], 3
	s_add_u32 s4, s30, s4
	s_addc_u32 s5, s31, s5
	v_mov_b32_e32 v41, 0
	v_lshl_add_u64 v[14:15], v[40:41], 3, s[4:5]
	global_store_dwordx2 v[14:15], v[8:9], off
.LBB362_443:
	s_or_b64 exec, exec, s[0:1]
	v_cmp_gt_u32_e32 vcc, s2, v38
	s_or_b64 s[4:5], s[34:35], vcc
	s_and_saveexec_b64 s[0:1], s[4:5]
	s_cbranch_execz .LBB362_446
; %bb.444:
	v_and_b32_e32 v14, 1, v31
	v_cmp_eq_u32_e32 vcc, 1, v14
	s_and_b64 exec, exec, vcc
	s_cbranch_execz .LBB362_446
; %bb.445:
	s_lshl_b64 s[4:5], s[22:23], 3
	s_add_u32 s4, s30, s4
	s_addc_u32 s5, s31, s5
	v_mov_b32_e32 v39, 0
	v_lshl_add_u64 v[14:15], v[38:39], 3, s[4:5]
	global_store_dwordx2 v[14:15], v[2:3], off
.LBB362_446:
	;; [unrolled: 18-line block ×3, first 2 shown]
	s_or_b64 exec, exec, s[0:1]
	v_cmp_gt_u32_e32 vcc, s2, v34
	s_or_b64 s[2:3], s[34:35], vcc
	s_and_saveexec_b64 s[0:1], s[2:3]
	s_cbranch_execz .LBB362_452
; %bb.450:
	v_mov_b32_e32 v14, 1
	v_and_b32_sdwa v14, v14, v31 dst_sel:DWORD dst_unused:UNUSED_PAD src0_sel:DWORD src1_sel:WORD_1
	v_cmp_eq_u32_e32 vcc, 1, v14
	s_and_b64 exec, exec, vcc
	s_cbranch_execz .LBB362_452
; %bb.451:
	s_lshl_b64 s[2:3], s[22:23], 3
	s_add_u32 s2, s30, s2
	s_addc_u32 s3, s31, s3
	v_mov_b32_e32 v35, 0
	v_lshl_add_u64 v[14:15], v[34:35], 3, s[2:3]
	global_store_dwordx2 v[14:15], v[26:27], off
.LBB362_452:
	s_or_b64 exec, exec, s[0:1]
	s_branch .LBB362_429
.LBB362_453:
	v_cmp_eq_u32_e32 vcc, 1, v48
	s_and_saveexec_b64 s[0:1], vcc
	s_cbranch_execz .LBB362_455
; %bb.454:
	v_subrev_u32_e32 v14, s16, v46
	v_lshlrev_b32_e32 v14, 3, v14
	ds_write_b64 v14, v[10:11]
.LBB362_455:
	s_or_b64 exec, exec, s[0:1]
	v_and_b32_e32 v10, 1, v33
	v_cmp_eq_u32_e32 vcc, 1, v10
	s_and_saveexec_b64 s[0:1], vcc
	s_cbranch_execz .LBB362_457
; %bb.456:
	v_subrev_u32_e32 v10, s16, v44
	v_lshlrev_b32_e32 v10, 3, v10
	ds_write_b64 v10, v[12:13]
.LBB362_457:
	s_or_b64 exec, exec, s[0:1]
	v_mov_b32_e32 v10, 1
	v_and_b32_sdwa v10, v10, v30 dst_sel:DWORD dst_unused:UNUSED_PAD src0_sel:DWORD src1_sel:WORD_1
	v_cmp_eq_u32_e32 vcc, 1, v10
	s_and_saveexec_b64 s[0:1], vcc
	s_cbranch_execz .LBB362_459
; %bb.458:
	v_subrev_u32_e32 v10, s16, v42
	v_lshlrev_b32_e32 v10, 3, v10
	ds_write_b64 v10, v[6:7]
.LBB362_459:
	s_or_b64 exec, exec, s[0:1]
	v_and_b32_e32 v6, 1, v32
	v_cmp_eq_u32_e32 vcc, 1, v6
	s_and_saveexec_b64 s[0:1], vcc
	s_cbranch_execz .LBB362_461
; %bb.460:
	v_subrev_u32_e32 v6, s16, v40
	v_lshlrev_b32_e32 v6, 3, v6
	ds_write_b64 v6, v[8:9]
.LBB362_461:
	s_or_b64 exec, exec, s[0:1]
	v_and_b32_e32 v6, 1, v31
	;; [unrolled: 10-line block ×3, first 2 shown]
	v_cmp_eq_u32_e32 vcc, 1, v1
	s_and_saveexec_b64 s[0:1], vcc
	s_cbranch_execz .LBB362_465
; %bb.464:
	v_subrev_u32_e32 v1, s16, v36
	v_lshlrev_b32_e32 v1, 3, v1
	ds_write_b64 v1, v[4:5]
.LBB362_465:
	s_or_b64 exec, exec, s[0:1]
	v_mov_b32_e32 v1, 1
	v_and_b32_sdwa v1, v1, v31 dst_sel:DWORD dst_unused:UNUSED_PAD src0_sel:DWORD src1_sel:WORD_1
	v_cmp_eq_u32_e32 vcc, 1, v1
	s_and_saveexec_b64 s[0:1], vcc
	s_cbranch_execz .LBB362_467
; %bb.466:
	v_subrev_u32_e32 v1, s16, v34
	v_lshlrev_b32_e32 v1, 3, v1
	ds_write_b64 v1, v[26:27]
.LBB362_467:
	s_or_b64 exec, exec, s[0:1]
	v_cmp_gt_u32_e32 vcc, s26, v0
	s_waitcnt lgkmcnt(0)
	s_barrier
	s_and_saveexec_b64 s[0:1], vcc
	s_cbranch_execz .LBB362_470
; %bb.468:
	s_mov_b32 s17, 0
	s_lshl_b64 s[2:3], s[22:23], 3
	s_lshl_b64 s[4:5], s[16:17], 3
	s_add_u32 s2, s2, s4
	s_addc_u32 s3, s3, s5
	s_add_u32 s2, s30, s2
	v_lshlrev_b32_e32 v2, 3, v0
	v_mov_b32_e32 v3, 0
	s_addc_u32 s3, s31, s3
	v_lshl_add_u64 v[4:5], s[2:3], 0, v[2:3]
	s_mov_b64 s[2:3], 0
	s_mov_b64 s[4:5], 0x1000
.LBB362_469:                            ; =>This Inner Loop Header: Depth=1
	ds_read_b64 v[6:7], v2
	v_add_u32_e32 v0, 0x200, v0
	v_cmp_le_u32_e32 vcc, s26, v0
	v_add_u32_e32 v2, 0x1000, v2
	s_or_b64 s[2:3], vcc, s[2:3]
	s_waitcnt lgkmcnt(0)
	global_store_dwordx2 v[4:5], v[6:7], off
	v_lshl_add_u64 v[4:5], v[4:5], 0, s[4:5]
	s_andn2_b64 exec, exec, s[2:3]
	s_cbranch_execnz .LBB362_469
.LBB362_470:
	s_or_b64 exec, exec, s[0:1]
	s_and_b64 s[0:1], s[18:19], s[24:25]
	s_and_saveexec_b64 s[2:3], s[0:1]
	s_cbranch_execz .LBB362_430
.LBB362_471:
	s_add_u32 s0, s22, s26
	s_addc_u32 s1, s23, 0
	s_add_u32 s0, s0, s16
	s_addc_u32 s1, s1, 0
	v_mov_b32_e32 v2, 0
	v_mov_b64_e32 v[0:1], s[0:1]
	global_store_dwordx2 v2, v[0:1], s[20:21]
	s_endpgm
	.section	.rodata,"a",@progbits
	.p2align	6, 0x0
	.amdhsa_kernel _ZN7rocprim17ROCPRIM_400000_NS6detail17trampoline_kernelINS0_14default_configENS1_25partition_config_selectorILNS1_17partition_subalgoE9EllbEEZZNS1_14partition_implILS5_9ELb0ES3_jPlS8_PNS0_10empty_typeENS0_5tupleIJS8_S9_EEENSB_IJS8_SA_EEENS0_18inequality_wrapperIZN2at6native12_GLOBAL__N_124unique_dim_cuda_templateIaEESt5tupleIJNSF_6TensorESK_SK_EERKSK_lbbbEUlllE0_EEPmJS9_EEE10hipError_tPvRmT3_T4_T5_T6_T7_T9_mT8_P12ihipStream_tbDpT10_ENKUlT_T0_E_clISt17integral_constantIbLb1EES1A_EEDaS15_S16_EUlS15_E_NS1_11comp_targetILNS1_3genE5ELNS1_11target_archE942ELNS1_3gpuE9ELNS1_3repE0EEENS1_30default_config_static_selectorELNS0_4arch9wavefront6targetE1EEEvT1_
		.amdhsa_group_segment_fixed_size 28684
		.amdhsa_private_segment_fixed_size 0
		.amdhsa_kernarg_size 136
		.amdhsa_user_sgpr_count 2
		.amdhsa_user_sgpr_dispatch_ptr 0
		.amdhsa_user_sgpr_queue_ptr 0
		.amdhsa_user_sgpr_kernarg_segment_ptr 1
		.amdhsa_user_sgpr_dispatch_id 0
		.amdhsa_user_sgpr_kernarg_preload_length 0
		.amdhsa_user_sgpr_kernarg_preload_offset 0
		.amdhsa_user_sgpr_private_segment_size 0
		.amdhsa_uses_dynamic_stack 0
		.amdhsa_enable_private_segment 0
		.amdhsa_system_sgpr_workgroup_id_x 1
		.amdhsa_system_sgpr_workgroup_id_y 0
		.amdhsa_system_sgpr_workgroup_id_z 0
		.amdhsa_system_sgpr_workgroup_info 0
		.amdhsa_system_vgpr_workitem_id 0
		.amdhsa_next_free_vgpr 66
		.amdhsa_next_free_sgpr 58
		.amdhsa_accum_offset 68
		.amdhsa_reserve_vcc 1
		.amdhsa_float_round_mode_32 0
		.amdhsa_float_round_mode_16_64 0
		.amdhsa_float_denorm_mode_32 3
		.amdhsa_float_denorm_mode_16_64 3
		.amdhsa_dx10_clamp 1
		.amdhsa_ieee_mode 1
		.amdhsa_fp16_overflow 0
		.amdhsa_tg_split 0
		.amdhsa_exception_fp_ieee_invalid_op 0
		.amdhsa_exception_fp_denorm_src 0
		.amdhsa_exception_fp_ieee_div_zero 0
		.amdhsa_exception_fp_ieee_overflow 0
		.amdhsa_exception_fp_ieee_underflow 0
		.amdhsa_exception_fp_ieee_inexact 0
		.amdhsa_exception_int_div_zero 0
	.end_amdhsa_kernel
	.section	.text._ZN7rocprim17ROCPRIM_400000_NS6detail17trampoline_kernelINS0_14default_configENS1_25partition_config_selectorILNS1_17partition_subalgoE9EllbEEZZNS1_14partition_implILS5_9ELb0ES3_jPlS8_PNS0_10empty_typeENS0_5tupleIJS8_S9_EEENSB_IJS8_SA_EEENS0_18inequality_wrapperIZN2at6native12_GLOBAL__N_124unique_dim_cuda_templateIaEESt5tupleIJNSF_6TensorESK_SK_EERKSK_lbbbEUlllE0_EEPmJS9_EEE10hipError_tPvRmT3_T4_T5_T6_T7_T9_mT8_P12ihipStream_tbDpT10_ENKUlT_T0_E_clISt17integral_constantIbLb1EES1A_EEDaS15_S16_EUlS15_E_NS1_11comp_targetILNS1_3genE5ELNS1_11target_archE942ELNS1_3gpuE9ELNS1_3repE0EEENS1_30default_config_static_selectorELNS0_4arch9wavefront6targetE1EEEvT1_,"axG",@progbits,_ZN7rocprim17ROCPRIM_400000_NS6detail17trampoline_kernelINS0_14default_configENS1_25partition_config_selectorILNS1_17partition_subalgoE9EllbEEZZNS1_14partition_implILS5_9ELb0ES3_jPlS8_PNS0_10empty_typeENS0_5tupleIJS8_S9_EEENSB_IJS8_SA_EEENS0_18inequality_wrapperIZN2at6native12_GLOBAL__N_124unique_dim_cuda_templateIaEESt5tupleIJNSF_6TensorESK_SK_EERKSK_lbbbEUlllE0_EEPmJS9_EEE10hipError_tPvRmT3_T4_T5_T6_T7_T9_mT8_P12ihipStream_tbDpT10_ENKUlT_T0_E_clISt17integral_constantIbLb1EES1A_EEDaS15_S16_EUlS15_E_NS1_11comp_targetILNS1_3genE5ELNS1_11target_archE942ELNS1_3gpuE9ELNS1_3repE0EEENS1_30default_config_static_selectorELNS0_4arch9wavefront6targetE1EEEvT1_,comdat
.Lfunc_end362:
	.size	_ZN7rocprim17ROCPRIM_400000_NS6detail17trampoline_kernelINS0_14default_configENS1_25partition_config_selectorILNS1_17partition_subalgoE9EllbEEZZNS1_14partition_implILS5_9ELb0ES3_jPlS8_PNS0_10empty_typeENS0_5tupleIJS8_S9_EEENSB_IJS8_SA_EEENS0_18inequality_wrapperIZN2at6native12_GLOBAL__N_124unique_dim_cuda_templateIaEESt5tupleIJNSF_6TensorESK_SK_EERKSK_lbbbEUlllE0_EEPmJS9_EEE10hipError_tPvRmT3_T4_T5_T6_T7_T9_mT8_P12ihipStream_tbDpT10_ENKUlT_T0_E_clISt17integral_constantIbLb1EES1A_EEDaS15_S16_EUlS15_E_NS1_11comp_targetILNS1_3genE5ELNS1_11target_archE942ELNS1_3gpuE9ELNS1_3repE0EEENS1_30default_config_static_selectorELNS0_4arch9wavefront6targetE1EEEvT1_, .Lfunc_end362-_ZN7rocprim17ROCPRIM_400000_NS6detail17trampoline_kernelINS0_14default_configENS1_25partition_config_selectorILNS1_17partition_subalgoE9EllbEEZZNS1_14partition_implILS5_9ELb0ES3_jPlS8_PNS0_10empty_typeENS0_5tupleIJS8_S9_EEENSB_IJS8_SA_EEENS0_18inequality_wrapperIZN2at6native12_GLOBAL__N_124unique_dim_cuda_templateIaEESt5tupleIJNSF_6TensorESK_SK_EERKSK_lbbbEUlllE0_EEPmJS9_EEE10hipError_tPvRmT3_T4_T5_T6_T7_T9_mT8_P12ihipStream_tbDpT10_ENKUlT_T0_E_clISt17integral_constantIbLb1EES1A_EEDaS15_S16_EUlS15_E_NS1_11comp_targetILNS1_3genE5ELNS1_11target_archE942ELNS1_3gpuE9ELNS1_3repE0EEENS1_30default_config_static_selectorELNS0_4arch9wavefront6targetE1EEEvT1_
                                        ; -- End function
	.section	.AMDGPU.csdata,"",@progbits
; Kernel info:
; codeLenInByte = 13868
; NumSgprs: 64
; NumVgprs: 66
; NumAgprs: 0
; TotalNumVgprs: 66
; ScratchSize: 0
; MemoryBound: 0
; FloatMode: 240
; IeeeMode: 1
; LDSByteSize: 28684 bytes/workgroup (compile time only)
; SGPRBlocks: 7
; VGPRBlocks: 8
; NumSGPRsForWavesPerEU: 64
; NumVGPRsForWavesPerEU: 66
; AccumOffset: 68
; Occupancy: 4
; WaveLimiterHint : 1
; COMPUTE_PGM_RSRC2:SCRATCH_EN: 0
; COMPUTE_PGM_RSRC2:USER_SGPR: 2
; COMPUTE_PGM_RSRC2:TRAP_HANDLER: 0
; COMPUTE_PGM_RSRC2:TGID_X_EN: 1
; COMPUTE_PGM_RSRC2:TGID_Y_EN: 0
; COMPUTE_PGM_RSRC2:TGID_Z_EN: 0
; COMPUTE_PGM_RSRC2:TIDIG_COMP_CNT: 0
; COMPUTE_PGM_RSRC3_GFX90A:ACCUM_OFFSET: 16
; COMPUTE_PGM_RSRC3_GFX90A:TG_SPLIT: 0
	.section	.text._ZN7rocprim17ROCPRIM_400000_NS6detail17trampoline_kernelINS0_14default_configENS1_25partition_config_selectorILNS1_17partition_subalgoE9EllbEEZZNS1_14partition_implILS5_9ELb0ES3_jPlS8_PNS0_10empty_typeENS0_5tupleIJS8_S9_EEENSB_IJS8_SA_EEENS0_18inequality_wrapperIZN2at6native12_GLOBAL__N_124unique_dim_cuda_templateIaEESt5tupleIJNSF_6TensorESK_SK_EERKSK_lbbbEUlllE0_EEPmJS9_EEE10hipError_tPvRmT3_T4_T5_T6_T7_T9_mT8_P12ihipStream_tbDpT10_ENKUlT_T0_E_clISt17integral_constantIbLb1EES1A_EEDaS15_S16_EUlS15_E_NS1_11comp_targetILNS1_3genE4ELNS1_11target_archE910ELNS1_3gpuE8ELNS1_3repE0EEENS1_30default_config_static_selectorELNS0_4arch9wavefront6targetE1EEEvT1_,"axG",@progbits,_ZN7rocprim17ROCPRIM_400000_NS6detail17trampoline_kernelINS0_14default_configENS1_25partition_config_selectorILNS1_17partition_subalgoE9EllbEEZZNS1_14partition_implILS5_9ELb0ES3_jPlS8_PNS0_10empty_typeENS0_5tupleIJS8_S9_EEENSB_IJS8_SA_EEENS0_18inequality_wrapperIZN2at6native12_GLOBAL__N_124unique_dim_cuda_templateIaEESt5tupleIJNSF_6TensorESK_SK_EERKSK_lbbbEUlllE0_EEPmJS9_EEE10hipError_tPvRmT3_T4_T5_T6_T7_T9_mT8_P12ihipStream_tbDpT10_ENKUlT_T0_E_clISt17integral_constantIbLb1EES1A_EEDaS15_S16_EUlS15_E_NS1_11comp_targetILNS1_3genE4ELNS1_11target_archE910ELNS1_3gpuE8ELNS1_3repE0EEENS1_30default_config_static_selectorELNS0_4arch9wavefront6targetE1EEEvT1_,comdat
	.globl	_ZN7rocprim17ROCPRIM_400000_NS6detail17trampoline_kernelINS0_14default_configENS1_25partition_config_selectorILNS1_17partition_subalgoE9EllbEEZZNS1_14partition_implILS5_9ELb0ES3_jPlS8_PNS0_10empty_typeENS0_5tupleIJS8_S9_EEENSB_IJS8_SA_EEENS0_18inequality_wrapperIZN2at6native12_GLOBAL__N_124unique_dim_cuda_templateIaEESt5tupleIJNSF_6TensorESK_SK_EERKSK_lbbbEUlllE0_EEPmJS9_EEE10hipError_tPvRmT3_T4_T5_T6_T7_T9_mT8_P12ihipStream_tbDpT10_ENKUlT_T0_E_clISt17integral_constantIbLb1EES1A_EEDaS15_S16_EUlS15_E_NS1_11comp_targetILNS1_3genE4ELNS1_11target_archE910ELNS1_3gpuE8ELNS1_3repE0EEENS1_30default_config_static_selectorELNS0_4arch9wavefront6targetE1EEEvT1_ ; -- Begin function _ZN7rocprim17ROCPRIM_400000_NS6detail17trampoline_kernelINS0_14default_configENS1_25partition_config_selectorILNS1_17partition_subalgoE9EllbEEZZNS1_14partition_implILS5_9ELb0ES3_jPlS8_PNS0_10empty_typeENS0_5tupleIJS8_S9_EEENSB_IJS8_SA_EEENS0_18inequality_wrapperIZN2at6native12_GLOBAL__N_124unique_dim_cuda_templateIaEESt5tupleIJNSF_6TensorESK_SK_EERKSK_lbbbEUlllE0_EEPmJS9_EEE10hipError_tPvRmT3_T4_T5_T6_T7_T9_mT8_P12ihipStream_tbDpT10_ENKUlT_T0_E_clISt17integral_constantIbLb1EES1A_EEDaS15_S16_EUlS15_E_NS1_11comp_targetILNS1_3genE4ELNS1_11target_archE910ELNS1_3gpuE8ELNS1_3repE0EEENS1_30default_config_static_selectorELNS0_4arch9wavefront6targetE1EEEvT1_
	.p2align	8
	.type	_ZN7rocprim17ROCPRIM_400000_NS6detail17trampoline_kernelINS0_14default_configENS1_25partition_config_selectorILNS1_17partition_subalgoE9EllbEEZZNS1_14partition_implILS5_9ELb0ES3_jPlS8_PNS0_10empty_typeENS0_5tupleIJS8_S9_EEENSB_IJS8_SA_EEENS0_18inequality_wrapperIZN2at6native12_GLOBAL__N_124unique_dim_cuda_templateIaEESt5tupleIJNSF_6TensorESK_SK_EERKSK_lbbbEUlllE0_EEPmJS9_EEE10hipError_tPvRmT3_T4_T5_T6_T7_T9_mT8_P12ihipStream_tbDpT10_ENKUlT_T0_E_clISt17integral_constantIbLb1EES1A_EEDaS15_S16_EUlS15_E_NS1_11comp_targetILNS1_3genE4ELNS1_11target_archE910ELNS1_3gpuE8ELNS1_3repE0EEENS1_30default_config_static_selectorELNS0_4arch9wavefront6targetE1EEEvT1_,@function
_ZN7rocprim17ROCPRIM_400000_NS6detail17trampoline_kernelINS0_14default_configENS1_25partition_config_selectorILNS1_17partition_subalgoE9EllbEEZZNS1_14partition_implILS5_9ELb0ES3_jPlS8_PNS0_10empty_typeENS0_5tupleIJS8_S9_EEENSB_IJS8_SA_EEENS0_18inequality_wrapperIZN2at6native12_GLOBAL__N_124unique_dim_cuda_templateIaEESt5tupleIJNSF_6TensorESK_SK_EERKSK_lbbbEUlllE0_EEPmJS9_EEE10hipError_tPvRmT3_T4_T5_T6_T7_T9_mT8_P12ihipStream_tbDpT10_ENKUlT_T0_E_clISt17integral_constantIbLb1EES1A_EEDaS15_S16_EUlS15_E_NS1_11comp_targetILNS1_3genE4ELNS1_11target_archE910ELNS1_3gpuE8ELNS1_3repE0EEENS1_30default_config_static_selectorELNS0_4arch9wavefront6targetE1EEEvT1_: ; @_ZN7rocprim17ROCPRIM_400000_NS6detail17trampoline_kernelINS0_14default_configENS1_25partition_config_selectorILNS1_17partition_subalgoE9EllbEEZZNS1_14partition_implILS5_9ELb0ES3_jPlS8_PNS0_10empty_typeENS0_5tupleIJS8_S9_EEENSB_IJS8_SA_EEENS0_18inequality_wrapperIZN2at6native12_GLOBAL__N_124unique_dim_cuda_templateIaEESt5tupleIJNSF_6TensorESK_SK_EERKSK_lbbbEUlllE0_EEPmJS9_EEE10hipError_tPvRmT3_T4_T5_T6_T7_T9_mT8_P12ihipStream_tbDpT10_ENKUlT_T0_E_clISt17integral_constantIbLb1EES1A_EEDaS15_S16_EUlS15_E_NS1_11comp_targetILNS1_3genE4ELNS1_11target_archE910ELNS1_3gpuE8ELNS1_3repE0EEENS1_30default_config_static_selectorELNS0_4arch9wavefront6targetE1EEEvT1_
; %bb.0:
	.section	.rodata,"a",@progbits
	.p2align	6, 0x0
	.amdhsa_kernel _ZN7rocprim17ROCPRIM_400000_NS6detail17trampoline_kernelINS0_14default_configENS1_25partition_config_selectorILNS1_17partition_subalgoE9EllbEEZZNS1_14partition_implILS5_9ELb0ES3_jPlS8_PNS0_10empty_typeENS0_5tupleIJS8_S9_EEENSB_IJS8_SA_EEENS0_18inequality_wrapperIZN2at6native12_GLOBAL__N_124unique_dim_cuda_templateIaEESt5tupleIJNSF_6TensorESK_SK_EERKSK_lbbbEUlllE0_EEPmJS9_EEE10hipError_tPvRmT3_T4_T5_T6_T7_T9_mT8_P12ihipStream_tbDpT10_ENKUlT_T0_E_clISt17integral_constantIbLb1EES1A_EEDaS15_S16_EUlS15_E_NS1_11comp_targetILNS1_3genE4ELNS1_11target_archE910ELNS1_3gpuE8ELNS1_3repE0EEENS1_30default_config_static_selectorELNS0_4arch9wavefront6targetE1EEEvT1_
		.amdhsa_group_segment_fixed_size 0
		.amdhsa_private_segment_fixed_size 0
		.amdhsa_kernarg_size 136
		.amdhsa_user_sgpr_count 2
		.amdhsa_user_sgpr_dispatch_ptr 0
		.amdhsa_user_sgpr_queue_ptr 0
		.amdhsa_user_sgpr_kernarg_segment_ptr 1
		.amdhsa_user_sgpr_dispatch_id 0
		.amdhsa_user_sgpr_kernarg_preload_length 0
		.amdhsa_user_sgpr_kernarg_preload_offset 0
		.amdhsa_user_sgpr_private_segment_size 0
		.amdhsa_uses_dynamic_stack 0
		.amdhsa_enable_private_segment 0
		.amdhsa_system_sgpr_workgroup_id_x 1
		.amdhsa_system_sgpr_workgroup_id_y 0
		.amdhsa_system_sgpr_workgroup_id_z 0
		.amdhsa_system_sgpr_workgroup_info 0
		.amdhsa_system_vgpr_workitem_id 0
		.amdhsa_next_free_vgpr 1
		.amdhsa_next_free_sgpr 0
		.amdhsa_accum_offset 4
		.amdhsa_reserve_vcc 0
		.amdhsa_float_round_mode_32 0
		.amdhsa_float_round_mode_16_64 0
		.amdhsa_float_denorm_mode_32 3
		.amdhsa_float_denorm_mode_16_64 3
		.amdhsa_dx10_clamp 1
		.amdhsa_ieee_mode 1
		.amdhsa_fp16_overflow 0
		.amdhsa_tg_split 0
		.amdhsa_exception_fp_ieee_invalid_op 0
		.amdhsa_exception_fp_denorm_src 0
		.amdhsa_exception_fp_ieee_div_zero 0
		.amdhsa_exception_fp_ieee_overflow 0
		.amdhsa_exception_fp_ieee_underflow 0
		.amdhsa_exception_fp_ieee_inexact 0
		.amdhsa_exception_int_div_zero 0
	.end_amdhsa_kernel
	.section	.text._ZN7rocprim17ROCPRIM_400000_NS6detail17trampoline_kernelINS0_14default_configENS1_25partition_config_selectorILNS1_17partition_subalgoE9EllbEEZZNS1_14partition_implILS5_9ELb0ES3_jPlS8_PNS0_10empty_typeENS0_5tupleIJS8_S9_EEENSB_IJS8_SA_EEENS0_18inequality_wrapperIZN2at6native12_GLOBAL__N_124unique_dim_cuda_templateIaEESt5tupleIJNSF_6TensorESK_SK_EERKSK_lbbbEUlllE0_EEPmJS9_EEE10hipError_tPvRmT3_T4_T5_T6_T7_T9_mT8_P12ihipStream_tbDpT10_ENKUlT_T0_E_clISt17integral_constantIbLb1EES1A_EEDaS15_S16_EUlS15_E_NS1_11comp_targetILNS1_3genE4ELNS1_11target_archE910ELNS1_3gpuE8ELNS1_3repE0EEENS1_30default_config_static_selectorELNS0_4arch9wavefront6targetE1EEEvT1_,"axG",@progbits,_ZN7rocprim17ROCPRIM_400000_NS6detail17trampoline_kernelINS0_14default_configENS1_25partition_config_selectorILNS1_17partition_subalgoE9EllbEEZZNS1_14partition_implILS5_9ELb0ES3_jPlS8_PNS0_10empty_typeENS0_5tupleIJS8_S9_EEENSB_IJS8_SA_EEENS0_18inequality_wrapperIZN2at6native12_GLOBAL__N_124unique_dim_cuda_templateIaEESt5tupleIJNSF_6TensorESK_SK_EERKSK_lbbbEUlllE0_EEPmJS9_EEE10hipError_tPvRmT3_T4_T5_T6_T7_T9_mT8_P12ihipStream_tbDpT10_ENKUlT_T0_E_clISt17integral_constantIbLb1EES1A_EEDaS15_S16_EUlS15_E_NS1_11comp_targetILNS1_3genE4ELNS1_11target_archE910ELNS1_3gpuE8ELNS1_3repE0EEENS1_30default_config_static_selectorELNS0_4arch9wavefront6targetE1EEEvT1_,comdat
.Lfunc_end363:
	.size	_ZN7rocprim17ROCPRIM_400000_NS6detail17trampoline_kernelINS0_14default_configENS1_25partition_config_selectorILNS1_17partition_subalgoE9EllbEEZZNS1_14partition_implILS5_9ELb0ES3_jPlS8_PNS0_10empty_typeENS0_5tupleIJS8_S9_EEENSB_IJS8_SA_EEENS0_18inequality_wrapperIZN2at6native12_GLOBAL__N_124unique_dim_cuda_templateIaEESt5tupleIJNSF_6TensorESK_SK_EERKSK_lbbbEUlllE0_EEPmJS9_EEE10hipError_tPvRmT3_T4_T5_T6_T7_T9_mT8_P12ihipStream_tbDpT10_ENKUlT_T0_E_clISt17integral_constantIbLb1EES1A_EEDaS15_S16_EUlS15_E_NS1_11comp_targetILNS1_3genE4ELNS1_11target_archE910ELNS1_3gpuE8ELNS1_3repE0EEENS1_30default_config_static_selectorELNS0_4arch9wavefront6targetE1EEEvT1_, .Lfunc_end363-_ZN7rocprim17ROCPRIM_400000_NS6detail17trampoline_kernelINS0_14default_configENS1_25partition_config_selectorILNS1_17partition_subalgoE9EllbEEZZNS1_14partition_implILS5_9ELb0ES3_jPlS8_PNS0_10empty_typeENS0_5tupleIJS8_S9_EEENSB_IJS8_SA_EEENS0_18inequality_wrapperIZN2at6native12_GLOBAL__N_124unique_dim_cuda_templateIaEESt5tupleIJNSF_6TensorESK_SK_EERKSK_lbbbEUlllE0_EEPmJS9_EEE10hipError_tPvRmT3_T4_T5_T6_T7_T9_mT8_P12ihipStream_tbDpT10_ENKUlT_T0_E_clISt17integral_constantIbLb1EES1A_EEDaS15_S16_EUlS15_E_NS1_11comp_targetILNS1_3genE4ELNS1_11target_archE910ELNS1_3gpuE8ELNS1_3repE0EEENS1_30default_config_static_selectorELNS0_4arch9wavefront6targetE1EEEvT1_
                                        ; -- End function
	.section	.AMDGPU.csdata,"",@progbits
; Kernel info:
; codeLenInByte = 0
; NumSgprs: 6
; NumVgprs: 0
; NumAgprs: 0
; TotalNumVgprs: 0
; ScratchSize: 0
; MemoryBound: 0
; FloatMode: 240
; IeeeMode: 1
; LDSByteSize: 0 bytes/workgroup (compile time only)
; SGPRBlocks: 0
; VGPRBlocks: 0
; NumSGPRsForWavesPerEU: 6
; NumVGPRsForWavesPerEU: 1
; AccumOffset: 4
; Occupancy: 8
; WaveLimiterHint : 0
; COMPUTE_PGM_RSRC2:SCRATCH_EN: 0
; COMPUTE_PGM_RSRC2:USER_SGPR: 2
; COMPUTE_PGM_RSRC2:TRAP_HANDLER: 0
; COMPUTE_PGM_RSRC2:TGID_X_EN: 1
; COMPUTE_PGM_RSRC2:TGID_Y_EN: 0
; COMPUTE_PGM_RSRC2:TGID_Z_EN: 0
; COMPUTE_PGM_RSRC2:TIDIG_COMP_CNT: 0
; COMPUTE_PGM_RSRC3_GFX90A:ACCUM_OFFSET: 0
; COMPUTE_PGM_RSRC3_GFX90A:TG_SPLIT: 0
	.section	.text._ZN7rocprim17ROCPRIM_400000_NS6detail17trampoline_kernelINS0_14default_configENS1_25partition_config_selectorILNS1_17partition_subalgoE9EllbEEZZNS1_14partition_implILS5_9ELb0ES3_jPlS8_PNS0_10empty_typeENS0_5tupleIJS8_S9_EEENSB_IJS8_SA_EEENS0_18inequality_wrapperIZN2at6native12_GLOBAL__N_124unique_dim_cuda_templateIaEESt5tupleIJNSF_6TensorESK_SK_EERKSK_lbbbEUlllE0_EEPmJS9_EEE10hipError_tPvRmT3_T4_T5_T6_T7_T9_mT8_P12ihipStream_tbDpT10_ENKUlT_T0_E_clISt17integral_constantIbLb1EES1A_EEDaS15_S16_EUlS15_E_NS1_11comp_targetILNS1_3genE3ELNS1_11target_archE908ELNS1_3gpuE7ELNS1_3repE0EEENS1_30default_config_static_selectorELNS0_4arch9wavefront6targetE1EEEvT1_,"axG",@progbits,_ZN7rocprim17ROCPRIM_400000_NS6detail17trampoline_kernelINS0_14default_configENS1_25partition_config_selectorILNS1_17partition_subalgoE9EllbEEZZNS1_14partition_implILS5_9ELb0ES3_jPlS8_PNS0_10empty_typeENS0_5tupleIJS8_S9_EEENSB_IJS8_SA_EEENS0_18inequality_wrapperIZN2at6native12_GLOBAL__N_124unique_dim_cuda_templateIaEESt5tupleIJNSF_6TensorESK_SK_EERKSK_lbbbEUlllE0_EEPmJS9_EEE10hipError_tPvRmT3_T4_T5_T6_T7_T9_mT8_P12ihipStream_tbDpT10_ENKUlT_T0_E_clISt17integral_constantIbLb1EES1A_EEDaS15_S16_EUlS15_E_NS1_11comp_targetILNS1_3genE3ELNS1_11target_archE908ELNS1_3gpuE7ELNS1_3repE0EEENS1_30default_config_static_selectorELNS0_4arch9wavefront6targetE1EEEvT1_,comdat
	.globl	_ZN7rocprim17ROCPRIM_400000_NS6detail17trampoline_kernelINS0_14default_configENS1_25partition_config_selectorILNS1_17partition_subalgoE9EllbEEZZNS1_14partition_implILS5_9ELb0ES3_jPlS8_PNS0_10empty_typeENS0_5tupleIJS8_S9_EEENSB_IJS8_SA_EEENS0_18inequality_wrapperIZN2at6native12_GLOBAL__N_124unique_dim_cuda_templateIaEESt5tupleIJNSF_6TensorESK_SK_EERKSK_lbbbEUlllE0_EEPmJS9_EEE10hipError_tPvRmT3_T4_T5_T6_T7_T9_mT8_P12ihipStream_tbDpT10_ENKUlT_T0_E_clISt17integral_constantIbLb1EES1A_EEDaS15_S16_EUlS15_E_NS1_11comp_targetILNS1_3genE3ELNS1_11target_archE908ELNS1_3gpuE7ELNS1_3repE0EEENS1_30default_config_static_selectorELNS0_4arch9wavefront6targetE1EEEvT1_ ; -- Begin function _ZN7rocprim17ROCPRIM_400000_NS6detail17trampoline_kernelINS0_14default_configENS1_25partition_config_selectorILNS1_17partition_subalgoE9EllbEEZZNS1_14partition_implILS5_9ELb0ES3_jPlS8_PNS0_10empty_typeENS0_5tupleIJS8_S9_EEENSB_IJS8_SA_EEENS0_18inequality_wrapperIZN2at6native12_GLOBAL__N_124unique_dim_cuda_templateIaEESt5tupleIJNSF_6TensorESK_SK_EERKSK_lbbbEUlllE0_EEPmJS9_EEE10hipError_tPvRmT3_T4_T5_T6_T7_T9_mT8_P12ihipStream_tbDpT10_ENKUlT_T0_E_clISt17integral_constantIbLb1EES1A_EEDaS15_S16_EUlS15_E_NS1_11comp_targetILNS1_3genE3ELNS1_11target_archE908ELNS1_3gpuE7ELNS1_3repE0EEENS1_30default_config_static_selectorELNS0_4arch9wavefront6targetE1EEEvT1_
	.p2align	8
	.type	_ZN7rocprim17ROCPRIM_400000_NS6detail17trampoline_kernelINS0_14default_configENS1_25partition_config_selectorILNS1_17partition_subalgoE9EllbEEZZNS1_14partition_implILS5_9ELb0ES3_jPlS8_PNS0_10empty_typeENS0_5tupleIJS8_S9_EEENSB_IJS8_SA_EEENS0_18inequality_wrapperIZN2at6native12_GLOBAL__N_124unique_dim_cuda_templateIaEESt5tupleIJNSF_6TensorESK_SK_EERKSK_lbbbEUlllE0_EEPmJS9_EEE10hipError_tPvRmT3_T4_T5_T6_T7_T9_mT8_P12ihipStream_tbDpT10_ENKUlT_T0_E_clISt17integral_constantIbLb1EES1A_EEDaS15_S16_EUlS15_E_NS1_11comp_targetILNS1_3genE3ELNS1_11target_archE908ELNS1_3gpuE7ELNS1_3repE0EEENS1_30default_config_static_selectorELNS0_4arch9wavefront6targetE1EEEvT1_,@function
_ZN7rocprim17ROCPRIM_400000_NS6detail17trampoline_kernelINS0_14default_configENS1_25partition_config_selectorILNS1_17partition_subalgoE9EllbEEZZNS1_14partition_implILS5_9ELb0ES3_jPlS8_PNS0_10empty_typeENS0_5tupleIJS8_S9_EEENSB_IJS8_SA_EEENS0_18inequality_wrapperIZN2at6native12_GLOBAL__N_124unique_dim_cuda_templateIaEESt5tupleIJNSF_6TensorESK_SK_EERKSK_lbbbEUlllE0_EEPmJS9_EEE10hipError_tPvRmT3_T4_T5_T6_T7_T9_mT8_P12ihipStream_tbDpT10_ENKUlT_T0_E_clISt17integral_constantIbLb1EES1A_EEDaS15_S16_EUlS15_E_NS1_11comp_targetILNS1_3genE3ELNS1_11target_archE908ELNS1_3gpuE7ELNS1_3repE0EEENS1_30default_config_static_selectorELNS0_4arch9wavefront6targetE1EEEvT1_: ; @_ZN7rocprim17ROCPRIM_400000_NS6detail17trampoline_kernelINS0_14default_configENS1_25partition_config_selectorILNS1_17partition_subalgoE9EllbEEZZNS1_14partition_implILS5_9ELb0ES3_jPlS8_PNS0_10empty_typeENS0_5tupleIJS8_S9_EEENSB_IJS8_SA_EEENS0_18inequality_wrapperIZN2at6native12_GLOBAL__N_124unique_dim_cuda_templateIaEESt5tupleIJNSF_6TensorESK_SK_EERKSK_lbbbEUlllE0_EEPmJS9_EEE10hipError_tPvRmT3_T4_T5_T6_T7_T9_mT8_P12ihipStream_tbDpT10_ENKUlT_T0_E_clISt17integral_constantIbLb1EES1A_EEDaS15_S16_EUlS15_E_NS1_11comp_targetILNS1_3genE3ELNS1_11target_archE908ELNS1_3gpuE7ELNS1_3repE0EEENS1_30default_config_static_selectorELNS0_4arch9wavefront6targetE1EEEvT1_
; %bb.0:
	.section	.rodata,"a",@progbits
	.p2align	6, 0x0
	.amdhsa_kernel _ZN7rocprim17ROCPRIM_400000_NS6detail17trampoline_kernelINS0_14default_configENS1_25partition_config_selectorILNS1_17partition_subalgoE9EllbEEZZNS1_14partition_implILS5_9ELb0ES3_jPlS8_PNS0_10empty_typeENS0_5tupleIJS8_S9_EEENSB_IJS8_SA_EEENS0_18inequality_wrapperIZN2at6native12_GLOBAL__N_124unique_dim_cuda_templateIaEESt5tupleIJNSF_6TensorESK_SK_EERKSK_lbbbEUlllE0_EEPmJS9_EEE10hipError_tPvRmT3_T4_T5_T6_T7_T9_mT8_P12ihipStream_tbDpT10_ENKUlT_T0_E_clISt17integral_constantIbLb1EES1A_EEDaS15_S16_EUlS15_E_NS1_11comp_targetILNS1_3genE3ELNS1_11target_archE908ELNS1_3gpuE7ELNS1_3repE0EEENS1_30default_config_static_selectorELNS0_4arch9wavefront6targetE1EEEvT1_
		.amdhsa_group_segment_fixed_size 0
		.amdhsa_private_segment_fixed_size 0
		.amdhsa_kernarg_size 136
		.amdhsa_user_sgpr_count 2
		.amdhsa_user_sgpr_dispatch_ptr 0
		.amdhsa_user_sgpr_queue_ptr 0
		.amdhsa_user_sgpr_kernarg_segment_ptr 1
		.amdhsa_user_sgpr_dispatch_id 0
		.amdhsa_user_sgpr_kernarg_preload_length 0
		.amdhsa_user_sgpr_kernarg_preload_offset 0
		.amdhsa_user_sgpr_private_segment_size 0
		.amdhsa_uses_dynamic_stack 0
		.amdhsa_enable_private_segment 0
		.amdhsa_system_sgpr_workgroup_id_x 1
		.amdhsa_system_sgpr_workgroup_id_y 0
		.amdhsa_system_sgpr_workgroup_id_z 0
		.amdhsa_system_sgpr_workgroup_info 0
		.amdhsa_system_vgpr_workitem_id 0
		.amdhsa_next_free_vgpr 1
		.amdhsa_next_free_sgpr 0
		.amdhsa_accum_offset 4
		.amdhsa_reserve_vcc 0
		.amdhsa_float_round_mode_32 0
		.amdhsa_float_round_mode_16_64 0
		.amdhsa_float_denorm_mode_32 3
		.amdhsa_float_denorm_mode_16_64 3
		.amdhsa_dx10_clamp 1
		.amdhsa_ieee_mode 1
		.amdhsa_fp16_overflow 0
		.amdhsa_tg_split 0
		.amdhsa_exception_fp_ieee_invalid_op 0
		.amdhsa_exception_fp_denorm_src 0
		.amdhsa_exception_fp_ieee_div_zero 0
		.amdhsa_exception_fp_ieee_overflow 0
		.amdhsa_exception_fp_ieee_underflow 0
		.amdhsa_exception_fp_ieee_inexact 0
		.amdhsa_exception_int_div_zero 0
	.end_amdhsa_kernel
	.section	.text._ZN7rocprim17ROCPRIM_400000_NS6detail17trampoline_kernelINS0_14default_configENS1_25partition_config_selectorILNS1_17partition_subalgoE9EllbEEZZNS1_14partition_implILS5_9ELb0ES3_jPlS8_PNS0_10empty_typeENS0_5tupleIJS8_S9_EEENSB_IJS8_SA_EEENS0_18inequality_wrapperIZN2at6native12_GLOBAL__N_124unique_dim_cuda_templateIaEESt5tupleIJNSF_6TensorESK_SK_EERKSK_lbbbEUlllE0_EEPmJS9_EEE10hipError_tPvRmT3_T4_T5_T6_T7_T9_mT8_P12ihipStream_tbDpT10_ENKUlT_T0_E_clISt17integral_constantIbLb1EES1A_EEDaS15_S16_EUlS15_E_NS1_11comp_targetILNS1_3genE3ELNS1_11target_archE908ELNS1_3gpuE7ELNS1_3repE0EEENS1_30default_config_static_selectorELNS0_4arch9wavefront6targetE1EEEvT1_,"axG",@progbits,_ZN7rocprim17ROCPRIM_400000_NS6detail17trampoline_kernelINS0_14default_configENS1_25partition_config_selectorILNS1_17partition_subalgoE9EllbEEZZNS1_14partition_implILS5_9ELb0ES3_jPlS8_PNS0_10empty_typeENS0_5tupleIJS8_S9_EEENSB_IJS8_SA_EEENS0_18inequality_wrapperIZN2at6native12_GLOBAL__N_124unique_dim_cuda_templateIaEESt5tupleIJNSF_6TensorESK_SK_EERKSK_lbbbEUlllE0_EEPmJS9_EEE10hipError_tPvRmT3_T4_T5_T6_T7_T9_mT8_P12ihipStream_tbDpT10_ENKUlT_T0_E_clISt17integral_constantIbLb1EES1A_EEDaS15_S16_EUlS15_E_NS1_11comp_targetILNS1_3genE3ELNS1_11target_archE908ELNS1_3gpuE7ELNS1_3repE0EEENS1_30default_config_static_selectorELNS0_4arch9wavefront6targetE1EEEvT1_,comdat
.Lfunc_end364:
	.size	_ZN7rocprim17ROCPRIM_400000_NS6detail17trampoline_kernelINS0_14default_configENS1_25partition_config_selectorILNS1_17partition_subalgoE9EllbEEZZNS1_14partition_implILS5_9ELb0ES3_jPlS8_PNS0_10empty_typeENS0_5tupleIJS8_S9_EEENSB_IJS8_SA_EEENS0_18inequality_wrapperIZN2at6native12_GLOBAL__N_124unique_dim_cuda_templateIaEESt5tupleIJNSF_6TensorESK_SK_EERKSK_lbbbEUlllE0_EEPmJS9_EEE10hipError_tPvRmT3_T4_T5_T6_T7_T9_mT8_P12ihipStream_tbDpT10_ENKUlT_T0_E_clISt17integral_constantIbLb1EES1A_EEDaS15_S16_EUlS15_E_NS1_11comp_targetILNS1_3genE3ELNS1_11target_archE908ELNS1_3gpuE7ELNS1_3repE0EEENS1_30default_config_static_selectorELNS0_4arch9wavefront6targetE1EEEvT1_, .Lfunc_end364-_ZN7rocprim17ROCPRIM_400000_NS6detail17trampoline_kernelINS0_14default_configENS1_25partition_config_selectorILNS1_17partition_subalgoE9EllbEEZZNS1_14partition_implILS5_9ELb0ES3_jPlS8_PNS0_10empty_typeENS0_5tupleIJS8_S9_EEENSB_IJS8_SA_EEENS0_18inequality_wrapperIZN2at6native12_GLOBAL__N_124unique_dim_cuda_templateIaEESt5tupleIJNSF_6TensorESK_SK_EERKSK_lbbbEUlllE0_EEPmJS9_EEE10hipError_tPvRmT3_T4_T5_T6_T7_T9_mT8_P12ihipStream_tbDpT10_ENKUlT_T0_E_clISt17integral_constantIbLb1EES1A_EEDaS15_S16_EUlS15_E_NS1_11comp_targetILNS1_3genE3ELNS1_11target_archE908ELNS1_3gpuE7ELNS1_3repE0EEENS1_30default_config_static_selectorELNS0_4arch9wavefront6targetE1EEEvT1_
                                        ; -- End function
	.section	.AMDGPU.csdata,"",@progbits
; Kernel info:
; codeLenInByte = 0
; NumSgprs: 6
; NumVgprs: 0
; NumAgprs: 0
; TotalNumVgprs: 0
; ScratchSize: 0
; MemoryBound: 0
; FloatMode: 240
; IeeeMode: 1
; LDSByteSize: 0 bytes/workgroup (compile time only)
; SGPRBlocks: 0
; VGPRBlocks: 0
; NumSGPRsForWavesPerEU: 6
; NumVGPRsForWavesPerEU: 1
; AccumOffset: 4
; Occupancy: 8
; WaveLimiterHint : 0
; COMPUTE_PGM_RSRC2:SCRATCH_EN: 0
; COMPUTE_PGM_RSRC2:USER_SGPR: 2
; COMPUTE_PGM_RSRC2:TRAP_HANDLER: 0
; COMPUTE_PGM_RSRC2:TGID_X_EN: 1
; COMPUTE_PGM_RSRC2:TGID_Y_EN: 0
; COMPUTE_PGM_RSRC2:TGID_Z_EN: 0
; COMPUTE_PGM_RSRC2:TIDIG_COMP_CNT: 0
; COMPUTE_PGM_RSRC3_GFX90A:ACCUM_OFFSET: 0
; COMPUTE_PGM_RSRC3_GFX90A:TG_SPLIT: 0
	.section	.text._ZN7rocprim17ROCPRIM_400000_NS6detail17trampoline_kernelINS0_14default_configENS1_25partition_config_selectorILNS1_17partition_subalgoE9EllbEEZZNS1_14partition_implILS5_9ELb0ES3_jPlS8_PNS0_10empty_typeENS0_5tupleIJS8_S9_EEENSB_IJS8_SA_EEENS0_18inequality_wrapperIZN2at6native12_GLOBAL__N_124unique_dim_cuda_templateIaEESt5tupleIJNSF_6TensorESK_SK_EERKSK_lbbbEUlllE0_EEPmJS9_EEE10hipError_tPvRmT3_T4_T5_T6_T7_T9_mT8_P12ihipStream_tbDpT10_ENKUlT_T0_E_clISt17integral_constantIbLb1EES1A_EEDaS15_S16_EUlS15_E_NS1_11comp_targetILNS1_3genE2ELNS1_11target_archE906ELNS1_3gpuE6ELNS1_3repE0EEENS1_30default_config_static_selectorELNS0_4arch9wavefront6targetE1EEEvT1_,"axG",@progbits,_ZN7rocprim17ROCPRIM_400000_NS6detail17trampoline_kernelINS0_14default_configENS1_25partition_config_selectorILNS1_17partition_subalgoE9EllbEEZZNS1_14partition_implILS5_9ELb0ES3_jPlS8_PNS0_10empty_typeENS0_5tupleIJS8_S9_EEENSB_IJS8_SA_EEENS0_18inequality_wrapperIZN2at6native12_GLOBAL__N_124unique_dim_cuda_templateIaEESt5tupleIJNSF_6TensorESK_SK_EERKSK_lbbbEUlllE0_EEPmJS9_EEE10hipError_tPvRmT3_T4_T5_T6_T7_T9_mT8_P12ihipStream_tbDpT10_ENKUlT_T0_E_clISt17integral_constantIbLb1EES1A_EEDaS15_S16_EUlS15_E_NS1_11comp_targetILNS1_3genE2ELNS1_11target_archE906ELNS1_3gpuE6ELNS1_3repE0EEENS1_30default_config_static_selectorELNS0_4arch9wavefront6targetE1EEEvT1_,comdat
	.globl	_ZN7rocprim17ROCPRIM_400000_NS6detail17trampoline_kernelINS0_14default_configENS1_25partition_config_selectorILNS1_17partition_subalgoE9EllbEEZZNS1_14partition_implILS5_9ELb0ES3_jPlS8_PNS0_10empty_typeENS0_5tupleIJS8_S9_EEENSB_IJS8_SA_EEENS0_18inequality_wrapperIZN2at6native12_GLOBAL__N_124unique_dim_cuda_templateIaEESt5tupleIJNSF_6TensorESK_SK_EERKSK_lbbbEUlllE0_EEPmJS9_EEE10hipError_tPvRmT3_T4_T5_T6_T7_T9_mT8_P12ihipStream_tbDpT10_ENKUlT_T0_E_clISt17integral_constantIbLb1EES1A_EEDaS15_S16_EUlS15_E_NS1_11comp_targetILNS1_3genE2ELNS1_11target_archE906ELNS1_3gpuE6ELNS1_3repE0EEENS1_30default_config_static_selectorELNS0_4arch9wavefront6targetE1EEEvT1_ ; -- Begin function _ZN7rocprim17ROCPRIM_400000_NS6detail17trampoline_kernelINS0_14default_configENS1_25partition_config_selectorILNS1_17partition_subalgoE9EllbEEZZNS1_14partition_implILS5_9ELb0ES3_jPlS8_PNS0_10empty_typeENS0_5tupleIJS8_S9_EEENSB_IJS8_SA_EEENS0_18inequality_wrapperIZN2at6native12_GLOBAL__N_124unique_dim_cuda_templateIaEESt5tupleIJNSF_6TensorESK_SK_EERKSK_lbbbEUlllE0_EEPmJS9_EEE10hipError_tPvRmT3_T4_T5_T6_T7_T9_mT8_P12ihipStream_tbDpT10_ENKUlT_T0_E_clISt17integral_constantIbLb1EES1A_EEDaS15_S16_EUlS15_E_NS1_11comp_targetILNS1_3genE2ELNS1_11target_archE906ELNS1_3gpuE6ELNS1_3repE0EEENS1_30default_config_static_selectorELNS0_4arch9wavefront6targetE1EEEvT1_
	.p2align	8
	.type	_ZN7rocprim17ROCPRIM_400000_NS6detail17trampoline_kernelINS0_14default_configENS1_25partition_config_selectorILNS1_17partition_subalgoE9EllbEEZZNS1_14partition_implILS5_9ELb0ES3_jPlS8_PNS0_10empty_typeENS0_5tupleIJS8_S9_EEENSB_IJS8_SA_EEENS0_18inequality_wrapperIZN2at6native12_GLOBAL__N_124unique_dim_cuda_templateIaEESt5tupleIJNSF_6TensorESK_SK_EERKSK_lbbbEUlllE0_EEPmJS9_EEE10hipError_tPvRmT3_T4_T5_T6_T7_T9_mT8_P12ihipStream_tbDpT10_ENKUlT_T0_E_clISt17integral_constantIbLb1EES1A_EEDaS15_S16_EUlS15_E_NS1_11comp_targetILNS1_3genE2ELNS1_11target_archE906ELNS1_3gpuE6ELNS1_3repE0EEENS1_30default_config_static_selectorELNS0_4arch9wavefront6targetE1EEEvT1_,@function
_ZN7rocprim17ROCPRIM_400000_NS6detail17trampoline_kernelINS0_14default_configENS1_25partition_config_selectorILNS1_17partition_subalgoE9EllbEEZZNS1_14partition_implILS5_9ELb0ES3_jPlS8_PNS0_10empty_typeENS0_5tupleIJS8_S9_EEENSB_IJS8_SA_EEENS0_18inequality_wrapperIZN2at6native12_GLOBAL__N_124unique_dim_cuda_templateIaEESt5tupleIJNSF_6TensorESK_SK_EERKSK_lbbbEUlllE0_EEPmJS9_EEE10hipError_tPvRmT3_T4_T5_T6_T7_T9_mT8_P12ihipStream_tbDpT10_ENKUlT_T0_E_clISt17integral_constantIbLb1EES1A_EEDaS15_S16_EUlS15_E_NS1_11comp_targetILNS1_3genE2ELNS1_11target_archE906ELNS1_3gpuE6ELNS1_3repE0EEENS1_30default_config_static_selectorELNS0_4arch9wavefront6targetE1EEEvT1_: ; @_ZN7rocprim17ROCPRIM_400000_NS6detail17trampoline_kernelINS0_14default_configENS1_25partition_config_selectorILNS1_17partition_subalgoE9EllbEEZZNS1_14partition_implILS5_9ELb0ES3_jPlS8_PNS0_10empty_typeENS0_5tupleIJS8_S9_EEENSB_IJS8_SA_EEENS0_18inequality_wrapperIZN2at6native12_GLOBAL__N_124unique_dim_cuda_templateIaEESt5tupleIJNSF_6TensorESK_SK_EERKSK_lbbbEUlllE0_EEPmJS9_EEE10hipError_tPvRmT3_T4_T5_T6_T7_T9_mT8_P12ihipStream_tbDpT10_ENKUlT_T0_E_clISt17integral_constantIbLb1EES1A_EEDaS15_S16_EUlS15_E_NS1_11comp_targetILNS1_3genE2ELNS1_11target_archE906ELNS1_3gpuE6ELNS1_3repE0EEENS1_30default_config_static_selectorELNS0_4arch9wavefront6targetE1EEEvT1_
; %bb.0:
	.section	.rodata,"a",@progbits
	.p2align	6, 0x0
	.amdhsa_kernel _ZN7rocprim17ROCPRIM_400000_NS6detail17trampoline_kernelINS0_14default_configENS1_25partition_config_selectorILNS1_17partition_subalgoE9EllbEEZZNS1_14partition_implILS5_9ELb0ES3_jPlS8_PNS0_10empty_typeENS0_5tupleIJS8_S9_EEENSB_IJS8_SA_EEENS0_18inequality_wrapperIZN2at6native12_GLOBAL__N_124unique_dim_cuda_templateIaEESt5tupleIJNSF_6TensorESK_SK_EERKSK_lbbbEUlllE0_EEPmJS9_EEE10hipError_tPvRmT3_T4_T5_T6_T7_T9_mT8_P12ihipStream_tbDpT10_ENKUlT_T0_E_clISt17integral_constantIbLb1EES1A_EEDaS15_S16_EUlS15_E_NS1_11comp_targetILNS1_3genE2ELNS1_11target_archE906ELNS1_3gpuE6ELNS1_3repE0EEENS1_30default_config_static_selectorELNS0_4arch9wavefront6targetE1EEEvT1_
		.amdhsa_group_segment_fixed_size 0
		.amdhsa_private_segment_fixed_size 0
		.amdhsa_kernarg_size 136
		.amdhsa_user_sgpr_count 2
		.amdhsa_user_sgpr_dispatch_ptr 0
		.amdhsa_user_sgpr_queue_ptr 0
		.amdhsa_user_sgpr_kernarg_segment_ptr 1
		.amdhsa_user_sgpr_dispatch_id 0
		.amdhsa_user_sgpr_kernarg_preload_length 0
		.amdhsa_user_sgpr_kernarg_preload_offset 0
		.amdhsa_user_sgpr_private_segment_size 0
		.amdhsa_uses_dynamic_stack 0
		.amdhsa_enable_private_segment 0
		.amdhsa_system_sgpr_workgroup_id_x 1
		.amdhsa_system_sgpr_workgroup_id_y 0
		.amdhsa_system_sgpr_workgroup_id_z 0
		.amdhsa_system_sgpr_workgroup_info 0
		.amdhsa_system_vgpr_workitem_id 0
		.amdhsa_next_free_vgpr 1
		.amdhsa_next_free_sgpr 0
		.amdhsa_accum_offset 4
		.amdhsa_reserve_vcc 0
		.amdhsa_float_round_mode_32 0
		.amdhsa_float_round_mode_16_64 0
		.amdhsa_float_denorm_mode_32 3
		.amdhsa_float_denorm_mode_16_64 3
		.amdhsa_dx10_clamp 1
		.amdhsa_ieee_mode 1
		.amdhsa_fp16_overflow 0
		.amdhsa_tg_split 0
		.amdhsa_exception_fp_ieee_invalid_op 0
		.amdhsa_exception_fp_denorm_src 0
		.amdhsa_exception_fp_ieee_div_zero 0
		.amdhsa_exception_fp_ieee_overflow 0
		.amdhsa_exception_fp_ieee_underflow 0
		.amdhsa_exception_fp_ieee_inexact 0
		.amdhsa_exception_int_div_zero 0
	.end_amdhsa_kernel
	.section	.text._ZN7rocprim17ROCPRIM_400000_NS6detail17trampoline_kernelINS0_14default_configENS1_25partition_config_selectorILNS1_17partition_subalgoE9EllbEEZZNS1_14partition_implILS5_9ELb0ES3_jPlS8_PNS0_10empty_typeENS0_5tupleIJS8_S9_EEENSB_IJS8_SA_EEENS0_18inequality_wrapperIZN2at6native12_GLOBAL__N_124unique_dim_cuda_templateIaEESt5tupleIJNSF_6TensorESK_SK_EERKSK_lbbbEUlllE0_EEPmJS9_EEE10hipError_tPvRmT3_T4_T5_T6_T7_T9_mT8_P12ihipStream_tbDpT10_ENKUlT_T0_E_clISt17integral_constantIbLb1EES1A_EEDaS15_S16_EUlS15_E_NS1_11comp_targetILNS1_3genE2ELNS1_11target_archE906ELNS1_3gpuE6ELNS1_3repE0EEENS1_30default_config_static_selectorELNS0_4arch9wavefront6targetE1EEEvT1_,"axG",@progbits,_ZN7rocprim17ROCPRIM_400000_NS6detail17trampoline_kernelINS0_14default_configENS1_25partition_config_selectorILNS1_17partition_subalgoE9EllbEEZZNS1_14partition_implILS5_9ELb0ES3_jPlS8_PNS0_10empty_typeENS0_5tupleIJS8_S9_EEENSB_IJS8_SA_EEENS0_18inequality_wrapperIZN2at6native12_GLOBAL__N_124unique_dim_cuda_templateIaEESt5tupleIJNSF_6TensorESK_SK_EERKSK_lbbbEUlllE0_EEPmJS9_EEE10hipError_tPvRmT3_T4_T5_T6_T7_T9_mT8_P12ihipStream_tbDpT10_ENKUlT_T0_E_clISt17integral_constantIbLb1EES1A_EEDaS15_S16_EUlS15_E_NS1_11comp_targetILNS1_3genE2ELNS1_11target_archE906ELNS1_3gpuE6ELNS1_3repE0EEENS1_30default_config_static_selectorELNS0_4arch9wavefront6targetE1EEEvT1_,comdat
.Lfunc_end365:
	.size	_ZN7rocprim17ROCPRIM_400000_NS6detail17trampoline_kernelINS0_14default_configENS1_25partition_config_selectorILNS1_17partition_subalgoE9EllbEEZZNS1_14partition_implILS5_9ELb0ES3_jPlS8_PNS0_10empty_typeENS0_5tupleIJS8_S9_EEENSB_IJS8_SA_EEENS0_18inequality_wrapperIZN2at6native12_GLOBAL__N_124unique_dim_cuda_templateIaEESt5tupleIJNSF_6TensorESK_SK_EERKSK_lbbbEUlllE0_EEPmJS9_EEE10hipError_tPvRmT3_T4_T5_T6_T7_T9_mT8_P12ihipStream_tbDpT10_ENKUlT_T0_E_clISt17integral_constantIbLb1EES1A_EEDaS15_S16_EUlS15_E_NS1_11comp_targetILNS1_3genE2ELNS1_11target_archE906ELNS1_3gpuE6ELNS1_3repE0EEENS1_30default_config_static_selectorELNS0_4arch9wavefront6targetE1EEEvT1_, .Lfunc_end365-_ZN7rocprim17ROCPRIM_400000_NS6detail17trampoline_kernelINS0_14default_configENS1_25partition_config_selectorILNS1_17partition_subalgoE9EllbEEZZNS1_14partition_implILS5_9ELb0ES3_jPlS8_PNS0_10empty_typeENS0_5tupleIJS8_S9_EEENSB_IJS8_SA_EEENS0_18inequality_wrapperIZN2at6native12_GLOBAL__N_124unique_dim_cuda_templateIaEESt5tupleIJNSF_6TensorESK_SK_EERKSK_lbbbEUlllE0_EEPmJS9_EEE10hipError_tPvRmT3_T4_T5_T6_T7_T9_mT8_P12ihipStream_tbDpT10_ENKUlT_T0_E_clISt17integral_constantIbLb1EES1A_EEDaS15_S16_EUlS15_E_NS1_11comp_targetILNS1_3genE2ELNS1_11target_archE906ELNS1_3gpuE6ELNS1_3repE0EEENS1_30default_config_static_selectorELNS0_4arch9wavefront6targetE1EEEvT1_
                                        ; -- End function
	.section	.AMDGPU.csdata,"",@progbits
; Kernel info:
; codeLenInByte = 0
; NumSgprs: 6
; NumVgprs: 0
; NumAgprs: 0
; TotalNumVgprs: 0
; ScratchSize: 0
; MemoryBound: 0
; FloatMode: 240
; IeeeMode: 1
; LDSByteSize: 0 bytes/workgroup (compile time only)
; SGPRBlocks: 0
; VGPRBlocks: 0
; NumSGPRsForWavesPerEU: 6
; NumVGPRsForWavesPerEU: 1
; AccumOffset: 4
; Occupancy: 8
; WaveLimiterHint : 0
; COMPUTE_PGM_RSRC2:SCRATCH_EN: 0
; COMPUTE_PGM_RSRC2:USER_SGPR: 2
; COMPUTE_PGM_RSRC2:TRAP_HANDLER: 0
; COMPUTE_PGM_RSRC2:TGID_X_EN: 1
; COMPUTE_PGM_RSRC2:TGID_Y_EN: 0
; COMPUTE_PGM_RSRC2:TGID_Z_EN: 0
; COMPUTE_PGM_RSRC2:TIDIG_COMP_CNT: 0
; COMPUTE_PGM_RSRC3_GFX90A:ACCUM_OFFSET: 0
; COMPUTE_PGM_RSRC3_GFX90A:TG_SPLIT: 0
	.section	.text._ZN7rocprim17ROCPRIM_400000_NS6detail17trampoline_kernelINS0_14default_configENS1_25partition_config_selectorILNS1_17partition_subalgoE9EllbEEZZNS1_14partition_implILS5_9ELb0ES3_jPlS8_PNS0_10empty_typeENS0_5tupleIJS8_S9_EEENSB_IJS8_SA_EEENS0_18inequality_wrapperIZN2at6native12_GLOBAL__N_124unique_dim_cuda_templateIaEESt5tupleIJNSF_6TensorESK_SK_EERKSK_lbbbEUlllE0_EEPmJS9_EEE10hipError_tPvRmT3_T4_T5_T6_T7_T9_mT8_P12ihipStream_tbDpT10_ENKUlT_T0_E_clISt17integral_constantIbLb1EES1A_EEDaS15_S16_EUlS15_E_NS1_11comp_targetILNS1_3genE10ELNS1_11target_archE1200ELNS1_3gpuE4ELNS1_3repE0EEENS1_30default_config_static_selectorELNS0_4arch9wavefront6targetE1EEEvT1_,"axG",@progbits,_ZN7rocprim17ROCPRIM_400000_NS6detail17trampoline_kernelINS0_14default_configENS1_25partition_config_selectorILNS1_17partition_subalgoE9EllbEEZZNS1_14partition_implILS5_9ELb0ES3_jPlS8_PNS0_10empty_typeENS0_5tupleIJS8_S9_EEENSB_IJS8_SA_EEENS0_18inequality_wrapperIZN2at6native12_GLOBAL__N_124unique_dim_cuda_templateIaEESt5tupleIJNSF_6TensorESK_SK_EERKSK_lbbbEUlllE0_EEPmJS9_EEE10hipError_tPvRmT3_T4_T5_T6_T7_T9_mT8_P12ihipStream_tbDpT10_ENKUlT_T0_E_clISt17integral_constantIbLb1EES1A_EEDaS15_S16_EUlS15_E_NS1_11comp_targetILNS1_3genE10ELNS1_11target_archE1200ELNS1_3gpuE4ELNS1_3repE0EEENS1_30default_config_static_selectorELNS0_4arch9wavefront6targetE1EEEvT1_,comdat
	.globl	_ZN7rocprim17ROCPRIM_400000_NS6detail17trampoline_kernelINS0_14default_configENS1_25partition_config_selectorILNS1_17partition_subalgoE9EllbEEZZNS1_14partition_implILS5_9ELb0ES3_jPlS8_PNS0_10empty_typeENS0_5tupleIJS8_S9_EEENSB_IJS8_SA_EEENS0_18inequality_wrapperIZN2at6native12_GLOBAL__N_124unique_dim_cuda_templateIaEESt5tupleIJNSF_6TensorESK_SK_EERKSK_lbbbEUlllE0_EEPmJS9_EEE10hipError_tPvRmT3_T4_T5_T6_T7_T9_mT8_P12ihipStream_tbDpT10_ENKUlT_T0_E_clISt17integral_constantIbLb1EES1A_EEDaS15_S16_EUlS15_E_NS1_11comp_targetILNS1_3genE10ELNS1_11target_archE1200ELNS1_3gpuE4ELNS1_3repE0EEENS1_30default_config_static_selectorELNS0_4arch9wavefront6targetE1EEEvT1_ ; -- Begin function _ZN7rocprim17ROCPRIM_400000_NS6detail17trampoline_kernelINS0_14default_configENS1_25partition_config_selectorILNS1_17partition_subalgoE9EllbEEZZNS1_14partition_implILS5_9ELb0ES3_jPlS8_PNS0_10empty_typeENS0_5tupleIJS8_S9_EEENSB_IJS8_SA_EEENS0_18inequality_wrapperIZN2at6native12_GLOBAL__N_124unique_dim_cuda_templateIaEESt5tupleIJNSF_6TensorESK_SK_EERKSK_lbbbEUlllE0_EEPmJS9_EEE10hipError_tPvRmT3_T4_T5_T6_T7_T9_mT8_P12ihipStream_tbDpT10_ENKUlT_T0_E_clISt17integral_constantIbLb1EES1A_EEDaS15_S16_EUlS15_E_NS1_11comp_targetILNS1_3genE10ELNS1_11target_archE1200ELNS1_3gpuE4ELNS1_3repE0EEENS1_30default_config_static_selectorELNS0_4arch9wavefront6targetE1EEEvT1_
	.p2align	8
	.type	_ZN7rocprim17ROCPRIM_400000_NS6detail17trampoline_kernelINS0_14default_configENS1_25partition_config_selectorILNS1_17partition_subalgoE9EllbEEZZNS1_14partition_implILS5_9ELb0ES3_jPlS8_PNS0_10empty_typeENS0_5tupleIJS8_S9_EEENSB_IJS8_SA_EEENS0_18inequality_wrapperIZN2at6native12_GLOBAL__N_124unique_dim_cuda_templateIaEESt5tupleIJNSF_6TensorESK_SK_EERKSK_lbbbEUlllE0_EEPmJS9_EEE10hipError_tPvRmT3_T4_T5_T6_T7_T9_mT8_P12ihipStream_tbDpT10_ENKUlT_T0_E_clISt17integral_constantIbLb1EES1A_EEDaS15_S16_EUlS15_E_NS1_11comp_targetILNS1_3genE10ELNS1_11target_archE1200ELNS1_3gpuE4ELNS1_3repE0EEENS1_30default_config_static_selectorELNS0_4arch9wavefront6targetE1EEEvT1_,@function
_ZN7rocprim17ROCPRIM_400000_NS6detail17trampoline_kernelINS0_14default_configENS1_25partition_config_selectorILNS1_17partition_subalgoE9EllbEEZZNS1_14partition_implILS5_9ELb0ES3_jPlS8_PNS0_10empty_typeENS0_5tupleIJS8_S9_EEENSB_IJS8_SA_EEENS0_18inequality_wrapperIZN2at6native12_GLOBAL__N_124unique_dim_cuda_templateIaEESt5tupleIJNSF_6TensorESK_SK_EERKSK_lbbbEUlllE0_EEPmJS9_EEE10hipError_tPvRmT3_T4_T5_T6_T7_T9_mT8_P12ihipStream_tbDpT10_ENKUlT_T0_E_clISt17integral_constantIbLb1EES1A_EEDaS15_S16_EUlS15_E_NS1_11comp_targetILNS1_3genE10ELNS1_11target_archE1200ELNS1_3gpuE4ELNS1_3repE0EEENS1_30default_config_static_selectorELNS0_4arch9wavefront6targetE1EEEvT1_: ; @_ZN7rocprim17ROCPRIM_400000_NS6detail17trampoline_kernelINS0_14default_configENS1_25partition_config_selectorILNS1_17partition_subalgoE9EllbEEZZNS1_14partition_implILS5_9ELb0ES3_jPlS8_PNS0_10empty_typeENS0_5tupleIJS8_S9_EEENSB_IJS8_SA_EEENS0_18inequality_wrapperIZN2at6native12_GLOBAL__N_124unique_dim_cuda_templateIaEESt5tupleIJNSF_6TensorESK_SK_EERKSK_lbbbEUlllE0_EEPmJS9_EEE10hipError_tPvRmT3_T4_T5_T6_T7_T9_mT8_P12ihipStream_tbDpT10_ENKUlT_T0_E_clISt17integral_constantIbLb1EES1A_EEDaS15_S16_EUlS15_E_NS1_11comp_targetILNS1_3genE10ELNS1_11target_archE1200ELNS1_3gpuE4ELNS1_3repE0EEENS1_30default_config_static_selectorELNS0_4arch9wavefront6targetE1EEEvT1_
; %bb.0:
	.section	.rodata,"a",@progbits
	.p2align	6, 0x0
	.amdhsa_kernel _ZN7rocprim17ROCPRIM_400000_NS6detail17trampoline_kernelINS0_14default_configENS1_25partition_config_selectorILNS1_17partition_subalgoE9EllbEEZZNS1_14partition_implILS5_9ELb0ES3_jPlS8_PNS0_10empty_typeENS0_5tupleIJS8_S9_EEENSB_IJS8_SA_EEENS0_18inequality_wrapperIZN2at6native12_GLOBAL__N_124unique_dim_cuda_templateIaEESt5tupleIJNSF_6TensorESK_SK_EERKSK_lbbbEUlllE0_EEPmJS9_EEE10hipError_tPvRmT3_T4_T5_T6_T7_T9_mT8_P12ihipStream_tbDpT10_ENKUlT_T0_E_clISt17integral_constantIbLb1EES1A_EEDaS15_S16_EUlS15_E_NS1_11comp_targetILNS1_3genE10ELNS1_11target_archE1200ELNS1_3gpuE4ELNS1_3repE0EEENS1_30default_config_static_selectorELNS0_4arch9wavefront6targetE1EEEvT1_
		.amdhsa_group_segment_fixed_size 0
		.amdhsa_private_segment_fixed_size 0
		.amdhsa_kernarg_size 136
		.amdhsa_user_sgpr_count 2
		.amdhsa_user_sgpr_dispatch_ptr 0
		.amdhsa_user_sgpr_queue_ptr 0
		.amdhsa_user_sgpr_kernarg_segment_ptr 1
		.amdhsa_user_sgpr_dispatch_id 0
		.amdhsa_user_sgpr_kernarg_preload_length 0
		.amdhsa_user_sgpr_kernarg_preload_offset 0
		.amdhsa_user_sgpr_private_segment_size 0
		.amdhsa_uses_dynamic_stack 0
		.amdhsa_enable_private_segment 0
		.amdhsa_system_sgpr_workgroup_id_x 1
		.amdhsa_system_sgpr_workgroup_id_y 0
		.amdhsa_system_sgpr_workgroup_id_z 0
		.amdhsa_system_sgpr_workgroup_info 0
		.amdhsa_system_vgpr_workitem_id 0
		.amdhsa_next_free_vgpr 1
		.amdhsa_next_free_sgpr 0
		.amdhsa_accum_offset 4
		.amdhsa_reserve_vcc 0
		.amdhsa_float_round_mode_32 0
		.amdhsa_float_round_mode_16_64 0
		.amdhsa_float_denorm_mode_32 3
		.amdhsa_float_denorm_mode_16_64 3
		.amdhsa_dx10_clamp 1
		.amdhsa_ieee_mode 1
		.amdhsa_fp16_overflow 0
		.amdhsa_tg_split 0
		.amdhsa_exception_fp_ieee_invalid_op 0
		.amdhsa_exception_fp_denorm_src 0
		.amdhsa_exception_fp_ieee_div_zero 0
		.amdhsa_exception_fp_ieee_overflow 0
		.amdhsa_exception_fp_ieee_underflow 0
		.amdhsa_exception_fp_ieee_inexact 0
		.amdhsa_exception_int_div_zero 0
	.end_amdhsa_kernel
	.section	.text._ZN7rocprim17ROCPRIM_400000_NS6detail17trampoline_kernelINS0_14default_configENS1_25partition_config_selectorILNS1_17partition_subalgoE9EllbEEZZNS1_14partition_implILS5_9ELb0ES3_jPlS8_PNS0_10empty_typeENS0_5tupleIJS8_S9_EEENSB_IJS8_SA_EEENS0_18inequality_wrapperIZN2at6native12_GLOBAL__N_124unique_dim_cuda_templateIaEESt5tupleIJNSF_6TensorESK_SK_EERKSK_lbbbEUlllE0_EEPmJS9_EEE10hipError_tPvRmT3_T4_T5_T6_T7_T9_mT8_P12ihipStream_tbDpT10_ENKUlT_T0_E_clISt17integral_constantIbLb1EES1A_EEDaS15_S16_EUlS15_E_NS1_11comp_targetILNS1_3genE10ELNS1_11target_archE1200ELNS1_3gpuE4ELNS1_3repE0EEENS1_30default_config_static_selectorELNS0_4arch9wavefront6targetE1EEEvT1_,"axG",@progbits,_ZN7rocprim17ROCPRIM_400000_NS6detail17trampoline_kernelINS0_14default_configENS1_25partition_config_selectorILNS1_17partition_subalgoE9EllbEEZZNS1_14partition_implILS5_9ELb0ES3_jPlS8_PNS0_10empty_typeENS0_5tupleIJS8_S9_EEENSB_IJS8_SA_EEENS0_18inequality_wrapperIZN2at6native12_GLOBAL__N_124unique_dim_cuda_templateIaEESt5tupleIJNSF_6TensorESK_SK_EERKSK_lbbbEUlllE0_EEPmJS9_EEE10hipError_tPvRmT3_T4_T5_T6_T7_T9_mT8_P12ihipStream_tbDpT10_ENKUlT_T0_E_clISt17integral_constantIbLb1EES1A_EEDaS15_S16_EUlS15_E_NS1_11comp_targetILNS1_3genE10ELNS1_11target_archE1200ELNS1_3gpuE4ELNS1_3repE0EEENS1_30default_config_static_selectorELNS0_4arch9wavefront6targetE1EEEvT1_,comdat
.Lfunc_end366:
	.size	_ZN7rocprim17ROCPRIM_400000_NS6detail17trampoline_kernelINS0_14default_configENS1_25partition_config_selectorILNS1_17partition_subalgoE9EllbEEZZNS1_14partition_implILS5_9ELb0ES3_jPlS8_PNS0_10empty_typeENS0_5tupleIJS8_S9_EEENSB_IJS8_SA_EEENS0_18inequality_wrapperIZN2at6native12_GLOBAL__N_124unique_dim_cuda_templateIaEESt5tupleIJNSF_6TensorESK_SK_EERKSK_lbbbEUlllE0_EEPmJS9_EEE10hipError_tPvRmT3_T4_T5_T6_T7_T9_mT8_P12ihipStream_tbDpT10_ENKUlT_T0_E_clISt17integral_constantIbLb1EES1A_EEDaS15_S16_EUlS15_E_NS1_11comp_targetILNS1_3genE10ELNS1_11target_archE1200ELNS1_3gpuE4ELNS1_3repE0EEENS1_30default_config_static_selectorELNS0_4arch9wavefront6targetE1EEEvT1_, .Lfunc_end366-_ZN7rocprim17ROCPRIM_400000_NS6detail17trampoline_kernelINS0_14default_configENS1_25partition_config_selectorILNS1_17partition_subalgoE9EllbEEZZNS1_14partition_implILS5_9ELb0ES3_jPlS8_PNS0_10empty_typeENS0_5tupleIJS8_S9_EEENSB_IJS8_SA_EEENS0_18inequality_wrapperIZN2at6native12_GLOBAL__N_124unique_dim_cuda_templateIaEESt5tupleIJNSF_6TensorESK_SK_EERKSK_lbbbEUlllE0_EEPmJS9_EEE10hipError_tPvRmT3_T4_T5_T6_T7_T9_mT8_P12ihipStream_tbDpT10_ENKUlT_T0_E_clISt17integral_constantIbLb1EES1A_EEDaS15_S16_EUlS15_E_NS1_11comp_targetILNS1_3genE10ELNS1_11target_archE1200ELNS1_3gpuE4ELNS1_3repE0EEENS1_30default_config_static_selectorELNS0_4arch9wavefront6targetE1EEEvT1_
                                        ; -- End function
	.section	.AMDGPU.csdata,"",@progbits
; Kernel info:
; codeLenInByte = 0
; NumSgprs: 6
; NumVgprs: 0
; NumAgprs: 0
; TotalNumVgprs: 0
; ScratchSize: 0
; MemoryBound: 0
; FloatMode: 240
; IeeeMode: 1
; LDSByteSize: 0 bytes/workgroup (compile time only)
; SGPRBlocks: 0
; VGPRBlocks: 0
; NumSGPRsForWavesPerEU: 6
; NumVGPRsForWavesPerEU: 1
; AccumOffset: 4
; Occupancy: 8
; WaveLimiterHint : 0
; COMPUTE_PGM_RSRC2:SCRATCH_EN: 0
; COMPUTE_PGM_RSRC2:USER_SGPR: 2
; COMPUTE_PGM_RSRC2:TRAP_HANDLER: 0
; COMPUTE_PGM_RSRC2:TGID_X_EN: 1
; COMPUTE_PGM_RSRC2:TGID_Y_EN: 0
; COMPUTE_PGM_RSRC2:TGID_Z_EN: 0
; COMPUTE_PGM_RSRC2:TIDIG_COMP_CNT: 0
; COMPUTE_PGM_RSRC3_GFX90A:ACCUM_OFFSET: 0
; COMPUTE_PGM_RSRC3_GFX90A:TG_SPLIT: 0
	.section	.text._ZN7rocprim17ROCPRIM_400000_NS6detail17trampoline_kernelINS0_14default_configENS1_25partition_config_selectorILNS1_17partition_subalgoE9EllbEEZZNS1_14partition_implILS5_9ELb0ES3_jPlS8_PNS0_10empty_typeENS0_5tupleIJS8_S9_EEENSB_IJS8_SA_EEENS0_18inequality_wrapperIZN2at6native12_GLOBAL__N_124unique_dim_cuda_templateIaEESt5tupleIJNSF_6TensorESK_SK_EERKSK_lbbbEUlllE0_EEPmJS9_EEE10hipError_tPvRmT3_T4_T5_T6_T7_T9_mT8_P12ihipStream_tbDpT10_ENKUlT_T0_E_clISt17integral_constantIbLb1EES1A_EEDaS15_S16_EUlS15_E_NS1_11comp_targetILNS1_3genE9ELNS1_11target_archE1100ELNS1_3gpuE3ELNS1_3repE0EEENS1_30default_config_static_selectorELNS0_4arch9wavefront6targetE1EEEvT1_,"axG",@progbits,_ZN7rocprim17ROCPRIM_400000_NS6detail17trampoline_kernelINS0_14default_configENS1_25partition_config_selectorILNS1_17partition_subalgoE9EllbEEZZNS1_14partition_implILS5_9ELb0ES3_jPlS8_PNS0_10empty_typeENS0_5tupleIJS8_S9_EEENSB_IJS8_SA_EEENS0_18inequality_wrapperIZN2at6native12_GLOBAL__N_124unique_dim_cuda_templateIaEESt5tupleIJNSF_6TensorESK_SK_EERKSK_lbbbEUlllE0_EEPmJS9_EEE10hipError_tPvRmT3_T4_T5_T6_T7_T9_mT8_P12ihipStream_tbDpT10_ENKUlT_T0_E_clISt17integral_constantIbLb1EES1A_EEDaS15_S16_EUlS15_E_NS1_11comp_targetILNS1_3genE9ELNS1_11target_archE1100ELNS1_3gpuE3ELNS1_3repE0EEENS1_30default_config_static_selectorELNS0_4arch9wavefront6targetE1EEEvT1_,comdat
	.globl	_ZN7rocprim17ROCPRIM_400000_NS6detail17trampoline_kernelINS0_14default_configENS1_25partition_config_selectorILNS1_17partition_subalgoE9EllbEEZZNS1_14partition_implILS5_9ELb0ES3_jPlS8_PNS0_10empty_typeENS0_5tupleIJS8_S9_EEENSB_IJS8_SA_EEENS0_18inequality_wrapperIZN2at6native12_GLOBAL__N_124unique_dim_cuda_templateIaEESt5tupleIJNSF_6TensorESK_SK_EERKSK_lbbbEUlllE0_EEPmJS9_EEE10hipError_tPvRmT3_T4_T5_T6_T7_T9_mT8_P12ihipStream_tbDpT10_ENKUlT_T0_E_clISt17integral_constantIbLb1EES1A_EEDaS15_S16_EUlS15_E_NS1_11comp_targetILNS1_3genE9ELNS1_11target_archE1100ELNS1_3gpuE3ELNS1_3repE0EEENS1_30default_config_static_selectorELNS0_4arch9wavefront6targetE1EEEvT1_ ; -- Begin function _ZN7rocprim17ROCPRIM_400000_NS6detail17trampoline_kernelINS0_14default_configENS1_25partition_config_selectorILNS1_17partition_subalgoE9EllbEEZZNS1_14partition_implILS5_9ELb0ES3_jPlS8_PNS0_10empty_typeENS0_5tupleIJS8_S9_EEENSB_IJS8_SA_EEENS0_18inequality_wrapperIZN2at6native12_GLOBAL__N_124unique_dim_cuda_templateIaEESt5tupleIJNSF_6TensorESK_SK_EERKSK_lbbbEUlllE0_EEPmJS9_EEE10hipError_tPvRmT3_T4_T5_T6_T7_T9_mT8_P12ihipStream_tbDpT10_ENKUlT_T0_E_clISt17integral_constantIbLb1EES1A_EEDaS15_S16_EUlS15_E_NS1_11comp_targetILNS1_3genE9ELNS1_11target_archE1100ELNS1_3gpuE3ELNS1_3repE0EEENS1_30default_config_static_selectorELNS0_4arch9wavefront6targetE1EEEvT1_
	.p2align	8
	.type	_ZN7rocprim17ROCPRIM_400000_NS6detail17trampoline_kernelINS0_14default_configENS1_25partition_config_selectorILNS1_17partition_subalgoE9EllbEEZZNS1_14partition_implILS5_9ELb0ES3_jPlS8_PNS0_10empty_typeENS0_5tupleIJS8_S9_EEENSB_IJS8_SA_EEENS0_18inequality_wrapperIZN2at6native12_GLOBAL__N_124unique_dim_cuda_templateIaEESt5tupleIJNSF_6TensorESK_SK_EERKSK_lbbbEUlllE0_EEPmJS9_EEE10hipError_tPvRmT3_T4_T5_T6_T7_T9_mT8_P12ihipStream_tbDpT10_ENKUlT_T0_E_clISt17integral_constantIbLb1EES1A_EEDaS15_S16_EUlS15_E_NS1_11comp_targetILNS1_3genE9ELNS1_11target_archE1100ELNS1_3gpuE3ELNS1_3repE0EEENS1_30default_config_static_selectorELNS0_4arch9wavefront6targetE1EEEvT1_,@function
_ZN7rocprim17ROCPRIM_400000_NS6detail17trampoline_kernelINS0_14default_configENS1_25partition_config_selectorILNS1_17partition_subalgoE9EllbEEZZNS1_14partition_implILS5_9ELb0ES3_jPlS8_PNS0_10empty_typeENS0_5tupleIJS8_S9_EEENSB_IJS8_SA_EEENS0_18inequality_wrapperIZN2at6native12_GLOBAL__N_124unique_dim_cuda_templateIaEESt5tupleIJNSF_6TensorESK_SK_EERKSK_lbbbEUlllE0_EEPmJS9_EEE10hipError_tPvRmT3_T4_T5_T6_T7_T9_mT8_P12ihipStream_tbDpT10_ENKUlT_T0_E_clISt17integral_constantIbLb1EES1A_EEDaS15_S16_EUlS15_E_NS1_11comp_targetILNS1_3genE9ELNS1_11target_archE1100ELNS1_3gpuE3ELNS1_3repE0EEENS1_30default_config_static_selectorELNS0_4arch9wavefront6targetE1EEEvT1_: ; @_ZN7rocprim17ROCPRIM_400000_NS6detail17trampoline_kernelINS0_14default_configENS1_25partition_config_selectorILNS1_17partition_subalgoE9EllbEEZZNS1_14partition_implILS5_9ELb0ES3_jPlS8_PNS0_10empty_typeENS0_5tupleIJS8_S9_EEENSB_IJS8_SA_EEENS0_18inequality_wrapperIZN2at6native12_GLOBAL__N_124unique_dim_cuda_templateIaEESt5tupleIJNSF_6TensorESK_SK_EERKSK_lbbbEUlllE0_EEPmJS9_EEE10hipError_tPvRmT3_T4_T5_T6_T7_T9_mT8_P12ihipStream_tbDpT10_ENKUlT_T0_E_clISt17integral_constantIbLb1EES1A_EEDaS15_S16_EUlS15_E_NS1_11comp_targetILNS1_3genE9ELNS1_11target_archE1100ELNS1_3gpuE3ELNS1_3repE0EEENS1_30default_config_static_selectorELNS0_4arch9wavefront6targetE1EEEvT1_
; %bb.0:
	.section	.rodata,"a",@progbits
	.p2align	6, 0x0
	.amdhsa_kernel _ZN7rocprim17ROCPRIM_400000_NS6detail17trampoline_kernelINS0_14default_configENS1_25partition_config_selectorILNS1_17partition_subalgoE9EllbEEZZNS1_14partition_implILS5_9ELb0ES3_jPlS8_PNS0_10empty_typeENS0_5tupleIJS8_S9_EEENSB_IJS8_SA_EEENS0_18inequality_wrapperIZN2at6native12_GLOBAL__N_124unique_dim_cuda_templateIaEESt5tupleIJNSF_6TensorESK_SK_EERKSK_lbbbEUlllE0_EEPmJS9_EEE10hipError_tPvRmT3_T4_T5_T6_T7_T9_mT8_P12ihipStream_tbDpT10_ENKUlT_T0_E_clISt17integral_constantIbLb1EES1A_EEDaS15_S16_EUlS15_E_NS1_11comp_targetILNS1_3genE9ELNS1_11target_archE1100ELNS1_3gpuE3ELNS1_3repE0EEENS1_30default_config_static_selectorELNS0_4arch9wavefront6targetE1EEEvT1_
		.amdhsa_group_segment_fixed_size 0
		.amdhsa_private_segment_fixed_size 0
		.amdhsa_kernarg_size 136
		.amdhsa_user_sgpr_count 2
		.amdhsa_user_sgpr_dispatch_ptr 0
		.amdhsa_user_sgpr_queue_ptr 0
		.amdhsa_user_sgpr_kernarg_segment_ptr 1
		.amdhsa_user_sgpr_dispatch_id 0
		.amdhsa_user_sgpr_kernarg_preload_length 0
		.amdhsa_user_sgpr_kernarg_preload_offset 0
		.amdhsa_user_sgpr_private_segment_size 0
		.amdhsa_uses_dynamic_stack 0
		.amdhsa_enable_private_segment 0
		.amdhsa_system_sgpr_workgroup_id_x 1
		.amdhsa_system_sgpr_workgroup_id_y 0
		.amdhsa_system_sgpr_workgroup_id_z 0
		.amdhsa_system_sgpr_workgroup_info 0
		.amdhsa_system_vgpr_workitem_id 0
		.amdhsa_next_free_vgpr 1
		.amdhsa_next_free_sgpr 0
		.amdhsa_accum_offset 4
		.amdhsa_reserve_vcc 0
		.amdhsa_float_round_mode_32 0
		.amdhsa_float_round_mode_16_64 0
		.amdhsa_float_denorm_mode_32 3
		.amdhsa_float_denorm_mode_16_64 3
		.amdhsa_dx10_clamp 1
		.amdhsa_ieee_mode 1
		.amdhsa_fp16_overflow 0
		.amdhsa_tg_split 0
		.amdhsa_exception_fp_ieee_invalid_op 0
		.amdhsa_exception_fp_denorm_src 0
		.amdhsa_exception_fp_ieee_div_zero 0
		.amdhsa_exception_fp_ieee_overflow 0
		.amdhsa_exception_fp_ieee_underflow 0
		.amdhsa_exception_fp_ieee_inexact 0
		.amdhsa_exception_int_div_zero 0
	.end_amdhsa_kernel
	.section	.text._ZN7rocprim17ROCPRIM_400000_NS6detail17trampoline_kernelINS0_14default_configENS1_25partition_config_selectorILNS1_17partition_subalgoE9EllbEEZZNS1_14partition_implILS5_9ELb0ES3_jPlS8_PNS0_10empty_typeENS0_5tupleIJS8_S9_EEENSB_IJS8_SA_EEENS0_18inequality_wrapperIZN2at6native12_GLOBAL__N_124unique_dim_cuda_templateIaEESt5tupleIJNSF_6TensorESK_SK_EERKSK_lbbbEUlllE0_EEPmJS9_EEE10hipError_tPvRmT3_T4_T5_T6_T7_T9_mT8_P12ihipStream_tbDpT10_ENKUlT_T0_E_clISt17integral_constantIbLb1EES1A_EEDaS15_S16_EUlS15_E_NS1_11comp_targetILNS1_3genE9ELNS1_11target_archE1100ELNS1_3gpuE3ELNS1_3repE0EEENS1_30default_config_static_selectorELNS0_4arch9wavefront6targetE1EEEvT1_,"axG",@progbits,_ZN7rocprim17ROCPRIM_400000_NS6detail17trampoline_kernelINS0_14default_configENS1_25partition_config_selectorILNS1_17partition_subalgoE9EllbEEZZNS1_14partition_implILS5_9ELb0ES3_jPlS8_PNS0_10empty_typeENS0_5tupleIJS8_S9_EEENSB_IJS8_SA_EEENS0_18inequality_wrapperIZN2at6native12_GLOBAL__N_124unique_dim_cuda_templateIaEESt5tupleIJNSF_6TensorESK_SK_EERKSK_lbbbEUlllE0_EEPmJS9_EEE10hipError_tPvRmT3_T4_T5_T6_T7_T9_mT8_P12ihipStream_tbDpT10_ENKUlT_T0_E_clISt17integral_constantIbLb1EES1A_EEDaS15_S16_EUlS15_E_NS1_11comp_targetILNS1_3genE9ELNS1_11target_archE1100ELNS1_3gpuE3ELNS1_3repE0EEENS1_30default_config_static_selectorELNS0_4arch9wavefront6targetE1EEEvT1_,comdat
.Lfunc_end367:
	.size	_ZN7rocprim17ROCPRIM_400000_NS6detail17trampoline_kernelINS0_14default_configENS1_25partition_config_selectorILNS1_17partition_subalgoE9EllbEEZZNS1_14partition_implILS5_9ELb0ES3_jPlS8_PNS0_10empty_typeENS0_5tupleIJS8_S9_EEENSB_IJS8_SA_EEENS0_18inequality_wrapperIZN2at6native12_GLOBAL__N_124unique_dim_cuda_templateIaEESt5tupleIJNSF_6TensorESK_SK_EERKSK_lbbbEUlllE0_EEPmJS9_EEE10hipError_tPvRmT3_T4_T5_T6_T7_T9_mT8_P12ihipStream_tbDpT10_ENKUlT_T0_E_clISt17integral_constantIbLb1EES1A_EEDaS15_S16_EUlS15_E_NS1_11comp_targetILNS1_3genE9ELNS1_11target_archE1100ELNS1_3gpuE3ELNS1_3repE0EEENS1_30default_config_static_selectorELNS0_4arch9wavefront6targetE1EEEvT1_, .Lfunc_end367-_ZN7rocprim17ROCPRIM_400000_NS6detail17trampoline_kernelINS0_14default_configENS1_25partition_config_selectorILNS1_17partition_subalgoE9EllbEEZZNS1_14partition_implILS5_9ELb0ES3_jPlS8_PNS0_10empty_typeENS0_5tupleIJS8_S9_EEENSB_IJS8_SA_EEENS0_18inequality_wrapperIZN2at6native12_GLOBAL__N_124unique_dim_cuda_templateIaEESt5tupleIJNSF_6TensorESK_SK_EERKSK_lbbbEUlllE0_EEPmJS9_EEE10hipError_tPvRmT3_T4_T5_T6_T7_T9_mT8_P12ihipStream_tbDpT10_ENKUlT_T0_E_clISt17integral_constantIbLb1EES1A_EEDaS15_S16_EUlS15_E_NS1_11comp_targetILNS1_3genE9ELNS1_11target_archE1100ELNS1_3gpuE3ELNS1_3repE0EEENS1_30default_config_static_selectorELNS0_4arch9wavefront6targetE1EEEvT1_
                                        ; -- End function
	.section	.AMDGPU.csdata,"",@progbits
; Kernel info:
; codeLenInByte = 0
; NumSgprs: 6
; NumVgprs: 0
; NumAgprs: 0
; TotalNumVgprs: 0
; ScratchSize: 0
; MemoryBound: 0
; FloatMode: 240
; IeeeMode: 1
; LDSByteSize: 0 bytes/workgroup (compile time only)
; SGPRBlocks: 0
; VGPRBlocks: 0
; NumSGPRsForWavesPerEU: 6
; NumVGPRsForWavesPerEU: 1
; AccumOffset: 4
; Occupancy: 8
; WaveLimiterHint : 0
; COMPUTE_PGM_RSRC2:SCRATCH_EN: 0
; COMPUTE_PGM_RSRC2:USER_SGPR: 2
; COMPUTE_PGM_RSRC2:TRAP_HANDLER: 0
; COMPUTE_PGM_RSRC2:TGID_X_EN: 1
; COMPUTE_PGM_RSRC2:TGID_Y_EN: 0
; COMPUTE_PGM_RSRC2:TGID_Z_EN: 0
; COMPUTE_PGM_RSRC2:TIDIG_COMP_CNT: 0
; COMPUTE_PGM_RSRC3_GFX90A:ACCUM_OFFSET: 0
; COMPUTE_PGM_RSRC3_GFX90A:TG_SPLIT: 0
	.section	.text._ZN7rocprim17ROCPRIM_400000_NS6detail17trampoline_kernelINS0_14default_configENS1_25partition_config_selectorILNS1_17partition_subalgoE9EllbEEZZNS1_14partition_implILS5_9ELb0ES3_jPlS8_PNS0_10empty_typeENS0_5tupleIJS8_S9_EEENSB_IJS8_SA_EEENS0_18inequality_wrapperIZN2at6native12_GLOBAL__N_124unique_dim_cuda_templateIaEESt5tupleIJNSF_6TensorESK_SK_EERKSK_lbbbEUlllE0_EEPmJS9_EEE10hipError_tPvRmT3_T4_T5_T6_T7_T9_mT8_P12ihipStream_tbDpT10_ENKUlT_T0_E_clISt17integral_constantIbLb1EES1A_EEDaS15_S16_EUlS15_E_NS1_11comp_targetILNS1_3genE8ELNS1_11target_archE1030ELNS1_3gpuE2ELNS1_3repE0EEENS1_30default_config_static_selectorELNS0_4arch9wavefront6targetE1EEEvT1_,"axG",@progbits,_ZN7rocprim17ROCPRIM_400000_NS6detail17trampoline_kernelINS0_14default_configENS1_25partition_config_selectorILNS1_17partition_subalgoE9EllbEEZZNS1_14partition_implILS5_9ELb0ES3_jPlS8_PNS0_10empty_typeENS0_5tupleIJS8_S9_EEENSB_IJS8_SA_EEENS0_18inequality_wrapperIZN2at6native12_GLOBAL__N_124unique_dim_cuda_templateIaEESt5tupleIJNSF_6TensorESK_SK_EERKSK_lbbbEUlllE0_EEPmJS9_EEE10hipError_tPvRmT3_T4_T5_T6_T7_T9_mT8_P12ihipStream_tbDpT10_ENKUlT_T0_E_clISt17integral_constantIbLb1EES1A_EEDaS15_S16_EUlS15_E_NS1_11comp_targetILNS1_3genE8ELNS1_11target_archE1030ELNS1_3gpuE2ELNS1_3repE0EEENS1_30default_config_static_selectorELNS0_4arch9wavefront6targetE1EEEvT1_,comdat
	.globl	_ZN7rocprim17ROCPRIM_400000_NS6detail17trampoline_kernelINS0_14default_configENS1_25partition_config_selectorILNS1_17partition_subalgoE9EllbEEZZNS1_14partition_implILS5_9ELb0ES3_jPlS8_PNS0_10empty_typeENS0_5tupleIJS8_S9_EEENSB_IJS8_SA_EEENS0_18inequality_wrapperIZN2at6native12_GLOBAL__N_124unique_dim_cuda_templateIaEESt5tupleIJNSF_6TensorESK_SK_EERKSK_lbbbEUlllE0_EEPmJS9_EEE10hipError_tPvRmT3_T4_T5_T6_T7_T9_mT8_P12ihipStream_tbDpT10_ENKUlT_T0_E_clISt17integral_constantIbLb1EES1A_EEDaS15_S16_EUlS15_E_NS1_11comp_targetILNS1_3genE8ELNS1_11target_archE1030ELNS1_3gpuE2ELNS1_3repE0EEENS1_30default_config_static_selectorELNS0_4arch9wavefront6targetE1EEEvT1_ ; -- Begin function _ZN7rocprim17ROCPRIM_400000_NS6detail17trampoline_kernelINS0_14default_configENS1_25partition_config_selectorILNS1_17partition_subalgoE9EllbEEZZNS1_14partition_implILS5_9ELb0ES3_jPlS8_PNS0_10empty_typeENS0_5tupleIJS8_S9_EEENSB_IJS8_SA_EEENS0_18inequality_wrapperIZN2at6native12_GLOBAL__N_124unique_dim_cuda_templateIaEESt5tupleIJNSF_6TensorESK_SK_EERKSK_lbbbEUlllE0_EEPmJS9_EEE10hipError_tPvRmT3_T4_T5_T6_T7_T9_mT8_P12ihipStream_tbDpT10_ENKUlT_T0_E_clISt17integral_constantIbLb1EES1A_EEDaS15_S16_EUlS15_E_NS1_11comp_targetILNS1_3genE8ELNS1_11target_archE1030ELNS1_3gpuE2ELNS1_3repE0EEENS1_30default_config_static_selectorELNS0_4arch9wavefront6targetE1EEEvT1_
	.p2align	8
	.type	_ZN7rocprim17ROCPRIM_400000_NS6detail17trampoline_kernelINS0_14default_configENS1_25partition_config_selectorILNS1_17partition_subalgoE9EllbEEZZNS1_14partition_implILS5_9ELb0ES3_jPlS8_PNS0_10empty_typeENS0_5tupleIJS8_S9_EEENSB_IJS8_SA_EEENS0_18inequality_wrapperIZN2at6native12_GLOBAL__N_124unique_dim_cuda_templateIaEESt5tupleIJNSF_6TensorESK_SK_EERKSK_lbbbEUlllE0_EEPmJS9_EEE10hipError_tPvRmT3_T4_T5_T6_T7_T9_mT8_P12ihipStream_tbDpT10_ENKUlT_T0_E_clISt17integral_constantIbLb1EES1A_EEDaS15_S16_EUlS15_E_NS1_11comp_targetILNS1_3genE8ELNS1_11target_archE1030ELNS1_3gpuE2ELNS1_3repE0EEENS1_30default_config_static_selectorELNS0_4arch9wavefront6targetE1EEEvT1_,@function
_ZN7rocprim17ROCPRIM_400000_NS6detail17trampoline_kernelINS0_14default_configENS1_25partition_config_selectorILNS1_17partition_subalgoE9EllbEEZZNS1_14partition_implILS5_9ELb0ES3_jPlS8_PNS0_10empty_typeENS0_5tupleIJS8_S9_EEENSB_IJS8_SA_EEENS0_18inequality_wrapperIZN2at6native12_GLOBAL__N_124unique_dim_cuda_templateIaEESt5tupleIJNSF_6TensorESK_SK_EERKSK_lbbbEUlllE0_EEPmJS9_EEE10hipError_tPvRmT3_T4_T5_T6_T7_T9_mT8_P12ihipStream_tbDpT10_ENKUlT_T0_E_clISt17integral_constantIbLb1EES1A_EEDaS15_S16_EUlS15_E_NS1_11comp_targetILNS1_3genE8ELNS1_11target_archE1030ELNS1_3gpuE2ELNS1_3repE0EEENS1_30default_config_static_selectorELNS0_4arch9wavefront6targetE1EEEvT1_: ; @_ZN7rocprim17ROCPRIM_400000_NS6detail17trampoline_kernelINS0_14default_configENS1_25partition_config_selectorILNS1_17partition_subalgoE9EllbEEZZNS1_14partition_implILS5_9ELb0ES3_jPlS8_PNS0_10empty_typeENS0_5tupleIJS8_S9_EEENSB_IJS8_SA_EEENS0_18inequality_wrapperIZN2at6native12_GLOBAL__N_124unique_dim_cuda_templateIaEESt5tupleIJNSF_6TensorESK_SK_EERKSK_lbbbEUlllE0_EEPmJS9_EEE10hipError_tPvRmT3_T4_T5_T6_T7_T9_mT8_P12ihipStream_tbDpT10_ENKUlT_T0_E_clISt17integral_constantIbLb1EES1A_EEDaS15_S16_EUlS15_E_NS1_11comp_targetILNS1_3genE8ELNS1_11target_archE1030ELNS1_3gpuE2ELNS1_3repE0EEENS1_30default_config_static_selectorELNS0_4arch9wavefront6targetE1EEEvT1_
; %bb.0:
	.section	.rodata,"a",@progbits
	.p2align	6, 0x0
	.amdhsa_kernel _ZN7rocprim17ROCPRIM_400000_NS6detail17trampoline_kernelINS0_14default_configENS1_25partition_config_selectorILNS1_17partition_subalgoE9EllbEEZZNS1_14partition_implILS5_9ELb0ES3_jPlS8_PNS0_10empty_typeENS0_5tupleIJS8_S9_EEENSB_IJS8_SA_EEENS0_18inequality_wrapperIZN2at6native12_GLOBAL__N_124unique_dim_cuda_templateIaEESt5tupleIJNSF_6TensorESK_SK_EERKSK_lbbbEUlllE0_EEPmJS9_EEE10hipError_tPvRmT3_T4_T5_T6_T7_T9_mT8_P12ihipStream_tbDpT10_ENKUlT_T0_E_clISt17integral_constantIbLb1EES1A_EEDaS15_S16_EUlS15_E_NS1_11comp_targetILNS1_3genE8ELNS1_11target_archE1030ELNS1_3gpuE2ELNS1_3repE0EEENS1_30default_config_static_selectorELNS0_4arch9wavefront6targetE1EEEvT1_
		.amdhsa_group_segment_fixed_size 0
		.amdhsa_private_segment_fixed_size 0
		.amdhsa_kernarg_size 136
		.amdhsa_user_sgpr_count 2
		.amdhsa_user_sgpr_dispatch_ptr 0
		.amdhsa_user_sgpr_queue_ptr 0
		.amdhsa_user_sgpr_kernarg_segment_ptr 1
		.amdhsa_user_sgpr_dispatch_id 0
		.amdhsa_user_sgpr_kernarg_preload_length 0
		.amdhsa_user_sgpr_kernarg_preload_offset 0
		.amdhsa_user_sgpr_private_segment_size 0
		.amdhsa_uses_dynamic_stack 0
		.amdhsa_enable_private_segment 0
		.amdhsa_system_sgpr_workgroup_id_x 1
		.amdhsa_system_sgpr_workgroup_id_y 0
		.amdhsa_system_sgpr_workgroup_id_z 0
		.amdhsa_system_sgpr_workgroup_info 0
		.amdhsa_system_vgpr_workitem_id 0
		.amdhsa_next_free_vgpr 1
		.amdhsa_next_free_sgpr 0
		.amdhsa_accum_offset 4
		.amdhsa_reserve_vcc 0
		.amdhsa_float_round_mode_32 0
		.amdhsa_float_round_mode_16_64 0
		.amdhsa_float_denorm_mode_32 3
		.amdhsa_float_denorm_mode_16_64 3
		.amdhsa_dx10_clamp 1
		.amdhsa_ieee_mode 1
		.amdhsa_fp16_overflow 0
		.amdhsa_tg_split 0
		.amdhsa_exception_fp_ieee_invalid_op 0
		.amdhsa_exception_fp_denorm_src 0
		.amdhsa_exception_fp_ieee_div_zero 0
		.amdhsa_exception_fp_ieee_overflow 0
		.amdhsa_exception_fp_ieee_underflow 0
		.amdhsa_exception_fp_ieee_inexact 0
		.amdhsa_exception_int_div_zero 0
	.end_amdhsa_kernel
	.section	.text._ZN7rocprim17ROCPRIM_400000_NS6detail17trampoline_kernelINS0_14default_configENS1_25partition_config_selectorILNS1_17partition_subalgoE9EllbEEZZNS1_14partition_implILS5_9ELb0ES3_jPlS8_PNS0_10empty_typeENS0_5tupleIJS8_S9_EEENSB_IJS8_SA_EEENS0_18inequality_wrapperIZN2at6native12_GLOBAL__N_124unique_dim_cuda_templateIaEESt5tupleIJNSF_6TensorESK_SK_EERKSK_lbbbEUlllE0_EEPmJS9_EEE10hipError_tPvRmT3_T4_T5_T6_T7_T9_mT8_P12ihipStream_tbDpT10_ENKUlT_T0_E_clISt17integral_constantIbLb1EES1A_EEDaS15_S16_EUlS15_E_NS1_11comp_targetILNS1_3genE8ELNS1_11target_archE1030ELNS1_3gpuE2ELNS1_3repE0EEENS1_30default_config_static_selectorELNS0_4arch9wavefront6targetE1EEEvT1_,"axG",@progbits,_ZN7rocprim17ROCPRIM_400000_NS6detail17trampoline_kernelINS0_14default_configENS1_25partition_config_selectorILNS1_17partition_subalgoE9EllbEEZZNS1_14partition_implILS5_9ELb0ES3_jPlS8_PNS0_10empty_typeENS0_5tupleIJS8_S9_EEENSB_IJS8_SA_EEENS0_18inequality_wrapperIZN2at6native12_GLOBAL__N_124unique_dim_cuda_templateIaEESt5tupleIJNSF_6TensorESK_SK_EERKSK_lbbbEUlllE0_EEPmJS9_EEE10hipError_tPvRmT3_T4_T5_T6_T7_T9_mT8_P12ihipStream_tbDpT10_ENKUlT_T0_E_clISt17integral_constantIbLb1EES1A_EEDaS15_S16_EUlS15_E_NS1_11comp_targetILNS1_3genE8ELNS1_11target_archE1030ELNS1_3gpuE2ELNS1_3repE0EEENS1_30default_config_static_selectorELNS0_4arch9wavefront6targetE1EEEvT1_,comdat
.Lfunc_end368:
	.size	_ZN7rocprim17ROCPRIM_400000_NS6detail17trampoline_kernelINS0_14default_configENS1_25partition_config_selectorILNS1_17partition_subalgoE9EllbEEZZNS1_14partition_implILS5_9ELb0ES3_jPlS8_PNS0_10empty_typeENS0_5tupleIJS8_S9_EEENSB_IJS8_SA_EEENS0_18inequality_wrapperIZN2at6native12_GLOBAL__N_124unique_dim_cuda_templateIaEESt5tupleIJNSF_6TensorESK_SK_EERKSK_lbbbEUlllE0_EEPmJS9_EEE10hipError_tPvRmT3_T4_T5_T6_T7_T9_mT8_P12ihipStream_tbDpT10_ENKUlT_T0_E_clISt17integral_constantIbLb1EES1A_EEDaS15_S16_EUlS15_E_NS1_11comp_targetILNS1_3genE8ELNS1_11target_archE1030ELNS1_3gpuE2ELNS1_3repE0EEENS1_30default_config_static_selectorELNS0_4arch9wavefront6targetE1EEEvT1_, .Lfunc_end368-_ZN7rocprim17ROCPRIM_400000_NS6detail17trampoline_kernelINS0_14default_configENS1_25partition_config_selectorILNS1_17partition_subalgoE9EllbEEZZNS1_14partition_implILS5_9ELb0ES3_jPlS8_PNS0_10empty_typeENS0_5tupleIJS8_S9_EEENSB_IJS8_SA_EEENS0_18inequality_wrapperIZN2at6native12_GLOBAL__N_124unique_dim_cuda_templateIaEESt5tupleIJNSF_6TensorESK_SK_EERKSK_lbbbEUlllE0_EEPmJS9_EEE10hipError_tPvRmT3_T4_T5_T6_T7_T9_mT8_P12ihipStream_tbDpT10_ENKUlT_T0_E_clISt17integral_constantIbLb1EES1A_EEDaS15_S16_EUlS15_E_NS1_11comp_targetILNS1_3genE8ELNS1_11target_archE1030ELNS1_3gpuE2ELNS1_3repE0EEENS1_30default_config_static_selectorELNS0_4arch9wavefront6targetE1EEEvT1_
                                        ; -- End function
	.section	.AMDGPU.csdata,"",@progbits
; Kernel info:
; codeLenInByte = 0
; NumSgprs: 6
; NumVgprs: 0
; NumAgprs: 0
; TotalNumVgprs: 0
; ScratchSize: 0
; MemoryBound: 0
; FloatMode: 240
; IeeeMode: 1
; LDSByteSize: 0 bytes/workgroup (compile time only)
; SGPRBlocks: 0
; VGPRBlocks: 0
; NumSGPRsForWavesPerEU: 6
; NumVGPRsForWavesPerEU: 1
; AccumOffset: 4
; Occupancy: 8
; WaveLimiterHint : 0
; COMPUTE_PGM_RSRC2:SCRATCH_EN: 0
; COMPUTE_PGM_RSRC2:USER_SGPR: 2
; COMPUTE_PGM_RSRC2:TRAP_HANDLER: 0
; COMPUTE_PGM_RSRC2:TGID_X_EN: 1
; COMPUTE_PGM_RSRC2:TGID_Y_EN: 0
; COMPUTE_PGM_RSRC2:TGID_Z_EN: 0
; COMPUTE_PGM_RSRC2:TIDIG_COMP_CNT: 0
; COMPUTE_PGM_RSRC3_GFX90A:ACCUM_OFFSET: 0
; COMPUTE_PGM_RSRC3_GFX90A:TG_SPLIT: 0
	.section	.text._ZN7rocprim17ROCPRIM_400000_NS6detail17trampoline_kernelINS0_14default_configENS1_25partition_config_selectorILNS1_17partition_subalgoE9EllbEEZZNS1_14partition_implILS5_9ELb0ES3_jPlS8_PNS0_10empty_typeENS0_5tupleIJS8_S9_EEENSB_IJS8_SA_EEENS0_18inequality_wrapperIZN2at6native12_GLOBAL__N_124unique_dim_cuda_templateIaEESt5tupleIJNSF_6TensorESK_SK_EERKSK_lbbbEUlllE0_EEPmJS9_EEE10hipError_tPvRmT3_T4_T5_T6_T7_T9_mT8_P12ihipStream_tbDpT10_ENKUlT_T0_E_clISt17integral_constantIbLb1EES19_IbLb0EEEEDaS15_S16_EUlS15_E_NS1_11comp_targetILNS1_3genE0ELNS1_11target_archE4294967295ELNS1_3gpuE0ELNS1_3repE0EEENS1_30default_config_static_selectorELNS0_4arch9wavefront6targetE1EEEvT1_,"axG",@progbits,_ZN7rocprim17ROCPRIM_400000_NS6detail17trampoline_kernelINS0_14default_configENS1_25partition_config_selectorILNS1_17partition_subalgoE9EllbEEZZNS1_14partition_implILS5_9ELb0ES3_jPlS8_PNS0_10empty_typeENS0_5tupleIJS8_S9_EEENSB_IJS8_SA_EEENS0_18inequality_wrapperIZN2at6native12_GLOBAL__N_124unique_dim_cuda_templateIaEESt5tupleIJNSF_6TensorESK_SK_EERKSK_lbbbEUlllE0_EEPmJS9_EEE10hipError_tPvRmT3_T4_T5_T6_T7_T9_mT8_P12ihipStream_tbDpT10_ENKUlT_T0_E_clISt17integral_constantIbLb1EES19_IbLb0EEEEDaS15_S16_EUlS15_E_NS1_11comp_targetILNS1_3genE0ELNS1_11target_archE4294967295ELNS1_3gpuE0ELNS1_3repE0EEENS1_30default_config_static_selectorELNS0_4arch9wavefront6targetE1EEEvT1_,comdat
	.globl	_ZN7rocprim17ROCPRIM_400000_NS6detail17trampoline_kernelINS0_14default_configENS1_25partition_config_selectorILNS1_17partition_subalgoE9EllbEEZZNS1_14partition_implILS5_9ELb0ES3_jPlS8_PNS0_10empty_typeENS0_5tupleIJS8_S9_EEENSB_IJS8_SA_EEENS0_18inequality_wrapperIZN2at6native12_GLOBAL__N_124unique_dim_cuda_templateIaEESt5tupleIJNSF_6TensorESK_SK_EERKSK_lbbbEUlllE0_EEPmJS9_EEE10hipError_tPvRmT3_T4_T5_T6_T7_T9_mT8_P12ihipStream_tbDpT10_ENKUlT_T0_E_clISt17integral_constantIbLb1EES19_IbLb0EEEEDaS15_S16_EUlS15_E_NS1_11comp_targetILNS1_3genE0ELNS1_11target_archE4294967295ELNS1_3gpuE0ELNS1_3repE0EEENS1_30default_config_static_selectorELNS0_4arch9wavefront6targetE1EEEvT1_ ; -- Begin function _ZN7rocprim17ROCPRIM_400000_NS6detail17trampoline_kernelINS0_14default_configENS1_25partition_config_selectorILNS1_17partition_subalgoE9EllbEEZZNS1_14partition_implILS5_9ELb0ES3_jPlS8_PNS0_10empty_typeENS0_5tupleIJS8_S9_EEENSB_IJS8_SA_EEENS0_18inequality_wrapperIZN2at6native12_GLOBAL__N_124unique_dim_cuda_templateIaEESt5tupleIJNSF_6TensorESK_SK_EERKSK_lbbbEUlllE0_EEPmJS9_EEE10hipError_tPvRmT3_T4_T5_T6_T7_T9_mT8_P12ihipStream_tbDpT10_ENKUlT_T0_E_clISt17integral_constantIbLb1EES19_IbLb0EEEEDaS15_S16_EUlS15_E_NS1_11comp_targetILNS1_3genE0ELNS1_11target_archE4294967295ELNS1_3gpuE0ELNS1_3repE0EEENS1_30default_config_static_selectorELNS0_4arch9wavefront6targetE1EEEvT1_
	.p2align	8
	.type	_ZN7rocprim17ROCPRIM_400000_NS6detail17trampoline_kernelINS0_14default_configENS1_25partition_config_selectorILNS1_17partition_subalgoE9EllbEEZZNS1_14partition_implILS5_9ELb0ES3_jPlS8_PNS0_10empty_typeENS0_5tupleIJS8_S9_EEENSB_IJS8_SA_EEENS0_18inequality_wrapperIZN2at6native12_GLOBAL__N_124unique_dim_cuda_templateIaEESt5tupleIJNSF_6TensorESK_SK_EERKSK_lbbbEUlllE0_EEPmJS9_EEE10hipError_tPvRmT3_T4_T5_T6_T7_T9_mT8_P12ihipStream_tbDpT10_ENKUlT_T0_E_clISt17integral_constantIbLb1EES19_IbLb0EEEEDaS15_S16_EUlS15_E_NS1_11comp_targetILNS1_3genE0ELNS1_11target_archE4294967295ELNS1_3gpuE0ELNS1_3repE0EEENS1_30default_config_static_selectorELNS0_4arch9wavefront6targetE1EEEvT1_,@function
_ZN7rocprim17ROCPRIM_400000_NS6detail17trampoline_kernelINS0_14default_configENS1_25partition_config_selectorILNS1_17partition_subalgoE9EllbEEZZNS1_14partition_implILS5_9ELb0ES3_jPlS8_PNS0_10empty_typeENS0_5tupleIJS8_S9_EEENSB_IJS8_SA_EEENS0_18inequality_wrapperIZN2at6native12_GLOBAL__N_124unique_dim_cuda_templateIaEESt5tupleIJNSF_6TensorESK_SK_EERKSK_lbbbEUlllE0_EEPmJS9_EEE10hipError_tPvRmT3_T4_T5_T6_T7_T9_mT8_P12ihipStream_tbDpT10_ENKUlT_T0_E_clISt17integral_constantIbLb1EES19_IbLb0EEEEDaS15_S16_EUlS15_E_NS1_11comp_targetILNS1_3genE0ELNS1_11target_archE4294967295ELNS1_3gpuE0ELNS1_3repE0EEENS1_30default_config_static_selectorELNS0_4arch9wavefront6targetE1EEEvT1_: ; @_ZN7rocprim17ROCPRIM_400000_NS6detail17trampoline_kernelINS0_14default_configENS1_25partition_config_selectorILNS1_17partition_subalgoE9EllbEEZZNS1_14partition_implILS5_9ELb0ES3_jPlS8_PNS0_10empty_typeENS0_5tupleIJS8_S9_EEENSB_IJS8_SA_EEENS0_18inequality_wrapperIZN2at6native12_GLOBAL__N_124unique_dim_cuda_templateIaEESt5tupleIJNSF_6TensorESK_SK_EERKSK_lbbbEUlllE0_EEPmJS9_EEE10hipError_tPvRmT3_T4_T5_T6_T7_T9_mT8_P12ihipStream_tbDpT10_ENKUlT_T0_E_clISt17integral_constantIbLb1EES19_IbLb0EEEEDaS15_S16_EUlS15_E_NS1_11comp_targetILNS1_3genE0ELNS1_11target_archE4294967295ELNS1_3gpuE0ELNS1_3repE0EEENS1_30default_config_static_selectorELNS0_4arch9wavefront6targetE1EEEvT1_
; %bb.0:
	.section	.rodata,"a",@progbits
	.p2align	6, 0x0
	.amdhsa_kernel _ZN7rocprim17ROCPRIM_400000_NS6detail17trampoline_kernelINS0_14default_configENS1_25partition_config_selectorILNS1_17partition_subalgoE9EllbEEZZNS1_14partition_implILS5_9ELb0ES3_jPlS8_PNS0_10empty_typeENS0_5tupleIJS8_S9_EEENSB_IJS8_SA_EEENS0_18inequality_wrapperIZN2at6native12_GLOBAL__N_124unique_dim_cuda_templateIaEESt5tupleIJNSF_6TensorESK_SK_EERKSK_lbbbEUlllE0_EEPmJS9_EEE10hipError_tPvRmT3_T4_T5_T6_T7_T9_mT8_P12ihipStream_tbDpT10_ENKUlT_T0_E_clISt17integral_constantIbLb1EES19_IbLb0EEEEDaS15_S16_EUlS15_E_NS1_11comp_targetILNS1_3genE0ELNS1_11target_archE4294967295ELNS1_3gpuE0ELNS1_3repE0EEENS1_30default_config_static_selectorELNS0_4arch9wavefront6targetE1EEEvT1_
		.amdhsa_group_segment_fixed_size 0
		.amdhsa_private_segment_fixed_size 0
		.amdhsa_kernarg_size 120
		.amdhsa_user_sgpr_count 2
		.amdhsa_user_sgpr_dispatch_ptr 0
		.amdhsa_user_sgpr_queue_ptr 0
		.amdhsa_user_sgpr_kernarg_segment_ptr 1
		.amdhsa_user_sgpr_dispatch_id 0
		.amdhsa_user_sgpr_kernarg_preload_length 0
		.amdhsa_user_sgpr_kernarg_preload_offset 0
		.amdhsa_user_sgpr_private_segment_size 0
		.amdhsa_uses_dynamic_stack 0
		.amdhsa_enable_private_segment 0
		.amdhsa_system_sgpr_workgroup_id_x 1
		.amdhsa_system_sgpr_workgroup_id_y 0
		.amdhsa_system_sgpr_workgroup_id_z 0
		.amdhsa_system_sgpr_workgroup_info 0
		.amdhsa_system_vgpr_workitem_id 0
		.amdhsa_next_free_vgpr 1
		.amdhsa_next_free_sgpr 0
		.amdhsa_accum_offset 4
		.amdhsa_reserve_vcc 0
		.amdhsa_float_round_mode_32 0
		.amdhsa_float_round_mode_16_64 0
		.amdhsa_float_denorm_mode_32 3
		.amdhsa_float_denorm_mode_16_64 3
		.amdhsa_dx10_clamp 1
		.amdhsa_ieee_mode 1
		.amdhsa_fp16_overflow 0
		.amdhsa_tg_split 0
		.amdhsa_exception_fp_ieee_invalid_op 0
		.amdhsa_exception_fp_denorm_src 0
		.amdhsa_exception_fp_ieee_div_zero 0
		.amdhsa_exception_fp_ieee_overflow 0
		.amdhsa_exception_fp_ieee_underflow 0
		.amdhsa_exception_fp_ieee_inexact 0
		.amdhsa_exception_int_div_zero 0
	.end_amdhsa_kernel
	.section	.text._ZN7rocprim17ROCPRIM_400000_NS6detail17trampoline_kernelINS0_14default_configENS1_25partition_config_selectorILNS1_17partition_subalgoE9EllbEEZZNS1_14partition_implILS5_9ELb0ES3_jPlS8_PNS0_10empty_typeENS0_5tupleIJS8_S9_EEENSB_IJS8_SA_EEENS0_18inequality_wrapperIZN2at6native12_GLOBAL__N_124unique_dim_cuda_templateIaEESt5tupleIJNSF_6TensorESK_SK_EERKSK_lbbbEUlllE0_EEPmJS9_EEE10hipError_tPvRmT3_T4_T5_T6_T7_T9_mT8_P12ihipStream_tbDpT10_ENKUlT_T0_E_clISt17integral_constantIbLb1EES19_IbLb0EEEEDaS15_S16_EUlS15_E_NS1_11comp_targetILNS1_3genE0ELNS1_11target_archE4294967295ELNS1_3gpuE0ELNS1_3repE0EEENS1_30default_config_static_selectorELNS0_4arch9wavefront6targetE1EEEvT1_,"axG",@progbits,_ZN7rocprim17ROCPRIM_400000_NS6detail17trampoline_kernelINS0_14default_configENS1_25partition_config_selectorILNS1_17partition_subalgoE9EllbEEZZNS1_14partition_implILS5_9ELb0ES3_jPlS8_PNS0_10empty_typeENS0_5tupleIJS8_S9_EEENSB_IJS8_SA_EEENS0_18inequality_wrapperIZN2at6native12_GLOBAL__N_124unique_dim_cuda_templateIaEESt5tupleIJNSF_6TensorESK_SK_EERKSK_lbbbEUlllE0_EEPmJS9_EEE10hipError_tPvRmT3_T4_T5_T6_T7_T9_mT8_P12ihipStream_tbDpT10_ENKUlT_T0_E_clISt17integral_constantIbLb1EES19_IbLb0EEEEDaS15_S16_EUlS15_E_NS1_11comp_targetILNS1_3genE0ELNS1_11target_archE4294967295ELNS1_3gpuE0ELNS1_3repE0EEENS1_30default_config_static_selectorELNS0_4arch9wavefront6targetE1EEEvT1_,comdat
.Lfunc_end369:
	.size	_ZN7rocprim17ROCPRIM_400000_NS6detail17trampoline_kernelINS0_14default_configENS1_25partition_config_selectorILNS1_17partition_subalgoE9EllbEEZZNS1_14partition_implILS5_9ELb0ES3_jPlS8_PNS0_10empty_typeENS0_5tupleIJS8_S9_EEENSB_IJS8_SA_EEENS0_18inequality_wrapperIZN2at6native12_GLOBAL__N_124unique_dim_cuda_templateIaEESt5tupleIJNSF_6TensorESK_SK_EERKSK_lbbbEUlllE0_EEPmJS9_EEE10hipError_tPvRmT3_T4_T5_T6_T7_T9_mT8_P12ihipStream_tbDpT10_ENKUlT_T0_E_clISt17integral_constantIbLb1EES19_IbLb0EEEEDaS15_S16_EUlS15_E_NS1_11comp_targetILNS1_3genE0ELNS1_11target_archE4294967295ELNS1_3gpuE0ELNS1_3repE0EEENS1_30default_config_static_selectorELNS0_4arch9wavefront6targetE1EEEvT1_, .Lfunc_end369-_ZN7rocprim17ROCPRIM_400000_NS6detail17trampoline_kernelINS0_14default_configENS1_25partition_config_selectorILNS1_17partition_subalgoE9EllbEEZZNS1_14partition_implILS5_9ELb0ES3_jPlS8_PNS0_10empty_typeENS0_5tupleIJS8_S9_EEENSB_IJS8_SA_EEENS0_18inequality_wrapperIZN2at6native12_GLOBAL__N_124unique_dim_cuda_templateIaEESt5tupleIJNSF_6TensorESK_SK_EERKSK_lbbbEUlllE0_EEPmJS9_EEE10hipError_tPvRmT3_T4_T5_T6_T7_T9_mT8_P12ihipStream_tbDpT10_ENKUlT_T0_E_clISt17integral_constantIbLb1EES19_IbLb0EEEEDaS15_S16_EUlS15_E_NS1_11comp_targetILNS1_3genE0ELNS1_11target_archE4294967295ELNS1_3gpuE0ELNS1_3repE0EEENS1_30default_config_static_selectorELNS0_4arch9wavefront6targetE1EEEvT1_
                                        ; -- End function
	.section	.AMDGPU.csdata,"",@progbits
; Kernel info:
; codeLenInByte = 0
; NumSgprs: 6
; NumVgprs: 0
; NumAgprs: 0
; TotalNumVgprs: 0
; ScratchSize: 0
; MemoryBound: 0
; FloatMode: 240
; IeeeMode: 1
; LDSByteSize: 0 bytes/workgroup (compile time only)
; SGPRBlocks: 0
; VGPRBlocks: 0
; NumSGPRsForWavesPerEU: 6
; NumVGPRsForWavesPerEU: 1
; AccumOffset: 4
; Occupancy: 8
; WaveLimiterHint : 0
; COMPUTE_PGM_RSRC2:SCRATCH_EN: 0
; COMPUTE_PGM_RSRC2:USER_SGPR: 2
; COMPUTE_PGM_RSRC2:TRAP_HANDLER: 0
; COMPUTE_PGM_RSRC2:TGID_X_EN: 1
; COMPUTE_PGM_RSRC2:TGID_Y_EN: 0
; COMPUTE_PGM_RSRC2:TGID_Z_EN: 0
; COMPUTE_PGM_RSRC2:TIDIG_COMP_CNT: 0
; COMPUTE_PGM_RSRC3_GFX90A:ACCUM_OFFSET: 0
; COMPUTE_PGM_RSRC3_GFX90A:TG_SPLIT: 0
	.section	.text._ZN7rocprim17ROCPRIM_400000_NS6detail17trampoline_kernelINS0_14default_configENS1_25partition_config_selectorILNS1_17partition_subalgoE9EllbEEZZNS1_14partition_implILS5_9ELb0ES3_jPlS8_PNS0_10empty_typeENS0_5tupleIJS8_S9_EEENSB_IJS8_SA_EEENS0_18inequality_wrapperIZN2at6native12_GLOBAL__N_124unique_dim_cuda_templateIaEESt5tupleIJNSF_6TensorESK_SK_EERKSK_lbbbEUlllE0_EEPmJS9_EEE10hipError_tPvRmT3_T4_T5_T6_T7_T9_mT8_P12ihipStream_tbDpT10_ENKUlT_T0_E_clISt17integral_constantIbLb1EES19_IbLb0EEEEDaS15_S16_EUlS15_E_NS1_11comp_targetILNS1_3genE5ELNS1_11target_archE942ELNS1_3gpuE9ELNS1_3repE0EEENS1_30default_config_static_selectorELNS0_4arch9wavefront6targetE1EEEvT1_,"axG",@progbits,_ZN7rocprim17ROCPRIM_400000_NS6detail17trampoline_kernelINS0_14default_configENS1_25partition_config_selectorILNS1_17partition_subalgoE9EllbEEZZNS1_14partition_implILS5_9ELb0ES3_jPlS8_PNS0_10empty_typeENS0_5tupleIJS8_S9_EEENSB_IJS8_SA_EEENS0_18inequality_wrapperIZN2at6native12_GLOBAL__N_124unique_dim_cuda_templateIaEESt5tupleIJNSF_6TensorESK_SK_EERKSK_lbbbEUlllE0_EEPmJS9_EEE10hipError_tPvRmT3_T4_T5_T6_T7_T9_mT8_P12ihipStream_tbDpT10_ENKUlT_T0_E_clISt17integral_constantIbLb1EES19_IbLb0EEEEDaS15_S16_EUlS15_E_NS1_11comp_targetILNS1_3genE5ELNS1_11target_archE942ELNS1_3gpuE9ELNS1_3repE0EEENS1_30default_config_static_selectorELNS0_4arch9wavefront6targetE1EEEvT1_,comdat
	.globl	_ZN7rocprim17ROCPRIM_400000_NS6detail17trampoline_kernelINS0_14default_configENS1_25partition_config_selectorILNS1_17partition_subalgoE9EllbEEZZNS1_14partition_implILS5_9ELb0ES3_jPlS8_PNS0_10empty_typeENS0_5tupleIJS8_S9_EEENSB_IJS8_SA_EEENS0_18inequality_wrapperIZN2at6native12_GLOBAL__N_124unique_dim_cuda_templateIaEESt5tupleIJNSF_6TensorESK_SK_EERKSK_lbbbEUlllE0_EEPmJS9_EEE10hipError_tPvRmT3_T4_T5_T6_T7_T9_mT8_P12ihipStream_tbDpT10_ENKUlT_T0_E_clISt17integral_constantIbLb1EES19_IbLb0EEEEDaS15_S16_EUlS15_E_NS1_11comp_targetILNS1_3genE5ELNS1_11target_archE942ELNS1_3gpuE9ELNS1_3repE0EEENS1_30default_config_static_selectorELNS0_4arch9wavefront6targetE1EEEvT1_ ; -- Begin function _ZN7rocprim17ROCPRIM_400000_NS6detail17trampoline_kernelINS0_14default_configENS1_25partition_config_selectorILNS1_17partition_subalgoE9EllbEEZZNS1_14partition_implILS5_9ELb0ES3_jPlS8_PNS0_10empty_typeENS0_5tupleIJS8_S9_EEENSB_IJS8_SA_EEENS0_18inequality_wrapperIZN2at6native12_GLOBAL__N_124unique_dim_cuda_templateIaEESt5tupleIJNSF_6TensorESK_SK_EERKSK_lbbbEUlllE0_EEPmJS9_EEE10hipError_tPvRmT3_T4_T5_T6_T7_T9_mT8_P12ihipStream_tbDpT10_ENKUlT_T0_E_clISt17integral_constantIbLb1EES19_IbLb0EEEEDaS15_S16_EUlS15_E_NS1_11comp_targetILNS1_3genE5ELNS1_11target_archE942ELNS1_3gpuE9ELNS1_3repE0EEENS1_30default_config_static_selectorELNS0_4arch9wavefront6targetE1EEEvT1_
	.p2align	8
	.type	_ZN7rocprim17ROCPRIM_400000_NS6detail17trampoline_kernelINS0_14default_configENS1_25partition_config_selectorILNS1_17partition_subalgoE9EllbEEZZNS1_14partition_implILS5_9ELb0ES3_jPlS8_PNS0_10empty_typeENS0_5tupleIJS8_S9_EEENSB_IJS8_SA_EEENS0_18inequality_wrapperIZN2at6native12_GLOBAL__N_124unique_dim_cuda_templateIaEESt5tupleIJNSF_6TensorESK_SK_EERKSK_lbbbEUlllE0_EEPmJS9_EEE10hipError_tPvRmT3_T4_T5_T6_T7_T9_mT8_P12ihipStream_tbDpT10_ENKUlT_T0_E_clISt17integral_constantIbLb1EES19_IbLb0EEEEDaS15_S16_EUlS15_E_NS1_11comp_targetILNS1_3genE5ELNS1_11target_archE942ELNS1_3gpuE9ELNS1_3repE0EEENS1_30default_config_static_selectorELNS0_4arch9wavefront6targetE1EEEvT1_,@function
_ZN7rocprim17ROCPRIM_400000_NS6detail17trampoline_kernelINS0_14default_configENS1_25partition_config_selectorILNS1_17partition_subalgoE9EllbEEZZNS1_14partition_implILS5_9ELb0ES3_jPlS8_PNS0_10empty_typeENS0_5tupleIJS8_S9_EEENSB_IJS8_SA_EEENS0_18inequality_wrapperIZN2at6native12_GLOBAL__N_124unique_dim_cuda_templateIaEESt5tupleIJNSF_6TensorESK_SK_EERKSK_lbbbEUlllE0_EEPmJS9_EEE10hipError_tPvRmT3_T4_T5_T6_T7_T9_mT8_P12ihipStream_tbDpT10_ENKUlT_T0_E_clISt17integral_constantIbLb1EES19_IbLb0EEEEDaS15_S16_EUlS15_E_NS1_11comp_targetILNS1_3genE5ELNS1_11target_archE942ELNS1_3gpuE9ELNS1_3repE0EEENS1_30default_config_static_selectorELNS0_4arch9wavefront6targetE1EEEvT1_: ; @_ZN7rocprim17ROCPRIM_400000_NS6detail17trampoline_kernelINS0_14default_configENS1_25partition_config_selectorILNS1_17partition_subalgoE9EllbEEZZNS1_14partition_implILS5_9ELb0ES3_jPlS8_PNS0_10empty_typeENS0_5tupleIJS8_S9_EEENSB_IJS8_SA_EEENS0_18inequality_wrapperIZN2at6native12_GLOBAL__N_124unique_dim_cuda_templateIaEESt5tupleIJNSF_6TensorESK_SK_EERKSK_lbbbEUlllE0_EEPmJS9_EEE10hipError_tPvRmT3_T4_T5_T6_T7_T9_mT8_P12ihipStream_tbDpT10_ENKUlT_T0_E_clISt17integral_constantIbLb1EES19_IbLb0EEEEDaS15_S16_EUlS15_E_NS1_11comp_targetILNS1_3genE5ELNS1_11target_archE942ELNS1_3gpuE9ELNS1_3repE0EEENS1_30default_config_static_selectorELNS0_4arch9wavefront6targetE1EEEvT1_
; %bb.0:
	s_load_dwordx8 s[20:27], s[0:1], 0x40
	s_load_dwordx4 s[4:7], s[0:1], 0x8
	s_load_dwordx2 s[10:11], s[0:1], 0x18
	s_load_dword s3, s[0:1], 0x70
	s_mul_i32 s12, s2, 0xe00
	s_waitcnt lgkmcnt(0)
	v_mov_b32_e32 v2, s24
	s_lshl_b64 s[14:15], s[6:7], 3
	s_add_u32 s18, s4, s14
	s_mul_i32 s4, s3, 0xe00
	s_addc_u32 s19, s5, s15
	s_add_i32 s8, s3, -1
	s_add_i32 s3, s4, s6
	s_sub_i32 s3, s24, s3
	s_addk_i32 s3, 0xe00
	s_add_u32 s4, s6, s4
	s_addc_u32 s5, s7, 0
	v_mov_b32_e32 v3, s25
	s_cmp_eq_u32 s2, s8
	s_load_dwordx2 s[22:23], s[22:23], 0x0
	v_cmp_ge_u64_e32 vcc, s[4:5], v[2:3]
	s_cselect_b64 s[24:25], -1, 0
	s_mov_b32 s13, 0
	s_and_b64 s[8:9], s[24:25], vcc
	s_xor_b64 s[34:35], s[8:9], -1
	s_lshl_b64 s[16:17], s[12:13], 3
	s_add_u32 s12, s18, s16
	s_mov_b64 s[4:5], -1
	s_addc_u32 s13, s19, s17
	s_and_b64 vcc, exec, s[34:35]
	s_cbranch_vccz .LBB370_2
; %bb.1:
	v_lshlrev_b32_e32 v2, 3, v0
	v_mov_b32_e32 v3, 0
	v_lshl_add_u64 v[4:5], s[12:13], 0, v[2:3]
	v_add_co_u32_e32 v8, vcc, 0x1000, v4
	global_load_dwordx2 v[6:7], v2, s[12:13]
	s_nop 0
	v_addc_co_u32_e32 v9, vcc, 0, v5, vcc
	v_add_co_u32_e32 v10, vcc, 0x2000, v4
	s_mov_b64 s[4:5], 0
	s_nop 0
	v_addc_co_u32_e32 v11, vcc, 0, v5, vcc
	v_add_co_u32_e32 v12, vcc, 0x3000, v4
	s_nop 1
	v_addc_co_u32_e32 v13, vcc, 0, v5, vcc
	v_add_co_u32_e32 v14, vcc, 0x4000, v4
	s_nop 1
	v_addc_co_u32_e32 v15, vcc, 0, v5, vcc
	global_load_dwordx2 v[16:17], v[8:9], off
	global_load_dwordx2 v[18:19], v[10:11], off
	;; [unrolled: 1-line block ×4, first 2 shown]
	v_add_co_u32_e32 v8, vcc, 0x5000, v4
	s_nop 1
	v_addc_co_u32_e32 v9, vcc, 0, v5, vcc
	v_add_co_u32_e32 v4, vcc, 0x6000, v4
	global_load_dwordx2 v[8:9], v[8:9], off
	s_nop 0
	v_addc_co_u32_e32 v5, vcc, 0, v5, vcc
	global_load_dwordx2 v[4:5], v[4:5], off
	s_waitcnt vmcnt(5)
	ds_write2st64_b64 v2, v[6:7], v[16:17] offset1:8
	s_waitcnt vmcnt(3)
	ds_write2st64_b64 v2, v[18:19], v[20:21] offset0:16 offset1:24
	s_waitcnt vmcnt(1)
	ds_write2st64_b64 v2, v[22:23], v[8:9] offset0:32 offset1:40
	s_waitcnt vmcnt(0)
	ds_write_b64 v2, v[4:5] offset:24576
	s_waitcnt lgkmcnt(0)
	s_barrier
.LBB370_2:
	s_load_dwordx4 s[28:31], s[0:1], 0x60
	s_andn2_b64 vcc, exec, s[4:5]
	v_cmp_gt_u32_e64 s[4:5], s3, v0
	s_cbranch_vccnz .LBB370_18
; %bb.3:
                                        ; implicit-def: $vgpr2_vgpr3_vgpr4_vgpr5_vgpr6_vgpr7_vgpr8_vgpr9_vgpr10_vgpr11_vgpr12_vgpr13_vgpr14_vgpr15_vgpr16_vgpr17
	s_and_saveexec_b64 s[18:19], s[4:5]
	s_cbranch_execz .LBB370_5
; %bb.4:
	v_lshlrev_b32_e32 v1, 3, v0
	global_load_dwordx2 v[2:3], v1, s[12:13]
.LBB370_5:
	s_or_b64 exec, exec, s[18:19]
	v_or_b32_e32 v1, 0x200, v0
	v_cmp_gt_u32_e32 vcc, s3, v1
	s_and_saveexec_b64 s[4:5], vcc
	s_cbranch_execz .LBB370_7
; %bb.6:
	v_lshlrev_b32_e32 v1, 3, v1
	global_load_dwordx2 v[4:5], v1, s[12:13]
.LBB370_7:
	s_or_b64 exec, exec, s[4:5]
	v_or_b32_e32 v1, 0x400, v0
	v_cmp_gt_u32_e32 vcc, s3, v1
	s_and_saveexec_b64 s[4:5], vcc
	s_cbranch_execz .LBB370_9
; %bb.8:
	v_lshlrev_b32_e32 v1, 3, v1
	global_load_dwordx2 v[6:7], v1, s[12:13]
.LBB370_9:
	s_or_b64 exec, exec, s[4:5]
	v_or_b32_e32 v1, 0x600, v0
	v_cmp_gt_u32_e32 vcc, s3, v1
	s_and_saveexec_b64 s[4:5], vcc
	s_cbranch_execz .LBB370_11
; %bb.10:
	v_lshlrev_b32_e32 v1, 3, v1
	global_load_dwordx2 v[8:9], v1, s[12:13]
.LBB370_11:
	s_or_b64 exec, exec, s[4:5]
	v_or_b32_e32 v1, 0x800, v0
	v_cmp_gt_u32_e32 vcc, s3, v1
	s_and_saveexec_b64 s[4:5], vcc
	s_cbranch_execz .LBB370_13
; %bb.12:
	v_lshlrev_b32_e32 v1, 3, v1
	global_load_dwordx2 v[10:11], v1, s[12:13]
.LBB370_13:
	s_or_b64 exec, exec, s[4:5]
	v_or_b32_e32 v1, 0xa00, v0
	v_cmp_gt_u32_e32 vcc, s3, v1
	s_and_saveexec_b64 s[4:5], vcc
	s_cbranch_execz .LBB370_15
; %bb.14:
	v_lshlrev_b32_e32 v1, 3, v1
	global_load_dwordx2 v[12:13], v1, s[12:13]
.LBB370_15:
	s_or_b64 exec, exec, s[4:5]
	v_or_b32_e32 v1, 0xc00, v0
	v_cmp_gt_u32_e32 vcc, s3, v1
	s_and_saveexec_b64 s[4:5], vcc
	s_cbranch_execz .LBB370_17
; %bb.16:
	v_lshlrev_b32_e32 v1, 3, v1
	global_load_dwordx2 v[14:15], v1, s[12:13]
.LBB370_17:
	s_or_b64 exec, exec, s[4:5]
	v_lshlrev_b32_e32 v1, 3, v0
	s_waitcnt vmcnt(0)
	ds_write2st64_b64 v1, v[2:3], v[4:5] offset1:8
	ds_write2st64_b64 v1, v[6:7], v[8:9] offset0:16 offset1:24
	ds_write2st64_b64 v1, v[10:11], v[12:13] offset0:32 offset1:40
	ds_write_b64 v1, v[14:15] offset:24576
	s_waitcnt lgkmcnt(0)
	s_barrier
.LBB370_18:
	v_mul_u32_u24_e32 v1, 7, v0
	v_lshlrev_b32_e32 v36, 3, v1
	s_waitcnt lgkmcnt(0)
	ds_read2_b64 v[22:25], v36 offset1:1
	ds_read2_b64 v[18:21], v36 offset0:2 offset1:3
	ds_read2_b64 v[14:17], v36 offset0:4 offset1:5
	ds_read_b64 v[28:29], v36 offset:48
	s_add_u32 s4, s10, s14
	s_addc_u32 s5, s11, s15
	s_add_u32 s4, s4, s16
	s_addc_u32 s5, s5, s17
	s_mov_b64 s[10:11], -1
	s_and_b64 vcc, exec, s[34:35]
	s_waitcnt lgkmcnt(0)
	s_barrier
	s_cbranch_vccz .LBB370_20
; %bb.19:
	v_lshlrev_b32_e32 v2, 3, v0
	v_mov_b32_e32 v3, 0
	v_lshl_add_u64 v[4:5], s[4:5], 0, v[2:3]
	v_add_co_u32_e32 v8, vcc, 0x1000, v4
	global_load_dwordx2 v[6:7], v2, s[4:5]
	s_nop 0
	v_addc_co_u32_e32 v9, vcc, 0, v5, vcc
	v_add_co_u32_e32 v10, vcc, 0x2000, v4
	s_mov_b64 s[10:11], 0
	s_nop 0
	v_addc_co_u32_e32 v11, vcc, 0, v5, vcc
	v_add_co_u32_e32 v12, vcc, 0x3000, v4
	s_nop 1
	v_addc_co_u32_e32 v13, vcc, 0, v5, vcc
	v_add_co_u32_e32 v26, vcc, 0x4000, v4
	s_nop 1
	v_addc_co_u32_e32 v27, vcc, 0, v5, vcc
	global_load_dwordx2 v[30:31], v[8:9], off
	global_load_dwordx2 v[32:33], v[10:11], off
	global_load_dwordx2 v[34:35], v[12:13], off
	global_load_dwordx2 v[38:39], v[26:27], off
	v_add_co_u32_e32 v8, vcc, 0x5000, v4
	s_nop 1
	v_addc_co_u32_e32 v9, vcc, 0, v5, vcc
	v_add_co_u32_e32 v4, vcc, 0x6000, v4
	global_load_dwordx2 v[8:9], v[8:9], off
	s_nop 0
	v_addc_co_u32_e32 v5, vcc, 0, v5, vcc
	global_load_dwordx2 v[4:5], v[4:5], off
	s_waitcnt vmcnt(5)
	ds_write2st64_b64 v2, v[6:7], v[30:31] offset1:8
	s_waitcnt vmcnt(3)
	ds_write2st64_b64 v2, v[32:33], v[34:35] offset0:16 offset1:24
	s_waitcnt vmcnt(1)
	ds_write2st64_b64 v2, v[38:39], v[8:9] offset0:32 offset1:40
	s_waitcnt vmcnt(0)
	ds_write_b64 v2, v[4:5] offset:24576
	s_waitcnt lgkmcnt(0)
	s_barrier
.LBB370_20:
	s_andn2_b64 vcc, exec, s[10:11]
	s_cbranch_vccnz .LBB370_36
; %bb.21:
	v_cmp_gt_u32_e32 vcc, s3, v0
                                        ; implicit-def: $vgpr2_vgpr3
	s_and_saveexec_b64 s[10:11], vcc
	s_cbranch_execz .LBB370_23
; %bb.22:
	v_lshlrev_b32_e32 v2, 3, v0
	global_load_dwordx2 v[2:3], v2, s[4:5]
.LBB370_23:
	s_or_b64 exec, exec, s[10:11]
	v_or_b32_e32 v6, 0x200, v0
	v_cmp_gt_u32_e32 vcc, s3, v6
                                        ; implicit-def: $vgpr4_vgpr5
	s_and_saveexec_b64 s[10:11], vcc
	s_cbranch_execz .LBB370_25
; %bb.24:
	v_lshlrev_b32_e32 v4, 3, v6
	global_load_dwordx2 v[4:5], v4, s[4:5]
.LBB370_25:
	s_or_b64 exec, exec, s[10:11]
	v_or_b32_e32 v8, 0x400, v0
	v_cmp_gt_u32_e32 vcc, s3, v8
                                        ; implicit-def: $vgpr6_vgpr7
	s_and_saveexec_b64 s[10:11], vcc
	s_cbranch_execz .LBB370_27
; %bb.26:
	v_lshlrev_b32_e32 v6, 3, v8
	global_load_dwordx2 v[6:7], v6, s[4:5]
.LBB370_27:
	s_or_b64 exec, exec, s[10:11]
	v_or_b32_e32 v10, 0x600, v0
	v_cmp_gt_u32_e32 vcc, s3, v10
                                        ; implicit-def: $vgpr8_vgpr9
	s_and_saveexec_b64 s[10:11], vcc
	s_cbranch_execz .LBB370_29
; %bb.28:
	v_lshlrev_b32_e32 v8, 3, v10
	global_load_dwordx2 v[8:9], v8, s[4:5]
.LBB370_29:
	s_or_b64 exec, exec, s[10:11]
	v_or_b32_e32 v12, 0x800, v0
	v_cmp_gt_u32_e32 vcc, s3, v12
                                        ; implicit-def: $vgpr10_vgpr11
	s_and_saveexec_b64 s[10:11], vcc
	s_cbranch_execz .LBB370_31
; %bb.30:
	v_lshlrev_b32_e32 v10, 3, v12
	global_load_dwordx2 v[10:11], v10, s[4:5]
.LBB370_31:
	s_or_b64 exec, exec, s[10:11]
	v_or_b32_e32 v26, 0xa00, v0
	v_cmp_gt_u32_e32 vcc, s3, v26
                                        ; implicit-def: $vgpr12_vgpr13
	s_and_saveexec_b64 s[10:11], vcc
	s_cbranch_execz .LBB370_33
; %bb.32:
	v_lshlrev_b32_e32 v12, 3, v26
	global_load_dwordx2 v[12:13], v12, s[4:5]
.LBB370_33:
	s_or_b64 exec, exec, s[10:11]
	v_or_b32_e32 v30, 0xc00, v0
	v_cmp_gt_u32_e32 vcc, s3, v30
                                        ; implicit-def: $vgpr26_vgpr27
	s_and_saveexec_b64 s[10:11], vcc
	s_cbranch_execz .LBB370_35
; %bb.34:
	v_lshlrev_b32_e32 v26, 3, v30
	global_load_dwordx2 v[26:27], v26, s[4:5]
.LBB370_35:
	s_or_b64 exec, exec, s[10:11]
	s_movk_i32 s4, 0xffd0
	v_mad_i32_i24 v30, v0, s4, v36
	s_waitcnt vmcnt(0)
	ds_write2st64_b64 v30, v[2:3], v[4:5] offset1:8
	ds_write2st64_b64 v30, v[6:7], v[8:9] offset0:16 offset1:24
	ds_write2st64_b64 v30, v[10:11], v[12:13] offset0:32 offset1:40
	ds_write_b64 v30, v[26:27] offset:24576
	s_waitcnt lgkmcnt(0)
	s_barrier
.LBB370_36:
	ds_read2_b64 v[10:13], v36 offset1:1
	ds_read2_b64 v[6:9], v36 offset0:2 offset1:3
	ds_read2_b64 v[2:5], v36 offset0:4 offset1:5
	ds_read_b64 v[26:27], v36 offset:48
	s_cmp_lg_u32 s2, 0
	s_cselect_b64 s[16:17], -1, 0
	s_cmp_lg_u64 s[6:7], 0
	s_cselect_b64 s[4:5], -1, 0
	s_or_b64 s[4:5], s[16:17], s[4:5]
	v_add_u32_e32 v41, 1, v1
	v_add_u32_e32 v38, 2, v1
	;; [unrolled: 1-line block ×6, first 2 shown]
	s_mov_b64 s[10:11], 0
	s_and_b64 vcc, exec, s[4:5]
	v_cmp_gt_i64_e64 s[4:5], s[26:27], 0
	s_waitcnt lgkmcnt(0)
	s_barrier
	s_cbranch_vccz .LBB370_45
; %bb.37:
	s_add_u32 s6, s12, -8
	s_addc_u32 s7, s13, -1
	s_load_dwordx2 s[6:7], s[6:7], 0x0
	v_cndmask_b32_e64 v30, 0, 1, s[4:5]
	v_lshlrev_b32_e32 v37, 3, v0
	s_and_b64 vcc, exec, s[34:35]
	v_cmp_ne_u32_e64 s[4:5], 1, v30
	ds_write_b64 v37, v[28:29]
	s_cbranch_vccz .LBB370_47
; %bb.38:
	v_mul_lo_u32 v32, v17, s26
	v_mul_lo_u32 v33, v16, s27
	v_mad_u64_u32 v[30:31], s[12:13], v16, s26, 0
	v_add3_u32 v31, v31, v33, v32
	s_and_b64 vcc, exec, s[4:5]
	v_lshl_add_u64 v[30:31], s[28:29], 0, v[30:31]
	s_cbranch_vccnz .LBB370_50
; %bb.39:
	v_mov_b64_e32 v[32:33], s[28:29]
	v_mad_u64_u32 v[32:33], s[10:11], v28, s26, v[32:33]
	v_mul_lo_u32 v34, v28, s27
	v_mul_lo_u32 v35, v29, s26
	v_add3_u32 v33, v35, v33, v34
	global_load_ubyte v34, v[30:31], off
	global_load_ubyte v35, v[32:33], off
	s_mov_b64 s[10:11], -1
	s_waitcnt vmcnt(0)
	v_cmp_eq_u16_e32 vcc, v34, v35
	s_and_saveexec_b64 s[12:13], vcc
	s_cbranch_execz .LBB370_49
; %bb.40:
	s_mov_b64 s[18:19], 1
	s_mov_b64 s[10:11], 0
                                        ; implicit-def: $sgpr14_sgpr15
	s_branch .LBB370_43
.LBB370_41:                             ;   in Loop: Header=BB370_43 Depth=1
	v_lshl_add_u64 v[34:35], v[30:31], 0, s[18:19]
	v_lshl_add_u64 v[44:45], v[32:33], 0, s[18:19]
	global_load_ubyte v46, v[34:35], off
	global_load_ubyte v47, v[44:45], off
	s_add_u32 s36, s18, 1
	s_addc_u32 s37, s19, 0
	s_andn2_b64 s[14:15], s[14:15], exec
	s_waitcnt vmcnt(0)
	v_cmp_ne_u16_e32 vcc, v46, v47
	s_and_b64 s[38:39], vcc, exec
	s_or_b64 s[14:15], s[14:15], s[38:39]
.LBB370_42:                             ;   in Loop: Header=BB370_43 Depth=1
	s_and_b64 s[38:39], exec, s[14:15]
	s_or_b64 s[10:11], s[38:39], s[10:11]
	v_mov_b64_e32 v[34:35], s[18:19]
	s_mov_b64 s[18:19], s[36:37]
	s_andn2_b64 exec, exec, s[10:11]
	s_cbranch_execz .LBB370_48
.LBB370_43:                             ; =>This Inner Loop Header: Depth=1
	s_or_b64 s[14:15], s[14:15], exec
	s_cmp_eq_u64 s[26:27], s[18:19]
	s_cbranch_scc0 .LBB370_41
; %bb.44:                               ;   in Loop: Header=BB370_43 Depth=1
                                        ; implicit-def: $sgpr36_sgpr37
	s_mov_b64 s[18:19], s[26:27]
	s_branch .LBB370_42
.LBB370_45:
                                        ; implicit-def: $sgpr18_sgpr19
                                        ; implicit-def: $vgpr47
                                        ; implicit-def: $vgpr46
                                        ; implicit-def: $vgpr45
                                        ; implicit-def: $vgpr34
	s_branch .LBB370_188
.LBB370_46:
                                        ; implicit-def: $vgpr30_vgpr31
	s_branch .LBB370_336
.LBB370_47:
                                        ; implicit-def: $sgpr18_sgpr19
                                        ; implicit-def: $vgpr47
                                        ; implicit-def: $vgpr46
                                        ; implicit-def: $vgpr45
                                        ; implicit-def: $vgpr34
	s_cbranch_execnz .LBB370_107
	s_branch .LBB370_187
.LBB370_48:
	s_or_b64 exec, exec, s[10:11]
	v_cmp_gt_i64_e32 vcc, s[26:27], v[34:35]
	s_orn2_b64 s[10:11], vcc, exec
.LBB370_49:
	s_or_b64 exec, exec, s[12:13]
.LBB370_50:
	v_mul_lo_u32 v34, v15, s26
	v_mul_lo_u32 v35, v14, s27
	v_mad_u64_u32 v[32:33], s[12:13], v14, s26, 0
	v_add3_u32 v33, v33, v35, v34
	s_mov_b64 s[12:13], 0
	s_and_b64 vcc, exec, s[4:5]
	v_lshl_add_u64 v[32:33], s[28:29], 0, v[32:33]
	s_mov_b64 s[14:15], 0
	s_cbranch_vccnz .LBB370_59
; %bb.51:
	global_load_ubyte v34, v[32:33], off
	global_load_ubyte v35, v[30:31], off
	s_mov_b64 s[14:15], -1
	s_waitcnt vmcnt(0)
	v_cmp_eq_u16_e32 vcc, v34, v35
	s_and_saveexec_b64 s[18:19], vcc
	s_cbranch_execz .LBB370_58
; %bb.52:
	s_mov_b64 s[38:39], 1
	s_mov_b64 s[14:15], 0
                                        ; implicit-def: $sgpr36_sgpr37
	s_branch .LBB370_55
.LBB370_53:                             ;   in Loop: Header=BB370_55 Depth=1
	v_lshl_add_u64 v[34:35], v[32:33], 0, s[38:39]
	v_lshl_add_u64 v[44:45], v[30:31], 0, s[38:39]
	global_load_ubyte v46, v[34:35], off
	global_load_ubyte v47, v[44:45], off
	s_add_u32 s40, s38, 1
	s_addc_u32 s41, s39, 0
	s_andn2_b64 s[36:37], s[36:37], exec
	s_waitcnt vmcnt(0)
	v_cmp_ne_u16_e32 vcc, v46, v47
	s_and_b64 s[42:43], vcc, exec
	s_or_b64 s[36:37], s[36:37], s[42:43]
.LBB370_54:                             ;   in Loop: Header=BB370_55 Depth=1
	s_and_b64 s[42:43], exec, s[36:37]
	s_or_b64 s[14:15], s[42:43], s[14:15]
	v_mov_b64_e32 v[34:35], s[38:39]
	s_mov_b64 s[38:39], s[40:41]
	s_andn2_b64 exec, exec, s[14:15]
	s_cbranch_execz .LBB370_57
.LBB370_55:                             ; =>This Inner Loop Header: Depth=1
	s_or_b64 s[36:37], s[36:37], exec
	s_cmp_eq_u64 s[26:27], s[38:39]
	s_cbranch_scc0 .LBB370_53
; %bb.56:                               ;   in Loop: Header=BB370_55 Depth=1
                                        ; implicit-def: $sgpr40_sgpr41
	s_mov_b64 s[38:39], s[26:27]
	s_branch .LBB370_54
.LBB370_57:
	s_or_b64 exec, exec, s[14:15]
	v_cmp_gt_i64_e32 vcc, s[26:27], v[34:35]
	s_orn2_b64 s[14:15], vcc, exec
.LBB370_58:
	s_or_b64 exec, exec, s[18:19]
.LBB370_59:
	v_mul_lo_u32 v34, v21, s26
	v_mul_lo_u32 v35, v20, s27
	v_mad_u64_u32 v[30:31], s[18:19], v20, s26, 0
	v_add3_u32 v31, v31, v35, v34
	s_and_b64 vcc, exec, s[4:5]
	v_lshl_add_u64 v[30:31], s[28:29], 0, v[30:31]
	s_cbranch_vccnz .LBB370_68
; %bb.60:
	global_load_ubyte v34, v[30:31], off
	global_load_ubyte v35, v[32:33], off
	s_mov_b64 s[12:13], -1
	s_waitcnt vmcnt(0)
	v_cmp_eq_u16_e32 vcc, v34, v35
	s_and_saveexec_b64 s[18:19], vcc
	s_cbranch_execz .LBB370_67
; %bb.61:
	s_mov_b64 s[38:39], 1
	s_mov_b64 s[12:13], 0
                                        ; implicit-def: $sgpr36_sgpr37
	s_branch .LBB370_64
.LBB370_62:                             ;   in Loop: Header=BB370_64 Depth=1
	v_lshl_add_u64 v[34:35], v[30:31], 0, s[38:39]
	v_lshl_add_u64 v[44:45], v[32:33], 0, s[38:39]
	global_load_ubyte v46, v[34:35], off
	global_load_ubyte v47, v[44:45], off
	s_add_u32 s40, s38, 1
	s_addc_u32 s41, s39, 0
	s_andn2_b64 s[36:37], s[36:37], exec
	s_waitcnt vmcnt(0)
	v_cmp_ne_u16_e32 vcc, v46, v47
	s_and_b64 s[42:43], vcc, exec
	s_or_b64 s[36:37], s[36:37], s[42:43]
.LBB370_63:                             ;   in Loop: Header=BB370_64 Depth=1
	s_and_b64 s[42:43], exec, s[36:37]
	s_or_b64 s[12:13], s[42:43], s[12:13]
	v_mov_b64_e32 v[34:35], s[38:39]
	s_mov_b64 s[38:39], s[40:41]
	s_andn2_b64 exec, exec, s[12:13]
	s_cbranch_execz .LBB370_66
.LBB370_64:                             ; =>This Inner Loop Header: Depth=1
	s_or_b64 s[36:37], s[36:37], exec
	s_cmp_eq_u64 s[26:27], s[38:39]
	s_cbranch_scc0 .LBB370_62
; %bb.65:                               ;   in Loop: Header=BB370_64 Depth=1
                                        ; implicit-def: $sgpr40_sgpr41
	s_mov_b64 s[38:39], s[26:27]
	s_branch .LBB370_63
.LBB370_66:
	s_or_b64 exec, exec, s[12:13]
	v_cmp_gt_i64_e32 vcc, s[26:27], v[34:35]
	s_orn2_b64 s[12:13], vcc, exec
.LBB370_67:
	s_or_b64 exec, exec, s[18:19]
.LBB370_68:
	v_mul_lo_u32 v34, v19, s26
	v_mul_lo_u32 v35, v18, s27
	v_mad_u64_u32 v[32:33], s[18:19], v18, s26, 0
	v_add3_u32 v33, v33, v35, v34
	s_mov_b64 s[18:19], 0
	s_and_b64 vcc, exec, s[4:5]
	v_lshl_add_u64 v[34:35], s[28:29], 0, v[32:33]
	s_mov_b64 s[36:37], 0
	s_cbranch_vccnz .LBB370_77
; %bb.69:
	global_load_ubyte v32, v[34:35], off
	global_load_ubyte v33, v[30:31], off
	s_mov_b64 s[36:37], -1
	s_waitcnt vmcnt(0)
	v_cmp_eq_u16_e32 vcc, v32, v33
	s_and_saveexec_b64 s[38:39], vcc
	s_cbranch_execz .LBB370_76
; %bb.70:
	s_mov_b64 s[42:43], 1
	s_mov_b64 s[36:37], 0
                                        ; implicit-def: $sgpr40_sgpr41
	s_branch .LBB370_73
.LBB370_71:                             ;   in Loop: Header=BB370_73 Depth=1
	v_lshl_add_u64 v[32:33], v[34:35], 0, s[42:43]
	v_lshl_add_u64 v[44:45], v[30:31], 0, s[42:43]
	global_load_ubyte v46, v[32:33], off
	global_load_ubyte v47, v[44:45], off
	s_add_u32 s44, s42, 1
	s_addc_u32 s45, s43, 0
	s_andn2_b64 s[40:41], s[40:41], exec
	s_waitcnt vmcnt(0)
	v_cmp_ne_u16_e32 vcc, v46, v47
	s_and_b64 s[46:47], vcc, exec
	s_or_b64 s[40:41], s[40:41], s[46:47]
.LBB370_72:                             ;   in Loop: Header=BB370_73 Depth=1
	s_and_b64 s[46:47], exec, s[40:41]
	s_or_b64 s[36:37], s[46:47], s[36:37]
	v_mov_b64_e32 v[32:33], s[42:43]
	s_mov_b64 s[42:43], s[44:45]
	s_andn2_b64 exec, exec, s[36:37]
	s_cbranch_execz .LBB370_75
.LBB370_73:                             ; =>This Inner Loop Header: Depth=1
	s_or_b64 s[40:41], s[40:41], exec
	s_cmp_eq_u64 s[26:27], s[42:43]
	s_cbranch_scc0 .LBB370_71
; %bb.74:                               ;   in Loop: Header=BB370_73 Depth=1
                                        ; implicit-def: $sgpr44_sgpr45
	s_mov_b64 s[42:43], s[26:27]
	s_branch .LBB370_72
.LBB370_75:
	s_or_b64 exec, exec, s[36:37]
	v_cmp_gt_i64_e32 vcc, s[26:27], v[32:33]
	s_orn2_b64 s[36:37], vcc, exec
.LBB370_76:
	s_or_b64 exec, exec, s[38:39]
.LBB370_77:
	v_mul_lo_u32 v32, v25, s26
	v_mul_lo_u32 v33, v24, s27
	v_mad_u64_u32 v[30:31], s[38:39], v24, s26, 0
	v_add3_u32 v31, v31, v33, v32
	s_and_b64 vcc, exec, s[4:5]
	v_lshl_add_u64 v[32:33], s[28:29], 0, v[30:31]
	s_cbranch_vccnz .LBB370_86
; %bb.78:
	global_load_ubyte v30, v[32:33], off
	global_load_ubyte v31, v[34:35], off
	s_mov_b64 s[18:19], -1
	s_waitcnt vmcnt(0)
	v_cmp_eq_u16_e32 vcc, v30, v31
	s_and_saveexec_b64 s[38:39], vcc
	s_cbranch_execz .LBB370_85
; %bb.79:
	s_mov_b64 s[42:43], 1
	s_mov_b64 s[18:19], 0
                                        ; implicit-def: $sgpr40_sgpr41
	s_branch .LBB370_82
.LBB370_80:                             ;   in Loop: Header=BB370_82 Depth=1
	v_lshl_add_u64 v[30:31], v[32:33], 0, s[42:43]
	v_lshl_add_u64 v[44:45], v[34:35], 0, s[42:43]
	global_load_ubyte v46, v[30:31], off
	global_load_ubyte v47, v[44:45], off
	s_add_u32 s44, s42, 1
	s_addc_u32 s45, s43, 0
	s_andn2_b64 s[40:41], s[40:41], exec
	s_waitcnt vmcnt(0)
	v_cmp_ne_u16_e32 vcc, v46, v47
	s_and_b64 s[46:47], vcc, exec
	s_or_b64 s[40:41], s[40:41], s[46:47]
.LBB370_81:                             ;   in Loop: Header=BB370_82 Depth=1
	s_and_b64 s[46:47], exec, s[40:41]
	s_or_b64 s[18:19], s[46:47], s[18:19]
	v_mov_b64_e32 v[30:31], s[42:43]
	s_mov_b64 s[42:43], s[44:45]
	s_andn2_b64 exec, exec, s[18:19]
	s_cbranch_execz .LBB370_84
.LBB370_82:                             ; =>This Inner Loop Header: Depth=1
	s_or_b64 s[40:41], s[40:41], exec
	s_cmp_eq_u64 s[26:27], s[42:43]
	s_cbranch_scc0 .LBB370_80
; %bb.83:                               ;   in Loop: Header=BB370_82 Depth=1
                                        ; implicit-def: $sgpr44_sgpr45
	s_mov_b64 s[42:43], s[26:27]
	s_branch .LBB370_81
.LBB370_84:
	s_or_b64 exec, exec, s[18:19]
	v_cmp_gt_i64_e32 vcc, s[26:27], v[30:31]
	s_orn2_b64 s[18:19], vcc, exec
.LBB370_85:
	s_or_b64 exec, exec, s[38:39]
.LBB370_86:
	v_mul_lo_u32 v34, v23, s26
	v_mul_lo_u32 v35, v22, s27
	v_mad_u64_u32 v[30:31], s[38:39], v22, s26, 0
	v_add3_u32 v31, v31, v35, v34
	s_mov_b64 s[40:41], 0
	s_and_b64 vcc, exec, s[4:5]
	v_lshl_add_u64 v[30:31], s[28:29], 0, v[30:31]
	s_cbranch_vccnz .LBB370_95
; %bb.87:
	global_load_ubyte v34, v[30:31], off
	global_load_ubyte v35, v[32:33], off
	s_mov_b64 s[40:41], -1
	s_waitcnt vmcnt(0)
	v_cmp_eq_u16_e32 vcc, v34, v35
	s_and_saveexec_b64 s[38:39], vcc
	s_cbranch_execz .LBB370_94
; %bb.88:
	s_mov_b64 s[44:45], 1
	s_mov_b64 s[40:41], 0
                                        ; implicit-def: $sgpr42_sgpr43
	s_branch .LBB370_91
.LBB370_89:                             ;   in Loop: Header=BB370_91 Depth=1
	v_lshl_add_u64 v[34:35], v[30:31], 0, s[44:45]
	v_lshl_add_u64 v[44:45], v[32:33], 0, s[44:45]
	global_load_ubyte v46, v[34:35], off
	global_load_ubyte v47, v[44:45], off
	s_add_u32 s46, s44, 1
	s_addc_u32 s47, s45, 0
	s_andn2_b64 s[42:43], s[42:43], exec
	s_waitcnt vmcnt(0)
	v_cmp_ne_u16_e32 vcc, v46, v47
	s_and_b64 s[48:49], vcc, exec
	s_or_b64 s[42:43], s[42:43], s[48:49]
.LBB370_90:                             ;   in Loop: Header=BB370_91 Depth=1
	s_and_b64 s[48:49], exec, s[42:43]
	s_or_b64 s[40:41], s[48:49], s[40:41]
	v_mov_b64_e32 v[34:35], s[44:45]
	s_mov_b64 s[44:45], s[46:47]
	s_andn2_b64 exec, exec, s[40:41]
	s_cbranch_execz .LBB370_93
.LBB370_91:                             ; =>This Inner Loop Header: Depth=1
	s_or_b64 s[42:43], s[42:43], exec
	s_cmp_eq_u64 s[26:27], s[44:45]
	s_cbranch_scc0 .LBB370_89
; %bb.92:                               ;   in Loop: Header=BB370_91 Depth=1
                                        ; implicit-def: $sgpr46_sgpr47
	s_mov_b64 s[44:45], s[26:27]
	s_branch .LBB370_90
.LBB370_93:
	s_or_b64 exec, exec, s[40:41]
	v_cmp_gt_i64_e32 vcc, s[26:27], v[34:35]
	s_orn2_b64 s[40:41], vcc, exec
.LBB370_94:
	s_or_b64 exec, exec, s[38:39]
.LBB370_95:
	v_cmp_ne_u32_e32 vcc, 0, v0
	s_waitcnt lgkmcnt(0)
	v_mov_b64_e32 v[34:35], s[6:7]
	s_barrier
	s_and_saveexec_b64 s[38:39], vcc
	s_cbranch_execz .LBB370_97
; %bb.96:
	v_add_u32_e32 v32, -8, v37
	ds_read_b64 v[34:35], v32
.LBB370_97:
	s_or_b64 exec, exec, s[38:39]
	v_cndmask_b32_e64 v33, 0, 1, s[36:37]
	v_cndmask_b32_e64 v32, 0, 1, s[18:19]
	;; [unrolled: 1-line block ×3, first 2 shown]
	v_lshlrev_b16_e32 v33, 8, v33
	v_lshlrev_b16_e32 v44, 8, v44
	v_or_b32_sdwa v48, v32, v33 dst_sel:WORD_1 dst_unused:UNUSED_PAD src0_sel:DWORD src1_sel:DWORD
	s_mov_b64 s[36:37], 0
	s_and_b64 vcc, exec, s[4:5]
	s_mov_b64 s[18:19], 0
	s_cbranch_vccnz .LBB370_106
; %bb.98:
	v_mov_b64_e32 v[32:33], s[28:29]
	s_waitcnt lgkmcnt(0)
	v_mad_u64_u32 v[32:33], s[18:19], v34, s26, v[32:33]
	v_mul_lo_u32 v34, v34, s27
	v_mul_lo_u32 v35, v35, s26
	v_add3_u32 v33, v35, v33, v34
	global_load_ubyte v34, v[32:33], off
	global_load_ubyte v35, v[30:31], off
	s_mov_b64 s[18:19], -1
	s_waitcnt vmcnt(0)
	v_cmp_eq_u16_e32 vcc, v34, v35
	s_and_saveexec_b64 s[38:39], vcc
	s_cbranch_execz .LBB370_105
; %bb.99:
	s_mov_b64 s[42:43], 1
	s_mov_b64 s[18:19], 0
                                        ; implicit-def: $sgpr40_sgpr41
	s_branch .LBB370_102
.LBB370_100:                            ;   in Loop: Header=BB370_102 Depth=1
	v_lshl_add_u64 v[34:35], v[32:33], 0, s[42:43]
	v_lshl_add_u64 v[46:47], v[30:31], 0, s[42:43]
	global_load_ubyte v45, v[34:35], off
	global_load_ubyte v49, v[46:47], off
	s_add_u32 s44, s42, 1
	s_addc_u32 s45, s43, 0
	s_andn2_b64 s[40:41], s[40:41], exec
	s_waitcnt vmcnt(0)
	v_cmp_ne_u16_e32 vcc, v45, v49
	s_and_b64 s[46:47], vcc, exec
	s_or_b64 s[40:41], s[40:41], s[46:47]
.LBB370_101:                            ;   in Loop: Header=BB370_102 Depth=1
	s_and_b64 s[46:47], exec, s[40:41]
	s_or_b64 s[18:19], s[46:47], s[18:19]
	v_mov_b64_e32 v[34:35], s[42:43]
	s_mov_b64 s[42:43], s[44:45]
	s_andn2_b64 exec, exec, s[18:19]
	s_cbranch_execz .LBB370_104
.LBB370_102:                            ; =>This Inner Loop Header: Depth=1
	s_or_b64 s[40:41], s[40:41], exec
	s_cmp_eq_u64 s[26:27], s[42:43]
	s_cbranch_scc0 .LBB370_100
; %bb.103:                              ;   in Loop: Header=BB370_102 Depth=1
                                        ; implicit-def: $sgpr44_sgpr45
	s_mov_b64 s[42:43], s[26:27]
	s_branch .LBB370_101
.LBB370_104:
	s_or_b64 exec, exec, s[18:19]
	v_cmp_gt_i64_e32 vcc, s[26:27], v[34:35]
	s_orn2_b64 s[18:19], vcc, exec
.LBB370_105:
	s_or_b64 exec, exec, s[38:39]
.LBB370_106:
	v_cndmask_b32_e64 v45, 0, 1, s[12:13]
	v_cndmask_b32_e64 v46, 0, 1, s[14:15]
	;; [unrolled: 1-line block ×3, first 2 shown]
	s_waitcnt lgkmcnt(0)
	v_or_b32_e32 v34, v44, v48
	s_and_b64 vcc, exec, s[36:37]
	s_cbranch_vccz .LBB370_187
.LBB370_107:
	v_cmp_gt_u32_e32 vcc, s3, v40
	s_mov_b64 s[12:13], 0
	s_mov_b64 s[10:11], 0
	s_and_saveexec_b64 s[14:15], vcc
	s_cbranch_execz .LBB370_118
; %bb.108:
	s_and_b64 vcc, exec, s[4:5]
	s_mov_b64 s[18:19], 0
	s_cbranch_vccnz .LBB370_117
; %bb.109:
	v_mov_b64_e32 v[32:33], s[28:29]
	v_mad_u64_u32 v[30:31], s[10:11], v16, s26, v[32:33]
	v_mul_lo_u32 v34, v16, s27
	v_mul_lo_u32 v35, v17, s26
	v_add3_u32 v31, v35, v31, v34
	v_mad_u64_u32 v[32:33], s[10:11], v28, s26, v[32:33]
	v_mul_lo_u32 v34, v28, s27
	v_mul_lo_u32 v35, v29, s26
	v_add3_u32 v33, v35, v33, v34
	global_load_ubyte v34, v[30:31], off
	global_load_ubyte v35, v[32:33], off
	s_mov_b64 s[18:19], -1
	s_waitcnt vmcnt(0)
	v_cmp_eq_u16_e32 vcc, v34, v35
	s_and_saveexec_b64 s[10:11], vcc
	s_cbranch_execz .LBB370_116
; %bb.110:
	s_mov_b64 s[38:39], 1
	s_mov_b64 s[18:19], 0
                                        ; implicit-def: $sgpr36_sgpr37
	s_branch .LBB370_113
.LBB370_111:                            ;   in Loop: Header=BB370_113 Depth=1
	v_lshl_add_u64 v[34:35], v[30:31], 0, s[38:39]
	v_lshl_add_u64 v[44:45], v[32:33], 0, s[38:39]
	global_load_ubyte v46, v[34:35], off
	global_load_ubyte v47, v[44:45], off
	s_add_u32 s40, s38, 1
	s_addc_u32 s41, s39, 0
	s_andn2_b64 s[36:37], s[36:37], exec
	s_waitcnt vmcnt(0)
	v_cmp_ne_u16_e32 vcc, v46, v47
	s_and_b64 s[42:43], vcc, exec
	s_or_b64 s[36:37], s[36:37], s[42:43]
.LBB370_112:                            ;   in Loop: Header=BB370_113 Depth=1
	s_and_b64 s[42:43], exec, s[36:37]
	s_or_b64 s[18:19], s[42:43], s[18:19]
	v_mov_b64_e32 v[34:35], s[38:39]
	s_mov_b64 s[38:39], s[40:41]
	s_andn2_b64 exec, exec, s[18:19]
	s_cbranch_execz .LBB370_115
.LBB370_113:                            ; =>This Inner Loop Header: Depth=1
	s_or_b64 s[36:37], s[36:37], exec
	s_cmp_eq_u64 s[26:27], s[38:39]
	s_cbranch_scc0 .LBB370_111
; %bb.114:                              ;   in Loop: Header=BB370_113 Depth=1
                                        ; implicit-def: $sgpr40_sgpr41
	s_mov_b64 s[38:39], s[26:27]
	s_branch .LBB370_112
.LBB370_115:
	s_or_b64 exec, exec, s[18:19]
	v_cmp_gt_i64_e32 vcc, s[26:27], v[34:35]
	s_orn2_b64 s[18:19], vcc, exec
.LBB370_116:
	s_or_b64 exec, exec, s[10:11]
.LBB370_117:
	s_and_b64 s[10:11], s[18:19], exec
.LBB370_118:
	s_or_b64 exec, exec, s[14:15]
	v_cmp_gt_u32_e32 vcc, s3, v43
	s_and_saveexec_b64 s[14:15], vcc
	s_cbranch_execz .LBB370_129
; %bb.119:
	s_and_b64 vcc, exec, s[4:5]
	s_mov_b64 s[18:19], 0
	s_cbranch_vccnz .LBB370_128
; %bb.120:
	v_mov_b64_e32 v[32:33], s[28:29]
	v_mad_u64_u32 v[30:31], s[12:13], v14, s26, v[32:33]
	v_mul_lo_u32 v34, v14, s27
	v_mul_lo_u32 v35, v15, s26
	v_add3_u32 v31, v35, v31, v34
	v_mad_u64_u32 v[32:33], s[12:13], v16, s26, v[32:33]
	v_mul_lo_u32 v34, v16, s27
	v_mul_lo_u32 v35, v17, s26
	v_add3_u32 v33, v35, v33, v34
	global_load_ubyte v34, v[30:31], off
	global_load_ubyte v35, v[32:33], off
	s_mov_b64 s[18:19], -1
	s_waitcnt vmcnt(0)
	v_cmp_eq_u16_e32 vcc, v34, v35
	s_and_saveexec_b64 s[12:13], vcc
	s_cbranch_execz .LBB370_127
; %bb.121:
	s_mov_b64 s[38:39], 1
	s_mov_b64 s[18:19], 0
                                        ; implicit-def: $sgpr36_sgpr37
	s_branch .LBB370_124
.LBB370_122:                            ;   in Loop: Header=BB370_124 Depth=1
	v_lshl_add_u64 v[34:35], v[30:31], 0, s[38:39]
	v_lshl_add_u64 v[44:45], v[32:33], 0, s[38:39]
	global_load_ubyte v46, v[34:35], off
	global_load_ubyte v47, v[44:45], off
	s_add_u32 s40, s38, 1
	s_addc_u32 s41, s39, 0
	s_andn2_b64 s[36:37], s[36:37], exec
	s_waitcnt vmcnt(0)
	v_cmp_ne_u16_e32 vcc, v46, v47
	s_and_b64 s[42:43], vcc, exec
	s_or_b64 s[36:37], s[36:37], s[42:43]
.LBB370_123:                            ;   in Loop: Header=BB370_124 Depth=1
	s_and_b64 s[42:43], exec, s[36:37]
	s_or_b64 s[18:19], s[42:43], s[18:19]
	v_mov_b64_e32 v[34:35], s[38:39]
	s_mov_b64 s[38:39], s[40:41]
	s_andn2_b64 exec, exec, s[18:19]
	s_cbranch_execz .LBB370_126
.LBB370_124:                            ; =>This Inner Loop Header: Depth=1
	s_or_b64 s[36:37], s[36:37], exec
	s_cmp_eq_u64 s[26:27], s[38:39]
	s_cbranch_scc0 .LBB370_122
; %bb.125:                              ;   in Loop: Header=BB370_124 Depth=1
                                        ; implicit-def: $sgpr40_sgpr41
	s_mov_b64 s[38:39], s[26:27]
	s_branch .LBB370_123
.LBB370_126:
	s_or_b64 exec, exec, s[18:19]
	v_cmp_gt_i64_e32 vcc, s[26:27], v[34:35]
	s_orn2_b64 s[18:19], vcc, exec
.LBB370_127:
	s_or_b64 exec, exec, s[12:13]
.LBB370_128:
	s_and_b64 s[12:13], s[18:19], exec
.LBB370_129:
	s_or_b64 exec, exec, s[14:15]
	v_cmp_gt_u32_e32 vcc, s3, v39
	s_mov_b64 s[18:19], 0
	s_mov_b64 s[14:15], 0
	s_and_saveexec_b64 s[36:37], vcc
	s_cbranch_execz .LBB370_140
; %bb.130:
	s_and_b64 vcc, exec, s[4:5]
	s_mov_b64 s[38:39], 0
	s_cbranch_vccnz .LBB370_139
; %bb.131:
	v_mov_b64_e32 v[32:33], s[28:29]
	v_mad_u64_u32 v[30:31], s[14:15], v20, s26, v[32:33]
	v_mul_lo_u32 v34, v20, s27
	v_mul_lo_u32 v35, v21, s26
	v_add3_u32 v31, v35, v31, v34
	v_mad_u64_u32 v[32:33], s[14:15], v14, s26, v[32:33]
	v_mul_lo_u32 v34, v14, s27
	v_mul_lo_u32 v35, v15, s26
	v_add3_u32 v33, v35, v33, v34
	global_load_ubyte v34, v[30:31], off
	global_load_ubyte v35, v[32:33], off
	s_mov_b64 s[38:39], -1
	s_waitcnt vmcnt(0)
	v_cmp_eq_u16_e32 vcc, v34, v35
	s_and_saveexec_b64 s[14:15], vcc
	s_cbranch_execz .LBB370_138
; %bb.132:
	s_mov_b64 s[42:43], 1
	s_mov_b64 s[38:39], 0
                                        ; implicit-def: $sgpr40_sgpr41
	s_branch .LBB370_135
.LBB370_133:                            ;   in Loop: Header=BB370_135 Depth=1
	v_lshl_add_u64 v[34:35], v[30:31], 0, s[42:43]
	v_lshl_add_u64 v[44:45], v[32:33], 0, s[42:43]
	global_load_ubyte v46, v[34:35], off
	global_load_ubyte v47, v[44:45], off
	s_add_u32 s44, s42, 1
	s_addc_u32 s45, s43, 0
	s_andn2_b64 s[40:41], s[40:41], exec
	s_waitcnt vmcnt(0)
	v_cmp_ne_u16_e32 vcc, v46, v47
	s_and_b64 s[46:47], vcc, exec
	s_or_b64 s[40:41], s[40:41], s[46:47]
.LBB370_134:                            ;   in Loop: Header=BB370_135 Depth=1
	s_and_b64 s[46:47], exec, s[40:41]
	s_or_b64 s[38:39], s[46:47], s[38:39]
	v_mov_b64_e32 v[34:35], s[42:43]
	s_mov_b64 s[42:43], s[44:45]
	s_andn2_b64 exec, exec, s[38:39]
	s_cbranch_execz .LBB370_137
.LBB370_135:                            ; =>This Inner Loop Header: Depth=1
	s_or_b64 s[40:41], s[40:41], exec
	s_cmp_eq_u64 s[26:27], s[42:43]
	s_cbranch_scc0 .LBB370_133
; %bb.136:                              ;   in Loop: Header=BB370_135 Depth=1
                                        ; implicit-def: $sgpr44_sgpr45
	s_mov_b64 s[42:43], s[26:27]
	s_branch .LBB370_134
.LBB370_137:
	s_or_b64 exec, exec, s[38:39]
	v_cmp_gt_i64_e32 vcc, s[26:27], v[34:35]
	s_orn2_b64 s[38:39], vcc, exec
.LBB370_138:
	s_or_b64 exec, exec, s[14:15]
.LBB370_139:
	s_and_b64 s[14:15], s[38:39], exec
.LBB370_140:
	s_or_b64 exec, exec, s[36:37]
	v_cmp_gt_u32_e32 vcc, s3, v42
	s_and_saveexec_b64 s[36:37], vcc
	s_cbranch_execz .LBB370_151
; %bb.141:
	s_and_b64 vcc, exec, s[4:5]
	s_mov_b64 s[38:39], 0
	s_cbranch_vccnz .LBB370_150
; %bb.142:
	v_mov_b64_e32 v[32:33], s[28:29]
	v_mad_u64_u32 v[30:31], s[18:19], v18, s26, v[32:33]
	v_mul_lo_u32 v34, v18, s27
	v_mul_lo_u32 v35, v19, s26
	v_add3_u32 v31, v35, v31, v34
	v_mad_u64_u32 v[32:33], s[18:19], v20, s26, v[32:33]
	v_mul_lo_u32 v34, v20, s27
	v_mul_lo_u32 v35, v21, s26
	v_add3_u32 v33, v35, v33, v34
	global_load_ubyte v34, v[30:31], off
	global_load_ubyte v35, v[32:33], off
	s_mov_b64 s[38:39], -1
	s_waitcnt vmcnt(0)
	v_cmp_eq_u16_e32 vcc, v34, v35
	s_and_saveexec_b64 s[18:19], vcc
	s_cbranch_execz .LBB370_149
; %bb.143:
	s_mov_b64 s[42:43], 1
	s_mov_b64 s[38:39], 0
                                        ; implicit-def: $sgpr40_sgpr41
	s_branch .LBB370_146
.LBB370_144:                            ;   in Loop: Header=BB370_146 Depth=1
	v_lshl_add_u64 v[34:35], v[30:31], 0, s[42:43]
	v_lshl_add_u64 v[44:45], v[32:33], 0, s[42:43]
	global_load_ubyte v46, v[34:35], off
	global_load_ubyte v47, v[44:45], off
	s_add_u32 s44, s42, 1
	s_addc_u32 s45, s43, 0
	s_andn2_b64 s[40:41], s[40:41], exec
	s_waitcnt vmcnt(0)
	v_cmp_ne_u16_e32 vcc, v46, v47
	s_and_b64 s[46:47], vcc, exec
	s_or_b64 s[40:41], s[40:41], s[46:47]
.LBB370_145:                            ;   in Loop: Header=BB370_146 Depth=1
	s_and_b64 s[46:47], exec, s[40:41]
	s_or_b64 s[38:39], s[46:47], s[38:39]
	v_mov_b64_e32 v[34:35], s[42:43]
	s_mov_b64 s[42:43], s[44:45]
	s_andn2_b64 exec, exec, s[38:39]
	s_cbranch_execz .LBB370_148
.LBB370_146:                            ; =>This Inner Loop Header: Depth=1
	s_or_b64 s[40:41], s[40:41], exec
	s_cmp_eq_u64 s[26:27], s[42:43]
	s_cbranch_scc0 .LBB370_144
; %bb.147:                              ;   in Loop: Header=BB370_146 Depth=1
                                        ; implicit-def: $sgpr44_sgpr45
	s_mov_b64 s[42:43], s[26:27]
	s_branch .LBB370_145
.LBB370_148:
	s_or_b64 exec, exec, s[38:39]
	v_cmp_gt_i64_e32 vcc, s[26:27], v[34:35]
	s_orn2_b64 s[38:39], vcc, exec
.LBB370_149:
	s_or_b64 exec, exec, s[18:19]
.LBB370_150:
	s_and_b64 s[18:19], s[38:39], exec
.LBB370_151:
	s_or_b64 exec, exec, s[36:37]
	v_cmp_gt_u32_e32 vcc, s3, v38
	s_mov_b64 s[36:37], 0
	s_mov_b64 s[38:39], 0
	s_and_saveexec_b64 s[40:41], vcc
	s_cbranch_execz .LBB370_162
; %bb.152:
	s_and_b64 vcc, exec, s[4:5]
	s_mov_b64 s[42:43], 0
	s_cbranch_vccnz .LBB370_161
; %bb.153:
	v_mov_b64_e32 v[32:33], s[28:29]
	v_mad_u64_u32 v[30:31], s[38:39], v24, s26, v[32:33]
	v_mul_lo_u32 v34, v24, s27
	v_mul_lo_u32 v35, v25, s26
	v_add3_u32 v31, v35, v31, v34
	v_mad_u64_u32 v[32:33], s[38:39], v18, s26, v[32:33]
	v_mul_lo_u32 v34, v18, s27
	v_mul_lo_u32 v35, v19, s26
	v_add3_u32 v33, v35, v33, v34
	global_load_ubyte v34, v[30:31], off
	global_load_ubyte v35, v[32:33], off
	s_mov_b64 s[42:43], -1
	s_waitcnt vmcnt(0)
	v_cmp_eq_u16_e32 vcc, v34, v35
	s_and_saveexec_b64 s[38:39], vcc
	s_cbranch_execz .LBB370_160
; %bb.154:
	s_mov_b64 s[46:47], 1
	s_mov_b64 s[42:43], 0
                                        ; implicit-def: $sgpr44_sgpr45
	s_branch .LBB370_157
.LBB370_155:                            ;   in Loop: Header=BB370_157 Depth=1
	v_lshl_add_u64 v[34:35], v[30:31], 0, s[46:47]
	v_lshl_add_u64 v[44:45], v[32:33], 0, s[46:47]
	global_load_ubyte v46, v[34:35], off
	global_load_ubyte v47, v[44:45], off
	s_add_u32 s48, s46, 1
	s_addc_u32 s49, s47, 0
	s_andn2_b64 s[44:45], s[44:45], exec
	s_waitcnt vmcnt(0)
	v_cmp_ne_u16_e32 vcc, v46, v47
	s_and_b64 s[50:51], vcc, exec
	s_or_b64 s[44:45], s[44:45], s[50:51]
.LBB370_156:                            ;   in Loop: Header=BB370_157 Depth=1
	s_and_b64 s[50:51], exec, s[44:45]
	s_or_b64 s[42:43], s[50:51], s[42:43]
	v_mov_b64_e32 v[34:35], s[46:47]
	s_mov_b64 s[46:47], s[48:49]
	s_andn2_b64 exec, exec, s[42:43]
	s_cbranch_execz .LBB370_159
.LBB370_157:                            ; =>This Inner Loop Header: Depth=1
	s_or_b64 s[44:45], s[44:45], exec
	s_cmp_eq_u64 s[26:27], s[46:47]
	s_cbranch_scc0 .LBB370_155
; %bb.158:                              ;   in Loop: Header=BB370_157 Depth=1
                                        ; implicit-def: $sgpr48_sgpr49
	s_mov_b64 s[46:47], s[26:27]
	s_branch .LBB370_156
.LBB370_159:
	s_or_b64 exec, exec, s[42:43]
	v_cmp_gt_i64_e32 vcc, s[26:27], v[34:35]
	s_orn2_b64 s[42:43], vcc, exec
.LBB370_160:
	s_or_b64 exec, exec, s[38:39]
.LBB370_161:
	s_and_b64 s[38:39], s[42:43], exec
.LBB370_162:
	s_or_b64 exec, exec, s[40:41]
	v_cmp_gt_u32_e32 vcc, s3, v41
	s_and_saveexec_b64 s[40:41], vcc
	s_cbranch_execz .LBB370_173
; %bb.163:
	s_and_b64 vcc, exec, s[4:5]
	s_mov_b64 s[42:43], 0
	s_cbranch_vccnz .LBB370_172
; %bb.164:
	v_mov_b64_e32 v[32:33], s[28:29]
	v_mad_u64_u32 v[30:31], s[36:37], v22, s26, v[32:33]
	v_mul_lo_u32 v34, v22, s27
	v_mul_lo_u32 v35, v23, s26
	v_add3_u32 v31, v35, v31, v34
	v_mad_u64_u32 v[32:33], s[36:37], v24, s26, v[32:33]
	v_mul_lo_u32 v34, v24, s27
	v_mul_lo_u32 v35, v25, s26
	v_add3_u32 v33, v35, v33, v34
	global_load_ubyte v34, v[30:31], off
	global_load_ubyte v35, v[32:33], off
	s_mov_b64 s[42:43], -1
	s_waitcnt vmcnt(0)
	v_cmp_eq_u16_e32 vcc, v34, v35
	s_and_saveexec_b64 s[36:37], vcc
	s_cbranch_execz .LBB370_171
; %bb.165:
	s_mov_b64 s[46:47], 1
	s_mov_b64 s[42:43], 0
                                        ; implicit-def: $sgpr44_sgpr45
	s_branch .LBB370_168
.LBB370_166:                            ;   in Loop: Header=BB370_168 Depth=1
	v_lshl_add_u64 v[34:35], v[30:31], 0, s[46:47]
	v_lshl_add_u64 v[44:45], v[32:33], 0, s[46:47]
	global_load_ubyte v46, v[34:35], off
	global_load_ubyte v47, v[44:45], off
	s_add_u32 s48, s46, 1
	s_addc_u32 s49, s47, 0
	s_andn2_b64 s[44:45], s[44:45], exec
	s_waitcnt vmcnt(0)
	v_cmp_ne_u16_e32 vcc, v46, v47
	s_and_b64 s[50:51], vcc, exec
	s_or_b64 s[44:45], s[44:45], s[50:51]
.LBB370_167:                            ;   in Loop: Header=BB370_168 Depth=1
	s_and_b64 s[50:51], exec, s[44:45]
	s_or_b64 s[42:43], s[50:51], s[42:43]
	v_mov_b64_e32 v[34:35], s[46:47]
	s_mov_b64 s[46:47], s[48:49]
	s_andn2_b64 exec, exec, s[42:43]
	s_cbranch_execz .LBB370_170
.LBB370_168:                            ; =>This Inner Loop Header: Depth=1
	s_or_b64 s[44:45], s[44:45], exec
	s_cmp_eq_u64 s[26:27], s[46:47]
	s_cbranch_scc0 .LBB370_166
; %bb.169:                              ;   in Loop: Header=BB370_168 Depth=1
                                        ; implicit-def: $sgpr48_sgpr49
	s_mov_b64 s[46:47], s[26:27]
	s_branch .LBB370_167
.LBB370_170:
	s_or_b64 exec, exec, s[42:43]
	v_cmp_gt_i64_e32 vcc, s[26:27], v[34:35]
	s_orn2_b64 s[42:43], vcc, exec
.LBB370_171:
	s_or_b64 exec, exec, s[36:37]
.LBB370_172:
	s_and_b64 s[36:37], s[42:43], exec
.LBB370_173:
	s_or_b64 exec, exec, s[40:41]
	v_cmp_ne_u32_e32 vcc, 0, v0
	s_waitcnt lgkmcnt(0)
	v_mov_b64_e32 v[32:33], s[6:7]
	s_barrier
	s_and_saveexec_b64 s[6:7], vcc
	s_cbranch_execz .LBB370_175
; %bb.174:
	v_add_u32_e32 v30, -8, v37
	ds_read_b64 v[32:33], v30
.LBB370_175:
	s_or_b64 exec, exec, s[6:7]
	v_cndmask_b32_e64 v31, 0, 1, s[18:19]
	v_cndmask_b32_e64 v30, 0, 1, s[38:39]
	;; [unrolled: 1-line block ×3, first 2 shown]
	v_lshlrev_b16_e32 v31, 8, v31
	v_cmp_gt_u32_e32 vcc, s3, v1
	v_lshlrev_b16_e32 v37, 8, v34
	v_or_b32_sdwa v44, v30, v31 dst_sel:WORD_1 dst_unused:UNUSED_PAD src0_sel:DWORD src1_sel:DWORD
	s_mov_b64 s[18:19], 0
	s_and_saveexec_b64 s[6:7], vcc
	s_cbranch_execz .LBB370_186
; %bb.176:
	s_and_b64 vcc, exec, s[4:5]
	s_cbranch_vccnz .LBB370_185
; %bb.177:
	v_mov_b64_e32 v[34:35], s[28:29]
	s_waitcnt lgkmcnt(0)
	v_mad_u64_u32 v[30:31], s[4:5], v32, s26, v[34:35]
	v_mul_lo_u32 v32, v32, s27
	v_mul_lo_u32 v33, v33, s26
	v_add3_u32 v31, v33, v31, v32
	v_mad_u64_u32 v[32:33], s[4:5], v22, s26, v[34:35]
	v_mul_lo_u32 v34, v22, s27
	v_mul_lo_u32 v35, v23, s26
	v_add3_u32 v33, v35, v33, v34
	global_load_ubyte v34, v[30:31], off
	global_load_ubyte v35, v[32:33], off
	s_mov_b64 s[18:19], -1
	s_waitcnt vmcnt(0)
	v_cmp_eq_u16_e32 vcc, v34, v35
	s_and_saveexec_b64 s[4:5], vcc
	s_cbranch_execz .LBB370_184
; %bb.178:
	s_mov_b64 s[38:39], 1
	s_mov_b64 s[18:19], 0
                                        ; implicit-def: $sgpr36_sgpr37
	s_branch .LBB370_181
.LBB370_179:                            ;   in Loop: Header=BB370_181 Depth=1
	v_lshl_add_u64 v[34:35], v[30:31], 0, s[38:39]
	v_lshl_add_u64 v[46:47], v[32:33], 0, s[38:39]
	global_load_ubyte v45, v[34:35], off
	global_load_ubyte v48, v[46:47], off
	s_add_u32 s40, s38, 1
	s_addc_u32 s41, s39, 0
	s_andn2_b64 s[36:37], s[36:37], exec
	s_waitcnt vmcnt(0)
	v_cmp_ne_u16_e32 vcc, v45, v48
	s_and_b64 s[42:43], vcc, exec
	s_or_b64 s[36:37], s[36:37], s[42:43]
.LBB370_180:                            ;   in Loop: Header=BB370_181 Depth=1
	s_and_b64 s[42:43], exec, s[36:37]
	s_or_b64 s[18:19], s[42:43], s[18:19]
	v_mov_b64_e32 v[34:35], s[38:39]
	s_mov_b64 s[38:39], s[40:41]
	s_andn2_b64 exec, exec, s[18:19]
	s_cbranch_execz .LBB370_183
.LBB370_181:                            ; =>This Inner Loop Header: Depth=1
	s_or_b64 s[36:37], s[36:37], exec
	s_cmp_eq_u64 s[26:27], s[38:39]
	s_cbranch_scc0 .LBB370_179
; %bb.182:                              ;   in Loop: Header=BB370_181 Depth=1
                                        ; implicit-def: $sgpr40_sgpr41
	s_mov_b64 s[38:39], s[26:27]
	s_branch .LBB370_180
.LBB370_183:
	s_or_b64 exec, exec, s[18:19]
	v_cmp_gt_i64_e32 vcc, s[26:27], v[34:35]
	s_orn2_b64 s[18:19], vcc, exec
.LBB370_184:
	s_or_b64 exec, exec, s[4:5]
.LBB370_185:
	s_and_b64 s[18:19], s[18:19], exec
.LBB370_186:
	s_or_b64 exec, exec, s[6:7]
	v_cndmask_b32_e64 v45, 0, 1, s[14:15]
	v_cndmask_b32_e64 v46, 0, 1, s[12:13]
	v_cndmask_b32_e64 v47, 0, 1, s[10:11]
	v_or_b32_e32 v34, v37, v44
.LBB370_187:
	s_mov_b64 s[10:11], -1
	s_cbranch_execnz .LBB370_46
.LBB370_188:
	s_movk_i32 s4, 0xffd0
	v_mad_i32_i24 v44, v0, s4, v36
	s_mov_b64 s[12:13], 0
	s_waitcnt lgkmcnt(0)
	v_cmp_gt_i64_e64 s[6:7], s[26:27], 0
	s_and_b64 vcc, exec, s[34:35]
	ds_write_b64 v44, v[28:29]
	s_cbranch_vccz .LBB370_196
; %bb.189:
	v_mul_lo_u32 v32, v17, s26
	v_mul_lo_u32 v33, v16, s27
	v_mad_u64_u32 v[30:31], s[4:5], v16, s26, 0
	v_add3_u32 v31, v31, v33, v32
	v_cndmask_b32_e64 v32, 0, 1, s[6:7]
	v_cmp_ne_u32_e64 s[4:5], 1, v32
	s_andn2_b64 vcc, exec, s[6:7]
	v_lshl_add_u64 v[30:31], s[28:29], 0, v[30:31]
	s_cbranch_vccnz .LBB370_199
; %bb.190:
	v_mov_b64_e32 v[32:33], s[28:29]
	v_mad_u64_u32 v[32:33], s[12:13], v28, s26, v[32:33]
	v_mul_lo_u32 v34, v28, s27
	v_mul_lo_u32 v35, v29, s26
	v_add3_u32 v33, v35, v33, v34
	global_load_ubyte v34, v[30:31], off
	global_load_ubyte v35, v[32:33], off
	s_mov_b64 s[12:13], -1
	s_waitcnt vmcnt(0)
	v_cmp_eq_u16_e32 vcc, v34, v35
	s_and_saveexec_b64 s[14:15], vcc
	s_cbranch_execz .LBB370_198
; %bb.191:
	s_mov_b64 s[36:37], 1
	s_mov_b64 s[12:13], 0
                                        ; implicit-def: $sgpr18_sgpr19
	s_branch .LBB370_194
.LBB370_192:                            ;   in Loop: Header=BB370_194 Depth=1
	v_lshl_add_u64 v[34:35], v[30:31], 0, s[36:37]
	v_lshl_add_u64 v[36:37], v[32:33], 0, s[36:37]
	global_load_ubyte v45, v[34:35], off
	global_load_ubyte v46, v[36:37], off
	s_add_u32 s38, s36, 1
	s_addc_u32 s39, s37, 0
	s_andn2_b64 s[18:19], s[18:19], exec
	s_waitcnt vmcnt(0)
	v_cmp_ne_u16_e32 vcc, v45, v46
	s_and_b64 s[40:41], vcc, exec
	s_or_b64 s[18:19], s[18:19], s[40:41]
.LBB370_193:                            ;   in Loop: Header=BB370_194 Depth=1
	s_and_b64 s[40:41], exec, s[18:19]
	s_or_b64 s[12:13], s[40:41], s[12:13]
	v_mov_b64_e32 v[34:35], s[36:37]
	s_mov_b64 s[36:37], s[38:39]
	s_andn2_b64 exec, exec, s[12:13]
	s_cbranch_execz .LBB370_197
.LBB370_194:                            ; =>This Inner Loop Header: Depth=1
	s_or_b64 s[18:19], s[18:19], exec
	s_cmp_eq_u64 s[26:27], s[36:37]
	s_cbranch_scc0 .LBB370_192
; %bb.195:                              ;   in Loop: Header=BB370_194 Depth=1
                                        ; implicit-def: $sgpr38_sgpr39
	s_mov_b64 s[36:37], s[26:27]
	s_branch .LBB370_193
.LBB370_196:
                                        ; implicit-def: $sgpr18_sgpr19
                                        ; implicit-def: $vgpr47
                                        ; implicit-def: $vgpr46
                                        ; implicit-def: $vgpr45
                                        ; implicit-def: $vgpr34
                                        ; implicit-def: $vgpr30_vgpr31
	s_cbranch_execnz .LBB370_256
	s_branch .LBB370_336
.LBB370_197:
	s_or_b64 exec, exec, s[12:13]
	v_cmp_gt_i64_e32 vcc, s[26:27], v[34:35]
	s_orn2_b64 s[12:13], vcc, exec
.LBB370_198:
	s_or_b64 exec, exec, s[14:15]
.LBB370_199:
	v_mul_lo_u32 v34, v15, s26
	v_mul_lo_u32 v35, v14, s27
	v_mad_u64_u32 v[32:33], s[14:15], v14, s26, 0
	v_add3_u32 v33, v33, v35, v34
	s_mov_b64 s[14:15], 0
	s_and_b64 vcc, exec, s[4:5]
	v_lshl_add_u64 v[32:33], s[28:29], 0, v[32:33]
	s_mov_b64 s[18:19], 0
	s_cbranch_vccnz .LBB370_208
; %bb.200:
	global_load_ubyte v34, v[32:33], off
	global_load_ubyte v35, v[30:31], off
	s_mov_b64 s[18:19], -1
	s_waitcnt vmcnt(0)
	v_cmp_eq_u16_e32 vcc, v34, v35
	s_and_saveexec_b64 s[36:37], vcc
	s_cbranch_execz .LBB370_207
; %bb.201:
	s_mov_b64 s[40:41], 1
	s_mov_b64 s[18:19], 0
                                        ; implicit-def: $sgpr38_sgpr39
	s_branch .LBB370_204
.LBB370_202:                            ;   in Loop: Header=BB370_204 Depth=1
	v_lshl_add_u64 v[34:35], v[32:33], 0, s[40:41]
	v_lshl_add_u64 v[36:37], v[30:31], 0, s[40:41]
	global_load_ubyte v45, v[34:35], off
	global_load_ubyte v46, v[36:37], off
	s_add_u32 s42, s40, 1
	s_addc_u32 s43, s41, 0
	s_andn2_b64 s[38:39], s[38:39], exec
	s_waitcnt vmcnt(0)
	v_cmp_ne_u16_e32 vcc, v45, v46
	s_and_b64 s[44:45], vcc, exec
	s_or_b64 s[38:39], s[38:39], s[44:45]
.LBB370_203:                            ;   in Loop: Header=BB370_204 Depth=1
	s_and_b64 s[44:45], exec, s[38:39]
	s_or_b64 s[18:19], s[44:45], s[18:19]
	v_mov_b64_e32 v[34:35], s[40:41]
	s_mov_b64 s[40:41], s[42:43]
	s_andn2_b64 exec, exec, s[18:19]
	s_cbranch_execz .LBB370_206
.LBB370_204:                            ; =>This Inner Loop Header: Depth=1
	s_or_b64 s[38:39], s[38:39], exec
	s_cmp_eq_u64 s[26:27], s[40:41]
	s_cbranch_scc0 .LBB370_202
; %bb.205:                              ;   in Loop: Header=BB370_204 Depth=1
                                        ; implicit-def: $sgpr42_sgpr43
	s_mov_b64 s[40:41], s[26:27]
	s_branch .LBB370_203
.LBB370_206:
	s_or_b64 exec, exec, s[18:19]
	v_cmp_gt_i64_e32 vcc, s[26:27], v[34:35]
	s_orn2_b64 s[18:19], vcc, exec
.LBB370_207:
	s_or_b64 exec, exec, s[36:37]
.LBB370_208:
	v_mul_lo_u32 v34, v21, s26
	v_mul_lo_u32 v35, v20, s27
	v_mad_u64_u32 v[30:31], s[36:37], v20, s26, 0
	v_add3_u32 v31, v31, v35, v34
	s_and_b64 vcc, exec, s[4:5]
	v_lshl_add_u64 v[30:31], s[28:29], 0, v[30:31]
	s_cbranch_vccnz .LBB370_217
; %bb.209:
	global_load_ubyte v34, v[30:31], off
	global_load_ubyte v35, v[32:33], off
	s_mov_b64 s[14:15], -1
	s_waitcnt vmcnt(0)
	v_cmp_eq_u16_e32 vcc, v34, v35
	s_and_saveexec_b64 s[36:37], vcc
	s_cbranch_execz .LBB370_216
; %bb.210:
	s_mov_b64 s[40:41], 1
	s_mov_b64 s[14:15], 0
                                        ; implicit-def: $sgpr38_sgpr39
	s_branch .LBB370_213
.LBB370_211:                            ;   in Loop: Header=BB370_213 Depth=1
	v_lshl_add_u64 v[34:35], v[30:31], 0, s[40:41]
	v_lshl_add_u64 v[36:37], v[32:33], 0, s[40:41]
	global_load_ubyte v45, v[34:35], off
	global_load_ubyte v46, v[36:37], off
	s_add_u32 s42, s40, 1
	s_addc_u32 s43, s41, 0
	s_andn2_b64 s[38:39], s[38:39], exec
	s_waitcnt vmcnt(0)
	v_cmp_ne_u16_e32 vcc, v45, v46
	s_and_b64 s[44:45], vcc, exec
	s_or_b64 s[38:39], s[38:39], s[44:45]
.LBB370_212:                            ;   in Loop: Header=BB370_213 Depth=1
	s_and_b64 s[44:45], exec, s[38:39]
	s_or_b64 s[14:15], s[44:45], s[14:15]
	v_mov_b64_e32 v[34:35], s[40:41]
	s_mov_b64 s[40:41], s[42:43]
	s_andn2_b64 exec, exec, s[14:15]
	s_cbranch_execz .LBB370_215
.LBB370_213:                            ; =>This Inner Loop Header: Depth=1
	s_or_b64 s[38:39], s[38:39], exec
	s_cmp_eq_u64 s[26:27], s[40:41]
	s_cbranch_scc0 .LBB370_211
; %bb.214:                              ;   in Loop: Header=BB370_213 Depth=1
                                        ; implicit-def: $sgpr42_sgpr43
	s_mov_b64 s[40:41], s[26:27]
	s_branch .LBB370_212
.LBB370_215:
	s_or_b64 exec, exec, s[14:15]
	v_cmp_gt_i64_e32 vcc, s[26:27], v[34:35]
	s_orn2_b64 s[14:15], vcc, exec
.LBB370_216:
	s_or_b64 exec, exec, s[36:37]
.LBB370_217:
	v_mul_lo_u32 v34, v19, s26
	v_mul_lo_u32 v35, v18, s27
	v_mad_u64_u32 v[32:33], s[36:37], v18, s26, 0
	v_add3_u32 v33, v33, v35, v34
	s_mov_b64 s[36:37], 0
	s_and_b64 vcc, exec, s[4:5]
	v_lshl_add_u64 v[32:33], s[28:29], 0, v[32:33]
	s_mov_b64 s[38:39], 0
	s_cbranch_vccnz .LBB370_226
; %bb.218:
	global_load_ubyte v34, v[32:33], off
	global_load_ubyte v35, v[30:31], off
	s_mov_b64 s[38:39], -1
	s_waitcnt vmcnt(0)
	v_cmp_eq_u16_e32 vcc, v34, v35
	s_and_saveexec_b64 s[40:41], vcc
	s_cbranch_execz .LBB370_225
; %bb.219:
	s_mov_b64 s[44:45], 1
	s_mov_b64 s[38:39], 0
                                        ; implicit-def: $sgpr42_sgpr43
	s_branch .LBB370_222
.LBB370_220:                            ;   in Loop: Header=BB370_222 Depth=1
	v_lshl_add_u64 v[34:35], v[32:33], 0, s[44:45]
	v_lshl_add_u64 v[36:37], v[30:31], 0, s[44:45]
	global_load_ubyte v45, v[34:35], off
	global_load_ubyte v46, v[36:37], off
	s_add_u32 s46, s44, 1
	s_addc_u32 s47, s45, 0
	s_andn2_b64 s[42:43], s[42:43], exec
	s_waitcnt vmcnt(0)
	v_cmp_ne_u16_e32 vcc, v45, v46
	s_and_b64 s[48:49], vcc, exec
	s_or_b64 s[42:43], s[42:43], s[48:49]
.LBB370_221:                            ;   in Loop: Header=BB370_222 Depth=1
	s_and_b64 s[48:49], exec, s[42:43]
	s_or_b64 s[38:39], s[48:49], s[38:39]
	v_mov_b64_e32 v[34:35], s[44:45]
	s_mov_b64 s[44:45], s[46:47]
	s_andn2_b64 exec, exec, s[38:39]
	s_cbranch_execz .LBB370_224
.LBB370_222:                            ; =>This Inner Loop Header: Depth=1
	s_or_b64 s[42:43], s[42:43], exec
	s_cmp_eq_u64 s[26:27], s[44:45]
	s_cbranch_scc0 .LBB370_220
; %bb.223:                              ;   in Loop: Header=BB370_222 Depth=1
                                        ; implicit-def: $sgpr46_sgpr47
	s_mov_b64 s[44:45], s[26:27]
	s_branch .LBB370_221
.LBB370_224:
	s_or_b64 exec, exec, s[38:39]
	v_cmp_gt_i64_e32 vcc, s[26:27], v[34:35]
	s_orn2_b64 s[38:39], vcc, exec
.LBB370_225:
	s_or_b64 exec, exec, s[40:41]
.LBB370_226:
	v_mul_lo_u32 v34, v25, s26
	v_mul_lo_u32 v35, v24, s27
	v_mad_u64_u32 v[30:31], s[40:41], v24, s26, 0
	v_add3_u32 v31, v31, v35, v34
	s_and_b64 vcc, exec, s[4:5]
	v_lshl_add_u64 v[30:31], s[28:29], 0, v[30:31]
	s_cbranch_vccnz .LBB370_235
; %bb.227:
	global_load_ubyte v34, v[30:31], off
	global_load_ubyte v35, v[32:33], off
	s_mov_b64 s[36:37], -1
	s_waitcnt vmcnt(0)
	v_cmp_eq_u16_e32 vcc, v34, v35
	s_and_saveexec_b64 s[40:41], vcc
	s_cbranch_execz .LBB370_234
; %bb.228:
	s_mov_b64 s[44:45], 1
	s_mov_b64 s[36:37], 0
                                        ; implicit-def: $sgpr42_sgpr43
	s_branch .LBB370_231
.LBB370_229:                            ;   in Loop: Header=BB370_231 Depth=1
	v_lshl_add_u64 v[34:35], v[30:31], 0, s[44:45]
	v_lshl_add_u64 v[36:37], v[32:33], 0, s[44:45]
	global_load_ubyte v45, v[34:35], off
	global_load_ubyte v46, v[36:37], off
	s_add_u32 s46, s44, 1
	s_addc_u32 s47, s45, 0
	s_andn2_b64 s[42:43], s[42:43], exec
	s_waitcnt vmcnt(0)
	v_cmp_ne_u16_e32 vcc, v45, v46
	s_and_b64 s[48:49], vcc, exec
	s_or_b64 s[42:43], s[42:43], s[48:49]
.LBB370_230:                            ;   in Loop: Header=BB370_231 Depth=1
	s_and_b64 s[48:49], exec, s[42:43]
	s_or_b64 s[36:37], s[48:49], s[36:37]
	v_mov_b64_e32 v[34:35], s[44:45]
	s_mov_b64 s[44:45], s[46:47]
	s_andn2_b64 exec, exec, s[36:37]
	s_cbranch_execz .LBB370_233
.LBB370_231:                            ; =>This Inner Loop Header: Depth=1
	s_or_b64 s[42:43], s[42:43], exec
	s_cmp_eq_u64 s[26:27], s[44:45]
	s_cbranch_scc0 .LBB370_229
; %bb.232:                              ;   in Loop: Header=BB370_231 Depth=1
                                        ; implicit-def: $sgpr46_sgpr47
	s_mov_b64 s[44:45], s[26:27]
	s_branch .LBB370_230
.LBB370_233:
	s_or_b64 exec, exec, s[36:37]
	v_cmp_gt_i64_e32 vcc, s[26:27], v[34:35]
	s_orn2_b64 s[36:37], vcc, exec
.LBB370_234:
	s_or_b64 exec, exec, s[40:41]
.LBB370_235:
	v_mul_lo_u32 v34, v23, s26
	v_mul_lo_u32 v35, v22, s27
	v_mad_u64_u32 v[32:33], s[40:41], v22, s26, 0
	v_add3_u32 v33, v33, v35, v34
	s_and_b64 vcc, exec, s[4:5]
	s_mov_b64 s[42:43], 0
	s_cbranch_vccnz .LBB370_244
; %bb.236:
	v_lshl_add_u64 v[34:35], s[28:29], 0, v[32:33]
	global_load_ubyte v36, v[34:35], off
	global_load_ubyte v37, v[30:31], off
	s_mov_b64 s[42:43], -1
	s_waitcnt vmcnt(0)
	v_cmp_eq_u16_e32 vcc, v36, v37
	s_and_saveexec_b64 s[40:41], vcc
	s_cbranch_execz .LBB370_243
; %bb.237:
	s_mov_b64 s[46:47], 1
	s_mov_b64 s[42:43], 0
                                        ; implicit-def: $sgpr44_sgpr45
	s_branch .LBB370_240
.LBB370_238:                            ;   in Loop: Header=BB370_240 Depth=1
	v_lshl_add_u64 v[36:37], v[34:35], 0, s[46:47]
	v_lshl_add_u64 v[46:47], v[30:31], 0, s[46:47]
	global_load_ubyte v45, v[36:37], off
	global_load_ubyte v48, v[46:47], off
	s_add_u32 s48, s46, 1
	s_addc_u32 s49, s47, 0
	s_andn2_b64 s[44:45], s[44:45], exec
	s_waitcnt vmcnt(0)
	v_cmp_ne_u16_e32 vcc, v45, v48
	s_and_b64 s[50:51], vcc, exec
	s_or_b64 s[44:45], s[44:45], s[50:51]
.LBB370_239:                            ;   in Loop: Header=BB370_240 Depth=1
	s_and_b64 s[50:51], exec, s[44:45]
	s_or_b64 s[42:43], s[50:51], s[42:43]
	v_mov_b64_e32 v[36:37], s[46:47]
	s_mov_b64 s[46:47], s[48:49]
	s_andn2_b64 exec, exec, s[42:43]
	s_cbranch_execz .LBB370_242
.LBB370_240:                            ; =>This Inner Loop Header: Depth=1
	s_or_b64 s[44:45], s[44:45], exec
	s_cmp_eq_u64 s[26:27], s[46:47]
	s_cbranch_scc0 .LBB370_238
; %bb.241:                              ;   in Loop: Header=BB370_240 Depth=1
                                        ; implicit-def: $sgpr48_sgpr49
	s_mov_b64 s[46:47], s[26:27]
	s_branch .LBB370_239
.LBB370_242:
	s_or_b64 exec, exec, s[42:43]
	v_cmp_gt_i64_e32 vcc, s[26:27], v[36:37]
	s_orn2_b64 s[42:43], vcc, exec
.LBB370_243:
	s_or_b64 exec, exec, s[40:41]
.LBB370_244:
	v_cndmask_b32_e64 v31, 0, 1, s[38:39]
	v_cndmask_b32_e64 v30, 0, 1, s[36:37]
	;; [unrolled: 1-line block ×3, first 2 shown]
	v_lshlrev_b16_e32 v31, 8, v31
	v_cndmask_b32_e64 v45, 0, 1, s[14:15]
	v_cndmask_b32_e64 v34, 0, 1, s[42:43]
	v_or_b32_sdwa v30, v30, v31 dst_sel:WORD_1 dst_unused:UNUSED_PAD src0_sel:DWORD src1_sel:DWORD
	v_lshlrev_b16_e32 v31, 8, v46
	v_lshlrev_b16_e32 v34, 8, v34
	v_or_b32_e32 v31, v45, v31
	v_or_b32_e32 v34, 1, v34
	v_and_b32_e32 v31, 0xffff, v31
	v_cndmask_b32_e64 v47, 0, 1, s[12:13]
	v_or_b32_sdwa v30, v34, v30 dst_sel:DWORD dst_unused:UNUSED_PAD src0_sel:WORD_0 src1_sel:DWORD
	v_lshl_or_b32 v31, v47, 16, v31
	v_cmp_ne_u32_e32 vcc, 0, v0
	s_waitcnt lgkmcnt(0)
	s_barrier
	s_waitcnt lgkmcnt(0)
                                        ; implicit-def: $sgpr18_sgpr19
                                        ; implicit-def: $vgpr34
	s_and_saveexec_b64 s[12:13], vcc
	s_xor_b64 s[12:13], exec, s[12:13]
	s_cbranch_execz .LBB370_255
; %bb.245:
	s_mov_b32 s33, 0x3020104
	s_and_b64 vcc, exec, s[4:5]
	s_mov_b64 s[14:15], 0
	s_cbranch_vccnz .LBB370_254
; %bb.246:
	v_add_u32_e32 v31, -8, v44
	ds_read_b64 v[34:35], v31
	v_mov_b64_e32 v[36:37], s[28:29]
	v_lshl_add_u64 v[32:33], s[28:29], 0, v[32:33]
	s_mov_b64 s[14:15], -1
	s_waitcnt lgkmcnt(0)
	v_mul_lo_u32 v31, v34, s27
	v_mul_lo_u32 v48, v35, s26
	v_mad_u64_u32 v[34:35], s[4:5], v34, s26, v[36:37]
	v_add3_u32 v35, v48, v35, v31
	global_load_ubyte v31, v[32:33], off
	global_load_ubyte v36, v[34:35], off
	s_waitcnt vmcnt(0)
	v_cmp_eq_u16_e32 vcc, v36, v31
	s_and_saveexec_b64 s[4:5], vcc
	s_cbranch_execz .LBB370_253
; %bb.247:
	s_mov_b64 s[36:37], 1
	s_mov_b64 s[14:15], 0
                                        ; implicit-def: $sgpr18_sgpr19
	s_branch .LBB370_250
.LBB370_248:                            ;   in Loop: Header=BB370_250 Depth=1
	v_lshl_add_u64 v[36:37], v[34:35], 0, s[36:37]
	v_lshl_add_u64 v[48:49], v[32:33], 0, s[36:37]
	global_load_ubyte v31, v[36:37], off
	global_load_ubyte v50, v[48:49], off
	s_add_u32 s38, s36, 1
	s_addc_u32 s39, s37, 0
	s_andn2_b64 s[18:19], s[18:19], exec
	s_waitcnt vmcnt(0)
	v_cmp_ne_u16_e32 vcc, v31, v50
	s_and_b64 s[40:41], vcc, exec
	s_or_b64 s[18:19], s[18:19], s[40:41]
.LBB370_249:                            ;   in Loop: Header=BB370_250 Depth=1
	s_and_b64 s[40:41], exec, s[18:19]
	s_or_b64 s[14:15], s[40:41], s[14:15]
	v_mov_b64_e32 v[36:37], s[36:37]
	s_mov_b64 s[36:37], s[38:39]
	s_andn2_b64 exec, exec, s[14:15]
	s_cbranch_execz .LBB370_252
.LBB370_250:                            ; =>This Inner Loop Header: Depth=1
	s_or_b64 s[18:19], s[18:19], exec
	s_cmp_eq_u64 s[26:27], s[36:37]
	s_cbranch_scc0 .LBB370_248
; %bb.251:                              ;   in Loop: Header=BB370_250 Depth=1
                                        ; implicit-def: $sgpr38_sgpr39
	s_mov_b64 s[36:37], s[26:27]
	s_branch .LBB370_249
.LBB370_252:
	s_or_b64 exec, exec, s[14:15]
	v_cmp_gt_i64_e32 vcc, s[26:27], v[36:37]
	s_orn2_b64 s[14:15], vcc, exec
.LBB370_253:
	s_or_b64 exec, exec, s[4:5]
.LBB370_254:
	v_perm_b32 v34, v30, v30, s33
	s_and_b64 s[18:19], s[14:15], exec
	s_or_b64 s[10:11], s[10:11], exec
                                        ; implicit-def: $vgpr30_vgpr31
.LBB370_255:
	s_or_b64 exec, exec, s[12:13]
	s_branch .LBB370_336
.LBB370_256:
	v_cmp_gt_u32_e32 vcc, s3, v40
	s_mov_b64 s[12:13], 0
	s_mov_b64 s[4:5], 0
	s_and_saveexec_b64 s[14:15], vcc
	s_cbranch_execz .LBB370_267
; %bb.257:
	s_andn2_b64 vcc, exec, s[6:7]
	s_mov_b64 s[18:19], 0
	s_cbranch_vccnz .LBB370_266
; %bb.258:
	v_mov_b64_e32 v[32:33], s[28:29]
	v_mad_u64_u32 v[30:31], s[4:5], v16, s26, v[32:33]
	v_mul_lo_u32 v34, v16, s27
	v_mul_lo_u32 v35, v17, s26
	v_add3_u32 v31, v35, v31, v34
	v_mad_u64_u32 v[32:33], s[4:5], v28, s26, v[32:33]
	v_mul_lo_u32 v34, v28, s27
	v_mul_lo_u32 v35, v29, s26
	v_add3_u32 v33, v35, v33, v34
	global_load_ubyte v34, v[30:31], off
	global_load_ubyte v35, v[32:33], off
	s_mov_b64 s[18:19], -1
	s_waitcnt vmcnt(0)
	v_cmp_eq_u16_e32 vcc, v34, v35
	s_and_saveexec_b64 s[4:5], vcc
	s_cbranch_execz .LBB370_265
; %bb.259:
	s_mov_b64 s[38:39], 1
	s_mov_b64 s[18:19], 0
                                        ; implicit-def: $sgpr36_sgpr37
	s_branch .LBB370_262
.LBB370_260:                            ;   in Loop: Header=BB370_262 Depth=1
	v_lshl_add_u64 v[34:35], v[30:31], 0, s[38:39]
	v_lshl_add_u64 v[36:37], v[32:33], 0, s[38:39]
	global_load_ubyte v45, v[34:35], off
	global_load_ubyte v46, v[36:37], off
	s_add_u32 s40, s38, 1
	s_addc_u32 s41, s39, 0
	s_andn2_b64 s[36:37], s[36:37], exec
	s_waitcnt vmcnt(0)
	v_cmp_ne_u16_e32 vcc, v45, v46
	s_and_b64 s[42:43], vcc, exec
	s_or_b64 s[36:37], s[36:37], s[42:43]
.LBB370_261:                            ;   in Loop: Header=BB370_262 Depth=1
	s_and_b64 s[42:43], exec, s[36:37]
	s_or_b64 s[18:19], s[42:43], s[18:19]
	v_mov_b64_e32 v[34:35], s[38:39]
	s_mov_b64 s[38:39], s[40:41]
	s_andn2_b64 exec, exec, s[18:19]
	s_cbranch_execz .LBB370_264
.LBB370_262:                            ; =>This Inner Loop Header: Depth=1
	s_or_b64 s[36:37], s[36:37], exec
	s_cmp_eq_u64 s[26:27], s[38:39]
	s_cbranch_scc0 .LBB370_260
; %bb.263:                              ;   in Loop: Header=BB370_262 Depth=1
                                        ; implicit-def: $sgpr40_sgpr41
	s_mov_b64 s[38:39], s[26:27]
	s_branch .LBB370_261
.LBB370_264:
	s_or_b64 exec, exec, s[18:19]
	v_cmp_gt_i64_e32 vcc, s[26:27], v[34:35]
	s_orn2_b64 s[18:19], vcc, exec
.LBB370_265:
	s_or_b64 exec, exec, s[4:5]
.LBB370_266:
	s_and_b64 s[4:5], s[18:19], exec
.LBB370_267:
	s_or_b64 exec, exec, s[14:15]
	v_cmp_gt_u32_e32 vcc, s3, v43
	s_and_saveexec_b64 s[14:15], vcc
	s_cbranch_execz .LBB370_278
; %bb.268:
	s_andn2_b64 vcc, exec, s[6:7]
	s_mov_b64 s[18:19], 0
	s_cbranch_vccnz .LBB370_277
; %bb.269:
	v_mov_b64_e32 v[32:33], s[28:29]
	v_mad_u64_u32 v[30:31], s[12:13], v14, s26, v[32:33]
	v_mul_lo_u32 v34, v14, s27
	v_mul_lo_u32 v35, v15, s26
	v_add3_u32 v31, v35, v31, v34
	v_mad_u64_u32 v[32:33], s[12:13], v16, s26, v[32:33]
	v_mul_lo_u32 v34, v16, s27
	v_mul_lo_u32 v35, v17, s26
	v_add3_u32 v33, v35, v33, v34
	global_load_ubyte v34, v[30:31], off
	global_load_ubyte v35, v[32:33], off
	s_mov_b64 s[18:19], -1
	s_waitcnt vmcnt(0)
	v_cmp_eq_u16_e32 vcc, v34, v35
	s_and_saveexec_b64 s[12:13], vcc
	s_cbranch_execz .LBB370_276
; %bb.270:
	s_mov_b64 s[38:39], 1
	s_mov_b64 s[18:19], 0
                                        ; implicit-def: $sgpr36_sgpr37
	s_branch .LBB370_273
.LBB370_271:                            ;   in Loop: Header=BB370_273 Depth=1
	v_lshl_add_u64 v[34:35], v[30:31], 0, s[38:39]
	v_lshl_add_u64 v[36:37], v[32:33], 0, s[38:39]
	global_load_ubyte v45, v[34:35], off
	global_load_ubyte v46, v[36:37], off
	s_add_u32 s40, s38, 1
	s_addc_u32 s41, s39, 0
	s_andn2_b64 s[36:37], s[36:37], exec
	s_waitcnt vmcnt(0)
	v_cmp_ne_u16_e32 vcc, v45, v46
	s_and_b64 s[42:43], vcc, exec
	s_or_b64 s[36:37], s[36:37], s[42:43]
.LBB370_272:                            ;   in Loop: Header=BB370_273 Depth=1
	s_and_b64 s[42:43], exec, s[36:37]
	s_or_b64 s[18:19], s[42:43], s[18:19]
	v_mov_b64_e32 v[34:35], s[38:39]
	s_mov_b64 s[38:39], s[40:41]
	s_andn2_b64 exec, exec, s[18:19]
	s_cbranch_execz .LBB370_275
.LBB370_273:                            ; =>This Inner Loop Header: Depth=1
	s_or_b64 s[36:37], s[36:37], exec
	s_cmp_eq_u64 s[26:27], s[38:39]
	s_cbranch_scc0 .LBB370_271
; %bb.274:                              ;   in Loop: Header=BB370_273 Depth=1
                                        ; implicit-def: $sgpr40_sgpr41
	s_mov_b64 s[38:39], s[26:27]
	s_branch .LBB370_272
.LBB370_275:
	s_or_b64 exec, exec, s[18:19]
	v_cmp_gt_i64_e32 vcc, s[26:27], v[34:35]
	s_orn2_b64 s[18:19], vcc, exec
.LBB370_276:
	s_or_b64 exec, exec, s[12:13]
.LBB370_277:
	s_and_b64 s[12:13], s[18:19], exec
.LBB370_278:
	s_or_b64 exec, exec, s[14:15]
	v_cmp_gt_u32_e32 vcc, s3, v39
	s_mov_b64 s[18:19], 0
	s_mov_b64 s[14:15], 0
	s_and_saveexec_b64 s[36:37], vcc
	s_cbranch_execz .LBB370_289
; %bb.279:
	s_andn2_b64 vcc, exec, s[6:7]
	s_mov_b64 s[38:39], 0
	s_cbranch_vccnz .LBB370_288
; %bb.280:
	v_mov_b64_e32 v[32:33], s[28:29]
	v_mad_u64_u32 v[30:31], s[14:15], v20, s26, v[32:33]
	v_mul_lo_u32 v34, v20, s27
	v_mul_lo_u32 v35, v21, s26
	v_add3_u32 v31, v35, v31, v34
	v_mad_u64_u32 v[32:33], s[14:15], v14, s26, v[32:33]
	v_mul_lo_u32 v34, v14, s27
	v_mul_lo_u32 v35, v15, s26
	v_add3_u32 v33, v35, v33, v34
	global_load_ubyte v34, v[30:31], off
	global_load_ubyte v35, v[32:33], off
	s_mov_b64 s[38:39], -1
	s_waitcnt vmcnt(0)
	v_cmp_eq_u16_e32 vcc, v34, v35
	s_and_saveexec_b64 s[14:15], vcc
	s_cbranch_execz .LBB370_287
; %bb.281:
	s_mov_b64 s[42:43], 1
	s_mov_b64 s[38:39], 0
                                        ; implicit-def: $sgpr40_sgpr41
	s_branch .LBB370_284
.LBB370_282:                            ;   in Loop: Header=BB370_284 Depth=1
	v_lshl_add_u64 v[34:35], v[30:31], 0, s[42:43]
	v_lshl_add_u64 v[36:37], v[32:33], 0, s[42:43]
	global_load_ubyte v45, v[34:35], off
	global_load_ubyte v46, v[36:37], off
	s_add_u32 s44, s42, 1
	s_addc_u32 s45, s43, 0
	s_andn2_b64 s[40:41], s[40:41], exec
	s_waitcnt vmcnt(0)
	v_cmp_ne_u16_e32 vcc, v45, v46
	s_and_b64 s[46:47], vcc, exec
	s_or_b64 s[40:41], s[40:41], s[46:47]
.LBB370_283:                            ;   in Loop: Header=BB370_284 Depth=1
	s_and_b64 s[46:47], exec, s[40:41]
	s_or_b64 s[38:39], s[46:47], s[38:39]
	v_mov_b64_e32 v[34:35], s[42:43]
	s_mov_b64 s[42:43], s[44:45]
	s_andn2_b64 exec, exec, s[38:39]
	s_cbranch_execz .LBB370_286
.LBB370_284:                            ; =>This Inner Loop Header: Depth=1
	s_or_b64 s[40:41], s[40:41], exec
	s_cmp_eq_u64 s[26:27], s[42:43]
	s_cbranch_scc0 .LBB370_282
; %bb.285:                              ;   in Loop: Header=BB370_284 Depth=1
                                        ; implicit-def: $sgpr44_sgpr45
	s_mov_b64 s[42:43], s[26:27]
	s_branch .LBB370_283
.LBB370_286:
	s_or_b64 exec, exec, s[38:39]
	v_cmp_gt_i64_e32 vcc, s[26:27], v[34:35]
	s_orn2_b64 s[38:39], vcc, exec
.LBB370_287:
	s_or_b64 exec, exec, s[14:15]
.LBB370_288:
	s_and_b64 s[14:15], s[38:39], exec
.LBB370_289:
	s_or_b64 exec, exec, s[36:37]
	v_cmp_gt_u32_e32 vcc, s3, v42
	s_and_saveexec_b64 s[36:37], vcc
	s_cbranch_execz .LBB370_300
; %bb.290:
	s_andn2_b64 vcc, exec, s[6:7]
	s_mov_b64 s[38:39], 0
	s_cbranch_vccnz .LBB370_299
; %bb.291:
	v_mov_b64_e32 v[32:33], s[28:29]
	v_mad_u64_u32 v[30:31], s[18:19], v18, s26, v[32:33]
	v_mul_lo_u32 v34, v18, s27
	v_mul_lo_u32 v35, v19, s26
	v_add3_u32 v31, v35, v31, v34
	v_mad_u64_u32 v[32:33], s[18:19], v20, s26, v[32:33]
	v_mul_lo_u32 v34, v20, s27
	v_mul_lo_u32 v35, v21, s26
	v_add3_u32 v33, v35, v33, v34
	global_load_ubyte v34, v[30:31], off
	global_load_ubyte v35, v[32:33], off
	s_mov_b64 s[38:39], -1
	s_waitcnt vmcnt(0)
	v_cmp_eq_u16_e32 vcc, v34, v35
	s_and_saveexec_b64 s[18:19], vcc
	s_cbranch_execz .LBB370_298
; %bb.292:
	s_mov_b64 s[42:43], 1
	s_mov_b64 s[38:39], 0
                                        ; implicit-def: $sgpr40_sgpr41
	s_branch .LBB370_295
.LBB370_293:                            ;   in Loop: Header=BB370_295 Depth=1
	v_lshl_add_u64 v[34:35], v[30:31], 0, s[42:43]
	v_lshl_add_u64 v[36:37], v[32:33], 0, s[42:43]
	global_load_ubyte v45, v[34:35], off
	global_load_ubyte v46, v[36:37], off
	s_add_u32 s44, s42, 1
	s_addc_u32 s45, s43, 0
	s_andn2_b64 s[40:41], s[40:41], exec
	s_waitcnt vmcnt(0)
	v_cmp_ne_u16_e32 vcc, v45, v46
	s_and_b64 s[46:47], vcc, exec
	s_or_b64 s[40:41], s[40:41], s[46:47]
.LBB370_294:                            ;   in Loop: Header=BB370_295 Depth=1
	s_and_b64 s[46:47], exec, s[40:41]
	s_or_b64 s[38:39], s[46:47], s[38:39]
	v_mov_b64_e32 v[34:35], s[42:43]
	s_mov_b64 s[42:43], s[44:45]
	s_andn2_b64 exec, exec, s[38:39]
	s_cbranch_execz .LBB370_297
.LBB370_295:                            ; =>This Inner Loop Header: Depth=1
	s_or_b64 s[40:41], s[40:41], exec
	s_cmp_eq_u64 s[26:27], s[42:43]
	s_cbranch_scc0 .LBB370_293
; %bb.296:                              ;   in Loop: Header=BB370_295 Depth=1
                                        ; implicit-def: $sgpr44_sgpr45
	s_mov_b64 s[42:43], s[26:27]
	s_branch .LBB370_294
.LBB370_297:
	s_or_b64 exec, exec, s[38:39]
	v_cmp_gt_i64_e32 vcc, s[26:27], v[34:35]
	s_orn2_b64 s[38:39], vcc, exec
.LBB370_298:
	s_or_b64 exec, exec, s[18:19]
.LBB370_299:
	s_and_b64 s[18:19], s[38:39], exec
.LBB370_300:
	s_or_b64 exec, exec, s[36:37]
	v_cmp_gt_u32_e32 vcc, s3, v38
	s_mov_b64 s[36:37], 0
	s_mov_b64 s[38:39], 0
	s_and_saveexec_b64 s[40:41], vcc
	s_cbranch_execz .LBB370_311
; %bb.301:
	s_andn2_b64 vcc, exec, s[6:7]
	s_mov_b64 s[42:43], 0
	s_cbranch_vccnz .LBB370_310
; %bb.302:
	v_mov_b64_e32 v[32:33], s[28:29]
	v_mad_u64_u32 v[30:31], s[38:39], v24, s26, v[32:33]
	v_mul_lo_u32 v34, v24, s27
	v_mul_lo_u32 v35, v25, s26
	v_add3_u32 v31, v35, v31, v34
	v_mad_u64_u32 v[32:33], s[38:39], v18, s26, v[32:33]
	v_mul_lo_u32 v34, v18, s27
	v_mul_lo_u32 v35, v19, s26
	v_add3_u32 v33, v35, v33, v34
	global_load_ubyte v34, v[30:31], off
	global_load_ubyte v35, v[32:33], off
	s_mov_b64 s[42:43], -1
	s_waitcnt vmcnt(0)
	v_cmp_eq_u16_e32 vcc, v34, v35
	s_and_saveexec_b64 s[38:39], vcc
	s_cbranch_execz .LBB370_309
; %bb.303:
	s_mov_b64 s[46:47], 1
	s_mov_b64 s[42:43], 0
                                        ; implicit-def: $sgpr44_sgpr45
	s_branch .LBB370_306
.LBB370_304:                            ;   in Loop: Header=BB370_306 Depth=1
	v_lshl_add_u64 v[34:35], v[30:31], 0, s[46:47]
	v_lshl_add_u64 v[36:37], v[32:33], 0, s[46:47]
	global_load_ubyte v45, v[34:35], off
	global_load_ubyte v46, v[36:37], off
	s_add_u32 s48, s46, 1
	s_addc_u32 s49, s47, 0
	s_andn2_b64 s[44:45], s[44:45], exec
	s_waitcnt vmcnt(0)
	v_cmp_ne_u16_e32 vcc, v45, v46
	s_and_b64 s[50:51], vcc, exec
	s_or_b64 s[44:45], s[44:45], s[50:51]
.LBB370_305:                            ;   in Loop: Header=BB370_306 Depth=1
	s_and_b64 s[50:51], exec, s[44:45]
	s_or_b64 s[42:43], s[50:51], s[42:43]
	v_mov_b64_e32 v[34:35], s[46:47]
	s_mov_b64 s[46:47], s[48:49]
	s_andn2_b64 exec, exec, s[42:43]
	s_cbranch_execz .LBB370_308
.LBB370_306:                            ; =>This Inner Loop Header: Depth=1
	s_or_b64 s[44:45], s[44:45], exec
	s_cmp_eq_u64 s[26:27], s[46:47]
	s_cbranch_scc0 .LBB370_304
; %bb.307:                              ;   in Loop: Header=BB370_306 Depth=1
                                        ; implicit-def: $sgpr48_sgpr49
	s_mov_b64 s[46:47], s[26:27]
	s_branch .LBB370_305
.LBB370_308:
	s_or_b64 exec, exec, s[42:43]
	v_cmp_gt_i64_e32 vcc, s[26:27], v[34:35]
	s_orn2_b64 s[42:43], vcc, exec
.LBB370_309:
	s_or_b64 exec, exec, s[38:39]
.LBB370_310:
	s_and_b64 s[38:39], s[42:43], exec
.LBB370_311:
	s_or_b64 exec, exec, s[40:41]
	v_cmp_gt_u32_e32 vcc, s3, v41
	s_and_saveexec_b64 s[40:41], vcc
	s_cbranch_execz .LBB370_322
; %bb.312:
	s_andn2_b64 vcc, exec, s[6:7]
	s_mov_b64 s[42:43], 0
	s_cbranch_vccnz .LBB370_321
; %bb.313:
	v_mov_b64_e32 v[32:33], s[28:29]
	v_mad_u64_u32 v[30:31], s[36:37], v22, s26, v[32:33]
	v_mul_lo_u32 v34, v22, s27
	v_mul_lo_u32 v35, v23, s26
	v_add3_u32 v31, v35, v31, v34
	v_mad_u64_u32 v[32:33], s[36:37], v24, s26, v[32:33]
	v_mul_lo_u32 v34, v24, s27
	v_mul_lo_u32 v35, v25, s26
	v_add3_u32 v33, v35, v33, v34
	global_load_ubyte v34, v[30:31], off
	global_load_ubyte v35, v[32:33], off
	s_mov_b64 s[42:43], -1
	s_waitcnt vmcnt(0)
	v_cmp_eq_u16_e32 vcc, v34, v35
	s_and_saveexec_b64 s[36:37], vcc
	s_cbranch_execz .LBB370_320
; %bb.314:
	s_mov_b64 s[46:47], 1
	s_mov_b64 s[42:43], 0
                                        ; implicit-def: $sgpr44_sgpr45
	s_branch .LBB370_317
.LBB370_315:                            ;   in Loop: Header=BB370_317 Depth=1
	v_lshl_add_u64 v[34:35], v[30:31], 0, s[46:47]
	v_lshl_add_u64 v[36:37], v[32:33], 0, s[46:47]
	global_load_ubyte v45, v[34:35], off
	global_load_ubyte v46, v[36:37], off
	s_add_u32 s48, s46, 1
	s_addc_u32 s49, s47, 0
	s_andn2_b64 s[44:45], s[44:45], exec
	s_waitcnt vmcnt(0)
	v_cmp_ne_u16_e32 vcc, v45, v46
	s_and_b64 s[50:51], vcc, exec
	s_or_b64 s[44:45], s[44:45], s[50:51]
.LBB370_316:                            ;   in Loop: Header=BB370_317 Depth=1
	s_and_b64 s[50:51], exec, s[44:45]
	s_or_b64 s[42:43], s[50:51], s[42:43]
	v_mov_b64_e32 v[34:35], s[46:47]
	s_mov_b64 s[46:47], s[48:49]
	s_andn2_b64 exec, exec, s[42:43]
	s_cbranch_execz .LBB370_319
.LBB370_317:                            ; =>This Inner Loop Header: Depth=1
	s_or_b64 s[44:45], s[44:45], exec
	s_cmp_eq_u64 s[26:27], s[46:47]
	s_cbranch_scc0 .LBB370_315
; %bb.318:                              ;   in Loop: Header=BB370_317 Depth=1
                                        ; implicit-def: $sgpr48_sgpr49
	s_mov_b64 s[46:47], s[26:27]
	s_branch .LBB370_316
.LBB370_319:
	s_or_b64 exec, exec, s[42:43]
	v_cmp_gt_i64_e32 vcc, s[26:27], v[34:35]
	s_orn2_b64 s[42:43], vcc, exec
.LBB370_320:
	s_or_b64 exec, exec, s[36:37]
.LBB370_321:
	s_and_b64 s[36:37], s[42:43], exec
.LBB370_322:
	s_or_b64 exec, exec, s[40:41]
	v_cndmask_b32_e64 v31, 0, 1, s[18:19]
	v_cndmask_b32_e64 v30, 0, 1, s[38:39]
	;; [unrolled: 1-line block ×3, first 2 shown]
	v_lshlrev_b16_e32 v31, 8, v31
	v_cndmask_b32_e64 v45, 0, 1, s[14:15]
	v_cndmask_b32_e64 v32, 0, 1, s[36:37]
	v_or_b32_sdwa v30, v30, v31 dst_sel:WORD_1 dst_unused:UNUSED_PAD src0_sel:DWORD src1_sel:DWORD
	v_lshlrev_b16_e32 v31, 8, v46
	v_lshlrev_b16_e32 v32, 8, v32
	v_or_b32_e32 v31, v45, v31
	v_or_b32_e32 v32, 1, v32
	v_and_b32_e32 v31, 0xffff, v31
	v_cndmask_b32_e64 v47, 0, 1, s[4:5]
	v_or_b32_sdwa v30, v32, v30 dst_sel:DWORD dst_unused:UNUSED_PAD src0_sel:WORD_0 src1_sel:DWORD
	v_lshl_or_b32 v31, v47, 16, v31
	v_cmp_ne_u32_e32 vcc, 0, v0
	s_waitcnt lgkmcnt(0)
	s_barrier
	s_waitcnt lgkmcnt(0)
                                        ; implicit-def: $sgpr18_sgpr19
                                        ; implicit-def: $vgpr34
	s_and_saveexec_b64 s[4:5], vcc
	s_cbranch_execz .LBB370_335
; %bb.323:
	v_cmp_gt_u32_e32 vcc, s3, v1
	s_mov_b32 s33, 0x3020104
	s_mov_b64 s[14:15], 0
	s_and_saveexec_b64 s[12:13], vcc
	s_cbranch_execz .LBB370_334
; %bb.324:
	s_andn2_b64 vcc, exec, s[6:7]
	s_cbranch_vccnz .LBB370_333
; %bb.325:
	v_add_u32_e32 v31, -8, v44
	ds_read_b64 v[32:33], v31
	v_mov_b64_e32 v[34:35], s[28:29]
	s_mov_b64 s[14:15], -1
	s_waitcnt lgkmcnt(0)
	v_mul_lo_u32 v31, v32, s27
	v_mul_lo_u32 v36, v33, s26
	v_mad_u64_u32 v[32:33], s[6:7], v32, s26, v[34:35]
	v_add3_u32 v33, v36, v33, v31
	v_mad_u64_u32 v[34:35], s[6:7], v22, s26, v[34:35]
	v_mul_lo_u32 v31, v22, s27
	v_mul_lo_u32 v36, v23, s26
	v_add3_u32 v35, v36, v35, v31
	global_load_ubyte v31, v[32:33], off
	global_load_ubyte v36, v[34:35], off
	s_waitcnt vmcnt(0)
	v_cmp_eq_u16_e32 vcc, v31, v36
	s_and_saveexec_b64 s[6:7], vcc
	s_cbranch_execz .LBB370_332
; %bb.326:
	s_mov_b64 s[28:29], 1
	s_mov_b64 s[14:15], 0
                                        ; implicit-def: $sgpr18_sgpr19
	s_branch .LBB370_329
.LBB370_327:                            ;   in Loop: Header=BB370_329 Depth=1
	v_lshl_add_u64 v[36:37], v[32:33], 0, s[28:29]
	v_lshl_add_u64 v[48:49], v[34:35], 0, s[28:29]
	global_load_ubyte v31, v[36:37], off
	global_load_ubyte v44, v[48:49], off
	s_add_u32 s36, s28, 1
	s_addc_u32 s37, s29, 0
	s_andn2_b64 s[18:19], s[18:19], exec
	s_waitcnt vmcnt(0)
	v_cmp_ne_u16_e32 vcc, v31, v44
	s_and_b64 s[38:39], vcc, exec
	s_or_b64 s[18:19], s[18:19], s[38:39]
.LBB370_328:                            ;   in Loop: Header=BB370_329 Depth=1
	s_and_b64 s[38:39], exec, s[18:19]
	s_or_b64 s[14:15], s[38:39], s[14:15]
	v_mov_b64_e32 v[36:37], s[28:29]
	s_mov_b64 s[28:29], s[36:37]
	s_andn2_b64 exec, exec, s[14:15]
	s_cbranch_execz .LBB370_331
.LBB370_329:                            ; =>This Inner Loop Header: Depth=1
	s_or_b64 s[18:19], s[18:19], exec
	s_cmp_eq_u64 s[26:27], s[28:29]
	s_cbranch_scc0 .LBB370_327
; %bb.330:                              ;   in Loop: Header=BB370_329 Depth=1
                                        ; implicit-def: $sgpr36_sgpr37
	s_mov_b64 s[28:29], s[26:27]
	s_branch .LBB370_328
.LBB370_331:
	s_or_b64 exec, exec, s[14:15]
	v_cmp_gt_i64_e32 vcc, s[26:27], v[36:37]
	s_orn2_b64 s[14:15], vcc, exec
.LBB370_332:
	s_or_b64 exec, exec, s[6:7]
.LBB370_333:
	s_and_b64 s[14:15], s[14:15], exec
.LBB370_334:
	s_or_b64 exec, exec, s[12:13]
	v_perm_b32 v34, v30, v30, s33
	s_and_b64 s[18:19], s[14:15], exec
	s_or_b64 s[10:11], s[10:11], exec
                                        ; implicit-def: $vgpr30_vgpr31
.LBB370_335:
	s_or_b64 exec, exec, s[4:5]
.LBB370_336:
	s_and_saveexec_b64 s[4:5], s[10:11]
	s_cbranch_execz .LBB370_338
; %bb.337:
	v_lshlrev_b16_e32 v31, 8, v46
	s_waitcnt lgkmcnt(0)
	v_and_b32_e32 v32, 0xff, v47
	v_or_b32_sdwa v31, v45, v31 dst_sel:DWORD dst_unused:UNUSED_PAD src0_sel:BYTE_0 src1_sel:DWORD
	v_lshlrev_b32_e32 v32, 16, v32
	s_movk_i32 s6, 0xff
	v_or_b32_sdwa v31, v31, v32 dst_sel:DWORD dst_unused:UNUSED_PAD src0_sel:WORD_0 src1_sel:DWORD
	v_lshrrev_b32_e32 v32, 24, v34
	v_lshlrev_b16_e32 v32, 8, v32
	v_and_b32_sdwa v33, v34, s6 dst_sel:DWORD dst_unused:UNUSED_PAD src0_sel:WORD_1 src1_sel:DWORD
	v_or_b32_sdwa v32, v33, v32 dst_sel:WORD_1 dst_unused:UNUSED_PAD src0_sel:DWORD src1_sel:DWORD
	v_mov_b32_e32 v33, 8
	v_cndmask_b32_e64 v30, 0, 1, s[18:19]
	v_lshrrev_b32_sdwa v33, v33, v34 dst_sel:BYTE_1 dst_unused:UNUSED_PAD src0_sel:DWORD src1_sel:DWORD
	s_nop 0
	v_or_b32_e32 v30, v30, v33
	v_or_b32_sdwa v30, v30, v32 dst_sel:DWORD dst_unused:UNUSED_PAD src0_sel:WORD_0 src1_sel:DWORD
.LBB370_338:
	s_or_b64 exec, exec, s[4:5]
	s_andn2_b64 vcc, exec, s[8:9]
	s_cbranch_vccnz .LBB370_340
; %bb.339:
	s_waitcnt lgkmcnt(0)
	v_and_b32_e32 v32, 0xffff0000, v30
	v_cmp_gt_u32_e32 vcc, s3, v1
	s_mov_b32 s4, 0x40c0100
	s_nop 0
	v_cndmask_b32_e32 v1, v32, v30, vcc
	v_and_b32_e32 v1, 0xffff00ff, v1
	v_cmp_gt_u32_e32 vcc, s3, v41
	s_nop 1
	v_cndmask_b32_e32 v1, v1, v30, vcc
	v_lshrrev_b32_e32 v32, 24, v1
	v_perm_b32 v1, v32, v1, s4
	v_cmp_gt_u32_e32 vcc, s3, v38
	v_and_b32_e32 v32, 0xffffff00, v31
	s_nop 0
	v_cndmask_b32_e32 v1, v1, v30, vcc
	v_and_b32_e32 v1, 0xffffff, v1
	v_cmp_gt_u32_e32 vcc, s3, v42
	s_nop 1
	v_cndmask_b32_e32 v1, v1, v30, vcc
	v_cmp_gt_u32_e32 vcc, s3, v39
	s_nop 1
	v_cndmask_b32_e32 v32, v32, v31, vcc
	v_and_b32_e32 v32, 0xffff00ff, v32
	v_cndmask_b32_e32 v1, v1, v30, vcc
	v_cmp_gt_u32_e32 vcc, s3, v43
	s_nop 1
	v_cndmask_b32_e32 v32, v32, v31, vcc
	v_lshrrev_b32_e32 v33, 24, v32
	v_cndmask_b32_e32 v1, v1, v30, vcc
	v_perm_b32 v32, v33, v32, s4
	v_cmp_gt_u32_e32 vcc, s3, v40
	s_mov_b32 s3, 0x3020104
	s_nop 0
	v_cndmask_b32_e32 v1, v1, v30, vcc
	v_cndmask_b32_e32 v30, v32, v31, vcc
	v_mov_b32_e32 v31, 8
	v_lshrrev_b32_sdwa v31, v31, v30 dst_sel:BYTE_1 dst_unused:UNUSED_PAD src0_sel:DWORD src1_sel:DWORD
	s_nop 0
	v_or_b32_sdwa v31, v30, v31 dst_sel:DWORD dst_unused:UNUSED_PAD src0_sel:BYTE_0 src1_sel:DWORD
	v_and_b32_e32 v31, 0xffff, v31
	v_bfe_u32 v30, v30, 16, 8
	v_lshl_or_b32 v31, v30, 16, v31
	v_perm_b32 v30, v1, v1, s3
.LBB370_340:
	v_and_b32_e32 v1, 0xff, v30
	v_bfe_u32 v43, v30, 8, 8
	v_bfe_u32 v45, v30, 16, 8
	s_waitcnt lgkmcnt(0)
	v_alignbit_b32 v32, v31, v30, 24
	v_and_b32_e32 v47, 0xff, v32
	v_and_b32_e32 v48, 0xff, v31
	v_add3_u32 v33, v43, v1, v45
	v_bfe_u32 v49, v31, 8, 8
	v_bfe_u32 v32, v31, 16, 8
	v_add3_u32 v33, v33, v47, v48
	v_add3_u32 v52, v33, v49, v32
	v_mbcnt_lo_u32_b32 v32, -1, 0
	v_mbcnt_hi_u32_b32 v50, -1, v32
	v_and_b32_e32 v32, 15, v50
	v_cmp_eq_u32_e64 s[14:15], 0, v32
	v_cmp_lt_u32_e64 s[12:13], 1, v32
	v_cmp_lt_u32_e64 s[10:11], 3, v32
	;; [unrolled: 1-line block ×3, first 2 shown]
	v_and_b32_e32 v32, 16, v50
	v_cmp_eq_u32_e64 s[6:7], 0, v32
	v_or_b32_e32 v32, 63, v0
	v_cmp_lt_u32_e64 s[18:19], 31, v50
	v_lshrrev_b32_e32 v51, 6, v0
	v_cmp_eq_u32_e64 s[4:5], v32, v0
	s_and_b64 vcc, exec, s[16:17]
	s_barrier
	s_cbranch_vccz .LBB370_371
; %bb.341:
	v_mov_b32_dpp v32, v52 row_shr:1 row_mask:0xf bank_mask:0xf
	v_cndmask_b32_e64 v32, v32, 0, s[14:15]
	v_add_u32_e32 v32, v32, v52
	s_nop 1
	v_mov_b32_dpp v33, v32 row_shr:2 row_mask:0xf bank_mask:0xf
	v_cndmask_b32_e64 v33, 0, v33, s[12:13]
	v_add_u32_e32 v32, v32, v33
	s_nop 1
	;; [unrolled: 4-line block ×4, first 2 shown]
	v_mov_b32_dpp v33, v32 row_bcast:15 row_mask:0xf bank_mask:0xf
	v_cndmask_b32_e64 v33, v33, 0, s[6:7]
	v_add_u32_e32 v32, v32, v33
	s_nop 1
	v_mov_b32_dpp v33, v32 row_bcast:31 row_mask:0xf bank_mask:0xf
	v_cndmask_b32_e64 v33, 0, v33, s[18:19]
	v_add_u32_e32 v32, v32, v33
	s_and_saveexec_b64 s[16:17], s[4:5]
	s_cbranch_execz .LBB370_343
; %bb.342:
	v_lshlrev_b32_e32 v33, 2, v51
	ds_write_b32 v33, v32
.LBB370_343:
	s_or_b64 exec, exec, s[16:17]
	v_cmp_gt_u32_e32 vcc, 8, v0
	s_waitcnt lgkmcnt(0)
	s_barrier
	s_and_saveexec_b64 s[16:17], vcc
	s_cbranch_execz .LBB370_345
; %bb.344:
	v_lshlrev_b32_e32 v33, 2, v0
	ds_read_b32 v34, v33
	v_and_b32_e32 v35, 7, v50
	v_cmp_ne_u32_e32 vcc, 0, v35
	s_waitcnt lgkmcnt(0)
	v_mov_b32_dpp v36, v34 row_shr:1 row_mask:0xf bank_mask:0xf
	v_cndmask_b32_e32 v36, 0, v36, vcc
	v_add_u32_e32 v34, v36, v34
	v_cmp_lt_u32_e32 vcc, 1, v35
	s_nop 0
	v_mov_b32_dpp v36, v34 row_shr:2 row_mask:0xf bank_mask:0xf
	v_cndmask_b32_e32 v36, 0, v36, vcc
	v_add_u32_e32 v34, v34, v36
	v_cmp_lt_u32_e32 vcc, 3, v35
	s_nop 0
	v_mov_b32_dpp v36, v34 row_shr:4 row_mask:0xf bank_mask:0xf
	v_cndmask_b32_e32 v35, 0, v36, vcc
	v_add_u32_e32 v34, v34, v35
	ds_write_b32 v33, v34
.LBB370_345:
	s_or_b64 exec, exec, s[16:17]
	v_cmp_gt_u32_e32 vcc, 64, v0
	v_cmp_lt_u32_e64 s[16:17], 63, v0
	s_waitcnt lgkmcnt(0)
	s_barrier
	s_waitcnt lgkmcnt(0)
                                        ; implicit-def: $vgpr42
	s_and_saveexec_b64 s[26:27], s[16:17]
	s_cbranch_execz .LBB370_347
; %bb.346:
	v_lshl_add_u32 v33, v51, 2, -4
	ds_read_b32 v42, v33
	s_waitcnt lgkmcnt(0)
	v_add_u32_e32 v32, v42, v32
.LBB370_347:
	s_or_b64 exec, exec, s[26:27]
	v_add_u32_e32 v33, -1, v50
	v_and_b32_e32 v34, 64, v50
	v_cmp_lt_i32_e64 s[16:17], v33, v34
	s_nop 1
	v_cndmask_b32_e64 v33, v33, v50, s[16:17]
	v_lshlrev_b32_e32 v33, 2, v33
	ds_bpermute_b32 v44, v33, v32
	v_cmp_eq_u32_e64 s[16:17], 0, v50
	s_and_saveexec_b64 s[26:27], vcc
	s_cbranch_execz .LBB370_370
; %bb.348:
	v_mov_b32_e32 v41, 0
	ds_read_b32 v32, v41 offset:28
	s_and_saveexec_b64 s[28:29], s[16:17]
	s_cbranch_execz .LBB370_350
; %bb.349:
	s_add_i32 s36, s2, 64
	s_mov_b32 s37, 0
	s_lshl_b64 s[36:37], s[36:37], 3
	s_add_u32 s36, s30, s36
	v_mov_b32_e32 v33, 1
	s_addc_u32 s37, s31, s37
	s_waitcnt lgkmcnt(0)
	global_store_dwordx2 v41, v[32:33], s[36:37] sc1
.LBB370_350:
	s_or_b64 exec, exec, s[28:29]
	v_xad_u32 v34, v50, -1, s2
	v_add_u32_e32 v40, 64, v34
	v_lshl_add_u64 v[36:37], v[40:41], 3, s[30:31]
	global_load_dwordx2 v[38:39], v[36:37], off sc1
	s_waitcnt vmcnt(0)
	v_cmp_eq_u16_sdwa s[36:37], v39, v41 src0_sel:BYTE_0 src1_sel:DWORD
	s_and_saveexec_b64 s[28:29], s[36:37]
	s_cbranch_execz .LBB370_356
; %bb.351:
	s_mov_b32 s3, 1
	s_mov_b64 s[36:37], 0
	v_mov_b32_e32 v33, 0
.LBB370_352:                            ; =>This Loop Header: Depth=1
                                        ;     Child Loop BB370_353 Depth 2
	s_max_u32 s33, s3, 1
.LBB370_353:                            ;   Parent Loop BB370_352 Depth=1
                                        ; =>  This Inner Loop Header: Depth=2
	s_add_i32 s33, s33, -1
	s_cmp_eq_u32 s33, 0
	s_sleep 1
	s_cbranch_scc0 .LBB370_353
; %bb.354:                              ;   in Loop: Header=BB370_352 Depth=1
	global_load_dwordx2 v[38:39], v[36:37], off sc1
	s_cmp_lt_u32 s3, 32
	s_cselect_b64 s[38:39], -1, 0
	s_cmp_lg_u64 s[38:39], 0
	s_addc_u32 s3, s3, 0
	s_waitcnt vmcnt(0)
	v_cmp_ne_u16_sdwa s[38:39], v39, v33 src0_sel:BYTE_0 src1_sel:DWORD
	s_or_b64 s[36:37], s[38:39], s[36:37]
	s_andn2_b64 exec, exec, s[36:37]
	s_cbranch_execnz .LBB370_352
; %bb.355:
	s_or_b64 exec, exec, s[36:37]
.LBB370_356:
	s_or_b64 exec, exec, s[28:29]
	v_and_b32_e32 v46, 63, v50
	v_mov_b32_e32 v33, 2
	v_cmp_ne_u32_e32 vcc, 63, v46
	v_cmp_eq_u16_sdwa s[28:29], v39, v33 src0_sel:BYTE_0 src1_sel:DWORD
	v_lshlrev_b64 v[36:37], v50, -1
	v_addc_co_u32_e32 v41, vcc, 0, v50, vcc
	v_and_b32_e32 v35, s29, v37
	v_lshlrev_b32_e32 v53, 2, v41
	v_or_b32_e32 v35, 0x80000000, v35
	ds_bpermute_b32 v41, v53, v38
	v_and_b32_e32 v40, s28, v36
	v_ffbl_b32_e32 v35, v35
	v_add_u32_e32 v35, 32, v35
	v_ffbl_b32_e32 v40, v40
	v_min_u32_e32 v35, v40, v35
	v_cmp_lt_u32_e32 vcc, v46, v35
	v_add_u32_e32 v55, 2, v46
	v_add_u32_e32 v57, 4, v46
	s_waitcnt lgkmcnt(0)
	v_cndmask_b32_e32 v40, 0, v41, vcc
	v_cmp_gt_u32_e32 vcc, 62, v46
	v_add_u32_e32 v38, v40, v38
	v_add_u32_e32 v59, 8, v46
	v_cndmask_b32_e64 v40, 0, 1, vcc
	v_lshlrev_b32_e32 v40, 1, v40
	v_add_lshl_u32 v54, v40, v50, 2
	ds_bpermute_b32 v40, v54, v38
	v_cmp_le_u32_e32 vcc, v55, v35
	v_add_u32_e32 v62, 16, v46
	v_add_u32_e32 v64, 32, v46
	s_waitcnt lgkmcnt(0)
	v_cndmask_b32_e32 v40, 0, v40, vcc
	v_cmp_gt_u32_e32 vcc, 60, v46
	v_add_u32_e32 v38, v38, v40
	s_nop 0
	v_cndmask_b32_e64 v40, 0, 1, vcc
	v_lshlrev_b32_e32 v40, 2, v40
	v_add_lshl_u32 v56, v40, v50, 2
	ds_bpermute_b32 v40, v56, v38
	v_cmp_le_u32_e32 vcc, v57, v35
	s_waitcnt lgkmcnt(0)
	s_nop 0
	v_cndmask_b32_e32 v40, 0, v40, vcc
	v_cmp_gt_u32_e32 vcc, 56, v46
	v_add_u32_e32 v38, v38, v40
	s_nop 0
	v_cndmask_b32_e64 v40, 0, 1, vcc
	v_lshlrev_b32_e32 v40, 3, v40
	v_add_lshl_u32 v58, v40, v50, 2
	ds_bpermute_b32 v40, v58, v38
	v_cmp_le_u32_e32 vcc, v59, v35
	s_waitcnt lgkmcnt(0)
	s_nop 0
	;; [unrolled: 11-line block ×4, first 2 shown]
	v_cndmask_b32_e32 v35, 0, v40, vcc
	v_add_u32_e32 v38, v38, v35
	v_mov_b32_e32 v35, 0
	s_branch .LBB370_358
.LBB370_357:                            ;   in Loop: Header=BB370_358 Depth=1
	s_or_b64 exec, exec, s[28:29]
	v_cmp_eq_u16_sdwa s[28:29], v39, v33 src0_sel:BYTE_0 src1_sel:DWORD
	ds_bpermute_b32 v65, v53, v38
	v_subrev_u32_e32 v34, 64, v34
	v_and_b32_e32 v40, s29, v37
	v_or_b32_e32 v40, 0x80000000, v40
	v_and_b32_e32 v41, s28, v36
	v_ffbl_b32_e32 v40, v40
	v_add_u32_e32 v40, 32, v40
	v_ffbl_b32_e32 v41, v41
	v_min_u32_e32 v40, v41, v40
	v_cmp_lt_u32_e32 vcc, v46, v40
	s_waitcnt lgkmcnt(0)
	s_nop 0
	v_cndmask_b32_e32 v41, 0, v65, vcc
	v_add_u32_e32 v38, v41, v38
	ds_bpermute_b32 v41, v54, v38
	v_cmp_le_u32_e32 vcc, v55, v40
	s_waitcnt lgkmcnt(0)
	s_nop 0
	v_cndmask_b32_e32 v41, 0, v41, vcc
	v_add_u32_e32 v38, v38, v41
	ds_bpermute_b32 v41, v56, v38
	v_cmp_le_u32_e32 vcc, v57, v40
	;; [unrolled: 6-line block ×5, first 2 shown]
	s_waitcnt lgkmcnt(0)
	s_nop 0
	v_cndmask_b32_e32 v40, 0, v41, vcc
	v_add3_u32 v38, v40, v60, v38
.LBB370_358:                            ; =>This Loop Header: Depth=1
                                        ;     Child Loop BB370_361 Depth 2
                                        ;       Child Loop BB370_362 Depth 3
	v_cmp_ne_u16_sdwa s[28:29], v39, v33 src0_sel:BYTE_0 src1_sel:DWORD
	v_mov_b32_e32 v60, v38
	s_nop 0
	v_cndmask_b32_e64 v39, 0, 1, s[28:29]
	;;#ASMSTART
	;;#ASMEND
	s_nop 0
	v_cmp_ne_u32_e32 vcc, 0, v39
	s_cmp_lg_u64 vcc, exec
	s_cbranch_scc1 .LBB370_365
; %bb.359:                              ;   in Loop: Header=BB370_358 Depth=1
	v_lshl_add_u64 v[40:41], v[34:35], 3, s[30:31]
	global_load_dwordx2 v[38:39], v[40:41], off sc1
	s_waitcnt vmcnt(0)
	v_cmp_eq_u16_sdwa s[36:37], v39, v35 src0_sel:BYTE_0 src1_sel:DWORD
	s_and_saveexec_b64 s[28:29], s[36:37]
	s_cbranch_execz .LBB370_357
; %bb.360:                              ;   in Loop: Header=BB370_358 Depth=1
	s_mov_b32 s3, 1
	s_mov_b64 s[36:37], 0
.LBB370_361:                            ;   Parent Loop BB370_358 Depth=1
                                        ; =>  This Loop Header: Depth=2
                                        ;       Child Loop BB370_362 Depth 3
	s_max_u32 s33, s3, 1
.LBB370_362:                            ;   Parent Loop BB370_358 Depth=1
                                        ;     Parent Loop BB370_361 Depth=2
                                        ; =>    This Inner Loop Header: Depth=3
	s_add_i32 s33, s33, -1
	s_cmp_eq_u32 s33, 0
	s_sleep 1
	s_cbranch_scc0 .LBB370_362
; %bb.363:                              ;   in Loop: Header=BB370_361 Depth=2
	global_load_dwordx2 v[38:39], v[40:41], off sc1
	s_cmp_lt_u32 s3, 32
	s_cselect_b64 s[38:39], -1, 0
	s_cmp_lg_u64 s[38:39], 0
	s_addc_u32 s3, s3, 0
	s_waitcnt vmcnt(0)
	v_cmp_ne_u16_sdwa s[38:39], v39, v35 src0_sel:BYTE_0 src1_sel:DWORD
	s_or_b64 s[36:37], s[38:39], s[36:37]
	s_andn2_b64 exec, exec, s[36:37]
	s_cbranch_execnz .LBB370_361
; %bb.364:                              ;   in Loop: Header=BB370_358 Depth=1
	s_or_b64 exec, exec, s[36:37]
	s_branch .LBB370_357
.LBB370_365:                            ;   in Loop: Header=BB370_358 Depth=1
                                        ; implicit-def: $vgpr38
                                        ; implicit-def: $vgpr39
	s_cbranch_execz .LBB370_358
; %bb.366:
	s_and_saveexec_b64 s[28:29], s[16:17]
	s_cbranch_execz .LBB370_368
; %bb.367:
	s_add_i32 s2, s2, 64
	s_mov_b32 s3, 0
	s_lshl_b64 s[2:3], s[2:3], 3
	s_add_u32 s2, s30, s2
	v_add_u32_e32 v34, v60, v32
	v_mov_b32_e32 v35, 2
	s_addc_u32 s3, s31, s3
	v_mov_b32_e32 v33, 0
	global_store_dwordx2 v33, v[34:35], s[2:3] sc1
	s_movk_i32 s2, 0x7000
	v_add_u32_e64 v33, s2, 0
	ds_write2_b32 v33, v32, v60 offset1:2
.LBB370_368:
	s_or_b64 exec, exec, s[28:29]
	v_cmp_eq_u32_e32 vcc, 0, v0
	s_and_b64 exec, exec, vcc
	s_cbranch_execz .LBB370_370
; %bb.369:
	v_mov_b32_e32 v32, 0
	ds_write_b32 v32, v60 offset:28
.LBB370_370:
	s_or_b64 exec, exec, s[26:27]
	v_mov_b32_e32 v32, 0
	s_waitcnt lgkmcnt(0)
	s_barrier
	ds_read_b32 v32, v32 offset:28
	v_cndmask_b32_e64 v33, v44, v42, s[16:17]
	v_cmp_ne_u32_e32 vcc, 0, v0
	s_movk_i32 s2, 0x7000
	s_waitcnt lgkmcnt(0)
	v_cndmask_b32_e32 v33, 0, v33, vcc
	v_add_u32_e32 v46, v32, v33
	v_add_u32_e64 v32, s2, 0
	v_add_u32_e32 v44, v46, v1
	s_barrier
	ds_read2_b32 v[32:33], v32 offset1:2
	v_add_u32_e32 v42, v44, v43
	v_add_u32_e32 v40, v42, v45
	v_add_u32_e32 v38, v40, v47
	v_add_u32_e32 v36, v38, v48
	v_add_u32_e32 v34, v36, v49
	s_waitcnt lgkmcnt(0)
	v_readfirstlane_b32 s26, v32
	v_readfirstlane_b32 s16, v33
	v_lshrrev_b64 v[32:33], 24, v[30:31]
	s_branch .LBB370_381
.LBB370_371:
                                        ; implicit-def: $vgpr34
                                        ; implicit-def: $vgpr36
                                        ; implicit-def: $vgpr38
                                        ; implicit-def: $vgpr40
                                        ; implicit-def: $vgpr42
                                        ; implicit-def: $vgpr44
                                        ; implicit-def: $vgpr46
                                        ; implicit-def: $sgpr16
                                        ; implicit-def: $sgpr26
	v_lshrrev_b64 v[32:33], 24, v[30:31]
	s_cbranch_execz .LBB370_381
; %bb.372:
	s_nop 0
	v_mov_b32_dpp v33, v52 row_shr:1 row_mask:0xf bank_mask:0xf
	v_cndmask_b32_e64 v33, v33, 0, s[14:15]
	v_add_u32_e32 v33, v33, v52
	s_nop 1
	v_mov_b32_dpp v34, v33 row_shr:2 row_mask:0xf bank_mask:0xf
	v_cndmask_b32_e64 v34, 0, v34, s[12:13]
	v_add_u32_e32 v33, v33, v34
	s_nop 1
	v_mov_b32_dpp v34, v33 row_shr:4 row_mask:0xf bank_mask:0xf
	v_cndmask_b32_e64 v34, 0, v34, s[10:11]
	v_add_u32_e32 v33, v33, v34
	s_nop 1
	v_mov_b32_dpp v34, v33 row_shr:8 row_mask:0xf bank_mask:0xf
	v_cndmask_b32_e64 v34, 0, v34, s[8:9]
	v_add_u32_e32 v33, v33, v34
	s_nop 1
	v_mov_b32_dpp v34, v33 row_bcast:15 row_mask:0xf bank_mask:0xf
	v_cndmask_b32_e64 v34, v34, 0, s[6:7]
	v_add_u32_e32 v33, v33, v34
	s_nop 1
	v_mov_b32_dpp v34, v33 row_bcast:31 row_mask:0xf bank_mask:0xf
	v_cndmask_b32_e64 v34, 0, v34, s[18:19]
	v_add_u32_e32 v33, v33, v34
	s_and_saveexec_b64 s[2:3], s[4:5]
	s_cbranch_execz .LBB370_374
; %bb.373:
	v_lshlrev_b32_e32 v34, 2, v51
	ds_write_b32 v34, v33
.LBB370_374:
	s_or_b64 exec, exec, s[2:3]
	v_cmp_gt_u32_e32 vcc, 8, v0
	s_waitcnt lgkmcnt(0)
	s_barrier
	s_and_saveexec_b64 s[2:3], vcc
	s_cbranch_execz .LBB370_376
; %bb.375:
	v_lshlrev_b32_e32 v34, 2, v0
	ds_read_b32 v35, v34
	v_and_b32_e32 v36, 7, v50
	v_cmp_ne_u32_e32 vcc, 0, v36
	s_waitcnt lgkmcnt(0)
	v_mov_b32_dpp v37, v35 row_shr:1 row_mask:0xf bank_mask:0xf
	v_cndmask_b32_e32 v37, 0, v37, vcc
	v_add_u32_e32 v35, v37, v35
	v_cmp_lt_u32_e32 vcc, 1, v36
	s_nop 0
	v_mov_b32_dpp v37, v35 row_shr:2 row_mask:0xf bank_mask:0xf
	v_cndmask_b32_e32 v37, 0, v37, vcc
	v_add_u32_e32 v35, v35, v37
	v_cmp_lt_u32_e32 vcc, 3, v36
	s_nop 0
	v_mov_b32_dpp v37, v35 row_shr:4 row_mask:0xf bank_mask:0xf
	v_cndmask_b32_e32 v36, 0, v37, vcc
	v_add_u32_e32 v35, v35, v36
	ds_write_b32 v34, v35
.LBB370_376:
	s_or_b64 exec, exec, s[2:3]
	v_cmp_lt_u32_e32 vcc, 63, v0
	v_mov_b32_e32 v35, 0
	v_mov_b32_e32 v34, 0
	s_waitcnt lgkmcnt(0)
	s_barrier
	s_and_saveexec_b64 s[2:3], vcc
	s_cbranch_execz .LBB370_378
; %bb.377:
	v_lshl_add_u32 v34, v51, 2, -4
	ds_read_b32 v34, v34
.LBB370_378:
	s_or_b64 exec, exec, s[2:3]
	v_add_u32_e32 v36, -1, v50
	v_and_b32_e32 v37, 64, v50
	v_cmp_lt_i32_e32 vcc, v36, v37
	s_waitcnt lgkmcnt(0)
	v_add_u32_e32 v33, v34, v33
	ds_read_b32 v35, v35 offset:28
	v_cndmask_b32_e32 v36, v36, v50, vcc
	v_lshlrev_b32_e32 v36, 2, v36
	ds_bpermute_b32 v33, v36, v33
	s_mov_b32 s16, 0
	v_cmp_eq_u32_e32 vcc, 0, v0
	s_waitcnt lgkmcnt(1)
	v_readfirstlane_b32 s26, v35
	s_and_saveexec_b64 s[2:3], vcc
	s_cbranch_execz .LBB370_380
; %bb.379:
	v_mov_b32_e32 v35, 0
	v_mov_b32_e32 v36, s26
	;; [unrolled: 1-line block ×3, first 2 shown]
	global_store_dwordx2 v35, v[36:37], s[30:31] offset:512 sc1
.LBB370_380:
	s_or_b64 exec, exec, s[2:3]
	v_cmp_eq_u32_e64 s[2:3], 0, v50
	s_waitcnt lgkmcnt(0)
	s_barrier
	v_cndmask_b32_e64 v33, v33, v34, s[2:3]
	v_cndmask_b32_e64 v46, v33, 0, vcc
	v_add_u32_e32 v44, v46, v1
	v_add_u32_e32 v42, v44, v43
	;; [unrolled: 1-line block ×6, first 2 shown]
.LBB370_381:
	s_load_dwordx4 s[4:7], s[0:1], 0x28
	s_cmpk_lt_u32 s26, 0x201
	s_cselect_b64 s[2:3], -1, 0
	v_lshrrev_b32_e32 v33, 8, v30
	v_lshrrev_b32_e32 v1, 8, v31
	s_mov_b64 s[0:1], -1
	s_and_b64 vcc, exec, s[2:3]
	s_cbranch_vccz .LBB370_404
; %bb.382:
	s_add_i32 s8, s16, s26
	v_cmp_gt_u32_e32 vcc, s8, v46
	s_or_b64 s[10:11], s[34:35], vcc
	s_and_saveexec_b64 s[0:1], s[10:11]
	s_cbranch_execz .LBB370_385
; %bb.383:
	v_and_b32_e32 v35, 1, v30
	v_cmp_eq_u32_e32 vcc, 1, v35
	s_and_b64 exec, exec, vcc
	s_cbranch_execz .LBB370_385
; %bb.384:
	s_lshl_b64 s[10:11], s[22:23], 3
	s_waitcnt lgkmcnt(0)
	s_add_u32 s10, s4, s10
	s_addc_u32 s11, s5, s11
	v_mov_b32_e32 v47, 0
	v_lshl_add_u64 v[48:49], v[46:47], 3, s[10:11]
	global_store_dwordx2 v[48:49], v[22:23], off
.LBB370_385:
	s_or_b64 exec, exec, s[0:1]
	v_cmp_gt_u32_e32 vcc, s8, v44
	s_or_b64 s[10:11], s[34:35], vcc
	s_and_saveexec_b64 s[0:1], s[10:11]
	s_cbranch_execz .LBB370_388
; %bb.386:
	v_and_b32_e32 v35, 1, v33
	v_cmp_eq_u32_e32 vcc, 1, v35
	s_and_b64 exec, exec, vcc
	s_cbranch_execz .LBB370_388
; %bb.387:
	s_lshl_b64 s[10:11], s[22:23], 3
	s_waitcnt lgkmcnt(0)
	s_add_u32 s10, s4, s10
	s_addc_u32 s11, s5, s11
	v_mov_b32_e32 v45, 0
	v_lshl_add_u64 v[48:49], v[44:45], 3, s[10:11]
	global_store_dwordx2 v[48:49], v[24:25], off
.LBB370_388:
	s_or_b64 exec, exec, s[0:1]
	v_cmp_gt_u32_e32 vcc, s8, v42
	s_or_b64 s[10:11], s[34:35], vcc
	s_and_saveexec_b64 s[0:1], s[10:11]
	s_cbranch_execz .LBB370_391
; %bb.389:
	v_mov_b32_e32 v35, 1
	v_and_b32_sdwa v35, v35, v30 dst_sel:DWORD dst_unused:UNUSED_PAD src0_sel:DWORD src1_sel:WORD_1
	v_cmp_eq_u32_e32 vcc, 1, v35
	s_and_b64 exec, exec, vcc
	s_cbranch_execz .LBB370_391
; %bb.390:
	s_lshl_b64 s[10:11], s[22:23], 3
	s_waitcnt lgkmcnt(0)
	s_add_u32 s10, s4, s10
	s_addc_u32 s11, s5, s11
	v_mov_b32_e32 v43, 0
	v_lshl_add_u64 v[48:49], v[42:43], 3, s[10:11]
	global_store_dwordx2 v[48:49], v[18:19], off
.LBB370_391:
	s_or_b64 exec, exec, s[0:1]
	v_cmp_gt_u32_e32 vcc, s8, v40
	s_or_b64 s[10:11], s[34:35], vcc
	s_and_saveexec_b64 s[0:1], s[10:11]
	s_cbranch_execz .LBB370_394
; %bb.392:
	v_and_b32_e32 v35, 1, v32
	v_cmp_eq_u32_e32 vcc, 1, v35
	s_and_b64 exec, exec, vcc
	s_cbranch_execz .LBB370_394
; %bb.393:
	s_lshl_b64 s[10:11], s[22:23], 3
	s_waitcnt lgkmcnt(0)
	s_add_u32 s10, s4, s10
	s_addc_u32 s11, s5, s11
	v_mov_b32_e32 v41, 0
	v_lshl_add_u64 v[48:49], v[40:41], 3, s[10:11]
	global_store_dwordx2 v[48:49], v[20:21], off
.LBB370_394:
	s_or_b64 exec, exec, s[0:1]
	v_cmp_gt_u32_e32 vcc, s8, v38
	s_or_b64 s[10:11], s[34:35], vcc
	s_and_saveexec_b64 s[0:1], s[10:11]
	s_cbranch_execz .LBB370_397
; %bb.395:
	v_and_b32_e32 v35, 1, v31
	v_cmp_eq_u32_e32 vcc, 1, v35
	s_and_b64 exec, exec, vcc
	s_cbranch_execz .LBB370_397
; %bb.396:
	s_lshl_b64 s[10:11], s[22:23], 3
	s_waitcnt lgkmcnt(0)
	s_add_u32 s10, s4, s10
	s_addc_u32 s11, s5, s11
	v_mov_b32_e32 v39, 0
	v_lshl_add_u64 v[48:49], v[38:39], 3, s[10:11]
	global_store_dwordx2 v[48:49], v[14:15], off
.LBB370_397:
	s_or_b64 exec, exec, s[0:1]
	v_cmp_gt_u32_e32 vcc, s8, v36
	s_or_b64 s[10:11], s[34:35], vcc
	s_and_saveexec_b64 s[0:1], s[10:11]
	s_cbranch_execz .LBB370_400
; %bb.398:
	v_and_b32_e32 v35, 1, v1
	v_cmp_eq_u32_e32 vcc, 1, v35
	s_and_b64 exec, exec, vcc
	s_cbranch_execz .LBB370_400
; %bb.399:
	s_lshl_b64 s[10:11], s[22:23], 3
	s_waitcnt lgkmcnt(0)
	s_add_u32 s10, s4, s10
	s_addc_u32 s11, s5, s11
	v_mov_b32_e32 v37, 0
	v_lshl_add_u64 v[48:49], v[36:37], 3, s[10:11]
	global_store_dwordx2 v[48:49], v[16:17], off
.LBB370_400:
	s_or_b64 exec, exec, s[0:1]
	v_cmp_gt_u32_e32 vcc, s8, v34
	s_or_b64 s[8:9], s[34:35], vcc
	s_and_saveexec_b64 s[0:1], s[8:9]
	s_cbranch_execz .LBB370_403
; %bb.401:
	v_mov_b32_e32 v35, 1
	v_and_b32_sdwa v35, v35, v31 dst_sel:DWORD dst_unused:UNUSED_PAD src0_sel:DWORD src1_sel:WORD_1
	v_cmp_eq_u32_e32 vcc, 1, v35
	s_and_b64 exec, exec, vcc
	s_cbranch_execz .LBB370_403
; %bb.402:
	s_lshl_b64 s[8:9], s[22:23], 3
	s_waitcnt lgkmcnt(0)
	s_add_u32 s8, s4, s8
	s_addc_u32 s9, s5, s9
	v_mov_b32_e32 v35, 0
	v_lshl_add_u64 v[48:49], v[34:35], 3, s[8:9]
	global_store_dwordx2 v[48:49], v[28:29], off
.LBB370_403:
	s_or_b64 exec, exec, s[0:1]
	s_mov_b64 s[0:1], 0
.LBB370_404:
	v_and_b32_e32 v48, 1, v30
	s_and_b64 vcc, exec, s[0:1]
	v_cmp_eq_u32_e64 s[0:1], 1, v48
	s_cbranch_vccz .LBB370_423
; %bb.405:
	s_and_saveexec_b64 s[8:9], s[0:1]
	s_cbranch_execz .LBB370_407
; %bb.406:
	v_subrev_u32_e32 v35, s16, v46
	v_lshlrev_b32_e32 v35, 3, v35
	ds_write_b64 v35, v[22:23]
.LBB370_407:
	s_or_b64 exec, exec, s[8:9]
	v_and_b32_e32 v22, 1, v33
	v_cmp_eq_u32_e32 vcc, 1, v22
	s_and_saveexec_b64 s[0:1], vcc
	s_cbranch_execz .LBB370_409
; %bb.408:
	v_subrev_u32_e32 v22, s16, v44
	v_lshlrev_b32_e32 v22, 3, v22
	ds_write_b64 v22, v[24:25]
.LBB370_409:
	s_or_b64 exec, exec, s[0:1]
	v_mov_b32_e32 v22, 1
	v_and_b32_sdwa v22, v22, v30 dst_sel:DWORD dst_unused:UNUSED_PAD src0_sel:DWORD src1_sel:WORD_1
	v_cmp_eq_u32_e32 vcc, 1, v22
	s_and_saveexec_b64 s[0:1], vcc
	s_cbranch_execz .LBB370_411
; %bb.410:
	v_subrev_u32_e32 v22, s16, v42
	v_lshlrev_b32_e32 v22, 3, v22
	ds_write_b64 v22, v[18:19]
.LBB370_411:
	s_or_b64 exec, exec, s[0:1]
	v_and_b32_e32 v18, 1, v32
	v_cmp_eq_u32_e32 vcc, 1, v18
	s_and_saveexec_b64 s[0:1], vcc
	s_cbranch_execz .LBB370_413
; %bb.412:
	v_subrev_u32_e32 v18, s16, v40
	v_lshlrev_b32_e32 v18, 3, v18
	ds_write_b64 v18, v[20:21]
.LBB370_413:
	s_or_b64 exec, exec, s[0:1]
	v_and_b32_e32 v18, 1, v31
	;; [unrolled: 10-line block ×3, first 2 shown]
	v_cmp_eq_u32_e32 vcc, 1, v14
	s_and_saveexec_b64 s[0:1], vcc
	s_cbranch_execz .LBB370_417
; %bb.416:
	v_subrev_u32_e32 v14, s16, v36
	v_lshlrev_b32_e32 v14, 3, v14
	ds_write_b64 v14, v[16:17]
.LBB370_417:
	s_or_b64 exec, exec, s[0:1]
	v_mov_b32_e32 v14, 1
	v_and_b32_sdwa v14, v14, v31 dst_sel:DWORD dst_unused:UNUSED_PAD src0_sel:DWORD src1_sel:WORD_1
	v_cmp_eq_u32_e32 vcc, 1, v14
	s_and_saveexec_b64 s[0:1], vcc
	s_cbranch_execz .LBB370_419
; %bb.418:
	v_subrev_u32_e32 v14, s16, v34
	v_lshlrev_b32_e32 v14, 3, v14
	ds_write_b64 v14, v[28:29]
.LBB370_419:
	s_or_b64 exec, exec, s[0:1]
	v_cmp_gt_u32_e32 vcc, s26, v0
	s_waitcnt lgkmcnt(0)
	s_barrier
	s_and_saveexec_b64 s[0:1], vcc
	s_cbranch_execz .LBB370_422
; %bb.420:
	s_mov_b32 s17, 0
	s_lshl_b64 s[8:9], s[22:23], 3
	s_lshl_b64 s[10:11], s[16:17], 3
	s_add_u32 s8, s8, s10
	s_addc_u32 s9, s9, s11
	s_add_u32 s4, s4, s8
	v_lshlrev_b32_e32 v14, 3, v0
	v_mov_b32_e32 v15, 0
	s_addc_u32 s5, s5, s9
	v_lshl_add_u64 v[16:17], s[4:5], 0, v[14:15]
	s_mov_b64 s[4:5], 0
	s_mov_b64 s[8:9], 0x1000
	v_mov_b32_e32 v15, v0
.LBB370_421:                            ; =>This Inner Loop Header: Depth=1
	ds_read_b64 v[18:19], v14
	v_add_u32_e32 v15, 0x200, v15
	v_cmp_le_u32_e32 vcc, s26, v15
	v_add_u32_e32 v14, 0x1000, v14
	s_or_b64 s[4:5], vcc, s[4:5]
	s_waitcnt lgkmcnt(0)
	global_store_dwordx2 v[16:17], v[18:19], off
	v_lshl_add_u64 v[16:17], v[16:17], 0, s[8:9]
	s_andn2_b64 exec, exec, s[4:5]
	s_cbranch_execnz .LBB370_421
.LBB370_422:
	s_or_b64 exec, exec, s[0:1]
.LBB370_423:
	s_mov_b64 s[0:1], -1
	s_and_b64 vcc, exec, s[2:3]
	s_waitcnt lgkmcnt(0)
	s_barrier
	s_cbranch_vccnz .LBB370_427
; %bb.424:
	s_and_b64 vcc, exec, s[0:1]
	s_cbranch_vccnz .LBB370_449
.LBB370_425:
	v_cmp_eq_u32_e32 vcc, 0, v0
	s_and_b64 s[0:1], vcc, s[24:25]
	s_and_saveexec_b64 s[2:3], s[0:1]
	s_cbranch_execnz .LBB370_467
.LBB370_426:
	s_endpgm
.LBB370_427:
	s_add_i32 s2, s16, s26
	v_cmp_gt_u32_e32 vcc, s2, v46
	s_or_b64 s[4:5], s[34:35], vcc
	s_and_saveexec_b64 s[0:1], s[4:5]
	s_cbranch_execz .LBB370_430
; %bb.428:
	v_cmp_eq_u32_e32 vcc, 1, v48
	s_and_b64 exec, exec, vcc
	s_cbranch_execz .LBB370_430
; %bb.429:
	s_lshl_b64 s[4:5], s[22:23], 3
	s_add_u32 s4, s6, s4
	s_addc_u32 s5, s7, s5
	v_mov_b32_e32 v47, 0
	v_lshl_add_u64 v[14:15], v[46:47], 3, s[4:5]
	global_store_dwordx2 v[14:15], v[10:11], off
.LBB370_430:
	s_or_b64 exec, exec, s[0:1]
	v_cmp_gt_u32_e32 vcc, s2, v44
	s_or_b64 s[4:5], s[34:35], vcc
	s_and_saveexec_b64 s[0:1], s[4:5]
	s_cbranch_execz .LBB370_433
; %bb.431:
	v_and_b32_e32 v14, 1, v33
	v_cmp_eq_u32_e32 vcc, 1, v14
	s_and_b64 exec, exec, vcc
	s_cbranch_execz .LBB370_433
; %bb.432:
	s_lshl_b64 s[4:5], s[22:23], 3
	s_add_u32 s4, s6, s4
	s_addc_u32 s5, s7, s5
	v_mov_b32_e32 v45, 0
	v_lshl_add_u64 v[14:15], v[44:45], 3, s[4:5]
	global_store_dwordx2 v[14:15], v[12:13], off
.LBB370_433:
	s_or_b64 exec, exec, s[0:1]
	v_cmp_gt_u32_e32 vcc, s2, v42
	s_or_b64 s[4:5], s[34:35], vcc
	s_and_saveexec_b64 s[0:1], s[4:5]
	s_cbranch_execz .LBB370_436
; %bb.434:
	v_mov_b32_e32 v14, 1
	v_and_b32_sdwa v14, v14, v30 dst_sel:DWORD dst_unused:UNUSED_PAD src0_sel:DWORD src1_sel:WORD_1
	v_cmp_eq_u32_e32 vcc, 1, v14
	s_and_b64 exec, exec, vcc
	s_cbranch_execz .LBB370_436
; %bb.435:
	s_lshl_b64 s[4:5], s[22:23], 3
	s_add_u32 s4, s6, s4
	s_addc_u32 s5, s7, s5
	v_mov_b32_e32 v43, 0
	v_lshl_add_u64 v[14:15], v[42:43], 3, s[4:5]
	global_store_dwordx2 v[14:15], v[6:7], off
.LBB370_436:
	s_or_b64 exec, exec, s[0:1]
	v_cmp_gt_u32_e32 vcc, s2, v40
	s_or_b64 s[4:5], s[34:35], vcc
	s_and_saveexec_b64 s[0:1], s[4:5]
	s_cbranch_execz .LBB370_439
; %bb.437:
	v_and_b32_e32 v14, 1, v32
	v_cmp_eq_u32_e32 vcc, 1, v14
	s_and_b64 exec, exec, vcc
	s_cbranch_execz .LBB370_439
; %bb.438:
	s_lshl_b64 s[4:5], s[22:23], 3
	s_add_u32 s4, s6, s4
	s_addc_u32 s5, s7, s5
	v_mov_b32_e32 v41, 0
	v_lshl_add_u64 v[14:15], v[40:41], 3, s[4:5]
	global_store_dwordx2 v[14:15], v[8:9], off
.LBB370_439:
	s_or_b64 exec, exec, s[0:1]
	v_cmp_gt_u32_e32 vcc, s2, v38
	s_or_b64 s[4:5], s[34:35], vcc
	s_and_saveexec_b64 s[0:1], s[4:5]
	s_cbranch_execz .LBB370_442
; %bb.440:
	v_and_b32_e32 v14, 1, v31
	v_cmp_eq_u32_e32 vcc, 1, v14
	s_and_b64 exec, exec, vcc
	s_cbranch_execz .LBB370_442
; %bb.441:
	s_lshl_b64 s[4:5], s[22:23], 3
	s_add_u32 s4, s6, s4
	s_addc_u32 s5, s7, s5
	v_mov_b32_e32 v39, 0
	v_lshl_add_u64 v[14:15], v[38:39], 3, s[4:5]
	global_store_dwordx2 v[14:15], v[2:3], off
.LBB370_442:
	;; [unrolled: 18-line block ×3, first 2 shown]
	s_or_b64 exec, exec, s[0:1]
	v_cmp_gt_u32_e32 vcc, s2, v34
	s_or_b64 s[2:3], s[34:35], vcc
	s_and_saveexec_b64 s[0:1], s[2:3]
	s_cbranch_execz .LBB370_448
; %bb.446:
	v_mov_b32_e32 v14, 1
	v_and_b32_sdwa v14, v14, v31 dst_sel:DWORD dst_unused:UNUSED_PAD src0_sel:DWORD src1_sel:WORD_1
	v_cmp_eq_u32_e32 vcc, 1, v14
	s_and_b64 exec, exec, vcc
	s_cbranch_execz .LBB370_448
; %bb.447:
	s_lshl_b64 s[2:3], s[22:23], 3
	s_add_u32 s2, s6, s2
	s_addc_u32 s3, s7, s3
	v_mov_b32_e32 v35, 0
	v_lshl_add_u64 v[14:15], v[34:35], 3, s[2:3]
	global_store_dwordx2 v[14:15], v[26:27], off
.LBB370_448:
	s_or_b64 exec, exec, s[0:1]
	s_branch .LBB370_425
.LBB370_449:
	v_cmp_eq_u32_e32 vcc, 1, v48
	s_and_saveexec_b64 s[0:1], vcc
	s_cbranch_execz .LBB370_451
; %bb.450:
	v_subrev_u32_e32 v14, s16, v46
	v_lshlrev_b32_e32 v14, 3, v14
	ds_write_b64 v14, v[10:11]
.LBB370_451:
	s_or_b64 exec, exec, s[0:1]
	v_and_b32_e32 v10, 1, v33
	v_cmp_eq_u32_e32 vcc, 1, v10
	s_and_saveexec_b64 s[0:1], vcc
	s_cbranch_execz .LBB370_453
; %bb.452:
	v_subrev_u32_e32 v10, s16, v44
	v_lshlrev_b32_e32 v10, 3, v10
	ds_write_b64 v10, v[12:13]
.LBB370_453:
	s_or_b64 exec, exec, s[0:1]
	v_mov_b32_e32 v10, 1
	v_and_b32_sdwa v10, v10, v30 dst_sel:DWORD dst_unused:UNUSED_PAD src0_sel:DWORD src1_sel:WORD_1
	v_cmp_eq_u32_e32 vcc, 1, v10
	s_and_saveexec_b64 s[0:1], vcc
	s_cbranch_execz .LBB370_455
; %bb.454:
	v_subrev_u32_e32 v10, s16, v42
	v_lshlrev_b32_e32 v10, 3, v10
	ds_write_b64 v10, v[6:7]
.LBB370_455:
	s_or_b64 exec, exec, s[0:1]
	v_and_b32_e32 v6, 1, v32
	v_cmp_eq_u32_e32 vcc, 1, v6
	s_and_saveexec_b64 s[0:1], vcc
	s_cbranch_execz .LBB370_457
; %bb.456:
	v_subrev_u32_e32 v6, s16, v40
	v_lshlrev_b32_e32 v6, 3, v6
	ds_write_b64 v6, v[8:9]
.LBB370_457:
	s_or_b64 exec, exec, s[0:1]
	v_and_b32_e32 v6, 1, v31
	;; [unrolled: 10-line block ×3, first 2 shown]
	v_cmp_eq_u32_e32 vcc, 1, v1
	s_and_saveexec_b64 s[0:1], vcc
	s_cbranch_execz .LBB370_461
; %bb.460:
	v_subrev_u32_e32 v1, s16, v36
	v_lshlrev_b32_e32 v1, 3, v1
	ds_write_b64 v1, v[4:5]
.LBB370_461:
	s_or_b64 exec, exec, s[0:1]
	v_mov_b32_e32 v1, 1
	v_and_b32_sdwa v1, v1, v31 dst_sel:DWORD dst_unused:UNUSED_PAD src0_sel:DWORD src1_sel:WORD_1
	v_cmp_eq_u32_e32 vcc, 1, v1
	s_and_saveexec_b64 s[0:1], vcc
	s_cbranch_execz .LBB370_463
; %bb.462:
	v_subrev_u32_e32 v1, s16, v34
	v_lshlrev_b32_e32 v1, 3, v1
	ds_write_b64 v1, v[26:27]
.LBB370_463:
	s_or_b64 exec, exec, s[0:1]
	v_cmp_gt_u32_e32 vcc, s26, v0
	s_waitcnt lgkmcnt(0)
	s_barrier
	s_and_saveexec_b64 s[0:1], vcc
	s_cbranch_execz .LBB370_466
; %bb.464:
	s_mov_b32 s17, 0
	s_lshl_b64 s[2:3], s[22:23], 3
	s_lshl_b64 s[4:5], s[16:17], 3
	s_add_u32 s2, s2, s4
	s_addc_u32 s3, s3, s5
	s_add_u32 s2, s6, s2
	v_lshlrev_b32_e32 v2, 3, v0
	v_mov_b32_e32 v3, 0
	s_addc_u32 s3, s7, s3
	v_lshl_add_u64 v[4:5], s[2:3], 0, v[2:3]
	s_mov_b64 s[2:3], 0
	s_mov_b64 s[4:5], 0x1000
	v_mov_b32_e32 v1, v0
.LBB370_465:                            ; =>This Inner Loop Header: Depth=1
	ds_read_b64 v[6:7], v2
	v_add_u32_e32 v1, 0x200, v1
	v_cmp_le_u32_e32 vcc, s26, v1
	v_add_u32_e32 v2, 0x1000, v2
	s_or_b64 s[2:3], vcc, s[2:3]
	s_waitcnt lgkmcnt(0)
	global_store_dwordx2 v[4:5], v[6:7], off
	v_lshl_add_u64 v[4:5], v[4:5], 0, s[4:5]
	s_andn2_b64 exec, exec, s[2:3]
	s_cbranch_execnz .LBB370_465
.LBB370_466:
	s_or_b64 exec, exec, s[0:1]
	v_cmp_eq_u32_e32 vcc, 0, v0
	s_and_b64 s[0:1], vcc, s[24:25]
	s_and_saveexec_b64 s[2:3], s[0:1]
	s_cbranch_execz .LBB370_426
.LBB370_467:
	s_add_u32 s0, s22, s26
	s_addc_u32 s1, s23, 0
	s_add_u32 s0, s0, s16
	s_addc_u32 s1, s1, 0
	v_mov_b32_e32 v2, 0
	v_mov_b64_e32 v[0:1], s[0:1]
	global_store_dwordx2 v2, v[0:1], s[20:21]
	s_endpgm
	.section	.rodata,"a",@progbits
	.p2align	6, 0x0
	.amdhsa_kernel _ZN7rocprim17ROCPRIM_400000_NS6detail17trampoline_kernelINS0_14default_configENS1_25partition_config_selectorILNS1_17partition_subalgoE9EllbEEZZNS1_14partition_implILS5_9ELb0ES3_jPlS8_PNS0_10empty_typeENS0_5tupleIJS8_S9_EEENSB_IJS8_SA_EEENS0_18inequality_wrapperIZN2at6native12_GLOBAL__N_124unique_dim_cuda_templateIaEESt5tupleIJNSF_6TensorESK_SK_EERKSK_lbbbEUlllE0_EEPmJS9_EEE10hipError_tPvRmT3_T4_T5_T6_T7_T9_mT8_P12ihipStream_tbDpT10_ENKUlT_T0_E_clISt17integral_constantIbLb1EES19_IbLb0EEEEDaS15_S16_EUlS15_E_NS1_11comp_targetILNS1_3genE5ELNS1_11target_archE942ELNS1_3gpuE9ELNS1_3repE0EEENS1_30default_config_static_selectorELNS0_4arch9wavefront6targetE1EEEvT1_
		.amdhsa_group_segment_fixed_size 28684
		.amdhsa_private_segment_fixed_size 0
		.amdhsa_kernarg_size 120
		.amdhsa_user_sgpr_count 2
		.amdhsa_user_sgpr_dispatch_ptr 0
		.amdhsa_user_sgpr_queue_ptr 0
		.amdhsa_user_sgpr_kernarg_segment_ptr 1
		.amdhsa_user_sgpr_dispatch_id 0
		.amdhsa_user_sgpr_kernarg_preload_length 0
		.amdhsa_user_sgpr_kernarg_preload_offset 0
		.amdhsa_user_sgpr_private_segment_size 0
		.amdhsa_uses_dynamic_stack 0
		.amdhsa_enable_private_segment 0
		.amdhsa_system_sgpr_workgroup_id_x 1
		.amdhsa_system_sgpr_workgroup_id_y 0
		.amdhsa_system_sgpr_workgroup_id_z 0
		.amdhsa_system_sgpr_workgroup_info 0
		.amdhsa_system_vgpr_workitem_id 0
		.amdhsa_next_free_vgpr 66
		.amdhsa_next_free_sgpr 52
		.amdhsa_accum_offset 68
		.amdhsa_reserve_vcc 1
		.amdhsa_float_round_mode_32 0
		.amdhsa_float_round_mode_16_64 0
		.amdhsa_float_denorm_mode_32 3
		.amdhsa_float_denorm_mode_16_64 3
		.amdhsa_dx10_clamp 1
		.amdhsa_ieee_mode 1
		.amdhsa_fp16_overflow 0
		.amdhsa_tg_split 0
		.amdhsa_exception_fp_ieee_invalid_op 0
		.amdhsa_exception_fp_denorm_src 0
		.amdhsa_exception_fp_ieee_div_zero 0
		.amdhsa_exception_fp_ieee_overflow 0
		.amdhsa_exception_fp_ieee_underflow 0
		.amdhsa_exception_fp_ieee_inexact 0
		.amdhsa_exception_int_div_zero 0
	.end_amdhsa_kernel
	.section	.text._ZN7rocprim17ROCPRIM_400000_NS6detail17trampoline_kernelINS0_14default_configENS1_25partition_config_selectorILNS1_17partition_subalgoE9EllbEEZZNS1_14partition_implILS5_9ELb0ES3_jPlS8_PNS0_10empty_typeENS0_5tupleIJS8_S9_EEENSB_IJS8_SA_EEENS0_18inequality_wrapperIZN2at6native12_GLOBAL__N_124unique_dim_cuda_templateIaEESt5tupleIJNSF_6TensorESK_SK_EERKSK_lbbbEUlllE0_EEPmJS9_EEE10hipError_tPvRmT3_T4_T5_T6_T7_T9_mT8_P12ihipStream_tbDpT10_ENKUlT_T0_E_clISt17integral_constantIbLb1EES19_IbLb0EEEEDaS15_S16_EUlS15_E_NS1_11comp_targetILNS1_3genE5ELNS1_11target_archE942ELNS1_3gpuE9ELNS1_3repE0EEENS1_30default_config_static_selectorELNS0_4arch9wavefront6targetE1EEEvT1_,"axG",@progbits,_ZN7rocprim17ROCPRIM_400000_NS6detail17trampoline_kernelINS0_14default_configENS1_25partition_config_selectorILNS1_17partition_subalgoE9EllbEEZZNS1_14partition_implILS5_9ELb0ES3_jPlS8_PNS0_10empty_typeENS0_5tupleIJS8_S9_EEENSB_IJS8_SA_EEENS0_18inequality_wrapperIZN2at6native12_GLOBAL__N_124unique_dim_cuda_templateIaEESt5tupleIJNSF_6TensorESK_SK_EERKSK_lbbbEUlllE0_EEPmJS9_EEE10hipError_tPvRmT3_T4_T5_T6_T7_T9_mT8_P12ihipStream_tbDpT10_ENKUlT_T0_E_clISt17integral_constantIbLb1EES19_IbLb0EEEEDaS15_S16_EUlS15_E_NS1_11comp_targetILNS1_3genE5ELNS1_11target_archE942ELNS1_3gpuE9ELNS1_3repE0EEENS1_30default_config_static_selectorELNS0_4arch9wavefront6targetE1EEEvT1_,comdat
.Lfunc_end370:
	.size	_ZN7rocprim17ROCPRIM_400000_NS6detail17trampoline_kernelINS0_14default_configENS1_25partition_config_selectorILNS1_17partition_subalgoE9EllbEEZZNS1_14partition_implILS5_9ELb0ES3_jPlS8_PNS0_10empty_typeENS0_5tupleIJS8_S9_EEENSB_IJS8_SA_EEENS0_18inequality_wrapperIZN2at6native12_GLOBAL__N_124unique_dim_cuda_templateIaEESt5tupleIJNSF_6TensorESK_SK_EERKSK_lbbbEUlllE0_EEPmJS9_EEE10hipError_tPvRmT3_T4_T5_T6_T7_T9_mT8_P12ihipStream_tbDpT10_ENKUlT_T0_E_clISt17integral_constantIbLb1EES19_IbLb0EEEEDaS15_S16_EUlS15_E_NS1_11comp_targetILNS1_3genE5ELNS1_11target_archE942ELNS1_3gpuE9ELNS1_3repE0EEENS1_30default_config_static_selectorELNS0_4arch9wavefront6targetE1EEEvT1_, .Lfunc_end370-_ZN7rocprim17ROCPRIM_400000_NS6detail17trampoline_kernelINS0_14default_configENS1_25partition_config_selectorILNS1_17partition_subalgoE9EllbEEZZNS1_14partition_implILS5_9ELb0ES3_jPlS8_PNS0_10empty_typeENS0_5tupleIJS8_S9_EEENSB_IJS8_SA_EEENS0_18inequality_wrapperIZN2at6native12_GLOBAL__N_124unique_dim_cuda_templateIaEESt5tupleIJNSF_6TensorESK_SK_EERKSK_lbbbEUlllE0_EEPmJS9_EEE10hipError_tPvRmT3_T4_T5_T6_T7_T9_mT8_P12ihipStream_tbDpT10_ENKUlT_T0_E_clISt17integral_constantIbLb1EES19_IbLb0EEEEDaS15_S16_EUlS15_E_NS1_11comp_targetILNS1_3genE5ELNS1_11target_archE942ELNS1_3gpuE9ELNS1_3repE0EEENS1_30default_config_static_selectorELNS0_4arch9wavefront6targetE1EEEvT1_
                                        ; -- End function
	.section	.AMDGPU.csdata,"",@progbits
; Kernel info:
; codeLenInByte = 13708
; NumSgprs: 58
; NumVgprs: 66
; NumAgprs: 0
; TotalNumVgprs: 66
; ScratchSize: 0
; MemoryBound: 0
; FloatMode: 240
; IeeeMode: 1
; LDSByteSize: 28684 bytes/workgroup (compile time only)
; SGPRBlocks: 7
; VGPRBlocks: 8
; NumSGPRsForWavesPerEU: 58
; NumVGPRsForWavesPerEU: 66
; AccumOffset: 68
; Occupancy: 4
; WaveLimiterHint : 1
; COMPUTE_PGM_RSRC2:SCRATCH_EN: 0
; COMPUTE_PGM_RSRC2:USER_SGPR: 2
; COMPUTE_PGM_RSRC2:TRAP_HANDLER: 0
; COMPUTE_PGM_RSRC2:TGID_X_EN: 1
; COMPUTE_PGM_RSRC2:TGID_Y_EN: 0
; COMPUTE_PGM_RSRC2:TGID_Z_EN: 0
; COMPUTE_PGM_RSRC2:TIDIG_COMP_CNT: 0
; COMPUTE_PGM_RSRC3_GFX90A:ACCUM_OFFSET: 16
; COMPUTE_PGM_RSRC3_GFX90A:TG_SPLIT: 0
	.section	.text._ZN7rocprim17ROCPRIM_400000_NS6detail17trampoline_kernelINS0_14default_configENS1_25partition_config_selectorILNS1_17partition_subalgoE9EllbEEZZNS1_14partition_implILS5_9ELb0ES3_jPlS8_PNS0_10empty_typeENS0_5tupleIJS8_S9_EEENSB_IJS8_SA_EEENS0_18inequality_wrapperIZN2at6native12_GLOBAL__N_124unique_dim_cuda_templateIaEESt5tupleIJNSF_6TensorESK_SK_EERKSK_lbbbEUlllE0_EEPmJS9_EEE10hipError_tPvRmT3_T4_T5_T6_T7_T9_mT8_P12ihipStream_tbDpT10_ENKUlT_T0_E_clISt17integral_constantIbLb1EES19_IbLb0EEEEDaS15_S16_EUlS15_E_NS1_11comp_targetILNS1_3genE4ELNS1_11target_archE910ELNS1_3gpuE8ELNS1_3repE0EEENS1_30default_config_static_selectorELNS0_4arch9wavefront6targetE1EEEvT1_,"axG",@progbits,_ZN7rocprim17ROCPRIM_400000_NS6detail17trampoline_kernelINS0_14default_configENS1_25partition_config_selectorILNS1_17partition_subalgoE9EllbEEZZNS1_14partition_implILS5_9ELb0ES3_jPlS8_PNS0_10empty_typeENS0_5tupleIJS8_S9_EEENSB_IJS8_SA_EEENS0_18inequality_wrapperIZN2at6native12_GLOBAL__N_124unique_dim_cuda_templateIaEESt5tupleIJNSF_6TensorESK_SK_EERKSK_lbbbEUlllE0_EEPmJS9_EEE10hipError_tPvRmT3_T4_T5_T6_T7_T9_mT8_P12ihipStream_tbDpT10_ENKUlT_T0_E_clISt17integral_constantIbLb1EES19_IbLb0EEEEDaS15_S16_EUlS15_E_NS1_11comp_targetILNS1_3genE4ELNS1_11target_archE910ELNS1_3gpuE8ELNS1_3repE0EEENS1_30default_config_static_selectorELNS0_4arch9wavefront6targetE1EEEvT1_,comdat
	.globl	_ZN7rocprim17ROCPRIM_400000_NS6detail17trampoline_kernelINS0_14default_configENS1_25partition_config_selectorILNS1_17partition_subalgoE9EllbEEZZNS1_14partition_implILS5_9ELb0ES3_jPlS8_PNS0_10empty_typeENS0_5tupleIJS8_S9_EEENSB_IJS8_SA_EEENS0_18inequality_wrapperIZN2at6native12_GLOBAL__N_124unique_dim_cuda_templateIaEESt5tupleIJNSF_6TensorESK_SK_EERKSK_lbbbEUlllE0_EEPmJS9_EEE10hipError_tPvRmT3_T4_T5_T6_T7_T9_mT8_P12ihipStream_tbDpT10_ENKUlT_T0_E_clISt17integral_constantIbLb1EES19_IbLb0EEEEDaS15_S16_EUlS15_E_NS1_11comp_targetILNS1_3genE4ELNS1_11target_archE910ELNS1_3gpuE8ELNS1_3repE0EEENS1_30default_config_static_selectorELNS0_4arch9wavefront6targetE1EEEvT1_ ; -- Begin function _ZN7rocprim17ROCPRIM_400000_NS6detail17trampoline_kernelINS0_14default_configENS1_25partition_config_selectorILNS1_17partition_subalgoE9EllbEEZZNS1_14partition_implILS5_9ELb0ES3_jPlS8_PNS0_10empty_typeENS0_5tupleIJS8_S9_EEENSB_IJS8_SA_EEENS0_18inequality_wrapperIZN2at6native12_GLOBAL__N_124unique_dim_cuda_templateIaEESt5tupleIJNSF_6TensorESK_SK_EERKSK_lbbbEUlllE0_EEPmJS9_EEE10hipError_tPvRmT3_T4_T5_T6_T7_T9_mT8_P12ihipStream_tbDpT10_ENKUlT_T0_E_clISt17integral_constantIbLb1EES19_IbLb0EEEEDaS15_S16_EUlS15_E_NS1_11comp_targetILNS1_3genE4ELNS1_11target_archE910ELNS1_3gpuE8ELNS1_3repE0EEENS1_30default_config_static_selectorELNS0_4arch9wavefront6targetE1EEEvT1_
	.p2align	8
	.type	_ZN7rocprim17ROCPRIM_400000_NS6detail17trampoline_kernelINS0_14default_configENS1_25partition_config_selectorILNS1_17partition_subalgoE9EllbEEZZNS1_14partition_implILS5_9ELb0ES3_jPlS8_PNS0_10empty_typeENS0_5tupleIJS8_S9_EEENSB_IJS8_SA_EEENS0_18inequality_wrapperIZN2at6native12_GLOBAL__N_124unique_dim_cuda_templateIaEESt5tupleIJNSF_6TensorESK_SK_EERKSK_lbbbEUlllE0_EEPmJS9_EEE10hipError_tPvRmT3_T4_T5_T6_T7_T9_mT8_P12ihipStream_tbDpT10_ENKUlT_T0_E_clISt17integral_constantIbLb1EES19_IbLb0EEEEDaS15_S16_EUlS15_E_NS1_11comp_targetILNS1_3genE4ELNS1_11target_archE910ELNS1_3gpuE8ELNS1_3repE0EEENS1_30default_config_static_selectorELNS0_4arch9wavefront6targetE1EEEvT1_,@function
_ZN7rocprim17ROCPRIM_400000_NS6detail17trampoline_kernelINS0_14default_configENS1_25partition_config_selectorILNS1_17partition_subalgoE9EllbEEZZNS1_14partition_implILS5_9ELb0ES3_jPlS8_PNS0_10empty_typeENS0_5tupleIJS8_S9_EEENSB_IJS8_SA_EEENS0_18inequality_wrapperIZN2at6native12_GLOBAL__N_124unique_dim_cuda_templateIaEESt5tupleIJNSF_6TensorESK_SK_EERKSK_lbbbEUlllE0_EEPmJS9_EEE10hipError_tPvRmT3_T4_T5_T6_T7_T9_mT8_P12ihipStream_tbDpT10_ENKUlT_T0_E_clISt17integral_constantIbLb1EES19_IbLb0EEEEDaS15_S16_EUlS15_E_NS1_11comp_targetILNS1_3genE4ELNS1_11target_archE910ELNS1_3gpuE8ELNS1_3repE0EEENS1_30default_config_static_selectorELNS0_4arch9wavefront6targetE1EEEvT1_: ; @_ZN7rocprim17ROCPRIM_400000_NS6detail17trampoline_kernelINS0_14default_configENS1_25partition_config_selectorILNS1_17partition_subalgoE9EllbEEZZNS1_14partition_implILS5_9ELb0ES3_jPlS8_PNS0_10empty_typeENS0_5tupleIJS8_S9_EEENSB_IJS8_SA_EEENS0_18inequality_wrapperIZN2at6native12_GLOBAL__N_124unique_dim_cuda_templateIaEESt5tupleIJNSF_6TensorESK_SK_EERKSK_lbbbEUlllE0_EEPmJS9_EEE10hipError_tPvRmT3_T4_T5_T6_T7_T9_mT8_P12ihipStream_tbDpT10_ENKUlT_T0_E_clISt17integral_constantIbLb1EES19_IbLb0EEEEDaS15_S16_EUlS15_E_NS1_11comp_targetILNS1_3genE4ELNS1_11target_archE910ELNS1_3gpuE8ELNS1_3repE0EEENS1_30default_config_static_selectorELNS0_4arch9wavefront6targetE1EEEvT1_
; %bb.0:
	.section	.rodata,"a",@progbits
	.p2align	6, 0x0
	.amdhsa_kernel _ZN7rocprim17ROCPRIM_400000_NS6detail17trampoline_kernelINS0_14default_configENS1_25partition_config_selectorILNS1_17partition_subalgoE9EllbEEZZNS1_14partition_implILS5_9ELb0ES3_jPlS8_PNS0_10empty_typeENS0_5tupleIJS8_S9_EEENSB_IJS8_SA_EEENS0_18inequality_wrapperIZN2at6native12_GLOBAL__N_124unique_dim_cuda_templateIaEESt5tupleIJNSF_6TensorESK_SK_EERKSK_lbbbEUlllE0_EEPmJS9_EEE10hipError_tPvRmT3_T4_T5_T6_T7_T9_mT8_P12ihipStream_tbDpT10_ENKUlT_T0_E_clISt17integral_constantIbLb1EES19_IbLb0EEEEDaS15_S16_EUlS15_E_NS1_11comp_targetILNS1_3genE4ELNS1_11target_archE910ELNS1_3gpuE8ELNS1_3repE0EEENS1_30default_config_static_selectorELNS0_4arch9wavefront6targetE1EEEvT1_
		.amdhsa_group_segment_fixed_size 0
		.amdhsa_private_segment_fixed_size 0
		.amdhsa_kernarg_size 120
		.amdhsa_user_sgpr_count 2
		.amdhsa_user_sgpr_dispatch_ptr 0
		.amdhsa_user_sgpr_queue_ptr 0
		.amdhsa_user_sgpr_kernarg_segment_ptr 1
		.amdhsa_user_sgpr_dispatch_id 0
		.amdhsa_user_sgpr_kernarg_preload_length 0
		.amdhsa_user_sgpr_kernarg_preload_offset 0
		.amdhsa_user_sgpr_private_segment_size 0
		.amdhsa_uses_dynamic_stack 0
		.amdhsa_enable_private_segment 0
		.amdhsa_system_sgpr_workgroup_id_x 1
		.amdhsa_system_sgpr_workgroup_id_y 0
		.amdhsa_system_sgpr_workgroup_id_z 0
		.amdhsa_system_sgpr_workgroup_info 0
		.amdhsa_system_vgpr_workitem_id 0
		.amdhsa_next_free_vgpr 1
		.amdhsa_next_free_sgpr 0
		.amdhsa_accum_offset 4
		.amdhsa_reserve_vcc 0
		.amdhsa_float_round_mode_32 0
		.amdhsa_float_round_mode_16_64 0
		.amdhsa_float_denorm_mode_32 3
		.amdhsa_float_denorm_mode_16_64 3
		.amdhsa_dx10_clamp 1
		.amdhsa_ieee_mode 1
		.amdhsa_fp16_overflow 0
		.amdhsa_tg_split 0
		.amdhsa_exception_fp_ieee_invalid_op 0
		.amdhsa_exception_fp_denorm_src 0
		.amdhsa_exception_fp_ieee_div_zero 0
		.amdhsa_exception_fp_ieee_overflow 0
		.amdhsa_exception_fp_ieee_underflow 0
		.amdhsa_exception_fp_ieee_inexact 0
		.amdhsa_exception_int_div_zero 0
	.end_amdhsa_kernel
	.section	.text._ZN7rocprim17ROCPRIM_400000_NS6detail17trampoline_kernelINS0_14default_configENS1_25partition_config_selectorILNS1_17partition_subalgoE9EllbEEZZNS1_14partition_implILS5_9ELb0ES3_jPlS8_PNS0_10empty_typeENS0_5tupleIJS8_S9_EEENSB_IJS8_SA_EEENS0_18inequality_wrapperIZN2at6native12_GLOBAL__N_124unique_dim_cuda_templateIaEESt5tupleIJNSF_6TensorESK_SK_EERKSK_lbbbEUlllE0_EEPmJS9_EEE10hipError_tPvRmT3_T4_T5_T6_T7_T9_mT8_P12ihipStream_tbDpT10_ENKUlT_T0_E_clISt17integral_constantIbLb1EES19_IbLb0EEEEDaS15_S16_EUlS15_E_NS1_11comp_targetILNS1_3genE4ELNS1_11target_archE910ELNS1_3gpuE8ELNS1_3repE0EEENS1_30default_config_static_selectorELNS0_4arch9wavefront6targetE1EEEvT1_,"axG",@progbits,_ZN7rocprim17ROCPRIM_400000_NS6detail17trampoline_kernelINS0_14default_configENS1_25partition_config_selectorILNS1_17partition_subalgoE9EllbEEZZNS1_14partition_implILS5_9ELb0ES3_jPlS8_PNS0_10empty_typeENS0_5tupleIJS8_S9_EEENSB_IJS8_SA_EEENS0_18inequality_wrapperIZN2at6native12_GLOBAL__N_124unique_dim_cuda_templateIaEESt5tupleIJNSF_6TensorESK_SK_EERKSK_lbbbEUlllE0_EEPmJS9_EEE10hipError_tPvRmT3_T4_T5_T6_T7_T9_mT8_P12ihipStream_tbDpT10_ENKUlT_T0_E_clISt17integral_constantIbLb1EES19_IbLb0EEEEDaS15_S16_EUlS15_E_NS1_11comp_targetILNS1_3genE4ELNS1_11target_archE910ELNS1_3gpuE8ELNS1_3repE0EEENS1_30default_config_static_selectorELNS0_4arch9wavefront6targetE1EEEvT1_,comdat
.Lfunc_end371:
	.size	_ZN7rocprim17ROCPRIM_400000_NS6detail17trampoline_kernelINS0_14default_configENS1_25partition_config_selectorILNS1_17partition_subalgoE9EllbEEZZNS1_14partition_implILS5_9ELb0ES3_jPlS8_PNS0_10empty_typeENS0_5tupleIJS8_S9_EEENSB_IJS8_SA_EEENS0_18inequality_wrapperIZN2at6native12_GLOBAL__N_124unique_dim_cuda_templateIaEESt5tupleIJNSF_6TensorESK_SK_EERKSK_lbbbEUlllE0_EEPmJS9_EEE10hipError_tPvRmT3_T4_T5_T6_T7_T9_mT8_P12ihipStream_tbDpT10_ENKUlT_T0_E_clISt17integral_constantIbLb1EES19_IbLb0EEEEDaS15_S16_EUlS15_E_NS1_11comp_targetILNS1_3genE4ELNS1_11target_archE910ELNS1_3gpuE8ELNS1_3repE0EEENS1_30default_config_static_selectorELNS0_4arch9wavefront6targetE1EEEvT1_, .Lfunc_end371-_ZN7rocprim17ROCPRIM_400000_NS6detail17trampoline_kernelINS0_14default_configENS1_25partition_config_selectorILNS1_17partition_subalgoE9EllbEEZZNS1_14partition_implILS5_9ELb0ES3_jPlS8_PNS0_10empty_typeENS0_5tupleIJS8_S9_EEENSB_IJS8_SA_EEENS0_18inequality_wrapperIZN2at6native12_GLOBAL__N_124unique_dim_cuda_templateIaEESt5tupleIJNSF_6TensorESK_SK_EERKSK_lbbbEUlllE0_EEPmJS9_EEE10hipError_tPvRmT3_T4_T5_T6_T7_T9_mT8_P12ihipStream_tbDpT10_ENKUlT_T0_E_clISt17integral_constantIbLb1EES19_IbLb0EEEEDaS15_S16_EUlS15_E_NS1_11comp_targetILNS1_3genE4ELNS1_11target_archE910ELNS1_3gpuE8ELNS1_3repE0EEENS1_30default_config_static_selectorELNS0_4arch9wavefront6targetE1EEEvT1_
                                        ; -- End function
	.section	.AMDGPU.csdata,"",@progbits
; Kernel info:
; codeLenInByte = 0
; NumSgprs: 6
; NumVgprs: 0
; NumAgprs: 0
; TotalNumVgprs: 0
; ScratchSize: 0
; MemoryBound: 0
; FloatMode: 240
; IeeeMode: 1
; LDSByteSize: 0 bytes/workgroup (compile time only)
; SGPRBlocks: 0
; VGPRBlocks: 0
; NumSGPRsForWavesPerEU: 6
; NumVGPRsForWavesPerEU: 1
; AccumOffset: 4
; Occupancy: 8
; WaveLimiterHint : 0
; COMPUTE_PGM_RSRC2:SCRATCH_EN: 0
; COMPUTE_PGM_RSRC2:USER_SGPR: 2
; COMPUTE_PGM_RSRC2:TRAP_HANDLER: 0
; COMPUTE_PGM_RSRC2:TGID_X_EN: 1
; COMPUTE_PGM_RSRC2:TGID_Y_EN: 0
; COMPUTE_PGM_RSRC2:TGID_Z_EN: 0
; COMPUTE_PGM_RSRC2:TIDIG_COMP_CNT: 0
; COMPUTE_PGM_RSRC3_GFX90A:ACCUM_OFFSET: 0
; COMPUTE_PGM_RSRC3_GFX90A:TG_SPLIT: 0
	.section	.text._ZN7rocprim17ROCPRIM_400000_NS6detail17trampoline_kernelINS0_14default_configENS1_25partition_config_selectorILNS1_17partition_subalgoE9EllbEEZZNS1_14partition_implILS5_9ELb0ES3_jPlS8_PNS0_10empty_typeENS0_5tupleIJS8_S9_EEENSB_IJS8_SA_EEENS0_18inequality_wrapperIZN2at6native12_GLOBAL__N_124unique_dim_cuda_templateIaEESt5tupleIJNSF_6TensorESK_SK_EERKSK_lbbbEUlllE0_EEPmJS9_EEE10hipError_tPvRmT3_T4_T5_T6_T7_T9_mT8_P12ihipStream_tbDpT10_ENKUlT_T0_E_clISt17integral_constantIbLb1EES19_IbLb0EEEEDaS15_S16_EUlS15_E_NS1_11comp_targetILNS1_3genE3ELNS1_11target_archE908ELNS1_3gpuE7ELNS1_3repE0EEENS1_30default_config_static_selectorELNS0_4arch9wavefront6targetE1EEEvT1_,"axG",@progbits,_ZN7rocprim17ROCPRIM_400000_NS6detail17trampoline_kernelINS0_14default_configENS1_25partition_config_selectorILNS1_17partition_subalgoE9EllbEEZZNS1_14partition_implILS5_9ELb0ES3_jPlS8_PNS0_10empty_typeENS0_5tupleIJS8_S9_EEENSB_IJS8_SA_EEENS0_18inequality_wrapperIZN2at6native12_GLOBAL__N_124unique_dim_cuda_templateIaEESt5tupleIJNSF_6TensorESK_SK_EERKSK_lbbbEUlllE0_EEPmJS9_EEE10hipError_tPvRmT3_T4_T5_T6_T7_T9_mT8_P12ihipStream_tbDpT10_ENKUlT_T0_E_clISt17integral_constantIbLb1EES19_IbLb0EEEEDaS15_S16_EUlS15_E_NS1_11comp_targetILNS1_3genE3ELNS1_11target_archE908ELNS1_3gpuE7ELNS1_3repE0EEENS1_30default_config_static_selectorELNS0_4arch9wavefront6targetE1EEEvT1_,comdat
	.globl	_ZN7rocprim17ROCPRIM_400000_NS6detail17trampoline_kernelINS0_14default_configENS1_25partition_config_selectorILNS1_17partition_subalgoE9EllbEEZZNS1_14partition_implILS5_9ELb0ES3_jPlS8_PNS0_10empty_typeENS0_5tupleIJS8_S9_EEENSB_IJS8_SA_EEENS0_18inequality_wrapperIZN2at6native12_GLOBAL__N_124unique_dim_cuda_templateIaEESt5tupleIJNSF_6TensorESK_SK_EERKSK_lbbbEUlllE0_EEPmJS9_EEE10hipError_tPvRmT3_T4_T5_T6_T7_T9_mT8_P12ihipStream_tbDpT10_ENKUlT_T0_E_clISt17integral_constantIbLb1EES19_IbLb0EEEEDaS15_S16_EUlS15_E_NS1_11comp_targetILNS1_3genE3ELNS1_11target_archE908ELNS1_3gpuE7ELNS1_3repE0EEENS1_30default_config_static_selectorELNS0_4arch9wavefront6targetE1EEEvT1_ ; -- Begin function _ZN7rocprim17ROCPRIM_400000_NS6detail17trampoline_kernelINS0_14default_configENS1_25partition_config_selectorILNS1_17partition_subalgoE9EllbEEZZNS1_14partition_implILS5_9ELb0ES3_jPlS8_PNS0_10empty_typeENS0_5tupleIJS8_S9_EEENSB_IJS8_SA_EEENS0_18inequality_wrapperIZN2at6native12_GLOBAL__N_124unique_dim_cuda_templateIaEESt5tupleIJNSF_6TensorESK_SK_EERKSK_lbbbEUlllE0_EEPmJS9_EEE10hipError_tPvRmT3_T4_T5_T6_T7_T9_mT8_P12ihipStream_tbDpT10_ENKUlT_T0_E_clISt17integral_constantIbLb1EES19_IbLb0EEEEDaS15_S16_EUlS15_E_NS1_11comp_targetILNS1_3genE3ELNS1_11target_archE908ELNS1_3gpuE7ELNS1_3repE0EEENS1_30default_config_static_selectorELNS0_4arch9wavefront6targetE1EEEvT1_
	.p2align	8
	.type	_ZN7rocprim17ROCPRIM_400000_NS6detail17trampoline_kernelINS0_14default_configENS1_25partition_config_selectorILNS1_17partition_subalgoE9EllbEEZZNS1_14partition_implILS5_9ELb0ES3_jPlS8_PNS0_10empty_typeENS0_5tupleIJS8_S9_EEENSB_IJS8_SA_EEENS0_18inequality_wrapperIZN2at6native12_GLOBAL__N_124unique_dim_cuda_templateIaEESt5tupleIJNSF_6TensorESK_SK_EERKSK_lbbbEUlllE0_EEPmJS9_EEE10hipError_tPvRmT3_T4_T5_T6_T7_T9_mT8_P12ihipStream_tbDpT10_ENKUlT_T0_E_clISt17integral_constantIbLb1EES19_IbLb0EEEEDaS15_S16_EUlS15_E_NS1_11comp_targetILNS1_3genE3ELNS1_11target_archE908ELNS1_3gpuE7ELNS1_3repE0EEENS1_30default_config_static_selectorELNS0_4arch9wavefront6targetE1EEEvT1_,@function
_ZN7rocprim17ROCPRIM_400000_NS6detail17trampoline_kernelINS0_14default_configENS1_25partition_config_selectorILNS1_17partition_subalgoE9EllbEEZZNS1_14partition_implILS5_9ELb0ES3_jPlS8_PNS0_10empty_typeENS0_5tupleIJS8_S9_EEENSB_IJS8_SA_EEENS0_18inequality_wrapperIZN2at6native12_GLOBAL__N_124unique_dim_cuda_templateIaEESt5tupleIJNSF_6TensorESK_SK_EERKSK_lbbbEUlllE0_EEPmJS9_EEE10hipError_tPvRmT3_T4_T5_T6_T7_T9_mT8_P12ihipStream_tbDpT10_ENKUlT_T0_E_clISt17integral_constantIbLb1EES19_IbLb0EEEEDaS15_S16_EUlS15_E_NS1_11comp_targetILNS1_3genE3ELNS1_11target_archE908ELNS1_3gpuE7ELNS1_3repE0EEENS1_30default_config_static_selectorELNS0_4arch9wavefront6targetE1EEEvT1_: ; @_ZN7rocprim17ROCPRIM_400000_NS6detail17trampoline_kernelINS0_14default_configENS1_25partition_config_selectorILNS1_17partition_subalgoE9EllbEEZZNS1_14partition_implILS5_9ELb0ES3_jPlS8_PNS0_10empty_typeENS0_5tupleIJS8_S9_EEENSB_IJS8_SA_EEENS0_18inequality_wrapperIZN2at6native12_GLOBAL__N_124unique_dim_cuda_templateIaEESt5tupleIJNSF_6TensorESK_SK_EERKSK_lbbbEUlllE0_EEPmJS9_EEE10hipError_tPvRmT3_T4_T5_T6_T7_T9_mT8_P12ihipStream_tbDpT10_ENKUlT_T0_E_clISt17integral_constantIbLb1EES19_IbLb0EEEEDaS15_S16_EUlS15_E_NS1_11comp_targetILNS1_3genE3ELNS1_11target_archE908ELNS1_3gpuE7ELNS1_3repE0EEENS1_30default_config_static_selectorELNS0_4arch9wavefront6targetE1EEEvT1_
; %bb.0:
	.section	.rodata,"a",@progbits
	.p2align	6, 0x0
	.amdhsa_kernel _ZN7rocprim17ROCPRIM_400000_NS6detail17trampoline_kernelINS0_14default_configENS1_25partition_config_selectorILNS1_17partition_subalgoE9EllbEEZZNS1_14partition_implILS5_9ELb0ES3_jPlS8_PNS0_10empty_typeENS0_5tupleIJS8_S9_EEENSB_IJS8_SA_EEENS0_18inequality_wrapperIZN2at6native12_GLOBAL__N_124unique_dim_cuda_templateIaEESt5tupleIJNSF_6TensorESK_SK_EERKSK_lbbbEUlllE0_EEPmJS9_EEE10hipError_tPvRmT3_T4_T5_T6_T7_T9_mT8_P12ihipStream_tbDpT10_ENKUlT_T0_E_clISt17integral_constantIbLb1EES19_IbLb0EEEEDaS15_S16_EUlS15_E_NS1_11comp_targetILNS1_3genE3ELNS1_11target_archE908ELNS1_3gpuE7ELNS1_3repE0EEENS1_30default_config_static_selectorELNS0_4arch9wavefront6targetE1EEEvT1_
		.amdhsa_group_segment_fixed_size 0
		.amdhsa_private_segment_fixed_size 0
		.amdhsa_kernarg_size 120
		.amdhsa_user_sgpr_count 2
		.amdhsa_user_sgpr_dispatch_ptr 0
		.amdhsa_user_sgpr_queue_ptr 0
		.amdhsa_user_sgpr_kernarg_segment_ptr 1
		.amdhsa_user_sgpr_dispatch_id 0
		.amdhsa_user_sgpr_kernarg_preload_length 0
		.amdhsa_user_sgpr_kernarg_preload_offset 0
		.amdhsa_user_sgpr_private_segment_size 0
		.amdhsa_uses_dynamic_stack 0
		.amdhsa_enable_private_segment 0
		.amdhsa_system_sgpr_workgroup_id_x 1
		.amdhsa_system_sgpr_workgroup_id_y 0
		.amdhsa_system_sgpr_workgroup_id_z 0
		.amdhsa_system_sgpr_workgroup_info 0
		.amdhsa_system_vgpr_workitem_id 0
		.amdhsa_next_free_vgpr 1
		.amdhsa_next_free_sgpr 0
		.amdhsa_accum_offset 4
		.amdhsa_reserve_vcc 0
		.amdhsa_float_round_mode_32 0
		.amdhsa_float_round_mode_16_64 0
		.amdhsa_float_denorm_mode_32 3
		.amdhsa_float_denorm_mode_16_64 3
		.amdhsa_dx10_clamp 1
		.amdhsa_ieee_mode 1
		.amdhsa_fp16_overflow 0
		.amdhsa_tg_split 0
		.amdhsa_exception_fp_ieee_invalid_op 0
		.amdhsa_exception_fp_denorm_src 0
		.amdhsa_exception_fp_ieee_div_zero 0
		.amdhsa_exception_fp_ieee_overflow 0
		.amdhsa_exception_fp_ieee_underflow 0
		.amdhsa_exception_fp_ieee_inexact 0
		.amdhsa_exception_int_div_zero 0
	.end_amdhsa_kernel
	.section	.text._ZN7rocprim17ROCPRIM_400000_NS6detail17trampoline_kernelINS0_14default_configENS1_25partition_config_selectorILNS1_17partition_subalgoE9EllbEEZZNS1_14partition_implILS5_9ELb0ES3_jPlS8_PNS0_10empty_typeENS0_5tupleIJS8_S9_EEENSB_IJS8_SA_EEENS0_18inequality_wrapperIZN2at6native12_GLOBAL__N_124unique_dim_cuda_templateIaEESt5tupleIJNSF_6TensorESK_SK_EERKSK_lbbbEUlllE0_EEPmJS9_EEE10hipError_tPvRmT3_T4_T5_T6_T7_T9_mT8_P12ihipStream_tbDpT10_ENKUlT_T0_E_clISt17integral_constantIbLb1EES19_IbLb0EEEEDaS15_S16_EUlS15_E_NS1_11comp_targetILNS1_3genE3ELNS1_11target_archE908ELNS1_3gpuE7ELNS1_3repE0EEENS1_30default_config_static_selectorELNS0_4arch9wavefront6targetE1EEEvT1_,"axG",@progbits,_ZN7rocprim17ROCPRIM_400000_NS6detail17trampoline_kernelINS0_14default_configENS1_25partition_config_selectorILNS1_17partition_subalgoE9EllbEEZZNS1_14partition_implILS5_9ELb0ES3_jPlS8_PNS0_10empty_typeENS0_5tupleIJS8_S9_EEENSB_IJS8_SA_EEENS0_18inequality_wrapperIZN2at6native12_GLOBAL__N_124unique_dim_cuda_templateIaEESt5tupleIJNSF_6TensorESK_SK_EERKSK_lbbbEUlllE0_EEPmJS9_EEE10hipError_tPvRmT3_T4_T5_T6_T7_T9_mT8_P12ihipStream_tbDpT10_ENKUlT_T0_E_clISt17integral_constantIbLb1EES19_IbLb0EEEEDaS15_S16_EUlS15_E_NS1_11comp_targetILNS1_3genE3ELNS1_11target_archE908ELNS1_3gpuE7ELNS1_3repE0EEENS1_30default_config_static_selectorELNS0_4arch9wavefront6targetE1EEEvT1_,comdat
.Lfunc_end372:
	.size	_ZN7rocprim17ROCPRIM_400000_NS6detail17trampoline_kernelINS0_14default_configENS1_25partition_config_selectorILNS1_17partition_subalgoE9EllbEEZZNS1_14partition_implILS5_9ELb0ES3_jPlS8_PNS0_10empty_typeENS0_5tupleIJS8_S9_EEENSB_IJS8_SA_EEENS0_18inequality_wrapperIZN2at6native12_GLOBAL__N_124unique_dim_cuda_templateIaEESt5tupleIJNSF_6TensorESK_SK_EERKSK_lbbbEUlllE0_EEPmJS9_EEE10hipError_tPvRmT3_T4_T5_T6_T7_T9_mT8_P12ihipStream_tbDpT10_ENKUlT_T0_E_clISt17integral_constantIbLb1EES19_IbLb0EEEEDaS15_S16_EUlS15_E_NS1_11comp_targetILNS1_3genE3ELNS1_11target_archE908ELNS1_3gpuE7ELNS1_3repE0EEENS1_30default_config_static_selectorELNS0_4arch9wavefront6targetE1EEEvT1_, .Lfunc_end372-_ZN7rocprim17ROCPRIM_400000_NS6detail17trampoline_kernelINS0_14default_configENS1_25partition_config_selectorILNS1_17partition_subalgoE9EllbEEZZNS1_14partition_implILS5_9ELb0ES3_jPlS8_PNS0_10empty_typeENS0_5tupleIJS8_S9_EEENSB_IJS8_SA_EEENS0_18inequality_wrapperIZN2at6native12_GLOBAL__N_124unique_dim_cuda_templateIaEESt5tupleIJNSF_6TensorESK_SK_EERKSK_lbbbEUlllE0_EEPmJS9_EEE10hipError_tPvRmT3_T4_T5_T6_T7_T9_mT8_P12ihipStream_tbDpT10_ENKUlT_T0_E_clISt17integral_constantIbLb1EES19_IbLb0EEEEDaS15_S16_EUlS15_E_NS1_11comp_targetILNS1_3genE3ELNS1_11target_archE908ELNS1_3gpuE7ELNS1_3repE0EEENS1_30default_config_static_selectorELNS0_4arch9wavefront6targetE1EEEvT1_
                                        ; -- End function
	.section	.AMDGPU.csdata,"",@progbits
; Kernel info:
; codeLenInByte = 0
; NumSgprs: 6
; NumVgprs: 0
; NumAgprs: 0
; TotalNumVgprs: 0
; ScratchSize: 0
; MemoryBound: 0
; FloatMode: 240
; IeeeMode: 1
; LDSByteSize: 0 bytes/workgroup (compile time only)
; SGPRBlocks: 0
; VGPRBlocks: 0
; NumSGPRsForWavesPerEU: 6
; NumVGPRsForWavesPerEU: 1
; AccumOffset: 4
; Occupancy: 8
; WaveLimiterHint : 0
; COMPUTE_PGM_RSRC2:SCRATCH_EN: 0
; COMPUTE_PGM_RSRC2:USER_SGPR: 2
; COMPUTE_PGM_RSRC2:TRAP_HANDLER: 0
; COMPUTE_PGM_RSRC2:TGID_X_EN: 1
; COMPUTE_PGM_RSRC2:TGID_Y_EN: 0
; COMPUTE_PGM_RSRC2:TGID_Z_EN: 0
; COMPUTE_PGM_RSRC2:TIDIG_COMP_CNT: 0
; COMPUTE_PGM_RSRC3_GFX90A:ACCUM_OFFSET: 0
; COMPUTE_PGM_RSRC3_GFX90A:TG_SPLIT: 0
	.section	.text._ZN7rocprim17ROCPRIM_400000_NS6detail17trampoline_kernelINS0_14default_configENS1_25partition_config_selectorILNS1_17partition_subalgoE9EllbEEZZNS1_14partition_implILS5_9ELb0ES3_jPlS8_PNS0_10empty_typeENS0_5tupleIJS8_S9_EEENSB_IJS8_SA_EEENS0_18inequality_wrapperIZN2at6native12_GLOBAL__N_124unique_dim_cuda_templateIaEESt5tupleIJNSF_6TensorESK_SK_EERKSK_lbbbEUlllE0_EEPmJS9_EEE10hipError_tPvRmT3_T4_T5_T6_T7_T9_mT8_P12ihipStream_tbDpT10_ENKUlT_T0_E_clISt17integral_constantIbLb1EES19_IbLb0EEEEDaS15_S16_EUlS15_E_NS1_11comp_targetILNS1_3genE2ELNS1_11target_archE906ELNS1_3gpuE6ELNS1_3repE0EEENS1_30default_config_static_selectorELNS0_4arch9wavefront6targetE1EEEvT1_,"axG",@progbits,_ZN7rocprim17ROCPRIM_400000_NS6detail17trampoline_kernelINS0_14default_configENS1_25partition_config_selectorILNS1_17partition_subalgoE9EllbEEZZNS1_14partition_implILS5_9ELb0ES3_jPlS8_PNS0_10empty_typeENS0_5tupleIJS8_S9_EEENSB_IJS8_SA_EEENS0_18inequality_wrapperIZN2at6native12_GLOBAL__N_124unique_dim_cuda_templateIaEESt5tupleIJNSF_6TensorESK_SK_EERKSK_lbbbEUlllE0_EEPmJS9_EEE10hipError_tPvRmT3_T4_T5_T6_T7_T9_mT8_P12ihipStream_tbDpT10_ENKUlT_T0_E_clISt17integral_constantIbLb1EES19_IbLb0EEEEDaS15_S16_EUlS15_E_NS1_11comp_targetILNS1_3genE2ELNS1_11target_archE906ELNS1_3gpuE6ELNS1_3repE0EEENS1_30default_config_static_selectorELNS0_4arch9wavefront6targetE1EEEvT1_,comdat
	.globl	_ZN7rocprim17ROCPRIM_400000_NS6detail17trampoline_kernelINS0_14default_configENS1_25partition_config_selectorILNS1_17partition_subalgoE9EllbEEZZNS1_14partition_implILS5_9ELb0ES3_jPlS8_PNS0_10empty_typeENS0_5tupleIJS8_S9_EEENSB_IJS8_SA_EEENS0_18inequality_wrapperIZN2at6native12_GLOBAL__N_124unique_dim_cuda_templateIaEESt5tupleIJNSF_6TensorESK_SK_EERKSK_lbbbEUlllE0_EEPmJS9_EEE10hipError_tPvRmT3_T4_T5_T6_T7_T9_mT8_P12ihipStream_tbDpT10_ENKUlT_T0_E_clISt17integral_constantIbLb1EES19_IbLb0EEEEDaS15_S16_EUlS15_E_NS1_11comp_targetILNS1_3genE2ELNS1_11target_archE906ELNS1_3gpuE6ELNS1_3repE0EEENS1_30default_config_static_selectorELNS0_4arch9wavefront6targetE1EEEvT1_ ; -- Begin function _ZN7rocprim17ROCPRIM_400000_NS6detail17trampoline_kernelINS0_14default_configENS1_25partition_config_selectorILNS1_17partition_subalgoE9EllbEEZZNS1_14partition_implILS5_9ELb0ES3_jPlS8_PNS0_10empty_typeENS0_5tupleIJS8_S9_EEENSB_IJS8_SA_EEENS0_18inequality_wrapperIZN2at6native12_GLOBAL__N_124unique_dim_cuda_templateIaEESt5tupleIJNSF_6TensorESK_SK_EERKSK_lbbbEUlllE0_EEPmJS9_EEE10hipError_tPvRmT3_T4_T5_T6_T7_T9_mT8_P12ihipStream_tbDpT10_ENKUlT_T0_E_clISt17integral_constantIbLb1EES19_IbLb0EEEEDaS15_S16_EUlS15_E_NS1_11comp_targetILNS1_3genE2ELNS1_11target_archE906ELNS1_3gpuE6ELNS1_3repE0EEENS1_30default_config_static_selectorELNS0_4arch9wavefront6targetE1EEEvT1_
	.p2align	8
	.type	_ZN7rocprim17ROCPRIM_400000_NS6detail17trampoline_kernelINS0_14default_configENS1_25partition_config_selectorILNS1_17partition_subalgoE9EllbEEZZNS1_14partition_implILS5_9ELb0ES3_jPlS8_PNS0_10empty_typeENS0_5tupleIJS8_S9_EEENSB_IJS8_SA_EEENS0_18inequality_wrapperIZN2at6native12_GLOBAL__N_124unique_dim_cuda_templateIaEESt5tupleIJNSF_6TensorESK_SK_EERKSK_lbbbEUlllE0_EEPmJS9_EEE10hipError_tPvRmT3_T4_T5_T6_T7_T9_mT8_P12ihipStream_tbDpT10_ENKUlT_T0_E_clISt17integral_constantIbLb1EES19_IbLb0EEEEDaS15_S16_EUlS15_E_NS1_11comp_targetILNS1_3genE2ELNS1_11target_archE906ELNS1_3gpuE6ELNS1_3repE0EEENS1_30default_config_static_selectorELNS0_4arch9wavefront6targetE1EEEvT1_,@function
_ZN7rocprim17ROCPRIM_400000_NS6detail17trampoline_kernelINS0_14default_configENS1_25partition_config_selectorILNS1_17partition_subalgoE9EllbEEZZNS1_14partition_implILS5_9ELb0ES3_jPlS8_PNS0_10empty_typeENS0_5tupleIJS8_S9_EEENSB_IJS8_SA_EEENS0_18inequality_wrapperIZN2at6native12_GLOBAL__N_124unique_dim_cuda_templateIaEESt5tupleIJNSF_6TensorESK_SK_EERKSK_lbbbEUlllE0_EEPmJS9_EEE10hipError_tPvRmT3_T4_T5_T6_T7_T9_mT8_P12ihipStream_tbDpT10_ENKUlT_T0_E_clISt17integral_constantIbLb1EES19_IbLb0EEEEDaS15_S16_EUlS15_E_NS1_11comp_targetILNS1_3genE2ELNS1_11target_archE906ELNS1_3gpuE6ELNS1_3repE0EEENS1_30default_config_static_selectorELNS0_4arch9wavefront6targetE1EEEvT1_: ; @_ZN7rocprim17ROCPRIM_400000_NS6detail17trampoline_kernelINS0_14default_configENS1_25partition_config_selectorILNS1_17partition_subalgoE9EllbEEZZNS1_14partition_implILS5_9ELb0ES3_jPlS8_PNS0_10empty_typeENS0_5tupleIJS8_S9_EEENSB_IJS8_SA_EEENS0_18inequality_wrapperIZN2at6native12_GLOBAL__N_124unique_dim_cuda_templateIaEESt5tupleIJNSF_6TensorESK_SK_EERKSK_lbbbEUlllE0_EEPmJS9_EEE10hipError_tPvRmT3_T4_T5_T6_T7_T9_mT8_P12ihipStream_tbDpT10_ENKUlT_T0_E_clISt17integral_constantIbLb1EES19_IbLb0EEEEDaS15_S16_EUlS15_E_NS1_11comp_targetILNS1_3genE2ELNS1_11target_archE906ELNS1_3gpuE6ELNS1_3repE0EEENS1_30default_config_static_selectorELNS0_4arch9wavefront6targetE1EEEvT1_
; %bb.0:
	.section	.rodata,"a",@progbits
	.p2align	6, 0x0
	.amdhsa_kernel _ZN7rocprim17ROCPRIM_400000_NS6detail17trampoline_kernelINS0_14default_configENS1_25partition_config_selectorILNS1_17partition_subalgoE9EllbEEZZNS1_14partition_implILS5_9ELb0ES3_jPlS8_PNS0_10empty_typeENS0_5tupleIJS8_S9_EEENSB_IJS8_SA_EEENS0_18inequality_wrapperIZN2at6native12_GLOBAL__N_124unique_dim_cuda_templateIaEESt5tupleIJNSF_6TensorESK_SK_EERKSK_lbbbEUlllE0_EEPmJS9_EEE10hipError_tPvRmT3_T4_T5_T6_T7_T9_mT8_P12ihipStream_tbDpT10_ENKUlT_T0_E_clISt17integral_constantIbLb1EES19_IbLb0EEEEDaS15_S16_EUlS15_E_NS1_11comp_targetILNS1_3genE2ELNS1_11target_archE906ELNS1_3gpuE6ELNS1_3repE0EEENS1_30default_config_static_selectorELNS0_4arch9wavefront6targetE1EEEvT1_
		.amdhsa_group_segment_fixed_size 0
		.amdhsa_private_segment_fixed_size 0
		.amdhsa_kernarg_size 120
		.amdhsa_user_sgpr_count 2
		.amdhsa_user_sgpr_dispatch_ptr 0
		.amdhsa_user_sgpr_queue_ptr 0
		.amdhsa_user_sgpr_kernarg_segment_ptr 1
		.amdhsa_user_sgpr_dispatch_id 0
		.amdhsa_user_sgpr_kernarg_preload_length 0
		.amdhsa_user_sgpr_kernarg_preload_offset 0
		.amdhsa_user_sgpr_private_segment_size 0
		.amdhsa_uses_dynamic_stack 0
		.amdhsa_enable_private_segment 0
		.amdhsa_system_sgpr_workgroup_id_x 1
		.amdhsa_system_sgpr_workgroup_id_y 0
		.amdhsa_system_sgpr_workgroup_id_z 0
		.amdhsa_system_sgpr_workgroup_info 0
		.amdhsa_system_vgpr_workitem_id 0
		.amdhsa_next_free_vgpr 1
		.amdhsa_next_free_sgpr 0
		.amdhsa_accum_offset 4
		.amdhsa_reserve_vcc 0
		.amdhsa_float_round_mode_32 0
		.amdhsa_float_round_mode_16_64 0
		.amdhsa_float_denorm_mode_32 3
		.amdhsa_float_denorm_mode_16_64 3
		.amdhsa_dx10_clamp 1
		.amdhsa_ieee_mode 1
		.amdhsa_fp16_overflow 0
		.amdhsa_tg_split 0
		.amdhsa_exception_fp_ieee_invalid_op 0
		.amdhsa_exception_fp_denorm_src 0
		.amdhsa_exception_fp_ieee_div_zero 0
		.amdhsa_exception_fp_ieee_overflow 0
		.amdhsa_exception_fp_ieee_underflow 0
		.amdhsa_exception_fp_ieee_inexact 0
		.amdhsa_exception_int_div_zero 0
	.end_amdhsa_kernel
	.section	.text._ZN7rocprim17ROCPRIM_400000_NS6detail17trampoline_kernelINS0_14default_configENS1_25partition_config_selectorILNS1_17partition_subalgoE9EllbEEZZNS1_14partition_implILS5_9ELb0ES3_jPlS8_PNS0_10empty_typeENS0_5tupleIJS8_S9_EEENSB_IJS8_SA_EEENS0_18inequality_wrapperIZN2at6native12_GLOBAL__N_124unique_dim_cuda_templateIaEESt5tupleIJNSF_6TensorESK_SK_EERKSK_lbbbEUlllE0_EEPmJS9_EEE10hipError_tPvRmT3_T4_T5_T6_T7_T9_mT8_P12ihipStream_tbDpT10_ENKUlT_T0_E_clISt17integral_constantIbLb1EES19_IbLb0EEEEDaS15_S16_EUlS15_E_NS1_11comp_targetILNS1_3genE2ELNS1_11target_archE906ELNS1_3gpuE6ELNS1_3repE0EEENS1_30default_config_static_selectorELNS0_4arch9wavefront6targetE1EEEvT1_,"axG",@progbits,_ZN7rocprim17ROCPRIM_400000_NS6detail17trampoline_kernelINS0_14default_configENS1_25partition_config_selectorILNS1_17partition_subalgoE9EllbEEZZNS1_14partition_implILS5_9ELb0ES3_jPlS8_PNS0_10empty_typeENS0_5tupleIJS8_S9_EEENSB_IJS8_SA_EEENS0_18inequality_wrapperIZN2at6native12_GLOBAL__N_124unique_dim_cuda_templateIaEESt5tupleIJNSF_6TensorESK_SK_EERKSK_lbbbEUlllE0_EEPmJS9_EEE10hipError_tPvRmT3_T4_T5_T6_T7_T9_mT8_P12ihipStream_tbDpT10_ENKUlT_T0_E_clISt17integral_constantIbLb1EES19_IbLb0EEEEDaS15_S16_EUlS15_E_NS1_11comp_targetILNS1_3genE2ELNS1_11target_archE906ELNS1_3gpuE6ELNS1_3repE0EEENS1_30default_config_static_selectorELNS0_4arch9wavefront6targetE1EEEvT1_,comdat
.Lfunc_end373:
	.size	_ZN7rocprim17ROCPRIM_400000_NS6detail17trampoline_kernelINS0_14default_configENS1_25partition_config_selectorILNS1_17partition_subalgoE9EllbEEZZNS1_14partition_implILS5_9ELb0ES3_jPlS8_PNS0_10empty_typeENS0_5tupleIJS8_S9_EEENSB_IJS8_SA_EEENS0_18inequality_wrapperIZN2at6native12_GLOBAL__N_124unique_dim_cuda_templateIaEESt5tupleIJNSF_6TensorESK_SK_EERKSK_lbbbEUlllE0_EEPmJS9_EEE10hipError_tPvRmT3_T4_T5_T6_T7_T9_mT8_P12ihipStream_tbDpT10_ENKUlT_T0_E_clISt17integral_constantIbLb1EES19_IbLb0EEEEDaS15_S16_EUlS15_E_NS1_11comp_targetILNS1_3genE2ELNS1_11target_archE906ELNS1_3gpuE6ELNS1_3repE0EEENS1_30default_config_static_selectorELNS0_4arch9wavefront6targetE1EEEvT1_, .Lfunc_end373-_ZN7rocprim17ROCPRIM_400000_NS6detail17trampoline_kernelINS0_14default_configENS1_25partition_config_selectorILNS1_17partition_subalgoE9EllbEEZZNS1_14partition_implILS5_9ELb0ES3_jPlS8_PNS0_10empty_typeENS0_5tupleIJS8_S9_EEENSB_IJS8_SA_EEENS0_18inequality_wrapperIZN2at6native12_GLOBAL__N_124unique_dim_cuda_templateIaEESt5tupleIJNSF_6TensorESK_SK_EERKSK_lbbbEUlllE0_EEPmJS9_EEE10hipError_tPvRmT3_T4_T5_T6_T7_T9_mT8_P12ihipStream_tbDpT10_ENKUlT_T0_E_clISt17integral_constantIbLb1EES19_IbLb0EEEEDaS15_S16_EUlS15_E_NS1_11comp_targetILNS1_3genE2ELNS1_11target_archE906ELNS1_3gpuE6ELNS1_3repE0EEENS1_30default_config_static_selectorELNS0_4arch9wavefront6targetE1EEEvT1_
                                        ; -- End function
	.section	.AMDGPU.csdata,"",@progbits
; Kernel info:
; codeLenInByte = 0
; NumSgprs: 6
; NumVgprs: 0
; NumAgprs: 0
; TotalNumVgprs: 0
; ScratchSize: 0
; MemoryBound: 0
; FloatMode: 240
; IeeeMode: 1
; LDSByteSize: 0 bytes/workgroup (compile time only)
; SGPRBlocks: 0
; VGPRBlocks: 0
; NumSGPRsForWavesPerEU: 6
; NumVGPRsForWavesPerEU: 1
; AccumOffset: 4
; Occupancy: 8
; WaveLimiterHint : 0
; COMPUTE_PGM_RSRC2:SCRATCH_EN: 0
; COMPUTE_PGM_RSRC2:USER_SGPR: 2
; COMPUTE_PGM_RSRC2:TRAP_HANDLER: 0
; COMPUTE_PGM_RSRC2:TGID_X_EN: 1
; COMPUTE_PGM_RSRC2:TGID_Y_EN: 0
; COMPUTE_PGM_RSRC2:TGID_Z_EN: 0
; COMPUTE_PGM_RSRC2:TIDIG_COMP_CNT: 0
; COMPUTE_PGM_RSRC3_GFX90A:ACCUM_OFFSET: 0
; COMPUTE_PGM_RSRC3_GFX90A:TG_SPLIT: 0
	.section	.text._ZN7rocprim17ROCPRIM_400000_NS6detail17trampoline_kernelINS0_14default_configENS1_25partition_config_selectorILNS1_17partition_subalgoE9EllbEEZZNS1_14partition_implILS5_9ELb0ES3_jPlS8_PNS0_10empty_typeENS0_5tupleIJS8_S9_EEENSB_IJS8_SA_EEENS0_18inequality_wrapperIZN2at6native12_GLOBAL__N_124unique_dim_cuda_templateIaEESt5tupleIJNSF_6TensorESK_SK_EERKSK_lbbbEUlllE0_EEPmJS9_EEE10hipError_tPvRmT3_T4_T5_T6_T7_T9_mT8_P12ihipStream_tbDpT10_ENKUlT_T0_E_clISt17integral_constantIbLb1EES19_IbLb0EEEEDaS15_S16_EUlS15_E_NS1_11comp_targetILNS1_3genE10ELNS1_11target_archE1200ELNS1_3gpuE4ELNS1_3repE0EEENS1_30default_config_static_selectorELNS0_4arch9wavefront6targetE1EEEvT1_,"axG",@progbits,_ZN7rocprim17ROCPRIM_400000_NS6detail17trampoline_kernelINS0_14default_configENS1_25partition_config_selectorILNS1_17partition_subalgoE9EllbEEZZNS1_14partition_implILS5_9ELb0ES3_jPlS8_PNS0_10empty_typeENS0_5tupleIJS8_S9_EEENSB_IJS8_SA_EEENS0_18inequality_wrapperIZN2at6native12_GLOBAL__N_124unique_dim_cuda_templateIaEESt5tupleIJNSF_6TensorESK_SK_EERKSK_lbbbEUlllE0_EEPmJS9_EEE10hipError_tPvRmT3_T4_T5_T6_T7_T9_mT8_P12ihipStream_tbDpT10_ENKUlT_T0_E_clISt17integral_constantIbLb1EES19_IbLb0EEEEDaS15_S16_EUlS15_E_NS1_11comp_targetILNS1_3genE10ELNS1_11target_archE1200ELNS1_3gpuE4ELNS1_3repE0EEENS1_30default_config_static_selectorELNS0_4arch9wavefront6targetE1EEEvT1_,comdat
	.globl	_ZN7rocprim17ROCPRIM_400000_NS6detail17trampoline_kernelINS0_14default_configENS1_25partition_config_selectorILNS1_17partition_subalgoE9EllbEEZZNS1_14partition_implILS5_9ELb0ES3_jPlS8_PNS0_10empty_typeENS0_5tupleIJS8_S9_EEENSB_IJS8_SA_EEENS0_18inequality_wrapperIZN2at6native12_GLOBAL__N_124unique_dim_cuda_templateIaEESt5tupleIJNSF_6TensorESK_SK_EERKSK_lbbbEUlllE0_EEPmJS9_EEE10hipError_tPvRmT3_T4_T5_T6_T7_T9_mT8_P12ihipStream_tbDpT10_ENKUlT_T0_E_clISt17integral_constantIbLb1EES19_IbLb0EEEEDaS15_S16_EUlS15_E_NS1_11comp_targetILNS1_3genE10ELNS1_11target_archE1200ELNS1_3gpuE4ELNS1_3repE0EEENS1_30default_config_static_selectorELNS0_4arch9wavefront6targetE1EEEvT1_ ; -- Begin function _ZN7rocprim17ROCPRIM_400000_NS6detail17trampoline_kernelINS0_14default_configENS1_25partition_config_selectorILNS1_17partition_subalgoE9EllbEEZZNS1_14partition_implILS5_9ELb0ES3_jPlS8_PNS0_10empty_typeENS0_5tupleIJS8_S9_EEENSB_IJS8_SA_EEENS0_18inequality_wrapperIZN2at6native12_GLOBAL__N_124unique_dim_cuda_templateIaEESt5tupleIJNSF_6TensorESK_SK_EERKSK_lbbbEUlllE0_EEPmJS9_EEE10hipError_tPvRmT3_T4_T5_T6_T7_T9_mT8_P12ihipStream_tbDpT10_ENKUlT_T0_E_clISt17integral_constantIbLb1EES19_IbLb0EEEEDaS15_S16_EUlS15_E_NS1_11comp_targetILNS1_3genE10ELNS1_11target_archE1200ELNS1_3gpuE4ELNS1_3repE0EEENS1_30default_config_static_selectorELNS0_4arch9wavefront6targetE1EEEvT1_
	.p2align	8
	.type	_ZN7rocprim17ROCPRIM_400000_NS6detail17trampoline_kernelINS0_14default_configENS1_25partition_config_selectorILNS1_17partition_subalgoE9EllbEEZZNS1_14partition_implILS5_9ELb0ES3_jPlS8_PNS0_10empty_typeENS0_5tupleIJS8_S9_EEENSB_IJS8_SA_EEENS0_18inequality_wrapperIZN2at6native12_GLOBAL__N_124unique_dim_cuda_templateIaEESt5tupleIJNSF_6TensorESK_SK_EERKSK_lbbbEUlllE0_EEPmJS9_EEE10hipError_tPvRmT3_T4_T5_T6_T7_T9_mT8_P12ihipStream_tbDpT10_ENKUlT_T0_E_clISt17integral_constantIbLb1EES19_IbLb0EEEEDaS15_S16_EUlS15_E_NS1_11comp_targetILNS1_3genE10ELNS1_11target_archE1200ELNS1_3gpuE4ELNS1_3repE0EEENS1_30default_config_static_selectorELNS0_4arch9wavefront6targetE1EEEvT1_,@function
_ZN7rocprim17ROCPRIM_400000_NS6detail17trampoline_kernelINS0_14default_configENS1_25partition_config_selectorILNS1_17partition_subalgoE9EllbEEZZNS1_14partition_implILS5_9ELb0ES3_jPlS8_PNS0_10empty_typeENS0_5tupleIJS8_S9_EEENSB_IJS8_SA_EEENS0_18inequality_wrapperIZN2at6native12_GLOBAL__N_124unique_dim_cuda_templateIaEESt5tupleIJNSF_6TensorESK_SK_EERKSK_lbbbEUlllE0_EEPmJS9_EEE10hipError_tPvRmT3_T4_T5_T6_T7_T9_mT8_P12ihipStream_tbDpT10_ENKUlT_T0_E_clISt17integral_constantIbLb1EES19_IbLb0EEEEDaS15_S16_EUlS15_E_NS1_11comp_targetILNS1_3genE10ELNS1_11target_archE1200ELNS1_3gpuE4ELNS1_3repE0EEENS1_30default_config_static_selectorELNS0_4arch9wavefront6targetE1EEEvT1_: ; @_ZN7rocprim17ROCPRIM_400000_NS6detail17trampoline_kernelINS0_14default_configENS1_25partition_config_selectorILNS1_17partition_subalgoE9EllbEEZZNS1_14partition_implILS5_9ELb0ES3_jPlS8_PNS0_10empty_typeENS0_5tupleIJS8_S9_EEENSB_IJS8_SA_EEENS0_18inequality_wrapperIZN2at6native12_GLOBAL__N_124unique_dim_cuda_templateIaEESt5tupleIJNSF_6TensorESK_SK_EERKSK_lbbbEUlllE0_EEPmJS9_EEE10hipError_tPvRmT3_T4_T5_T6_T7_T9_mT8_P12ihipStream_tbDpT10_ENKUlT_T0_E_clISt17integral_constantIbLb1EES19_IbLb0EEEEDaS15_S16_EUlS15_E_NS1_11comp_targetILNS1_3genE10ELNS1_11target_archE1200ELNS1_3gpuE4ELNS1_3repE0EEENS1_30default_config_static_selectorELNS0_4arch9wavefront6targetE1EEEvT1_
; %bb.0:
	.section	.rodata,"a",@progbits
	.p2align	6, 0x0
	.amdhsa_kernel _ZN7rocprim17ROCPRIM_400000_NS6detail17trampoline_kernelINS0_14default_configENS1_25partition_config_selectorILNS1_17partition_subalgoE9EllbEEZZNS1_14partition_implILS5_9ELb0ES3_jPlS8_PNS0_10empty_typeENS0_5tupleIJS8_S9_EEENSB_IJS8_SA_EEENS0_18inequality_wrapperIZN2at6native12_GLOBAL__N_124unique_dim_cuda_templateIaEESt5tupleIJNSF_6TensorESK_SK_EERKSK_lbbbEUlllE0_EEPmJS9_EEE10hipError_tPvRmT3_T4_T5_T6_T7_T9_mT8_P12ihipStream_tbDpT10_ENKUlT_T0_E_clISt17integral_constantIbLb1EES19_IbLb0EEEEDaS15_S16_EUlS15_E_NS1_11comp_targetILNS1_3genE10ELNS1_11target_archE1200ELNS1_3gpuE4ELNS1_3repE0EEENS1_30default_config_static_selectorELNS0_4arch9wavefront6targetE1EEEvT1_
		.amdhsa_group_segment_fixed_size 0
		.amdhsa_private_segment_fixed_size 0
		.amdhsa_kernarg_size 120
		.amdhsa_user_sgpr_count 2
		.amdhsa_user_sgpr_dispatch_ptr 0
		.amdhsa_user_sgpr_queue_ptr 0
		.amdhsa_user_sgpr_kernarg_segment_ptr 1
		.amdhsa_user_sgpr_dispatch_id 0
		.amdhsa_user_sgpr_kernarg_preload_length 0
		.amdhsa_user_sgpr_kernarg_preload_offset 0
		.amdhsa_user_sgpr_private_segment_size 0
		.amdhsa_uses_dynamic_stack 0
		.amdhsa_enable_private_segment 0
		.amdhsa_system_sgpr_workgroup_id_x 1
		.amdhsa_system_sgpr_workgroup_id_y 0
		.amdhsa_system_sgpr_workgroup_id_z 0
		.amdhsa_system_sgpr_workgroup_info 0
		.amdhsa_system_vgpr_workitem_id 0
		.amdhsa_next_free_vgpr 1
		.amdhsa_next_free_sgpr 0
		.amdhsa_accum_offset 4
		.amdhsa_reserve_vcc 0
		.amdhsa_float_round_mode_32 0
		.amdhsa_float_round_mode_16_64 0
		.amdhsa_float_denorm_mode_32 3
		.amdhsa_float_denorm_mode_16_64 3
		.amdhsa_dx10_clamp 1
		.amdhsa_ieee_mode 1
		.amdhsa_fp16_overflow 0
		.amdhsa_tg_split 0
		.amdhsa_exception_fp_ieee_invalid_op 0
		.amdhsa_exception_fp_denorm_src 0
		.amdhsa_exception_fp_ieee_div_zero 0
		.amdhsa_exception_fp_ieee_overflow 0
		.amdhsa_exception_fp_ieee_underflow 0
		.amdhsa_exception_fp_ieee_inexact 0
		.amdhsa_exception_int_div_zero 0
	.end_amdhsa_kernel
	.section	.text._ZN7rocprim17ROCPRIM_400000_NS6detail17trampoline_kernelINS0_14default_configENS1_25partition_config_selectorILNS1_17partition_subalgoE9EllbEEZZNS1_14partition_implILS5_9ELb0ES3_jPlS8_PNS0_10empty_typeENS0_5tupleIJS8_S9_EEENSB_IJS8_SA_EEENS0_18inequality_wrapperIZN2at6native12_GLOBAL__N_124unique_dim_cuda_templateIaEESt5tupleIJNSF_6TensorESK_SK_EERKSK_lbbbEUlllE0_EEPmJS9_EEE10hipError_tPvRmT3_T4_T5_T6_T7_T9_mT8_P12ihipStream_tbDpT10_ENKUlT_T0_E_clISt17integral_constantIbLb1EES19_IbLb0EEEEDaS15_S16_EUlS15_E_NS1_11comp_targetILNS1_3genE10ELNS1_11target_archE1200ELNS1_3gpuE4ELNS1_3repE0EEENS1_30default_config_static_selectorELNS0_4arch9wavefront6targetE1EEEvT1_,"axG",@progbits,_ZN7rocprim17ROCPRIM_400000_NS6detail17trampoline_kernelINS0_14default_configENS1_25partition_config_selectorILNS1_17partition_subalgoE9EllbEEZZNS1_14partition_implILS5_9ELb0ES3_jPlS8_PNS0_10empty_typeENS0_5tupleIJS8_S9_EEENSB_IJS8_SA_EEENS0_18inequality_wrapperIZN2at6native12_GLOBAL__N_124unique_dim_cuda_templateIaEESt5tupleIJNSF_6TensorESK_SK_EERKSK_lbbbEUlllE0_EEPmJS9_EEE10hipError_tPvRmT3_T4_T5_T6_T7_T9_mT8_P12ihipStream_tbDpT10_ENKUlT_T0_E_clISt17integral_constantIbLb1EES19_IbLb0EEEEDaS15_S16_EUlS15_E_NS1_11comp_targetILNS1_3genE10ELNS1_11target_archE1200ELNS1_3gpuE4ELNS1_3repE0EEENS1_30default_config_static_selectorELNS0_4arch9wavefront6targetE1EEEvT1_,comdat
.Lfunc_end374:
	.size	_ZN7rocprim17ROCPRIM_400000_NS6detail17trampoline_kernelINS0_14default_configENS1_25partition_config_selectorILNS1_17partition_subalgoE9EllbEEZZNS1_14partition_implILS5_9ELb0ES3_jPlS8_PNS0_10empty_typeENS0_5tupleIJS8_S9_EEENSB_IJS8_SA_EEENS0_18inequality_wrapperIZN2at6native12_GLOBAL__N_124unique_dim_cuda_templateIaEESt5tupleIJNSF_6TensorESK_SK_EERKSK_lbbbEUlllE0_EEPmJS9_EEE10hipError_tPvRmT3_T4_T5_T6_T7_T9_mT8_P12ihipStream_tbDpT10_ENKUlT_T0_E_clISt17integral_constantIbLb1EES19_IbLb0EEEEDaS15_S16_EUlS15_E_NS1_11comp_targetILNS1_3genE10ELNS1_11target_archE1200ELNS1_3gpuE4ELNS1_3repE0EEENS1_30default_config_static_selectorELNS0_4arch9wavefront6targetE1EEEvT1_, .Lfunc_end374-_ZN7rocprim17ROCPRIM_400000_NS6detail17trampoline_kernelINS0_14default_configENS1_25partition_config_selectorILNS1_17partition_subalgoE9EllbEEZZNS1_14partition_implILS5_9ELb0ES3_jPlS8_PNS0_10empty_typeENS0_5tupleIJS8_S9_EEENSB_IJS8_SA_EEENS0_18inequality_wrapperIZN2at6native12_GLOBAL__N_124unique_dim_cuda_templateIaEESt5tupleIJNSF_6TensorESK_SK_EERKSK_lbbbEUlllE0_EEPmJS9_EEE10hipError_tPvRmT3_T4_T5_T6_T7_T9_mT8_P12ihipStream_tbDpT10_ENKUlT_T0_E_clISt17integral_constantIbLb1EES19_IbLb0EEEEDaS15_S16_EUlS15_E_NS1_11comp_targetILNS1_3genE10ELNS1_11target_archE1200ELNS1_3gpuE4ELNS1_3repE0EEENS1_30default_config_static_selectorELNS0_4arch9wavefront6targetE1EEEvT1_
                                        ; -- End function
	.section	.AMDGPU.csdata,"",@progbits
; Kernel info:
; codeLenInByte = 0
; NumSgprs: 6
; NumVgprs: 0
; NumAgprs: 0
; TotalNumVgprs: 0
; ScratchSize: 0
; MemoryBound: 0
; FloatMode: 240
; IeeeMode: 1
; LDSByteSize: 0 bytes/workgroup (compile time only)
; SGPRBlocks: 0
; VGPRBlocks: 0
; NumSGPRsForWavesPerEU: 6
; NumVGPRsForWavesPerEU: 1
; AccumOffset: 4
; Occupancy: 8
; WaveLimiterHint : 0
; COMPUTE_PGM_RSRC2:SCRATCH_EN: 0
; COMPUTE_PGM_RSRC2:USER_SGPR: 2
; COMPUTE_PGM_RSRC2:TRAP_HANDLER: 0
; COMPUTE_PGM_RSRC2:TGID_X_EN: 1
; COMPUTE_PGM_RSRC2:TGID_Y_EN: 0
; COMPUTE_PGM_RSRC2:TGID_Z_EN: 0
; COMPUTE_PGM_RSRC2:TIDIG_COMP_CNT: 0
; COMPUTE_PGM_RSRC3_GFX90A:ACCUM_OFFSET: 0
; COMPUTE_PGM_RSRC3_GFX90A:TG_SPLIT: 0
	.section	.text._ZN7rocprim17ROCPRIM_400000_NS6detail17trampoline_kernelINS0_14default_configENS1_25partition_config_selectorILNS1_17partition_subalgoE9EllbEEZZNS1_14partition_implILS5_9ELb0ES3_jPlS8_PNS0_10empty_typeENS0_5tupleIJS8_S9_EEENSB_IJS8_SA_EEENS0_18inequality_wrapperIZN2at6native12_GLOBAL__N_124unique_dim_cuda_templateIaEESt5tupleIJNSF_6TensorESK_SK_EERKSK_lbbbEUlllE0_EEPmJS9_EEE10hipError_tPvRmT3_T4_T5_T6_T7_T9_mT8_P12ihipStream_tbDpT10_ENKUlT_T0_E_clISt17integral_constantIbLb1EES19_IbLb0EEEEDaS15_S16_EUlS15_E_NS1_11comp_targetILNS1_3genE9ELNS1_11target_archE1100ELNS1_3gpuE3ELNS1_3repE0EEENS1_30default_config_static_selectorELNS0_4arch9wavefront6targetE1EEEvT1_,"axG",@progbits,_ZN7rocprim17ROCPRIM_400000_NS6detail17trampoline_kernelINS0_14default_configENS1_25partition_config_selectorILNS1_17partition_subalgoE9EllbEEZZNS1_14partition_implILS5_9ELb0ES3_jPlS8_PNS0_10empty_typeENS0_5tupleIJS8_S9_EEENSB_IJS8_SA_EEENS0_18inequality_wrapperIZN2at6native12_GLOBAL__N_124unique_dim_cuda_templateIaEESt5tupleIJNSF_6TensorESK_SK_EERKSK_lbbbEUlllE0_EEPmJS9_EEE10hipError_tPvRmT3_T4_T5_T6_T7_T9_mT8_P12ihipStream_tbDpT10_ENKUlT_T0_E_clISt17integral_constantIbLb1EES19_IbLb0EEEEDaS15_S16_EUlS15_E_NS1_11comp_targetILNS1_3genE9ELNS1_11target_archE1100ELNS1_3gpuE3ELNS1_3repE0EEENS1_30default_config_static_selectorELNS0_4arch9wavefront6targetE1EEEvT1_,comdat
	.globl	_ZN7rocprim17ROCPRIM_400000_NS6detail17trampoline_kernelINS0_14default_configENS1_25partition_config_selectorILNS1_17partition_subalgoE9EllbEEZZNS1_14partition_implILS5_9ELb0ES3_jPlS8_PNS0_10empty_typeENS0_5tupleIJS8_S9_EEENSB_IJS8_SA_EEENS0_18inequality_wrapperIZN2at6native12_GLOBAL__N_124unique_dim_cuda_templateIaEESt5tupleIJNSF_6TensorESK_SK_EERKSK_lbbbEUlllE0_EEPmJS9_EEE10hipError_tPvRmT3_T4_T5_T6_T7_T9_mT8_P12ihipStream_tbDpT10_ENKUlT_T0_E_clISt17integral_constantIbLb1EES19_IbLb0EEEEDaS15_S16_EUlS15_E_NS1_11comp_targetILNS1_3genE9ELNS1_11target_archE1100ELNS1_3gpuE3ELNS1_3repE0EEENS1_30default_config_static_selectorELNS0_4arch9wavefront6targetE1EEEvT1_ ; -- Begin function _ZN7rocprim17ROCPRIM_400000_NS6detail17trampoline_kernelINS0_14default_configENS1_25partition_config_selectorILNS1_17partition_subalgoE9EllbEEZZNS1_14partition_implILS5_9ELb0ES3_jPlS8_PNS0_10empty_typeENS0_5tupleIJS8_S9_EEENSB_IJS8_SA_EEENS0_18inequality_wrapperIZN2at6native12_GLOBAL__N_124unique_dim_cuda_templateIaEESt5tupleIJNSF_6TensorESK_SK_EERKSK_lbbbEUlllE0_EEPmJS9_EEE10hipError_tPvRmT3_T4_T5_T6_T7_T9_mT8_P12ihipStream_tbDpT10_ENKUlT_T0_E_clISt17integral_constantIbLb1EES19_IbLb0EEEEDaS15_S16_EUlS15_E_NS1_11comp_targetILNS1_3genE9ELNS1_11target_archE1100ELNS1_3gpuE3ELNS1_3repE0EEENS1_30default_config_static_selectorELNS0_4arch9wavefront6targetE1EEEvT1_
	.p2align	8
	.type	_ZN7rocprim17ROCPRIM_400000_NS6detail17trampoline_kernelINS0_14default_configENS1_25partition_config_selectorILNS1_17partition_subalgoE9EllbEEZZNS1_14partition_implILS5_9ELb0ES3_jPlS8_PNS0_10empty_typeENS0_5tupleIJS8_S9_EEENSB_IJS8_SA_EEENS0_18inequality_wrapperIZN2at6native12_GLOBAL__N_124unique_dim_cuda_templateIaEESt5tupleIJNSF_6TensorESK_SK_EERKSK_lbbbEUlllE0_EEPmJS9_EEE10hipError_tPvRmT3_T4_T5_T6_T7_T9_mT8_P12ihipStream_tbDpT10_ENKUlT_T0_E_clISt17integral_constantIbLb1EES19_IbLb0EEEEDaS15_S16_EUlS15_E_NS1_11comp_targetILNS1_3genE9ELNS1_11target_archE1100ELNS1_3gpuE3ELNS1_3repE0EEENS1_30default_config_static_selectorELNS0_4arch9wavefront6targetE1EEEvT1_,@function
_ZN7rocprim17ROCPRIM_400000_NS6detail17trampoline_kernelINS0_14default_configENS1_25partition_config_selectorILNS1_17partition_subalgoE9EllbEEZZNS1_14partition_implILS5_9ELb0ES3_jPlS8_PNS0_10empty_typeENS0_5tupleIJS8_S9_EEENSB_IJS8_SA_EEENS0_18inequality_wrapperIZN2at6native12_GLOBAL__N_124unique_dim_cuda_templateIaEESt5tupleIJNSF_6TensorESK_SK_EERKSK_lbbbEUlllE0_EEPmJS9_EEE10hipError_tPvRmT3_T4_T5_T6_T7_T9_mT8_P12ihipStream_tbDpT10_ENKUlT_T0_E_clISt17integral_constantIbLb1EES19_IbLb0EEEEDaS15_S16_EUlS15_E_NS1_11comp_targetILNS1_3genE9ELNS1_11target_archE1100ELNS1_3gpuE3ELNS1_3repE0EEENS1_30default_config_static_selectorELNS0_4arch9wavefront6targetE1EEEvT1_: ; @_ZN7rocprim17ROCPRIM_400000_NS6detail17trampoline_kernelINS0_14default_configENS1_25partition_config_selectorILNS1_17partition_subalgoE9EllbEEZZNS1_14partition_implILS5_9ELb0ES3_jPlS8_PNS0_10empty_typeENS0_5tupleIJS8_S9_EEENSB_IJS8_SA_EEENS0_18inequality_wrapperIZN2at6native12_GLOBAL__N_124unique_dim_cuda_templateIaEESt5tupleIJNSF_6TensorESK_SK_EERKSK_lbbbEUlllE0_EEPmJS9_EEE10hipError_tPvRmT3_T4_T5_T6_T7_T9_mT8_P12ihipStream_tbDpT10_ENKUlT_T0_E_clISt17integral_constantIbLb1EES19_IbLb0EEEEDaS15_S16_EUlS15_E_NS1_11comp_targetILNS1_3genE9ELNS1_11target_archE1100ELNS1_3gpuE3ELNS1_3repE0EEENS1_30default_config_static_selectorELNS0_4arch9wavefront6targetE1EEEvT1_
; %bb.0:
	.section	.rodata,"a",@progbits
	.p2align	6, 0x0
	.amdhsa_kernel _ZN7rocprim17ROCPRIM_400000_NS6detail17trampoline_kernelINS0_14default_configENS1_25partition_config_selectorILNS1_17partition_subalgoE9EllbEEZZNS1_14partition_implILS5_9ELb0ES3_jPlS8_PNS0_10empty_typeENS0_5tupleIJS8_S9_EEENSB_IJS8_SA_EEENS0_18inequality_wrapperIZN2at6native12_GLOBAL__N_124unique_dim_cuda_templateIaEESt5tupleIJNSF_6TensorESK_SK_EERKSK_lbbbEUlllE0_EEPmJS9_EEE10hipError_tPvRmT3_T4_T5_T6_T7_T9_mT8_P12ihipStream_tbDpT10_ENKUlT_T0_E_clISt17integral_constantIbLb1EES19_IbLb0EEEEDaS15_S16_EUlS15_E_NS1_11comp_targetILNS1_3genE9ELNS1_11target_archE1100ELNS1_3gpuE3ELNS1_3repE0EEENS1_30default_config_static_selectorELNS0_4arch9wavefront6targetE1EEEvT1_
		.amdhsa_group_segment_fixed_size 0
		.amdhsa_private_segment_fixed_size 0
		.amdhsa_kernarg_size 120
		.amdhsa_user_sgpr_count 2
		.amdhsa_user_sgpr_dispatch_ptr 0
		.amdhsa_user_sgpr_queue_ptr 0
		.amdhsa_user_sgpr_kernarg_segment_ptr 1
		.amdhsa_user_sgpr_dispatch_id 0
		.amdhsa_user_sgpr_kernarg_preload_length 0
		.amdhsa_user_sgpr_kernarg_preload_offset 0
		.amdhsa_user_sgpr_private_segment_size 0
		.amdhsa_uses_dynamic_stack 0
		.amdhsa_enable_private_segment 0
		.amdhsa_system_sgpr_workgroup_id_x 1
		.amdhsa_system_sgpr_workgroup_id_y 0
		.amdhsa_system_sgpr_workgroup_id_z 0
		.amdhsa_system_sgpr_workgroup_info 0
		.amdhsa_system_vgpr_workitem_id 0
		.amdhsa_next_free_vgpr 1
		.amdhsa_next_free_sgpr 0
		.amdhsa_accum_offset 4
		.amdhsa_reserve_vcc 0
		.amdhsa_float_round_mode_32 0
		.amdhsa_float_round_mode_16_64 0
		.amdhsa_float_denorm_mode_32 3
		.amdhsa_float_denorm_mode_16_64 3
		.amdhsa_dx10_clamp 1
		.amdhsa_ieee_mode 1
		.amdhsa_fp16_overflow 0
		.amdhsa_tg_split 0
		.amdhsa_exception_fp_ieee_invalid_op 0
		.amdhsa_exception_fp_denorm_src 0
		.amdhsa_exception_fp_ieee_div_zero 0
		.amdhsa_exception_fp_ieee_overflow 0
		.amdhsa_exception_fp_ieee_underflow 0
		.amdhsa_exception_fp_ieee_inexact 0
		.amdhsa_exception_int_div_zero 0
	.end_amdhsa_kernel
	.section	.text._ZN7rocprim17ROCPRIM_400000_NS6detail17trampoline_kernelINS0_14default_configENS1_25partition_config_selectorILNS1_17partition_subalgoE9EllbEEZZNS1_14partition_implILS5_9ELb0ES3_jPlS8_PNS0_10empty_typeENS0_5tupleIJS8_S9_EEENSB_IJS8_SA_EEENS0_18inequality_wrapperIZN2at6native12_GLOBAL__N_124unique_dim_cuda_templateIaEESt5tupleIJNSF_6TensorESK_SK_EERKSK_lbbbEUlllE0_EEPmJS9_EEE10hipError_tPvRmT3_T4_T5_T6_T7_T9_mT8_P12ihipStream_tbDpT10_ENKUlT_T0_E_clISt17integral_constantIbLb1EES19_IbLb0EEEEDaS15_S16_EUlS15_E_NS1_11comp_targetILNS1_3genE9ELNS1_11target_archE1100ELNS1_3gpuE3ELNS1_3repE0EEENS1_30default_config_static_selectorELNS0_4arch9wavefront6targetE1EEEvT1_,"axG",@progbits,_ZN7rocprim17ROCPRIM_400000_NS6detail17trampoline_kernelINS0_14default_configENS1_25partition_config_selectorILNS1_17partition_subalgoE9EllbEEZZNS1_14partition_implILS5_9ELb0ES3_jPlS8_PNS0_10empty_typeENS0_5tupleIJS8_S9_EEENSB_IJS8_SA_EEENS0_18inequality_wrapperIZN2at6native12_GLOBAL__N_124unique_dim_cuda_templateIaEESt5tupleIJNSF_6TensorESK_SK_EERKSK_lbbbEUlllE0_EEPmJS9_EEE10hipError_tPvRmT3_T4_T5_T6_T7_T9_mT8_P12ihipStream_tbDpT10_ENKUlT_T0_E_clISt17integral_constantIbLb1EES19_IbLb0EEEEDaS15_S16_EUlS15_E_NS1_11comp_targetILNS1_3genE9ELNS1_11target_archE1100ELNS1_3gpuE3ELNS1_3repE0EEENS1_30default_config_static_selectorELNS0_4arch9wavefront6targetE1EEEvT1_,comdat
.Lfunc_end375:
	.size	_ZN7rocprim17ROCPRIM_400000_NS6detail17trampoline_kernelINS0_14default_configENS1_25partition_config_selectorILNS1_17partition_subalgoE9EllbEEZZNS1_14partition_implILS5_9ELb0ES3_jPlS8_PNS0_10empty_typeENS0_5tupleIJS8_S9_EEENSB_IJS8_SA_EEENS0_18inequality_wrapperIZN2at6native12_GLOBAL__N_124unique_dim_cuda_templateIaEESt5tupleIJNSF_6TensorESK_SK_EERKSK_lbbbEUlllE0_EEPmJS9_EEE10hipError_tPvRmT3_T4_T5_T6_T7_T9_mT8_P12ihipStream_tbDpT10_ENKUlT_T0_E_clISt17integral_constantIbLb1EES19_IbLb0EEEEDaS15_S16_EUlS15_E_NS1_11comp_targetILNS1_3genE9ELNS1_11target_archE1100ELNS1_3gpuE3ELNS1_3repE0EEENS1_30default_config_static_selectorELNS0_4arch9wavefront6targetE1EEEvT1_, .Lfunc_end375-_ZN7rocprim17ROCPRIM_400000_NS6detail17trampoline_kernelINS0_14default_configENS1_25partition_config_selectorILNS1_17partition_subalgoE9EllbEEZZNS1_14partition_implILS5_9ELb0ES3_jPlS8_PNS0_10empty_typeENS0_5tupleIJS8_S9_EEENSB_IJS8_SA_EEENS0_18inequality_wrapperIZN2at6native12_GLOBAL__N_124unique_dim_cuda_templateIaEESt5tupleIJNSF_6TensorESK_SK_EERKSK_lbbbEUlllE0_EEPmJS9_EEE10hipError_tPvRmT3_T4_T5_T6_T7_T9_mT8_P12ihipStream_tbDpT10_ENKUlT_T0_E_clISt17integral_constantIbLb1EES19_IbLb0EEEEDaS15_S16_EUlS15_E_NS1_11comp_targetILNS1_3genE9ELNS1_11target_archE1100ELNS1_3gpuE3ELNS1_3repE0EEENS1_30default_config_static_selectorELNS0_4arch9wavefront6targetE1EEEvT1_
                                        ; -- End function
	.section	.AMDGPU.csdata,"",@progbits
; Kernel info:
; codeLenInByte = 0
; NumSgprs: 6
; NumVgprs: 0
; NumAgprs: 0
; TotalNumVgprs: 0
; ScratchSize: 0
; MemoryBound: 0
; FloatMode: 240
; IeeeMode: 1
; LDSByteSize: 0 bytes/workgroup (compile time only)
; SGPRBlocks: 0
; VGPRBlocks: 0
; NumSGPRsForWavesPerEU: 6
; NumVGPRsForWavesPerEU: 1
; AccumOffset: 4
; Occupancy: 8
; WaveLimiterHint : 0
; COMPUTE_PGM_RSRC2:SCRATCH_EN: 0
; COMPUTE_PGM_RSRC2:USER_SGPR: 2
; COMPUTE_PGM_RSRC2:TRAP_HANDLER: 0
; COMPUTE_PGM_RSRC2:TGID_X_EN: 1
; COMPUTE_PGM_RSRC2:TGID_Y_EN: 0
; COMPUTE_PGM_RSRC2:TGID_Z_EN: 0
; COMPUTE_PGM_RSRC2:TIDIG_COMP_CNT: 0
; COMPUTE_PGM_RSRC3_GFX90A:ACCUM_OFFSET: 0
; COMPUTE_PGM_RSRC3_GFX90A:TG_SPLIT: 0
	.section	.text._ZN7rocprim17ROCPRIM_400000_NS6detail17trampoline_kernelINS0_14default_configENS1_25partition_config_selectorILNS1_17partition_subalgoE9EllbEEZZNS1_14partition_implILS5_9ELb0ES3_jPlS8_PNS0_10empty_typeENS0_5tupleIJS8_S9_EEENSB_IJS8_SA_EEENS0_18inequality_wrapperIZN2at6native12_GLOBAL__N_124unique_dim_cuda_templateIaEESt5tupleIJNSF_6TensorESK_SK_EERKSK_lbbbEUlllE0_EEPmJS9_EEE10hipError_tPvRmT3_T4_T5_T6_T7_T9_mT8_P12ihipStream_tbDpT10_ENKUlT_T0_E_clISt17integral_constantIbLb1EES19_IbLb0EEEEDaS15_S16_EUlS15_E_NS1_11comp_targetILNS1_3genE8ELNS1_11target_archE1030ELNS1_3gpuE2ELNS1_3repE0EEENS1_30default_config_static_selectorELNS0_4arch9wavefront6targetE1EEEvT1_,"axG",@progbits,_ZN7rocprim17ROCPRIM_400000_NS6detail17trampoline_kernelINS0_14default_configENS1_25partition_config_selectorILNS1_17partition_subalgoE9EllbEEZZNS1_14partition_implILS5_9ELb0ES3_jPlS8_PNS0_10empty_typeENS0_5tupleIJS8_S9_EEENSB_IJS8_SA_EEENS0_18inequality_wrapperIZN2at6native12_GLOBAL__N_124unique_dim_cuda_templateIaEESt5tupleIJNSF_6TensorESK_SK_EERKSK_lbbbEUlllE0_EEPmJS9_EEE10hipError_tPvRmT3_T4_T5_T6_T7_T9_mT8_P12ihipStream_tbDpT10_ENKUlT_T0_E_clISt17integral_constantIbLb1EES19_IbLb0EEEEDaS15_S16_EUlS15_E_NS1_11comp_targetILNS1_3genE8ELNS1_11target_archE1030ELNS1_3gpuE2ELNS1_3repE0EEENS1_30default_config_static_selectorELNS0_4arch9wavefront6targetE1EEEvT1_,comdat
	.globl	_ZN7rocprim17ROCPRIM_400000_NS6detail17trampoline_kernelINS0_14default_configENS1_25partition_config_selectorILNS1_17partition_subalgoE9EllbEEZZNS1_14partition_implILS5_9ELb0ES3_jPlS8_PNS0_10empty_typeENS0_5tupleIJS8_S9_EEENSB_IJS8_SA_EEENS0_18inequality_wrapperIZN2at6native12_GLOBAL__N_124unique_dim_cuda_templateIaEESt5tupleIJNSF_6TensorESK_SK_EERKSK_lbbbEUlllE0_EEPmJS9_EEE10hipError_tPvRmT3_T4_T5_T6_T7_T9_mT8_P12ihipStream_tbDpT10_ENKUlT_T0_E_clISt17integral_constantIbLb1EES19_IbLb0EEEEDaS15_S16_EUlS15_E_NS1_11comp_targetILNS1_3genE8ELNS1_11target_archE1030ELNS1_3gpuE2ELNS1_3repE0EEENS1_30default_config_static_selectorELNS0_4arch9wavefront6targetE1EEEvT1_ ; -- Begin function _ZN7rocprim17ROCPRIM_400000_NS6detail17trampoline_kernelINS0_14default_configENS1_25partition_config_selectorILNS1_17partition_subalgoE9EllbEEZZNS1_14partition_implILS5_9ELb0ES3_jPlS8_PNS0_10empty_typeENS0_5tupleIJS8_S9_EEENSB_IJS8_SA_EEENS0_18inequality_wrapperIZN2at6native12_GLOBAL__N_124unique_dim_cuda_templateIaEESt5tupleIJNSF_6TensorESK_SK_EERKSK_lbbbEUlllE0_EEPmJS9_EEE10hipError_tPvRmT3_T4_T5_T6_T7_T9_mT8_P12ihipStream_tbDpT10_ENKUlT_T0_E_clISt17integral_constantIbLb1EES19_IbLb0EEEEDaS15_S16_EUlS15_E_NS1_11comp_targetILNS1_3genE8ELNS1_11target_archE1030ELNS1_3gpuE2ELNS1_3repE0EEENS1_30default_config_static_selectorELNS0_4arch9wavefront6targetE1EEEvT1_
	.p2align	8
	.type	_ZN7rocprim17ROCPRIM_400000_NS6detail17trampoline_kernelINS0_14default_configENS1_25partition_config_selectorILNS1_17partition_subalgoE9EllbEEZZNS1_14partition_implILS5_9ELb0ES3_jPlS8_PNS0_10empty_typeENS0_5tupleIJS8_S9_EEENSB_IJS8_SA_EEENS0_18inequality_wrapperIZN2at6native12_GLOBAL__N_124unique_dim_cuda_templateIaEESt5tupleIJNSF_6TensorESK_SK_EERKSK_lbbbEUlllE0_EEPmJS9_EEE10hipError_tPvRmT3_T4_T5_T6_T7_T9_mT8_P12ihipStream_tbDpT10_ENKUlT_T0_E_clISt17integral_constantIbLb1EES19_IbLb0EEEEDaS15_S16_EUlS15_E_NS1_11comp_targetILNS1_3genE8ELNS1_11target_archE1030ELNS1_3gpuE2ELNS1_3repE0EEENS1_30default_config_static_selectorELNS0_4arch9wavefront6targetE1EEEvT1_,@function
_ZN7rocprim17ROCPRIM_400000_NS6detail17trampoline_kernelINS0_14default_configENS1_25partition_config_selectorILNS1_17partition_subalgoE9EllbEEZZNS1_14partition_implILS5_9ELb0ES3_jPlS8_PNS0_10empty_typeENS0_5tupleIJS8_S9_EEENSB_IJS8_SA_EEENS0_18inequality_wrapperIZN2at6native12_GLOBAL__N_124unique_dim_cuda_templateIaEESt5tupleIJNSF_6TensorESK_SK_EERKSK_lbbbEUlllE0_EEPmJS9_EEE10hipError_tPvRmT3_T4_T5_T6_T7_T9_mT8_P12ihipStream_tbDpT10_ENKUlT_T0_E_clISt17integral_constantIbLb1EES19_IbLb0EEEEDaS15_S16_EUlS15_E_NS1_11comp_targetILNS1_3genE8ELNS1_11target_archE1030ELNS1_3gpuE2ELNS1_3repE0EEENS1_30default_config_static_selectorELNS0_4arch9wavefront6targetE1EEEvT1_: ; @_ZN7rocprim17ROCPRIM_400000_NS6detail17trampoline_kernelINS0_14default_configENS1_25partition_config_selectorILNS1_17partition_subalgoE9EllbEEZZNS1_14partition_implILS5_9ELb0ES3_jPlS8_PNS0_10empty_typeENS0_5tupleIJS8_S9_EEENSB_IJS8_SA_EEENS0_18inequality_wrapperIZN2at6native12_GLOBAL__N_124unique_dim_cuda_templateIaEESt5tupleIJNSF_6TensorESK_SK_EERKSK_lbbbEUlllE0_EEPmJS9_EEE10hipError_tPvRmT3_T4_T5_T6_T7_T9_mT8_P12ihipStream_tbDpT10_ENKUlT_T0_E_clISt17integral_constantIbLb1EES19_IbLb0EEEEDaS15_S16_EUlS15_E_NS1_11comp_targetILNS1_3genE8ELNS1_11target_archE1030ELNS1_3gpuE2ELNS1_3repE0EEENS1_30default_config_static_selectorELNS0_4arch9wavefront6targetE1EEEvT1_
; %bb.0:
	.section	.rodata,"a",@progbits
	.p2align	6, 0x0
	.amdhsa_kernel _ZN7rocprim17ROCPRIM_400000_NS6detail17trampoline_kernelINS0_14default_configENS1_25partition_config_selectorILNS1_17partition_subalgoE9EllbEEZZNS1_14partition_implILS5_9ELb0ES3_jPlS8_PNS0_10empty_typeENS0_5tupleIJS8_S9_EEENSB_IJS8_SA_EEENS0_18inequality_wrapperIZN2at6native12_GLOBAL__N_124unique_dim_cuda_templateIaEESt5tupleIJNSF_6TensorESK_SK_EERKSK_lbbbEUlllE0_EEPmJS9_EEE10hipError_tPvRmT3_T4_T5_T6_T7_T9_mT8_P12ihipStream_tbDpT10_ENKUlT_T0_E_clISt17integral_constantIbLb1EES19_IbLb0EEEEDaS15_S16_EUlS15_E_NS1_11comp_targetILNS1_3genE8ELNS1_11target_archE1030ELNS1_3gpuE2ELNS1_3repE0EEENS1_30default_config_static_selectorELNS0_4arch9wavefront6targetE1EEEvT1_
		.amdhsa_group_segment_fixed_size 0
		.amdhsa_private_segment_fixed_size 0
		.amdhsa_kernarg_size 120
		.amdhsa_user_sgpr_count 2
		.amdhsa_user_sgpr_dispatch_ptr 0
		.amdhsa_user_sgpr_queue_ptr 0
		.amdhsa_user_sgpr_kernarg_segment_ptr 1
		.amdhsa_user_sgpr_dispatch_id 0
		.amdhsa_user_sgpr_kernarg_preload_length 0
		.amdhsa_user_sgpr_kernarg_preload_offset 0
		.amdhsa_user_sgpr_private_segment_size 0
		.amdhsa_uses_dynamic_stack 0
		.amdhsa_enable_private_segment 0
		.amdhsa_system_sgpr_workgroup_id_x 1
		.amdhsa_system_sgpr_workgroup_id_y 0
		.amdhsa_system_sgpr_workgroup_id_z 0
		.amdhsa_system_sgpr_workgroup_info 0
		.amdhsa_system_vgpr_workitem_id 0
		.amdhsa_next_free_vgpr 1
		.amdhsa_next_free_sgpr 0
		.amdhsa_accum_offset 4
		.amdhsa_reserve_vcc 0
		.amdhsa_float_round_mode_32 0
		.amdhsa_float_round_mode_16_64 0
		.amdhsa_float_denorm_mode_32 3
		.amdhsa_float_denorm_mode_16_64 3
		.amdhsa_dx10_clamp 1
		.amdhsa_ieee_mode 1
		.amdhsa_fp16_overflow 0
		.amdhsa_tg_split 0
		.amdhsa_exception_fp_ieee_invalid_op 0
		.amdhsa_exception_fp_denorm_src 0
		.amdhsa_exception_fp_ieee_div_zero 0
		.amdhsa_exception_fp_ieee_overflow 0
		.amdhsa_exception_fp_ieee_underflow 0
		.amdhsa_exception_fp_ieee_inexact 0
		.amdhsa_exception_int_div_zero 0
	.end_amdhsa_kernel
	.section	.text._ZN7rocprim17ROCPRIM_400000_NS6detail17trampoline_kernelINS0_14default_configENS1_25partition_config_selectorILNS1_17partition_subalgoE9EllbEEZZNS1_14partition_implILS5_9ELb0ES3_jPlS8_PNS0_10empty_typeENS0_5tupleIJS8_S9_EEENSB_IJS8_SA_EEENS0_18inequality_wrapperIZN2at6native12_GLOBAL__N_124unique_dim_cuda_templateIaEESt5tupleIJNSF_6TensorESK_SK_EERKSK_lbbbEUlllE0_EEPmJS9_EEE10hipError_tPvRmT3_T4_T5_T6_T7_T9_mT8_P12ihipStream_tbDpT10_ENKUlT_T0_E_clISt17integral_constantIbLb1EES19_IbLb0EEEEDaS15_S16_EUlS15_E_NS1_11comp_targetILNS1_3genE8ELNS1_11target_archE1030ELNS1_3gpuE2ELNS1_3repE0EEENS1_30default_config_static_selectorELNS0_4arch9wavefront6targetE1EEEvT1_,"axG",@progbits,_ZN7rocprim17ROCPRIM_400000_NS6detail17trampoline_kernelINS0_14default_configENS1_25partition_config_selectorILNS1_17partition_subalgoE9EllbEEZZNS1_14partition_implILS5_9ELb0ES3_jPlS8_PNS0_10empty_typeENS0_5tupleIJS8_S9_EEENSB_IJS8_SA_EEENS0_18inequality_wrapperIZN2at6native12_GLOBAL__N_124unique_dim_cuda_templateIaEESt5tupleIJNSF_6TensorESK_SK_EERKSK_lbbbEUlllE0_EEPmJS9_EEE10hipError_tPvRmT3_T4_T5_T6_T7_T9_mT8_P12ihipStream_tbDpT10_ENKUlT_T0_E_clISt17integral_constantIbLb1EES19_IbLb0EEEEDaS15_S16_EUlS15_E_NS1_11comp_targetILNS1_3genE8ELNS1_11target_archE1030ELNS1_3gpuE2ELNS1_3repE0EEENS1_30default_config_static_selectorELNS0_4arch9wavefront6targetE1EEEvT1_,comdat
.Lfunc_end376:
	.size	_ZN7rocprim17ROCPRIM_400000_NS6detail17trampoline_kernelINS0_14default_configENS1_25partition_config_selectorILNS1_17partition_subalgoE9EllbEEZZNS1_14partition_implILS5_9ELb0ES3_jPlS8_PNS0_10empty_typeENS0_5tupleIJS8_S9_EEENSB_IJS8_SA_EEENS0_18inequality_wrapperIZN2at6native12_GLOBAL__N_124unique_dim_cuda_templateIaEESt5tupleIJNSF_6TensorESK_SK_EERKSK_lbbbEUlllE0_EEPmJS9_EEE10hipError_tPvRmT3_T4_T5_T6_T7_T9_mT8_P12ihipStream_tbDpT10_ENKUlT_T0_E_clISt17integral_constantIbLb1EES19_IbLb0EEEEDaS15_S16_EUlS15_E_NS1_11comp_targetILNS1_3genE8ELNS1_11target_archE1030ELNS1_3gpuE2ELNS1_3repE0EEENS1_30default_config_static_selectorELNS0_4arch9wavefront6targetE1EEEvT1_, .Lfunc_end376-_ZN7rocprim17ROCPRIM_400000_NS6detail17trampoline_kernelINS0_14default_configENS1_25partition_config_selectorILNS1_17partition_subalgoE9EllbEEZZNS1_14partition_implILS5_9ELb0ES3_jPlS8_PNS0_10empty_typeENS0_5tupleIJS8_S9_EEENSB_IJS8_SA_EEENS0_18inequality_wrapperIZN2at6native12_GLOBAL__N_124unique_dim_cuda_templateIaEESt5tupleIJNSF_6TensorESK_SK_EERKSK_lbbbEUlllE0_EEPmJS9_EEE10hipError_tPvRmT3_T4_T5_T6_T7_T9_mT8_P12ihipStream_tbDpT10_ENKUlT_T0_E_clISt17integral_constantIbLb1EES19_IbLb0EEEEDaS15_S16_EUlS15_E_NS1_11comp_targetILNS1_3genE8ELNS1_11target_archE1030ELNS1_3gpuE2ELNS1_3repE0EEENS1_30default_config_static_selectorELNS0_4arch9wavefront6targetE1EEEvT1_
                                        ; -- End function
	.section	.AMDGPU.csdata,"",@progbits
; Kernel info:
; codeLenInByte = 0
; NumSgprs: 6
; NumVgprs: 0
; NumAgprs: 0
; TotalNumVgprs: 0
; ScratchSize: 0
; MemoryBound: 0
; FloatMode: 240
; IeeeMode: 1
; LDSByteSize: 0 bytes/workgroup (compile time only)
; SGPRBlocks: 0
; VGPRBlocks: 0
; NumSGPRsForWavesPerEU: 6
; NumVGPRsForWavesPerEU: 1
; AccumOffset: 4
; Occupancy: 8
; WaveLimiterHint : 0
; COMPUTE_PGM_RSRC2:SCRATCH_EN: 0
; COMPUTE_PGM_RSRC2:USER_SGPR: 2
; COMPUTE_PGM_RSRC2:TRAP_HANDLER: 0
; COMPUTE_PGM_RSRC2:TGID_X_EN: 1
; COMPUTE_PGM_RSRC2:TGID_Y_EN: 0
; COMPUTE_PGM_RSRC2:TGID_Z_EN: 0
; COMPUTE_PGM_RSRC2:TIDIG_COMP_CNT: 0
; COMPUTE_PGM_RSRC3_GFX90A:ACCUM_OFFSET: 0
; COMPUTE_PGM_RSRC3_GFX90A:TG_SPLIT: 0
	.section	.text._ZN7rocprim17ROCPRIM_400000_NS6detail17trampoline_kernelINS0_14default_configENS1_25partition_config_selectorILNS1_17partition_subalgoE9EllbEEZZNS1_14partition_implILS5_9ELb0ES3_jPlS8_PNS0_10empty_typeENS0_5tupleIJS8_S9_EEENSB_IJS8_SA_EEENS0_18inequality_wrapperIZN2at6native12_GLOBAL__N_124unique_dim_cuda_templateIaEESt5tupleIJNSF_6TensorESK_SK_EERKSK_lbbbEUlllE0_EEPmJS9_EEE10hipError_tPvRmT3_T4_T5_T6_T7_T9_mT8_P12ihipStream_tbDpT10_ENKUlT_T0_E_clISt17integral_constantIbLb0EES19_IbLb1EEEEDaS15_S16_EUlS15_E_NS1_11comp_targetILNS1_3genE0ELNS1_11target_archE4294967295ELNS1_3gpuE0ELNS1_3repE0EEENS1_30default_config_static_selectorELNS0_4arch9wavefront6targetE1EEEvT1_,"axG",@progbits,_ZN7rocprim17ROCPRIM_400000_NS6detail17trampoline_kernelINS0_14default_configENS1_25partition_config_selectorILNS1_17partition_subalgoE9EllbEEZZNS1_14partition_implILS5_9ELb0ES3_jPlS8_PNS0_10empty_typeENS0_5tupleIJS8_S9_EEENSB_IJS8_SA_EEENS0_18inequality_wrapperIZN2at6native12_GLOBAL__N_124unique_dim_cuda_templateIaEESt5tupleIJNSF_6TensorESK_SK_EERKSK_lbbbEUlllE0_EEPmJS9_EEE10hipError_tPvRmT3_T4_T5_T6_T7_T9_mT8_P12ihipStream_tbDpT10_ENKUlT_T0_E_clISt17integral_constantIbLb0EES19_IbLb1EEEEDaS15_S16_EUlS15_E_NS1_11comp_targetILNS1_3genE0ELNS1_11target_archE4294967295ELNS1_3gpuE0ELNS1_3repE0EEENS1_30default_config_static_selectorELNS0_4arch9wavefront6targetE1EEEvT1_,comdat
	.globl	_ZN7rocprim17ROCPRIM_400000_NS6detail17trampoline_kernelINS0_14default_configENS1_25partition_config_selectorILNS1_17partition_subalgoE9EllbEEZZNS1_14partition_implILS5_9ELb0ES3_jPlS8_PNS0_10empty_typeENS0_5tupleIJS8_S9_EEENSB_IJS8_SA_EEENS0_18inequality_wrapperIZN2at6native12_GLOBAL__N_124unique_dim_cuda_templateIaEESt5tupleIJNSF_6TensorESK_SK_EERKSK_lbbbEUlllE0_EEPmJS9_EEE10hipError_tPvRmT3_T4_T5_T6_T7_T9_mT8_P12ihipStream_tbDpT10_ENKUlT_T0_E_clISt17integral_constantIbLb0EES19_IbLb1EEEEDaS15_S16_EUlS15_E_NS1_11comp_targetILNS1_3genE0ELNS1_11target_archE4294967295ELNS1_3gpuE0ELNS1_3repE0EEENS1_30default_config_static_selectorELNS0_4arch9wavefront6targetE1EEEvT1_ ; -- Begin function _ZN7rocprim17ROCPRIM_400000_NS6detail17trampoline_kernelINS0_14default_configENS1_25partition_config_selectorILNS1_17partition_subalgoE9EllbEEZZNS1_14partition_implILS5_9ELb0ES3_jPlS8_PNS0_10empty_typeENS0_5tupleIJS8_S9_EEENSB_IJS8_SA_EEENS0_18inequality_wrapperIZN2at6native12_GLOBAL__N_124unique_dim_cuda_templateIaEESt5tupleIJNSF_6TensorESK_SK_EERKSK_lbbbEUlllE0_EEPmJS9_EEE10hipError_tPvRmT3_T4_T5_T6_T7_T9_mT8_P12ihipStream_tbDpT10_ENKUlT_T0_E_clISt17integral_constantIbLb0EES19_IbLb1EEEEDaS15_S16_EUlS15_E_NS1_11comp_targetILNS1_3genE0ELNS1_11target_archE4294967295ELNS1_3gpuE0ELNS1_3repE0EEENS1_30default_config_static_selectorELNS0_4arch9wavefront6targetE1EEEvT1_
	.p2align	8
	.type	_ZN7rocprim17ROCPRIM_400000_NS6detail17trampoline_kernelINS0_14default_configENS1_25partition_config_selectorILNS1_17partition_subalgoE9EllbEEZZNS1_14partition_implILS5_9ELb0ES3_jPlS8_PNS0_10empty_typeENS0_5tupleIJS8_S9_EEENSB_IJS8_SA_EEENS0_18inequality_wrapperIZN2at6native12_GLOBAL__N_124unique_dim_cuda_templateIaEESt5tupleIJNSF_6TensorESK_SK_EERKSK_lbbbEUlllE0_EEPmJS9_EEE10hipError_tPvRmT3_T4_T5_T6_T7_T9_mT8_P12ihipStream_tbDpT10_ENKUlT_T0_E_clISt17integral_constantIbLb0EES19_IbLb1EEEEDaS15_S16_EUlS15_E_NS1_11comp_targetILNS1_3genE0ELNS1_11target_archE4294967295ELNS1_3gpuE0ELNS1_3repE0EEENS1_30default_config_static_selectorELNS0_4arch9wavefront6targetE1EEEvT1_,@function
_ZN7rocprim17ROCPRIM_400000_NS6detail17trampoline_kernelINS0_14default_configENS1_25partition_config_selectorILNS1_17partition_subalgoE9EllbEEZZNS1_14partition_implILS5_9ELb0ES3_jPlS8_PNS0_10empty_typeENS0_5tupleIJS8_S9_EEENSB_IJS8_SA_EEENS0_18inequality_wrapperIZN2at6native12_GLOBAL__N_124unique_dim_cuda_templateIaEESt5tupleIJNSF_6TensorESK_SK_EERKSK_lbbbEUlllE0_EEPmJS9_EEE10hipError_tPvRmT3_T4_T5_T6_T7_T9_mT8_P12ihipStream_tbDpT10_ENKUlT_T0_E_clISt17integral_constantIbLb0EES19_IbLb1EEEEDaS15_S16_EUlS15_E_NS1_11comp_targetILNS1_3genE0ELNS1_11target_archE4294967295ELNS1_3gpuE0ELNS1_3repE0EEENS1_30default_config_static_selectorELNS0_4arch9wavefront6targetE1EEEvT1_: ; @_ZN7rocprim17ROCPRIM_400000_NS6detail17trampoline_kernelINS0_14default_configENS1_25partition_config_selectorILNS1_17partition_subalgoE9EllbEEZZNS1_14partition_implILS5_9ELb0ES3_jPlS8_PNS0_10empty_typeENS0_5tupleIJS8_S9_EEENSB_IJS8_SA_EEENS0_18inequality_wrapperIZN2at6native12_GLOBAL__N_124unique_dim_cuda_templateIaEESt5tupleIJNSF_6TensorESK_SK_EERKSK_lbbbEUlllE0_EEPmJS9_EEE10hipError_tPvRmT3_T4_T5_T6_T7_T9_mT8_P12ihipStream_tbDpT10_ENKUlT_T0_E_clISt17integral_constantIbLb0EES19_IbLb1EEEEDaS15_S16_EUlS15_E_NS1_11comp_targetILNS1_3genE0ELNS1_11target_archE4294967295ELNS1_3gpuE0ELNS1_3repE0EEENS1_30default_config_static_selectorELNS0_4arch9wavefront6targetE1EEEvT1_
; %bb.0:
	.section	.rodata,"a",@progbits
	.p2align	6, 0x0
	.amdhsa_kernel _ZN7rocprim17ROCPRIM_400000_NS6detail17trampoline_kernelINS0_14default_configENS1_25partition_config_selectorILNS1_17partition_subalgoE9EllbEEZZNS1_14partition_implILS5_9ELb0ES3_jPlS8_PNS0_10empty_typeENS0_5tupleIJS8_S9_EEENSB_IJS8_SA_EEENS0_18inequality_wrapperIZN2at6native12_GLOBAL__N_124unique_dim_cuda_templateIaEESt5tupleIJNSF_6TensorESK_SK_EERKSK_lbbbEUlllE0_EEPmJS9_EEE10hipError_tPvRmT3_T4_T5_T6_T7_T9_mT8_P12ihipStream_tbDpT10_ENKUlT_T0_E_clISt17integral_constantIbLb0EES19_IbLb1EEEEDaS15_S16_EUlS15_E_NS1_11comp_targetILNS1_3genE0ELNS1_11target_archE4294967295ELNS1_3gpuE0ELNS1_3repE0EEENS1_30default_config_static_selectorELNS0_4arch9wavefront6targetE1EEEvT1_
		.amdhsa_group_segment_fixed_size 0
		.amdhsa_private_segment_fixed_size 0
		.amdhsa_kernarg_size 136
		.amdhsa_user_sgpr_count 2
		.amdhsa_user_sgpr_dispatch_ptr 0
		.amdhsa_user_sgpr_queue_ptr 0
		.amdhsa_user_sgpr_kernarg_segment_ptr 1
		.amdhsa_user_sgpr_dispatch_id 0
		.amdhsa_user_sgpr_kernarg_preload_length 0
		.amdhsa_user_sgpr_kernarg_preload_offset 0
		.amdhsa_user_sgpr_private_segment_size 0
		.amdhsa_uses_dynamic_stack 0
		.amdhsa_enable_private_segment 0
		.amdhsa_system_sgpr_workgroup_id_x 1
		.amdhsa_system_sgpr_workgroup_id_y 0
		.amdhsa_system_sgpr_workgroup_id_z 0
		.amdhsa_system_sgpr_workgroup_info 0
		.amdhsa_system_vgpr_workitem_id 0
		.amdhsa_next_free_vgpr 1
		.amdhsa_next_free_sgpr 0
		.amdhsa_accum_offset 4
		.amdhsa_reserve_vcc 0
		.amdhsa_float_round_mode_32 0
		.amdhsa_float_round_mode_16_64 0
		.amdhsa_float_denorm_mode_32 3
		.amdhsa_float_denorm_mode_16_64 3
		.amdhsa_dx10_clamp 1
		.amdhsa_ieee_mode 1
		.amdhsa_fp16_overflow 0
		.amdhsa_tg_split 0
		.amdhsa_exception_fp_ieee_invalid_op 0
		.amdhsa_exception_fp_denorm_src 0
		.amdhsa_exception_fp_ieee_div_zero 0
		.amdhsa_exception_fp_ieee_overflow 0
		.amdhsa_exception_fp_ieee_underflow 0
		.amdhsa_exception_fp_ieee_inexact 0
		.amdhsa_exception_int_div_zero 0
	.end_amdhsa_kernel
	.section	.text._ZN7rocprim17ROCPRIM_400000_NS6detail17trampoline_kernelINS0_14default_configENS1_25partition_config_selectorILNS1_17partition_subalgoE9EllbEEZZNS1_14partition_implILS5_9ELb0ES3_jPlS8_PNS0_10empty_typeENS0_5tupleIJS8_S9_EEENSB_IJS8_SA_EEENS0_18inequality_wrapperIZN2at6native12_GLOBAL__N_124unique_dim_cuda_templateIaEESt5tupleIJNSF_6TensorESK_SK_EERKSK_lbbbEUlllE0_EEPmJS9_EEE10hipError_tPvRmT3_T4_T5_T6_T7_T9_mT8_P12ihipStream_tbDpT10_ENKUlT_T0_E_clISt17integral_constantIbLb0EES19_IbLb1EEEEDaS15_S16_EUlS15_E_NS1_11comp_targetILNS1_3genE0ELNS1_11target_archE4294967295ELNS1_3gpuE0ELNS1_3repE0EEENS1_30default_config_static_selectorELNS0_4arch9wavefront6targetE1EEEvT1_,"axG",@progbits,_ZN7rocprim17ROCPRIM_400000_NS6detail17trampoline_kernelINS0_14default_configENS1_25partition_config_selectorILNS1_17partition_subalgoE9EllbEEZZNS1_14partition_implILS5_9ELb0ES3_jPlS8_PNS0_10empty_typeENS0_5tupleIJS8_S9_EEENSB_IJS8_SA_EEENS0_18inequality_wrapperIZN2at6native12_GLOBAL__N_124unique_dim_cuda_templateIaEESt5tupleIJNSF_6TensorESK_SK_EERKSK_lbbbEUlllE0_EEPmJS9_EEE10hipError_tPvRmT3_T4_T5_T6_T7_T9_mT8_P12ihipStream_tbDpT10_ENKUlT_T0_E_clISt17integral_constantIbLb0EES19_IbLb1EEEEDaS15_S16_EUlS15_E_NS1_11comp_targetILNS1_3genE0ELNS1_11target_archE4294967295ELNS1_3gpuE0ELNS1_3repE0EEENS1_30default_config_static_selectorELNS0_4arch9wavefront6targetE1EEEvT1_,comdat
.Lfunc_end377:
	.size	_ZN7rocprim17ROCPRIM_400000_NS6detail17trampoline_kernelINS0_14default_configENS1_25partition_config_selectorILNS1_17partition_subalgoE9EllbEEZZNS1_14partition_implILS5_9ELb0ES3_jPlS8_PNS0_10empty_typeENS0_5tupleIJS8_S9_EEENSB_IJS8_SA_EEENS0_18inequality_wrapperIZN2at6native12_GLOBAL__N_124unique_dim_cuda_templateIaEESt5tupleIJNSF_6TensorESK_SK_EERKSK_lbbbEUlllE0_EEPmJS9_EEE10hipError_tPvRmT3_T4_T5_T6_T7_T9_mT8_P12ihipStream_tbDpT10_ENKUlT_T0_E_clISt17integral_constantIbLb0EES19_IbLb1EEEEDaS15_S16_EUlS15_E_NS1_11comp_targetILNS1_3genE0ELNS1_11target_archE4294967295ELNS1_3gpuE0ELNS1_3repE0EEENS1_30default_config_static_selectorELNS0_4arch9wavefront6targetE1EEEvT1_, .Lfunc_end377-_ZN7rocprim17ROCPRIM_400000_NS6detail17trampoline_kernelINS0_14default_configENS1_25partition_config_selectorILNS1_17partition_subalgoE9EllbEEZZNS1_14partition_implILS5_9ELb0ES3_jPlS8_PNS0_10empty_typeENS0_5tupleIJS8_S9_EEENSB_IJS8_SA_EEENS0_18inequality_wrapperIZN2at6native12_GLOBAL__N_124unique_dim_cuda_templateIaEESt5tupleIJNSF_6TensorESK_SK_EERKSK_lbbbEUlllE0_EEPmJS9_EEE10hipError_tPvRmT3_T4_T5_T6_T7_T9_mT8_P12ihipStream_tbDpT10_ENKUlT_T0_E_clISt17integral_constantIbLb0EES19_IbLb1EEEEDaS15_S16_EUlS15_E_NS1_11comp_targetILNS1_3genE0ELNS1_11target_archE4294967295ELNS1_3gpuE0ELNS1_3repE0EEENS1_30default_config_static_selectorELNS0_4arch9wavefront6targetE1EEEvT1_
                                        ; -- End function
	.section	.AMDGPU.csdata,"",@progbits
; Kernel info:
; codeLenInByte = 0
; NumSgprs: 6
; NumVgprs: 0
; NumAgprs: 0
; TotalNumVgprs: 0
; ScratchSize: 0
; MemoryBound: 0
; FloatMode: 240
; IeeeMode: 1
; LDSByteSize: 0 bytes/workgroup (compile time only)
; SGPRBlocks: 0
; VGPRBlocks: 0
; NumSGPRsForWavesPerEU: 6
; NumVGPRsForWavesPerEU: 1
; AccumOffset: 4
; Occupancy: 8
; WaveLimiterHint : 0
; COMPUTE_PGM_RSRC2:SCRATCH_EN: 0
; COMPUTE_PGM_RSRC2:USER_SGPR: 2
; COMPUTE_PGM_RSRC2:TRAP_HANDLER: 0
; COMPUTE_PGM_RSRC2:TGID_X_EN: 1
; COMPUTE_PGM_RSRC2:TGID_Y_EN: 0
; COMPUTE_PGM_RSRC2:TGID_Z_EN: 0
; COMPUTE_PGM_RSRC2:TIDIG_COMP_CNT: 0
; COMPUTE_PGM_RSRC3_GFX90A:ACCUM_OFFSET: 0
; COMPUTE_PGM_RSRC3_GFX90A:TG_SPLIT: 0
	.section	.text._ZN7rocprim17ROCPRIM_400000_NS6detail17trampoline_kernelINS0_14default_configENS1_25partition_config_selectorILNS1_17partition_subalgoE9EllbEEZZNS1_14partition_implILS5_9ELb0ES3_jPlS8_PNS0_10empty_typeENS0_5tupleIJS8_S9_EEENSB_IJS8_SA_EEENS0_18inequality_wrapperIZN2at6native12_GLOBAL__N_124unique_dim_cuda_templateIaEESt5tupleIJNSF_6TensorESK_SK_EERKSK_lbbbEUlllE0_EEPmJS9_EEE10hipError_tPvRmT3_T4_T5_T6_T7_T9_mT8_P12ihipStream_tbDpT10_ENKUlT_T0_E_clISt17integral_constantIbLb0EES19_IbLb1EEEEDaS15_S16_EUlS15_E_NS1_11comp_targetILNS1_3genE5ELNS1_11target_archE942ELNS1_3gpuE9ELNS1_3repE0EEENS1_30default_config_static_selectorELNS0_4arch9wavefront6targetE1EEEvT1_,"axG",@progbits,_ZN7rocprim17ROCPRIM_400000_NS6detail17trampoline_kernelINS0_14default_configENS1_25partition_config_selectorILNS1_17partition_subalgoE9EllbEEZZNS1_14partition_implILS5_9ELb0ES3_jPlS8_PNS0_10empty_typeENS0_5tupleIJS8_S9_EEENSB_IJS8_SA_EEENS0_18inequality_wrapperIZN2at6native12_GLOBAL__N_124unique_dim_cuda_templateIaEESt5tupleIJNSF_6TensorESK_SK_EERKSK_lbbbEUlllE0_EEPmJS9_EEE10hipError_tPvRmT3_T4_T5_T6_T7_T9_mT8_P12ihipStream_tbDpT10_ENKUlT_T0_E_clISt17integral_constantIbLb0EES19_IbLb1EEEEDaS15_S16_EUlS15_E_NS1_11comp_targetILNS1_3genE5ELNS1_11target_archE942ELNS1_3gpuE9ELNS1_3repE0EEENS1_30default_config_static_selectorELNS0_4arch9wavefront6targetE1EEEvT1_,comdat
	.globl	_ZN7rocprim17ROCPRIM_400000_NS6detail17trampoline_kernelINS0_14default_configENS1_25partition_config_selectorILNS1_17partition_subalgoE9EllbEEZZNS1_14partition_implILS5_9ELb0ES3_jPlS8_PNS0_10empty_typeENS0_5tupleIJS8_S9_EEENSB_IJS8_SA_EEENS0_18inequality_wrapperIZN2at6native12_GLOBAL__N_124unique_dim_cuda_templateIaEESt5tupleIJNSF_6TensorESK_SK_EERKSK_lbbbEUlllE0_EEPmJS9_EEE10hipError_tPvRmT3_T4_T5_T6_T7_T9_mT8_P12ihipStream_tbDpT10_ENKUlT_T0_E_clISt17integral_constantIbLb0EES19_IbLb1EEEEDaS15_S16_EUlS15_E_NS1_11comp_targetILNS1_3genE5ELNS1_11target_archE942ELNS1_3gpuE9ELNS1_3repE0EEENS1_30default_config_static_selectorELNS0_4arch9wavefront6targetE1EEEvT1_ ; -- Begin function _ZN7rocprim17ROCPRIM_400000_NS6detail17trampoline_kernelINS0_14default_configENS1_25partition_config_selectorILNS1_17partition_subalgoE9EllbEEZZNS1_14partition_implILS5_9ELb0ES3_jPlS8_PNS0_10empty_typeENS0_5tupleIJS8_S9_EEENSB_IJS8_SA_EEENS0_18inequality_wrapperIZN2at6native12_GLOBAL__N_124unique_dim_cuda_templateIaEESt5tupleIJNSF_6TensorESK_SK_EERKSK_lbbbEUlllE0_EEPmJS9_EEE10hipError_tPvRmT3_T4_T5_T6_T7_T9_mT8_P12ihipStream_tbDpT10_ENKUlT_T0_E_clISt17integral_constantIbLb0EES19_IbLb1EEEEDaS15_S16_EUlS15_E_NS1_11comp_targetILNS1_3genE5ELNS1_11target_archE942ELNS1_3gpuE9ELNS1_3repE0EEENS1_30default_config_static_selectorELNS0_4arch9wavefront6targetE1EEEvT1_
	.p2align	8
	.type	_ZN7rocprim17ROCPRIM_400000_NS6detail17trampoline_kernelINS0_14default_configENS1_25partition_config_selectorILNS1_17partition_subalgoE9EllbEEZZNS1_14partition_implILS5_9ELb0ES3_jPlS8_PNS0_10empty_typeENS0_5tupleIJS8_S9_EEENSB_IJS8_SA_EEENS0_18inequality_wrapperIZN2at6native12_GLOBAL__N_124unique_dim_cuda_templateIaEESt5tupleIJNSF_6TensorESK_SK_EERKSK_lbbbEUlllE0_EEPmJS9_EEE10hipError_tPvRmT3_T4_T5_T6_T7_T9_mT8_P12ihipStream_tbDpT10_ENKUlT_T0_E_clISt17integral_constantIbLb0EES19_IbLb1EEEEDaS15_S16_EUlS15_E_NS1_11comp_targetILNS1_3genE5ELNS1_11target_archE942ELNS1_3gpuE9ELNS1_3repE0EEENS1_30default_config_static_selectorELNS0_4arch9wavefront6targetE1EEEvT1_,@function
_ZN7rocprim17ROCPRIM_400000_NS6detail17trampoline_kernelINS0_14default_configENS1_25partition_config_selectorILNS1_17partition_subalgoE9EllbEEZZNS1_14partition_implILS5_9ELb0ES3_jPlS8_PNS0_10empty_typeENS0_5tupleIJS8_S9_EEENSB_IJS8_SA_EEENS0_18inequality_wrapperIZN2at6native12_GLOBAL__N_124unique_dim_cuda_templateIaEESt5tupleIJNSF_6TensorESK_SK_EERKSK_lbbbEUlllE0_EEPmJS9_EEE10hipError_tPvRmT3_T4_T5_T6_T7_T9_mT8_P12ihipStream_tbDpT10_ENKUlT_T0_E_clISt17integral_constantIbLb0EES19_IbLb1EEEEDaS15_S16_EUlS15_E_NS1_11comp_targetILNS1_3genE5ELNS1_11target_archE942ELNS1_3gpuE9ELNS1_3repE0EEENS1_30default_config_static_selectorELNS0_4arch9wavefront6targetE1EEEvT1_: ; @_ZN7rocprim17ROCPRIM_400000_NS6detail17trampoline_kernelINS0_14default_configENS1_25partition_config_selectorILNS1_17partition_subalgoE9EllbEEZZNS1_14partition_implILS5_9ELb0ES3_jPlS8_PNS0_10empty_typeENS0_5tupleIJS8_S9_EEENSB_IJS8_SA_EEENS0_18inequality_wrapperIZN2at6native12_GLOBAL__N_124unique_dim_cuda_templateIaEESt5tupleIJNSF_6TensorESK_SK_EERKSK_lbbbEUlllE0_EEPmJS9_EEE10hipError_tPvRmT3_T4_T5_T6_T7_T9_mT8_P12ihipStream_tbDpT10_ENKUlT_T0_E_clISt17integral_constantIbLb0EES19_IbLb1EEEEDaS15_S16_EUlS15_E_NS1_11comp_targetILNS1_3genE5ELNS1_11target_archE942ELNS1_3gpuE9ELNS1_3repE0EEENS1_30default_config_static_selectorELNS0_4arch9wavefront6targetE1EEEvT1_
; %bb.0:
	s_load_dwordx4 s[4:7], s[0:1], 0x8
	s_load_dwordx2 s[10:11], s[0:1], 0x18
	s_load_dwordx8 s[20:27], s[0:1], 0x40
	s_load_dwordx4 s[36:39], s[0:1], 0x60
	v_cmp_ne_u32_e64 s[2:3], 0, v0
	v_cmp_eq_u32_e64 s[18:19], 0, v0
	s_and_saveexec_b64 s[8:9], s[18:19]
	s_cbranch_execz .LBB378_4
; %bb.1:
	s_mov_b64 s[14:15], exec
	v_mbcnt_lo_u32_b32 v1, s14, 0
	v_mbcnt_hi_u32_b32 v1, s15, v1
	v_cmp_eq_u32_e32 vcc, 0, v1
                                        ; implicit-def: $vgpr2
	s_and_saveexec_b64 s[12:13], vcc
	s_cbranch_execz .LBB378_3
; %bb.2:
	s_load_dwordx2 s[16:17], s[0:1], 0x78
	s_bcnt1_i32_b64 s14, s[14:15]
	v_mov_b32_e32 v2, 0
	v_mov_b32_e32 v3, s14
	s_waitcnt lgkmcnt(0)
	global_atomic_add v2, v2, v3, s[16:17] sc0
.LBB378_3:
	s_or_b64 exec, exec, s[12:13]
	s_waitcnt vmcnt(0)
	v_readfirstlane_b32 s12, v2
	v_mov_b32_e32 v2, 0
	s_nop 0
	v_add_u32_e32 v1, s12, v1
	ds_write_b32 v2, v1
.LBB378_4:
	s_or_b64 exec, exec, s[8:9]
	v_mov_b32_e32 v3, 0
	s_load_dwordx4 s[28:31], s[0:1], 0x28
	s_load_dword s8, s[0:1], 0x70
	s_waitcnt lgkmcnt(0)
	s_barrier
	ds_read_b32 v1, v3
	s_waitcnt lgkmcnt(0)
	s_barrier
	global_load_dwordx2 v[4:5], v3, s[22:23]
	s_lshl_b64 s[12:13], s[6:7], 3
	s_mul_i32 s14, s8, 0xe00
	s_add_u32 s16, s4, s12
	s_addc_u32 s17, s5, s13
	s_add_i32 s4, s14, s6
	s_sub_i32 s54, s24, s4
	s_add_i32 s15, s8, -1
	s_addk_i32 s54, 0xe00
	s_add_u32 s4, s6, s14
	v_readfirstlane_b32 s33, v1
	s_addc_u32 s5, s7, 0
	v_mov_b32_e32 v6, s24
	v_mov_b32_e32 v7, s25
	s_cmp_eq_u32 s33, s15
	s_mov_b32 s9, 0
	s_mul_i32 s8, s33, 0xe00
	v_cmp_ge_u64_e32 vcc, s[4:5], v[6:7]
	s_cselect_b64 s[24:25], -1, 0
	s_lshl_b64 s[14:15], s[8:9], 3
	s_and_b64 s[8:9], vcc, s[24:25]
	s_xor_b64 s[34:35], s[8:9], -1
	s_add_u32 s4, s16, s14
	s_mov_b64 s[0:1], -1
	s_addc_u32 s5, s17, s15
	s_and_b64 vcc, exec, s[34:35]
	s_waitcnt vmcnt(0)
	v_readfirstlane_b32 s22, v4
	v_readfirstlane_b32 s23, v5
	s_cbranch_vccz .LBB378_6
; %bb.5:
	v_lshlrev_b32_e32 v2, 3, v0
	v_lshl_add_u64 v[4:5], s[4:5], 0, v[2:3]
	v_add_co_u32_e32 v8, vcc, 0x1000, v4
	global_load_dwordx2 v[6:7], v2, s[4:5]
	s_nop 0
	v_addc_co_u32_e32 v9, vcc, 0, v5, vcc
	v_add_co_u32_e32 v10, vcc, 0x2000, v4
	s_mov_b64 s[0:1], 0
	s_nop 0
	v_addc_co_u32_e32 v11, vcc, 0, v5, vcc
	v_add_co_u32_e32 v12, vcc, 0x3000, v4
	s_nop 1
	v_addc_co_u32_e32 v13, vcc, 0, v5, vcc
	v_add_co_u32_e32 v14, vcc, 0x4000, v4
	s_nop 1
	v_addc_co_u32_e32 v15, vcc, 0, v5, vcc
	global_load_dwordx2 v[16:17], v[8:9], off
	global_load_dwordx2 v[18:19], v[10:11], off
	;; [unrolled: 1-line block ×4, first 2 shown]
	v_add_co_u32_e32 v8, vcc, 0x5000, v4
	s_nop 1
	v_addc_co_u32_e32 v9, vcc, 0, v5, vcc
	v_add_co_u32_e32 v4, vcc, 0x6000, v4
	global_load_dwordx2 v[8:9], v[8:9], off
	s_nop 0
	v_addc_co_u32_e32 v5, vcc, 0, v5, vcc
	global_load_dwordx2 v[4:5], v[4:5], off
	s_waitcnt vmcnt(5)
	ds_write2st64_b64 v2, v[6:7], v[16:17] offset1:8
	s_waitcnt vmcnt(3)
	ds_write2st64_b64 v2, v[18:19], v[20:21] offset0:16 offset1:24
	s_waitcnt vmcnt(1)
	ds_write2st64_b64 v2, v[22:23], v[8:9] offset0:32 offset1:40
	s_waitcnt vmcnt(0)
	ds_write_b64 v2, v[4:5] offset:24576
	s_waitcnt lgkmcnt(0)
	s_barrier
.LBB378_6:
	s_andn2_b64 vcc, exec, s[0:1]
	v_cmp_gt_u32_e64 s[0:1], s54, v0
	s_cbranch_vccnz .LBB378_22
; %bb.7:
                                        ; implicit-def: $vgpr2_vgpr3_vgpr4_vgpr5_vgpr6_vgpr7_vgpr8_vgpr9_vgpr10_vgpr11_vgpr12_vgpr13_vgpr14_vgpr15_vgpr16_vgpr17
	s_and_saveexec_b64 s[16:17], s[0:1]
	s_cbranch_execz .LBB378_9
; %bb.8:
	v_lshlrev_b32_e32 v1, 3, v0
	global_load_dwordx2 v[2:3], v1, s[4:5]
.LBB378_9:
	s_or_b64 exec, exec, s[16:17]
	v_or_b32_e32 v1, 0x200, v0
	v_cmp_gt_u32_e32 vcc, s54, v1
	s_and_saveexec_b64 s[0:1], vcc
	s_cbranch_execz .LBB378_11
; %bb.10:
	v_lshlrev_b32_e32 v1, 3, v1
	global_load_dwordx2 v[4:5], v1, s[4:5]
.LBB378_11:
	s_or_b64 exec, exec, s[0:1]
	v_or_b32_e32 v1, 0x400, v0
	v_cmp_gt_u32_e32 vcc, s54, v1
	s_and_saveexec_b64 s[0:1], vcc
	;; [unrolled: 9-line block ×6, first 2 shown]
	s_cbranch_execz .LBB378_21
; %bb.20:
	v_lshlrev_b32_e32 v1, 3, v1
	global_load_dwordx2 v[14:15], v1, s[4:5]
.LBB378_21:
	s_or_b64 exec, exec, s[0:1]
	v_lshlrev_b32_e32 v1, 3, v0
	s_waitcnt vmcnt(0)
	ds_write2st64_b64 v1, v[2:3], v[4:5] offset1:8
	ds_write2st64_b64 v1, v[6:7], v[8:9] offset0:16 offset1:24
	ds_write2st64_b64 v1, v[10:11], v[12:13] offset0:32 offset1:40
	ds_write_b64 v1, v[14:15] offset:24576
	s_waitcnt lgkmcnt(0)
	s_barrier
.LBB378_22:
	v_mul_u32_u24_e32 v1, 7, v0
	v_lshlrev_b32_e32 v44, 3, v1
	ds_read2_b64 v[22:25], v44 offset1:1
	ds_read2_b64 v[18:21], v44 offset0:2 offset1:3
	ds_read2_b64 v[14:17], v44 offset0:4 offset1:5
	ds_read_b64 v[28:29], v44 offset:48
	s_add_u32 s0, s10, s12
	s_addc_u32 s1, s11, s13
	s_add_u32 s0, s0, s14
	s_addc_u32 s1, s1, s15
	s_mov_b64 s[10:11], -1
	s_and_b64 vcc, exec, s[34:35]
	s_waitcnt lgkmcnt(0)
	s_barrier
	s_cbranch_vccz .LBB378_24
; %bb.23:
	v_lshlrev_b32_e32 v2, 3, v0
	v_mov_b32_e32 v3, 0
	v_lshl_add_u64 v[4:5], s[0:1], 0, v[2:3]
	v_add_co_u32_e32 v8, vcc, 0x1000, v4
	global_load_dwordx2 v[6:7], v2, s[0:1]
	s_nop 0
	v_addc_co_u32_e32 v9, vcc, 0, v5, vcc
	v_add_co_u32_e32 v10, vcc, 0x2000, v4
	s_mov_b64 s[10:11], 0
	s_nop 0
	v_addc_co_u32_e32 v11, vcc, 0, v5, vcc
	v_add_co_u32_e32 v12, vcc, 0x3000, v4
	s_nop 1
	v_addc_co_u32_e32 v13, vcc, 0, v5, vcc
	v_add_co_u32_e32 v26, vcc, 0x4000, v4
	s_nop 1
	v_addc_co_u32_e32 v27, vcc, 0, v5, vcc
	global_load_dwordx2 v[30:31], v[8:9], off
	global_load_dwordx2 v[32:33], v[10:11], off
	;; [unrolled: 1-line block ×4, first 2 shown]
	v_add_co_u32_e32 v8, vcc, 0x5000, v4
	s_nop 1
	v_addc_co_u32_e32 v9, vcc, 0, v5, vcc
	v_add_co_u32_e32 v4, vcc, 0x6000, v4
	global_load_dwordx2 v[8:9], v[8:9], off
	s_nop 0
	v_addc_co_u32_e32 v5, vcc, 0, v5, vcc
	global_load_dwordx2 v[4:5], v[4:5], off
	s_waitcnt vmcnt(5)
	ds_write2st64_b64 v2, v[6:7], v[30:31] offset1:8
	s_waitcnt vmcnt(3)
	ds_write2st64_b64 v2, v[32:33], v[34:35] offset0:16 offset1:24
	s_waitcnt vmcnt(1)
	ds_write2st64_b64 v2, v[36:37], v[8:9] offset0:32 offset1:40
	s_waitcnt vmcnt(0)
	ds_write_b64 v2, v[4:5] offset:24576
	s_waitcnt lgkmcnt(0)
	s_barrier
.LBB378_24:
	s_andn2_b64 vcc, exec, s[10:11]
	s_cbranch_vccnz .LBB378_40
; %bb.25:
	v_cmp_gt_u32_e32 vcc, s54, v0
                                        ; implicit-def: $vgpr2_vgpr3
	s_and_saveexec_b64 s[10:11], vcc
	s_cbranch_execz .LBB378_27
; %bb.26:
	v_lshlrev_b32_e32 v2, 3, v0
	global_load_dwordx2 v[2:3], v2, s[0:1]
.LBB378_27:
	s_or_b64 exec, exec, s[10:11]
	v_or_b32_e32 v6, 0x200, v0
	v_cmp_gt_u32_e32 vcc, s54, v6
                                        ; implicit-def: $vgpr4_vgpr5
	s_and_saveexec_b64 s[10:11], vcc
	s_cbranch_execz .LBB378_29
; %bb.28:
	v_lshlrev_b32_e32 v4, 3, v6
	global_load_dwordx2 v[4:5], v4, s[0:1]
.LBB378_29:
	s_or_b64 exec, exec, s[10:11]
	v_or_b32_e32 v8, 0x400, v0
	v_cmp_gt_u32_e32 vcc, s54, v8
                                        ; implicit-def: $vgpr6_vgpr7
	s_and_saveexec_b64 s[10:11], vcc
	s_cbranch_execz .LBB378_31
; %bb.30:
	v_lshlrev_b32_e32 v6, 3, v8
	global_load_dwordx2 v[6:7], v6, s[0:1]
.LBB378_31:
	s_or_b64 exec, exec, s[10:11]
	v_or_b32_e32 v10, 0x600, v0
	v_cmp_gt_u32_e32 vcc, s54, v10
                                        ; implicit-def: $vgpr8_vgpr9
	s_and_saveexec_b64 s[10:11], vcc
	s_cbranch_execz .LBB378_33
; %bb.32:
	v_lshlrev_b32_e32 v8, 3, v10
	global_load_dwordx2 v[8:9], v8, s[0:1]
.LBB378_33:
	s_or_b64 exec, exec, s[10:11]
	v_or_b32_e32 v12, 0x800, v0
	v_cmp_gt_u32_e32 vcc, s54, v12
                                        ; implicit-def: $vgpr10_vgpr11
	s_and_saveexec_b64 s[10:11], vcc
	s_cbranch_execz .LBB378_35
; %bb.34:
	v_lshlrev_b32_e32 v10, 3, v12
	global_load_dwordx2 v[10:11], v10, s[0:1]
.LBB378_35:
	s_or_b64 exec, exec, s[10:11]
	v_or_b32_e32 v26, 0xa00, v0
	v_cmp_gt_u32_e32 vcc, s54, v26
                                        ; implicit-def: $vgpr12_vgpr13
	s_and_saveexec_b64 s[10:11], vcc
	s_cbranch_execz .LBB378_37
; %bb.36:
	v_lshlrev_b32_e32 v12, 3, v26
	global_load_dwordx2 v[12:13], v12, s[0:1]
.LBB378_37:
	s_or_b64 exec, exec, s[10:11]
	v_or_b32_e32 v30, 0xc00, v0
	v_cmp_gt_u32_e32 vcc, s54, v30
                                        ; implicit-def: $vgpr26_vgpr27
	s_and_saveexec_b64 s[10:11], vcc
	s_cbranch_execz .LBB378_39
; %bb.38:
	v_lshlrev_b32_e32 v26, 3, v30
	global_load_dwordx2 v[26:27], v26, s[0:1]
.LBB378_39:
	s_or_b64 exec, exec, s[10:11]
	s_movk_i32 s0, 0xffd0
	v_mad_i32_i24 v30, v0, s0, v44
	s_waitcnt vmcnt(0)
	ds_write2st64_b64 v30, v[2:3], v[4:5] offset1:8
	ds_write2st64_b64 v30, v[6:7], v[8:9] offset0:16 offset1:24
	ds_write2st64_b64 v30, v[10:11], v[12:13] offset0:32 offset1:40
	ds_write_b64 v30, v[26:27] offset:24576
	s_waitcnt lgkmcnt(0)
	s_barrier
.LBB378_40:
	ds_read2_b64 v[10:13], v44 offset1:1
	ds_read2_b64 v[6:9], v44 offset0:2 offset1:3
	ds_read2_b64 v[2:5], v44 offset0:4 offset1:5
	ds_read_b64 v[26:27], v44 offset:48
	s_cmp_lg_u32 s33, 0
	s_cselect_b64 s[0:1], -1, 0
	s_cmp_lg_u64 s[6:7], 0
	s_cselect_b64 s[6:7], -1, 0
	s_or_b64 s[6:7], s[6:7], s[0:1]
	v_add_u32_e32 v41, 1, v1
	v_add_u32_e32 v38, 2, v1
	;; [unrolled: 1-line block ×6, first 2 shown]
	s_mov_b64 s[10:11], 0
	s_and_b64 vcc, exec, s[6:7]
	v_cmp_gt_i64_e64 s[12:13], s[26:27], 0
	s_waitcnt lgkmcnt(0)
	s_barrier
	s_cbranch_vccz .LBB378_49
; %bb.41:
	v_mov_b32_e32 v30, 0
	global_load_dwordx2 v[30:31], v30, s[4:5] offset:-8
	v_cndmask_b32_e64 v32, 0, 1, s[12:13]
	v_lshlrev_b32_e32 v45, 3, v0
	s_mov_b64 s[6:7], 0
	s_and_b64 vcc, exec, s[34:35]
	v_cmp_ne_u32_e64 s[4:5], 1, v32
	ds_write_b64 v45, v[28:29]
	s_cbranch_vccz .LBB378_51
; %bb.42:
	v_mul_lo_u32 v34, v17, s26
	v_mul_lo_u32 v35, v16, s27
	v_mad_u64_u32 v[32:33], s[10:11], v16, s26, 0
	v_add3_u32 v33, v33, v35, v34
	s_and_b64 vcc, exec, s[4:5]
	v_lshl_add_u64 v[32:33], s[36:37], 0, v[32:33]
	s_cbranch_vccnz .LBB378_54
; %bb.43:
	v_mov_b64_e32 v[34:35], s[36:37]
	v_mad_u64_u32 v[34:35], s[6:7], v28, s26, v[34:35]
	v_mul_lo_u32 v36, v28, s27
	v_mul_lo_u32 v37, v29, s26
	v_add3_u32 v35, v37, v35, v36
	global_load_ubyte v36, v[32:33], off
	global_load_ubyte v37, v[34:35], off
	s_mov_b64 s[6:7], -1
	s_waitcnt vmcnt(0)
	v_cmp_eq_u16_e32 vcc, v36, v37
	s_and_saveexec_b64 s[10:11], vcc
	s_cbranch_execz .LBB378_53
; %bb.44:
	s_mov_b64 s[14:15], 1
	s_mov_b64 s[6:7], 0
                                        ; implicit-def: $sgpr12_sgpr13
	s_branch .LBB378_47
.LBB378_45:                             ;   in Loop: Header=BB378_47 Depth=1
	v_lshl_add_u64 v[36:37], v[32:33], 0, s[14:15]
	v_lshl_add_u64 v[46:47], v[34:35], 0, s[14:15]
	global_load_ubyte v48, v[36:37], off
	global_load_ubyte v49, v[46:47], off
	s_add_u32 s16, s14, 1
	s_addc_u32 s17, s15, 0
	s_andn2_b64 s[12:13], s[12:13], exec
	s_waitcnt vmcnt(0)
	v_cmp_ne_u16_e32 vcc, v48, v49
	s_and_b64 s[40:41], vcc, exec
	s_or_b64 s[12:13], s[12:13], s[40:41]
.LBB378_46:                             ;   in Loop: Header=BB378_47 Depth=1
	s_and_b64 s[40:41], exec, s[12:13]
	s_or_b64 s[6:7], s[40:41], s[6:7]
	v_mov_b64_e32 v[36:37], s[14:15]
	s_mov_b64 s[14:15], s[16:17]
	s_andn2_b64 exec, exec, s[6:7]
	s_cbranch_execz .LBB378_52
.LBB378_47:                             ; =>This Inner Loop Header: Depth=1
	s_or_b64 s[12:13], s[12:13], exec
	s_cmp_eq_u64 s[26:27], s[14:15]
	s_cbranch_scc0 .LBB378_45
; %bb.48:                               ;   in Loop: Header=BB378_47 Depth=1
                                        ; implicit-def: $sgpr16_sgpr17
	s_mov_b64 s[14:15], s[26:27]
	s_branch .LBB378_46
.LBB378_49:
                                        ; implicit-def: $sgpr14_sgpr15
                                        ; implicit-def: $vgpr48
                                        ; implicit-def: $vgpr47
                                        ; implicit-def: $vgpr46
                                        ; implicit-def: $vgpr34
	s_branch .LBB378_192
.LBB378_50:
                                        ; implicit-def: $vgpr30_vgpr31
	s_branch .LBB378_340
.LBB378_51:
                                        ; implicit-def: $sgpr14_sgpr15
                                        ; implicit-def: $vgpr48
                                        ; implicit-def: $vgpr47
                                        ; implicit-def: $vgpr46
                                        ; implicit-def: $vgpr34
	s_cbranch_execnz .LBB378_111
	s_branch .LBB378_191
.LBB378_52:
	s_or_b64 exec, exec, s[6:7]
	v_cmp_gt_i64_e32 vcc, s[26:27], v[36:37]
	s_orn2_b64 s[6:7], vcc, exec
.LBB378_53:
	s_or_b64 exec, exec, s[10:11]
.LBB378_54:
	v_mul_lo_u32 v36, v15, s26
	v_mul_lo_u32 v37, v14, s27
	v_mad_u64_u32 v[34:35], s[10:11], v14, s26, 0
	v_add3_u32 v35, v35, v37, v36
	s_mov_b64 s[10:11], 0
	s_and_b64 vcc, exec, s[4:5]
	v_lshl_add_u64 v[34:35], s[36:37], 0, v[34:35]
	s_mov_b64 s[12:13], 0
	s_cbranch_vccnz .LBB378_63
; %bb.55:
	global_load_ubyte v36, v[34:35], off
	global_load_ubyte v37, v[32:33], off
	s_mov_b64 s[12:13], -1
	s_waitcnt vmcnt(0)
	v_cmp_eq_u16_e32 vcc, v36, v37
	s_and_saveexec_b64 s[14:15], vcc
	s_cbranch_execz .LBB378_62
; %bb.56:
	s_mov_b64 s[40:41], 1
	s_mov_b64 s[12:13], 0
                                        ; implicit-def: $sgpr16_sgpr17
	s_branch .LBB378_59
.LBB378_57:                             ;   in Loop: Header=BB378_59 Depth=1
	v_lshl_add_u64 v[36:37], v[34:35], 0, s[40:41]
	v_lshl_add_u64 v[46:47], v[32:33], 0, s[40:41]
	global_load_ubyte v48, v[36:37], off
	global_load_ubyte v49, v[46:47], off
	s_add_u32 s42, s40, 1
	s_addc_u32 s43, s41, 0
	s_andn2_b64 s[16:17], s[16:17], exec
	s_waitcnt vmcnt(0)
	v_cmp_ne_u16_e32 vcc, v48, v49
	s_and_b64 s[44:45], vcc, exec
	s_or_b64 s[16:17], s[16:17], s[44:45]
.LBB378_58:                             ;   in Loop: Header=BB378_59 Depth=1
	s_and_b64 s[44:45], exec, s[16:17]
	s_or_b64 s[12:13], s[44:45], s[12:13]
	v_mov_b64_e32 v[36:37], s[40:41]
	s_mov_b64 s[40:41], s[42:43]
	s_andn2_b64 exec, exec, s[12:13]
	s_cbranch_execz .LBB378_61
.LBB378_59:                             ; =>This Inner Loop Header: Depth=1
	s_or_b64 s[16:17], s[16:17], exec
	s_cmp_eq_u64 s[26:27], s[40:41]
	s_cbranch_scc0 .LBB378_57
; %bb.60:                               ;   in Loop: Header=BB378_59 Depth=1
                                        ; implicit-def: $sgpr42_sgpr43
	s_mov_b64 s[40:41], s[26:27]
	s_branch .LBB378_58
.LBB378_61:
	s_or_b64 exec, exec, s[12:13]
	v_cmp_gt_i64_e32 vcc, s[26:27], v[36:37]
	s_orn2_b64 s[12:13], vcc, exec
.LBB378_62:
	s_or_b64 exec, exec, s[14:15]
.LBB378_63:
	v_mul_lo_u32 v36, v21, s26
	v_mul_lo_u32 v37, v20, s27
	v_mad_u64_u32 v[32:33], s[14:15], v20, s26, 0
	v_add3_u32 v33, v33, v37, v36
	s_and_b64 vcc, exec, s[4:5]
	v_lshl_add_u64 v[32:33], s[36:37], 0, v[32:33]
	s_cbranch_vccnz .LBB378_72
; %bb.64:
	global_load_ubyte v36, v[32:33], off
	global_load_ubyte v37, v[34:35], off
	s_mov_b64 s[10:11], -1
	s_waitcnt vmcnt(0)
	v_cmp_eq_u16_e32 vcc, v36, v37
	s_and_saveexec_b64 s[14:15], vcc
	s_cbranch_execz .LBB378_71
; %bb.65:
	s_mov_b64 s[40:41], 1
	s_mov_b64 s[10:11], 0
                                        ; implicit-def: $sgpr16_sgpr17
	s_branch .LBB378_68
.LBB378_66:                             ;   in Loop: Header=BB378_68 Depth=1
	v_lshl_add_u64 v[36:37], v[32:33], 0, s[40:41]
	v_lshl_add_u64 v[46:47], v[34:35], 0, s[40:41]
	global_load_ubyte v48, v[36:37], off
	global_load_ubyte v49, v[46:47], off
	s_add_u32 s42, s40, 1
	s_addc_u32 s43, s41, 0
	s_andn2_b64 s[16:17], s[16:17], exec
	s_waitcnt vmcnt(0)
	v_cmp_ne_u16_e32 vcc, v48, v49
	s_and_b64 s[44:45], vcc, exec
	s_or_b64 s[16:17], s[16:17], s[44:45]
.LBB378_67:                             ;   in Loop: Header=BB378_68 Depth=1
	s_and_b64 s[44:45], exec, s[16:17]
	s_or_b64 s[10:11], s[44:45], s[10:11]
	v_mov_b64_e32 v[36:37], s[40:41]
	s_mov_b64 s[40:41], s[42:43]
	s_andn2_b64 exec, exec, s[10:11]
	s_cbranch_execz .LBB378_70
.LBB378_68:                             ; =>This Inner Loop Header: Depth=1
	s_or_b64 s[16:17], s[16:17], exec
	s_cmp_eq_u64 s[26:27], s[40:41]
	s_cbranch_scc0 .LBB378_66
; %bb.69:                               ;   in Loop: Header=BB378_68 Depth=1
                                        ; implicit-def: $sgpr42_sgpr43
	s_mov_b64 s[40:41], s[26:27]
	s_branch .LBB378_67
.LBB378_70:
	s_or_b64 exec, exec, s[10:11]
	v_cmp_gt_i64_e32 vcc, s[26:27], v[36:37]
	s_orn2_b64 s[10:11], vcc, exec
.LBB378_71:
	s_or_b64 exec, exec, s[14:15]
.LBB378_72:
	v_mul_lo_u32 v36, v19, s26
	v_mul_lo_u32 v37, v18, s27
	v_mad_u64_u32 v[34:35], s[14:15], v18, s26, 0
	v_add3_u32 v35, v35, v37, v36
	s_mov_b64 s[14:15], 0
	s_and_b64 vcc, exec, s[4:5]
	v_lshl_add_u64 v[36:37], s[36:37], 0, v[34:35]
	s_mov_b64 s[16:17], 0
	s_cbranch_vccnz .LBB378_81
; %bb.73:
	global_load_ubyte v34, v[36:37], off
	global_load_ubyte v35, v[32:33], off
	s_mov_b64 s[16:17], -1
	s_waitcnt vmcnt(0)
	v_cmp_eq_u16_e32 vcc, v34, v35
	s_and_saveexec_b64 s[40:41], vcc
	s_cbranch_execz .LBB378_80
; %bb.74:
	s_mov_b64 s[44:45], 1
	s_mov_b64 s[16:17], 0
                                        ; implicit-def: $sgpr42_sgpr43
	s_branch .LBB378_77
.LBB378_75:                             ;   in Loop: Header=BB378_77 Depth=1
	v_lshl_add_u64 v[34:35], v[36:37], 0, s[44:45]
	v_lshl_add_u64 v[46:47], v[32:33], 0, s[44:45]
	global_load_ubyte v48, v[34:35], off
	global_load_ubyte v49, v[46:47], off
	s_add_u32 s46, s44, 1
	s_addc_u32 s47, s45, 0
	s_andn2_b64 s[42:43], s[42:43], exec
	s_waitcnt vmcnt(0)
	v_cmp_ne_u16_e32 vcc, v48, v49
	s_and_b64 s[48:49], vcc, exec
	s_or_b64 s[42:43], s[42:43], s[48:49]
.LBB378_76:                             ;   in Loop: Header=BB378_77 Depth=1
	s_and_b64 s[48:49], exec, s[42:43]
	s_or_b64 s[16:17], s[48:49], s[16:17]
	v_mov_b64_e32 v[34:35], s[44:45]
	s_mov_b64 s[44:45], s[46:47]
	s_andn2_b64 exec, exec, s[16:17]
	s_cbranch_execz .LBB378_79
.LBB378_77:                             ; =>This Inner Loop Header: Depth=1
	s_or_b64 s[42:43], s[42:43], exec
	s_cmp_eq_u64 s[26:27], s[44:45]
	s_cbranch_scc0 .LBB378_75
; %bb.78:                               ;   in Loop: Header=BB378_77 Depth=1
                                        ; implicit-def: $sgpr46_sgpr47
	s_mov_b64 s[44:45], s[26:27]
	s_branch .LBB378_76
.LBB378_79:
	s_or_b64 exec, exec, s[16:17]
	v_cmp_gt_i64_e32 vcc, s[26:27], v[34:35]
	s_orn2_b64 s[16:17], vcc, exec
.LBB378_80:
	s_or_b64 exec, exec, s[40:41]
.LBB378_81:
	v_mul_lo_u32 v34, v25, s26
	v_mul_lo_u32 v35, v24, s27
	v_mad_u64_u32 v[32:33], s[40:41], v24, s26, 0
	v_add3_u32 v33, v33, v35, v34
	s_and_b64 vcc, exec, s[4:5]
	v_lshl_add_u64 v[34:35], s[36:37], 0, v[32:33]
	s_cbranch_vccnz .LBB378_90
; %bb.82:
	global_load_ubyte v32, v[34:35], off
	global_load_ubyte v33, v[36:37], off
	s_mov_b64 s[14:15], -1
	s_waitcnt vmcnt(0)
	v_cmp_eq_u16_e32 vcc, v32, v33
	s_and_saveexec_b64 s[40:41], vcc
	s_cbranch_execz .LBB378_89
; %bb.83:
	s_mov_b64 s[44:45], 1
	s_mov_b64 s[14:15], 0
                                        ; implicit-def: $sgpr42_sgpr43
	s_branch .LBB378_86
.LBB378_84:                             ;   in Loop: Header=BB378_86 Depth=1
	v_lshl_add_u64 v[32:33], v[34:35], 0, s[44:45]
	v_lshl_add_u64 v[46:47], v[36:37], 0, s[44:45]
	global_load_ubyte v48, v[32:33], off
	global_load_ubyte v49, v[46:47], off
	s_add_u32 s46, s44, 1
	s_addc_u32 s47, s45, 0
	s_andn2_b64 s[42:43], s[42:43], exec
	s_waitcnt vmcnt(0)
	v_cmp_ne_u16_e32 vcc, v48, v49
	s_and_b64 s[48:49], vcc, exec
	s_or_b64 s[42:43], s[42:43], s[48:49]
.LBB378_85:                             ;   in Loop: Header=BB378_86 Depth=1
	s_and_b64 s[48:49], exec, s[42:43]
	s_or_b64 s[14:15], s[48:49], s[14:15]
	v_mov_b64_e32 v[32:33], s[44:45]
	s_mov_b64 s[44:45], s[46:47]
	s_andn2_b64 exec, exec, s[14:15]
	s_cbranch_execz .LBB378_88
.LBB378_86:                             ; =>This Inner Loop Header: Depth=1
	s_or_b64 s[42:43], s[42:43], exec
	s_cmp_eq_u64 s[26:27], s[44:45]
	s_cbranch_scc0 .LBB378_84
; %bb.87:                               ;   in Loop: Header=BB378_86 Depth=1
                                        ; implicit-def: $sgpr46_sgpr47
	s_mov_b64 s[44:45], s[26:27]
	s_branch .LBB378_85
.LBB378_88:
	s_or_b64 exec, exec, s[14:15]
	v_cmp_gt_i64_e32 vcc, s[26:27], v[32:33]
	s_orn2_b64 s[14:15], vcc, exec
.LBB378_89:
	s_or_b64 exec, exec, s[40:41]
.LBB378_90:
	v_mul_lo_u32 v36, v23, s26
	v_mul_lo_u32 v37, v22, s27
	v_mad_u64_u32 v[32:33], s[40:41], v22, s26, 0
	v_add3_u32 v33, v33, v37, v36
	s_mov_b64 s[42:43], 0
	s_and_b64 vcc, exec, s[4:5]
	v_lshl_add_u64 v[32:33], s[36:37], 0, v[32:33]
	s_cbranch_vccnz .LBB378_99
; %bb.91:
	global_load_ubyte v36, v[32:33], off
	global_load_ubyte v37, v[34:35], off
	s_mov_b64 s[42:43], -1
	s_waitcnt vmcnt(0)
	v_cmp_eq_u16_e32 vcc, v36, v37
	s_and_saveexec_b64 s[40:41], vcc
	s_cbranch_execz .LBB378_98
; %bb.92:
	s_mov_b64 s[46:47], 1
	s_mov_b64 s[42:43], 0
                                        ; implicit-def: $sgpr44_sgpr45
	s_branch .LBB378_95
.LBB378_93:                             ;   in Loop: Header=BB378_95 Depth=1
	v_lshl_add_u64 v[36:37], v[32:33], 0, s[46:47]
	v_lshl_add_u64 v[46:47], v[34:35], 0, s[46:47]
	global_load_ubyte v48, v[36:37], off
	global_load_ubyte v49, v[46:47], off
	s_add_u32 s48, s46, 1
	s_addc_u32 s49, s47, 0
	s_andn2_b64 s[44:45], s[44:45], exec
	s_waitcnt vmcnt(0)
	v_cmp_ne_u16_e32 vcc, v48, v49
	s_and_b64 s[50:51], vcc, exec
	s_or_b64 s[44:45], s[44:45], s[50:51]
.LBB378_94:                             ;   in Loop: Header=BB378_95 Depth=1
	s_and_b64 s[50:51], exec, s[44:45]
	s_or_b64 s[42:43], s[50:51], s[42:43]
	v_mov_b64_e32 v[36:37], s[46:47]
	s_mov_b64 s[46:47], s[48:49]
	s_andn2_b64 exec, exec, s[42:43]
	s_cbranch_execz .LBB378_97
.LBB378_95:                             ; =>This Inner Loop Header: Depth=1
	s_or_b64 s[44:45], s[44:45], exec
	s_cmp_eq_u64 s[26:27], s[46:47]
	s_cbranch_scc0 .LBB378_93
; %bb.96:                               ;   in Loop: Header=BB378_95 Depth=1
                                        ; implicit-def: $sgpr48_sgpr49
	s_mov_b64 s[46:47], s[26:27]
	s_branch .LBB378_94
.LBB378_97:
	s_or_b64 exec, exec, s[42:43]
	v_cmp_gt_i64_e32 vcc, s[26:27], v[36:37]
	s_orn2_b64 s[42:43], vcc, exec
.LBB378_98:
	s_or_b64 exec, exec, s[40:41]
.LBB378_99:
	s_waitcnt vmcnt(0)
	v_mov_b64_e32 v[36:37], v[30:31]
	s_waitcnt lgkmcnt(0)
	s_barrier
	s_and_saveexec_b64 s[40:41], s[2:3]
	s_cbranch_execz .LBB378_101
; %bb.100:
	v_add_u32_e32 v34, -8, v45
	ds_read_b64 v[36:37], v34
.LBB378_101:
	s_or_b64 exec, exec, s[40:41]
	v_cndmask_b32_e64 v35, 0, 1, s[16:17]
	v_cndmask_b32_e64 v34, 0, 1, s[14:15]
	v_cndmask_b32_e64 v46, 0, 1, s[42:43]
	v_lshlrev_b16_e32 v35, 8, v35
	v_lshlrev_b16_e32 v49, 8, v46
	v_or_b32_sdwa v50, v34, v35 dst_sel:WORD_1 dst_unused:UNUSED_PAD src0_sel:DWORD src1_sel:DWORD
	s_mov_b64 s[16:17], 0
	s_and_b64 vcc, exec, s[4:5]
	s_mov_b64 s[14:15], 0
	s_cbranch_vccnz .LBB378_110
; %bb.102:
	v_mov_b64_e32 v[34:35], s[36:37]
	s_waitcnt lgkmcnt(0)
	v_mad_u64_u32 v[34:35], s[14:15], v36, s26, v[34:35]
	v_mul_lo_u32 v36, v36, s27
	v_mul_lo_u32 v37, v37, s26
	v_add3_u32 v35, v37, v35, v36
	global_load_ubyte v36, v[34:35], off
	global_load_ubyte v37, v[32:33], off
	s_mov_b64 s[14:15], -1
	s_waitcnt vmcnt(0)
	v_cmp_eq_u16_e32 vcc, v36, v37
	s_and_saveexec_b64 s[40:41], vcc
	s_cbranch_execz .LBB378_109
; %bb.103:
	s_mov_b64 s[44:45], 1
	s_mov_b64 s[14:15], 0
                                        ; implicit-def: $sgpr42_sgpr43
	s_branch .LBB378_106
.LBB378_104:                            ;   in Loop: Header=BB378_106 Depth=1
	v_lshl_add_u64 v[36:37], v[34:35], 0, s[44:45]
	v_lshl_add_u64 v[46:47], v[32:33], 0, s[44:45]
	global_load_ubyte v48, v[36:37], off
	global_load_ubyte v51, v[46:47], off
	s_add_u32 s46, s44, 1
	s_addc_u32 s47, s45, 0
	s_andn2_b64 s[42:43], s[42:43], exec
	s_waitcnt vmcnt(0)
	v_cmp_ne_u16_e32 vcc, v48, v51
	s_and_b64 s[48:49], vcc, exec
	s_or_b64 s[42:43], s[42:43], s[48:49]
.LBB378_105:                            ;   in Loop: Header=BB378_106 Depth=1
	s_and_b64 s[48:49], exec, s[42:43]
	s_or_b64 s[14:15], s[48:49], s[14:15]
	v_mov_b64_e32 v[36:37], s[44:45]
	s_mov_b64 s[44:45], s[46:47]
	s_andn2_b64 exec, exec, s[14:15]
	s_cbranch_execz .LBB378_108
.LBB378_106:                            ; =>This Inner Loop Header: Depth=1
	s_or_b64 s[42:43], s[42:43], exec
	s_cmp_eq_u64 s[26:27], s[44:45]
	s_cbranch_scc0 .LBB378_104
; %bb.107:                              ;   in Loop: Header=BB378_106 Depth=1
                                        ; implicit-def: $sgpr46_sgpr47
	s_mov_b64 s[44:45], s[26:27]
	s_branch .LBB378_105
.LBB378_108:
	s_or_b64 exec, exec, s[14:15]
	v_cmp_gt_i64_e32 vcc, s[26:27], v[36:37]
	s_orn2_b64 s[14:15], vcc, exec
.LBB378_109:
	s_or_b64 exec, exec, s[40:41]
.LBB378_110:
	v_cndmask_b32_e64 v46, 0, 1, s[10:11]
	v_cndmask_b32_e64 v47, 0, 1, s[12:13]
	;; [unrolled: 1-line block ×3, first 2 shown]
	v_or_b32_e32 v34, v49, v50
	s_and_b64 vcc, exec, s[16:17]
	s_cbranch_vccz .LBB378_191
.LBB378_111:
	v_cmp_gt_u32_e32 vcc, s54, v40
	s_mov_b64 s[10:11], 0
	s_mov_b64 s[6:7], 0
	s_and_saveexec_b64 s[12:13], vcc
	s_cbranch_execz .LBB378_122
; %bb.112:
	s_and_b64 vcc, exec, s[4:5]
	s_mov_b64 s[14:15], 0
	s_cbranch_vccnz .LBB378_121
; %bb.113:
	v_mov_b64_e32 v[34:35], s[36:37]
	v_mad_u64_u32 v[32:33], s[6:7], v16, s26, v[34:35]
	s_waitcnt lgkmcnt(0)
	v_mul_lo_u32 v36, v16, s27
	v_mul_lo_u32 v37, v17, s26
	v_add3_u32 v33, v37, v33, v36
	v_mad_u64_u32 v[34:35], s[6:7], v28, s26, v[34:35]
	v_mul_lo_u32 v36, v28, s27
	v_mul_lo_u32 v37, v29, s26
	v_add3_u32 v35, v37, v35, v36
	global_load_ubyte v36, v[32:33], off
	global_load_ubyte v37, v[34:35], off
	s_mov_b64 s[14:15], -1
	s_waitcnt vmcnt(0)
	v_cmp_eq_u16_e32 vcc, v36, v37
	s_and_saveexec_b64 s[6:7], vcc
	s_cbranch_execz .LBB378_120
; %bb.114:
	s_mov_b64 s[40:41], 1
	s_mov_b64 s[14:15], 0
                                        ; implicit-def: $sgpr16_sgpr17
	s_branch .LBB378_117
.LBB378_115:                            ;   in Loop: Header=BB378_117 Depth=1
	v_lshl_add_u64 v[36:37], v[32:33], 0, s[40:41]
	v_lshl_add_u64 v[46:47], v[34:35], 0, s[40:41]
	global_load_ubyte v48, v[36:37], off
	global_load_ubyte v49, v[46:47], off
	s_add_u32 s42, s40, 1
	s_addc_u32 s43, s41, 0
	s_andn2_b64 s[16:17], s[16:17], exec
	s_waitcnt vmcnt(0)
	v_cmp_ne_u16_e32 vcc, v48, v49
	s_and_b64 s[44:45], vcc, exec
	s_or_b64 s[16:17], s[16:17], s[44:45]
.LBB378_116:                            ;   in Loop: Header=BB378_117 Depth=1
	s_and_b64 s[44:45], exec, s[16:17]
	s_or_b64 s[14:15], s[44:45], s[14:15]
	v_mov_b64_e32 v[36:37], s[40:41]
	s_mov_b64 s[40:41], s[42:43]
	s_andn2_b64 exec, exec, s[14:15]
	s_cbranch_execz .LBB378_119
.LBB378_117:                            ; =>This Inner Loop Header: Depth=1
	s_or_b64 s[16:17], s[16:17], exec
	s_cmp_eq_u64 s[26:27], s[40:41]
	s_cbranch_scc0 .LBB378_115
; %bb.118:                              ;   in Loop: Header=BB378_117 Depth=1
                                        ; implicit-def: $sgpr42_sgpr43
	s_mov_b64 s[40:41], s[26:27]
	s_branch .LBB378_116
.LBB378_119:
	s_or_b64 exec, exec, s[14:15]
	v_cmp_gt_i64_e32 vcc, s[26:27], v[36:37]
	s_orn2_b64 s[14:15], vcc, exec
.LBB378_120:
	s_or_b64 exec, exec, s[6:7]
.LBB378_121:
	s_and_b64 s[6:7], s[14:15], exec
.LBB378_122:
	s_or_b64 exec, exec, s[12:13]
	v_cmp_gt_u32_e32 vcc, s54, v43
	s_and_saveexec_b64 s[12:13], vcc
	s_cbranch_execz .LBB378_133
; %bb.123:
	s_and_b64 vcc, exec, s[4:5]
	s_mov_b64 s[14:15], 0
	s_cbranch_vccnz .LBB378_132
; %bb.124:
	v_mov_b64_e32 v[34:35], s[36:37]
	v_mad_u64_u32 v[32:33], s[10:11], v14, s26, v[34:35]
	s_waitcnt lgkmcnt(0)
	v_mul_lo_u32 v36, v14, s27
	v_mul_lo_u32 v37, v15, s26
	v_add3_u32 v33, v37, v33, v36
	v_mad_u64_u32 v[34:35], s[10:11], v16, s26, v[34:35]
	v_mul_lo_u32 v36, v16, s27
	v_mul_lo_u32 v37, v17, s26
	v_add3_u32 v35, v37, v35, v36
	global_load_ubyte v36, v[32:33], off
	global_load_ubyte v37, v[34:35], off
	s_mov_b64 s[14:15], -1
	s_waitcnt vmcnt(0)
	v_cmp_eq_u16_e32 vcc, v36, v37
	s_and_saveexec_b64 s[10:11], vcc
	s_cbranch_execz .LBB378_131
; %bb.125:
	s_mov_b64 s[40:41], 1
	s_mov_b64 s[14:15], 0
                                        ; implicit-def: $sgpr16_sgpr17
	s_branch .LBB378_128
.LBB378_126:                            ;   in Loop: Header=BB378_128 Depth=1
	v_lshl_add_u64 v[36:37], v[32:33], 0, s[40:41]
	v_lshl_add_u64 v[46:47], v[34:35], 0, s[40:41]
	global_load_ubyte v48, v[36:37], off
	global_load_ubyte v49, v[46:47], off
	s_add_u32 s42, s40, 1
	s_addc_u32 s43, s41, 0
	s_andn2_b64 s[16:17], s[16:17], exec
	s_waitcnt vmcnt(0)
	v_cmp_ne_u16_e32 vcc, v48, v49
	s_and_b64 s[44:45], vcc, exec
	s_or_b64 s[16:17], s[16:17], s[44:45]
.LBB378_127:                            ;   in Loop: Header=BB378_128 Depth=1
	s_and_b64 s[44:45], exec, s[16:17]
	s_or_b64 s[14:15], s[44:45], s[14:15]
	v_mov_b64_e32 v[36:37], s[40:41]
	s_mov_b64 s[40:41], s[42:43]
	s_andn2_b64 exec, exec, s[14:15]
	s_cbranch_execz .LBB378_130
.LBB378_128:                            ; =>This Inner Loop Header: Depth=1
	s_or_b64 s[16:17], s[16:17], exec
	s_cmp_eq_u64 s[26:27], s[40:41]
	s_cbranch_scc0 .LBB378_126
; %bb.129:                              ;   in Loop: Header=BB378_128 Depth=1
                                        ; implicit-def: $sgpr42_sgpr43
	s_mov_b64 s[40:41], s[26:27]
	s_branch .LBB378_127
.LBB378_130:
	s_or_b64 exec, exec, s[14:15]
	v_cmp_gt_i64_e32 vcc, s[26:27], v[36:37]
	s_orn2_b64 s[14:15], vcc, exec
.LBB378_131:
	s_or_b64 exec, exec, s[10:11]
.LBB378_132:
	s_and_b64 s[10:11], s[14:15], exec
.LBB378_133:
	s_or_b64 exec, exec, s[12:13]
	v_cmp_gt_u32_e32 vcc, s54, v39
	s_mov_b64 s[14:15], 0
	s_mov_b64 s[12:13], 0
	s_and_saveexec_b64 s[16:17], vcc
	s_cbranch_execz .LBB378_144
; %bb.134:
	s_and_b64 vcc, exec, s[4:5]
	s_mov_b64 s[40:41], 0
	s_cbranch_vccnz .LBB378_143
; %bb.135:
	v_mov_b64_e32 v[34:35], s[36:37]
	v_mad_u64_u32 v[32:33], s[12:13], v20, s26, v[34:35]
	s_waitcnt lgkmcnt(0)
	v_mul_lo_u32 v36, v20, s27
	v_mul_lo_u32 v37, v21, s26
	v_add3_u32 v33, v37, v33, v36
	v_mad_u64_u32 v[34:35], s[12:13], v14, s26, v[34:35]
	v_mul_lo_u32 v36, v14, s27
	v_mul_lo_u32 v37, v15, s26
	v_add3_u32 v35, v37, v35, v36
	global_load_ubyte v36, v[32:33], off
	global_load_ubyte v37, v[34:35], off
	s_mov_b64 s[40:41], -1
	s_waitcnt vmcnt(0)
	v_cmp_eq_u16_e32 vcc, v36, v37
	s_and_saveexec_b64 s[12:13], vcc
	s_cbranch_execz .LBB378_142
; %bb.136:
	s_mov_b64 s[44:45], 1
	s_mov_b64 s[40:41], 0
                                        ; implicit-def: $sgpr42_sgpr43
	s_branch .LBB378_139
.LBB378_137:                            ;   in Loop: Header=BB378_139 Depth=1
	v_lshl_add_u64 v[36:37], v[32:33], 0, s[44:45]
	v_lshl_add_u64 v[46:47], v[34:35], 0, s[44:45]
	global_load_ubyte v48, v[36:37], off
	global_load_ubyte v49, v[46:47], off
	s_add_u32 s46, s44, 1
	s_addc_u32 s47, s45, 0
	s_andn2_b64 s[42:43], s[42:43], exec
	s_waitcnt vmcnt(0)
	v_cmp_ne_u16_e32 vcc, v48, v49
	s_and_b64 s[48:49], vcc, exec
	s_or_b64 s[42:43], s[42:43], s[48:49]
.LBB378_138:                            ;   in Loop: Header=BB378_139 Depth=1
	s_and_b64 s[48:49], exec, s[42:43]
	s_or_b64 s[40:41], s[48:49], s[40:41]
	v_mov_b64_e32 v[36:37], s[44:45]
	s_mov_b64 s[44:45], s[46:47]
	s_andn2_b64 exec, exec, s[40:41]
	s_cbranch_execz .LBB378_141
.LBB378_139:                            ; =>This Inner Loop Header: Depth=1
	s_or_b64 s[42:43], s[42:43], exec
	s_cmp_eq_u64 s[26:27], s[44:45]
	s_cbranch_scc0 .LBB378_137
; %bb.140:                              ;   in Loop: Header=BB378_139 Depth=1
                                        ; implicit-def: $sgpr46_sgpr47
	s_mov_b64 s[44:45], s[26:27]
	s_branch .LBB378_138
.LBB378_141:
	s_or_b64 exec, exec, s[40:41]
	v_cmp_gt_i64_e32 vcc, s[26:27], v[36:37]
	s_orn2_b64 s[40:41], vcc, exec
.LBB378_142:
	s_or_b64 exec, exec, s[12:13]
.LBB378_143:
	s_and_b64 s[12:13], s[40:41], exec
.LBB378_144:
	s_or_b64 exec, exec, s[16:17]
	v_cmp_gt_u32_e32 vcc, s54, v42
	s_and_saveexec_b64 s[16:17], vcc
	s_cbranch_execz .LBB378_155
; %bb.145:
	s_and_b64 vcc, exec, s[4:5]
	s_mov_b64 s[40:41], 0
	s_cbranch_vccnz .LBB378_154
; %bb.146:
	v_mov_b64_e32 v[34:35], s[36:37]
	v_mad_u64_u32 v[32:33], s[14:15], v18, s26, v[34:35]
	s_waitcnt lgkmcnt(0)
	v_mul_lo_u32 v36, v18, s27
	v_mul_lo_u32 v37, v19, s26
	v_add3_u32 v33, v37, v33, v36
	v_mad_u64_u32 v[34:35], s[14:15], v20, s26, v[34:35]
	v_mul_lo_u32 v36, v20, s27
	v_mul_lo_u32 v37, v21, s26
	v_add3_u32 v35, v37, v35, v36
	global_load_ubyte v36, v[32:33], off
	global_load_ubyte v37, v[34:35], off
	s_mov_b64 s[40:41], -1
	s_waitcnt vmcnt(0)
	v_cmp_eq_u16_e32 vcc, v36, v37
	s_and_saveexec_b64 s[14:15], vcc
	s_cbranch_execz .LBB378_153
; %bb.147:
	s_mov_b64 s[44:45], 1
	s_mov_b64 s[40:41], 0
                                        ; implicit-def: $sgpr42_sgpr43
	s_branch .LBB378_150
.LBB378_148:                            ;   in Loop: Header=BB378_150 Depth=1
	v_lshl_add_u64 v[36:37], v[32:33], 0, s[44:45]
	v_lshl_add_u64 v[46:47], v[34:35], 0, s[44:45]
	global_load_ubyte v48, v[36:37], off
	global_load_ubyte v49, v[46:47], off
	s_add_u32 s46, s44, 1
	s_addc_u32 s47, s45, 0
	s_andn2_b64 s[42:43], s[42:43], exec
	s_waitcnt vmcnt(0)
	v_cmp_ne_u16_e32 vcc, v48, v49
	s_and_b64 s[48:49], vcc, exec
	s_or_b64 s[42:43], s[42:43], s[48:49]
.LBB378_149:                            ;   in Loop: Header=BB378_150 Depth=1
	s_and_b64 s[48:49], exec, s[42:43]
	s_or_b64 s[40:41], s[48:49], s[40:41]
	v_mov_b64_e32 v[36:37], s[44:45]
	s_mov_b64 s[44:45], s[46:47]
	s_andn2_b64 exec, exec, s[40:41]
	s_cbranch_execz .LBB378_152
.LBB378_150:                            ; =>This Inner Loop Header: Depth=1
	s_or_b64 s[42:43], s[42:43], exec
	s_cmp_eq_u64 s[26:27], s[44:45]
	s_cbranch_scc0 .LBB378_148
; %bb.151:                              ;   in Loop: Header=BB378_150 Depth=1
                                        ; implicit-def: $sgpr46_sgpr47
	s_mov_b64 s[44:45], s[26:27]
	s_branch .LBB378_149
.LBB378_152:
	s_or_b64 exec, exec, s[40:41]
	v_cmp_gt_i64_e32 vcc, s[26:27], v[36:37]
	s_orn2_b64 s[40:41], vcc, exec
.LBB378_153:
	s_or_b64 exec, exec, s[14:15]
.LBB378_154:
	s_and_b64 s[14:15], s[40:41], exec
.LBB378_155:
	s_or_b64 exec, exec, s[16:17]
	v_cmp_gt_u32_e32 vcc, s54, v38
	s_mov_b64 s[16:17], 0
	s_mov_b64 s[40:41], 0
	s_and_saveexec_b64 s[42:43], vcc
	s_cbranch_execz .LBB378_166
; %bb.156:
	s_and_b64 vcc, exec, s[4:5]
	s_mov_b64 s[44:45], 0
	s_cbranch_vccnz .LBB378_165
; %bb.157:
	v_mov_b64_e32 v[34:35], s[36:37]
	v_mad_u64_u32 v[32:33], s[40:41], v24, s26, v[34:35]
	s_waitcnt lgkmcnt(0)
	v_mul_lo_u32 v36, v24, s27
	v_mul_lo_u32 v37, v25, s26
	v_add3_u32 v33, v37, v33, v36
	v_mad_u64_u32 v[34:35], s[40:41], v18, s26, v[34:35]
	v_mul_lo_u32 v36, v18, s27
	v_mul_lo_u32 v37, v19, s26
	v_add3_u32 v35, v37, v35, v36
	global_load_ubyte v36, v[32:33], off
	global_load_ubyte v37, v[34:35], off
	s_mov_b64 s[44:45], -1
	s_waitcnt vmcnt(0)
	v_cmp_eq_u16_e32 vcc, v36, v37
	s_and_saveexec_b64 s[40:41], vcc
	s_cbranch_execz .LBB378_164
; %bb.158:
	s_mov_b64 s[48:49], 1
	s_mov_b64 s[44:45], 0
                                        ; implicit-def: $sgpr46_sgpr47
	s_branch .LBB378_161
.LBB378_159:                            ;   in Loop: Header=BB378_161 Depth=1
	v_lshl_add_u64 v[36:37], v[32:33], 0, s[48:49]
	v_lshl_add_u64 v[46:47], v[34:35], 0, s[48:49]
	global_load_ubyte v36, v[36:37], off
	s_nop 0
	global_load_ubyte v37, v[46:47], off
	s_add_u32 s50, s48, 1
	s_addc_u32 s51, s49, 0
	s_andn2_b64 s[46:47], s[46:47], exec
	s_waitcnt vmcnt(0)
	v_cmp_ne_u16_e32 vcc, v36, v37
	s_and_b64 s[52:53], vcc, exec
	s_or_b64 s[46:47], s[46:47], s[52:53]
.LBB378_160:                            ;   in Loop: Header=BB378_161 Depth=1
	s_and_b64 s[52:53], exec, s[46:47]
	s_or_b64 s[44:45], s[52:53], s[44:45]
	v_mov_b64_e32 v[36:37], s[48:49]
	s_mov_b64 s[48:49], s[50:51]
	s_andn2_b64 exec, exec, s[44:45]
	s_cbranch_execz .LBB378_163
.LBB378_161:                            ; =>This Inner Loop Header: Depth=1
	s_or_b64 s[46:47], s[46:47], exec
	s_cmp_eq_u64 s[26:27], s[48:49]
	s_cbranch_scc0 .LBB378_159
; %bb.162:                              ;   in Loop: Header=BB378_161 Depth=1
                                        ; implicit-def: $sgpr50_sgpr51
	s_mov_b64 s[48:49], s[26:27]
	s_branch .LBB378_160
.LBB378_163:
	s_or_b64 exec, exec, s[44:45]
	v_cmp_gt_i64_e32 vcc, s[26:27], v[36:37]
	s_orn2_b64 s[44:45], vcc, exec
.LBB378_164:
	s_or_b64 exec, exec, s[40:41]
.LBB378_165:
	s_and_b64 s[40:41], s[44:45], exec
.LBB378_166:
	s_or_b64 exec, exec, s[42:43]
	v_cmp_gt_u32_e32 vcc, s54, v41
	s_and_saveexec_b64 s[42:43], vcc
	s_cbranch_execz .LBB378_177
; %bb.167:
	s_and_b64 vcc, exec, s[4:5]
	s_mov_b64 s[44:45], 0
	s_cbranch_vccnz .LBB378_176
; %bb.168:
	v_mov_b64_e32 v[34:35], s[36:37]
	v_mad_u64_u32 v[32:33], s[16:17], v22, s26, v[34:35]
	s_waitcnt lgkmcnt(0)
	v_mul_lo_u32 v36, v22, s27
	v_mul_lo_u32 v37, v23, s26
	v_add3_u32 v33, v37, v33, v36
	v_mad_u64_u32 v[34:35], s[16:17], v24, s26, v[34:35]
	v_mul_lo_u32 v36, v24, s27
	v_mul_lo_u32 v37, v25, s26
	v_add3_u32 v35, v37, v35, v36
	global_load_ubyte v36, v[32:33], off
	global_load_ubyte v37, v[34:35], off
	s_mov_b64 s[44:45], -1
	s_waitcnt vmcnt(0)
	v_cmp_eq_u16_e32 vcc, v36, v37
	s_and_saveexec_b64 s[16:17], vcc
	s_cbranch_execz .LBB378_175
; %bb.169:
	s_mov_b64 s[48:49], 1
	s_mov_b64 s[44:45], 0
                                        ; implicit-def: $sgpr46_sgpr47
	s_branch .LBB378_172
.LBB378_170:                            ;   in Loop: Header=BB378_172 Depth=1
	v_lshl_add_u64 v[36:37], v[32:33], 0, s[48:49]
	v_lshl_add_u64 v[46:47], v[34:35], 0, s[48:49]
	global_load_ubyte v36, v[36:37], off
	s_nop 0
	global_load_ubyte v37, v[46:47], off
	s_add_u32 s50, s48, 1
	s_addc_u32 s51, s49, 0
	s_andn2_b64 s[46:47], s[46:47], exec
	s_waitcnt vmcnt(0)
	v_cmp_ne_u16_e32 vcc, v36, v37
	s_and_b64 s[52:53], vcc, exec
	s_or_b64 s[46:47], s[46:47], s[52:53]
.LBB378_171:                            ;   in Loop: Header=BB378_172 Depth=1
	s_and_b64 s[52:53], exec, s[46:47]
	s_or_b64 s[44:45], s[52:53], s[44:45]
	v_mov_b64_e32 v[36:37], s[48:49]
	s_mov_b64 s[48:49], s[50:51]
	s_andn2_b64 exec, exec, s[44:45]
	s_cbranch_execz .LBB378_174
.LBB378_172:                            ; =>This Inner Loop Header: Depth=1
	s_or_b64 s[46:47], s[46:47], exec
	s_cmp_eq_u64 s[26:27], s[48:49]
	s_cbranch_scc0 .LBB378_170
; %bb.173:                              ;   in Loop: Header=BB378_172 Depth=1
                                        ; implicit-def: $sgpr50_sgpr51
	s_mov_b64 s[48:49], s[26:27]
	s_branch .LBB378_171
.LBB378_174:
	s_or_b64 exec, exec, s[44:45]
	v_cmp_gt_i64_e32 vcc, s[26:27], v[36:37]
	s_orn2_b64 s[44:45], vcc, exec
.LBB378_175:
	s_or_b64 exec, exec, s[16:17]
.LBB378_176:
	s_and_b64 s[16:17], s[44:45], exec
.LBB378_177:
	s_or_b64 exec, exec, s[42:43]
	s_waitcnt lgkmcnt(0)
	s_barrier
	s_and_saveexec_b64 s[42:43], s[2:3]
	s_cbranch_execz .LBB378_179
; %bb.178:
	s_waitcnt vmcnt(0)
	v_add_u32_e32 v30, -8, v45
	ds_read_b64 v[30:31], v30
.LBB378_179:
	s_or_b64 exec, exec, s[42:43]
	v_cndmask_b32_e64 v33, 0, 1, s[14:15]
	v_cndmask_b32_e64 v32, 0, 1, s[40:41]
	;; [unrolled: 1-line block ×3, first 2 shown]
	v_lshlrev_b16_e32 v33, 8, v33
	v_cmp_gt_u32_e32 vcc, s54, v1
	v_lshlrev_b16_e32 v36, 8, v34
	v_or_b32_sdwa v37, v32, v33 dst_sel:WORD_1 dst_unused:UNUSED_PAD src0_sel:DWORD src1_sel:DWORD
	s_mov_b64 s[14:15], 0
	s_and_saveexec_b64 s[16:17], vcc
	s_cbranch_execz .LBB378_190
; %bb.180:
	s_and_b64 vcc, exec, s[4:5]
	s_cbranch_vccnz .LBB378_189
; %bb.181:
	v_mov_b64_e32 v[34:35], s[36:37]
	s_waitcnt vmcnt(0) lgkmcnt(0)
	v_mad_u64_u32 v[32:33], s[4:5], v30, s26, v[34:35]
	v_mul_lo_u32 v30, v30, s27
	v_mul_lo_u32 v31, v31, s26
	v_add3_u32 v33, v31, v33, v30
	v_mad_u64_u32 v[30:31], s[4:5], v22, s26, v[34:35]
	v_mul_lo_u32 v34, v22, s27
	v_mul_lo_u32 v35, v23, s26
	v_add3_u32 v31, v35, v31, v34
	global_load_ubyte v34, v[32:33], off
	global_load_ubyte v35, v[30:31], off
	s_mov_b64 s[14:15], -1
	s_waitcnt vmcnt(0)
	v_cmp_eq_u16_e32 vcc, v34, v35
	s_and_saveexec_b64 s[4:5], vcc
	s_cbranch_execz .LBB378_188
; %bb.182:
	s_mov_b64 s[42:43], 1
	s_mov_b64 s[14:15], 0
                                        ; implicit-def: $sgpr40_sgpr41
	s_branch .LBB378_185
.LBB378_183:                            ;   in Loop: Header=BB378_185 Depth=1
	v_lshl_add_u64 v[34:35], v[32:33], 0, s[42:43]
	v_lshl_add_u64 v[46:47], v[30:31], 0, s[42:43]
	global_load_ubyte v45, v[34:35], off
	global_load_ubyte v48, v[46:47], off
	s_add_u32 s44, s42, 1
	s_addc_u32 s45, s43, 0
	s_andn2_b64 s[40:41], s[40:41], exec
	s_waitcnt vmcnt(0)
	v_cmp_ne_u16_e32 vcc, v45, v48
	s_and_b64 s[46:47], vcc, exec
	s_or_b64 s[40:41], s[40:41], s[46:47]
.LBB378_184:                            ;   in Loop: Header=BB378_185 Depth=1
	s_and_b64 s[46:47], exec, s[40:41]
	s_or_b64 s[14:15], s[46:47], s[14:15]
	v_mov_b64_e32 v[34:35], s[42:43]
	s_mov_b64 s[42:43], s[44:45]
	s_andn2_b64 exec, exec, s[14:15]
	s_cbranch_execz .LBB378_187
.LBB378_185:                            ; =>This Inner Loop Header: Depth=1
	s_or_b64 s[40:41], s[40:41], exec
	s_cmp_eq_u64 s[26:27], s[42:43]
	s_cbranch_scc0 .LBB378_183
; %bb.186:                              ;   in Loop: Header=BB378_185 Depth=1
                                        ; implicit-def: $sgpr44_sgpr45
	s_mov_b64 s[42:43], s[26:27]
	s_branch .LBB378_184
.LBB378_187:
	s_or_b64 exec, exec, s[14:15]
	v_cmp_gt_i64_e32 vcc, s[26:27], v[34:35]
	s_orn2_b64 s[14:15], vcc, exec
.LBB378_188:
	s_or_b64 exec, exec, s[4:5]
.LBB378_189:
	s_and_b64 s[14:15], s[14:15], exec
.LBB378_190:
	s_or_b64 exec, exec, s[16:17]
	v_cndmask_b32_e64 v46, 0, 1, s[12:13]
	v_cndmask_b32_e64 v47, 0, 1, s[10:11]
	;; [unrolled: 1-line block ×3, first 2 shown]
	v_or_b32_e32 v34, v36, v37
.LBB378_191:
	s_mov_b64 s[10:11], -1
	s_cbranch_execnz .LBB378_50
.LBB378_192:
	s_movk_i32 s4, 0xffd0
	v_mad_i32_i24 v44, v0, s4, v44
	s_mov_b64 s[12:13], 0
	v_cmp_gt_i64_e64 s[6:7], s[26:27], 0
	s_and_b64 vcc, exec, s[34:35]
	ds_write_b64 v44, v[28:29]
	s_cbranch_vccz .LBB378_200
; %bb.193:
	v_mul_lo_u32 v32, v17, s26
	v_mul_lo_u32 v33, v16, s27
	s_waitcnt vmcnt(0) lgkmcnt(1)
	v_mad_u64_u32 v[30:31], s[4:5], v16, s26, 0
	v_add3_u32 v31, v31, v33, v32
	v_cndmask_b32_e64 v32, 0, 1, s[6:7]
	v_cmp_ne_u32_e64 s[4:5], 1, v32
	s_andn2_b64 vcc, exec, s[6:7]
	v_lshl_add_u64 v[30:31], s[36:37], 0, v[30:31]
	s_cbranch_vccnz .LBB378_203
; %bb.194:
	v_mov_b64_e32 v[32:33], s[36:37]
	v_mad_u64_u32 v[32:33], s[12:13], v28, s26, v[32:33]
	v_mul_lo_u32 v34, v28, s27
	v_mul_lo_u32 v35, v29, s26
	v_add3_u32 v33, v35, v33, v34
	global_load_ubyte v34, v[30:31], off
	global_load_ubyte v35, v[32:33], off
	s_mov_b64 s[12:13], -1
	s_waitcnt vmcnt(0)
	v_cmp_eq_u16_e32 vcc, v34, v35
	s_and_saveexec_b64 s[14:15], vcc
	s_cbranch_execz .LBB378_202
; %bb.195:
	s_mov_b64 s[40:41], 1
	s_mov_b64 s[12:13], 0
                                        ; implicit-def: $sgpr16_sgpr17
	s_branch .LBB378_198
.LBB378_196:                            ;   in Loop: Header=BB378_198 Depth=1
	v_lshl_add_u64 v[34:35], v[30:31], 0, s[40:41]
	v_lshl_add_u64 v[36:37], v[32:33], 0, s[40:41]
	global_load_ubyte v45, v[34:35], off
	global_load_ubyte v46, v[36:37], off
	s_add_u32 s42, s40, 1
	s_addc_u32 s43, s41, 0
	s_andn2_b64 s[16:17], s[16:17], exec
	s_waitcnt vmcnt(0)
	v_cmp_ne_u16_e32 vcc, v45, v46
	s_and_b64 s[44:45], vcc, exec
	s_or_b64 s[16:17], s[16:17], s[44:45]
.LBB378_197:                            ;   in Loop: Header=BB378_198 Depth=1
	s_and_b64 s[44:45], exec, s[16:17]
	s_or_b64 s[12:13], s[44:45], s[12:13]
	v_mov_b64_e32 v[34:35], s[40:41]
	s_mov_b64 s[40:41], s[42:43]
	s_andn2_b64 exec, exec, s[12:13]
	s_cbranch_execz .LBB378_201
.LBB378_198:                            ; =>This Inner Loop Header: Depth=1
	s_or_b64 s[16:17], s[16:17], exec
	s_cmp_eq_u64 s[26:27], s[40:41]
	s_cbranch_scc0 .LBB378_196
; %bb.199:                              ;   in Loop: Header=BB378_198 Depth=1
                                        ; implicit-def: $sgpr42_sgpr43
	s_mov_b64 s[40:41], s[26:27]
	s_branch .LBB378_197
.LBB378_200:
                                        ; implicit-def: $sgpr14_sgpr15
                                        ; implicit-def: $vgpr48
                                        ; implicit-def: $vgpr47
                                        ; implicit-def: $vgpr46
                                        ; implicit-def: $vgpr34
                                        ; implicit-def: $vgpr30_vgpr31
	s_cbranch_execnz .LBB378_260
	s_branch .LBB378_340
.LBB378_201:
	s_or_b64 exec, exec, s[12:13]
	v_cmp_gt_i64_e32 vcc, s[26:27], v[34:35]
	s_orn2_b64 s[12:13], vcc, exec
.LBB378_202:
	s_or_b64 exec, exec, s[14:15]
.LBB378_203:
	v_mul_lo_u32 v34, v15, s26
	v_mul_lo_u32 v35, v14, s27
	v_mad_u64_u32 v[32:33], s[14:15], v14, s26, 0
	v_add3_u32 v33, v33, v35, v34
	s_mov_b64 s[14:15], 0
	s_and_b64 vcc, exec, s[4:5]
	v_lshl_add_u64 v[32:33], s[36:37], 0, v[32:33]
	s_mov_b64 s[16:17], 0
	s_cbranch_vccnz .LBB378_212
; %bb.204:
	global_load_ubyte v34, v[32:33], off
	global_load_ubyte v35, v[30:31], off
	s_mov_b64 s[16:17], -1
	s_waitcnt vmcnt(0)
	v_cmp_eq_u16_e32 vcc, v34, v35
	s_and_saveexec_b64 s[40:41], vcc
	s_cbranch_execz .LBB378_211
; %bb.205:
	s_mov_b64 s[44:45], 1
	s_mov_b64 s[16:17], 0
                                        ; implicit-def: $sgpr42_sgpr43
	s_branch .LBB378_208
.LBB378_206:                            ;   in Loop: Header=BB378_208 Depth=1
	v_lshl_add_u64 v[34:35], v[32:33], 0, s[44:45]
	v_lshl_add_u64 v[36:37], v[30:31], 0, s[44:45]
	global_load_ubyte v45, v[34:35], off
	global_load_ubyte v46, v[36:37], off
	s_add_u32 s46, s44, 1
	s_addc_u32 s47, s45, 0
	s_andn2_b64 s[42:43], s[42:43], exec
	s_waitcnt vmcnt(0)
	v_cmp_ne_u16_e32 vcc, v45, v46
	s_and_b64 s[48:49], vcc, exec
	s_or_b64 s[42:43], s[42:43], s[48:49]
.LBB378_207:                            ;   in Loop: Header=BB378_208 Depth=1
	s_and_b64 s[48:49], exec, s[42:43]
	s_or_b64 s[16:17], s[48:49], s[16:17]
	v_mov_b64_e32 v[34:35], s[44:45]
	s_mov_b64 s[44:45], s[46:47]
	s_andn2_b64 exec, exec, s[16:17]
	s_cbranch_execz .LBB378_210
.LBB378_208:                            ; =>This Inner Loop Header: Depth=1
	s_or_b64 s[42:43], s[42:43], exec
	s_cmp_eq_u64 s[26:27], s[44:45]
	s_cbranch_scc0 .LBB378_206
; %bb.209:                              ;   in Loop: Header=BB378_208 Depth=1
                                        ; implicit-def: $sgpr46_sgpr47
	s_mov_b64 s[44:45], s[26:27]
	s_branch .LBB378_207
.LBB378_210:
	s_or_b64 exec, exec, s[16:17]
	v_cmp_gt_i64_e32 vcc, s[26:27], v[34:35]
	s_orn2_b64 s[16:17], vcc, exec
.LBB378_211:
	s_or_b64 exec, exec, s[40:41]
.LBB378_212:
	v_mul_lo_u32 v34, v21, s26
	v_mul_lo_u32 v35, v20, s27
	v_mad_u64_u32 v[30:31], s[40:41], v20, s26, 0
	v_add3_u32 v31, v31, v35, v34
	s_and_b64 vcc, exec, s[4:5]
	v_lshl_add_u64 v[30:31], s[36:37], 0, v[30:31]
	s_cbranch_vccnz .LBB378_221
; %bb.213:
	global_load_ubyte v34, v[30:31], off
	global_load_ubyte v35, v[32:33], off
	s_mov_b64 s[14:15], -1
	s_waitcnt vmcnt(0)
	v_cmp_eq_u16_e32 vcc, v34, v35
	s_and_saveexec_b64 s[40:41], vcc
	s_cbranch_execz .LBB378_220
; %bb.214:
	s_mov_b64 s[44:45], 1
	s_mov_b64 s[14:15], 0
                                        ; implicit-def: $sgpr42_sgpr43
	s_branch .LBB378_217
.LBB378_215:                            ;   in Loop: Header=BB378_217 Depth=1
	v_lshl_add_u64 v[34:35], v[30:31], 0, s[44:45]
	v_lshl_add_u64 v[36:37], v[32:33], 0, s[44:45]
	global_load_ubyte v45, v[34:35], off
	global_load_ubyte v46, v[36:37], off
	s_add_u32 s46, s44, 1
	s_addc_u32 s47, s45, 0
	s_andn2_b64 s[42:43], s[42:43], exec
	s_waitcnt vmcnt(0)
	v_cmp_ne_u16_e32 vcc, v45, v46
	s_and_b64 s[48:49], vcc, exec
	s_or_b64 s[42:43], s[42:43], s[48:49]
.LBB378_216:                            ;   in Loop: Header=BB378_217 Depth=1
	s_and_b64 s[48:49], exec, s[42:43]
	s_or_b64 s[14:15], s[48:49], s[14:15]
	v_mov_b64_e32 v[34:35], s[44:45]
	s_mov_b64 s[44:45], s[46:47]
	s_andn2_b64 exec, exec, s[14:15]
	s_cbranch_execz .LBB378_219
.LBB378_217:                            ; =>This Inner Loop Header: Depth=1
	s_or_b64 s[42:43], s[42:43], exec
	s_cmp_eq_u64 s[26:27], s[44:45]
	s_cbranch_scc0 .LBB378_215
; %bb.218:                              ;   in Loop: Header=BB378_217 Depth=1
                                        ; implicit-def: $sgpr46_sgpr47
	s_mov_b64 s[44:45], s[26:27]
	s_branch .LBB378_216
.LBB378_219:
	s_or_b64 exec, exec, s[14:15]
	v_cmp_gt_i64_e32 vcc, s[26:27], v[34:35]
	s_orn2_b64 s[14:15], vcc, exec
.LBB378_220:
	s_or_b64 exec, exec, s[40:41]
.LBB378_221:
	v_mul_lo_u32 v34, v19, s26
	v_mul_lo_u32 v35, v18, s27
	v_mad_u64_u32 v[32:33], s[40:41], v18, s26, 0
	v_add3_u32 v33, v33, v35, v34
	s_mov_b64 s[40:41], 0
	s_and_b64 vcc, exec, s[4:5]
	v_lshl_add_u64 v[32:33], s[36:37], 0, v[32:33]
	s_mov_b64 s[42:43], 0
	s_cbranch_vccnz .LBB378_230
; %bb.222:
	global_load_ubyte v34, v[32:33], off
	global_load_ubyte v35, v[30:31], off
	s_mov_b64 s[42:43], -1
	s_waitcnt vmcnt(0)
	v_cmp_eq_u16_e32 vcc, v34, v35
	s_and_saveexec_b64 s[44:45], vcc
	s_cbranch_execz .LBB378_229
; %bb.223:
	s_mov_b64 s[48:49], 1
	s_mov_b64 s[42:43], 0
                                        ; implicit-def: $sgpr46_sgpr47
	s_branch .LBB378_226
.LBB378_224:                            ;   in Loop: Header=BB378_226 Depth=1
	v_lshl_add_u64 v[34:35], v[32:33], 0, s[48:49]
	v_lshl_add_u64 v[36:37], v[30:31], 0, s[48:49]
	global_load_ubyte v34, v[34:35], off
	s_nop 0
	global_load_ubyte v35, v[36:37], off
	s_add_u32 s50, s48, 1
	s_addc_u32 s51, s49, 0
	s_andn2_b64 s[46:47], s[46:47], exec
	s_waitcnt vmcnt(0)
	v_cmp_ne_u16_e32 vcc, v34, v35
	s_and_b64 s[52:53], vcc, exec
	s_or_b64 s[46:47], s[46:47], s[52:53]
.LBB378_225:                            ;   in Loop: Header=BB378_226 Depth=1
	s_and_b64 s[52:53], exec, s[46:47]
	s_or_b64 s[42:43], s[52:53], s[42:43]
	v_mov_b64_e32 v[34:35], s[48:49]
	s_mov_b64 s[48:49], s[50:51]
	s_andn2_b64 exec, exec, s[42:43]
	s_cbranch_execz .LBB378_228
.LBB378_226:                            ; =>This Inner Loop Header: Depth=1
	s_or_b64 s[46:47], s[46:47], exec
	s_cmp_eq_u64 s[26:27], s[48:49]
	s_cbranch_scc0 .LBB378_224
; %bb.227:                              ;   in Loop: Header=BB378_226 Depth=1
                                        ; implicit-def: $sgpr50_sgpr51
	s_mov_b64 s[48:49], s[26:27]
	s_branch .LBB378_225
.LBB378_228:
	s_or_b64 exec, exec, s[42:43]
	v_cmp_gt_i64_e32 vcc, s[26:27], v[34:35]
	s_orn2_b64 s[42:43], vcc, exec
.LBB378_229:
	s_or_b64 exec, exec, s[44:45]
.LBB378_230:
	v_mul_lo_u32 v34, v25, s26
	v_mul_lo_u32 v35, v24, s27
	v_mad_u64_u32 v[30:31], s[44:45], v24, s26, 0
	v_add3_u32 v31, v31, v35, v34
	s_and_b64 vcc, exec, s[4:5]
	v_lshl_add_u64 v[30:31], s[36:37], 0, v[30:31]
	s_cbranch_vccnz .LBB378_239
; %bb.231:
	global_load_ubyte v34, v[30:31], off
	global_load_ubyte v35, v[32:33], off
	s_mov_b64 s[40:41], -1
	s_waitcnt vmcnt(0)
	v_cmp_eq_u16_e32 vcc, v34, v35
	s_and_saveexec_b64 s[44:45], vcc
	s_cbranch_execz .LBB378_238
; %bb.232:
	s_mov_b64 s[48:49], 1
	s_mov_b64 s[40:41], 0
                                        ; implicit-def: $sgpr46_sgpr47
	s_branch .LBB378_235
.LBB378_233:                            ;   in Loop: Header=BB378_235 Depth=1
	v_lshl_add_u64 v[34:35], v[30:31], 0, s[48:49]
	v_lshl_add_u64 v[36:37], v[32:33], 0, s[48:49]
	global_load_ubyte v34, v[34:35], off
	s_nop 0
	global_load_ubyte v35, v[36:37], off
	s_add_u32 s50, s48, 1
	s_addc_u32 s51, s49, 0
	s_andn2_b64 s[46:47], s[46:47], exec
	s_waitcnt vmcnt(0)
	v_cmp_ne_u16_e32 vcc, v34, v35
	s_and_b64 s[52:53], vcc, exec
	s_or_b64 s[46:47], s[46:47], s[52:53]
.LBB378_234:                            ;   in Loop: Header=BB378_235 Depth=1
	s_and_b64 s[52:53], exec, s[46:47]
	s_or_b64 s[40:41], s[52:53], s[40:41]
	v_mov_b64_e32 v[34:35], s[48:49]
	s_mov_b64 s[48:49], s[50:51]
	s_andn2_b64 exec, exec, s[40:41]
	s_cbranch_execz .LBB378_237
.LBB378_235:                            ; =>This Inner Loop Header: Depth=1
	s_or_b64 s[46:47], s[46:47], exec
	s_cmp_eq_u64 s[26:27], s[48:49]
	s_cbranch_scc0 .LBB378_233
; %bb.236:                              ;   in Loop: Header=BB378_235 Depth=1
                                        ; implicit-def: $sgpr50_sgpr51
	s_mov_b64 s[48:49], s[26:27]
	s_branch .LBB378_234
.LBB378_237:
	s_or_b64 exec, exec, s[40:41]
	v_cmp_gt_i64_e32 vcc, s[26:27], v[34:35]
	s_orn2_b64 s[40:41], vcc, exec
.LBB378_238:
	s_or_b64 exec, exec, s[44:45]
.LBB378_239:
	v_mul_lo_u32 v34, v23, s26
	v_mul_lo_u32 v35, v22, s27
	v_mad_u64_u32 v[32:33], s[44:45], v22, s26, 0
	v_add3_u32 v33, v33, v35, v34
	s_and_b64 vcc, exec, s[4:5]
	s_mov_b64 s[46:47], 0
	s_cbranch_vccnz .LBB378_248
; %bb.240:
	v_lshl_add_u64 v[34:35], s[36:37], 0, v[32:33]
	global_load_ubyte v36, v[34:35], off
	global_load_ubyte v37, v[30:31], off
	s_mov_b64 s[46:47], -1
	s_waitcnt vmcnt(0)
	v_cmp_eq_u16_e32 vcc, v36, v37
	s_and_saveexec_b64 s[44:45], vcc
	s_cbranch_execz .LBB378_247
; %bb.241:
	s_mov_b64 s[50:51], 1
	s_mov_b64 s[46:47], 0
                                        ; implicit-def: $sgpr48_sgpr49
	s_branch .LBB378_244
.LBB378_242:                            ;   in Loop: Header=BB378_244 Depth=1
	v_lshl_add_u64 v[36:37], v[34:35], 0, s[50:51]
	v_lshl_add_u64 v[46:47], v[30:31], 0, s[50:51]
	global_load_ubyte v36, v[36:37], off
	s_nop 0
	global_load_ubyte v37, v[46:47], off
	s_add_u32 s52, s50, 1
	s_addc_u32 s53, s51, 0
	s_andn2_b64 s[48:49], s[48:49], exec
	s_waitcnt vmcnt(0)
	v_cmp_ne_u16_e32 vcc, v36, v37
	s_and_b64 s[56:57], vcc, exec
	s_or_b64 s[48:49], s[48:49], s[56:57]
.LBB378_243:                            ;   in Loop: Header=BB378_244 Depth=1
	s_and_b64 s[56:57], exec, s[48:49]
	s_or_b64 s[46:47], s[56:57], s[46:47]
	v_mov_b64_e32 v[36:37], s[50:51]
	s_mov_b64 s[50:51], s[52:53]
	s_andn2_b64 exec, exec, s[46:47]
	s_cbranch_execz .LBB378_246
.LBB378_244:                            ; =>This Inner Loop Header: Depth=1
	s_or_b64 s[48:49], s[48:49], exec
	s_cmp_eq_u64 s[26:27], s[50:51]
	s_cbranch_scc0 .LBB378_242
; %bb.245:                              ;   in Loop: Header=BB378_244 Depth=1
                                        ; implicit-def: $sgpr52_sgpr53
	s_mov_b64 s[50:51], s[26:27]
	s_branch .LBB378_243
.LBB378_246:
	s_or_b64 exec, exec, s[46:47]
	v_cmp_gt_i64_e32 vcc, s[26:27], v[36:37]
	s_orn2_b64 s[46:47], vcc, exec
.LBB378_247:
	s_or_b64 exec, exec, s[44:45]
.LBB378_248:
	v_cndmask_b32_e64 v31, 0, 1, s[42:43]
	v_cndmask_b32_e64 v30, 0, 1, s[40:41]
	;; [unrolled: 1-line block ×3, first 2 shown]
	v_lshlrev_b16_e32 v31, 8, v31
	v_cndmask_b32_e64 v46, 0, 1, s[14:15]
	v_cndmask_b32_e64 v34, 0, 1, s[46:47]
	v_or_b32_sdwa v30, v30, v31 dst_sel:WORD_1 dst_unused:UNUSED_PAD src0_sel:DWORD src1_sel:DWORD
	v_lshlrev_b16_e32 v31, 8, v47
	v_lshlrev_b16_e32 v34, 8, v34
	v_or_b32_e32 v31, v46, v31
	v_or_b32_e32 v34, 1, v34
	v_and_b32_e32 v31, 0xffff, v31
	v_cndmask_b32_e64 v48, 0, 1, s[12:13]
	v_or_b32_sdwa v30, v34, v30 dst_sel:DWORD dst_unused:UNUSED_PAD src0_sel:WORD_0 src1_sel:DWORD
	v_lshl_or_b32 v31, v48, 16, v31
	s_waitcnt lgkmcnt(0)
	s_barrier
	s_waitcnt lgkmcnt(0)
                                        ; implicit-def: $sgpr14_sgpr15
                                        ; implicit-def: $vgpr34
	s_and_saveexec_b64 s[12:13], s[2:3]
	s_xor_b64 s[12:13], exec, s[12:13]
	s_cbranch_execz .LBB378_259
; %bb.249:
	s_mov_b32 s44, 0x3020104
	s_and_b64 vcc, exec, s[4:5]
	s_mov_b64 s[14:15], 0
	s_cbranch_vccnz .LBB378_258
; %bb.250:
	v_add_u32_e32 v31, -8, v44
	ds_read_b64 v[34:35], v31
	v_mov_b64_e32 v[36:37], s[36:37]
	v_lshl_add_u64 v[32:33], s[36:37], 0, v[32:33]
	s_mov_b64 s[14:15], -1
	s_waitcnt lgkmcnt(0)
	v_mul_lo_u32 v31, v34, s27
	v_mul_lo_u32 v45, v35, s26
	v_mad_u64_u32 v[34:35], s[4:5], v34, s26, v[36:37]
	v_add3_u32 v35, v45, v35, v31
	global_load_ubyte v31, v[32:33], off
	global_load_ubyte v36, v[34:35], off
	s_waitcnt vmcnt(0)
	v_cmp_eq_u16_e32 vcc, v36, v31
	s_and_saveexec_b64 s[4:5], vcc
	s_cbranch_execz .LBB378_257
; %bb.251:
	s_mov_b64 s[40:41], 1
	s_mov_b64 s[14:15], 0
                                        ; implicit-def: $sgpr16_sgpr17
	s_branch .LBB378_254
.LBB378_252:                            ;   in Loop: Header=BB378_254 Depth=1
	v_lshl_add_u64 v[36:37], v[34:35], 0, s[40:41]
	v_lshl_add_u64 v[50:51], v[32:33], 0, s[40:41]
	global_load_ubyte v31, v[36:37], off
	global_load_ubyte v45, v[50:51], off
	s_add_u32 s42, s40, 1
	s_addc_u32 s43, s41, 0
	s_andn2_b64 s[16:17], s[16:17], exec
	s_waitcnt vmcnt(0)
	v_cmp_ne_u16_e32 vcc, v31, v45
	s_and_b64 s[46:47], vcc, exec
	s_or_b64 s[16:17], s[16:17], s[46:47]
.LBB378_253:                            ;   in Loop: Header=BB378_254 Depth=1
	s_and_b64 s[46:47], exec, s[16:17]
	s_or_b64 s[14:15], s[46:47], s[14:15]
	v_mov_b64_e32 v[36:37], s[40:41]
	s_mov_b64 s[40:41], s[42:43]
	s_andn2_b64 exec, exec, s[14:15]
	s_cbranch_execz .LBB378_256
.LBB378_254:                            ; =>This Inner Loop Header: Depth=1
	s_or_b64 s[16:17], s[16:17], exec
	s_cmp_eq_u64 s[26:27], s[40:41]
	s_cbranch_scc0 .LBB378_252
; %bb.255:                              ;   in Loop: Header=BB378_254 Depth=1
                                        ; implicit-def: $sgpr42_sgpr43
	s_mov_b64 s[40:41], s[26:27]
	s_branch .LBB378_253
.LBB378_256:
	s_or_b64 exec, exec, s[14:15]
	v_cmp_gt_i64_e32 vcc, s[26:27], v[36:37]
	s_orn2_b64 s[14:15], vcc, exec
.LBB378_257:
	s_or_b64 exec, exec, s[4:5]
.LBB378_258:
	v_perm_b32 v34, v30, v30, s44
	s_and_b64 s[14:15], s[14:15], exec
	s_or_b64 s[10:11], s[10:11], exec
                                        ; implicit-def: $vgpr30_vgpr31
.LBB378_259:
	s_or_b64 exec, exec, s[12:13]
	s_branch .LBB378_340
.LBB378_260:
	v_cmp_gt_u32_e32 vcc, s54, v40
	s_mov_b64 s[12:13], 0
	s_mov_b64 s[4:5], 0
	s_and_saveexec_b64 s[14:15], vcc
	s_cbranch_execz .LBB378_271
; %bb.261:
	s_andn2_b64 vcc, exec, s[6:7]
	s_mov_b64 s[16:17], 0
	s_cbranch_vccnz .LBB378_270
; %bb.262:
	v_mov_b64_e32 v[32:33], s[36:37]
	s_waitcnt vmcnt(0) lgkmcnt(1)
	v_mad_u64_u32 v[30:31], s[4:5], v16, s26, v[32:33]
	v_mul_lo_u32 v34, v16, s27
	v_mul_lo_u32 v35, v17, s26
	v_add3_u32 v31, v35, v31, v34
	v_mad_u64_u32 v[32:33], s[4:5], v28, s26, v[32:33]
	v_mul_lo_u32 v34, v28, s27
	v_mul_lo_u32 v35, v29, s26
	v_add3_u32 v33, v35, v33, v34
	global_load_ubyte v34, v[30:31], off
	global_load_ubyte v35, v[32:33], off
	s_mov_b64 s[16:17], -1
	s_waitcnt vmcnt(0)
	v_cmp_eq_u16_e32 vcc, v34, v35
	s_and_saveexec_b64 s[4:5], vcc
	s_cbranch_execz .LBB378_269
; %bb.263:
	s_mov_b64 s[42:43], 1
	s_mov_b64 s[16:17], 0
                                        ; implicit-def: $sgpr40_sgpr41
	s_branch .LBB378_266
.LBB378_264:                            ;   in Loop: Header=BB378_266 Depth=1
	v_lshl_add_u64 v[34:35], v[30:31], 0, s[42:43]
	v_lshl_add_u64 v[36:37], v[32:33], 0, s[42:43]
	global_load_ubyte v45, v[34:35], off
	global_load_ubyte v46, v[36:37], off
	s_add_u32 s44, s42, 1
	s_addc_u32 s45, s43, 0
	s_andn2_b64 s[40:41], s[40:41], exec
	s_waitcnt vmcnt(0)
	v_cmp_ne_u16_e32 vcc, v45, v46
	s_and_b64 s[46:47], vcc, exec
	s_or_b64 s[40:41], s[40:41], s[46:47]
.LBB378_265:                            ;   in Loop: Header=BB378_266 Depth=1
	s_and_b64 s[46:47], exec, s[40:41]
	s_or_b64 s[16:17], s[46:47], s[16:17]
	v_mov_b64_e32 v[34:35], s[42:43]
	s_mov_b64 s[42:43], s[44:45]
	s_andn2_b64 exec, exec, s[16:17]
	s_cbranch_execz .LBB378_268
.LBB378_266:                            ; =>This Inner Loop Header: Depth=1
	s_or_b64 s[40:41], s[40:41], exec
	s_cmp_eq_u64 s[26:27], s[42:43]
	s_cbranch_scc0 .LBB378_264
; %bb.267:                              ;   in Loop: Header=BB378_266 Depth=1
                                        ; implicit-def: $sgpr44_sgpr45
	s_mov_b64 s[42:43], s[26:27]
	s_branch .LBB378_265
.LBB378_268:
	s_or_b64 exec, exec, s[16:17]
	v_cmp_gt_i64_e32 vcc, s[26:27], v[34:35]
	s_orn2_b64 s[16:17], vcc, exec
.LBB378_269:
	s_or_b64 exec, exec, s[4:5]
.LBB378_270:
	s_and_b64 s[4:5], s[16:17], exec
.LBB378_271:
	s_or_b64 exec, exec, s[14:15]
	v_cmp_gt_u32_e32 vcc, s54, v43
	s_and_saveexec_b64 s[14:15], vcc
	s_cbranch_execz .LBB378_282
; %bb.272:
	s_andn2_b64 vcc, exec, s[6:7]
	s_mov_b64 s[16:17], 0
	s_cbranch_vccnz .LBB378_281
; %bb.273:
	v_mov_b64_e32 v[32:33], s[36:37]
	s_waitcnt vmcnt(0) lgkmcnt(1)
	v_mad_u64_u32 v[30:31], s[12:13], v14, s26, v[32:33]
	v_mul_lo_u32 v34, v14, s27
	v_mul_lo_u32 v35, v15, s26
	v_add3_u32 v31, v35, v31, v34
	v_mad_u64_u32 v[32:33], s[12:13], v16, s26, v[32:33]
	v_mul_lo_u32 v34, v16, s27
	v_mul_lo_u32 v35, v17, s26
	v_add3_u32 v33, v35, v33, v34
	global_load_ubyte v34, v[30:31], off
	global_load_ubyte v35, v[32:33], off
	s_mov_b64 s[16:17], -1
	s_waitcnt vmcnt(0)
	v_cmp_eq_u16_e32 vcc, v34, v35
	s_and_saveexec_b64 s[12:13], vcc
	s_cbranch_execz .LBB378_280
; %bb.274:
	s_mov_b64 s[42:43], 1
	s_mov_b64 s[16:17], 0
                                        ; implicit-def: $sgpr40_sgpr41
	s_branch .LBB378_277
.LBB378_275:                            ;   in Loop: Header=BB378_277 Depth=1
	v_lshl_add_u64 v[34:35], v[30:31], 0, s[42:43]
	v_lshl_add_u64 v[36:37], v[32:33], 0, s[42:43]
	global_load_ubyte v45, v[34:35], off
	global_load_ubyte v46, v[36:37], off
	s_add_u32 s44, s42, 1
	s_addc_u32 s45, s43, 0
	s_andn2_b64 s[40:41], s[40:41], exec
	s_waitcnt vmcnt(0)
	v_cmp_ne_u16_e32 vcc, v45, v46
	s_and_b64 s[46:47], vcc, exec
	s_or_b64 s[40:41], s[40:41], s[46:47]
.LBB378_276:                            ;   in Loop: Header=BB378_277 Depth=1
	s_and_b64 s[46:47], exec, s[40:41]
	s_or_b64 s[16:17], s[46:47], s[16:17]
	v_mov_b64_e32 v[34:35], s[42:43]
	s_mov_b64 s[42:43], s[44:45]
	s_andn2_b64 exec, exec, s[16:17]
	s_cbranch_execz .LBB378_279
.LBB378_277:                            ; =>This Inner Loop Header: Depth=1
	s_or_b64 s[40:41], s[40:41], exec
	s_cmp_eq_u64 s[26:27], s[42:43]
	s_cbranch_scc0 .LBB378_275
; %bb.278:                              ;   in Loop: Header=BB378_277 Depth=1
                                        ; implicit-def: $sgpr44_sgpr45
	s_mov_b64 s[42:43], s[26:27]
	s_branch .LBB378_276
.LBB378_279:
	s_or_b64 exec, exec, s[16:17]
	v_cmp_gt_i64_e32 vcc, s[26:27], v[34:35]
	s_orn2_b64 s[16:17], vcc, exec
.LBB378_280:
	s_or_b64 exec, exec, s[12:13]
.LBB378_281:
	s_and_b64 s[12:13], s[16:17], exec
.LBB378_282:
	s_or_b64 exec, exec, s[14:15]
	v_cmp_gt_u32_e32 vcc, s54, v39
	s_mov_b64 s[16:17], 0
	s_mov_b64 s[14:15], 0
	s_and_saveexec_b64 s[40:41], vcc
	s_cbranch_execz .LBB378_293
; %bb.283:
	s_andn2_b64 vcc, exec, s[6:7]
	s_mov_b64 s[42:43], 0
	s_cbranch_vccnz .LBB378_292
; %bb.284:
	v_mov_b64_e32 v[32:33], s[36:37]
	s_waitcnt vmcnt(0) lgkmcnt(1)
	v_mad_u64_u32 v[30:31], s[14:15], v20, s26, v[32:33]
	v_mul_lo_u32 v34, v20, s27
	v_mul_lo_u32 v35, v21, s26
	v_add3_u32 v31, v35, v31, v34
	v_mad_u64_u32 v[32:33], s[14:15], v14, s26, v[32:33]
	v_mul_lo_u32 v34, v14, s27
	v_mul_lo_u32 v35, v15, s26
	v_add3_u32 v33, v35, v33, v34
	global_load_ubyte v34, v[30:31], off
	global_load_ubyte v35, v[32:33], off
	s_mov_b64 s[42:43], -1
	s_waitcnt vmcnt(0)
	v_cmp_eq_u16_e32 vcc, v34, v35
	s_and_saveexec_b64 s[14:15], vcc
	s_cbranch_execz .LBB378_291
; %bb.285:
	s_mov_b64 s[46:47], 1
	s_mov_b64 s[42:43], 0
                                        ; implicit-def: $sgpr44_sgpr45
	s_branch .LBB378_288
.LBB378_286:                            ;   in Loop: Header=BB378_288 Depth=1
	v_lshl_add_u64 v[34:35], v[30:31], 0, s[46:47]
	v_lshl_add_u64 v[36:37], v[32:33], 0, s[46:47]
	global_load_ubyte v45, v[34:35], off
	global_load_ubyte v46, v[36:37], off
	s_add_u32 s48, s46, 1
	s_addc_u32 s49, s47, 0
	s_andn2_b64 s[44:45], s[44:45], exec
	s_waitcnt vmcnt(0)
	v_cmp_ne_u16_e32 vcc, v45, v46
	s_and_b64 s[50:51], vcc, exec
	s_or_b64 s[44:45], s[44:45], s[50:51]
.LBB378_287:                            ;   in Loop: Header=BB378_288 Depth=1
	s_and_b64 s[50:51], exec, s[44:45]
	s_or_b64 s[42:43], s[50:51], s[42:43]
	v_mov_b64_e32 v[34:35], s[46:47]
	s_mov_b64 s[46:47], s[48:49]
	s_andn2_b64 exec, exec, s[42:43]
	s_cbranch_execz .LBB378_290
.LBB378_288:                            ; =>This Inner Loop Header: Depth=1
	s_or_b64 s[44:45], s[44:45], exec
	s_cmp_eq_u64 s[26:27], s[46:47]
	s_cbranch_scc0 .LBB378_286
; %bb.289:                              ;   in Loop: Header=BB378_288 Depth=1
                                        ; implicit-def: $sgpr48_sgpr49
	s_mov_b64 s[46:47], s[26:27]
	s_branch .LBB378_287
.LBB378_290:
	s_or_b64 exec, exec, s[42:43]
	v_cmp_gt_i64_e32 vcc, s[26:27], v[34:35]
	s_orn2_b64 s[42:43], vcc, exec
.LBB378_291:
	s_or_b64 exec, exec, s[14:15]
.LBB378_292:
	s_and_b64 s[14:15], s[42:43], exec
.LBB378_293:
	s_or_b64 exec, exec, s[40:41]
	v_cmp_gt_u32_e32 vcc, s54, v42
	s_and_saveexec_b64 s[40:41], vcc
	s_cbranch_execz .LBB378_304
; %bb.294:
	s_andn2_b64 vcc, exec, s[6:7]
	s_mov_b64 s[42:43], 0
	s_cbranch_vccnz .LBB378_303
; %bb.295:
	v_mov_b64_e32 v[32:33], s[36:37]
	s_waitcnt vmcnt(0) lgkmcnt(1)
	v_mad_u64_u32 v[30:31], s[16:17], v18, s26, v[32:33]
	v_mul_lo_u32 v34, v18, s27
	v_mul_lo_u32 v35, v19, s26
	v_add3_u32 v31, v35, v31, v34
	v_mad_u64_u32 v[32:33], s[16:17], v20, s26, v[32:33]
	v_mul_lo_u32 v34, v20, s27
	v_mul_lo_u32 v35, v21, s26
	v_add3_u32 v33, v35, v33, v34
	global_load_ubyte v34, v[30:31], off
	global_load_ubyte v35, v[32:33], off
	s_mov_b64 s[42:43], -1
	s_waitcnt vmcnt(0)
	v_cmp_eq_u16_e32 vcc, v34, v35
	s_and_saveexec_b64 s[16:17], vcc
	s_cbranch_execz .LBB378_302
; %bb.296:
	s_mov_b64 s[46:47], 1
	s_mov_b64 s[42:43], 0
                                        ; implicit-def: $sgpr44_sgpr45
	s_branch .LBB378_299
.LBB378_297:                            ;   in Loop: Header=BB378_299 Depth=1
	v_lshl_add_u64 v[34:35], v[30:31], 0, s[46:47]
	v_lshl_add_u64 v[36:37], v[32:33], 0, s[46:47]
	global_load_ubyte v45, v[34:35], off
	global_load_ubyte v46, v[36:37], off
	s_add_u32 s48, s46, 1
	s_addc_u32 s49, s47, 0
	s_andn2_b64 s[44:45], s[44:45], exec
	s_waitcnt vmcnt(0)
	v_cmp_ne_u16_e32 vcc, v45, v46
	s_and_b64 s[50:51], vcc, exec
	s_or_b64 s[44:45], s[44:45], s[50:51]
.LBB378_298:                            ;   in Loop: Header=BB378_299 Depth=1
	s_and_b64 s[50:51], exec, s[44:45]
	s_or_b64 s[42:43], s[50:51], s[42:43]
	v_mov_b64_e32 v[34:35], s[46:47]
	s_mov_b64 s[46:47], s[48:49]
	s_andn2_b64 exec, exec, s[42:43]
	s_cbranch_execz .LBB378_301
.LBB378_299:                            ; =>This Inner Loop Header: Depth=1
	s_or_b64 s[44:45], s[44:45], exec
	s_cmp_eq_u64 s[26:27], s[46:47]
	s_cbranch_scc0 .LBB378_297
; %bb.300:                              ;   in Loop: Header=BB378_299 Depth=1
                                        ; implicit-def: $sgpr48_sgpr49
	s_mov_b64 s[46:47], s[26:27]
	s_branch .LBB378_298
.LBB378_301:
	s_or_b64 exec, exec, s[42:43]
	v_cmp_gt_i64_e32 vcc, s[26:27], v[34:35]
	s_orn2_b64 s[42:43], vcc, exec
.LBB378_302:
	s_or_b64 exec, exec, s[16:17]
.LBB378_303:
	s_and_b64 s[16:17], s[42:43], exec
.LBB378_304:
	s_or_b64 exec, exec, s[40:41]
	v_cmp_gt_u32_e32 vcc, s54, v38
	s_mov_b64 s[40:41], 0
	s_mov_b64 s[42:43], 0
	s_and_saveexec_b64 s[44:45], vcc
	s_cbranch_execz .LBB378_315
; %bb.305:
	s_andn2_b64 vcc, exec, s[6:7]
	s_mov_b64 s[46:47], 0
	s_cbranch_vccnz .LBB378_314
; %bb.306:
	v_mov_b64_e32 v[32:33], s[36:37]
	s_waitcnt vmcnt(0) lgkmcnt(1)
	v_mad_u64_u32 v[30:31], s[42:43], v24, s26, v[32:33]
	v_mul_lo_u32 v34, v24, s27
	v_mul_lo_u32 v35, v25, s26
	v_add3_u32 v31, v35, v31, v34
	v_mad_u64_u32 v[32:33], s[42:43], v18, s26, v[32:33]
	v_mul_lo_u32 v34, v18, s27
	v_mul_lo_u32 v35, v19, s26
	v_add3_u32 v33, v35, v33, v34
	global_load_ubyte v34, v[30:31], off
	global_load_ubyte v35, v[32:33], off
	s_mov_b64 s[46:47], -1
	s_waitcnt vmcnt(0)
	v_cmp_eq_u16_e32 vcc, v34, v35
	s_and_saveexec_b64 s[42:43], vcc
	s_cbranch_execz .LBB378_313
; %bb.307:
	s_mov_b64 s[50:51], 1
	s_mov_b64 s[46:47], 0
                                        ; implicit-def: $sgpr48_sgpr49
	s_branch .LBB378_310
.LBB378_308:                            ;   in Loop: Header=BB378_310 Depth=1
	v_lshl_add_u64 v[34:35], v[30:31], 0, s[50:51]
	v_lshl_add_u64 v[36:37], v[32:33], 0, s[50:51]
	global_load_ubyte v34, v[34:35], off
	s_nop 0
	global_load_ubyte v35, v[36:37], off
	s_add_u32 s52, s50, 1
	s_addc_u32 s53, s51, 0
	s_andn2_b64 s[48:49], s[48:49], exec
	s_waitcnt vmcnt(0)
	v_cmp_ne_u16_e32 vcc, v34, v35
	s_and_b64 s[56:57], vcc, exec
	s_or_b64 s[48:49], s[48:49], s[56:57]
.LBB378_309:                            ;   in Loop: Header=BB378_310 Depth=1
	s_and_b64 s[56:57], exec, s[48:49]
	s_or_b64 s[46:47], s[56:57], s[46:47]
	v_mov_b64_e32 v[34:35], s[50:51]
	s_mov_b64 s[50:51], s[52:53]
	s_andn2_b64 exec, exec, s[46:47]
	s_cbranch_execz .LBB378_312
.LBB378_310:                            ; =>This Inner Loop Header: Depth=1
	s_or_b64 s[48:49], s[48:49], exec
	s_cmp_eq_u64 s[26:27], s[50:51]
	s_cbranch_scc0 .LBB378_308
; %bb.311:                              ;   in Loop: Header=BB378_310 Depth=1
                                        ; implicit-def: $sgpr52_sgpr53
	s_mov_b64 s[50:51], s[26:27]
	s_branch .LBB378_309
.LBB378_312:
	s_or_b64 exec, exec, s[46:47]
	v_cmp_gt_i64_e32 vcc, s[26:27], v[34:35]
	s_orn2_b64 s[46:47], vcc, exec
.LBB378_313:
	s_or_b64 exec, exec, s[42:43]
.LBB378_314:
	s_and_b64 s[42:43], s[46:47], exec
.LBB378_315:
	s_or_b64 exec, exec, s[44:45]
	v_cmp_gt_u32_e32 vcc, s54, v41
	s_and_saveexec_b64 s[44:45], vcc
	s_cbranch_execz .LBB378_326
; %bb.316:
	s_andn2_b64 vcc, exec, s[6:7]
	s_mov_b64 s[46:47], 0
	s_cbranch_vccnz .LBB378_325
; %bb.317:
	v_mov_b64_e32 v[32:33], s[36:37]
	s_waitcnt vmcnt(0) lgkmcnt(1)
	v_mad_u64_u32 v[30:31], s[40:41], v22, s26, v[32:33]
	v_mul_lo_u32 v34, v22, s27
	v_mul_lo_u32 v35, v23, s26
	v_add3_u32 v31, v35, v31, v34
	v_mad_u64_u32 v[32:33], s[40:41], v24, s26, v[32:33]
	v_mul_lo_u32 v34, v24, s27
	v_mul_lo_u32 v35, v25, s26
	v_add3_u32 v33, v35, v33, v34
	global_load_ubyte v34, v[30:31], off
	global_load_ubyte v35, v[32:33], off
	s_mov_b64 s[46:47], -1
	s_waitcnt vmcnt(0)
	v_cmp_eq_u16_e32 vcc, v34, v35
	s_and_saveexec_b64 s[40:41], vcc
	s_cbranch_execz .LBB378_324
; %bb.318:
	s_mov_b64 s[50:51], 1
	s_mov_b64 s[46:47], 0
                                        ; implicit-def: $sgpr48_sgpr49
	s_branch .LBB378_321
.LBB378_319:                            ;   in Loop: Header=BB378_321 Depth=1
	v_lshl_add_u64 v[34:35], v[30:31], 0, s[50:51]
	v_lshl_add_u64 v[36:37], v[32:33], 0, s[50:51]
	global_load_ubyte v34, v[34:35], off
	s_nop 0
	global_load_ubyte v35, v[36:37], off
	s_add_u32 s52, s50, 1
	s_addc_u32 s53, s51, 0
	s_andn2_b64 s[48:49], s[48:49], exec
	s_waitcnt vmcnt(0)
	v_cmp_ne_u16_e32 vcc, v34, v35
	s_and_b64 s[56:57], vcc, exec
	s_or_b64 s[48:49], s[48:49], s[56:57]
.LBB378_320:                            ;   in Loop: Header=BB378_321 Depth=1
	s_and_b64 s[56:57], exec, s[48:49]
	s_or_b64 s[46:47], s[56:57], s[46:47]
	v_mov_b64_e32 v[34:35], s[50:51]
	s_mov_b64 s[50:51], s[52:53]
	s_andn2_b64 exec, exec, s[46:47]
	s_cbranch_execz .LBB378_323
.LBB378_321:                            ; =>This Inner Loop Header: Depth=1
	s_or_b64 s[48:49], s[48:49], exec
	s_cmp_eq_u64 s[26:27], s[50:51]
	s_cbranch_scc0 .LBB378_319
; %bb.322:                              ;   in Loop: Header=BB378_321 Depth=1
                                        ; implicit-def: $sgpr52_sgpr53
	s_mov_b64 s[50:51], s[26:27]
	s_branch .LBB378_320
.LBB378_323:
	s_or_b64 exec, exec, s[46:47]
	v_cmp_gt_i64_e32 vcc, s[26:27], v[34:35]
	s_orn2_b64 s[46:47], vcc, exec
.LBB378_324:
	s_or_b64 exec, exec, s[40:41]
.LBB378_325:
	s_and_b64 s[40:41], s[46:47], exec
.LBB378_326:
	s_or_b64 exec, exec, s[44:45]
	s_waitcnt vmcnt(0) lgkmcnt(1)
	v_cndmask_b32_e64 v31, 0, 1, s[16:17]
	v_cndmask_b32_e64 v30, 0, 1, s[42:43]
	;; [unrolled: 1-line block ×3, first 2 shown]
	v_lshlrev_b16_e32 v31, 8, v31
	v_cndmask_b32_e64 v46, 0, 1, s[14:15]
	v_cndmask_b32_e64 v32, 0, 1, s[40:41]
	v_or_b32_sdwa v30, v30, v31 dst_sel:WORD_1 dst_unused:UNUSED_PAD src0_sel:DWORD src1_sel:DWORD
	v_lshlrev_b16_e32 v31, 8, v47
	v_lshlrev_b16_e32 v32, 8, v32
	v_or_b32_e32 v31, v46, v31
	v_or_b32_e32 v32, 1, v32
	v_and_b32_e32 v31, 0xffff, v31
	v_cndmask_b32_e64 v48, 0, 1, s[4:5]
	v_or_b32_sdwa v30, v32, v30 dst_sel:DWORD dst_unused:UNUSED_PAD src0_sel:WORD_0 src1_sel:DWORD
	v_lshl_or_b32 v31, v48, 16, v31
	s_waitcnt lgkmcnt(0)
	s_barrier
	s_waitcnt lgkmcnt(0)
                                        ; implicit-def: $sgpr14_sgpr15
                                        ; implicit-def: $vgpr34
	s_and_saveexec_b64 s[4:5], s[2:3]
	s_cbranch_execz .LBB378_339
; %bb.327:
	v_cmp_gt_u32_e32 vcc, s54, v1
	s_mov_b32 s40, 0x3020104
	s_mov_b64 s[12:13], 0
	s_and_saveexec_b64 s[2:3], vcc
	s_cbranch_execz .LBB378_338
; %bb.328:
	s_andn2_b64 vcc, exec, s[6:7]
	s_cbranch_vccnz .LBB378_337
; %bb.329:
	v_add_u32_e32 v31, -8, v44
	ds_read_b64 v[32:33], v31
	v_mov_b64_e32 v[34:35], s[36:37]
	s_mov_b64 s[12:13], -1
	s_waitcnt lgkmcnt(0)
	v_mul_lo_u32 v31, v32, s27
	v_mul_lo_u32 v36, v33, s26
	v_mad_u64_u32 v[32:33], s[6:7], v32, s26, v[34:35]
	v_add3_u32 v33, v36, v33, v31
	v_mad_u64_u32 v[34:35], s[6:7], v22, s26, v[34:35]
	v_mul_lo_u32 v31, v22, s27
	v_mul_lo_u32 v36, v23, s26
	v_add3_u32 v35, v36, v35, v31
	global_load_ubyte v31, v[32:33], off
	global_load_ubyte v36, v[34:35], off
	s_waitcnt vmcnt(0)
	v_cmp_eq_u16_e32 vcc, v31, v36
	s_and_saveexec_b64 s[6:7], vcc
	s_cbranch_execz .LBB378_336
; %bb.330:
	s_mov_b64 s[16:17], 1
	s_mov_b64 s[12:13], 0
                                        ; implicit-def: $sgpr14_sgpr15
	s_branch .LBB378_333
.LBB378_331:                            ;   in Loop: Header=BB378_333 Depth=1
	v_lshl_add_u64 v[36:37], v[32:33], 0, s[16:17]
	v_lshl_add_u64 v[44:45], v[34:35], 0, s[16:17]
	global_load_ubyte v31, v[36:37], off
	global_load_ubyte v49, v[44:45], off
	s_add_u32 s36, s16, 1
	s_addc_u32 s37, s17, 0
	s_andn2_b64 s[14:15], s[14:15], exec
	s_waitcnt vmcnt(0)
	v_cmp_ne_u16_e32 vcc, v31, v49
	s_and_b64 s[42:43], vcc, exec
	s_or_b64 s[14:15], s[14:15], s[42:43]
.LBB378_332:                            ;   in Loop: Header=BB378_333 Depth=1
	s_and_b64 s[42:43], exec, s[14:15]
	s_or_b64 s[12:13], s[42:43], s[12:13]
	v_mov_b64_e32 v[36:37], s[16:17]
	s_mov_b64 s[16:17], s[36:37]
	s_andn2_b64 exec, exec, s[12:13]
	s_cbranch_execz .LBB378_335
.LBB378_333:                            ; =>This Inner Loop Header: Depth=1
	s_or_b64 s[14:15], s[14:15], exec
	s_cmp_eq_u64 s[26:27], s[16:17]
	s_cbranch_scc0 .LBB378_331
; %bb.334:                              ;   in Loop: Header=BB378_333 Depth=1
                                        ; implicit-def: $sgpr36_sgpr37
	s_mov_b64 s[16:17], s[26:27]
	s_branch .LBB378_332
.LBB378_335:
	s_or_b64 exec, exec, s[12:13]
	v_cmp_gt_i64_e32 vcc, s[26:27], v[36:37]
	s_orn2_b64 s[12:13], vcc, exec
.LBB378_336:
	s_or_b64 exec, exec, s[6:7]
.LBB378_337:
	s_and_b64 s[12:13], s[12:13], exec
.LBB378_338:
	s_or_b64 exec, exec, s[2:3]
	v_perm_b32 v34, v30, v30, s40
	s_and_b64 s[14:15], s[12:13], exec
	s_or_b64 s[10:11], s[10:11], exec
                                        ; implicit-def: $vgpr30_vgpr31
.LBB378_339:
	s_or_b64 exec, exec, s[4:5]
.LBB378_340:
	s_and_saveexec_b64 s[2:3], s[10:11]
	s_cbranch_execz .LBB378_342
; %bb.341:
	s_waitcnt vmcnt(0) lgkmcnt(0)
	v_lshlrev_b16_e32 v31, 8, v47
	v_and_b32_e32 v32, 0xff, v48
	v_or_b32_sdwa v31, v46, v31 dst_sel:DWORD dst_unused:UNUSED_PAD src0_sel:BYTE_0 src1_sel:DWORD
	v_lshlrev_b32_e32 v32, 16, v32
	s_movk_i32 s4, 0xff
	v_or_b32_sdwa v31, v31, v32 dst_sel:DWORD dst_unused:UNUSED_PAD src0_sel:WORD_0 src1_sel:DWORD
	v_lshrrev_b32_e32 v32, 24, v34
	v_lshlrev_b16_e32 v32, 8, v32
	v_and_b32_sdwa v33, v34, s4 dst_sel:DWORD dst_unused:UNUSED_PAD src0_sel:WORD_1 src1_sel:DWORD
	v_or_b32_sdwa v32, v33, v32 dst_sel:WORD_1 dst_unused:UNUSED_PAD src0_sel:DWORD src1_sel:DWORD
	v_mov_b32_e32 v33, 8
	v_cndmask_b32_e64 v30, 0, 1, s[14:15]
	v_lshrrev_b32_sdwa v33, v33, v34 dst_sel:BYTE_1 dst_unused:UNUSED_PAD src0_sel:DWORD src1_sel:DWORD
	s_nop 0
	v_or_b32_e32 v30, v30, v33
	v_or_b32_sdwa v30, v30, v32 dst_sel:DWORD dst_unused:UNUSED_PAD src0_sel:WORD_0 src1_sel:DWORD
.LBB378_342:
	s_or_b64 exec, exec, s[2:3]
	s_andn2_b64 vcc, exec, s[8:9]
	s_cbranch_vccnz .LBB378_344
; %bb.343:
	s_waitcnt vmcnt(0) lgkmcnt(0)
	v_and_b32_e32 v32, 0xffff0000, v30
	v_cmp_gt_u32_e32 vcc, s54, v1
	s_mov_b32 s2, 0x40c0100
	s_nop 0
	v_cndmask_b32_e32 v1, v32, v30, vcc
	v_and_b32_e32 v1, 0xffff00ff, v1
	v_cmp_gt_u32_e32 vcc, s54, v41
	s_nop 1
	v_cndmask_b32_e32 v1, v1, v30, vcc
	v_lshrrev_b32_e32 v32, 24, v1
	v_perm_b32 v1, v32, v1, s2
	v_cmp_gt_u32_e32 vcc, s54, v38
	v_and_b32_e32 v32, 0xffffff00, v31
	s_nop 0
	v_cndmask_b32_e32 v1, v1, v30, vcc
	v_and_b32_e32 v1, 0xffffff, v1
	v_cmp_gt_u32_e32 vcc, s54, v42
	s_nop 1
	v_cndmask_b32_e32 v1, v1, v30, vcc
	v_cmp_gt_u32_e32 vcc, s54, v39
	s_nop 1
	v_cndmask_b32_e32 v32, v32, v31, vcc
	v_and_b32_e32 v32, 0xffff00ff, v32
	v_cndmask_b32_e32 v1, v1, v30, vcc
	v_cmp_gt_u32_e32 vcc, s54, v43
	s_nop 1
	v_cndmask_b32_e32 v32, v32, v31, vcc
	v_lshrrev_b32_e32 v33, 24, v32
	v_cndmask_b32_e32 v1, v1, v30, vcc
	v_perm_b32 v32, v33, v32, s2
	v_cmp_gt_u32_e32 vcc, s54, v40
	s_mov_b32 s2, 0x3020104
	s_nop 0
	v_cndmask_b32_e32 v1, v1, v30, vcc
	v_cndmask_b32_e32 v30, v32, v31, vcc
	v_mov_b32_e32 v31, 8
	v_lshrrev_b32_sdwa v31, v31, v30 dst_sel:BYTE_1 dst_unused:UNUSED_PAD src0_sel:DWORD src1_sel:DWORD
	s_nop 0
	v_or_b32_sdwa v31, v30, v31 dst_sel:DWORD dst_unused:UNUSED_PAD src0_sel:BYTE_0 src1_sel:DWORD
	v_and_b32_e32 v31, 0xffff, v31
	v_bfe_u32 v30, v30, 16, 8
	v_lshl_or_b32 v31, v30, 16, v31
	v_perm_b32 v30, v1, v1, s2
.LBB378_344:
	s_waitcnt vmcnt(0) lgkmcnt(0)
	v_and_b32_e32 v1, 0xff, v30
	v_bfe_u32 v43, v30, 8, 8
	v_bfe_u32 v45, v30, 16, 8
	v_alignbit_b32 v32, v31, v30, 24
	v_and_b32_e32 v47, 0xff, v32
	v_and_b32_e32 v48, 0xff, v31
	v_add3_u32 v33, v43, v1, v45
	v_bfe_u32 v49, v31, 8, 8
	v_bfe_u32 v32, v31, 16, 8
	v_add3_u32 v33, v33, v47, v48
	v_add3_u32 v52, v33, v49, v32
	v_mbcnt_lo_u32_b32 v32, -1, 0
	v_mbcnt_hi_u32_b32 v50, -1, v32
	v_and_b32_e32 v32, 15, v50
	v_cmp_eq_u32_e64 s[14:15], 0, v32
	v_cmp_lt_u32_e64 s[12:13], 1, v32
	v_cmp_lt_u32_e64 s[10:11], 3, v32
	v_cmp_lt_u32_e64 s[8:9], 7, v32
	v_and_b32_e32 v32, 16, v50
	v_cmp_eq_u32_e64 s[6:7], 0, v32
	v_or_b32_e32 v32, 63, v0
	v_cmp_lt_u32_e64 s[2:3], 31, v50
	v_lshrrev_b32_e32 v51, 6, v0
	v_cmp_eq_u32_e64 s[4:5], v32, v0
	s_and_b64 vcc, exec, s[0:1]
	s_barrier
	s_cbranch_vccz .LBB378_371
; %bb.345:
	v_mov_b32_dpp v32, v52 row_shr:1 row_mask:0xf bank_mask:0xf
	v_cndmask_b32_e64 v32, v32, 0, s[14:15]
	v_add_u32_e32 v32, v32, v52
	s_nop 1
	v_mov_b32_dpp v33, v32 row_shr:2 row_mask:0xf bank_mask:0xf
	v_cndmask_b32_e64 v33, 0, v33, s[12:13]
	v_add_u32_e32 v32, v32, v33
	s_nop 1
	v_mov_b32_dpp v33, v32 row_shr:4 row_mask:0xf bank_mask:0xf
	v_cndmask_b32_e64 v33, 0, v33, s[10:11]
	v_add_u32_e32 v32, v32, v33
	s_nop 1
	v_mov_b32_dpp v33, v32 row_shr:8 row_mask:0xf bank_mask:0xf
	v_cndmask_b32_e64 v33, 0, v33, s[8:9]
	v_add_u32_e32 v32, v32, v33
	s_nop 1
	v_mov_b32_dpp v33, v32 row_bcast:15 row_mask:0xf bank_mask:0xf
	v_cndmask_b32_e64 v33, v33, 0, s[6:7]
	v_add_u32_e32 v32, v32, v33
	s_nop 1
	v_mov_b32_dpp v33, v32 row_bcast:31 row_mask:0xf bank_mask:0xf
	v_cndmask_b32_e64 v33, 0, v33, s[2:3]
	v_add_u32_e32 v32, v32, v33
	s_and_saveexec_b64 s[0:1], s[4:5]
	s_cbranch_execz .LBB378_347
; %bb.346:
	v_lshlrev_b32_e32 v33, 2, v51
	ds_write_b32 v33, v32
.LBB378_347:
	s_or_b64 exec, exec, s[0:1]
	v_cmp_gt_u32_e32 vcc, 8, v0
	s_waitcnt lgkmcnt(0)
	s_barrier
	s_and_saveexec_b64 s[0:1], vcc
	s_cbranch_execz .LBB378_349
; %bb.348:
	v_lshlrev_b32_e32 v33, 2, v0
	ds_read_b32 v34, v33
	v_and_b32_e32 v35, 7, v50
	v_cmp_ne_u32_e32 vcc, 0, v35
	s_waitcnt lgkmcnt(0)
	v_mov_b32_dpp v36, v34 row_shr:1 row_mask:0xf bank_mask:0xf
	v_cndmask_b32_e32 v36, 0, v36, vcc
	v_add_u32_e32 v34, v36, v34
	v_cmp_lt_u32_e32 vcc, 1, v35
	s_nop 0
	v_mov_b32_dpp v36, v34 row_shr:2 row_mask:0xf bank_mask:0xf
	v_cndmask_b32_e32 v36, 0, v36, vcc
	v_add_u32_e32 v34, v34, v36
	v_cmp_lt_u32_e32 vcc, 3, v35
	s_nop 0
	v_mov_b32_dpp v36, v34 row_shr:4 row_mask:0xf bank_mask:0xf
	v_cndmask_b32_e32 v35, 0, v36, vcc
	v_add_u32_e32 v34, v34, v35
	ds_write_b32 v33, v34
.LBB378_349:
	s_or_b64 exec, exec, s[0:1]
	v_cmp_gt_u32_e32 vcc, 64, v0
	v_cmp_lt_u32_e64 s[0:1], 63, v0
	s_waitcnt lgkmcnt(0)
	s_barrier
	s_waitcnt lgkmcnt(0)
                                        ; implicit-def: $vgpr42
	s_and_saveexec_b64 s[16:17], s[0:1]
	s_cbranch_execz .LBB378_351
; %bb.350:
	v_lshl_add_u32 v33, v51, 2, -4
	ds_read_b32 v42, v33
	s_waitcnt lgkmcnt(0)
	v_add_u32_e32 v32, v42, v32
.LBB378_351:
	s_or_b64 exec, exec, s[16:17]
	v_add_u32_e32 v33, -1, v50
	v_and_b32_e32 v34, 64, v50
	v_cmp_lt_i32_e64 s[0:1], v33, v34
	v_cmp_eq_u32_e64 s[16:17], 0, v50
	s_nop 0
	v_cndmask_b32_e64 v33, v33, v50, s[0:1]
	v_lshlrev_b32_e32 v33, 2, v33
	ds_bpermute_b32 v44, v33, v32
	s_and_saveexec_b64 s[0:1], vcc
	s_cbranch_execz .LBB378_370
; %bb.352:
	v_mov_b32_e32 v39, 0
	ds_read_b32 v32, v39 offset:28
	s_and_saveexec_b64 s[26:27], s[16:17]
	s_cbranch_execz .LBB378_354
; %bb.353:
	s_add_i32 s36, s33, 64
	s_mov_b32 s37, 0
	s_lshl_b64 s[36:37], s[36:37], 3
	s_add_u32 s36, s38, s36
	v_mov_b32_e32 v33, 1
	s_addc_u32 s37, s39, s37
	s_waitcnt lgkmcnt(0)
	global_store_dwordx2 v39, v[32:33], s[36:37] sc1
.LBB378_354:
	s_or_b64 exec, exec, s[26:27]
	v_xad_u32 v34, v50, -1, s33
	v_add_u32_e32 v38, 64, v34
	v_lshl_add_u64 v[40:41], v[38:39], 3, s[38:39]
	global_load_dwordx2 v[36:37], v[40:41], off sc1
	s_waitcnt vmcnt(0)
	v_cmp_eq_u16_sdwa s[36:37], v37, v39 src0_sel:BYTE_0 src1_sel:DWORD
	s_and_saveexec_b64 s[26:27], s[36:37]
	s_cbranch_execz .LBB378_358
; %bb.355:
	s_mov_b64 s[36:37], 0
	v_mov_b32_e32 v33, 0
.LBB378_356:                            ; =>This Inner Loop Header: Depth=1
	global_load_dwordx2 v[36:37], v[40:41], off sc1
	s_waitcnt vmcnt(0)
	v_cmp_ne_u16_sdwa s[40:41], v37, v33 src0_sel:BYTE_0 src1_sel:DWORD
	s_or_b64 s[36:37], s[40:41], s[36:37]
	s_andn2_b64 exec, exec, s[36:37]
	s_cbranch_execnz .LBB378_356
; %bb.357:
	s_or_b64 exec, exec, s[36:37]
.LBB378_358:
	s_or_b64 exec, exec, s[26:27]
	v_and_b32_e32 v46, 63, v50
	v_mov_b32_e32 v33, 2
	v_cmp_ne_u32_e32 vcc, 63, v46
	v_cmp_eq_u16_sdwa s[26:27], v37, v33 src0_sel:BYTE_0 src1_sel:DWORD
	v_lshlrev_b64 v[38:39], v50, -1
	v_addc_co_u32_e32 v41, vcc, 0, v50, vcc
	v_and_b32_e32 v35, s27, v39
	v_lshlrev_b32_e32 v53, 2, v41
	v_or_b32_e32 v35, 0x80000000, v35
	ds_bpermute_b32 v41, v53, v36
	v_and_b32_e32 v40, s26, v38
	v_ffbl_b32_e32 v35, v35
	v_add_u32_e32 v35, 32, v35
	v_ffbl_b32_e32 v40, v40
	v_min_u32_e32 v35, v40, v35
	v_cmp_lt_u32_e32 vcc, v46, v35
	v_add_u32_e32 v55, 2, v46
	v_add_u32_e32 v57, 4, v46
	s_waitcnt lgkmcnt(0)
	v_cndmask_b32_e32 v40, 0, v41, vcc
	v_cmp_gt_u32_e32 vcc, 62, v46
	v_add_u32_e32 v36, v40, v36
	v_add_u32_e32 v59, 8, v46
	v_cndmask_b32_e64 v40, 0, 1, vcc
	v_lshlrev_b32_e32 v40, 1, v40
	v_add_lshl_u32 v54, v40, v50, 2
	ds_bpermute_b32 v40, v54, v36
	v_cmp_le_u32_e32 vcc, v55, v35
	v_add_u32_e32 v62, 16, v46
	v_add_u32_e32 v64, 32, v46
	s_waitcnt lgkmcnt(0)
	v_cndmask_b32_e32 v40, 0, v40, vcc
	v_cmp_gt_u32_e32 vcc, 60, v46
	v_add_u32_e32 v36, v36, v40
	s_nop 0
	v_cndmask_b32_e64 v40, 0, 1, vcc
	v_lshlrev_b32_e32 v40, 2, v40
	v_add_lshl_u32 v56, v40, v50, 2
	ds_bpermute_b32 v40, v56, v36
	v_cmp_le_u32_e32 vcc, v57, v35
	s_waitcnt lgkmcnt(0)
	s_nop 0
	v_cndmask_b32_e32 v40, 0, v40, vcc
	v_cmp_gt_u32_e32 vcc, 56, v46
	v_add_u32_e32 v36, v36, v40
	s_nop 0
	v_cndmask_b32_e64 v40, 0, 1, vcc
	v_lshlrev_b32_e32 v40, 3, v40
	v_add_lshl_u32 v58, v40, v50, 2
	ds_bpermute_b32 v40, v58, v36
	v_cmp_le_u32_e32 vcc, v59, v35
	s_waitcnt lgkmcnt(0)
	s_nop 0
	v_cndmask_b32_e32 v40, 0, v40, vcc
	v_cmp_gt_u32_e32 vcc, 48, v46
	v_add_u32_e32 v36, v36, v40
	s_nop 0
	v_cndmask_b32_e64 v40, 0, 1, vcc
	v_lshlrev_b32_e32 v40, 4, v40
	v_add_lshl_u32 v61, v40, v50, 2
	ds_bpermute_b32 v40, v61, v36
	v_cmp_le_u32_e32 vcc, v62, v35
	s_waitcnt lgkmcnt(0)
	s_nop 0
	v_cndmask_b32_e32 v40, 0, v40, vcc
	v_cmp_gt_u32_e32 vcc, 32, v46
	v_add_u32_e32 v36, v36, v40
	s_nop 0
	v_cndmask_b32_e64 v40, 0, 1, vcc
	v_lshlrev_b32_e32 v40, 5, v40
	v_add_lshl_u32 v63, v40, v50, 2
	ds_bpermute_b32 v40, v63, v36
	v_cmp_le_u32_e32 vcc, v64, v35
	s_waitcnt lgkmcnt(0)
	s_nop 0
	v_cndmask_b32_e32 v35, 0, v40, vcc
	v_add_u32_e32 v36, v36, v35
	v_mov_b32_e32 v35, 0
	s_branch .LBB378_360
.LBB378_359:                            ;   in Loop: Header=BB378_360 Depth=1
	s_or_b64 exec, exec, s[26:27]
	v_cmp_eq_u16_sdwa s[26:27], v37, v33 src0_sel:BYTE_0 src1_sel:DWORD
	ds_bpermute_b32 v65, v53, v36
	v_subrev_u32_e32 v34, 64, v34
	v_and_b32_e32 v40, s27, v39
	v_or_b32_e32 v40, 0x80000000, v40
	v_and_b32_e32 v41, s26, v38
	v_ffbl_b32_e32 v40, v40
	v_add_u32_e32 v40, 32, v40
	v_ffbl_b32_e32 v41, v41
	v_min_u32_e32 v40, v41, v40
	v_cmp_lt_u32_e32 vcc, v46, v40
	s_waitcnt lgkmcnt(0)
	s_nop 0
	v_cndmask_b32_e32 v41, 0, v65, vcc
	v_add_u32_e32 v36, v41, v36
	ds_bpermute_b32 v41, v54, v36
	v_cmp_le_u32_e32 vcc, v55, v40
	s_waitcnt lgkmcnt(0)
	s_nop 0
	v_cndmask_b32_e32 v41, 0, v41, vcc
	v_add_u32_e32 v36, v36, v41
	ds_bpermute_b32 v41, v56, v36
	v_cmp_le_u32_e32 vcc, v57, v40
	;; [unrolled: 6-line block ×5, first 2 shown]
	s_waitcnt lgkmcnt(0)
	s_nop 0
	v_cndmask_b32_e32 v40, 0, v41, vcc
	v_add3_u32 v36, v40, v60, v36
.LBB378_360:                            ; =>This Loop Header: Depth=1
                                        ;     Child Loop BB378_363 Depth 2
	v_cmp_ne_u16_sdwa s[26:27], v37, v33 src0_sel:BYTE_0 src1_sel:DWORD
	v_mov_b32_e32 v60, v36
	s_nop 0
	v_cndmask_b32_e64 v37, 0, 1, s[26:27]
	;;#ASMSTART
	;;#ASMEND
	s_nop 0
	v_cmp_ne_u32_e32 vcc, 0, v37
	s_cmp_lg_u64 vcc, exec
	s_cbranch_scc1 .LBB378_365
; %bb.361:                              ;   in Loop: Header=BB378_360 Depth=1
	v_lshl_add_u64 v[40:41], v[34:35], 3, s[38:39]
	global_load_dwordx2 v[36:37], v[40:41], off sc1
	s_waitcnt vmcnt(0)
	v_cmp_eq_u16_sdwa s[36:37], v37, v35 src0_sel:BYTE_0 src1_sel:DWORD
	s_and_saveexec_b64 s[26:27], s[36:37]
	s_cbranch_execz .LBB378_359
; %bb.362:                              ;   in Loop: Header=BB378_360 Depth=1
	s_mov_b64 s[36:37], 0
.LBB378_363:                            ;   Parent Loop BB378_360 Depth=1
                                        ; =>  This Inner Loop Header: Depth=2
	global_load_dwordx2 v[36:37], v[40:41], off sc1
	s_waitcnt vmcnt(0)
	v_cmp_ne_u16_sdwa s[40:41], v37, v35 src0_sel:BYTE_0 src1_sel:DWORD
	s_or_b64 s[36:37], s[40:41], s[36:37]
	s_andn2_b64 exec, exec, s[36:37]
	s_cbranch_execnz .LBB378_363
; %bb.364:                              ;   in Loop: Header=BB378_360 Depth=1
	s_or_b64 exec, exec, s[36:37]
	s_branch .LBB378_359
.LBB378_365:                            ;   in Loop: Header=BB378_360 Depth=1
                                        ; implicit-def: $vgpr36
                                        ; implicit-def: $vgpr37
	s_cbranch_execz .LBB378_360
; %bb.366:
	s_and_saveexec_b64 s[26:27], s[16:17]
	s_cbranch_execz .LBB378_368
; %bb.367:
	s_add_i32 s36, s33, 64
	s_mov_b32 s37, 0
	s_lshl_b64 s[36:37], s[36:37], 3
	s_add_u32 s36, s38, s36
	v_add_u32_e32 v34, v60, v32
	v_mov_b32_e32 v35, 2
	s_addc_u32 s37, s39, s37
	v_mov_b32_e32 v33, 0
	s_movk_i32 s33, 0x7000
	global_store_dwordx2 v33, v[34:35], s[36:37] sc1
	v_add_u32_e64 v33, s33, 0
	ds_write2_b32 v33, v32, v60 offset1:2
.LBB378_368:
	s_or_b64 exec, exec, s[26:27]
	s_and_b64 exec, exec, s[18:19]
	s_cbranch_execz .LBB378_370
; %bb.369:
	v_mov_b32_e32 v32, 0
	ds_write_b32 v32, v60 offset:28
.LBB378_370:
	s_or_b64 exec, exec, s[0:1]
	v_mov_b32_e32 v32, 0
	s_waitcnt lgkmcnt(0)
	s_barrier
	ds_read_b32 v32, v32 offset:28
	v_cndmask_b32_e64 v33, v44, v42, s[16:17]
	v_cndmask_b32_e64 v33, v33, 0, s[18:19]
	s_movk_i32 s0, 0x7000
	s_waitcnt lgkmcnt(0)
	v_add_u32_e32 v46, v32, v33
	v_add_u32_e64 v32, s0, 0
	v_add_u32_e32 v44, v46, v1
	s_barrier
	ds_read2_b32 v[32:33], v32 offset1:2
	v_add_u32_e32 v42, v44, v43
	v_add_u32_e32 v40, v42, v45
	;; [unrolled: 1-line block ×5, first 2 shown]
	s_waitcnt lgkmcnt(0)
	v_readfirstlane_b32 s26, v32
	v_readfirstlane_b32 s16, v33
	v_lshrrev_b64 v[32:33], 24, v[30:31]
	s_branch .LBB378_381
.LBB378_371:
                                        ; implicit-def: $vgpr34
                                        ; implicit-def: $vgpr36
                                        ; implicit-def: $vgpr38
                                        ; implicit-def: $vgpr40
                                        ; implicit-def: $vgpr42
                                        ; implicit-def: $vgpr44
                                        ; implicit-def: $vgpr46
                                        ; implicit-def: $sgpr16
                                        ; implicit-def: $sgpr26
	v_lshrrev_b64 v[32:33], 24, v[30:31]
	s_cbranch_execz .LBB378_381
; %bb.372:
	s_nop 0
	v_mov_b32_dpp v33, v52 row_shr:1 row_mask:0xf bank_mask:0xf
	v_cndmask_b32_e64 v33, v33, 0, s[14:15]
	v_add_u32_e32 v33, v33, v52
	s_nop 1
	v_mov_b32_dpp v34, v33 row_shr:2 row_mask:0xf bank_mask:0xf
	v_cndmask_b32_e64 v34, 0, v34, s[12:13]
	v_add_u32_e32 v33, v33, v34
	;; [unrolled: 4-line block ×4, first 2 shown]
	s_nop 1
	v_mov_b32_dpp v34, v33 row_bcast:15 row_mask:0xf bank_mask:0xf
	v_cndmask_b32_e64 v34, v34, 0, s[6:7]
	v_add_u32_e32 v33, v33, v34
	s_nop 1
	v_mov_b32_dpp v34, v33 row_bcast:31 row_mask:0xf bank_mask:0xf
	v_cndmask_b32_e64 v34, 0, v34, s[2:3]
	v_add_u32_e32 v33, v33, v34
	s_and_saveexec_b64 s[0:1], s[4:5]
	s_cbranch_execz .LBB378_374
; %bb.373:
	v_lshlrev_b32_e32 v34, 2, v51
	ds_write_b32 v34, v33
.LBB378_374:
	s_or_b64 exec, exec, s[0:1]
	v_cmp_gt_u32_e32 vcc, 8, v0
	s_waitcnt lgkmcnt(0)
	s_barrier
	s_and_saveexec_b64 s[0:1], vcc
	s_cbranch_execz .LBB378_376
; %bb.375:
	v_lshlrev_b32_e32 v34, 2, v0
	ds_read_b32 v35, v34
	v_and_b32_e32 v36, 7, v50
	v_cmp_ne_u32_e32 vcc, 0, v36
	s_waitcnt lgkmcnt(0)
	v_mov_b32_dpp v37, v35 row_shr:1 row_mask:0xf bank_mask:0xf
	v_cndmask_b32_e32 v37, 0, v37, vcc
	v_add_u32_e32 v35, v37, v35
	v_cmp_lt_u32_e32 vcc, 1, v36
	s_nop 0
	v_mov_b32_dpp v37, v35 row_shr:2 row_mask:0xf bank_mask:0xf
	v_cndmask_b32_e32 v37, 0, v37, vcc
	v_add_u32_e32 v35, v35, v37
	v_cmp_lt_u32_e32 vcc, 3, v36
	s_nop 0
	v_mov_b32_dpp v37, v35 row_shr:4 row_mask:0xf bank_mask:0xf
	v_cndmask_b32_e32 v36, 0, v37, vcc
	v_add_u32_e32 v35, v35, v36
	ds_write_b32 v34, v35
.LBB378_376:
	s_or_b64 exec, exec, s[0:1]
	v_cmp_lt_u32_e32 vcc, 63, v0
	v_mov_b32_e32 v35, 0
	v_mov_b32_e32 v34, 0
	s_waitcnt lgkmcnt(0)
	s_barrier
	s_and_saveexec_b64 s[0:1], vcc
	s_cbranch_execz .LBB378_378
; %bb.377:
	v_lshl_add_u32 v34, v51, 2, -4
	ds_read_b32 v34, v34
.LBB378_378:
	s_or_b64 exec, exec, s[0:1]
	v_add_u32_e32 v36, -1, v50
	v_and_b32_e32 v37, 64, v50
	v_cmp_lt_i32_e32 vcc, v36, v37
	s_waitcnt lgkmcnt(0)
	v_add_u32_e32 v33, v34, v33
	ds_read_b32 v35, v35 offset:28
	v_cndmask_b32_e32 v36, v36, v50, vcc
	v_lshlrev_b32_e32 v36, 2, v36
	ds_bpermute_b32 v33, v36, v33
	s_waitcnt lgkmcnt(1)
	v_readfirstlane_b32 s26, v35
	s_and_saveexec_b64 s[0:1], s[18:19]
	s_cbranch_execz .LBB378_380
; %bb.379:
	v_mov_b32_e32 v35, 0
	v_mov_b32_e32 v36, s26
	;; [unrolled: 1-line block ×3, first 2 shown]
	global_store_dwordx2 v35, v[36:37], s[38:39] offset:512 sc1
.LBB378_380:
	s_or_b64 exec, exec, s[0:1]
	v_cmp_eq_u32_e32 vcc, 0, v50
	s_mov_b32 s16, 0
	s_waitcnt lgkmcnt(0)
	v_cndmask_b32_e32 v33, v33, v34, vcc
	v_cndmask_b32_e64 v46, v33, 0, s[18:19]
	v_add_u32_e32 v44, v46, v1
	v_add_u32_e32 v42, v44, v43
	;; [unrolled: 1-line block ×6, first 2 shown]
	s_barrier
.LBB378_381:
	s_cmpk_lt_u32 s26, 0x201
	s_cselect_b64 s[2:3], -1, 0
	v_lshrrev_b32_e32 v33, 8, v30
	v_lshrrev_b32_e32 v1, 8, v31
	s_mov_b64 s[0:1], -1
	s_and_b64 vcc, exec, s[2:3]
	s_cbranch_vccz .LBB378_404
; %bb.382:
	s_add_i32 s4, s16, s26
	v_cmp_gt_u32_e32 vcc, s4, v46
	s_or_b64 s[6:7], s[34:35], vcc
	s_and_saveexec_b64 s[0:1], s[6:7]
	s_cbranch_execz .LBB378_385
; %bb.383:
	v_and_b32_e32 v35, 1, v30
	v_cmp_eq_u32_e32 vcc, 1, v35
	s_and_b64 exec, exec, vcc
	s_cbranch_execz .LBB378_385
; %bb.384:
	s_lshl_b64 s[6:7], s[22:23], 3
	s_add_u32 s6, s28, s6
	s_addc_u32 s7, s29, s7
	v_mov_b32_e32 v47, 0
	v_lshl_add_u64 v[48:49], v[46:47], 3, s[6:7]
	global_store_dwordx2 v[48:49], v[22:23], off
.LBB378_385:
	s_or_b64 exec, exec, s[0:1]
	v_cmp_gt_u32_e32 vcc, s4, v44
	s_or_b64 s[6:7], s[34:35], vcc
	s_and_saveexec_b64 s[0:1], s[6:7]
	s_cbranch_execz .LBB378_388
; %bb.386:
	v_and_b32_e32 v35, 1, v33
	v_cmp_eq_u32_e32 vcc, 1, v35
	s_and_b64 exec, exec, vcc
	s_cbranch_execz .LBB378_388
; %bb.387:
	s_lshl_b64 s[6:7], s[22:23], 3
	s_add_u32 s6, s28, s6
	s_addc_u32 s7, s29, s7
	v_mov_b32_e32 v45, 0
	v_lshl_add_u64 v[48:49], v[44:45], 3, s[6:7]
	global_store_dwordx2 v[48:49], v[24:25], off
.LBB378_388:
	s_or_b64 exec, exec, s[0:1]
	v_cmp_gt_u32_e32 vcc, s4, v42
	s_or_b64 s[6:7], s[34:35], vcc
	s_and_saveexec_b64 s[0:1], s[6:7]
	s_cbranch_execz .LBB378_391
; %bb.389:
	v_mov_b32_e32 v35, 1
	v_and_b32_sdwa v35, v35, v30 dst_sel:DWORD dst_unused:UNUSED_PAD src0_sel:DWORD src1_sel:WORD_1
	v_cmp_eq_u32_e32 vcc, 1, v35
	s_and_b64 exec, exec, vcc
	s_cbranch_execz .LBB378_391
; %bb.390:
	s_lshl_b64 s[6:7], s[22:23], 3
	s_add_u32 s6, s28, s6
	s_addc_u32 s7, s29, s7
	v_mov_b32_e32 v43, 0
	v_lshl_add_u64 v[48:49], v[42:43], 3, s[6:7]
	global_store_dwordx2 v[48:49], v[18:19], off
.LBB378_391:
	s_or_b64 exec, exec, s[0:1]
	v_cmp_gt_u32_e32 vcc, s4, v40
	s_or_b64 s[6:7], s[34:35], vcc
	s_and_saveexec_b64 s[0:1], s[6:7]
	s_cbranch_execz .LBB378_394
; %bb.392:
	v_and_b32_e32 v35, 1, v32
	v_cmp_eq_u32_e32 vcc, 1, v35
	s_and_b64 exec, exec, vcc
	s_cbranch_execz .LBB378_394
; %bb.393:
	s_lshl_b64 s[6:7], s[22:23], 3
	s_add_u32 s6, s28, s6
	s_addc_u32 s7, s29, s7
	v_mov_b32_e32 v41, 0
	v_lshl_add_u64 v[48:49], v[40:41], 3, s[6:7]
	global_store_dwordx2 v[48:49], v[20:21], off
.LBB378_394:
	s_or_b64 exec, exec, s[0:1]
	v_cmp_gt_u32_e32 vcc, s4, v38
	s_or_b64 s[6:7], s[34:35], vcc
	s_and_saveexec_b64 s[0:1], s[6:7]
	s_cbranch_execz .LBB378_397
; %bb.395:
	v_and_b32_e32 v35, 1, v31
	v_cmp_eq_u32_e32 vcc, 1, v35
	s_and_b64 exec, exec, vcc
	s_cbranch_execz .LBB378_397
; %bb.396:
	s_lshl_b64 s[6:7], s[22:23], 3
	s_add_u32 s6, s28, s6
	s_addc_u32 s7, s29, s7
	v_mov_b32_e32 v39, 0
	v_lshl_add_u64 v[48:49], v[38:39], 3, s[6:7]
	global_store_dwordx2 v[48:49], v[14:15], off
.LBB378_397:
	;; [unrolled: 18-line block ×3, first 2 shown]
	s_or_b64 exec, exec, s[0:1]
	v_cmp_gt_u32_e32 vcc, s4, v34
	s_or_b64 s[4:5], s[34:35], vcc
	s_and_saveexec_b64 s[0:1], s[4:5]
	s_cbranch_execz .LBB378_403
; %bb.401:
	v_mov_b32_e32 v35, 1
	v_and_b32_sdwa v35, v35, v31 dst_sel:DWORD dst_unused:UNUSED_PAD src0_sel:DWORD src1_sel:WORD_1
	v_cmp_eq_u32_e32 vcc, 1, v35
	s_and_b64 exec, exec, vcc
	s_cbranch_execz .LBB378_403
; %bb.402:
	s_lshl_b64 s[4:5], s[22:23], 3
	s_add_u32 s4, s28, s4
	s_addc_u32 s5, s29, s5
	v_mov_b32_e32 v35, 0
	v_lshl_add_u64 v[48:49], v[34:35], 3, s[4:5]
	global_store_dwordx2 v[48:49], v[28:29], off
.LBB378_403:
	s_or_b64 exec, exec, s[0:1]
	s_mov_b64 s[0:1], 0
.LBB378_404:
	v_and_b32_e32 v48, 1, v30
	s_and_b64 vcc, exec, s[0:1]
	v_cmp_eq_u32_e64 s[0:1], 1, v48
	s_cbranch_vccz .LBB378_423
; %bb.405:
	s_and_saveexec_b64 s[4:5], s[0:1]
	s_cbranch_execz .LBB378_407
; %bb.406:
	v_subrev_u32_e32 v35, s16, v46
	v_lshlrev_b32_e32 v35, 3, v35
	ds_write_b64 v35, v[22:23]
.LBB378_407:
	s_or_b64 exec, exec, s[4:5]
	v_and_b32_e32 v22, 1, v33
	v_cmp_eq_u32_e32 vcc, 1, v22
	s_and_saveexec_b64 s[0:1], vcc
	s_cbranch_execz .LBB378_409
; %bb.408:
	v_subrev_u32_e32 v22, s16, v44
	v_lshlrev_b32_e32 v22, 3, v22
	ds_write_b64 v22, v[24:25]
.LBB378_409:
	s_or_b64 exec, exec, s[0:1]
	v_mov_b32_e32 v22, 1
	v_and_b32_sdwa v22, v22, v30 dst_sel:DWORD dst_unused:UNUSED_PAD src0_sel:DWORD src1_sel:WORD_1
	v_cmp_eq_u32_e32 vcc, 1, v22
	s_and_saveexec_b64 s[0:1], vcc
	s_cbranch_execz .LBB378_411
; %bb.410:
	v_subrev_u32_e32 v22, s16, v42
	v_lshlrev_b32_e32 v22, 3, v22
	ds_write_b64 v22, v[18:19]
.LBB378_411:
	s_or_b64 exec, exec, s[0:1]
	v_and_b32_e32 v18, 1, v32
	v_cmp_eq_u32_e32 vcc, 1, v18
	s_and_saveexec_b64 s[0:1], vcc
	s_cbranch_execz .LBB378_413
; %bb.412:
	v_subrev_u32_e32 v18, s16, v40
	v_lshlrev_b32_e32 v18, 3, v18
	ds_write_b64 v18, v[20:21]
.LBB378_413:
	s_or_b64 exec, exec, s[0:1]
	v_and_b32_e32 v18, 1, v31
	;; [unrolled: 10-line block ×3, first 2 shown]
	v_cmp_eq_u32_e32 vcc, 1, v14
	s_and_saveexec_b64 s[0:1], vcc
	s_cbranch_execz .LBB378_417
; %bb.416:
	v_subrev_u32_e32 v14, s16, v36
	v_lshlrev_b32_e32 v14, 3, v14
	ds_write_b64 v14, v[16:17]
.LBB378_417:
	s_or_b64 exec, exec, s[0:1]
	v_mov_b32_e32 v14, 1
	v_and_b32_sdwa v14, v14, v31 dst_sel:DWORD dst_unused:UNUSED_PAD src0_sel:DWORD src1_sel:WORD_1
	v_cmp_eq_u32_e32 vcc, 1, v14
	s_and_saveexec_b64 s[0:1], vcc
	s_cbranch_execz .LBB378_419
; %bb.418:
	v_subrev_u32_e32 v14, s16, v34
	v_lshlrev_b32_e32 v14, 3, v14
	ds_write_b64 v14, v[28:29]
.LBB378_419:
	s_or_b64 exec, exec, s[0:1]
	v_cmp_gt_u32_e32 vcc, s26, v0
	s_waitcnt lgkmcnt(0)
	s_barrier
	s_and_saveexec_b64 s[0:1], vcc
	s_cbranch_execz .LBB378_422
; %bb.420:
	s_mov_b32 s17, 0
	s_lshl_b64 s[4:5], s[22:23], 3
	s_lshl_b64 s[6:7], s[16:17], 3
	s_add_u32 s4, s4, s6
	s_addc_u32 s5, s5, s7
	s_add_u32 s4, s28, s4
	v_lshlrev_b32_e32 v14, 3, v0
	v_mov_b32_e32 v15, 0
	s_addc_u32 s5, s29, s5
	v_lshl_add_u64 v[16:17], s[4:5], 0, v[14:15]
	s_mov_b64 s[4:5], 0
	s_mov_b64 s[6:7], 0x1000
	v_mov_b32_e32 v15, v0
.LBB378_421:                            ; =>This Inner Loop Header: Depth=1
	ds_read_b64 v[18:19], v14
	v_add_u32_e32 v15, 0x200, v15
	v_cmp_le_u32_e32 vcc, s26, v15
	v_add_u32_e32 v14, 0x1000, v14
	s_or_b64 s[4:5], vcc, s[4:5]
	s_waitcnt lgkmcnt(0)
	global_store_dwordx2 v[16:17], v[18:19], off
	v_lshl_add_u64 v[16:17], v[16:17], 0, s[6:7]
	s_andn2_b64 exec, exec, s[4:5]
	s_cbranch_execnz .LBB378_421
.LBB378_422:
	s_or_b64 exec, exec, s[0:1]
.LBB378_423:
	s_mov_b64 s[0:1], -1
	s_and_b64 vcc, exec, s[2:3]
	s_barrier
	s_cbranch_vccnz .LBB378_427
; %bb.424:
	s_and_b64 vcc, exec, s[0:1]
	s_cbranch_vccnz .LBB378_449
.LBB378_425:
	s_and_b64 s[0:1], s[18:19], s[24:25]
	s_and_saveexec_b64 s[2:3], s[0:1]
	s_cbranch_execnz .LBB378_467
.LBB378_426:
	s_endpgm
.LBB378_427:
	s_add_i32 s2, s16, s26
	v_cmp_gt_u32_e32 vcc, s2, v46
	s_or_b64 s[4:5], s[34:35], vcc
	s_and_saveexec_b64 s[0:1], s[4:5]
	s_cbranch_execz .LBB378_430
; %bb.428:
	v_cmp_eq_u32_e32 vcc, 1, v48
	s_and_b64 exec, exec, vcc
	s_cbranch_execz .LBB378_430
; %bb.429:
	s_lshl_b64 s[4:5], s[22:23], 3
	s_add_u32 s4, s30, s4
	s_addc_u32 s5, s31, s5
	v_mov_b32_e32 v47, 0
	v_lshl_add_u64 v[14:15], v[46:47], 3, s[4:5]
	global_store_dwordx2 v[14:15], v[10:11], off
.LBB378_430:
	s_or_b64 exec, exec, s[0:1]
	v_cmp_gt_u32_e32 vcc, s2, v44
	s_or_b64 s[4:5], s[34:35], vcc
	s_and_saveexec_b64 s[0:1], s[4:5]
	s_cbranch_execz .LBB378_433
; %bb.431:
	v_and_b32_e32 v14, 1, v33
	v_cmp_eq_u32_e32 vcc, 1, v14
	s_and_b64 exec, exec, vcc
	s_cbranch_execz .LBB378_433
; %bb.432:
	s_lshl_b64 s[4:5], s[22:23], 3
	s_add_u32 s4, s30, s4
	s_addc_u32 s5, s31, s5
	v_mov_b32_e32 v45, 0
	v_lshl_add_u64 v[14:15], v[44:45], 3, s[4:5]
	global_store_dwordx2 v[14:15], v[12:13], off
.LBB378_433:
	s_or_b64 exec, exec, s[0:1]
	v_cmp_gt_u32_e32 vcc, s2, v42
	s_or_b64 s[4:5], s[34:35], vcc
	s_and_saveexec_b64 s[0:1], s[4:5]
	s_cbranch_execz .LBB378_436
; %bb.434:
	v_mov_b32_e32 v14, 1
	v_and_b32_sdwa v14, v14, v30 dst_sel:DWORD dst_unused:UNUSED_PAD src0_sel:DWORD src1_sel:WORD_1
	v_cmp_eq_u32_e32 vcc, 1, v14
	s_and_b64 exec, exec, vcc
	s_cbranch_execz .LBB378_436
; %bb.435:
	s_lshl_b64 s[4:5], s[22:23], 3
	s_add_u32 s4, s30, s4
	s_addc_u32 s5, s31, s5
	v_mov_b32_e32 v43, 0
	v_lshl_add_u64 v[14:15], v[42:43], 3, s[4:5]
	global_store_dwordx2 v[14:15], v[6:7], off
.LBB378_436:
	s_or_b64 exec, exec, s[0:1]
	v_cmp_gt_u32_e32 vcc, s2, v40
	s_or_b64 s[4:5], s[34:35], vcc
	s_and_saveexec_b64 s[0:1], s[4:5]
	s_cbranch_execz .LBB378_439
; %bb.437:
	v_and_b32_e32 v14, 1, v32
	v_cmp_eq_u32_e32 vcc, 1, v14
	s_and_b64 exec, exec, vcc
	s_cbranch_execz .LBB378_439
; %bb.438:
	s_lshl_b64 s[4:5], s[22:23], 3
	s_add_u32 s4, s30, s4
	s_addc_u32 s5, s31, s5
	v_mov_b32_e32 v41, 0
	v_lshl_add_u64 v[14:15], v[40:41], 3, s[4:5]
	global_store_dwordx2 v[14:15], v[8:9], off
.LBB378_439:
	s_or_b64 exec, exec, s[0:1]
	v_cmp_gt_u32_e32 vcc, s2, v38
	s_or_b64 s[4:5], s[34:35], vcc
	s_and_saveexec_b64 s[0:1], s[4:5]
	s_cbranch_execz .LBB378_442
; %bb.440:
	v_and_b32_e32 v14, 1, v31
	v_cmp_eq_u32_e32 vcc, 1, v14
	s_and_b64 exec, exec, vcc
	s_cbranch_execz .LBB378_442
; %bb.441:
	s_lshl_b64 s[4:5], s[22:23], 3
	s_add_u32 s4, s30, s4
	s_addc_u32 s5, s31, s5
	v_mov_b32_e32 v39, 0
	v_lshl_add_u64 v[14:15], v[38:39], 3, s[4:5]
	global_store_dwordx2 v[14:15], v[2:3], off
.LBB378_442:
	;; [unrolled: 18-line block ×3, first 2 shown]
	s_or_b64 exec, exec, s[0:1]
	v_cmp_gt_u32_e32 vcc, s2, v34
	s_or_b64 s[2:3], s[34:35], vcc
	s_and_saveexec_b64 s[0:1], s[2:3]
	s_cbranch_execz .LBB378_448
; %bb.446:
	v_mov_b32_e32 v14, 1
	v_and_b32_sdwa v14, v14, v31 dst_sel:DWORD dst_unused:UNUSED_PAD src0_sel:DWORD src1_sel:WORD_1
	v_cmp_eq_u32_e32 vcc, 1, v14
	s_and_b64 exec, exec, vcc
	s_cbranch_execz .LBB378_448
; %bb.447:
	s_lshl_b64 s[2:3], s[22:23], 3
	s_add_u32 s2, s30, s2
	s_addc_u32 s3, s31, s3
	v_mov_b32_e32 v35, 0
	v_lshl_add_u64 v[14:15], v[34:35], 3, s[2:3]
	global_store_dwordx2 v[14:15], v[26:27], off
.LBB378_448:
	s_or_b64 exec, exec, s[0:1]
	s_branch .LBB378_425
.LBB378_449:
	v_cmp_eq_u32_e32 vcc, 1, v48
	s_and_saveexec_b64 s[0:1], vcc
	s_cbranch_execz .LBB378_451
; %bb.450:
	v_subrev_u32_e32 v14, s16, v46
	v_lshlrev_b32_e32 v14, 3, v14
	ds_write_b64 v14, v[10:11]
.LBB378_451:
	s_or_b64 exec, exec, s[0:1]
	v_and_b32_e32 v10, 1, v33
	v_cmp_eq_u32_e32 vcc, 1, v10
	s_and_saveexec_b64 s[0:1], vcc
	s_cbranch_execz .LBB378_453
; %bb.452:
	v_subrev_u32_e32 v10, s16, v44
	v_lshlrev_b32_e32 v10, 3, v10
	ds_write_b64 v10, v[12:13]
.LBB378_453:
	s_or_b64 exec, exec, s[0:1]
	v_mov_b32_e32 v10, 1
	v_and_b32_sdwa v10, v10, v30 dst_sel:DWORD dst_unused:UNUSED_PAD src0_sel:DWORD src1_sel:WORD_1
	v_cmp_eq_u32_e32 vcc, 1, v10
	s_and_saveexec_b64 s[0:1], vcc
	s_cbranch_execz .LBB378_455
; %bb.454:
	v_subrev_u32_e32 v10, s16, v42
	v_lshlrev_b32_e32 v10, 3, v10
	ds_write_b64 v10, v[6:7]
.LBB378_455:
	s_or_b64 exec, exec, s[0:1]
	v_and_b32_e32 v6, 1, v32
	v_cmp_eq_u32_e32 vcc, 1, v6
	s_and_saveexec_b64 s[0:1], vcc
	s_cbranch_execz .LBB378_457
; %bb.456:
	v_subrev_u32_e32 v6, s16, v40
	v_lshlrev_b32_e32 v6, 3, v6
	ds_write_b64 v6, v[8:9]
.LBB378_457:
	s_or_b64 exec, exec, s[0:1]
	v_and_b32_e32 v6, 1, v31
	;; [unrolled: 10-line block ×3, first 2 shown]
	v_cmp_eq_u32_e32 vcc, 1, v1
	s_and_saveexec_b64 s[0:1], vcc
	s_cbranch_execz .LBB378_461
; %bb.460:
	v_subrev_u32_e32 v1, s16, v36
	v_lshlrev_b32_e32 v1, 3, v1
	ds_write_b64 v1, v[4:5]
.LBB378_461:
	s_or_b64 exec, exec, s[0:1]
	v_mov_b32_e32 v1, 1
	v_and_b32_sdwa v1, v1, v31 dst_sel:DWORD dst_unused:UNUSED_PAD src0_sel:DWORD src1_sel:WORD_1
	v_cmp_eq_u32_e32 vcc, 1, v1
	s_and_saveexec_b64 s[0:1], vcc
	s_cbranch_execz .LBB378_463
; %bb.462:
	v_subrev_u32_e32 v1, s16, v34
	v_lshlrev_b32_e32 v1, 3, v1
	ds_write_b64 v1, v[26:27]
.LBB378_463:
	s_or_b64 exec, exec, s[0:1]
	v_cmp_gt_u32_e32 vcc, s26, v0
	s_waitcnt lgkmcnt(0)
	s_barrier
	s_and_saveexec_b64 s[0:1], vcc
	s_cbranch_execz .LBB378_466
; %bb.464:
	s_mov_b32 s17, 0
	s_lshl_b64 s[2:3], s[22:23], 3
	s_lshl_b64 s[4:5], s[16:17], 3
	s_add_u32 s2, s2, s4
	s_addc_u32 s3, s3, s5
	s_add_u32 s2, s30, s2
	v_lshlrev_b32_e32 v2, 3, v0
	v_mov_b32_e32 v3, 0
	s_addc_u32 s3, s31, s3
	v_lshl_add_u64 v[4:5], s[2:3], 0, v[2:3]
	s_mov_b64 s[2:3], 0
	s_mov_b64 s[4:5], 0x1000
.LBB378_465:                            ; =>This Inner Loop Header: Depth=1
	ds_read_b64 v[6:7], v2
	v_add_u32_e32 v0, 0x200, v0
	v_cmp_le_u32_e32 vcc, s26, v0
	v_add_u32_e32 v2, 0x1000, v2
	s_or_b64 s[2:3], vcc, s[2:3]
	s_waitcnt lgkmcnt(0)
	global_store_dwordx2 v[4:5], v[6:7], off
	v_lshl_add_u64 v[4:5], v[4:5], 0, s[4:5]
	s_andn2_b64 exec, exec, s[2:3]
	s_cbranch_execnz .LBB378_465
.LBB378_466:
	s_or_b64 exec, exec, s[0:1]
	s_and_b64 s[0:1], s[18:19], s[24:25]
	s_and_saveexec_b64 s[2:3], s[0:1]
	s_cbranch_execz .LBB378_426
.LBB378_467:
	s_add_u32 s0, s22, s26
	s_addc_u32 s1, s23, 0
	s_add_u32 s0, s0, s16
	s_addc_u32 s1, s1, 0
	v_mov_b32_e32 v2, 0
	v_mov_b64_e32 v[0:1], s[0:1]
	global_store_dwordx2 v2, v[0:1], s[20:21]
	s_endpgm
	.section	.rodata,"a",@progbits
	.p2align	6, 0x0
	.amdhsa_kernel _ZN7rocprim17ROCPRIM_400000_NS6detail17trampoline_kernelINS0_14default_configENS1_25partition_config_selectorILNS1_17partition_subalgoE9EllbEEZZNS1_14partition_implILS5_9ELb0ES3_jPlS8_PNS0_10empty_typeENS0_5tupleIJS8_S9_EEENSB_IJS8_SA_EEENS0_18inequality_wrapperIZN2at6native12_GLOBAL__N_124unique_dim_cuda_templateIaEESt5tupleIJNSF_6TensorESK_SK_EERKSK_lbbbEUlllE0_EEPmJS9_EEE10hipError_tPvRmT3_T4_T5_T6_T7_T9_mT8_P12ihipStream_tbDpT10_ENKUlT_T0_E_clISt17integral_constantIbLb0EES19_IbLb1EEEEDaS15_S16_EUlS15_E_NS1_11comp_targetILNS1_3genE5ELNS1_11target_archE942ELNS1_3gpuE9ELNS1_3repE0EEENS1_30default_config_static_selectorELNS0_4arch9wavefront6targetE1EEEvT1_
		.amdhsa_group_segment_fixed_size 28684
		.amdhsa_private_segment_fixed_size 0
		.amdhsa_kernarg_size 136
		.amdhsa_user_sgpr_count 2
		.amdhsa_user_sgpr_dispatch_ptr 0
		.amdhsa_user_sgpr_queue_ptr 0
		.amdhsa_user_sgpr_kernarg_segment_ptr 1
		.amdhsa_user_sgpr_dispatch_id 0
		.amdhsa_user_sgpr_kernarg_preload_length 0
		.amdhsa_user_sgpr_kernarg_preload_offset 0
		.amdhsa_user_sgpr_private_segment_size 0
		.amdhsa_uses_dynamic_stack 0
		.amdhsa_enable_private_segment 0
		.amdhsa_system_sgpr_workgroup_id_x 1
		.amdhsa_system_sgpr_workgroup_id_y 0
		.amdhsa_system_sgpr_workgroup_id_z 0
		.amdhsa_system_sgpr_workgroup_info 0
		.amdhsa_system_vgpr_workitem_id 0
		.amdhsa_next_free_vgpr 66
		.amdhsa_next_free_sgpr 58
		.amdhsa_accum_offset 68
		.amdhsa_reserve_vcc 1
		.amdhsa_float_round_mode_32 0
		.amdhsa_float_round_mode_16_64 0
		.amdhsa_float_denorm_mode_32 3
		.amdhsa_float_denorm_mode_16_64 3
		.amdhsa_dx10_clamp 1
		.amdhsa_ieee_mode 1
		.amdhsa_fp16_overflow 0
		.amdhsa_tg_split 0
		.amdhsa_exception_fp_ieee_invalid_op 0
		.amdhsa_exception_fp_denorm_src 0
		.amdhsa_exception_fp_ieee_div_zero 0
		.amdhsa_exception_fp_ieee_overflow 0
		.amdhsa_exception_fp_ieee_underflow 0
		.amdhsa_exception_fp_ieee_inexact 0
		.amdhsa_exception_int_div_zero 0
	.end_amdhsa_kernel
	.section	.text._ZN7rocprim17ROCPRIM_400000_NS6detail17trampoline_kernelINS0_14default_configENS1_25partition_config_selectorILNS1_17partition_subalgoE9EllbEEZZNS1_14partition_implILS5_9ELb0ES3_jPlS8_PNS0_10empty_typeENS0_5tupleIJS8_S9_EEENSB_IJS8_SA_EEENS0_18inequality_wrapperIZN2at6native12_GLOBAL__N_124unique_dim_cuda_templateIaEESt5tupleIJNSF_6TensorESK_SK_EERKSK_lbbbEUlllE0_EEPmJS9_EEE10hipError_tPvRmT3_T4_T5_T6_T7_T9_mT8_P12ihipStream_tbDpT10_ENKUlT_T0_E_clISt17integral_constantIbLb0EES19_IbLb1EEEEDaS15_S16_EUlS15_E_NS1_11comp_targetILNS1_3genE5ELNS1_11target_archE942ELNS1_3gpuE9ELNS1_3repE0EEENS1_30default_config_static_selectorELNS0_4arch9wavefront6targetE1EEEvT1_,"axG",@progbits,_ZN7rocprim17ROCPRIM_400000_NS6detail17trampoline_kernelINS0_14default_configENS1_25partition_config_selectorILNS1_17partition_subalgoE9EllbEEZZNS1_14partition_implILS5_9ELb0ES3_jPlS8_PNS0_10empty_typeENS0_5tupleIJS8_S9_EEENSB_IJS8_SA_EEENS0_18inequality_wrapperIZN2at6native12_GLOBAL__N_124unique_dim_cuda_templateIaEESt5tupleIJNSF_6TensorESK_SK_EERKSK_lbbbEUlllE0_EEPmJS9_EEE10hipError_tPvRmT3_T4_T5_T6_T7_T9_mT8_P12ihipStream_tbDpT10_ENKUlT_T0_E_clISt17integral_constantIbLb0EES19_IbLb1EEEEDaS15_S16_EUlS15_E_NS1_11comp_targetILNS1_3genE5ELNS1_11target_archE942ELNS1_3gpuE9ELNS1_3repE0EEENS1_30default_config_static_selectorELNS0_4arch9wavefront6targetE1EEEvT1_,comdat
.Lfunc_end378:
	.size	_ZN7rocprim17ROCPRIM_400000_NS6detail17trampoline_kernelINS0_14default_configENS1_25partition_config_selectorILNS1_17partition_subalgoE9EllbEEZZNS1_14partition_implILS5_9ELb0ES3_jPlS8_PNS0_10empty_typeENS0_5tupleIJS8_S9_EEENSB_IJS8_SA_EEENS0_18inequality_wrapperIZN2at6native12_GLOBAL__N_124unique_dim_cuda_templateIaEESt5tupleIJNSF_6TensorESK_SK_EERKSK_lbbbEUlllE0_EEPmJS9_EEE10hipError_tPvRmT3_T4_T5_T6_T7_T9_mT8_P12ihipStream_tbDpT10_ENKUlT_T0_E_clISt17integral_constantIbLb0EES19_IbLb1EEEEDaS15_S16_EUlS15_E_NS1_11comp_targetILNS1_3genE5ELNS1_11target_archE942ELNS1_3gpuE9ELNS1_3repE0EEENS1_30default_config_static_selectorELNS0_4arch9wavefront6targetE1EEEvT1_, .Lfunc_end378-_ZN7rocprim17ROCPRIM_400000_NS6detail17trampoline_kernelINS0_14default_configENS1_25partition_config_selectorILNS1_17partition_subalgoE9EllbEEZZNS1_14partition_implILS5_9ELb0ES3_jPlS8_PNS0_10empty_typeENS0_5tupleIJS8_S9_EEENSB_IJS8_SA_EEENS0_18inequality_wrapperIZN2at6native12_GLOBAL__N_124unique_dim_cuda_templateIaEESt5tupleIJNSF_6TensorESK_SK_EERKSK_lbbbEUlllE0_EEPmJS9_EEE10hipError_tPvRmT3_T4_T5_T6_T7_T9_mT8_P12ihipStream_tbDpT10_ENKUlT_T0_E_clISt17integral_constantIbLb0EES19_IbLb1EEEEDaS15_S16_EUlS15_E_NS1_11comp_targetILNS1_3genE5ELNS1_11target_archE942ELNS1_3gpuE9ELNS1_3repE0EEENS1_30default_config_static_selectorELNS0_4arch9wavefront6targetE1EEEvT1_
                                        ; -- End function
	.section	.AMDGPU.csdata,"",@progbits
; Kernel info:
; codeLenInByte = 13788
; NumSgprs: 64
; NumVgprs: 66
; NumAgprs: 0
; TotalNumVgprs: 66
; ScratchSize: 0
; MemoryBound: 0
; FloatMode: 240
; IeeeMode: 1
; LDSByteSize: 28684 bytes/workgroup (compile time only)
; SGPRBlocks: 7
; VGPRBlocks: 8
; NumSGPRsForWavesPerEU: 64
; NumVGPRsForWavesPerEU: 66
; AccumOffset: 68
; Occupancy: 4
; WaveLimiterHint : 1
; COMPUTE_PGM_RSRC2:SCRATCH_EN: 0
; COMPUTE_PGM_RSRC2:USER_SGPR: 2
; COMPUTE_PGM_RSRC2:TRAP_HANDLER: 0
; COMPUTE_PGM_RSRC2:TGID_X_EN: 1
; COMPUTE_PGM_RSRC2:TGID_Y_EN: 0
; COMPUTE_PGM_RSRC2:TGID_Z_EN: 0
; COMPUTE_PGM_RSRC2:TIDIG_COMP_CNT: 0
; COMPUTE_PGM_RSRC3_GFX90A:ACCUM_OFFSET: 16
; COMPUTE_PGM_RSRC3_GFX90A:TG_SPLIT: 0
	.section	.text._ZN7rocprim17ROCPRIM_400000_NS6detail17trampoline_kernelINS0_14default_configENS1_25partition_config_selectorILNS1_17partition_subalgoE9EllbEEZZNS1_14partition_implILS5_9ELb0ES3_jPlS8_PNS0_10empty_typeENS0_5tupleIJS8_S9_EEENSB_IJS8_SA_EEENS0_18inequality_wrapperIZN2at6native12_GLOBAL__N_124unique_dim_cuda_templateIaEESt5tupleIJNSF_6TensorESK_SK_EERKSK_lbbbEUlllE0_EEPmJS9_EEE10hipError_tPvRmT3_T4_T5_T6_T7_T9_mT8_P12ihipStream_tbDpT10_ENKUlT_T0_E_clISt17integral_constantIbLb0EES19_IbLb1EEEEDaS15_S16_EUlS15_E_NS1_11comp_targetILNS1_3genE4ELNS1_11target_archE910ELNS1_3gpuE8ELNS1_3repE0EEENS1_30default_config_static_selectorELNS0_4arch9wavefront6targetE1EEEvT1_,"axG",@progbits,_ZN7rocprim17ROCPRIM_400000_NS6detail17trampoline_kernelINS0_14default_configENS1_25partition_config_selectorILNS1_17partition_subalgoE9EllbEEZZNS1_14partition_implILS5_9ELb0ES3_jPlS8_PNS0_10empty_typeENS0_5tupleIJS8_S9_EEENSB_IJS8_SA_EEENS0_18inequality_wrapperIZN2at6native12_GLOBAL__N_124unique_dim_cuda_templateIaEESt5tupleIJNSF_6TensorESK_SK_EERKSK_lbbbEUlllE0_EEPmJS9_EEE10hipError_tPvRmT3_T4_T5_T6_T7_T9_mT8_P12ihipStream_tbDpT10_ENKUlT_T0_E_clISt17integral_constantIbLb0EES19_IbLb1EEEEDaS15_S16_EUlS15_E_NS1_11comp_targetILNS1_3genE4ELNS1_11target_archE910ELNS1_3gpuE8ELNS1_3repE0EEENS1_30default_config_static_selectorELNS0_4arch9wavefront6targetE1EEEvT1_,comdat
	.globl	_ZN7rocprim17ROCPRIM_400000_NS6detail17trampoline_kernelINS0_14default_configENS1_25partition_config_selectorILNS1_17partition_subalgoE9EllbEEZZNS1_14partition_implILS5_9ELb0ES3_jPlS8_PNS0_10empty_typeENS0_5tupleIJS8_S9_EEENSB_IJS8_SA_EEENS0_18inequality_wrapperIZN2at6native12_GLOBAL__N_124unique_dim_cuda_templateIaEESt5tupleIJNSF_6TensorESK_SK_EERKSK_lbbbEUlllE0_EEPmJS9_EEE10hipError_tPvRmT3_T4_T5_T6_T7_T9_mT8_P12ihipStream_tbDpT10_ENKUlT_T0_E_clISt17integral_constantIbLb0EES19_IbLb1EEEEDaS15_S16_EUlS15_E_NS1_11comp_targetILNS1_3genE4ELNS1_11target_archE910ELNS1_3gpuE8ELNS1_3repE0EEENS1_30default_config_static_selectorELNS0_4arch9wavefront6targetE1EEEvT1_ ; -- Begin function _ZN7rocprim17ROCPRIM_400000_NS6detail17trampoline_kernelINS0_14default_configENS1_25partition_config_selectorILNS1_17partition_subalgoE9EllbEEZZNS1_14partition_implILS5_9ELb0ES3_jPlS8_PNS0_10empty_typeENS0_5tupleIJS8_S9_EEENSB_IJS8_SA_EEENS0_18inequality_wrapperIZN2at6native12_GLOBAL__N_124unique_dim_cuda_templateIaEESt5tupleIJNSF_6TensorESK_SK_EERKSK_lbbbEUlllE0_EEPmJS9_EEE10hipError_tPvRmT3_T4_T5_T6_T7_T9_mT8_P12ihipStream_tbDpT10_ENKUlT_T0_E_clISt17integral_constantIbLb0EES19_IbLb1EEEEDaS15_S16_EUlS15_E_NS1_11comp_targetILNS1_3genE4ELNS1_11target_archE910ELNS1_3gpuE8ELNS1_3repE0EEENS1_30default_config_static_selectorELNS0_4arch9wavefront6targetE1EEEvT1_
	.p2align	8
	.type	_ZN7rocprim17ROCPRIM_400000_NS6detail17trampoline_kernelINS0_14default_configENS1_25partition_config_selectorILNS1_17partition_subalgoE9EllbEEZZNS1_14partition_implILS5_9ELb0ES3_jPlS8_PNS0_10empty_typeENS0_5tupleIJS8_S9_EEENSB_IJS8_SA_EEENS0_18inequality_wrapperIZN2at6native12_GLOBAL__N_124unique_dim_cuda_templateIaEESt5tupleIJNSF_6TensorESK_SK_EERKSK_lbbbEUlllE0_EEPmJS9_EEE10hipError_tPvRmT3_T4_T5_T6_T7_T9_mT8_P12ihipStream_tbDpT10_ENKUlT_T0_E_clISt17integral_constantIbLb0EES19_IbLb1EEEEDaS15_S16_EUlS15_E_NS1_11comp_targetILNS1_3genE4ELNS1_11target_archE910ELNS1_3gpuE8ELNS1_3repE0EEENS1_30default_config_static_selectorELNS0_4arch9wavefront6targetE1EEEvT1_,@function
_ZN7rocprim17ROCPRIM_400000_NS6detail17trampoline_kernelINS0_14default_configENS1_25partition_config_selectorILNS1_17partition_subalgoE9EllbEEZZNS1_14partition_implILS5_9ELb0ES3_jPlS8_PNS0_10empty_typeENS0_5tupleIJS8_S9_EEENSB_IJS8_SA_EEENS0_18inequality_wrapperIZN2at6native12_GLOBAL__N_124unique_dim_cuda_templateIaEESt5tupleIJNSF_6TensorESK_SK_EERKSK_lbbbEUlllE0_EEPmJS9_EEE10hipError_tPvRmT3_T4_T5_T6_T7_T9_mT8_P12ihipStream_tbDpT10_ENKUlT_T0_E_clISt17integral_constantIbLb0EES19_IbLb1EEEEDaS15_S16_EUlS15_E_NS1_11comp_targetILNS1_3genE4ELNS1_11target_archE910ELNS1_3gpuE8ELNS1_3repE0EEENS1_30default_config_static_selectorELNS0_4arch9wavefront6targetE1EEEvT1_: ; @_ZN7rocprim17ROCPRIM_400000_NS6detail17trampoline_kernelINS0_14default_configENS1_25partition_config_selectorILNS1_17partition_subalgoE9EllbEEZZNS1_14partition_implILS5_9ELb0ES3_jPlS8_PNS0_10empty_typeENS0_5tupleIJS8_S9_EEENSB_IJS8_SA_EEENS0_18inequality_wrapperIZN2at6native12_GLOBAL__N_124unique_dim_cuda_templateIaEESt5tupleIJNSF_6TensorESK_SK_EERKSK_lbbbEUlllE0_EEPmJS9_EEE10hipError_tPvRmT3_T4_T5_T6_T7_T9_mT8_P12ihipStream_tbDpT10_ENKUlT_T0_E_clISt17integral_constantIbLb0EES19_IbLb1EEEEDaS15_S16_EUlS15_E_NS1_11comp_targetILNS1_3genE4ELNS1_11target_archE910ELNS1_3gpuE8ELNS1_3repE0EEENS1_30default_config_static_selectorELNS0_4arch9wavefront6targetE1EEEvT1_
; %bb.0:
	.section	.rodata,"a",@progbits
	.p2align	6, 0x0
	.amdhsa_kernel _ZN7rocprim17ROCPRIM_400000_NS6detail17trampoline_kernelINS0_14default_configENS1_25partition_config_selectorILNS1_17partition_subalgoE9EllbEEZZNS1_14partition_implILS5_9ELb0ES3_jPlS8_PNS0_10empty_typeENS0_5tupleIJS8_S9_EEENSB_IJS8_SA_EEENS0_18inequality_wrapperIZN2at6native12_GLOBAL__N_124unique_dim_cuda_templateIaEESt5tupleIJNSF_6TensorESK_SK_EERKSK_lbbbEUlllE0_EEPmJS9_EEE10hipError_tPvRmT3_T4_T5_T6_T7_T9_mT8_P12ihipStream_tbDpT10_ENKUlT_T0_E_clISt17integral_constantIbLb0EES19_IbLb1EEEEDaS15_S16_EUlS15_E_NS1_11comp_targetILNS1_3genE4ELNS1_11target_archE910ELNS1_3gpuE8ELNS1_3repE0EEENS1_30default_config_static_selectorELNS0_4arch9wavefront6targetE1EEEvT1_
		.amdhsa_group_segment_fixed_size 0
		.amdhsa_private_segment_fixed_size 0
		.amdhsa_kernarg_size 136
		.amdhsa_user_sgpr_count 2
		.amdhsa_user_sgpr_dispatch_ptr 0
		.amdhsa_user_sgpr_queue_ptr 0
		.amdhsa_user_sgpr_kernarg_segment_ptr 1
		.amdhsa_user_sgpr_dispatch_id 0
		.amdhsa_user_sgpr_kernarg_preload_length 0
		.amdhsa_user_sgpr_kernarg_preload_offset 0
		.amdhsa_user_sgpr_private_segment_size 0
		.amdhsa_uses_dynamic_stack 0
		.amdhsa_enable_private_segment 0
		.amdhsa_system_sgpr_workgroup_id_x 1
		.amdhsa_system_sgpr_workgroup_id_y 0
		.amdhsa_system_sgpr_workgroup_id_z 0
		.amdhsa_system_sgpr_workgroup_info 0
		.amdhsa_system_vgpr_workitem_id 0
		.amdhsa_next_free_vgpr 1
		.amdhsa_next_free_sgpr 0
		.amdhsa_accum_offset 4
		.amdhsa_reserve_vcc 0
		.amdhsa_float_round_mode_32 0
		.amdhsa_float_round_mode_16_64 0
		.amdhsa_float_denorm_mode_32 3
		.amdhsa_float_denorm_mode_16_64 3
		.amdhsa_dx10_clamp 1
		.amdhsa_ieee_mode 1
		.amdhsa_fp16_overflow 0
		.amdhsa_tg_split 0
		.amdhsa_exception_fp_ieee_invalid_op 0
		.amdhsa_exception_fp_denorm_src 0
		.amdhsa_exception_fp_ieee_div_zero 0
		.amdhsa_exception_fp_ieee_overflow 0
		.amdhsa_exception_fp_ieee_underflow 0
		.amdhsa_exception_fp_ieee_inexact 0
		.amdhsa_exception_int_div_zero 0
	.end_amdhsa_kernel
	.section	.text._ZN7rocprim17ROCPRIM_400000_NS6detail17trampoline_kernelINS0_14default_configENS1_25partition_config_selectorILNS1_17partition_subalgoE9EllbEEZZNS1_14partition_implILS5_9ELb0ES3_jPlS8_PNS0_10empty_typeENS0_5tupleIJS8_S9_EEENSB_IJS8_SA_EEENS0_18inequality_wrapperIZN2at6native12_GLOBAL__N_124unique_dim_cuda_templateIaEESt5tupleIJNSF_6TensorESK_SK_EERKSK_lbbbEUlllE0_EEPmJS9_EEE10hipError_tPvRmT3_T4_T5_T6_T7_T9_mT8_P12ihipStream_tbDpT10_ENKUlT_T0_E_clISt17integral_constantIbLb0EES19_IbLb1EEEEDaS15_S16_EUlS15_E_NS1_11comp_targetILNS1_3genE4ELNS1_11target_archE910ELNS1_3gpuE8ELNS1_3repE0EEENS1_30default_config_static_selectorELNS0_4arch9wavefront6targetE1EEEvT1_,"axG",@progbits,_ZN7rocprim17ROCPRIM_400000_NS6detail17trampoline_kernelINS0_14default_configENS1_25partition_config_selectorILNS1_17partition_subalgoE9EllbEEZZNS1_14partition_implILS5_9ELb0ES3_jPlS8_PNS0_10empty_typeENS0_5tupleIJS8_S9_EEENSB_IJS8_SA_EEENS0_18inequality_wrapperIZN2at6native12_GLOBAL__N_124unique_dim_cuda_templateIaEESt5tupleIJNSF_6TensorESK_SK_EERKSK_lbbbEUlllE0_EEPmJS9_EEE10hipError_tPvRmT3_T4_T5_T6_T7_T9_mT8_P12ihipStream_tbDpT10_ENKUlT_T0_E_clISt17integral_constantIbLb0EES19_IbLb1EEEEDaS15_S16_EUlS15_E_NS1_11comp_targetILNS1_3genE4ELNS1_11target_archE910ELNS1_3gpuE8ELNS1_3repE0EEENS1_30default_config_static_selectorELNS0_4arch9wavefront6targetE1EEEvT1_,comdat
.Lfunc_end379:
	.size	_ZN7rocprim17ROCPRIM_400000_NS6detail17trampoline_kernelINS0_14default_configENS1_25partition_config_selectorILNS1_17partition_subalgoE9EllbEEZZNS1_14partition_implILS5_9ELb0ES3_jPlS8_PNS0_10empty_typeENS0_5tupleIJS8_S9_EEENSB_IJS8_SA_EEENS0_18inequality_wrapperIZN2at6native12_GLOBAL__N_124unique_dim_cuda_templateIaEESt5tupleIJNSF_6TensorESK_SK_EERKSK_lbbbEUlllE0_EEPmJS9_EEE10hipError_tPvRmT3_T4_T5_T6_T7_T9_mT8_P12ihipStream_tbDpT10_ENKUlT_T0_E_clISt17integral_constantIbLb0EES19_IbLb1EEEEDaS15_S16_EUlS15_E_NS1_11comp_targetILNS1_3genE4ELNS1_11target_archE910ELNS1_3gpuE8ELNS1_3repE0EEENS1_30default_config_static_selectorELNS0_4arch9wavefront6targetE1EEEvT1_, .Lfunc_end379-_ZN7rocprim17ROCPRIM_400000_NS6detail17trampoline_kernelINS0_14default_configENS1_25partition_config_selectorILNS1_17partition_subalgoE9EllbEEZZNS1_14partition_implILS5_9ELb0ES3_jPlS8_PNS0_10empty_typeENS0_5tupleIJS8_S9_EEENSB_IJS8_SA_EEENS0_18inequality_wrapperIZN2at6native12_GLOBAL__N_124unique_dim_cuda_templateIaEESt5tupleIJNSF_6TensorESK_SK_EERKSK_lbbbEUlllE0_EEPmJS9_EEE10hipError_tPvRmT3_T4_T5_T6_T7_T9_mT8_P12ihipStream_tbDpT10_ENKUlT_T0_E_clISt17integral_constantIbLb0EES19_IbLb1EEEEDaS15_S16_EUlS15_E_NS1_11comp_targetILNS1_3genE4ELNS1_11target_archE910ELNS1_3gpuE8ELNS1_3repE0EEENS1_30default_config_static_selectorELNS0_4arch9wavefront6targetE1EEEvT1_
                                        ; -- End function
	.section	.AMDGPU.csdata,"",@progbits
; Kernel info:
; codeLenInByte = 0
; NumSgprs: 6
; NumVgprs: 0
; NumAgprs: 0
; TotalNumVgprs: 0
; ScratchSize: 0
; MemoryBound: 0
; FloatMode: 240
; IeeeMode: 1
; LDSByteSize: 0 bytes/workgroup (compile time only)
; SGPRBlocks: 0
; VGPRBlocks: 0
; NumSGPRsForWavesPerEU: 6
; NumVGPRsForWavesPerEU: 1
; AccumOffset: 4
; Occupancy: 8
; WaveLimiterHint : 0
; COMPUTE_PGM_RSRC2:SCRATCH_EN: 0
; COMPUTE_PGM_RSRC2:USER_SGPR: 2
; COMPUTE_PGM_RSRC2:TRAP_HANDLER: 0
; COMPUTE_PGM_RSRC2:TGID_X_EN: 1
; COMPUTE_PGM_RSRC2:TGID_Y_EN: 0
; COMPUTE_PGM_RSRC2:TGID_Z_EN: 0
; COMPUTE_PGM_RSRC2:TIDIG_COMP_CNT: 0
; COMPUTE_PGM_RSRC3_GFX90A:ACCUM_OFFSET: 0
; COMPUTE_PGM_RSRC3_GFX90A:TG_SPLIT: 0
	.section	.text._ZN7rocprim17ROCPRIM_400000_NS6detail17trampoline_kernelINS0_14default_configENS1_25partition_config_selectorILNS1_17partition_subalgoE9EllbEEZZNS1_14partition_implILS5_9ELb0ES3_jPlS8_PNS0_10empty_typeENS0_5tupleIJS8_S9_EEENSB_IJS8_SA_EEENS0_18inequality_wrapperIZN2at6native12_GLOBAL__N_124unique_dim_cuda_templateIaEESt5tupleIJNSF_6TensorESK_SK_EERKSK_lbbbEUlllE0_EEPmJS9_EEE10hipError_tPvRmT3_T4_T5_T6_T7_T9_mT8_P12ihipStream_tbDpT10_ENKUlT_T0_E_clISt17integral_constantIbLb0EES19_IbLb1EEEEDaS15_S16_EUlS15_E_NS1_11comp_targetILNS1_3genE3ELNS1_11target_archE908ELNS1_3gpuE7ELNS1_3repE0EEENS1_30default_config_static_selectorELNS0_4arch9wavefront6targetE1EEEvT1_,"axG",@progbits,_ZN7rocprim17ROCPRIM_400000_NS6detail17trampoline_kernelINS0_14default_configENS1_25partition_config_selectorILNS1_17partition_subalgoE9EllbEEZZNS1_14partition_implILS5_9ELb0ES3_jPlS8_PNS0_10empty_typeENS0_5tupleIJS8_S9_EEENSB_IJS8_SA_EEENS0_18inequality_wrapperIZN2at6native12_GLOBAL__N_124unique_dim_cuda_templateIaEESt5tupleIJNSF_6TensorESK_SK_EERKSK_lbbbEUlllE0_EEPmJS9_EEE10hipError_tPvRmT3_T4_T5_T6_T7_T9_mT8_P12ihipStream_tbDpT10_ENKUlT_T0_E_clISt17integral_constantIbLb0EES19_IbLb1EEEEDaS15_S16_EUlS15_E_NS1_11comp_targetILNS1_3genE3ELNS1_11target_archE908ELNS1_3gpuE7ELNS1_3repE0EEENS1_30default_config_static_selectorELNS0_4arch9wavefront6targetE1EEEvT1_,comdat
	.globl	_ZN7rocprim17ROCPRIM_400000_NS6detail17trampoline_kernelINS0_14default_configENS1_25partition_config_selectorILNS1_17partition_subalgoE9EllbEEZZNS1_14partition_implILS5_9ELb0ES3_jPlS8_PNS0_10empty_typeENS0_5tupleIJS8_S9_EEENSB_IJS8_SA_EEENS0_18inequality_wrapperIZN2at6native12_GLOBAL__N_124unique_dim_cuda_templateIaEESt5tupleIJNSF_6TensorESK_SK_EERKSK_lbbbEUlllE0_EEPmJS9_EEE10hipError_tPvRmT3_T4_T5_T6_T7_T9_mT8_P12ihipStream_tbDpT10_ENKUlT_T0_E_clISt17integral_constantIbLb0EES19_IbLb1EEEEDaS15_S16_EUlS15_E_NS1_11comp_targetILNS1_3genE3ELNS1_11target_archE908ELNS1_3gpuE7ELNS1_3repE0EEENS1_30default_config_static_selectorELNS0_4arch9wavefront6targetE1EEEvT1_ ; -- Begin function _ZN7rocprim17ROCPRIM_400000_NS6detail17trampoline_kernelINS0_14default_configENS1_25partition_config_selectorILNS1_17partition_subalgoE9EllbEEZZNS1_14partition_implILS5_9ELb0ES3_jPlS8_PNS0_10empty_typeENS0_5tupleIJS8_S9_EEENSB_IJS8_SA_EEENS0_18inequality_wrapperIZN2at6native12_GLOBAL__N_124unique_dim_cuda_templateIaEESt5tupleIJNSF_6TensorESK_SK_EERKSK_lbbbEUlllE0_EEPmJS9_EEE10hipError_tPvRmT3_T4_T5_T6_T7_T9_mT8_P12ihipStream_tbDpT10_ENKUlT_T0_E_clISt17integral_constantIbLb0EES19_IbLb1EEEEDaS15_S16_EUlS15_E_NS1_11comp_targetILNS1_3genE3ELNS1_11target_archE908ELNS1_3gpuE7ELNS1_3repE0EEENS1_30default_config_static_selectorELNS0_4arch9wavefront6targetE1EEEvT1_
	.p2align	8
	.type	_ZN7rocprim17ROCPRIM_400000_NS6detail17trampoline_kernelINS0_14default_configENS1_25partition_config_selectorILNS1_17partition_subalgoE9EllbEEZZNS1_14partition_implILS5_9ELb0ES3_jPlS8_PNS0_10empty_typeENS0_5tupleIJS8_S9_EEENSB_IJS8_SA_EEENS0_18inequality_wrapperIZN2at6native12_GLOBAL__N_124unique_dim_cuda_templateIaEESt5tupleIJNSF_6TensorESK_SK_EERKSK_lbbbEUlllE0_EEPmJS9_EEE10hipError_tPvRmT3_T4_T5_T6_T7_T9_mT8_P12ihipStream_tbDpT10_ENKUlT_T0_E_clISt17integral_constantIbLb0EES19_IbLb1EEEEDaS15_S16_EUlS15_E_NS1_11comp_targetILNS1_3genE3ELNS1_11target_archE908ELNS1_3gpuE7ELNS1_3repE0EEENS1_30default_config_static_selectorELNS0_4arch9wavefront6targetE1EEEvT1_,@function
_ZN7rocprim17ROCPRIM_400000_NS6detail17trampoline_kernelINS0_14default_configENS1_25partition_config_selectorILNS1_17partition_subalgoE9EllbEEZZNS1_14partition_implILS5_9ELb0ES3_jPlS8_PNS0_10empty_typeENS0_5tupleIJS8_S9_EEENSB_IJS8_SA_EEENS0_18inequality_wrapperIZN2at6native12_GLOBAL__N_124unique_dim_cuda_templateIaEESt5tupleIJNSF_6TensorESK_SK_EERKSK_lbbbEUlllE0_EEPmJS9_EEE10hipError_tPvRmT3_T4_T5_T6_T7_T9_mT8_P12ihipStream_tbDpT10_ENKUlT_T0_E_clISt17integral_constantIbLb0EES19_IbLb1EEEEDaS15_S16_EUlS15_E_NS1_11comp_targetILNS1_3genE3ELNS1_11target_archE908ELNS1_3gpuE7ELNS1_3repE0EEENS1_30default_config_static_selectorELNS0_4arch9wavefront6targetE1EEEvT1_: ; @_ZN7rocprim17ROCPRIM_400000_NS6detail17trampoline_kernelINS0_14default_configENS1_25partition_config_selectorILNS1_17partition_subalgoE9EllbEEZZNS1_14partition_implILS5_9ELb0ES3_jPlS8_PNS0_10empty_typeENS0_5tupleIJS8_S9_EEENSB_IJS8_SA_EEENS0_18inequality_wrapperIZN2at6native12_GLOBAL__N_124unique_dim_cuda_templateIaEESt5tupleIJNSF_6TensorESK_SK_EERKSK_lbbbEUlllE0_EEPmJS9_EEE10hipError_tPvRmT3_T4_T5_T6_T7_T9_mT8_P12ihipStream_tbDpT10_ENKUlT_T0_E_clISt17integral_constantIbLb0EES19_IbLb1EEEEDaS15_S16_EUlS15_E_NS1_11comp_targetILNS1_3genE3ELNS1_11target_archE908ELNS1_3gpuE7ELNS1_3repE0EEENS1_30default_config_static_selectorELNS0_4arch9wavefront6targetE1EEEvT1_
; %bb.0:
	.section	.rodata,"a",@progbits
	.p2align	6, 0x0
	.amdhsa_kernel _ZN7rocprim17ROCPRIM_400000_NS6detail17trampoline_kernelINS0_14default_configENS1_25partition_config_selectorILNS1_17partition_subalgoE9EllbEEZZNS1_14partition_implILS5_9ELb0ES3_jPlS8_PNS0_10empty_typeENS0_5tupleIJS8_S9_EEENSB_IJS8_SA_EEENS0_18inequality_wrapperIZN2at6native12_GLOBAL__N_124unique_dim_cuda_templateIaEESt5tupleIJNSF_6TensorESK_SK_EERKSK_lbbbEUlllE0_EEPmJS9_EEE10hipError_tPvRmT3_T4_T5_T6_T7_T9_mT8_P12ihipStream_tbDpT10_ENKUlT_T0_E_clISt17integral_constantIbLb0EES19_IbLb1EEEEDaS15_S16_EUlS15_E_NS1_11comp_targetILNS1_3genE3ELNS1_11target_archE908ELNS1_3gpuE7ELNS1_3repE0EEENS1_30default_config_static_selectorELNS0_4arch9wavefront6targetE1EEEvT1_
		.amdhsa_group_segment_fixed_size 0
		.amdhsa_private_segment_fixed_size 0
		.amdhsa_kernarg_size 136
		.amdhsa_user_sgpr_count 2
		.amdhsa_user_sgpr_dispatch_ptr 0
		.amdhsa_user_sgpr_queue_ptr 0
		.amdhsa_user_sgpr_kernarg_segment_ptr 1
		.amdhsa_user_sgpr_dispatch_id 0
		.amdhsa_user_sgpr_kernarg_preload_length 0
		.amdhsa_user_sgpr_kernarg_preload_offset 0
		.amdhsa_user_sgpr_private_segment_size 0
		.amdhsa_uses_dynamic_stack 0
		.amdhsa_enable_private_segment 0
		.amdhsa_system_sgpr_workgroup_id_x 1
		.amdhsa_system_sgpr_workgroup_id_y 0
		.amdhsa_system_sgpr_workgroup_id_z 0
		.amdhsa_system_sgpr_workgroup_info 0
		.amdhsa_system_vgpr_workitem_id 0
		.amdhsa_next_free_vgpr 1
		.amdhsa_next_free_sgpr 0
		.amdhsa_accum_offset 4
		.amdhsa_reserve_vcc 0
		.amdhsa_float_round_mode_32 0
		.amdhsa_float_round_mode_16_64 0
		.amdhsa_float_denorm_mode_32 3
		.amdhsa_float_denorm_mode_16_64 3
		.amdhsa_dx10_clamp 1
		.amdhsa_ieee_mode 1
		.amdhsa_fp16_overflow 0
		.amdhsa_tg_split 0
		.amdhsa_exception_fp_ieee_invalid_op 0
		.amdhsa_exception_fp_denorm_src 0
		.amdhsa_exception_fp_ieee_div_zero 0
		.amdhsa_exception_fp_ieee_overflow 0
		.amdhsa_exception_fp_ieee_underflow 0
		.amdhsa_exception_fp_ieee_inexact 0
		.amdhsa_exception_int_div_zero 0
	.end_amdhsa_kernel
	.section	.text._ZN7rocprim17ROCPRIM_400000_NS6detail17trampoline_kernelINS0_14default_configENS1_25partition_config_selectorILNS1_17partition_subalgoE9EllbEEZZNS1_14partition_implILS5_9ELb0ES3_jPlS8_PNS0_10empty_typeENS0_5tupleIJS8_S9_EEENSB_IJS8_SA_EEENS0_18inequality_wrapperIZN2at6native12_GLOBAL__N_124unique_dim_cuda_templateIaEESt5tupleIJNSF_6TensorESK_SK_EERKSK_lbbbEUlllE0_EEPmJS9_EEE10hipError_tPvRmT3_T4_T5_T6_T7_T9_mT8_P12ihipStream_tbDpT10_ENKUlT_T0_E_clISt17integral_constantIbLb0EES19_IbLb1EEEEDaS15_S16_EUlS15_E_NS1_11comp_targetILNS1_3genE3ELNS1_11target_archE908ELNS1_3gpuE7ELNS1_3repE0EEENS1_30default_config_static_selectorELNS0_4arch9wavefront6targetE1EEEvT1_,"axG",@progbits,_ZN7rocprim17ROCPRIM_400000_NS6detail17trampoline_kernelINS0_14default_configENS1_25partition_config_selectorILNS1_17partition_subalgoE9EllbEEZZNS1_14partition_implILS5_9ELb0ES3_jPlS8_PNS0_10empty_typeENS0_5tupleIJS8_S9_EEENSB_IJS8_SA_EEENS0_18inequality_wrapperIZN2at6native12_GLOBAL__N_124unique_dim_cuda_templateIaEESt5tupleIJNSF_6TensorESK_SK_EERKSK_lbbbEUlllE0_EEPmJS9_EEE10hipError_tPvRmT3_T4_T5_T6_T7_T9_mT8_P12ihipStream_tbDpT10_ENKUlT_T0_E_clISt17integral_constantIbLb0EES19_IbLb1EEEEDaS15_S16_EUlS15_E_NS1_11comp_targetILNS1_3genE3ELNS1_11target_archE908ELNS1_3gpuE7ELNS1_3repE0EEENS1_30default_config_static_selectorELNS0_4arch9wavefront6targetE1EEEvT1_,comdat
.Lfunc_end380:
	.size	_ZN7rocprim17ROCPRIM_400000_NS6detail17trampoline_kernelINS0_14default_configENS1_25partition_config_selectorILNS1_17partition_subalgoE9EllbEEZZNS1_14partition_implILS5_9ELb0ES3_jPlS8_PNS0_10empty_typeENS0_5tupleIJS8_S9_EEENSB_IJS8_SA_EEENS0_18inequality_wrapperIZN2at6native12_GLOBAL__N_124unique_dim_cuda_templateIaEESt5tupleIJNSF_6TensorESK_SK_EERKSK_lbbbEUlllE0_EEPmJS9_EEE10hipError_tPvRmT3_T4_T5_T6_T7_T9_mT8_P12ihipStream_tbDpT10_ENKUlT_T0_E_clISt17integral_constantIbLb0EES19_IbLb1EEEEDaS15_S16_EUlS15_E_NS1_11comp_targetILNS1_3genE3ELNS1_11target_archE908ELNS1_3gpuE7ELNS1_3repE0EEENS1_30default_config_static_selectorELNS0_4arch9wavefront6targetE1EEEvT1_, .Lfunc_end380-_ZN7rocprim17ROCPRIM_400000_NS6detail17trampoline_kernelINS0_14default_configENS1_25partition_config_selectorILNS1_17partition_subalgoE9EllbEEZZNS1_14partition_implILS5_9ELb0ES3_jPlS8_PNS0_10empty_typeENS0_5tupleIJS8_S9_EEENSB_IJS8_SA_EEENS0_18inequality_wrapperIZN2at6native12_GLOBAL__N_124unique_dim_cuda_templateIaEESt5tupleIJNSF_6TensorESK_SK_EERKSK_lbbbEUlllE0_EEPmJS9_EEE10hipError_tPvRmT3_T4_T5_T6_T7_T9_mT8_P12ihipStream_tbDpT10_ENKUlT_T0_E_clISt17integral_constantIbLb0EES19_IbLb1EEEEDaS15_S16_EUlS15_E_NS1_11comp_targetILNS1_3genE3ELNS1_11target_archE908ELNS1_3gpuE7ELNS1_3repE0EEENS1_30default_config_static_selectorELNS0_4arch9wavefront6targetE1EEEvT1_
                                        ; -- End function
	.section	.AMDGPU.csdata,"",@progbits
; Kernel info:
; codeLenInByte = 0
; NumSgprs: 6
; NumVgprs: 0
; NumAgprs: 0
; TotalNumVgprs: 0
; ScratchSize: 0
; MemoryBound: 0
; FloatMode: 240
; IeeeMode: 1
; LDSByteSize: 0 bytes/workgroup (compile time only)
; SGPRBlocks: 0
; VGPRBlocks: 0
; NumSGPRsForWavesPerEU: 6
; NumVGPRsForWavesPerEU: 1
; AccumOffset: 4
; Occupancy: 8
; WaveLimiterHint : 0
; COMPUTE_PGM_RSRC2:SCRATCH_EN: 0
; COMPUTE_PGM_RSRC2:USER_SGPR: 2
; COMPUTE_PGM_RSRC2:TRAP_HANDLER: 0
; COMPUTE_PGM_RSRC2:TGID_X_EN: 1
; COMPUTE_PGM_RSRC2:TGID_Y_EN: 0
; COMPUTE_PGM_RSRC2:TGID_Z_EN: 0
; COMPUTE_PGM_RSRC2:TIDIG_COMP_CNT: 0
; COMPUTE_PGM_RSRC3_GFX90A:ACCUM_OFFSET: 0
; COMPUTE_PGM_RSRC3_GFX90A:TG_SPLIT: 0
	.section	.text._ZN7rocprim17ROCPRIM_400000_NS6detail17trampoline_kernelINS0_14default_configENS1_25partition_config_selectorILNS1_17partition_subalgoE9EllbEEZZNS1_14partition_implILS5_9ELb0ES3_jPlS8_PNS0_10empty_typeENS0_5tupleIJS8_S9_EEENSB_IJS8_SA_EEENS0_18inequality_wrapperIZN2at6native12_GLOBAL__N_124unique_dim_cuda_templateIaEESt5tupleIJNSF_6TensorESK_SK_EERKSK_lbbbEUlllE0_EEPmJS9_EEE10hipError_tPvRmT3_T4_T5_T6_T7_T9_mT8_P12ihipStream_tbDpT10_ENKUlT_T0_E_clISt17integral_constantIbLb0EES19_IbLb1EEEEDaS15_S16_EUlS15_E_NS1_11comp_targetILNS1_3genE2ELNS1_11target_archE906ELNS1_3gpuE6ELNS1_3repE0EEENS1_30default_config_static_selectorELNS0_4arch9wavefront6targetE1EEEvT1_,"axG",@progbits,_ZN7rocprim17ROCPRIM_400000_NS6detail17trampoline_kernelINS0_14default_configENS1_25partition_config_selectorILNS1_17partition_subalgoE9EllbEEZZNS1_14partition_implILS5_9ELb0ES3_jPlS8_PNS0_10empty_typeENS0_5tupleIJS8_S9_EEENSB_IJS8_SA_EEENS0_18inequality_wrapperIZN2at6native12_GLOBAL__N_124unique_dim_cuda_templateIaEESt5tupleIJNSF_6TensorESK_SK_EERKSK_lbbbEUlllE0_EEPmJS9_EEE10hipError_tPvRmT3_T4_T5_T6_T7_T9_mT8_P12ihipStream_tbDpT10_ENKUlT_T0_E_clISt17integral_constantIbLb0EES19_IbLb1EEEEDaS15_S16_EUlS15_E_NS1_11comp_targetILNS1_3genE2ELNS1_11target_archE906ELNS1_3gpuE6ELNS1_3repE0EEENS1_30default_config_static_selectorELNS0_4arch9wavefront6targetE1EEEvT1_,comdat
	.globl	_ZN7rocprim17ROCPRIM_400000_NS6detail17trampoline_kernelINS0_14default_configENS1_25partition_config_selectorILNS1_17partition_subalgoE9EllbEEZZNS1_14partition_implILS5_9ELb0ES3_jPlS8_PNS0_10empty_typeENS0_5tupleIJS8_S9_EEENSB_IJS8_SA_EEENS0_18inequality_wrapperIZN2at6native12_GLOBAL__N_124unique_dim_cuda_templateIaEESt5tupleIJNSF_6TensorESK_SK_EERKSK_lbbbEUlllE0_EEPmJS9_EEE10hipError_tPvRmT3_T4_T5_T6_T7_T9_mT8_P12ihipStream_tbDpT10_ENKUlT_T0_E_clISt17integral_constantIbLb0EES19_IbLb1EEEEDaS15_S16_EUlS15_E_NS1_11comp_targetILNS1_3genE2ELNS1_11target_archE906ELNS1_3gpuE6ELNS1_3repE0EEENS1_30default_config_static_selectorELNS0_4arch9wavefront6targetE1EEEvT1_ ; -- Begin function _ZN7rocprim17ROCPRIM_400000_NS6detail17trampoline_kernelINS0_14default_configENS1_25partition_config_selectorILNS1_17partition_subalgoE9EllbEEZZNS1_14partition_implILS5_9ELb0ES3_jPlS8_PNS0_10empty_typeENS0_5tupleIJS8_S9_EEENSB_IJS8_SA_EEENS0_18inequality_wrapperIZN2at6native12_GLOBAL__N_124unique_dim_cuda_templateIaEESt5tupleIJNSF_6TensorESK_SK_EERKSK_lbbbEUlllE0_EEPmJS9_EEE10hipError_tPvRmT3_T4_T5_T6_T7_T9_mT8_P12ihipStream_tbDpT10_ENKUlT_T0_E_clISt17integral_constantIbLb0EES19_IbLb1EEEEDaS15_S16_EUlS15_E_NS1_11comp_targetILNS1_3genE2ELNS1_11target_archE906ELNS1_3gpuE6ELNS1_3repE0EEENS1_30default_config_static_selectorELNS0_4arch9wavefront6targetE1EEEvT1_
	.p2align	8
	.type	_ZN7rocprim17ROCPRIM_400000_NS6detail17trampoline_kernelINS0_14default_configENS1_25partition_config_selectorILNS1_17partition_subalgoE9EllbEEZZNS1_14partition_implILS5_9ELb0ES3_jPlS8_PNS0_10empty_typeENS0_5tupleIJS8_S9_EEENSB_IJS8_SA_EEENS0_18inequality_wrapperIZN2at6native12_GLOBAL__N_124unique_dim_cuda_templateIaEESt5tupleIJNSF_6TensorESK_SK_EERKSK_lbbbEUlllE0_EEPmJS9_EEE10hipError_tPvRmT3_T4_T5_T6_T7_T9_mT8_P12ihipStream_tbDpT10_ENKUlT_T0_E_clISt17integral_constantIbLb0EES19_IbLb1EEEEDaS15_S16_EUlS15_E_NS1_11comp_targetILNS1_3genE2ELNS1_11target_archE906ELNS1_3gpuE6ELNS1_3repE0EEENS1_30default_config_static_selectorELNS0_4arch9wavefront6targetE1EEEvT1_,@function
_ZN7rocprim17ROCPRIM_400000_NS6detail17trampoline_kernelINS0_14default_configENS1_25partition_config_selectorILNS1_17partition_subalgoE9EllbEEZZNS1_14partition_implILS5_9ELb0ES3_jPlS8_PNS0_10empty_typeENS0_5tupleIJS8_S9_EEENSB_IJS8_SA_EEENS0_18inequality_wrapperIZN2at6native12_GLOBAL__N_124unique_dim_cuda_templateIaEESt5tupleIJNSF_6TensorESK_SK_EERKSK_lbbbEUlllE0_EEPmJS9_EEE10hipError_tPvRmT3_T4_T5_T6_T7_T9_mT8_P12ihipStream_tbDpT10_ENKUlT_T0_E_clISt17integral_constantIbLb0EES19_IbLb1EEEEDaS15_S16_EUlS15_E_NS1_11comp_targetILNS1_3genE2ELNS1_11target_archE906ELNS1_3gpuE6ELNS1_3repE0EEENS1_30default_config_static_selectorELNS0_4arch9wavefront6targetE1EEEvT1_: ; @_ZN7rocprim17ROCPRIM_400000_NS6detail17trampoline_kernelINS0_14default_configENS1_25partition_config_selectorILNS1_17partition_subalgoE9EllbEEZZNS1_14partition_implILS5_9ELb0ES3_jPlS8_PNS0_10empty_typeENS0_5tupleIJS8_S9_EEENSB_IJS8_SA_EEENS0_18inequality_wrapperIZN2at6native12_GLOBAL__N_124unique_dim_cuda_templateIaEESt5tupleIJNSF_6TensorESK_SK_EERKSK_lbbbEUlllE0_EEPmJS9_EEE10hipError_tPvRmT3_T4_T5_T6_T7_T9_mT8_P12ihipStream_tbDpT10_ENKUlT_T0_E_clISt17integral_constantIbLb0EES19_IbLb1EEEEDaS15_S16_EUlS15_E_NS1_11comp_targetILNS1_3genE2ELNS1_11target_archE906ELNS1_3gpuE6ELNS1_3repE0EEENS1_30default_config_static_selectorELNS0_4arch9wavefront6targetE1EEEvT1_
; %bb.0:
	.section	.rodata,"a",@progbits
	.p2align	6, 0x0
	.amdhsa_kernel _ZN7rocprim17ROCPRIM_400000_NS6detail17trampoline_kernelINS0_14default_configENS1_25partition_config_selectorILNS1_17partition_subalgoE9EllbEEZZNS1_14partition_implILS5_9ELb0ES3_jPlS8_PNS0_10empty_typeENS0_5tupleIJS8_S9_EEENSB_IJS8_SA_EEENS0_18inequality_wrapperIZN2at6native12_GLOBAL__N_124unique_dim_cuda_templateIaEESt5tupleIJNSF_6TensorESK_SK_EERKSK_lbbbEUlllE0_EEPmJS9_EEE10hipError_tPvRmT3_T4_T5_T6_T7_T9_mT8_P12ihipStream_tbDpT10_ENKUlT_T0_E_clISt17integral_constantIbLb0EES19_IbLb1EEEEDaS15_S16_EUlS15_E_NS1_11comp_targetILNS1_3genE2ELNS1_11target_archE906ELNS1_3gpuE6ELNS1_3repE0EEENS1_30default_config_static_selectorELNS0_4arch9wavefront6targetE1EEEvT1_
		.amdhsa_group_segment_fixed_size 0
		.amdhsa_private_segment_fixed_size 0
		.amdhsa_kernarg_size 136
		.amdhsa_user_sgpr_count 2
		.amdhsa_user_sgpr_dispatch_ptr 0
		.amdhsa_user_sgpr_queue_ptr 0
		.amdhsa_user_sgpr_kernarg_segment_ptr 1
		.amdhsa_user_sgpr_dispatch_id 0
		.amdhsa_user_sgpr_kernarg_preload_length 0
		.amdhsa_user_sgpr_kernarg_preload_offset 0
		.amdhsa_user_sgpr_private_segment_size 0
		.amdhsa_uses_dynamic_stack 0
		.amdhsa_enable_private_segment 0
		.amdhsa_system_sgpr_workgroup_id_x 1
		.amdhsa_system_sgpr_workgroup_id_y 0
		.amdhsa_system_sgpr_workgroup_id_z 0
		.amdhsa_system_sgpr_workgroup_info 0
		.amdhsa_system_vgpr_workitem_id 0
		.amdhsa_next_free_vgpr 1
		.amdhsa_next_free_sgpr 0
		.amdhsa_accum_offset 4
		.amdhsa_reserve_vcc 0
		.amdhsa_float_round_mode_32 0
		.amdhsa_float_round_mode_16_64 0
		.amdhsa_float_denorm_mode_32 3
		.amdhsa_float_denorm_mode_16_64 3
		.amdhsa_dx10_clamp 1
		.amdhsa_ieee_mode 1
		.amdhsa_fp16_overflow 0
		.amdhsa_tg_split 0
		.amdhsa_exception_fp_ieee_invalid_op 0
		.amdhsa_exception_fp_denorm_src 0
		.amdhsa_exception_fp_ieee_div_zero 0
		.amdhsa_exception_fp_ieee_overflow 0
		.amdhsa_exception_fp_ieee_underflow 0
		.amdhsa_exception_fp_ieee_inexact 0
		.amdhsa_exception_int_div_zero 0
	.end_amdhsa_kernel
	.section	.text._ZN7rocprim17ROCPRIM_400000_NS6detail17trampoline_kernelINS0_14default_configENS1_25partition_config_selectorILNS1_17partition_subalgoE9EllbEEZZNS1_14partition_implILS5_9ELb0ES3_jPlS8_PNS0_10empty_typeENS0_5tupleIJS8_S9_EEENSB_IJS8_SA_EEENS0_18inequality_wrapperIZN2at6native12_GLOBAL__N_124unique_dim_cuda_templateIaEESt5tupleIJNSF_6TensorESK_SK_EERKSK_lbbbEUlllE0_EEPmJS9_EEE10hipError_tPvRmT3_T4_T5_T6_T7_T9_mT8_P12ihipStream_tbDpT10_ENKUlT_T0_E_clISt17integral_constantIbLb0EES19_IbLb1EEEEDaS15_S16_EUlS15_E_NS1_11comp_targetILNS1_3genE2ELNS1_11target_archE906ELNS1_3gpuE6ELNS1_3repE0EEENS1_30default_config_static_selectorELNS0_4arch9wavefront6targetE1EEEvT1_,"axG",@progbits,_ZN7rocprim17ROCPRIM_400000_NS6detail17trampoline_kernelINS0_14default_configENS1_25partition_config_selectorILNS1_17partition_subalgoE9EllbEEZZNS1_14partition_implILS5_9ELb0ES3_jPlS8_PNS0_10empty_typeENS0_5tupleIJS8_S9_EEENSB_IJS8_SA_EEENS0_18inequality_wrapperIZN2at6native12_GLOBAL__N_124unique_dim_cuda_templateIaEESt5tupleIJNSF_6TensorESK_SK_EERKSK_lbbbEUlllE0_EEPmJS9_EEE10hipError_tPvRmT3_T4_T5_T6_T7_T9_mT8_P12ihipStream_tbDpT10_ENKUlT_T0_E_clISt17integral_constantIbLb0EES19_IbLb1EEEEDaS15_S16_EUlS15_E_NS1_11comp_targetILNS1_3genE2ELNS1_11target_archE906ELNS1_3gpuE6ELNS1_3repE0EEENS1_30default_config_static_selectorELNS0_4arch9wavefront6targetE1EEEvT1_,comdat
.Lfunc_end381:
	.size	_ZN7rocprim17ROCPRIM_400000_NS6detail17trampoline_kernelINS0_14default_configENS1_25partition_config_selectorILNS1_17partition_subalgoE9EllbEEZZNS1_14partition_implILS5_9ELb0ES3_jPlS8_PNS0_10empty_typeENS0_5tupleIJS8_S9_EEENSB_IJS8_SA_EEENS0_18inequality_wrapperIZN2at6native12_GLOBAL__N_124unique_dim_cuda_templateIaEESt5tupleIJNSF_6TensorESK_SK_EERKSK_lbbbEUlllE0_EEPmJS9_EEE10hipError_tPvRmT3_T4_T5_T6_T7_T9_mT8_P12ihipStream_tbDpT10_ENKUlT_T0_E_clISt17integral_constantIbLb0EES19_IbLb1EEEEDaS15_S16_EUlS15_E_NS1_11comp_targetILNS1_3genE2ELNS1_11target_archE906ELNS1_3gpuE6ELNS1_3repE0EEENS1_30default_config_static_selectorELNS0_4arch9wavefront6targetE1EEEvT1_, .Lfunc_end381-_ZN7rocprim17ROCPRIM_400000_NS6detail17trampoline_kernelINS0_14default_configENS1_25partition_config_selectorILNS1_17partition_subalgoE9EllbEEZZNS1_14partition_implILS5_9ELb0ES3_jPlS8_PNS0_10empty_typeENS0_5tupleIJS8_S9_EEENSB_IJS8_SA_EEENS0_18inequality_wrapperIZN2at6native12_GLOBAL__N_124unique_dim_cuda_templateIaEESt5tupleIJNSF_6TensorESK_SK_EERKSK_lbbbEUlllE0_EEPmJS9_EEE10hipError_tPvRmT3_T4_T5_T6_T7_T9_mT8_P12ihipStream_tbDpT10_ENKUlT_T0_E_clISt17integral_constantIbLb0EES19_IbLb1EEEEDaS15_S16_EUlS15_E_NS1_11comp_targetILNS1_3genE2ELNS1_11target_archE906ELNS1_3gpuE6ELNS1_3repE0EEENS1_30default_config_static_selectorELNS0_4arch9wavefront6targetE1EEEvT1_
                                        ; -- End function
	.section	.AMDGPU.csdata,"",@progbits
; Kernel info:
; codeLenInByte = 0
; NumSgprs: 6
; NumVgprs: 0
; NumAgprs: 0
; TotalNumVgprs: 0
; ScratchSize: 0
; MemoryBound: 0
; FloatMode: 240
; IeeeMode: 1
; LDSByteSize: 0 bytes/workgroup (compile time only)
; SGPRBlocks: 0
; VGPRBlocks: 0
; NumSGPRsForWavesPerEU: 6
; NumVGPRsForWavesPerEU: 1
; AccumOffset: 4
; Occupancy: 8
; WaveLimiterHint : 0
; COMPUTE_PGM_RSRC2:SCRATCH_EN: 0
; COMPUTE_PGM_RSRC2:USER_SGPR: 2
; COMPUTE_PGM_RSRC2:TRAP_HANDLER: 0
; COMPUTE_PGM_RSRC2:TGID_X_EN: 1
; COMPUTE_PGM_RSRC2:TGID_Y_EN: 0
; COMPUTE_PGM_RSRC2:TGID_Z_EN: 0
; COMPUTE_PGM_RSRC2:TIDIG_COMP_CNT: 0
; COMPUTE_PGM_RSRC3_GFX90A:ACCUM_OFFSET: 0
; COMPUTE_PGM_RSRC3_GFX90A:TG_SPLIT: 0
	.section	.text._ZN7rocprim17ROCPRIM_400000_NS6detail17trampoline_kernelINS0_14default_configENS1_25partition_config_selectorILNS1_17partition_subalgoE9EllbEEZZNS1_14partition_implILS5_9ELb0ES3_jPlS8_PNS0_10empty_typeENS0_5tupleIJS8_S9_EEENSB_IJS8_SA_EEENS0_18inequality_wrapperIZN2at6native12_GLOBAL__N_124unique_dim_cuda_templateIaEESt5tupleIJNSF_6TensorESK_SK_EERKSK_lbbbEUlllE0_EEPmJS9_EEE10hipError_tPvRmT3_T4_T5_T6_T7_T9_mT8_P12ihipStream_tbDpT10_ENKUlT_T0_E_clISt17integral_constantIbLb0EES19_IbLb1EEEEDaS15_S16_EUlS15_E_NS1_11comp_targetILNS1_3genE10ELNS1_11target_archE1200ELNS1_3gpuE4ELNS1_3repE0EEENS1_30default_config_static_selectorELNS0_4arch9wavefront6targetE1EEEvT1_,"axG",@progbits,_ZN7rocprim17ROCPRIM_400000_NS6detail17trampoline_kernelINS0_14default_configENS1_25partition_config_selectorILNS1_17partition_subalgoE9EllbEEZZNS1_14partition_implILS5_9ELb0ES3_jPlS8_PNS0_10empty_typeENS0_5tupleIJS8_S9_EEENSB_IJS8_SA_EEENS0_18inequality_wrapperIZN2at6native12_GLOBAL__N_124unique_dim_cuda_templateIaEESt5tupleIJNSF_6TensorESK_SK_EERKSK_lbbbEUlllE0_EEPmJS9_EEE10hipError_tPvRmT3_T4_T5_T6_T7_T9_mT8_P12ihipStream_tbDpT10_ENKUlT_T0_E_clISt17integral_constantIbLb0EES19_IbLb1EEEEDaS15_S16_EUlS15_E_NS1_11comp_targetILNS1_3genE10ELNS1_11target_archE1200ELNS1_3gpuE4ELNS1_3repE0EEENS1_30default_config_static_selectorELNS0_4arch9wavefront6targetE1EEEvT1_,comdat
	.globl	_ZN7rocprim17ROCPRIM_400000_NS6detail17trampoline_kernelINS0_14default_configENS1_25partition_config_selectorILNS1_17partition_subalgoE9EllbEEZZNS1_14partition_implILS5_9ELb0ES3_jPlS8_PNS0_10empty_typeENS0_5tupleIJS8_S9_EEENSB_IJS8_SA_EEENS0_18inequality_wrapperIZN2at6native12_GLOBAL__N_124unique_dim_cuda_templateIaEESt5tupleIJNSF_6TensorESK_SK_EERKSK_lbbbEUlllE0_EEPmJS9_EEE10hipError_tPvRmT3_T4_T5_T6_T7_T9_mT8_P12ihipStream_tbDpT10_ENKUlT_T0_E_clISt17integral_constantIbLb0EES19_IbLb1EEEEDaS15_S16_EUlS15_E_NS1_11comp_targetILNS1_3genE10ELNS1_11target_archE1200ELNS1_3gpuE4ELNS1_3repE0EEENS1_30default_config_static_selectorELNS0_4arch9wavefront6targetE1EEEvT1_ ; -- Begin function _ZN7rocprim17ROCPRIM_400000_NS6detail17trampoline_kernelINS0_14default_configENS1_25partition_config_selectorILNS1_17partition_subalgoE9EllbEEZZNS1_14partition_implILS5_9ELb0ES3_jPlS8_PNS0_10empty_typeENS0_5tupleIJS8_S9_EEENSB_IJS8_SA_EEENS0_18inequality_wrapperIZN2at6native12_GLOBAL__N_124unique_dim_cuda_templateIaEESt5tupleIJNSF_6TensorESK_SK_EERKSK_lbbbEUlllE0_EEPmJS9_EEE10hipError_tPvRmT3_T4_T5_T6_T7_T9_mT8_P12ihipStream_tbDpT10_ENKUlT_T0_E_clISt17integral_constantIbLb0EES19_IbLb1EEEEDaS15_S16_EUlS15_E_NS1_11comp_targetILNS1_3genE10ELNS1_11target_archE1200ELNS1_3gpuE4ELNS1_3repE0EEENS1_30default_config_static_selectorELNS0_4arch9wavefront6targetE1EEEvT1_
	.p2align	8
	.type	_ZN7rocprim17ROCPRIM_400000_NS6detail17trampoline_kernelINS0_14default_configENS1_25partition_config_selectorILNS1_17partition_subalgoE9EllbEEZZNS1_14partition_implILS5_9ELb0ES3_jPlS8_PNS0_10empty_typeENS0_5tupleIJS8_S9_EEENSB_IJS8_SA_EEENS0_18inequality_wrapperIZN2at6native12_GLOBAL__N_124unique_dim_cuda_templateIaEESt5tupleIJNSF_6TensorESK_SK_EERKSK_lbbbEUlllE0_EEPmJS9_EEE10hipError_tPvRmT3_T4_T5_T6_T7_T9_mT8_P12ihipStream_tbDpT10_ENKUlT_T0_E_clISt17integral_constantIbLb0EES19_IbLb1EEEEDaS15_S16_EUlS15_E_NS1_11comp_targetILNS1_3genE10ELNS1_11target_archE1200ELNS1_3gpuE4ELNS1_3repE0EEENS1_30default_config_static_selectorELNS0_4arch9wavefront6targetE1EEEvT1_,@function
_ZN7rocprim17ROCPRIM_400000_NS6detail17trampoline_kernelINS0_14default_configENS1_25partition_config_selectorILNS1_17partition_subalgoE9EllbEEZZNS1_14partition_implILS5_9ELb0ES3_jPlS8_PNS0_10empty_typeENS0_5tupleIJS8_S9_EEENSB_IJS8_SA_EEENS0_18inequality_wrapperIZN2at6native12_GLOBAL__N_124unique_dim_cuda_templateIaEESt5tupleIJNSF_6TensorESK_SK_EERKSK_lbbbEUlllE0_EEPmJS9_EEE10hipError_tPvRmT3_T4_T5_T6_T7_T9_mT8_P12ihipStream_tbDpT10_ENKUlT_T0_E_clISt17integral_constantIbLb0EES19_IbLb1EEEEDaS15_S16_EUlS15_E_NS1_11comp_targetILNS1_3genE10ELNS1_11target_archE1200ELNS1_3gpuE4ELNS1_3repE0EEENS1_30default_config_static_selectorELNS0_4arch9wavefront6targetE1EEEvT1_: ; @_ZN7rocprim17ROCPRIM_400000_NS6detail17trampoline_kernelINS0_14default_configENS1_25partition_config_selectorILNS1_17partition_subalgoE9EllbEEZZNS1_14partition_implILS5_9ELb0ES3_jPlS8_PNS0_10empty_typeENS0_5tupleIJS8_S9_EEENSB_IJS8_SA_EEENS0_18inequality_wrapperIZN2at6native12_GLOBAL__N_124unique_dim_cuda_templateIaEESt5tupleIJNSF_6TensorESK_SK_EERKSK_lbbbEUlllE0_EEPmJS9_EEE10hipError_tPvRmT3_T4_T5_T6_T7_T9_mT8_P12ihipStream_tbDpT10_ENKUlT_T0_E_clISt17integral_constantIbLb0EES19_IbLb1EEEEDaS15_S16_EUlS15_E_NS1_11comp_targetILNS1_3genE10ELNS1_11target_archE1200ELNS1_3gpuE4ELNS1_3repE0EEENS1_30default_config_static_selectorELNS0_4arch9wavefront6targetE1EEEvT1_
; %bb.0:
	.section	.rodata,"a",@progbits
	.p2align	6, 0x0
	.amdhsa_kernel _ZN7rocprim17ROCPRIM_400000_NS6detail17trampoline_kernelINS0_14default_configENS1_25partition_config_selectorILNS1_17partition_subalgoE9EllbEEZZNS1_14partition_implILS5_9ELb0ES3_jPlS8_PNS0_10empty_typeENS0_5tupleIJS8_S9_EEENSB_IJS8_SA_EEENS0_18inequality_wrapperIZN2at6native12_GLOBAL__N_124unique_dim_cuda_templateIaEESt5tupleIJNSF_6TensorESK_SK_EERKSK_lbbbEUlllE0_EEPmJS9_EEE10hipError_tPvRmT3_T4_T5_T6_T7_T9_mT8_P12ihipStream_tbDpT10_ENKUlT_T0_E_clISt17integral_constantIbLb0EES19_IbLb1EEEEDaS15_S16_EUlS15_E_NS1_11comp_targetILNS1_3genE10ELNS1_11target_archE1200ELNS1_3gpuE4ELNS1_3repE0EEENS1_30default_config_static_selectorELNS0_4arch9wavefront6targetE1EEEvT1_
		.amdhsa_group_segment_fixed_size 0
		.amdhsa_private_segment_fixed_size 0
		.amdhsa_kernarg_size 136
		.amdhsa_user_sgpr_count 2
		.amdhsa_user_sgpr_dispatch_ptr 0
		.amdhsa_user_sgpr_queue_ptr 0
		.amdhsa_user_sgpr_kernarg_segment_ptr 1
		.amdhsa_user_sgpr_dispatch_id 0
		.amdhsa_user_sgpr_kernarg_preload_length 0
		.amdhsa_user_sgpr_kernarg_preload_offset 0
		.amdhsa_user_sgpr_private_segment_size 0
		.amdhsa_uses_dynamic_stack 0
		.amdhsa_enable_private_segment 0
		.amdhsa_system_sgpr_workgroup_id_x 1
		.amdhsa_system_sgpr_workgroup_id_y 0
		.amdhsa_system_sgpr_workgroup_id_z 0
		.amdhsa_system_sgpr_workgroup_info 0
		.amdhsa_system_vgpr_workitem_id 0
		.amdhsa_next_free_vgpr 1
		.amdhsa_next_free_sgpr 0
		.amdhsa_accum_offset 4
		.amdhsa_reserve_vcc 0
		.amdhsa_float_round_mode_32 0
		.amdhsa_float_round_mode_16_64 0
		.amdhsa_float_denorm_mode_32 3
		.amdhsa_float_denorm_mode_16_64 3
		.amdhsa_dx10_clamp 1
		.amdhsa_ieee_mode 1
		.amdhsa_fp16_overflow 0
		.amdhsa_tg_split 0
		.amdhsa_exception_fp_ieee_invalid_op 0
		.amdhsa_exception_fp_denorm_src 0
		.amdhsa_exception_fp_ieee_div_zero 0
		.amdhsa_exception_fp_ieee_overflow 0
		.amdhsa_exception_fp_ieee_underflow 0
		.amdhsa_exception_fp_ieee_inexact 0
		.amdhsa_exception_int_div_zero 0
	.end_amdhsa_kernel
	.section	.text._ZN7rocprim17ROCPRIM_400000_NS6detail17trampoline_kernelINS0_14default_configENS1_25partition_config_selectorILNS1_17partition_subalgoE9EllbEEZZNS1_14partition_implILS5_9ELb0ES3_jPlS8_PNS0_10empty_typeENS0_5tupleIJS8_S9_EEENSB_IJS8_SA_EEENS0_18inequality_wrapperIZN2at6native12_GLOBAL__N_124unique_dim_cuda_templateIaEESt5tupleIJNSF_6TensorESK_SK_EERKSK_lbbbEUlllE0_EEPmJS9_EEE10hipError_tPvRmT3_T4_T5_T6_T7_T9_mT8_P12ihipStream_tbDpT10_ENKUlT_T0_E_clISt17integral_constantIbLb0EES19_IbLb1EEEEDaS15_S16_EUlS15_E_NS1_11comp_targetILNS1_3genE10ELNS1_11target_archE1200ELNS1_3gpuE4ELNS1_3repE0EEENS1_30default_config_static_selectorELNS0_4arch9wavefront6targetE1EEEvT1_,"axG",@progbits,_ZN7rocprim17ROCPRIM_400000_NS6detail17trampoline_kernelINS0_14default_configENS1_25partition_config_selectorILNS1_17partition_subalgoE9EllbEEZZNS1_14partition_implILS5_9ELb0ES3_jPlS8_PNS0_10empty_typeENS0_5tupleIJS8_S9_EEENSB_IJS8_SA_EEENS0_18inequality_wrapperIZN2at6native12_GLOBAL__N_124unique_dim_cuda_templateIaEESt5tupleIJNSF_6TensorESK_SK_EERKSK_lbbbEUlllE0_EEPmJS9_EEE10hipError_tPvRmT3_T4_T5_T6_T7_T9_mT8_P12ihipStream_tbDpT10_ENKUlT_T0_E_clISt17integral_constantIbLb0EES19_IbLb1EEEEDaS15_S16_EUlS15_E_NS1_11comp_targetILNS1_3genE10ELNS1_11target_archE1200ELNS1_3gpuE4ELNS1_3repE0EEENS1_30default_config_static_selectorELNS0_4arch9wavefront6targetE1EEEvT1_,comdat
.Lfunc_end382:
	.size	_ZN7rocprim17ROCPRIM_400000_NS6detail17trampoline_kernelINS0_14default_configENS1_25partition_config_selectorILNS1_17partition_subalgoE9EllbEEZZNS1_14partition_implILS5_9ELb0ES3_jPlS8_PNS0_10empty_typeENS0_5tupleIJS8_S9_EEENSB_IJS8_SA_EEENS0_18inequality_wrapperIZN2at6native12_GLOBAL__N_124unique_dim_cuda_templateIaEESt5tupleIJNSF_6TensorESK_SK_EERKSK_lbbbEUlllE0_EEPmJS9_EEE10hipError_tPvRmT3_T4_T5_T6_T7_T9_mT8_P12ihipStream_tbDpT10_ENKUlT_T0_E_clISt17integral_constantIbLb0EES19_IbLb1EEEEDaS15_S16_EUlS15_E_NS1_11comp_targetILNS1_3genE10ELNS1_11target_archE1200ELNS1_3gpuE4ELNS1_3repE0EEENS1_30default_config_static_selectorELNS0_4arch9wavefront6targetE1EEEvT1_, .Lfunc_end382-_ZN7rocprim17ROCPRIM_400000_NS6detail17trampoline_kernelINS0_14default_configENS1_25partition_config_selectorILNS1_17partition_subalgoE9EllbEEZZNS1_14partition_implILS5_9ELb0ES3_jPlS8_PNS0_10empty_typeENS0_5tupleIJS8_S9_EEENSB_IJS8_SA_EEENS0_18inequality_wrapperIZN2at6native12_GLOBAL__N_124unique_dim_cuda_templateIaEESt5tupleIJNSF_6TensorESK_SK_EERKSK_lbbbEUlllE0_EEPmJS9_EEE10hipError_tPvRmT3_T4_T5_T6_T7_T9_mT8_P12ihipStream_tbDpT10_ENKUlT_T0_E_clISt17integral_constantIbLb0EES19_IbLb1EEEEDaS15_S16_EUlS15_E_NS1_11comp_targetILNS1_3genE10ELNS1_11target_archE1200ELNS1_3gpuE4ELNS1_3repE0EEENS1_30default_config_static_selectorELNS0_4arch9wavefront6targetE1EEEvT1_
                                        ; -- End function
	.section	.AMDGPU.csdata,"",@progbits
; Kernel info:
; codeLenInByte = 0
; NumSgprs: 6
; NumVgprs: 0
; NumAgprs: 0
; TotalNumVgprs: 0
; ScratchSize: 0
; MemoryBound: 0
; FloatMode: 240
; IeeeMode: 1
; LDSByteSize: 0 bytes/workgroup (compile time only)
; SGPRBlocks: 0
; VGPRBlocks: 0
; NumSGPRsForWavesPerEU: 6
; NumVGPRsForWavesPerEU: 1
; AccumOffset: 4
; Occupancy: 8
; WaveLimiterHint : 0
; COMPUTE_PGM_RSRC2:SCRATCH_EN: 0
; COMPUTE_PGM_RSRC2:USER_SGPR: 2
; COMPUTE_PGM_RSRC2:TRAP_HANDLER: 0
; COMPUTE_PGM_RSRC2:TGID_X_EN: 1
; COMPUTE_PGM_RSRC2:TGID_Y_EN: 0
; COMPUTE_PGM_RSRC2:TGID_Z_EN: 0
; COMPUTE_PGM_RSRC2:TIDIG_COMP_CNT: 0
; COMPUTE_PGM_RSRC3_GFX90A:ACCUM_OFFSET: 0
; COMPUTE_PGM_RSRC3_GFX90A:TG_SPLIT: 0
	.section	.text._ZN7rocprim17ROCPRIM_400000_NS6detail17trampoline_kernelINS0_14default_configENS1_25partition_config_selectorILNS1_17partition_subalgoE9EllbEEZZNS1_14partition_implILS5_9ELb0ES3_jPlS8_PNS0_10empty_typeENS0_5tupleIJS8_S9_EEENSB_IJS8_SA_EEENS0_18inequality_wrapperIZN2at6native12_GLOBAL__N_124unique_dim_cuda_templateIaEESt5tupleIJNSF_6TensorESK_SK_EERKSK_lbbbEUlllE0_EEPmJS9_EEE10hipError_tPvRmT3_T4_T5_T6_T7_T9_mT8_P12ihipStream_tbDpT10_ENKUlT_T0_E_clISt17integral_constantIbLb0EES19_IbLb1EEEEDaS15_S16_EUlS15_E_NS1_11comp_targetILNS1_3genE9ELNS1_11target_archE1100ELNS1_3gpuE3ELNS1_3repE0EEENS1_30default_config_static_selectorELNS0_4arch9wavefront6targetE1EEEvT1_,"axG",@progbits,_ZN7rocprim17ROCPRIM_400000_NS6detail17trampoline_kernelINS0_14default_configENS1_25partition_config_selectorILNS1_17partition_subalgoE9EllbEEZZNS1_14partition_implILS5_9ELb0ES3_jPlS8_PNS0_10empty_typeENS0_5tupleIJS8_S9_EEENSB_IJS8_SA_EEENS0_18inequality_wrapperIZN2at6native12_GLOBAL__N_124unique_dim_cuda_templateIaEESt5tupleIJNSF_6TensorESK_SK_EERKSK_lbbbEUlllE0_EEPmJS9_EEE10hipError_tPvRmT3_T4_T5_T6_T7_T9_mT8_P12ihipStream_tbDpT10_ENKUlT_T0_E_clISt17integral_constantIbLb0EES19_IbLb1EEEEDaS15_S16_EUlS15_E_NS1_11comp_targetILNS1_3genE9ELNS1_11target_archE1100ELNS1_3gpuE3ELNS1_3repE0EEENS1_30default_config_static_selectorELNS0_4arch9wavefront6targetE1EEEvT1_,comdat
	.globl	_ZN7rocprim17ROCPRIM_400000_NS6detail17trampoline_kernelINS0_14default_configENS1_25partition_config_selectorILNS1_17partition_subalgoE9EllbEEZZNS1_14partition_implILS5_9ELb0ES3_jPlS8_PNS0_10empty_typeENS0_5tupleIJS8_S9_EEENSB_IJS8_SA_EEENS0_18inequality_wrapperIZN2at6native12_GLOBAL__N_124unique_dim_cuda_templateIaEESt5tupleIJNSF_6TensorESK_SK_EERKSK_lbbbEUlllE0_EEPmJS9_EEE10hipError_tPvRmT3_T4_T5_T6_T7_T9_mT8_P12ihipStream_tbDpT10_ENKUlT_T0_E_clISt17integral_constantIbLb0EES19_IbLb1EEEEDaS15_S16_EUlS15_E_NS1_11comp_targetILNS1_3genE9ELNS1_11target_archE1100ELNS1_3gpuE3ELNS1_3repE0EEENS1_30default_config_static_selectorELNS0_4arch9wavefront6targetE1EEEvT1_ ; -- Begin function _ZN7rocprim17ROCPRIM_400000_NS6detail17trampoline_kernelINS0_14default_configENS1_25partition_config_selectorILNS1_17partition_subalgoE9EllbEEZZNS1_14partition_implILS5_9ELb0ES3_jPlS8_PNS0_10empty_typeENS0_5tupleIJS8_S9_EEENSB_IJS8_SA_EEENS0_18inequality_wrapperIZN2at6native12_GLOBAL__N_124unique_dim_cuda_templateIaEESt5tupleIJNSF_6TensorESK_SK_EERKSK_lbbbEUlllE0_EEPmJS9_EEE10hipError_tPvRmT3_T4_T5_T6_T7_T9_mT8_P12ihipStream_tbDpT10_ENKUlT_T0_E_clISt17integral_constantIbLb0EES19_IbLb1EEEEDaS15_S16_EUlS15_E_NS1_11comp_targetILNS1_3genE9ELNS1_11target_archE1100ELNS1_3gpuE3ELNS1_3repE0EEENS1_30default_config_static_selectorELNS0_4arch9wavefront6targetE1EEEvT1_
	.p2align	8
	.type	_ZN7rocprim17ROCPRIM_400000_NS6detail17trampoline_kernelINS0_14default_configENS1_25partition_config_selectorILNS1_17partition_subalgoE9EllbEEZZNS1_14partition_implILS5_9ELb0ES3_jPlS8_PNS0_10empty_typeENS0_5tupleIJS8_S9_EEENSB_IJS8_SA_EEENS0_18inequality_wrapperIZN2at6native12_GLOBAL__N_124unique_dim_cuda_templateIaEESt5tupleIJNSF_6TensorESK_SK_EERKSK_lbbbEUlllE0_EEPmJS9_EEE10hipError_tPvRmT3_T4_T5_T6_T7_T9_mT8_P12ihipStream_tbDpT10_ENKUlT_T0_E_clISt17integral_constantIbLb0EES19_IbLb1EEEEDaS15_S16_EUlS15_E_NS1_11comp_targetILNS1_3genE9ELNS1_11target_archE1100ELNS1_3gpuE3ELNS1_3repE0EEENS1_30default_config_static_selectorELNS0_4arch9wavefront6targetE1EEEvT1_,@function
_ZN7rocprim17ROCPRIM_400000_NS6detail17trampoline_kernelINS0_14default_configENS1_25partition_config_selectorILNS1_17partition_subalgoE9EllbEEZZNS1_14partition_implILS5_9ELb0ES3_jPlS8_PNS0_10empty_typeENS0_5tupleIJS8_S9_EEENSB_IJS8_SA_EEENS0_18inequality_wrapperIZN2at6native12_GLOBAL__N_124unique_dim_cuda_templateIaEESt5tupleIJNSF_6TensorESK_SK_EERKSK_lbbbEUlllE0_EEPmJS9_EEE10hipError_tPvRmT3_T4_T5_T6_T7_T9_mT8_P12ihipStream_tbDpT10_ENKUlT_T0_E_clISt17integral_constantIbLb0EES19_IbLb1EEEEDaS15_S16_EUlS15_E_NS1_11comp_targetILNS1_3genE9ELNS1_11target_archE1100ELNS1_3gpuE3ELNS1_3repE0EEENS1_30default_config_static_selectorELNS0_4arch9wavefront6targetE1EEEvT1_: ; @_ZN7rocprim17ROCPRIM_400000_NS6detail17trampoline_kernelINS0_14default_configENS1_25partition_config_selectorILNS1_17partition_subalgoE9EllbEEZZNS1_14partition_implILS5_9ELb0ES3_jPlS8_PNS0_10empty_typeENS0_5tupleIJS8_S9_EEENSB_IJS8_SA_EEENS0_18inequality_wrapperIZN2at6native12_GLOBAL__N_124unique_dim_cuda_templateIaEESt5tupleIJNSF_6TensorESK_SK_EERKSK_lbbbEUlllE0_EEPmJS9_EEE10hipError_tPvRmT3_T4_T5_T6_T7_T9_mT8_P12ihipStream_tbDpT10_ENKUlT_T0_E_clISt17integral_constantIbLb0EES19_IbLb1EEEEDaS15_S16_EUlS15_E_NS1_11comp_targetILNS1_3genE9ELNS1_11target_archE1100ELNS1_3gpuE3ELNS1_3repE0EEENS1_30default_config_static_selectorELNS0_4arch9wavefront6targetE1EEEvT1_
; %bb.0:
	.section	.rodata,"a",@progbits
	.p2align	6, 0x0
	.amdhsa_kernel _ZN7rocprim17ROCPRIM_400000_NS6detail17trampoline_kernelINS0_14default_configENS1_25partition_config_selectorILNS1_17partition_subalgoE9EllbEEZZNS1_14partition_implILS5_9ELb0ES3_jPlS8_PNS0_10empty_typeENS0_5tupleIJS8_S9_EEENSB_IJS8_SA_EEENS0_18inequality_wrapperIZN2at6native12_GLOBAL__N_124unique_dim_cuda_templateIaEESt5tupleIJNSF_6TensorESK_SK_EERKSK_lbbbEUlllE0_EEPmJS9_EEE10hipError_tPvRmT3_T4_T5_T6_T7_T9_mT8_P12ihipStream_tbDpT10_ENKUlT_T0_E_clISt17integral_constantIbLb0EES19_IbLb1EEEEDaS15_S16_EUlS15_E_NS1_11comp_targetILNS1_3genE9ELNS1_11target_archE1100ELNS1_3gpuE3ELNS1_3repE0EEENS1_30default_config_static_selectorELNS0_4arch9wavefront6targetE1EEEvT1_
		.amdhsa_group_segment_fixed_size 0
		.amdhsa_private_segment_fixed_size 0
		.amdhsa_kernarg_size 136
		.amdhsa_user_sgpr_count 2
		.amdhsa_user_sgpr_dispatch_ptr 0
		.amdhsa_user_sgpr_queue_ptr 0
		.amdhsa_user_sgpr_kernarg_segment_ptr 1
		.amdhsa_user_sgpr_dispatch_id 0
		.amdhsa_user_sgpr_kernarg_preload_length 0
		.amdhsa_user_sgpr_kernarg_preload_offset 0
		.amdhsa_user_sgpr_private_segment_size 0
		.amdhsa_uses_dynamic_stack 0
		.amdhsa_enable_private_segment 0
		.amdhsa_system_sgpr_workgroup_id_x 1
		.amdhsa_system_sgpr_workgroup_id_y 0
		.amdhsa_system_sgpr_workgroup_id_z 0
		.amdhsa_system_sgpr_workgroup_info 0
		.amdhsa_system_vgpr_workitem_id 0
		.amdhsa_next_free_vgpr 1
		.amdhsa_next_free_sgpr 0
		.amdhsa_accum_offset 4
		.amdhsa_reserve_vcc 0
		.amdhsa_float_round_mode_32 0
		.amdhsa_float_round_mode_16_64 0
		.amdhsa_float_denorm_mode_32 3
		.amdhsa_float_denorm_mode_16_64 3
		.amdhsa_dx10_clamp 1
		.amdhsa_ieee_mode 1
		.amdhsa_fp16_overflow 0
		.amdhsa_tg_split 0
		.amdhsa_exception_fp_ieee_invalid_op 0
		.amdhsa_exception_fp_denorm_src 0
		.amdhsa_exception_fp_ieee_div_zero 0
		.amdhsa_exception_fp_ieee_overflow 0
		.amdhsa_exception_fp_ieee_underflow 0
		.amdhsa_exception_fp_ieee_inexact 0
		.amdhsa_exception_int_div_zero 0
	.end_amdhsa_kernel
	.section	.text._ZN7rocprim17ROCPRIM_400000_NS6detail17trampoline_kernelINS0_14default_configENS1_25partition_config_selectorILNS1_17partition_subalgoE9EllbEEZZNS1_14partition_implILS5_9ELb0ES3_jPlS8_PNS0_10empty_typeENS0_5tupleIJS8_S9_EEENSB_IJS8_SA_EEENS0_18inequality_wrapperIZN2at6native12_GLOBAL__N_124unique_dim_cuda_templateIaEESt5tupleIJNSF_6TensorESK_SK_EERKSK_lbbbEUlllE0_EEPmJS9_EEE10hipError_tPvRmT3_T4_T5_T6_T7_T9_mT8_P12ihipStream_tbDpT10_ENKUlT_T0_E_clISt17integral_constantIbLb0EES19_IbLb1EEEEDaS15_S16_EUlS15_E_NS1_11comp_targetILNS1_3genE9ELNS1_11target_archE1100ELNS1_3gpuE3ELNS1_3repE0EEENS1_30default_config_static_selectorELNS0_4arch9wavefront6targetE1EEEvT1_,"axG",@progbits,_ZN7rocprim17ROCPRIM_400000_NS6detail17trampoline_kernelINS0_14default_configENS1_25partition_config_selectorILNS1_17partition_subalgoE9EllbEEZZNS1_14partition_implILS5_9ELb0ES3_jPlS8_PNS0_10empty_typeENS0_5tupleIJS8_S9_EEENSB_IJS8_SA_EEENS0_18inequality_wrapperIZN2at6native12_GLOBAL__N_124unique_dim_cuda_templateIaEESt5tupleIJNSF_6TensorESK_SK_EERKSK_lbbbEUlllE0_EEPmJS9_EEE10hipError_tPvRmT3_T4_T5_T6_T7_T9_mT8_P12ihipStream_tbDpT10_ENKUlT_T0_E_clISt17integral_constantIbLb0EES19_IbLb1EEEEDaS15_S16_EUlS15_E_NS1_11comp_targetILNS1_3genE9ELNS1_11target_archE1100ELNS1_3gpuE3ELNS1_3repE0EEENS1_30default_config_static_selectorELNS0_4arch9wavefront6targetE1EEEvT1_,comdat
.Lfunc_end383:
	.size	_ZN7rocprim17ROCPRIM_400000_NS6detail17trampoline_kernelINS0_14default_configENS1_25partition_config_selectorILNS1_17partition_subalgoE9EllbEEZZNS1_14partition_implILS5_9ELb0ES3_jPlS8_PNS0_10empty_typeENS0_5tupleIJS8_S9_EEENSB_IJS8_SA_EEENS0_18inequality_wrapperIZN2at6native12_GLOBAL__N_124unique_dim_cuda_templateIaEESt5tupleIJNSF_6TensorESK_SK_EERKSK_lbbbEUlllE0_EEPmJS9_EEE10hipError_tPvRmT3_T4_T5_T6_T7_T9_mT8_P12ihipStream_tbDpT10_ENKUlT_T0_E_clISt17integral_constantIbLb0EES19_IbLb1EEEEDaS15_S16_EUlS15_E_NS1_11comp_targetILNS1_3genE9ELNS1_11target_archE1100ELNS1_3gpuE3ELNS1_3repE0EEENS1_30default_config_static_selectorELNS0_4arch9wavefront6targetE1EEEvT1_, .Lfunc_end383-_ZN7rocprim17ROCPRIM_400000_NS6detail17trampoline_kernelINS0_14default_configENS1_25partition_config_selectorILNS1_17partition_subalgoE9EllbEEZZNS1_14partition_implILS5_9ELb0ES3_jPlS8_PNS0_10empty_typeENS0_5tupleIJS8_S9_EEENSB_IJS8_SA_EEENS0_18inequality_wrapperIZN2at6native12_GLOBAL__N_124unique_dim_cuda_templateIaEESt5tupleIJNSF_6TensorESK_SK_EERKSK_lbbbEUlllE0_EEPmJS9_EEE10hipError_tPvRmT3_T4_T5_T6_T7_T9_mT8_P12ihipStream_tbDpT10_ENKUlT_T0_E_clISt17integral_constantIbLb0EES19_IbLb1EEEEDaS15_S16_EUlS15_E_NS1_11comp_targetILNS1_3genE9ELNS1_11target_archE1100ELNS1_3gpuE3ELNS1_3repE0EEENS1_30default_config_static_selectorELNS0_4arch9wavefront6targetE1EEEvT1_
                                        ; -- End function
	.section	.AMDGPU.csdata,"",@progbits
; Kernel info:
; codeLenInByte = 0
; NumSgprs: 6
; NumVgprs: 0
; NumAgprs: 0
; TotalNumVgprs: 0
; ScratchSize: 0
; MemoryBound: 0
; FloatMode: 240
; IeeeMode: 1
; LDSByteSize: 0 bytes/workgroup (compile time only)
; SGPRBlocks: 0
; VGPRBlocks: 0
; NumSGPRsForWavesPerEU: 6
; NumVGPRsForWavesPerEU: 1
; AccumOffset: 4
; Occupancy: 8
; WaveLimiterHint : 0
; COMPUTE_PGM_RSRC2:SCRATCH_EN: 0
; COMPUTE_PGM_RSRC2:USER_SGPR: 2
; COMPUTE_PGM_RSRC2:TRAP_HANDLER: 0
; COMPUTE_PGM_RSRC2:TGID_X_EN: 1
; COMPUTE_PGM_RSRC2:TGID_Y_EN: 0
; COMPUTE_PGM_RSRC2:TGID_Z_EN: 0
; COMPUTE_PGM_RSRC2:TIDIG_COMP_CNT: 0
; COMPUTE_PGM_RSRC3_GFX90A:ACCUM_OFFSET: 0
; COMPUTE_PGM_RSRC3_GFX90A:TG_SPLIT: 0
	.section	.text._ZN7rocprim17ROCPRIM_400000_NS6detail17trampoline_kernelINS0_14default_configENS1_25partition_config_selectorILNS1_17partition_subalgoE9EllbEEZZNS1_14partition_implILS5_9ELb0ES3_jPlS8_PNS0_10empty_typeENS0_5tupleIJS8_S9_EEENSB_IJS8_SA_EEENS0_18inequality_wrapperIZN2at6native12_GLOBAL__N_124unique_dim_cuda_templateIaEESt5tupleIJNSF_6TensorESK_SK_EERKSK_lbbbEUlllE0_EEPmJS9_EEE10hipError_tPvRmT3_T4_T5_T6_T7_T9_mT8_P12ihipStream_tbDpT10_ENKUlT_T0_E_clISt17integral_constantIbLb0EES19_IbLb1EEEEDaS15_S16_EUlS15_E_NS1_11comp_targetILNS1_3genE8ELNS1_11target_archE1030ELNS1_3gpuE2ELNS1_3repE0EEENS1_30default_config_static_selectorELNS0_4arch9wavefront6targetE1EEEvT1_,"axG",@progbits,_ZN7rocprim17ROCPRIM_400000_NS6detail17trampoline_kernelINS0_14default_configENS1_25partition_config_selectorILNS1_17partition_subalgoE9EllbEEZZNS1_14partition_implILS5_9ELb0ES3_jPlS8_PNS0_10empty_typeENS0_5tupleIJS8_S9_EEENSB_IJS8_SA_EEENS0_18inequality_wrapperIZN2at6native12_GLOBAL__N_124unique_dim_cuda_templateIaEESt5tupleIJNSF_6TensorESK_SK_EERKSK_lbbbEUlllE0_EEPmJS9_EEE10hipError_tPvRmT3_T4_T5_T6_T7_T9_mT8_P12ihipStream_tbDpT10_ENKUlT_T0_E_clISt17integral_constantIbLb0EES19_IbLb1EEEEDaS15_S16_EUlS15_E_NS1_11comp_targetILNS1_3genE8ELNS1_11target_archE1030ELNS1_3gpuE2ELNS1_3repE0EEENS1_30default_config_static_selectorELNS0_4arch9wavefront6targetE1EEEvT1_,comdat
	.globl	_ZN7rocprim17ROCPRIM_400000_NS6detail17trampoline_kernelINS0_14default_configENS1_25partition_config_selectorILNS1_17partition_subalgoE9EllbEEZZNS1_14partition_implILS5_9ELb0ES3_jPlS8_PNS0_10empty_typeENS0_5tupleIJS8_S9_EEENSB_IJS8_SA_EEENS0_18inequality_wrapperIZN2at6native12_GLOBAL__N_124unique_dim_cuda_templateIaEESt5tupleIJNSF_6TensorESK_SK_EERKSK_lbbbEUlllE0_EEPmJS9_EEE10hipError_tPvRmT3_T4_T5_T6_T7_T9_mT8_P12ihipStream_tbDpT10_ENKUlT_T0_E_clISt17integral_constantIbLb0EES19_IbLb1EEEEDaS15_S16_EUlS15_E_NS1_11comp_targetILNS1_3genE8ELNS1_11target_archE1030ELNS1_3gpuE2ELNS1_3repE0EEENS1_30default_config_static_selectorELNS0_4arch9wavefront6targetE1EEEvT1_ ; -- Begin function _ZN7rocprim17ROCPRIM_400000_NS6detail17trampoline_kernelINS0_14default_configENS1_25partition_config_selectorILNS1_17partition_subalgoE9EllbEEZZNS1_14partition_implILS5_9ELb0ES3_jPlS8_PNS0_10empty_typeENS0_5tupleIJS8_S9_EEENSB_IJS8_SA_EEENS0_18inequality_wrapperIZN2at6native12_GLOBAL__N_124unique_dim_cuda_templateIaEESt5tupleIJNSF_6TensorESK_SK_EERKSK_lbbbEUlllE0_EEPmJS9_EEE10hipError_tPvRmT3_T4_T5_T6_T7_T9_mT8_P12ihipStream_tbDpT10_ENKUlT_T0_E_clISt17integral_constantIbLb0EES19_IbLb1EEEEDaS15_S16_EUlS15_E_NS1_11comp_targetILNS1_3genE8ELNS1_11target_archE1030ELNS1_3gpuE2ELNS1_3repE0EEENS1_30default_config_static_selectorELNS0_4arch9wavefront6targetE1EEEvT1_
	.p2align	8
	.type	_ZN7rocprim17ROCPRIM_400000_NS6detail17trampoline_kernelINS0_14default_configENS1_25partition_config_selectorILNS1_17partition_subalgoE9EllbEEZZNS1_14partition_implILS5_9ELb0ES3_jPlS8_PNS0_10empty_typeENS0_5tupleIJS8_S9_EEENSB_IJS8_SA_EEENS0_18inequality_wrapperIZN2at6native12_GLOBAL__N_124unique_dim_cuda_templateIaEESt5tupleIJNSF_6TensorESK_SK_EERKSK_lbbbEUlllE0_EEPmJS9_EEE10hipError_tPvRmT3_T4_T5_T6_T7_T9_mT8_P12ihipStream_tbDpT10_ENKUlT_T0_E_clISt17integral_constantIbLb0EES19_IbLb1EEEEDaS15_S16_EUlS15_E_NS1_11comp_targetILNS1_3genE8ELNS1_11target_archE1030ELNS1_3gpuE2ELNS1_3repE0EEENS1_30default_config_static_selectorELNS0_4arch9wavefront6targetE1EEEvT1_,@function
_ZN7rocprim17ROCPRIM_400000_NS6detail17trampoline_kernelINS0_14default_configENS1_25partition_config_selectorILNS1_17partition_subalgoE9EllbEEZZNS1_14partition_implILS5_9ELb0ES3_jPlS8_PNS0_10empty_typeENS0_5tupleIJS8_S9_EEENSB_IJS8_SA_EEENS0_18inequality_wrapperIZN2at6native12_GLOBAL__N_124unique_dim_cuda_templateIaEESt5tupleIJNSF_6TensorESK_SK_EERKSK_lbbbEUlllE0_EEPmJS9_EEE10hipError_tPvRmT3_T4_T5_T6_T7_T9_mT8_P12ihipStream_tbDpT10_ENKUlT_T0_E_clISt17integral_constantIbLb0EES19_IbLb1EEEEDaS15_S16_EUlS15_E_NS1_11comp_targetILNS1_3genE8ELNS1_11target_archE1030ELNS1_3gpuE2ELNS1_3repE0EEENS1_30default_config_static_selectorELNS0_4arch9wavefront6targetE1EEEvT1_: ; @_ZN7rocprim17ROCPRIM_400000_NS6detail17trampoline_kernelINS0_14default_configENS1_25partition_config_selectorILNS1_17partition_subalgoE9EllbEEZZNS1_14partition_implILS5_9ELb0ES3_jPlS8_PNS0_10empty_typeENS0_5tupleIJS8_S9_EEENSB_IJS8_SA_EEENS0_18inequality_wrapperIZN2at6native12_GLOBAL__N_124unique_dim_cuda_templateIaEESt5tupleIJNSF_6TensorESK_SK_EERKSK_lbbbEUlllE0_EEPmJS9_EEE10hipError_tPvRmT3_T4_T5_T6_T7_T9_mT8_P12ihipStream_tbDpT10_ENKUlT_T0_E_clISt17integral_constantIbLb0EES19_IbLb1EEEEDaS15_S16_EUlS15_E_NS1_11comp_targetILNS1_3genE8ELNS1_11target_archE1030ELNS1_3gpuE2ELNS1_3repE0EEENS1_30default_config_static_selectorELNS0_4arch9wavefront6targetE1EEEvT1_
; %bb.0:
	.section	.rodata,"a",@progbits
	.p2align	6, 0x0
	.amdhsa_kernel _ZN7rocprim17ROCPRIM_400000_NS6detail17trampoline_kernelINS0_14default_configENS1_25partition_config_selectorILNS1_17partition_subalgoE9EllbEEZZNS1_14partition_implILS5_9ELb0ES3_jPlS8_PNS0_10empty_typeENS0_5tupleIJS8_S9_EEENSB_IJS8_SA_EEENS0_18inequality_wrapperIZN2at6native12_GLOBAL__N_124unique_dim_cuda_templateIaEESt5tupleIJNSF_6TensorESK_SK_EERKSK_lbbbEUlllE0_EEPmJS9_EEE10hipError_tPvRmT3_T4_T5_T6_T7_T9_mT8_P12ihipStream_tbDpT10_ENKUlT_T0_E_clISt17integral_constantIbLb0EES19_IbLb1EEEEDaS15_S16_EUlS15_E_NS1_11comp_targetILNS1_3genE8ELNS1_11target_archE1030ELNS1_3gpuE2ELNS1_3repE0EEENS1_30default_config_static_selectorELNS0_4arch9wavefront6targetE1EEEvT1_
		.amdhsa_group_segment_fixed_size 0
		.amdhsa_private_segment_fixed_size 0
		.amdhsa_kernarg_size 136
		.amdhsa_user_sgpr_count 2
		.amdhsa_user_sgpr_dispatch_ptr 0
		.amdhsa_user_sgpr_queue_ptr 0
		.amdhsa_user_sgpr_kernarg_segment_ptr 1
		.amdhsa_user_sgpr_dispatch_id 0
		.amdhsa_user_sgpr_kernarg_preload_length 0
		.amdhsa_user_sgpr_kernarg_preload_offset 0
		.amdhsa_user_sgpr_private_segment_size 0
		.amdhsa_uses_dynamic_stack 0
		.amdhsa_enable_private_segment 0
		.amdhsa_system_sgpr_workgroup_id_x 1
		.amdhsa_system_sgpr_workgroup_id_y 0
		.amdhsa_system_sgpr_workgroup_id_z 0
		.amdhsa_system_sgpr_workgroup_info 0
		.amdhsa_system_vgpr_workitem_id 0
		.amdhsa_next_free_vgpr 1
		.amdhsa_next_free_sgpr 0
		.amdhsa_accum_offset 4
		.amdhsa_reserve_vcc 0
		.amdhsa_float_round_mode_32 0
		.amdhsa_float_round_mode_16_64 0
		.amdhsa_float_denorm_mode_32 3
		.amdhsa_float_denorm_mode_16_64 3
		.amdhsa_dx10_clamp 1
		.amdhsa_ieee_mode 1
		.amdhsa_fp16_overflow 0
		.amdhsa_tg_split 0
		.amdhsa_exception_fp_ieee_invalid_op 0
		.amdhsa_exception_fp_denorm_src 0
		.amdhsa_exception_fp_ieee_div_zero 0
		.amdhsa_exception_fp_ieee_overflow 0
		.amdhsa_exception_fp_ieee_underflow 0
		.amdhsa_exception_fp_ieee_inexact 0
		.amdhsa_exception_int_div_zero 0
	.end_amdhsa_kernel
	.section	.text._ZN7rocprim17ROCPRIM_400000_NS6detail17trampoline_kernelINS0_14default_configENS1_25partition_config_selectorILNS1_17partition_subalgoE9EllbEEZZNS1_14partition_implILS5_9ELb0ES3_jPlS8_PNS0_10empty_typeENS0_5tupleIJS8_S9_EEENSB_IJS8_SA_EEENS0_18inequality_wrapperIZN2at6native12_GLOBAL__N_124unique_dim_cuda_templateIaEESt5tupleIJNSF_6TensorESK_SK_EERKSK_lbbbEUlllE0_EEPmJS9_EEE10hipError_tPvRmT3_T4_T5_T6_T7_T9_mT8_P12ihipStream_tbDpT10_ENKUlT_T0_E_clISt17integral_constantIbLb0EES19_IbLb1EEEEDaS15_S16_EUlS15_E_NS1_11comp_targetILNS1_3genE8ELNS1_11target_archE1030ELNS1_3gpuE2ELNS1_3repE0EEENS1_30default_config_static_selectorELNS0_4arch9wavefront6targetE1EEEvT1_,"axG",@progbits,_ZN7rocprim17ROCPRIM_400000_NS6detail17trampoline_kernelINS0_14default_configENS1_25partition_config_selectorILNS1_17partition_subalgoE9EllbEEZZNS1_14partition_implILS5_9ELb0ES3_jPlS8_PNS0_10empty_typeENS0_5tupleIJS8_S9_EEENSB_IJS8_SA_EEENS0_18inequality_wrapperIZN2at6native12_GLOBAL__N_124unique_dim_cuda_templateIaEESt5tupleIJNSF_6TensorESK_SK_EERKSK_lbbbEUlllE0_EEPmJS9_EEE10hipError_tPvRmT3_T4_T5_T6_T7_T9_mT8_P12ihipStream_tbDpT10_ENKUlT_T0_E_clISt17integral_constantIbLb0EES19_IbLb1EEEEDaS15_S16_EUlS15_E_NS1_11comp_targetILNS1_3genE8ELNS1_11target_archE1030ELNS1_3gpuE2ELNS1_3repE0EEENS1_30default_config_static_selectorELNS0_4arch9wavefront6targetE1EEEvT1_,comdat
.Lfunc_end384:
	.size	_ZN7rocprim17ROCPRIM_400000_NS6detail17trampoline_kernelINS0_14default_configENS1_25partition_config_selectorILNS1_17partition_subalgoE9EllbEEZZNS1_14partition_implILS5_9ELb0ES3_jPlS8_PNS0_10empty_typeENS0_5tupleIJS8_S9_EEENSB_IJS8_SA_EEENS0_18inequality_wrapperIZN2at6native12_GLOBAL__N_124unique_dim_cuda_templateIaEESt5tupleIJNSF_6TensorESK_SK_EERKSK_lbbbEUlllE0_EEPmJS9_EEE10hipError_tPvRmT3_T4_T5_T6_T7_T9_mT8_P12ihipStream_tbDpT10_ENKUlT_T0_E_clISt17integral_constantIbLb0EES19_IbLb1EEEEDaS15_S16_EUlS15_E_NS1_11comp_targetILNS1_3genE8ELNS1_11target_archE1030ELNS1_3gpuE2ELNS1_3repE0EEENS1_30default_config_static_selectorELNS0_4arch9wavefront6targetE1EEEvT1_, .Lfunc_end384-_ZN7rocprim17ROCPRIM_400000_NS6detail17trampoline_kernelINS0_14default_configENS1_25partition_config_selectorILNS1_17partition_subalgoE9EllbEEZZNS1_14partition_implILS5_9ELb0ES3_jPlS8_PNS0_10empty_typeENS0_5tupleIJS8_S9_EEENSB_IJS8_SA_EEENS0_18inequality_wrapperIZN2at6native12_GLOBAL__N_124unique_dim_cuda_templateIaEESt5tupleIJNSF_6TensorESK_SK_EERKSK_lbbbEUlllE0_EEPmJS9_EEE10hipError_tPvRmT3_T4_T5_T6_T7_T9_mT8_P12ihipStream_tbDpT10_ENKUlT_T0_E_clISt17integral_constantIbLb0EES19_IbLb1EEEEDaS15_S16_EUlS15_E_NS1_11comp_targetILNS1_3genE8ELNS1_11target_archE1030ELNS1_3gpuE2ELNS1_3repE0EEENS1_30default_config_static_selectorELNS0_4arch9wavefront6targetE1EEEvT1_
                                        ; -- End function
	.section	.AMDGPU.csdata,"",@progbits
; Kernel info:
; codeLenInByte = 0
; NumSgprs: 6
; NumVgprs: 0
; NumAgprs: 0
; TotalNumVgprs: 0
; ScratchSize: 0
; MemoryBound: 0
; FloatMode: 240
; IeeeMode: 1
; LDSByteSize: 0 bytes/workgroup (compile time only)
; SGPRBlocks: 0
; VGPRBlocks: 0
; NumSGPRsForWavesPerEU: 6
; NumVGPRsForWavesPerEU: 1
; AccumOffset: 4
; Occupancy: 8
; WaveLimiterHint : 0
; COMPUTE_PGM_RSRC2:SCRATCH_EN: 0
; COMPUTE_PGM_RSRC2:USER_SGPR: 2
; COMPUTE_PGM_RSRC2:TRAP_HANDLER: 0
; COMPUTE_PGM_RSRC2:TGID_X_EN: 1
; COMPUTE_PGM_RSRC2:TGID_Y_EN: 0
; COMPUTE_PGM_RSRC2:TGID_Z_EN: 0
; COMPUTE_PGM_RSRC2:TIDIG_COMP_CNT: 0
; COMPUTE_PGM_RSRC3_GFX90A:ACCUM_OFFSET: 0
; COMPUTE_PGM_RSRC3_GFX90A:TG_SPLIT: 0
	.section	.text._ZN7rocprim17ROCPRIM_400000_NS6detail17trampoline_kernelINS0_14default_configENS1_37merge_sort_block_sort_config_selectorIlNS0_10empty_typeEEEZNS1_21merge_sort_block_sortIS3_PlS8_PS5_S9_ZN2at6native12_GLOBAL__N_124unique_dim_cuda_templateIiEESt5tupleIJNSA_6TensorESF_SF_EERKSF_lbbbEUlllE_EE10hipError_tT0_T1_T2_T3_mRjT4_P12ihipStream_tbNS1_7vsmem_tEEUlT_E_NS1_11comp_targetILNS1_3genE0ELNS1_11target_archE4294967295ELNS1_3gpuE0ELNS1_3repE0EEENS1_30default_config_static_selectorELNS0_4arch9wavefront6targetE1EEEvSM_,"axG",@progbits,_ZN7rocprim17ROCPRIM_400000_NS6detail17trampoline_kernelINS0_14default_configENS1_37merge_sort_block_sort_config_selectorIlNS0_10empty_typeEEEZNS1_21merge_sort_block_sortIS3_PlS8_PS5_S9_ZN2at6native12_GLOBAL__N_124unique_dim_cuda_templateIiEESt5tupleIJNSA_6TensorESF_SF_EERKSF_lbbbEUlllE_EE10hipError_tT0_T1_T2_T3_mRjT4_P12ihipStream_tbNS1_7vsmem_tEEUlT_E_NS1_11comp_targetILNS1_3genE0ELNS1_11target_archE4294967295ELNS1_3gpuE0ELNS1_3repE0EEENS1_30default_config_static_selectorELNS0_4arch9wavefront6targetE1EEEvSM_,comdat
	.globl	_ZN7rocprim17ROCPRIM_400000_NS6detail17trampoline_kernelINS0_14default_configENS1_37merge_sort_block_sort_config_selectorIlNS0_10empty_typeEEEZNS1_21merge_sort_block_sortIS3_PlS8_PS5_S9_ZN2at6native12_GLOBAL__N_124unique_dim_cuda_templateIiEESt5tupleIJNSA_6TensorESF_SF_EERKSF_lbbbEUlllE_EE10hipError_tT0_T1_T2_T3_mRjT4_P12ihipStream_tbNS1_7vsmem_tEEUlT_E_NS1_11comp_targetILNS1_3genE0ELNS1_11target_archE4294967295ELNS1_3gpuE0ELNS1_3repE0EEENS1_30default_config_static_selectorELNS0_4arch9wavefront6targetE1EEEvSM_ ; -- Begin function _ZN7rocprim17ROCPRIM_400000_NS6detail17trampoline_kernelINS0_14default_configENS1_37merge_sort_block_sort_config_selectorIlNS0_10empty_typeEEEZNS1_21merge_sort_block_sortIS3_PlS8_PS5_S9_ZN2at6native12_GLOBAL__N_124unique_dim_cuda_templateIiEESt5tupleIJNSA_6TensorESF_SF_EERKSF_lbbbEUlllE_EE10hipError_tT0_T1_T2_T3_mRjT4_P12ihipStream_tbNS1_7vsmem_tEEUlT_E_NS1_11comp_targetILNS1_3genE0ELNS1_11target_archE4294967295ELNS1_3gpuE0ELNS1_3repE0EEENS1_30default_config_static_selectorELNS0_4arch9wavefront6targetE1EEEvSM_
	.p2align	8
	.type	_ZN7rocprim17ROCPRIM_400000_NS6detail17trampoline_kernelINS0_14default_configENS1_37merge_sort_block_sort_config_selectorIlNS0_10empty_typeEEEZNS1_21merge_sort_block_sortIS3_PlS8_PS5_S9_ZN2at6native12_GLOBAL__N_124unique_dim_cuda_templateIiEESt5tupleIJNSA_6TensorESF_SF_EERKSF_lbbbEUlllE_EE10hipError_tT0_T1_T2_T3_mRjT4_P12ihipStream_tbNS1_7vsmem_tEEUlT_E_NS1_11comp_targetILNS1_3genE0ELNS1_11target_archE4294967295ELNS1_3gpuE0ELNS1_3repE0EEENS1_30default_config_static_selectorELNS0_4arch9wavefront6targetE1EEEvSM_,@function
_ZN7rocprim17ROCPRIM_400000_NS6detail17trampoline_kernelINS0_14default_configENS1_37merge_sort_block_sort_config_selectorIlNS0_10empty_typeEEEZNS1_21merge_sort_block_sortIS3_PlS8_PS5_S9_ZN2at6native12_GLOBAL__N_124unique_dim_cuda_templateIiEESt5tupleIJNSA_6TensorESF_SF_EERKSF_lbbbEUlllE_EE10hipError_tT0_T1_T2_T3_mRjT4_P12ihipStream_tbNS1_7vsmem_tEEUlT_E_NS1_11comp_targetILNS1_3genE0ELNS1_11target_archE4294967295ELNS1_3gpuE0ELNS1_3repE0EEENS1_30default_config_static_selectorELNS0_4arch9wavefront6targetE1EEEvSM_: ; @_ZN7rocprim17ROCPRIM_400000_NS6detail17trampoline_kernelINS0_14default_configENS1_37merge_sort_block_sort_config_selectorIlNS0_10empty_typeEEEZNS1_21merge_sort_block_sortIS3_PlS8_PS5_S9_ZN2at6native12_GLOBAL__N_124unique_dim_cuda_templateIiEESt5tupleIJNSA_6TensorESF_SF_EERKSF_lbbbEUlllE_EE10hipError_tT0_T1_T2_T3_mRjT4_P12ihipStream_tbNS1_7vsmem_tEEUlT_E_NS1_11comp_targetILNS1_3genE0ELNS1_11target_archE4294967295ELNS1_3gpuE0ELNS1_3repE0EEENS1_30default_config_static_selectorELNS0_4arch9wavefront6targetE1EEEvSM_
; %bb.0:
	.section	.rodata,"a",@progbits
	.p2align	6, 0x0
	.amdhsa_kernel _ZN7rocprim17ROCPRIM_400000_NS6detail17trampoline_kernelINS0_14default_configENS1_37merge_sort_block_sort_config_selectorIlNS0_10empty_typeEEEZNS1_21merge_sort_block_sortIS3_PlS8_PS5_S9_ZN2at6native12_GLOBAL__N_124unique_dim_cuda_templateIiEESt5tupleIJNSA_6TensorESF_SF_EERKSF_lbbbEUlllE_EE10hipError_tT0_T1_T2_T3_mRjT4_P12ihipStream_tbNS1_7vsmem_tEEUlT_E_NS1_11comp_targetILNS1_3genE0ELNS1_11target_archE4294967295ELNS1_3gpuE0ELNS1_3repE0EEENS1_30default_config_static_selectorELNS0_4arch9wavefront6targetE1EEEvSM_
		.amdhsa_group_segment_fixed_size 0
		.amdhsa_private_segment_fixed_size 0
		.amdhsa_kernarg_size 72
		.amdhsa_user_sgpr_count 2
		.amdhsa_user_sgpr_dispatch_ptr 0
		.amdhsa_user_sgpr_queue_ptr 0
		.amdhsa_user_sgpr_kernarg_segment_ptr 1
		.amdhsa_user_sgpr_dispatch_id 0
		.amdhsa_user_sgpr_kernarg_preload_length 0
		.amdhsa_user_sgpr_kernarg_preload_offset 0
		.amdhsa_user_sgpr_private_segment_size 0
		.amdhsa_uses_dynamic_stack 0
		.amdhsa_enable_private_segment 0
		.amdhsa_system_sgpr_workgroup_id_x 1
		.amdhsa_system_sgpr_workgroup_id_y 0
		.amdhsa_system_sgpr_workgroup_id_z 0
		.amdhsa_system_sgpr_workgroup_info 0
		.amdhsa_system_vgpr_workitem_id 0
		.amdhsa_next_free_vgpr 1
		.amdhsa_next_free_sgpr 0
		.amdhsa_accum_offset 4
		.amdhsa_reserve_vcc 0
		.amdhsa_float_round_mode_32 0
		.amdhsa_float_round_mode_16_64 0
		.amdhsa_float_denorm_mode_32 3
		.amdhsa_float_denorm_mode_16_64 3
		.amdhsa_dx10_clamp 1
		.amdhsa_ieee_mode 1
		.amdhsa_fp16_overflow 0
		.amdhsa_tg_split 0
		.amdhsa_exception_fp_ieee_invalid_op 0
		.amdhsa_exception_fp_denorm_src 0
		.amdhsa_exception_fp_ieee_div_zero 0
		.amdhsa_exception_fp_ieee_overflow 0
		.amdhsa_exception_fp_ieee_underflow 0
		.amdhsa_exception_fp_ieee_inexact 0
		.amdhsa_exception_int_div_zero 0
	.end_amdhsa_kernel
	.section	.text._ZN7rocprim17ROCPRIM_400000_NS6detail17trampoline_kernelINS0_14default_configENS1_37merge_sort_block_sort_config_selectorIlNS0_10empty_typeEEEZNS1_21merge_sort_block_sortIS3_PlS8_PS5_S9_ZN2at6native12_GLOBAL__N_124unique_dim_cuda_templateIiEESt5tupleIJNSA_6TensorESF_SF_EERKSF_lbbbEUlllE_EE10hipError_tT0_T1_T2_T3_mRjT4_P12ihipStream_tbNS1_7vsmem_tEEUlT_E_NS1_11comp_targetILNS1_3genE0ELNS1_11target_archE4294967295ELNS1_3gpuE0ELNS1_3repE0EEENS1_30default_config_static_selectorELNS0_4arch9wavefront6targetE1EEEvSM_,"axG",@progbits,_ZN7rocprim17ROCPRIM_400000_NS6detail17trampoline_kernelINS0_14default_configENS1_37merge_sort_block_sort_config_selectorIlNS0_10empty_typeEEEZNS1_21merge_sort_block_sortIS3_PlS8_PS5_S9_ZN2at6native12_GLOBAL__N_124unique_dim_cuda_templateIiEESt5tupleIJNSA_6TensorESF_SF_EERKSF_lbbbEUlllE_EE10hipError_tT0_T1_T2_T3_mRjT4_P12ihipStream_tbNS1_7vsmem_tEEUlT_E_NS1_11comp_targetILNS1_3genE0ELNS1_11target_archE4294967295ELNS1_3gpuE0ELNS1_3repE0EEENS1_30default_config_static_selectorELNS0_4arch9wavefront6targetE1EEEvSM_,comdat
.Lfunc_end385:
	.size	_ZN7rocprim17ROCPRIM_400000_NS6detail17trampoline_kernelINS0_14default_configENS1_37merge_sort_block_sort_config_selectorIlNS0_10empty_typeEEEZNS1_21merge_sort_block_sortIS3_PlS8_PS5_S9_ZN2at6native12_GLOBAL__N_124unique_dim_cuda_templateIiEESt5tupleIJNSA_6TensorESF_SF_EERKSF_lbbbEUlllE_EE10hipError_tT0_T1_T2_T3_mRjT4_P12ihipStream_tbNS1_7vsmem_tEEUlT_E_NS1_11comp_targetILNS1_3genE0ELNS1_11target_archE4294967295ELNS1_3gpuE0ELNS1_3repE0EEENS1_30default_config_static_selectorELNS0_4arch9wavefront6targetE1EEEvSM_, .Lfunc_end385-_ZN7rocprim17ROCPRIM_400000_NS6detail17trampoline_kernelINS0_14default_configENS1_37merge_sort_block_sort_config_selectorIlNS0_10empty_typeEEEZNS1_21merge_sort_block_sortIS3_PlS8_PS5_S9_ZN2at6native12_GLOBAL__N_124unique_dim_cuda_templateIiEESt5tupleIJNSA_6TensorESF_SF_EERKSF_lbbbEUlllE_EE10hipError_tT0_T1_T2_T3_mRjT4_P12ihipStream_tbNS1_7vsmem_tEEUlT_E_NS1_11comp_targetILNS1_3genE0ELNS1_11target_archE4294967295ELNS1_3gpuE0ELNS1_3repE0EEENS1_30default_config_static_selectorELNS0_4arch9wavefront6targetE1EEEvSM_
                                        ; -- End function
	.section	.AMDGPU.csdata,"",@progbits
; Kernel info:
; codeLenInByte = 0
; NumSgprs: 6
; NumVgprs: 0
; NumAgprs: 0
; TotalNumVgprs: 0
; ScratchSize: 0
; MemoryBound: 0
; FloatMode: 240
; IeeeMode: 1
; LDSByteSize: 0 bytes/workgroup (compile time only)
; SGPRBlocks: 0
; VGPRBlocks: 0
; NumSGPRsForWavesPerEU: 6
; NumVGPRsForWavesPerEU: 1
; AccumOffset: 4
; Occupancy: 8
; WaveLimiterHint : 0
; COMPUTE_PGM_RSRC2:SCRATCH_EN: 0
; COMPUTE_PGM_RSRC2:USER_SGPR: 2
; COMPUTE_PGM_RSRC2:TRAP_HANDLER: 0
; COMPUTE_PGM_RSRC2:TGID_X_EN: 1
; COMPUTE_PGM_RSRC2:TGID_Y_EN: 0
; COMPUTE_PGM_RSRC2:TGID_Z_EN: 0
; COMPUTE_PGM_RSRC2:TIDIG_COMP_CNT: 0
; COMPUTE_PGM_RSRC3_GFX90A:ACCUM_OFFSET: 0
; COMPUTE_PGM_RSRC3_GFX90A:TG_SPLIT: 0
	.text
	.p2align	2                               ; -- Begin function _ZN7rocprim17ROCPRIM_400000_NS6detail15block_sort_implIlNS0_10empty_typeELj256ELj8ELNS0_4arch9wavefront6targetE1EvE4sortIPlS9_PS3_SA_ZN2at6native12_GLOBAL__N_124unique_dim_cuda_templateIiEESt5tupleIJNSB_6TensorESG_SG_EERKSG_lbbbEUlllE_EEvjbT_T0_T1_T2_T3_RNS7_12storage_typeE
	.type	_ZN7rocprim17ROCPRIM_400000_NS6detail15block_sort_implIlNS0_10empty_typeELj256ELj8ELNS0_4arch9wavefront6targetE1EvE4sortIPlS9_PS3_SA_ZN2at6native12_GLOBAL__N_124unique_dim_cuda_templateIiEESt5tupleIJNSB_6TensorESG_SG_EERKSG_lbbbEUlllE_EEvjbT_T0_T1_T2_T3_RNS7_12storage_typeE,@function
_ZN7rocprim17ROCPRIM_400000_NS6detail15block_sort_implIlNS0_10empty_typeELj256ELj8ELNS0_4arch9wavefront6targetE1EvE4sortIPlS9_PS3_SA_ZN2at6native12_GLOBAL__N_124unique_dim_cuda_templateIiEESt5tupleIJNSB_6TensorESG_SG_EERKSG_lbbbEUlllE_EEvjbT_T0_T1_T2_T3_RNS7_12storage_typeE: ; @_ZN7rocprim17ROCPRIM_400000_NS6detail15block_sort_implIlNS0_10empty_typeELj256ELj8ELNS0_4arch9wavefront6targetE1EvE4sortIPlS9_PS3_SA_ZN2at6native12_GLOBAL__N_124unique_dim_cuda_templateIiEESt5tupleIJNSB_6TensorESG_SG_EERKSG_lbbbEUlllE_EEvjbT_T0_T1_T2_T3_RNS7_12storage_typeE
; %bb.0:
	s_waitcnt vmcnt(0) expcnt(0) lgkmcnt(0)
	s_or_saveexec_b64 s[0:1], -1
	scratch_store_dword off, v40, s32       ; 4-byte Folded Spill
	s_mov_b64 exec, s[0:1]
	v_writelane_b32 v40, s34, 0
	v_writelane_b32 v40, s35, 1
	;; [unrolled: 1-line block ×36, first 2 shown]
	s_nop 1
	v_writelane_b32 v40, s31, 36
	v_and_b32_e32 v1, 1, v1
	v_cmp_eq_u32_e32 vcc, 1, v1
	v_and_b32_e32 v28, 0x3ff, v31
	s_xor_b64 s[0:1], vcc, -1
	s_mov_b64 s[38:39], 0
	v_bfe_u32 v64, v31, 10, 10
	v_bfe_u32 v65, v31, 20, 10
	v_lshlrev_b32_e32 v30, 3, v28
	v_lshrrev_b32_e32 v32, 5, v28
	v_lshrrev_b32_e32 v1, 2, v28
                                        ; implicit-def: $vgpr12_vgpr13
	s_and_saveexec_b64 s[2:3], s[0:1]
	s_xor_b64 s[6:7], exec, s[2:3]
	s_cbranch_execnz .LBB386_5
; %bb.1:
	s_andn2_saveexec_b64 s[40:41], s[6:7]
	s_cbranch_execnz .LBB386_705
.LBB386_2:
	s_or_b64 exec, exec, s[40:41]
	s_and_saveexec_b64 s[0:1], s[38:39]
	s_cbranch_execz .LBB386_4
.LBB386_3:
	s_waitcnt vmcnt(0) lgkmcnt(0)
	v_lshl_add_u64 v[0:1], v[28:29], 3, v[4:5]
	v_add_co_u32_e32 v0, vcc, 0x3000, v0
	s_nop 1
	v_addc_co_u32_e32 v1, vcc, 0, v1, vcc
	flat_store_dwordx2 v[0:1], v[12:13] offset:2048
.LBB386_4:
	s_or_b64 exec, exec, s[0:1]
	v_readlane_b32 s30, v40, 35
	v_readlane_b32 s31, v40, 36
	;; [unrolled: 1-line block ×37, first 2 shown]
	s_or_saveexec_b64 s[0:1], -1
	scratch_load_dword v40, off, s32        ; 4-byte Folded Reload
	s_mov_b64 exec, s[0:1]
	s_waitcnt vmcnt(0) lgkmcnt(0)
	s_setpc_b64 s[30:31]
.LBB386_5:
	v_mov_b32_e32 v29, 0
	v_mov_b32_e32 v31, v29
	v_lshl_add_u64 v[2:3], v[2:3], 0, v[30:31]
	v_add_co_u32_e32 v12, vcc, 0x1000, v2
	v_add_u32_e32 v26, 0x200, v28
	s_nop 0
	v_addc_co_u32_e32 v13, vcc, 0, v3, vcc
	flat_load_dwordx2 v[14:15], v[2:3]
	flat_load_dwordx2 v[16:17], v[2:3] offset:2048
	flat_load_dwordx2 v[18:19], v[12:13]
	flat_load_dwordx2 v[20:21], v[12:13] offset:2048
	v_add_co_u32_e32 v12, vcc, 0x2000, v2
	v_add_u32_e32 v27, 0x300, v28
	s_nop 0
	v_addc_co_u32_e32 v13, vcc, 0, v3, vcc
	v_add_co_u32_e32 v2, vcc, 0x3000, v2
	v_or_b32_e32 v31, 0x400, v28
	s_nop 0
	v_addc_co_u32_e32 v3, vcc, 0, v3, vcc
	flat_load_dwordx2 v[22:23], v[12:13]
	flat_load_dwordx2 v[54:55], v[12:13] offset:2048
	flat_load_dwordx2 v[66:67], v[2:3]
	flat_load_dwordx2 v[68:69], v[2:3] offset:2048
	v_add_u32_e32 v3, 0x100, v28
	v_add_u32_e32 v34, 0x500, v28
	;; [unrolled: 1-line block ×4, first 2 shown]
	v_add_lshl_u32 v0, v32, v28, 3
	v_add_lshl_u32 v2, v1, v30, 3
	v_mov_b32_e32 v1, v29
	v_lshrrev_b32_e32 v12, 5, v3
	v_lshrrev_b32_e32 v32, 5, v26
	;; [unrolled: 1-line block ×7, first 2 shown]
	v_mov_b32_e32 v3, v29
	v_mov_b32_e32 v13, v29
	;; [unrolled: 1-line block ×8, first 2 shown]
	v_lshl_add_u64 v[24:25], v[10:11], 0, v[0:1]
	v_add_lshl_u32 v12, v12, v28, 3
	v_add_lshl_u32 v32, v32, v26, 3
	;; [unrolled: 1-line block ×7, first 2 shown]
	v_lshl_add_u64 v[52:53], v[10:11], 0, v[2:3]
	v_lshl_add_u64 v[26:27], v[10:11], 0, v[12:13]
	;; [unrolled: 1-line block ×8, first 2 shown]
	v_cmp_lt_i64_e32 vcc, 0, v[6:7]
	s_waitcnt vmcnt(0) lgkmcnt(0)
	flat_store_dwordx2 v[24:25], v[14:15]
	flat_store_dwordx2 v[26:27], v[16:17] offset:2048
	flat_store_dwordx2 v[34:35], v[18:19]
	flat_store_dwordx2 v[32:33], v[20:21]
	;; [unrolled: 1-line block ×6, first 2 shown]
	s_waitcnt lgkmcnt(0)
	s_barrier
	flat_load_dwordx4 v[20:23], v[52:53]
	flat_load_dwordx4 v[16:19], v[52:53] offset:16
	flat_load_dwordx4 v[12:15], v[52:53] offset:32
	;; [unrolled: 1-line block ×3, first 2 shown]
	s_waitcnt lgkmcnt(0)
	s_barrier
	s_load_dwordx2 s[0:1], s[8:9], 0x0
	s_waitcnt lgkmcnt(0)
	s_cmp_lt_u32 s12, s0
	s_cselect_b32 s2, 12, 18
	s_cmp_lt_u32 s13, s1
	s_cselect_b32 s0, 14, 20
	s_add_u32 s0, s8, s0
	s_addc_u32 s1, s9, 0
	s_add_u32 s2, s8, s2
	s_addc_u32 s3, s9, 0
	global_load_ushort v31, v29, s[0:1]
	global_load_ushort v54, v29, s[2:3]
	s_movk_i32 s0, 0x800
	s_waitcnt vmcnt(0)
	v_mad_u32_u24 v31, v65, v31, v64
	v_mul_lo_u32 v31, v31, v54
	v_add_lshl_u32 v31, v31, v28, 3
	v_cmp_gt_u32_e64 s[0:1], s0, v31
	s_and_saveexec_b64 s[10:11], s[0:1]
	s_cbranch_execz .LBB386_231
; %bb.6:
	s_and_saveexec_b64 s[14:15], vcc
	s_cbranch_execnz .LBB386_34
; %bb.7:
	s_or_b64 exec, exec, s[14:15]
	s_and_saveexec_b64 s[14:15], vcc
	s_cbranch_execnz .LBB386_41
.LBB386_8:
	s_or_b64 exec, exec, s[14:15]
	s_and_saveexec_b64 s[14:15], vcc
	s_cbranch_execnz .LBB386_48
.LBB386_9:
	s_or_b64 exec, exec, s[14:15]
	s_and_saveexec_b64 s[14:15], vcc
	s_cbranch_execnz .LBB386_55
.LBB386_10:
	s_or_b64 exec, exec, s[14:15]
	s_and_saveexec_b64 s[0:1], vcc
	s_xor_b64 s[14:15], exec, s[0:1]
	s_cbranch_execnz .LBB386_62
.LBB386_11:
	s_or_b64 exec, exec, s[14:15]
	s_and_saveexec_b64 s[14:15], vcc
	s_cbranch_execnz .LBB386_69
.LBB386_12:
	s_or_b64 exec, exec, s[14:15]
	s_and_saveexec_b64 s[14:15], vcc
	s_cbranch_execnz .LBB386_76
.LBB386_13:
	s_or_b64 exec, exec, s[14:15]
	s_and_saveexec_b64 s[14:15], vcc
	s_cbranch_execnz .LBB386_83
.LBB386_14:
	s_or_b64 exec, exec, s[14:15]
	s_and_saveexec_b64 s[14:15], vcc
	s_cbranch_execnz .LBB386_90
.LBB386_15:
	s_or_b64 exec, exec, s[14:15]
	s_and_saveexec_b64 s[14:15], vcc
	s_cbranch_execnz .LBB386_97
.LBB386_16:
	s_or_b64 exec, exec, s[14:15]
	s_and_saveexec_b64 s[14:15], vcc
	s_cbranch_execnz .LBB386_104
.LBB386_17:
	s_or_b64 exec, exec, s[14:15]
	s_and_saveexec_b64 s[14:15], vcc
	s_cbranch_execnz .LBB386_111
.LBB386_18:
	s_or_b64 exec, exec, s[14:15]
	s_and_saveexec_b64 s[14:15], vcc
	s_cbranch_execnz .LBB386_118
.LBB386_19:
	s_or_b64 exec, exec, s[14:15]
	s_and_saveexec_b64 s[14:15], vcc
	s_cbranch_execnz .LBB386_125
.LBB386_20:
	s_or_b64 exec, exec, s[14:15]
	s_and_saveexec_b64 s[14:15], vcc
	s_cbranch_execnz .LBB386_132
.LBB386_21:
	s_or_b64 exec, exec, s[14:15]
	s_and_saveexec_b64 s[14:15], vcc
	s_cbranch_execnz .LBB386_139
.LBB386_22:
	s_or_b64 exec, exec, s[14:15]
	s_and_saveexec_b64 s[14:15], vcc
	s_cbranch_execnz .LBB386_146
.LBB386_23:
	s_or_b64 exec, exec, s[14:15]
	s_and_saveexec_b64 s[14:15], vcc
	s_cbranch_execnz .LBB386_153
.LBB386_24:
	s_or_b64 exec, exec, s[14:15]
	s_and_saveexec_b64 s[14:15], vcc
	s_cbranch_execnz .LBB386_160
.LBB386_25:
	s_or_b64 exec, exec, s[14:15]
	s_and_saveexec_b64 s[14:15], vcc
	s_cbranch_execnz .LBB386_167
.LBB386_26:
	s_or_b64 exec, exec, s[14:15]
	s_and_saveexec_b64 s[14:15], vcc
	s_cbranch_execnz .LBB386_174
.LBB386_27:
	s_or_b64 exec, exec, s[14:15]
	s_and_saveexec_b64 s[14:15], vcc
	s_cbranch_execnz .LBB386_181
.LBB386_28:
	s_or_b64 exec, exec, s[14:15]
	s_and_saveexec_b64 s[14:15], vcc
	s_cbranch_execnz .LBB386_188
.LBB386_29:
	s_or_b64 exec, exec, s[14:15]
	s_and_saveexec_b64 s[14:15], vcc
	s_cbranch_execnz .LBB386_195
.LBB386_30:
	s_or_b64 exec, exec, s[14:15]
	s_and_saveexec_b64 s[14:15], vcc
	s_cbranch_execnz .LBB386_202
.LBB386_31:
	s_or_b64 exec, exec, s[14:15]
	s_and_saveexec_b64 s[14:15], vcc
	s_cbranch_execnz .LBB386_209
.LBB386_32:
	s_or_b64 exec, exec, s[14:15]
	s_and_saveexec_b64 s[14:15], vcc
	s_cbranch_execnz .LBB386_216
.LBB386_33:
	s_or_b64 exec, exec, s[14:15]
	s_and_saveexec_b64 s[14:15], vcc
	s_cbranch_execnz .LBB386_223
	s_branch .LBB386_230
.LBB386_34:
	v_mul_lo_u32 v64, v21, v6
	v_mul_lo_u32 v65, v20, v7
	v_mad_u64_u32 v[54:55], s[0:1], v20, v6, 0
	v_add3_u32 v55, v55, v65, v64
	v_mul_lo_u32 v66, v23, v6
	v_mul_lo_u32 v67, v22, v7
	v_mad_u64_u32 v[64:65], s[0:1], v22, v6, 0
	v_add3_u32 v65, v65, v67, v66
	v_lshl_add_u64 v[54:55], v[54:55], 2, v[8:9]
	v_lshl_add_u64 v[64:65], v[64:65], 2, v[8:9]
	s_mov_b64 s[18:19], 0
	v_mov_b64_e32 v[66:67], v[6:7]
                                        ; implicit-def: $sgpr16_sgpr17
                                        ; implicit-def: $sgpr20_sgpr21
                                        ; implicit-def: $sgpr24_sgpr25
                                        ; implicit-def: $sgpr22_sgpr23
                                        ; implicit-def: $sgpr26_sgpr27
                                        ; implicit-def: $sgpr28_sgpr29
	s_branch .LBB386_36
.LBB386_35:                             ;   in Loop: Header=BB386_36 Depth=1
	s_or_b64 exec, exec, s[30:31]
	s_and_b64 s[0:1], exec, s[24:25]
	s_or_b64 s[18:19], s[0:1], s[18:19]
	s_andn2_b64 s[0:1], s[28:29], exec
	s_and_b64 s[4:5], s[26:27], exec
	s_or_b64 s[28:29], s[0:1], s[4:5]
	s_andn2_b64 s[0:1], s[20:21], exec
	s_and_b64 s[4:5], s[22:23], exec
	s_or_b64 s[20:21], s[0:1], s[4:5]
	s_andn2_b64 s[0:1], s[16:17], exec
	s_and_b64 s[2:3], s[2:3], exec
	s_or_b64 s[16:17], s[0:1], s[2:3]
	s_andn2_b64 exec, exec, s[18:19]
	s_cbranch_execz .LBB386_38
.LBB386_36:                             ; =>This Inner Loop Header: Depth=1
	flat_load_dword v68, v[64:65]
	flat_load_dword v69, v[54:55]
	s_andn2_b64 s[26:27], s[26:27], exec
	s_or_b64 s[22:23], s[22:23], exec
	s_or_b64 s[24:25], s[24:25], exec
	s_waitcnt vmcnt(0) lgkmcnt(0)
	v_cmp_le_i32_e64 s[2:3], v68, v69
	v_cmp_lt_i32_e64 s[0:1], v68, v69
	s_and_b64 s[2:3], s[2:3], s[28:29]
	v_cmp_eq_u32_e64 s[4:5], v68, v69
	s_or_b64 s[2:3], s[0:1], s[2:3]
	s_and_saveexec_b64 s[30:31], s[4:5]
	s_cbranch_execz .LBB386_35
; %bb.37:                               ;   in Loop: Header=BB386_36 Depth=1
	v_lshl_add_u64 v[66:67], v[66:67], 0, -1
	v_cmp_eq_u64_e64 s[0:1], 0, v[66:67]
	s_andn2_b64 s[4:5], s[26:27], exec
	s_and_b64 s[26:27], s[2:3], exec
	s_or_b64 s[26:27], s[4:5], s[26:27]
	s_andn2_b64 s[4:5], s[24:25], exec
	s_and_b64 s[0:1], s[0:1], exec
	v_lshl_add_u64 v[54:55], v[54:55], 0, 4
	v_lshl_add_u64 v[64:65], v[64:65], 0, 4
	s_andn2_b64 s[22:23], s[22:23], exec
	s_or_b64 s[24:25], s[4:5], s[0:1]
                                        ; implicit-def: $sgpr28_sgpr29
	s_branch .LBB386_35
.LBB386_38:
	s_or_b64 exec, exec, s[18:19]
	s_and_saveexec_b64 s[0:1], s[20:21]
	s_xor_b64 s[0:1], exec, s[0:1]
; %bb.39:
	v_cndmask_b32_e64 v55, v23, v21, s[16:17]
	v_cndmask_b32_e64 v54, v22, v20, s[16:17]
	;; [unrolled: 1-line block ×4, first 2 shown]
	v_mov_b64_e32 v[22:23], v[54:55]
; %bb.40:
	s_or_b64 exec, exec, s[0:1]
	s_or_b64 exec, exec, s[14:15]
	s_and_saveexec_b64 s[14:15], vcc
	s_cbranch_execz .LBB386_8
.LBB386_41:
	v_mul_lo_u32 v64, v17, v6
	v_mul_lo_u32 v65, v16, v7
	v_mad_u64_u32 v[54:55], s[0:1], v16, v6, 0
	v_add3_u32 v55, v55, v65, v64
	v_mul_lo_u32 v66, v19, v6
	v_mul_lo_u32 v67, v18, v7
	v_mad_u64_u32 v[64:65], s[0:1], v18, v6, 0
	v_add3_u32 v65, v65, v67, v66
	v_lshl_add_u64 v[54:55], v[54:55], 2, v[8:9]
	v_lshl_add_u64 v[64:65], v[64:65], 2, v[8:9]
	s_mov_b64 s[18:19], 0
	v_mov_b64_e32 v[66:67], v[6:7]
                                        ; implicit-def: $sgpr16_sgpr17
                                        ; implicit-def: $sgpr20_sgpr21
                                        ; implicit-def: $sgpr24_sgpr25
                                        ; implicit-def: $sgpr22_sgpr23
                                        ; implicit-def: $sgpr26_sgpr27
                                        ; implicit-def: $sgpr28_sgpr29
	s_branch .LBB386_43
.LBB386_42:                             ;   in Loop: Header=BB386_43 Depth=1
	s_or_b64 exec, exec, s[30:31]
	s_and_b64 s[0:1], exec, s[24:25]
	s_or_b64 s[18:19], s[0:1], s[18:19]
	s_andn2_b64 s[0:1], s[28:29], exec
	s_and_b64 s[4:5], s[26:27], exec
	s_or_b64 s[28:29], s[0:1], s[4:5]
	s_andn2_b64 s[0:1], s[20:21], exec
	s_and_b64 s[4:5], s[22:23], exec
	;; [unrolled: 3-line block ×3, first 2 shown]
	s_or_b64 s[16:17], s[0:1], s[2:3]
	s_andn2_b64 exec, exec, s[18:19]
	s_cbranch_execz .LBB386_45
.LBB386_43:                             ; =>This Inner Loop Header: Depth=1
	flat_load_dword v68, v[64:65]
	flat_load_dword v69, v[54:55]
	s_andn2_b64 s[26:27], s[26:27], exec
	s_or_b64 s[22:23], s[22:23], exec
	s_or_b64 s[24:25], s[24:25], exec
	s_waitcnt vmcnt(0) lgkmcnt(0)
	v_cmp_le_i32_e64 s[2:3], v68, v69
	v_cmp_lt_i32_e64 s[0:1], v68, v69
	s_and_b64 s[2:3], s[2:3], s[28:29]
	v_cmp_eq_u32_e64 s[4:5], v68, v69
	s_or_b64 s[2:3], s[0:1], s[2:3]
	s_and_saveexec_b64 s[30:31], s[4:5]
	s_cbranch_execz .LBB386_42
; %bb.44:                               ;   in Loop: Header=BB386_43 Depth=1
	v_lshl_add_u64 v[66:67], v[66:67], 0, -1
	v_cmp_eq_u64_e64 s[0:1], 0, v[66:67]
	s_andn2_b64 s[4:5], s[26:27], exec
	s_and_b64 s[26:27], s[2:3], exec
	s_or_b64 s[26:27], s[4:5], s[26:27]
	s_andn2_b64 s[4:5], s[24:25], exec
	s_and_b64 s[0:1], s[0:1], exec
	v_lshl_add_u64 v[54:55], v[54:55], 0, 4
	v_lshl_add_u64 v[64:65], v[64:65], 0, 4
	s_andn2_b64 s[22:23], s[22:23], exec
	s_or_b64 s[24:25], s[4:5], s[0:1]
                                        ; implicit-def: $sgpr28_sgpr29
	s_branch .LBB386_42
.LBB386_45:
	s_or_b64 exec, exec, s[18:19]
	s_and_saveexec_b64 s[0:1], s[20:21]
	s_xor_b64 s[0:1], exec, s[0:1]
; %bb.46:
	v_cndmask_b32_e64 v55, v17, v19, s[16:17]
	v_cndmask_b32_e64 v54, v16, v18, s[16:17]
	;; [unrolled: 1-line block ×4, first 2 shown]
	v_mov_b64_e32 v[16:17], v[54:55]
; %bb.47:
	s_or_b64 exec, exec, s[0:1]
	s_or_b64 exec, exec, s[14:15]
	s_and_saveexec_b64 s[14:15], vcc
	s_cbranch_execz .LBB386_9
.LBB386_48:
	v_mul_lo_u32 v64, v13, v6
	v_mul_lo_u32 v65, v12, v7
	v_mad_u64_u32 v[54:55], s[0:1], v12, v6, 0
	v_add3_u32 v55, v55, v65, v64
	v_mul_lo_u32 v66, v15, v6
	v_mul_lo_u32 v67, v14, v7
	v_mad_u64_u32 v[64:65], s[0:1], v14, v6, 0
	v_add3_u32 v65, v65, v67, v66
	v_lshl_add_u64 v[54:55], v[54:55], 2, v[8:9]
	v_lshl_add_u64 v[64:65], v[64:65], 2, v[8:9]
	s_mov_b64 s[18:19], 0
	v_mov_b64_e32 v[66:67], v[6:7]
                                        ; implicit-def: $sgpr16_sgpr17
                                        ; implicit-def: $sgpr20_sgpr21
                                        ; implicit-def: $sgpr24_sgpr25
                                        ; implicit-def: $sgpr22_sgpr23
                                        ; implicit-def: $sgpr26_sgpr27
                                        ; implicit-def: $sgpr28_sgpr29
	s_branch .LBB386_50
.LBB386_49:                             ;   in Loop: Header=BB386_50 Depth=1
	s_or_b64 exec, exec, s[30:31]
	s_and_b64 s[0:1], exec, s[24:25]
	s_or_b64 s[18:19], s[0:1], s[18:19]
	s_andn2_b64 s[0:1], s[28:29], exec
	s_and_b64 s[4:5], s[26:27], exec
	s_or_b64 s[28:29], s[0:1], s[4:5]
	s_andn2_b64 s[0:1], s[20:21], exec
	s_and_b64 s[4:5], s[22:23], exec
	;; [unrolled: 3-line block ×3, first 2 shown]
	s_or_b64 s[16:17], s[0:1], s[2:3]
	s_andn2_b64 exec, exec, s[18:19]
	s_cbranch_execz .LBB386_52
.LBB386_50:                             ; =>This Inner Loop Header: Depth=1
	flat_load_dword v68, v[64:65]
	flat_load_dword v69, v[54:55]
	s_andn2_b64 s[26:27], s[26:27], exec
	s_or_b64 s[22:23], s[22:23], exec
	s_or_b64 s[24:25], s[24:25], exec
	s_waitcnt vmcnt(0) lgkmcnt(0)
	v_cmp_le_i32_e64 s[2:3], v68, v69
	v_cmp_lt_i32_e64 s[0:1], v68, v69
	s_and_b64 s[2:3], s[2:3], s[28:29]
	v_cmp_eq_u32_e64 s[4:5], v68, v69
	s_or_b64 s[2:3], s[0:1], s[2:3]
	s_and_saveexec_b64 s[30:31], s[4:5]
	s_cbranch_execz .LBB386_49
; %bb.51:                               ;   in Loop: Header=BB386_50 Depth=1
	v_lshl_add_u64 v[66:67], v[66:67], 0, -1
	v_cmp_eq_u64_e64 s[0:1], 0, v[66:67]
	s_andn2_b64 s[4:5], s[26:27], exec
	s_and_b64 s[26:27], s[2:3], exec
	s_or_b64 s[26:27], s[4:5], s[26:27]
	s_andn2_b64 s[4:5], s[24:25], exec
	s_and_b64 s[0:1], s[0:1], exec
	v_lshl_add_u64 v[54:55], v[54:55], 0, 4
	v_lshl_add_u64 v[64:65], v[64:65], 0, 4
	s_andn2_b64 s[22:23], s[22:23], exec
	s_or_b64 s[24:25], s[4:5], s[0:1]
                                        ; implicit-def: $sgpr28_sgpr29
	s_branch .LBB386_49
.LBB386_52:
	s_or_b64 exec, exec, s[18:19]
	s_and_saveexec_b64 s[0:1], s[20:21]
	s_xor_b64 s[0:1], exec, s[0:1]
; %bb.53:
	v_cndmask_b32_e64 v55, v13, v15, s[16:17]
	v_cndmask_b32_e64 v54, v12, v14, s[16:17]
	;; [unrolled: 1-line block ×4, first 2 shown]
	v_mov_b64_e32 v[12:13], v[54:55]
; %bb.54:
	s_or_b64 exec, exec, s[0:1]
	s_or_b64 exec, exec, s[14:15]
	s_and_saveexec_b64 s[14:15], vcc
	s_cbranch_execz .LBB386_10
.LBB386_55:
	v_mul_lo_u32 v64, v1, v6
	v_mul_lo_u32 v65, v0, v7
	v_mad_u64_u32 v[54:55], s[0:1], v0, v6, 0
	v_add3_u32 v55, v55, v65, v64
	v_mul_lo_u32 v66, v3, v6
	v_mul_lo_u32 v67, v2, v7
	v_mad_u64_u32 v[64:65], s[0:1], v2, v6, 0
	v_add3_u32 v65, v65, v67, v66
	v_lshl_add_u64 v[54:55], v[54:55], 2, v[8:9]
	v_lshl_add_u64 v[64:65], v[64:65], 2, v[8:9]
	s_mov_b64 s[18:19], 0
	v_mov_b64_e32 v[66:67], v[6:7]
                                        ; implicit-def: $sgpr16_sgpr17
                                        ; implicit-def: $sgpr20_sgpr21
                                        ; implicit-def: $sgpr24_sgpr25
                                        ; implicit-def: $sgpr22_sgpr23
                                        ; implicit-def: $sgpr26_sgpr27
                                        ; implicit-def: $sgpr28_sgpr29
	s_branch .LBB386_57
.LBB386_56:                             ;   in Loop: Header=BB386_57 Depth=1
	s_or_b64 exec, exec, s[30:31]
	s_and_b64 s[0:1], exec, s[24:25]
	s_or_b64 s[18:19], s[0:1], s[18:19]
	s_andn2_b64 s[0:1], s[28:29], exec
	s_and_b64 s[4:5], s[26:27], exec
	s_or_b64 s[28:29], s[0:1], s[4:5]
	s_andn2_b64 s[0:1], s[20:21], exec
	s_and_b64 s[4:5], s[22:23], exec
	;; [unrolled: 3-line block ×3, first 2 shown]
	s_or_b64 s[16:17], s[0:1], s[2:3]
	s_andn2_b64 exec, exec, s[18:19]
	s_cbranch_execz .LBB386_59
.LBB386_57:                             ; =>This Inner Loop Header: Depth=1
	flat_load_dword v68, v[64:65]
	flat_load_dword v69, v[54:55]
	s_andn2_b64 s[26:27], s[26:27], exec
	s_or_b64 s[22:23], s[22:23], exec
	s_or_b64 s[24:25], s[24:25], exec
	s_waitcnt vmcnt(0) lgkmcnt(0)
	v_cmp_le_i32_e64 s[2:3], v68, v69
	v_cmp_lt_i32_e64 s[0:1], v68, v69
	s_and_b64 s[2:3], s[2:3], s[28:29]
	v_cmp_eq_u32_e64 s[4:5], v68, v69
	s_or_b64 s[2:3], s[0:1], s[2:3]
	s_and_saveexec_b64 s[30:31], s[4:5]
	s_cbranch_execz .LBB386_56
; %bb.58:                               ;   in Loop: Header=BB386_57 Depth=1
	v_lshl_add_u64 v[66:67], v[66:67], 0, -1
	v_cmp_eq_u64_e64 s[0:1], 0, v[66:67]
	s_andn2_b64 s[4:5], s[26:27], exec
	s_and_b64 s[26:27], s[2:3], exec
	s_or_b64 s[26:27], s[4:5], s[26:27]
	s_andn2_b64 s[4:5], s[24:25], exec
	s_and_b64 s[0:1], s[0:1], exec
	v_lshl_add_u64 v[54:55], v[54:55], 0, 4
	v_lshl_add_u64 v[64:65], v[64:65], 0, 4
	s_andn2_b64 s[22:23], s[22:23], exec
	s_or_b64 s[24:25], s[4:5], s[0:1]
                                        ; implicit-def: $sgpr28_sgpr29
	s_branch .LBB386_56
.LBB386_59:
	s_or_b64 exec, exec, s[18:19]
	s_and_saveexec_b64 s[0:1], s[20:21]
	s_xor_b64 s[0:1], exec, s[0:1]
; %bb.60:
	v_cndmask_b32_e64 v55, v1, v3, s[16:17]
	v_cndmask_b32_e64 v54, v0, v2, s[16:17]
	;; [unrolled: 1-line block ×4, first 2 shown]
	v_mov_b64_e32 v[0:1], v[54:55]
; %bb.61:
	s_or_b64 exec, exec, s[0:1]
	s_or_b64 exec, exec, s[14:15]
	s_and_saveexec_b64 s[0:1], vcc
	s_xor_b64 s[14:15], exec, s[0:1]
	s_cbranch_execz .LBB386_11
.LBB386_62:
	v_mul_lo_u32 v64, v23, v6
	v_mul_lo_u32 v65, v22, v7
	v_mad_u64_u32 v[54:55], s[0:1], v22, v6, 0
	v_add3_u32 v55, v55, v65, v64
	v_mul_lo_u32 v66, v17, v6
	v_mul_lo_u32 v67, v16, v7
	v_mad_u64_u32 v[64:65], s[0:1], v16, v6, 0
	v_add3_u32 v65, v65, v67, v66
	v_lshl_add_u64 v[54:55], v[54:55], 2, v[8:9]
	v_lshl_add_u64 v[64:65], v[64:65], 2, v[8:9]
	s_mov_b64 s[18:19], 0
	v_mov_b64_e32 v[66:67], v[6:7]
                                        ; implicit-def: $sgpr16_sgpr17
                                        ; implicit-def: $sgpr20_sgpr21
                                        ; implicit-def: $sgpr24_sgpr25
                                        ; implicit-def: $sgpr22_sgpr23
                                        ; implicit-def: $sgpr26_sgpr27
                                        ; implicit-def: $sgpr28_sgpr29
	s_branch .LBB386_64
.LBB386_63:                             ;   in Loop: Header=BB386_64 Depth=1
	s_or_b64 exec, exec, s[30:31]
	s_and_b64 s[0:1], exec, s[24:25]
	s_or_b64 s[18:19], s[0:1], s[18:19]
	s_andn2_b64 s[0:1], s[28:29], exec
	s_and_b64 s[4:5], s[26:27], exec
	s_or_b64 s[28:29], s[0:1], s[4:5]
	s_andn2_b64 s[0:1], s[20:21], exec
	s_and_b64 s[4:5], s[22:23], exec
	;; [unrolled: 3-line block ×3, first 2 shown]
	s_or_b64 s[16:17], s[0:1], s[2:3]
	s_andn2_b64 exec, exec, s[18:19]
	s_cbranch_execz .LBB386_66
.LBB386_64:                             ; =>This Inner Loop Header: Depth=1
	flat_load_dword v68, v[64:65]
	flat_load_dword v69, v[54:55]
	s_andn2_b64 s[26:27], s[26:27], exec
	s_or_b64 s[22:23], s[22:23], exec
	s_or_b64 s[24:25], s[24:25], exec
	s_waitcnt vmcnt(0) lgkmcnt(0)
	v_cmp_le_i32_e64 s[2:3], v68, v69
	v_cmp_lt_i32_e64 s[0:1], v68, v69
	s_and_b64 s[2:3], s[2:3], s[28:29]
	v_cmp_eq_u32_e64 s[4:5], v68, v69
	s_or_b64 s[2:3], s[0:1], s[2:3]
	s_and_saveexec_b64 s[30:31], s[4:5]
	s_cbranch_execz .LBB386_63
; %bb.65:                               ;   in Loop: Header=BB386_64 Depth=1
	v_lshl_add_u64 v[66:67], v[66:67], 0, -1
	v_cmp_eq_u64_e64 s[0:1], 0, v[66:67]
	s_andn2_b64 s[4:5], s[26:27], exec
	s_and_b64 s[26:27], s[2:3], exec
	s_or_b64 s[26:27], s[4:5], s[26:27]
	s_andn2_b64 s[4:5], s[24:25], exec
	s_and_b64 s[0:1], s[0:1], exec
	v_lshl_add_u64 v[54:55], v[54:55], 0, 4
	v_lshl_add_u64 v[64:65], v[64:65], 0, 4
	s_andn2_b64 s[22:23], s[22:23], exec
	s_or_b64 s[24:25], s[4:5], s[0:1]
                                        ; implicit-def: $sgpr28_sgpr29
	s_branch .LBB386_63
.LBB386_66:
	s_or_b64 exec, exec, s[18:19]
	s_and_saveexec_b64 s[0:1], s[20:21]
	s_xor_b64 s[0:1], exec, s[0:1]
; %bb.67:
	v_cndmask_b32_e64 v55, v23, v17, s[16:17]
	v_cndmask_b32_e64 v54, v22, v16, s[16:17]
	;; [unrolled: 1-line block ×4, first 2 shown]
	v_mov_b64_e32 v[22:23], v[54:55]
; %bb.68:
	s_or_b64 exec, exec, s[0:1]
	s_or_b64 exec, exec, s[14:15]
	s_and_saveexec_b64 s[14:15], vcc
	s_cbranch_execz .LBB386_12
.LBB386_69:
	v_mul_lo_u32 v64, v19, v6
	v_mul_lo_u32 v65, v18, v7
	v_mad_u64_u32 v[54:55], s[0:1], v18, v6, 0
	v_add3_u32 v55, v55, v65, v64
	v_mul_lo_u32 v66, v13, v6
	v_mul_lo_u32 v67, v12, v7
	v_mad_u64_u32 v[64:65], s[0:1], v12, v6, 0
	v_add3_u32 v65, v65, v67, v66
	v_lshl_add_u64 v[54:55], v[54:55], 2, v[8:9]
	v_lshl_add_u64 v[64:65], v[64:65], 2, v[8:9]
	s_mov_b64 s[18:19], 0
	v_mov_b64_e32 v[66:67], v[6:7]
                                        ; implicit-def: $sgpr16_sgpr17
                                        ; implicit-def: $sgpr20_sgpr21
                                        ; implicit-def: $sgpr24_sgpr25
                                        ; implicit-def: $sgpr22_sgpr23
                                        ; implicit-def: $sgpr26_sgpr27
                                        ; implicit-def: $sgpr28_sgpr29
	s_branch .LBB386_71
.LBB386_70:                             ;   in Loop: Header=BB386_71 Depth=1
	s_or_b64 exec, exec, s[30:31]
	s_and_b64 s[0:1], exec, s[24:25]
	s_or_b64 s[18:19], s[0:1], s[18:19]
	s_andn2_b64 s[0:1], s[28:29], exec
	s_and_b64 s[4:5], s[26:27], exec
	s_or_b64 s[28:29], s[0:1], s[4:5]
	s_andn2_b64 s[0:1], s[20:21], exec
	s_and_b64 s[4:5], s[22:23], exec
	;; [unrolled: 3-line block ×3, first 2 shown]
	s_or_b64 s[16:17], s[0:1], s[2:3]
	s_andn2_b64 exec, exec, s[18:19]
	s_cbranch_execz .LBB386_73
.LBB386_71:                             ; =>This Inner Loop Header: Depth=1
	flat_load_dword v68, v[64:65]
	flat_load_dword v69, v[54:55]
	s_andn2_b64 s[26:27], s[26:27], exec
	s_or_b64 s[22:23], s[22:23], exec
	s_or_b64 s[24:25], s[24:25], exec
	s_waitcnt vmcnt(0) lgkmcnt(0)
	v_cmp_le_i32_e64 s[2:3], v68, v69
	v_cmp_lt_i32_e64 s[0:1], v68, v69
	s_and_b64 s[2:3], s[2:3], s[28:29]
	v_cmp_eq_u32_e64 s[4:5], v68, v69
	s_or_b64 s[2:3], s[0:1], s[2:3]
	s_and_saveexec_b64 s[30:31], s[4:5]
	s_cbranch_execz .LBB386_70
; %bb.72:                               ;   in Loop: Header=BB386_71 Depth=1
	v_lshl_add_u64 v[66:67], v[66:67], 0, -1
	v_cmp_eq_u64_e64 s[0:1], 0, v[66:67]
	s_andn2_b64 s[4:5], s[26:27], exec
	s_and_b64 s[26:27], s[2:3], exec
	s_or_b64 s[26:27], s[4:5], s[26:27]
	s_andn2_b64 s[4:5], s[24:25], exec
	s_and_b64 s[0:1], s[0:1], exec
	v_lshl_add_u64 v[54:55], v[54:55], 0, 4
	v_lshl_add_u64 v[64:65], v[64:65], 0, 4
	s_andn2_b64 s[22:23], s[22:23], exec
	s_or_b64 s[24:25], s[4:5], s[0:1]
                                        ; implicit-def: $sgpr28_sgpr29
	s_branch .LBB386_70
.LBB386_73:
	s_or_b64 exec, exec, s[18:19]
	s_and_saveexec_b64 s[0:1], s[20:21]
	s_xor_b64 s[0:1], exec, s[0:1]
; %bb.74:
	v_cndmask_b32_e64 v55, v19, v13, s[16:17]
	v_cndmask_b32_e64 v54, v18, v12, s[16:17]
	;; [unrolled: 1-line block ×4, first 2 shown]
	v_mov_b64_e32 v[18:19], v[54:55]
; %bb.75:
	s_or_b64 exec, exec, s[0:1]
	s_or_b64 exec, exec, s[14:15]
	s_and_saveexec_b64 s[14:15], vcc
	s_cbranch_execz .LBB386_13
.LBB386_76:
	v_mul_lo_u32 v64, v15, v6
	v_mul_lo_u32 v65, v14, v7
	v_mad_u64_u32 v[54:55], s[0:1], v14, v6, 0
	v_add3_u32 v55, v55, v65, v64
	v_mul_lo_u32 v66, v1, v6
	v_mul_lo_u32 v67, v0, v7
	v_mad_u64_u32 v[64:65], s[0:1], v0, v6, 0
	v_add3_u32 v65, v65, v67, v66
	v_lshl_add_u64 v[54:55], v[54:55], 2, v[8:9]
	v_lshl_add_u64 v[64:65], v[64:65], 2, v[8:9]
	s_mov_b64 s[18:19], 0
	v_mov_b64_e32 v[66:67], v[6:7]
                                        ; implicit-def: $sgpr16_sgpr17
                                        ; implicit-def: $sgpr20_sgpr21
                                        ; implicit-def: $sgpr24_sgpr25
                                        ; implicit-def: $sgpr22_sgpr23
                                        ; implicit-def: $sgpr26_sgpr27
                                        ; implicit-def: $sgpr28_sgpr29
	s_branch .LBB386_78
.LBB386_77:                             ;   in Loop: Header=BB386_78 Depth=1
	s_or_b64 exec, exec, s[30:31]
	s_and_b64 s[0:1], exec, s[24:25]
	s_or_b64 s[18:19], s[0:1], s[18:19]
	s_andn2_b64 s[0:1], s[28:29], exec
	s_and_b64 s[4:5], s[26:27], exec
	s_or_b64 s[28:29], s[0:1], s[4:5]
	s_andn2_b64 s[0:1], s[20:21], exec
	s_and_b64 s[4:5], s[22:23], exec
	;; [unrolled: 3-line block ×3, first 2 shown]
	s_or_b64 s[16:17], s[0:1], s[2:3]
	s_andn2_b64 exec, exec, s[18:19]
	s_cbranch_execz .LBB386_80
.LBB386_78:                             ; =>This Inner Loop Header: Depth=1
	flat_load_dword v68, v[64:65]
	flat_load_dword v69, v[54:55]
	s_andn2_b64 s[26:27], s[26:27], exec
	s_or_b64 s[22:23], s[22:23], exec
	s_or_b64 s[24:25], s[24:25], exec
	s_waitcnt vmcnt(0) lgkmcnt(0)
	v_cmp_le_i32_e64 s[2:3], v68, v69
	v_cmp_lt_i32_e64 s[0:1], v68, v69
	s_and_b64 s[2:3], s[2:3], s[28:29]
	v_cmp_eq_u32_e64 s[4:5], v68, v69
	s_or_b64 s[2:3], s[0:1], s[2:3]
	s_and_saveexec_b64 s[30:31], s[4:5]
	s_cbranch_execz .LBB386_77
; %bb.79:                               ;   in Loop: Header=BB386_78 Depth=1
	v_lshl_add_u64 v[66:67], v[66:67], 0, -1
	v_cmp_eq_u64_e64 s[0:1], 0, v[66:67]
	s_andn2_b64 s[4:5], s[26:27], exec
	s_and_b64 s[26:27], s[2:3], exec
	s_or_b64 s[26:27], s[4:5], s[26:27]
	s_andn2_b64 s[4:5], s[24:25], exec
	s_and_b64 s[0:1], s[0:1], exec
	v_lshl_add_u64 v[54:55], v[54:55], 0, 4
	v_lshl_add_u64 v[64:65], v[64:65], 0, 4
	s_andn2_b64 s[22:23], s[22:23], exec
	s_or_b64 s[24:25], s[4:5], s[0:1]
                                        ; implicit-def: $sgpr28_sgpr29
	s_branch .LBB386_77
.LBB386_80:
	s_or_b64 exec, exec, s[18:19]
	s_and_saveexec_b64 s[0:1], s[20:21]
	s_xor_b64 s[0:1], exec, s[0:1]
; %bb.81:
	v_cndmask_b32_e64 v55, v15, v1, s[16:17]
	v_cndmask_b32_e64 v54, v14, v0, s[16:17]
	;; [unrolled: 1-line block ×4, first 2 shown]
	v_mov_b64_e32 v[14:15], v[54:55]
; %bb.82:
	s_or_b64 exec, exec, s[0:1]
	s_or_b64 exec, exec, s[14:15]
	s_and_saveexec_b64 s[14:15], vcc
	s_cbranch_execz .LBB386_14
.LBB386_83:
	v_mul_lo_u32 v64, v21, v6
	v_mul_lo_u32 v65, v20, v7
	v_mad_u64_u32 v[54:55], s[0:1], v20, v6, 0
	v_add3_u32 v55, v55, v65, v64
	v_mul_lo_u32 v66, v23, v6
	v_mul_lo_u32 v67, v22, v7
	v_mad_u64_u32 v[64:65], s[0:1], v22, v6, 0
	v_add3_u32 v65, v65, v67, v66
	v_lshl_add_u64 v[54:55], v[54:55], 2, v[8:9]
	v_lshl_add_u64 v[64:65], v[64:65], 2, v[8:9]
	s_mov_b64 s[18:19], 0
	v_mov_b64_e32 v[66:67], v[6:7]
                                        ; implicit-def: $sgpr16_sgpr17
                                        ; implicit-def: $sgpr20_sgpr21
                                        ; implicit-def: $sgpr24_sgpr25
                                        ; implicit-def: $sgpr22_sgpr23
                                        ; implicit-def: $sgpr26_sgpr27
                                        ; implicit-def: $sgpr28_sgpr29
	s_branch .LBB386_85
.LBB386_84:                             ;   in Loop: Header=BB386_85 Depth=1
	s_or_b64 exec, exec, s[30:31]
	s_and_b64 s[0:1], exec, s[24:25]
	s_or_b64 s[18:19], s[0:1], s[18:19]
	s_andn2_b64 s[0:1], s[28:29], exec
	s_and_b64 s[4:5], s[26:27], exec
	s_or_b64 s[28:29], s[0:1], s[4:5]
	s_andn2_b64 s[0:1], s[20:21], exec
	s_and_b64 s[4:5], s[22:23], exec
	;; [unrolled: 3-line block ×3, first 2 shown]
	s_or_b64 s[16:17], s[0:1], s[2:3]
	s_andn2_b64 exec, exec, s[18:19]
	s_cbranch_execz .LBB386_87
.LBB386_85:                             ; =>This Inner Loop Header: Depth=1
	flat_load_dword v68, v[64:65]
	flat_load_dword v69, v[54:55]
	s_andn2_b64 s[26:27], s[26:27], exec
	s_or_b64 s[22:23], s[22:23], exec
	s_or_b64 s[24:25], s[24:25], exec
	s_waitcnt vmcnt(0) lgkmcnt(0)
	v_cmp_le_i32_e64 s[2:3], v68, v69
	v_cmp_lt_i32_e64 s[0:1], v68, v69
	s_and_b64 s[2:3], s[2:3], s[28:29]
	v_cmp_eq_u32_e64 s[4:5], v68, v69
	s_or_b64 s[2:3], s[0:1], s[2:3]
	s_and_saveexec_b64 s[30:31], s[4:5]
	s_cbranch_execz .LBB386_84
; %bb.86:                               ;   in Loop: Header=BB386_85 Depth=1
	v_lshl_add_u64 v[66:67], v[66:67], 0, -1
	v_cmp_eq_u64_e64 s[0:1], 0, v[66:67]
	s_andn2_b64 s[4:5], s[26:27], exec
	s_and_b64 s[26:27], s[2:3], exec
	s_or_b64 s[26:27], s[4:5], s[26:27]
	s_andn2_b64 s[4:5], s[24:25], exec
	s_and_b64 s[0:1], s[0:1], exec
	v_lshl_add_u64 v[54:55], v[54:55], 0, 4
	v_lshl_add_u64 v[64:65], v[64:65], 0, 4
	s_andn2_b64 s[22:23], s[22:23], exec
	s_or_b64 s[24:25], s[4:5], s[0:1]
                                        ; implicit-def: $sgpr28_sgpr29
	s_branch .LBB386_84
.LBB386_87:
	s_or_b64 exec, exec, s[18:19]
	s_and_saveexec_b64 s[0:1], s[20:21]
	s_xor_b64 s[0:1], exec, s[0:1]
; %bb.88:
	v_cndmask_b32_e64 v55, v23, v21, s[16:17]
	v_cndmask_b32_e64 v54, v22, v20, s[16:17]
	;; [unrolled: 1-line block ×4, first 2 shown]
	v_mov_b64_e32 v[22:23], v[54:55]
; %bb.89:
	s_or_b64 exec, exec, s[0:1]
	s_or_b64 exec, exec, s[14:15]
	s_and_saveexec_b64 s[14:15], vcc
	s_cbranch_execz .LBB386_15
.LBB386_90:
	v_mul_lo_u32 v64, v17, v6
	v_mul_lo_u32 v65, v16, v7
	v_mad_u64_u32 v[54:55], s[0:1], v16, v6, 0
	v_add3_u32 v55, v55, v65, v64
	v_mul_lo_u32 v66, v19, v6
	v_mul_lo_u32 v67, v18, v7
	v_mad_u64_u32 v[64:65], s[0:1], v18, v6, 0
	v_add3_u32 v65, v65, v67, v66
	v_lshl_add_u64 v[54:55], v[54:55], 2, v[8:9]
	v_lshl_add_u64 v[64:65], v[64:65], 2, v[8:9]
	s_mov_b64 s[18:19], 0
	v_mov_b64_e32 v[66:67], v[6:7]
                                        ; implicit-def: $sgpr16_sgpr17
                                        ; implicit-def: $sgpr20_sgpr21
                                        ; implicit-def: $sgpr24_sgpr25
                                        ; implicit-def: $sgpr22_sgpr23
                                        ; implicit-def: $sgpr26_sgpr27
                                        ; implicit-def: $sgpr28_sgpr29
	s_branch .LBB386_92
.LBB386_91:                             ;   in Loop: Header=BB386_92 Depth=1
	s_or_b64 exec, exec, s[30:31]
	s_and_b64 s[0:1], exec, s[24:25]
	s_or_b64 s[18:19], s[0:1], s[18:19]
	s_andn2_b64 s[0:1], s[28:29], exec
	s_and_b64 s[4:5], s[26:27], exec
	s_or_b64 s[28:29], s[0:1], s[4:5]
	s_andn2_b64 s[0:1], s[20:21], exec
	s_and_b64 s[4:5], s[22:23], exec
	;; [unrolled: 3-line block ×3, first 2 shown]
	s_or_b64 s[16:17], s[0:1], s[2:3]
	s_andn2_b64 exec, exec, s[18:19]
	s_cbranch_execz .LBB386_94
.LBB386_92:                             ; =>This Inner Loop Header: Depth=1
	flat_load_dword v68, v[64:65]
	flat_load_dword v69, v[54:55]
	s_andn2_b64 s[26:27], s[26:27], exec
	s_or_b64 s[22:23], s[22:23], exec
	s_or_b64 s[24:25], s[24:25], exec
	s_waitcnt vmcnt(0) lgkmcnt(0)
	v_cmp_le_i32_e64 s[2:3], v68, v69
	v_cmp_lt_i32_e64 s[0:1], v68, v69
	s_and_b64 s[2:3], s[2:3], s[28:29]
	v_cmp_eq_u32_e64 s[4:5], v68, v69
	s_or_b64 s[2:3], s[0:1], s[2:3]
	s_and_saveexec_b64 s[30:31], s[4:5]
	s_cbranch_execz .LBB386_91
; %bb.93:                               ;   in Loop: Header=BB386_92 Depth=1
	v_lshl_add_u64 v[66:67], v[66:67], 0, -1
	v_cmp_eq_u64_e64 s[0:1], 0, v[66:67]
	s_andn2_b64 s[4:5], s[26:27], exec
	s_and_b64 s[26:27], s[2:3], exec
	s_or_b64 s[26:27], s[4:5], s[26:27]
	s_andn2_b64 s[4:5], s[24:25], exec
	s_and_b64 s[0:1], s[0:1], exec
	v_lshl_add_u64 v[54:55], v[54:55], 0, 4
	v_lshl_add_u64 v[64:65], v[64:65], 0, 4
	s_andn2_b64 s[22:23], s[22:23], exec
	s_or_b64 s[24:25], s[4:5], s[0:1]
                                        ; implicit-def: $sgpr28_sgpr29
	s_branch .LBB386_91
.LBB386_94:
	s_or_b64 exec, exec, s[18:19]
	s_and_saveexec_b64 s[0:1], s[20:21]
	s_xor_b64 s[0:1], exec, s[0:1]
; %bb.95:
	v_cndmask_b32_e64 v55, v17, v19, s[16:17]
	v_cndmask_b32_e64 v54, v16, v18, s[16:17]
	;; [unrolled: 1-line block ×4, first 2 shown]
	v_mov_b64_e32 v[16:17], v[54:55]
; %bb.96:
	s_or_b64 exec, exec, s[0:1]
	s_or_b64 exec, exec, s[14:15]
	s_and_saveexec_b64 s[14:15], vcc
	s_cbranch_execz .LBB386_16
.LBB386_97:
	v_mul_lo_u32 v64, v13, v6
	v_mul_lo_u32 v65, v12, v7
	v_mad_u64_u32 v[54:55], s[0:1], v12, v6, 0
	v_add3_u32 v55, v55, v65, v64
	v_mul_lo_u32 v66, v15, v6
	v_mul_lo_u32 v67, v14, v7
	v_mad_u64_u32 v[64:65], s[0:1], v14, v6, 0
	v_add3_u32 v65, v65, v67, v66
	v_lshl_add_u64 v[54:55], v[54:55], 2, v[8:9]
	v_lshl_add_u64 v[64:65], v[64:65], 2, v[8:9]
	s_mov_b64 s[18:19], 0
	v_mov_b64_e32 v[66:67], v[6:7]
                                        ; implicit-def: $sgpr16_sgpr17
                                        ; implicit-def: $sgpr20_sgpr21
                                        ; implicit-def: $sgpr24_sgpr25
                                        ; implicit-def: $sgpr22_sgpr23
                                        ; implicit-def: $sgpr26_sgpr27
                                        ; implicit-def: $sgpr28_sgpr29
	s_branch .LBB386_99
.LBB386_98:                             ;   in Loop: Header=BB386_99 Depth=1
	s_or_b64 exec, exec, s[30:31]
	s_and_b64 s[0:1], exec, s[24:25]
	s_or_b64 s[18:19], s[0:1], s[18:19]
	s_andn2_b64 s[0:1], s[28:29], exec
	s_and_b64 s[4:5], s[26:27], exec
	s_or_b64 s[28:29], s[0:1], s[4:5]
	s_andn2_b64 s[0:1], s[20:21], exec
	s_and_b64 s[4:5], s[22:23], exec
	s_or_b64 s[20:21], s[0:1], s[4:5]
	s_andn2_b64 s[0:1], s[16:17], exec
	s_and_b64 s[2:3], s[2:3], exec
	s_or_b64 s[16:17], s[0:1], s[2:3]
	s_andn2_b64 exec, exec, s[18:19]
	s_cbranch_execz .LBB386_101
.LBB386_99:                             ; =>This Inner Loop Header: Depth=1
	flat_load_dword v68, v[64:65]
	flat_load_dword v69, v[54:55]
	s_andn2_b64 s[26:27], s[26:27], exec
	s_or_b64 s[22:23], s[22:23], exec
	s_or_b64 s[24:25], s[24:25], exec
	s_waitcnt vmcnt(0) lgkmcnt(0)
	v_cmp_le_i32_e64 s[2:3], v68, v69
	v_cmp_lt_i32_e64 s[0:1], v68, v69
	s_and_b64 s[2:3], s[2:3], s[28:29]
	v_cmp_eq_u32_e64 s[4:5], v68, v69
	s_or_b64 s[2:3], s[0:1], s[2:3]
	s_and_saveexec_b64 s[30:31], s[4:5]
	s_cbranch_execz .LBB386_98
; %bb.100:                              ;   in Loop: Header=BB386_99 Depth=1
	v_lshl_add_u64 v[66:67], v[66:67], 0, -1
	v_cmp_eq_u64_e64 s[0:1], 0, v[66:67]
	s_andn2_b64 s[4:5], s[26:27], exec
	s_and_b64 s[26:27], s[2:3], exec
	s_or_b64 s[26:27], s[4:5], s[26:27]
	s_andn2_b64 s[4:5], s[24:25], exec
	s_and_b64 s[0:1], s[0:1], exec
	v_lshl_add_u64 v[54:55], v[54:55], 0, 4
	v_lshl_add_u64 v[64:65], v[64:65], 0, 4
	s_andn2_b64 s[22:23], s[22:23], exec
	s_or_b64 s[24:25], s[4:5], s[0:1]
                                        ; implicit-def: $sgpr28_sgpr29
	s_branch .LBB386_98
.LBB386_101:
	s_or_b64 exec, exec, s[18:19]
	s_and_saveexec_b64 s[0:1], s[20:21]
	s_xor_b64 s[0:1], exec, s[0:1]
; %bb.102:
	v_cndmask_b32_e64 v55, v13, v15, s[16:17]
	v_cndmask_b32_e64 v54, v12, v14, s[16:17]
	;; [unrolled: 1-line block ×4, first 2 shown]
	v_mov_b64_e32 v[12:13], v[54:55]
; %bb.103:
	s_or_b64 exec, exec, s[0:1]
	s_or_b64 exec, exec, s[14:15]
	s_and_saveexec_b64 s[14:15], vcc
	s_cbranch_execz .LBB386_17
.LBB386_104:
	v_mul_lo_u32 v64, v1, v6
	v_mul_lo_u32 v65, v0, v7
	v_mad_u64_u32 v[54:55], s[0:1], v0, v6, 0
	v_add3_u32 v55, v55, v65, v64
	v_mul_lo_u32 v66, v3, v6
	v_mul_lo_u32 v67, v2, v7
	v_mad_u64_u32 v[64:65], s[0:1], v2, v6, 0
	v_add3_u32 v65, v65, v67, v66
	v_lshl_add_u64 v[54:55], v[54:55], 2, v[8:9]
	v_lshl_add_u64 v[64:65], v[64:65], 2, v[8:9]
	s_mov_b64 s[18:19], 0
	v_mov_b64_e32 v[66:67], v[6:7]
                                        ; implicit-def: $sgpr16_sgpr17
                                        ; implicit-def: $sgpr20_sgpr21
                                        ; implicit-def: $sgpr24_sgpr25
                                        ; implicit-def: $sgpr22_sgpr23
                                        ; implicit-def: $sgpr26_sgpr27
                                        ; implicit-def: $sgpr28_sgpr29
	s_branch .LBB386_106
.LBB386_105:                            ;   in Loop: Header=BB386_106 Depth=1
	s_or_b64 exec, exec, s[30:31]
	s_and_b64 s[0:1], exec, s[24:25]
	s_or_b64 s[18:19], s[0:1], s[18:19]
	s_andn2_b64 s[0:1], s[28:29], exec
	s_and_b64 s[4:5], s[26:27], exec
	s_or_b64 s[28:29], s[0:1], s[4:5]
	s_andn2_b64 s[0:1], s[20:21], exec
	s_and_b64 s[4:5], s[22:23], exec
	;; [unrolled: 3-line block ×3, first 2 shown]
	s_or_b64 s[16:17], s[0:1], s[2:3]
	s_andn2_b64 exec, exec, s[18:19]
	s_cbranch_execz .LBB386_108
.LBB386_106:                            ; =>This Inner Loop Header: Depth=1
	flat_load_dword v68, v[64:65]
	flat_load_dword v69, v[54:55]
	s_andn2_b64 s[26:27], s[26:27], exec
	s_or_b64 s[22:23], s[22:23], exec
	s_or_b64 s[24:25], s[24:25], exec
	s_waitcnt vmcnt(0) lgkmcnt(0)
	v_cmp_le_i32_e64 s[2:3], v68, v69
	v_cmp_lt_i32_e64 s[0:1], v68, v69
	s_and_b64 s[2:3], s[2:3], s[28:29]
	v_cmp_eq_u32_e64 s[4:5], v68, v69
	s_or_b64 s[2:3], s[0:1], s[2:3]
	s_and_saveexec_b64 s[30:31], s[4:5]
	s_cbranch_execz .LBB386_105
; %bb.107:                              ;   in Loop: Header=BB386_106 Depth=1
	v_lshl_add_u64 v[66:67], v[66:67], 0, -1
	v_cmp_eq_u64_e64 s[0:1], 0, v[66:67]
	s_andn2_b64 s[4:5], s[26:27], exec
	s_and_b64 s[26:27], s[2:3], exec
	s_or_b64 s[26:27], s[4:5], s[26:27]
	s_andn2_b64 s[4:5], s[24:25], exec
	s_and_b64 s[0:1], s[0:1], exec
	v_lshl_add_u64 v[54:55], v[54:55], 0, 4
	v_lshl_add_u64 v[64:65], v[64:65], 0, 4
	s_andn2_b64 s[22:23], s[22:23], exec
	s_or_b64 s[24:25], s[4:5], s[0:1]
                                        ; implicit-def: $sgpr28_sgpr29
	s_branch .LBB386_105
.LBB386_108:
	s_or_b64 exec, exec, s[18:19]
	s_and_saveexec_b64 s[0:1], s[20:21]
	s_xor_b64 s[0:1], exec, s[0:1]
; %bb.109:
	v_cndmask_b32_e64 v55, v1, v3, s[16:17]
	v_cndmask_b32_e64 v54, v0, v2, s[16:17]
	;; [unrolled: 1-line block ×4, first 2 shown]
	v_mov_b64_e32 v[0:1], v[54:55]
; %bb.110:
	s_or_b64 exec, exec, s[0:1]
	s_or_b64 exec, exec, s[14:15]
	s_and_saveexec_b64 s[14:15], vcc
	s_cbranch_execz .LBB386_18
.LBB386_111:
	v_mul_lo_u32 v64, v23, v6
	v_mul_lo_u32 v65, v22, v7
	v_mad_u64_u32 v[54:55], s[0:1], v22, v6, 0
	v_add3_u32 v55, v55, v65, v64
	v_mul_lo_u32 v66, v17, v6
	v_mul_lo_u32 v67, v16, v7
	v_mad_u64_u32 v[64:65], s[0:1], v16, v6, 0
	v_add3_u32 v65, v65, v67, v66
	v_lshl_add_u64 v[54:55], v[54:55], 2, v[8:9]
	v_lshl_add_u64 v[64:65], v[64:65], 2, v[8:9]
	s_mov_b64 s[18:19], 0
	v_mov_b64_e32 v[66:67], v[6:7]
                                        ; implicit-def: $sgpr16_sgpr17
                                        ; implicit-def: $sgpr20_sgpr21
                                        ; implicit-def: $sgpr24_sgpr25
                                        ; implicit-def: $sgpr22_sgpr23
                                        ; implicit-def: $sgpr26_sgpr27
                                        ; implicit-def: $sgpr28_sgpr29
	s_branch .LBB386_113
.LBB386_112:                            ;   in Loop: Header=BB386_113 Depth=1
	s_or_b64 exec, exec, s[30:31]
	s_and_b64 s[0:1], exec, s[24:25]
	s_or_b64 s[18:19], s[0:1], s[18:19]
	s_andn2_b64 s[0:1], s[28:29], exec
	s_and_b64 s[4:5], s[26:27], exec
	s_or_b64 s[28:29], s[0:1], s[4:5]
	s_andn2_b64 s[0:1], s[20:21], exec
	s_and_b64 s[4:5], s[22:23], exec
	s_or_b64 s[20:21], s[0:1], s[4:5]
	s_andn2_b64 s[0:1], s[16:17], exec
	s_and_b64 s[2:3], s[2:3], exec
	s_or_b64 s[16:17], s[0:1], s[2:3]
	s_andn2_b64 exec, exec, s[18:19]
	s_cbranch_execz .LBB386_115
.LBB386_113:                            ; =>This Inner Loop Header: Depth=1
	flat_load_dword v68, v[64:65]
	flat_load_dword v69, v[54:55]
	s_andn2_b64 s[26:27], s[26:27], exec
	s_or_b64 s[22:23], s[22:23], exec
	s_or_b64 s[24:25], s[24:25], exec
	s_waitcnt vmcnt(0) lgkmcnt(0)
	v_cmp_le_i32_e64 s[2:3], v68, v69
	v_cmp_lt_i32_e64 s[0:1], v68, v69
	s_and_b64 s[2:3], s[2:3], s[28:29]
	v_cmp_eq_u32_e64 s[4:5], v68, v69
	s_or_b64 s[2:3], s[0:1], s[2:3]
	s_and_saveexec_b64 s[30:31], s[4:5]
	s_cbranch_execz .LBB386_112
; %bb.114:                              ;   in Loop: Header=BB386_113 Depth=1
	v_lshl_add_u64 v[66:67], v[66:67], 0, -1
	v_cmp_eq_u64_e64 s[0:1], 0, v[66:67]
	s_andn2_b64 s[4:5], s[26:27], exec
	s_and_b64 s[26:27], s[2:3], exec
	s_or_b64 s[26:27], s[4:5], s[26:27]
	s_andn2_b64 s[4:5], s[24:25], exec
	s_and_b64 s[0:1], s[0:1], exec
	v_lshl_add_u64 v[54:55], v[54:55], 0, 4
	v_lshl_add_u64 v[64:65], v[64:65], 0, 4
	s_andn2_b64 s[22:23], s[22:23], exec
	s_or_b64 s[24:25], s[4:5], s[0:1]
                                        ; implicit-def: $sgpr28_sgpr29
	s_branch .LBB386_112
.LBB386_115:
	s_or_b64 exec, exec, s[18:19]
	s_and_saveexec_b64 s[0:1], s[20:21]
	s_xor_b64 s[0:1], exec, s[0:1]
; %bb.116:
	v_cndmask_b32_e64 v55, v23, v17, s[16:17]
	v_cndmask_b32_e64 v54, v22, v16, s[16:17]
	;; [unrolled: 1-line block ×4, first 2 shown]
	v_mov_b64_e32 v[22:23], v[54:55]
; %bb.117:
	s_or_b64 exec, exec, s[0:1]
	s_or_b64 exec, exec, s[14:15]
	s_and_saveexec_b64 s[14:15], vcc
	s_cbranch_execz .LBB386_19
.LBB386_118:
	v_mul_lo_u32 v64, v19, v6
	v_mul_lo_u32 v65, v18, v7
	v_mad_u64_u32 v[54:55], s[0:1], v18, v6, 0
	v_add3_u32 v55, v55, v65, v64
	v_mul_lo_u32 v66, v13, v6
	v_mul_lo_u32 v67, v12, v7
	v_mad_u64_u32 v[64:65], s[0:1], v12, v6, 0
	v_add3_u32 v65, v65, v67, v66
	v_lshl_add_u64 v[54:55], v[54:55], 2, v[8:9]
	v_lshl_add_u64 v[64:65], v[64:65], 2, v[8:9]
	s_mov_b64 s[18:19], 0
	v_mov_b64_e32 v[66:67], v[6:7]
                                        ; implicit-def: $sgpr16_sgpr17
                                        ; implicit-def: $sgpr20_sgpr21
                                        ; implicit-def: $sgpr24_sgpr25
                                        ; implicit-def: $sgpr22_sgpr23
                                        ; implicit-def: $sgpr26_sgpr27
                                        ; implicit-def: $sgpr28_sgpr29
	s_branch .LBB386_120
.LBB386_119:                            ;   in Loop: Header=BB386_120 Depth=1
	s_or_b64 exec, exec, s[30:31]
	s_and_b64 s[0:1], exec, s[24:25]
	s_or_b64 s[18:19], s[0:1], s[18:19]
	s_andn2_b64 s[0:1], s[28:29], exec
	s_and_b64 s[4:5], s[26:27], exec
	s_or_b64 s[28:29], s[0:1], s[4:5]
	s_andn2_b64 s[0:1], s[20:21], exec
	s_and_b64 s[4:5], s[22:23], exec
	;; [unrolled: 3-line block ×3, first 2 shown]
	s_or_b64 s[16:17], s[0:1], s[2:3]
	s_andn2_b64 exec, exec, s[18:19]
	s_cbranch_execz .LBB386_122
.LBB386_120:                            ; =>This Inner Loop Header: Depth=1
	flat_load_dword v68, v[64:65]
	flat_load_dword v69, v[54:55]
	s_andn2_b64 s[26:27], s[26:27], exec
	s_or_b64 s[22:23], s[22:23], exec
	s_or_b64 s[24:25], s[24:25], exec
	s_waitcnt vmcnt(0) lgkmcnt(0)
	v_cmp_le_i32_e64 s[2:3], v68, v69
	v_cmp_lt_i32_e64 s[0:1], v68, v69
	s_and_b64 s[2:3], s[2:3], s[28:29]
	v_cmp_eq_u32_e64 s[4:5], v68, v69
	s_or_b64 s[2:3], s[0:1], s[2:3]
	s_and_saveexec_b64 s[30:31], s[4:5]
	s_cbranch_execz .LBB386_119
; %bb.121:                              ;   in Loop: Header=BB386_120 Depth=1
	v_lshl_add_u64 v[66:67], v[66:67], 0, -1
	v_cmp_eq_u64_e64 s[0:1], 0, v[66:67]
	s_andn2_b64 s[4:5], s[26:27], exec
	s_and_b64 s[26:27], s[2:3], exec
	s_or_b64 s[26:27], s[4:5], s[26:27]
	s_andn2_b64 s[4:5], s[24:25], exec
	s_and_b64 s[0:1], s[0:1], exec
	v_lshl_add_u64 v[54:55], v[54:55], 0, 4
	v_lshl_add_u64 v[64:65], v[64:65], 0, 4
	s_andn2_b64 s[22:23], s[22:23], exec
	s_or_b64 s[24:25], s[4:5], s[0:1]
                                        ; implicit-def: $sgpr28_sgpr29
	s_branch .LBB386_119
.LBB386_122:
	s_or_b64 exec, exec, s[18:19]
	s_and_saveexec_b64 s[0:1], s[20:21]
	s_xor_b64 s[0:1], exec, s[0:1]
; %bb.123:
	v_cndmask_b32_e64 v55, v19, v13, s[16:17]
	v_cndmask_b32_e64 v54, v18, v12, s[16:17]
	;; [unrolled: 1-line block ×4, first 2 shown]
	v_mov_b64_e32 v[18:19], v[54:55]
; %bb.124:
	s_or_b64 exec, exec, s[0:1]
	s_or_b64 exec, exec, s[14:15]
	s_and_saveexec_b64 s[14:15], vcc
	s_cbranch_execz .LBB386_20
.LBB386_125:
	v_mul_lo_u32 v64, v15, v6
	v_mul_lo_u32 v65, v14, v7
	v_mad_u64_u32 v[54:55], s[0:1], v14, v6, 0
	v_add3_u32 v55, v55, v65, v64
	v_mul_lo_u32 v66, v1, v6
	v_mul_lo_u32 v67, v0, v7
	v_mad_u64_u32 v[64:65], s[0:1], v0, v6, 0
	v_add3_u32 v65, v65, v67, v66
	v_lshl_add_u64 v[54:55], v[54:55], 2, v[8:9]
	v_lshl_add_u64 v[64:65], v[64:65], 2, v[8:9]
	s_mov_b64 s[18:19], 0
	v_mov_b64_e32 v[66:67], v[6:7]
                                        ; implicit-def: $sgpr16_sgpr17
                                        ; implicit-def: $sgpr20_sgpr21
                                        ; implicit-def: $sgpr24_sgpr25
                                        ; implicit-def: $sgpr22_sgpr23
                                        ; implicit-def: $sgpr26_sgpr27
                                        ; implicit-def: $sgpr28_sgpr29
	s_branch .LBB386_127
.LBB386_126:                            ;   in Loop: Header=BB386_127 Depth=1
	s_or_b64 exec, exec, s[30:31]
	s_and_b64 s[0:1], exec, s[24:25]
	s_or_b64 s[18:19], s[0:1], s[18:19]
	s_andn2_b64 s[0:1], s[28:29], exec
	s_and_b64 s[4:5], s[26:27], exec
	s_or_b64 s[28:29], s[0:1], s[4:5]
	s_andn2_b64 s[0:1], s[20:21], exec
	s_and_b64 s[4:5], s[22:23], exec
	;; [unrolled: 3-line block ×3, first 2 shown]
	s_or_b64 s[16:17], s[0:1], s[2:3]
	s_andn2_b64 exec, exec, s[18:19]
	s_cbranch_execz .LBB386_129
.LBB386_127:                            ; =>This Inner Loop Header: Depth=1
	flat_load_dword v68, v[64:65]
	flat_load_dword v69, v[54:55]
	s_andn2_b64 s[26:27], s[26:27], exec
	s_or_b64 s[22:23], s[22:23], exec
	s_or_b64 s[24:25], s[24:25], exec
	s_waitcnt vmcnt(0) lgkmcnt(0)
	v_cmp_le_i32_e64 s[2:3], v68, v69
	v_cmp_lt_i32_e64 s[0:1], v68, v69
	s_and_b64 s[2:3], s[2:3], s[28:29]
	v_cmp_eq_u32_e64 s[4:5], v68, v69
	s_or_b64 s[2:3], s[0:1], s[2:3]
	s_and_saveexec_b64 s[30:31], s[4:5]
	s_cbranch_execz .LBB386_126
; %bb.128:                              ;   in Loop: Header=BB386_127 Depth=1
	v_lshl_add_u64 v[66:67], v[66:67], 0, -1
	v_cmp_eq_u64_e64 s[0:1], 0, v[66:67]
	s_andn2_b64 s[4:5], s[26:27], exec
	s_and_b64 s[26:27], s[2:3], exec
	s_or_b64 s[26:27], s[4:5], s[26:27]
	s_andn2_b64 s[4:5], s[24:25], exec
	s_and_b64 s[0:1], s[0:1], exec
	v_lshl_add_u64 v[54:55], v[54:55], 0, 4
	v_lshl_add_u64 v[64:65], v[64:65], 0, 4
	s_andn2_b64 s[22:23], s[22:23], exec
	s_or_b64 s[24:25], s[4:5], s[0:1]
                                        ; implicit-def: $sgpr28_sgpr29
	s_branch .LBB386_126
.LBB386_129:
	s_or_b64 exec, exec, s[18:19]
	s_and_saveexec_b64 s[0:1], s[20:21]
	s_xor_b64 s[0:1], exec, s[0:1]
; %bb.130:
	v_cndmask_b32_e64 v55, v15, v1, s[16:17]
	v_cndmask_b32_e64 v54, v14, v0, s[16:17]
	;; [unrolled: 1-line block ×4, first 2 shown]
	v_mov_b64_e32 v[14:15], v[54:55]
; %bb.131:
	s_or_b64 exec, exec, s[0:1]
	s_or_b64 exec, exec, s[14:15]
	s_and_saveexec_b64 s[14:15], vcc
	s_cbranch_execz .LBB386_21
.LBB386_132:
	v_mul_lo_u32 v64, v21, v6
	v_mul_lo_u32 v65, v20, v7
	v_mad_u64_u32 v[54:55], s[0:1], v20, v6, 0
	v_add3_u32 v55, v55, v65, v64
	v_mul_lo_u32 v66, v23, v6
	v_mul_lo_u32 v67, v22, v7
	v_mad_u64_u32 v[64:65], s[0:1], v22, v6, 0
	v_add3_u32 v65, v65, v67, v66
	v_lshl_add_u64 v[54:55], v[54:55], 2, v[8:9]
	v_lshl_add_u64 v[64:65], v[64:65], 2, v[8:9]
	s_mov_b64 s[18:19], 0
	v_mov_b64_e32 v[66:67], v[6:7]
                                        ; implicit-def: $sgpr16_sgpr17
                                        ; implicit-def: $sgpr20_sgpr21
                                        ; implicit-def: $sgpr24_sgpr25
                                        ; implicit-def: $sgpr22_sgpr23
                                        ; implicit-def: $sgpr26_sgpr27
                                        ; implicit-def: $sgpr28_sgpr29
	s_branch .LBB386_134
.LBB386_133:                            ;   in Loop: Header=BB386_134 Depth=1
	s_or_b64 exec, exec, s[30:31]
	s_and_b64 s[0:1], exec, s[24:25]
	s_or_b64 s[18:19], s[0:1], s[18:19]
	s_andn2_b64 s[0:1], s[28:29], exec
	s_and_b64 s[4:5], s[26:27], exec
	s_or_b64 s[28:29], s[0:1], s[4:5]
	s_andn2_b64 s[0:1], s[20:21], exec
	s_and_b64 s[4:5], s[22:23], exec
	;; [unrolled: 3-line block ×3, first 2 shown]
	s_or_b64 s[16:17], s[0:1], s[2:3]
	s_andn2_b64 exec, exec, s[18:19]
	s_cbranch_execz .LBB386_136
.LBB386_134:                            ; =>This Inner Loop Header: Depth=1
	flat_load_dword v68, v[64:65]
	flat_load_dword v69, v[54:55]
	s_andn2_b64 s[26:27], s[26:27], exec
	s_or_b64 s[22:23], s[22:23], exec
	s_or_b64 s[24:25], s[24:25], exec
	s_waitcnt vmcnt(0) lgkmcnt(0)
	v_cmp_le_i32_e64 s[2:3], v68, v69
	v_cmp_lt_i32_e64 s[0:1], v68, v69
	s_and_b64 s[2:3], s[2:3], s[28:29]
	v_cmp_eq_u32_e64 s[4:5], v68, v69
	s_or_b64 s[2:3], s[0:1], s[2:3]
	s_and_saveexec_b64 s[30:31], s[4:5]
	s_cbranch_execz .LBB386_133
; %bb.135:                              ;   in Loop: Header=BB386_134 Depth=1
	v_lshl_add_u64 v[66:67], v[66:67], 0, -1
	v_cmp_eq_u64_e64 s[0:1], 0, v[66:67]
	s_andn2_b64 s[4:5], s[26:27], exec
	s_and_b64 s[26:27], s[2:3], exec
	s_or_b64 s[26:27], s[4:5], s[26:27]
	s_andn2_b64 s[4:5], s[24:25], exec
	s_and_b64 s[0:1], s[0:1], exec
	v_lshl_add_u64 v[54:55], v[54:55], 0, 4
	v_lshl_add_u64 v[64:65], v[64:65], 0, 4
	s_andn2_b64 s[22:23], s[22:23], exec
	s_or_b64 s[24:25], s[4:5], s[0:1]
                                        ; implicit-def: $sgpr28_sgpr29
	s_branch .LBB386_133
.LBB386_136:
	s_or_b64 exec, exec, s[18:19]
	s_and_saveexec_b64 s[0:1], s[20:21]
	s_xor_b64 s[0:1], exec, s[0:1]
; %bb.137:
	v_cndmask_b32_e64 v55, v23, v21, s[16:17]
	v_cndmask_b32_e64 v54, v22, v20, s[16:17]
	;; [unrolled: 1-line block ×4, first 2 shown]
	v_mov_b64_e32 v[22:23], v[54:55]
; %bb.138:
	s_or_b64 exec, exec, s[0:1]
	s_or_b64 exec, exec, s[14:15]
	s_and_saveexec_b64 s[14:15], vcc
	s_cbranch_execz .LBB386_22
.LBB386_139:
	v_mul_lo_u32 v64, v17, v6
	v_mul_lo_u32 v65, v16, v7
	v_mad_u64_u32 v[54:55], s[0:1], v16, v6, 0
	v_add3_u32 v55, v55, v65, v64
	v_mul_lo_u32 v66, v19, v6
	v_mul_lo_u32 v67, v18, v7
	v_mad_u64_u32 v[64:65], s[0:1], v18, v6, 0
	v_add3_u32 v65, v65, v67, v66
	v_lshl_add_u64 v[54:55], v[54:55], 2, v[8:9]
	v_lshl_add_u64 v[64:65], v[64:65], 2, v[8:9]
	s_mov_b64 s[18:19], 0
	v_mov_b64_e32 v[66:67], v[6:7]
                                        ; implicit-def: $sgpr16_sgpr17
                                        ; implicit-def: $sgpr20_sgpr21
                                        ; implicit-def: $sgpr24_sgpr25
                                        ; implicit-def: $sgpr22_sgpr23
                                        ; implicit-def: $sgpr26_sgpr27
                                        ; implicit-def: $sgpr28_sgpr29
	s_branch .LBB386_141
.LBB386_140:                            ;   in Loop: Header=BB386_141 Depth=1
	s_or_b64 exec, exec, s[30:31]
	s_and_b64 s[0:1], exec, s[24:25]
	s_or_b64 s[18:19], s[0:1], s[18:19]
	s_andn2_b64 s[0:1], s[28:29], exec
	s_and_b64 s[4:5], s[26:27], exec
	s_or_b64 s[28:29], s[0:1], s[4:5]
	s_andn2_b64 s[0:1], s[20:21], exec
	s_and_b64 s[4:5], s[22:23], exec
	;; [unrolled: 3-line block ×3, first 2 shown]
	s_or_b64 s[16:17], s[0:1], s[2:3]
	s_andn2_b64 exec, exec, s[18:19]
	s_cbranch_execz .LBB386_143
.LBB386_141:                            ; =>This Inner Loop Header: Depth=1
	flat_load_dword v68, v[64:65]
	flat_load_dword v69, v[54:55]
	s_andn2_b64 s[26:27], s[26:27], exec
	s_or_b64 s[22:23], s[22:23], exec
	s_or_b64 s[24:25], s[24:25], exec
	s_waitcnt vmcnt(0) lgkmcnt(0)
	v_cmp_le_i32_e64 s[2:3], v68, v69
	v_cmp_lt_i32_e64 s[0:1], v68, v69
	s_and_b64 s[2:3], s[2:3], s[28:29]
	v_cmp_eq_u32_e64 s[4:5], v68, v69
	s_or_b64 s[2:3], s[0:1], s[2:3]
	s_and_saveexec_b64 s[30:31], s[4:5]
	s_cbranch_execz .LBB386_140
; %bb.142:                              ;   in Loop: Header=BB386_141 Depth=1
	v_lshl_add_u64 v[66:67], v[66:67], 0, -1
	v_cmp_eq_u64_e64 s[0:1], 0, v[66:67]
	s_andn2_b64 s[4:5], s[26:27], exec
	s_and_b64 s[26:27], s[2:3], exec
	s_or_b64 s[26:27], s[4:5], s[26:27]
	s_andn2_b64 s[4:5], s[24:25], exec
	s_and_b64 s[0:1], s[0:1], exec
	v_lshl_add_u64 v[54:55], v[54:55], 0, 4
	v_lshl_add_u64 v[64:65], v[64:65], 0, 4
	s_andn2_b64 s[22:23], s[22:23], exec
	s_or_b64 s[24:25], s[4:5], s[0:1]
                                        ; implicit-def: $sgpr28_sgpr29
	s_branch .LBB386_140
.LBB386_143:
	s_or_b64 exec, exec, s[18:19]
	s_and_saveexec_b64 s[0:1], s[20:21]
	s_xor_b64 s[0:1], exec, s[0:1]
; %bb.144:
	v_cndmask_b32_e64 v55, v17, v19, s[16:17]
	v_cndmask_b32_e64 v54, v16, v18, s[16:17]
	;; [unrolled: 1-line block ×4, first 2 shown]
	v_mov_b64_e32 v[16:17], v[54:55]
; %bb.145:
	s_or_b64 exec, exec, s[0:1]
	s_or_b64 exec, exec, s[14:15]
	s_and_saveexec_b64 s[14:15], vcc
	s_cbranch_execz .LBB386_23
.LBB386_146:
	v_mul_lo_u32 v64, v13, v6
	v_mul_lo_u32 v65, v12, v7
	v_mad_u64_u32 v[54:55], s[0:1], v12, v6, 0
	v_add3_u32 v55, v55, v65, v64
	v_mul_lo_u32 v66, v15, v6
	v_mul_lo_u32 v67, v14, v7
	v_mad_u64_u32 v[64:65], s[0:1], v14, v6, 0
	v_add3_u32 v65, v65, v67, v66
	v_lshl_add_u64 v[54:55], v[54:55], 2, v[8:9]
	v_lshl_add_u64 v[64:65], v[64:65], 2, v[8:9]
	s_mov_b64 s[18:19], 0
	v_mov_b64_e32 v[66:67], v[6:7]
                                        ; implicit-def: $sgpr16_sgpr17
                                        ; implicit-def: $sgpr20_sgpr21
                                        ; implicit-def: $sgpr24_sgpr25
                                        ; implicit-def: $sgpr22_sgpr23
                                        ; implicit-def: $sgpr26_sgpr27
                                        ; implicit-def: $sgpr28_sgpr29
	s_branch .LBB386_148
.LBB386_147:                            ;   in Loop: Header=BB386_148 Depth=1
	s_or_b64 exec, exec, s[30:31]
	s_and_b64 s[0:1], exec, s[24:25]
	s_or_b64 s[18:19], s[0:1], s[18:19]
	s_andn2_b64 s[0:1], s[28:29], exec
	s_and_b64 s[4:5], s[26:27], exec
	s_or_b64 s[28:29], s[0:1], s[4:5]
	s_andn2_b64 s[0:1], s[20:21], exec
	s_and_b64 s[4:5], s[22:23], exec
	;; [unrolled: 3-line block ×3, first 2 shown]
	s_or_b64 s[16:17], s[0:1], s[2:3]
	s_andn2_b64 exec, exec, s[18:19]
	s_cbranch_execz .LBB386_150
.LBB386_148:                            ; =>This Inner Loop Header: Depth=1
	flat_load_dword v68, v[64:65]
	flat_load_dword v69, v[54:55]
	s_andn2_b64 s[26:27], s[26:27], exec
	s_or_b64 s[22:23], s[22:23], exec
	s_or_b64 s[24:25], s[24:25], exec
	s_waitcnt vmcnt(0) lgkmcnt(0)
	v_cmp_le_i32_e64 s[2:3], v68, v69
	v_cmp_lt_i32_e64 s[0:1], v68, v69
	s_and_b64 s[2:3], s[2:3], s[28:29]
	v_cmp_eq_u32_e64 s[4:5], v68, v69
	s_or_b64 s[2:3], s[0:1], s[2:3]
	s_and_saveexec_b64 s[30:31], s[4:5]
	s_cbranch_execz .LBB386_147
; %bb.149:                              ;   in Loop: Header=BB386_148 Depth=1
	v_lshl_add_u64 v[66:67], v[66:67], 0, -1
	v_cmp_eq_u64_e64 s[0:1], 0, v[66:67]
	s_andn2_b64 s[4:5], s[26:27], exec
	s_and_b64 s[26:27], s[2:3], exec
	s_or_b64 s[26:27], s[4:5], s[26:27]
	s_andn2_b64 s[4:5], s[24:25], exec
	s_and_b64 s[0:1], s[0:1], exec
	v_lshl_add_u64 v[54:55], v[54:55], 0, 4
	v_lshl_add_u64 v[64:65], v[64:65], 0, 4
	s_andn2_b64 s[22:23], s[22:23], exec
	s_or_b64 s[24:25], s[4:5], s[0:1]
                                        ; implicit-def: $sgpr28_sgpr29
	s_branch .LBB386_147
.LBB386_150:
	s_or_b64 exec, exec, s[18:19]
	s_and_saveexec_b64 s[0:1], s[20:21]
	s_xor_b64 s[0:1], exec, s[0:1]
; %bb.151:
	v_cndmask_b32_e64 v55, v13, v15, s[16:17]
	v_cndmask_b32_e64 v54, v12, v14, s[16:17]
	;; [unrolled: 1-line block ×4, first 2 shown]
	v_mov_b64_e32 v[12:13], v[54:55]
; %bb.152:
	s_or_b64 exec, exec, s[0:1]
	s_or_b64 exec, exec, s[14:15]
	s_and_saveexec_b64 s[14:15], vcc
	s_cbranch_execz .LBB386_24
.LBB386_153:
	v_mul_lo_u32 v64, v1, v6
	v_mul_lo_u32 v65, v0, v7
	v_mad_u64_u32 v[54:55], s[0:1], v0, v6, 0
	v_add3_u32 v55, v55, v65, v64
	v_mul_lo_u32 v66, v3, v6
	v_mul_lo_u32 v67, v2, v7
	v_mad_u64_u32 v[64:65], s[0:1], v2, v6, 0
	v_add3_u32 v65, v65, v67, v66
	v_lshl_add_u64 v[54:55], v[54:55], 2, v[8:9]
	v_lshl_add_u64 v[64:65], v[64:65], 2, v[8:9]
	s_mov_b64 s[18:19], 0
	v_mov_b64_e32 v[66:67], v[6:7]
                                        ; implicit-def: $sgpr16_sgpr17
                                        ; implicit-def: $sgpr20_sgpr21
                                        ; implicit-def: $sgpr24_sgpr25
                                        ; implicit-def: $sgpr22_sgpr23
                                        ; implicit-def: $sgpr26_sgpr27
                                        ; implicit-def: $sgpr28_sgpr29
	s_branch .LBB386_155
.LBB386_154:                            ;   in Loop: Header=BB386_155 Depth=1
	s_or_b64 exec, exec, s[30:31]
	s_and_b64 s[0:1], exec, s[24:25]
	s_or_b64 s[18:19], s[0:1], s[18:19]
	s_andn2_b64 s[0:1], s[28:29], exec
	s_and_b64 s[4:5], s[26:27], exec
	s_or_b64 s[28:29], s[0:1], s[4:5]
	s_andn2_b64 s[0:1], s[20:21], exec
	s_and_b64 s[4:5], s[22:23], exec
	;; [unrolled: 3-line block ×3, first 2 shown]
	s_or_b64 s[16:17], s[0:1], s[2:3]
	s_andn2_b64 exec, exec, s[18:19]
	s_cbranch_execz .LBB386_157
.LBB386_155:                            ; =>This Inner Loop Header: Depth=1
	flat_load_dword v68, v[64:65]
	flat_load_dword v69, v[54:55]
	s_andn2_b64 s[26:27], s[26:27], exec
	s_or_b64 s[22:23], s[22:23], exec
	s_or_b64 s[24:25], s[24:25], exec
	s_waitcnt vmcnt(0) lgkmcnt(0)
	v_cmp_le_i32_e64 s[2:3], v68, v69
	v_cmp_lt_i32_e64 s[0:1], v68, v69
	s_and_b64 s[2:3], s[2:3], s[28:29]
	v_cmp_eq_u32_e64 s[4:5], v68, v69
	s_or_b64 s[2:3], s[0:1], s[2:3]
	s_and_saveexec_b64 s[30:31], s[4:5]
	s_cbranch_execz .LBB386_154
; %bb.156:                              ;   in Loop: Header=BB386_155 Depth=1
	v_lshl_add_u64 v[66:67], v[66:67], 0, -1
	v_cmp_eq_u64_e64 s[0:1], 0, v[66:67]
	s_andn2_b64 s[4:5], s[26:27], exec
	s_and_b64 s[26:27], s[2:3], exec
	s_or_b64 s[26:27], s[4:5], s[26:27]
	s_andn2_b64 s[4:5], s[24:25], exec
	s_and_b64 s[0:1], s[0:1], exec
	v_lshl_add_u64 v[54:55], v[54:55], 0, 4
	v_lshl_add_u64 v[64:65], v[64:65], 0, 4
	s_andn2_b64 s[22:23], s[22:23], exec
	s_or_b64 s[24:25], s[4:5], s[0:1]
                                        ; implicit-def: $sgpr28_sgpr29
	s_branch .LBB386_154
.LBB386_157:
	s_or_b64 exec, exec, s[18:19]
	s_and_saveexec_b64 s[0:1], s[20:21]
	s_xor_b64 s[0:1], exec, s[0:1]
; %bb.158:
	v_cndmask_b32_e64 v55, v1, v3, s[16:17]
	v_cndmask_b32_e64 v54, v0, v2, s[16:17]
	;; [unrolled: 1-line block ×4, first 2 shown]
	v_mov_b64_e32 v[0:1], v[54:55]
; %bb.159:
	s_or_b64 exec, exec, s[0:1]
	s_or_b64 exec, exec, s[14:15]
	s_and_saveexec_b64 s[14:15], vcc
	s_cbranch_execz .LBB386_25
.LBB386_160:
	v_mul_lo_u32 v64, v23, v6
	v_mul_lo_u32 v65, v22, v7
	v_mad_u64_u32 v[54:55], s[0:1], v22, v6, 0
	v_add3_u32 v55, v55, v65, v64
	v_mul_lo_u32 v66, v17, v6
	v_mul_lo_u32 v67, v16, v7
	v_mad_u64_u32 v[64:65], s[0:1], v16, v6, 0
	v_add3_u32 v65, v65, v67, v66
	v_lshl_add_u64 v[54:55], v[54:55], 2, v[8:9]
	v_lshl_add_u64 v[64:65], v[64:65], 2, v[8:9]
	s_mov_b64 s[18:19], 0
	v_mov_b64_e32 v[66:67], v[6:7]
                                        ; implicit-def: $sgpr16_sgpr17
                                        ; implicit-def: $sgpr20_sgpr21
                                        ; implicit-def: $sgpr24_sgpr25
                                        ; implicit-def: $sgpr22_sgpr23
                                        ; implicit-def: $sgpr26_sgpr27
                                        ; implicit-def: $sgpr28_sgpr29
	s_branch .LBB386_162
.LBB386_161:                            ;   in Loop: Header=BB386_162 Depth=1
	s_or_b64 exec, exec, s[30:31]
	s_and_b64 s[0:1], exec, s[24:25]
	s_or_b64 s[18:19], s[0:1], s[18:19]
	s_andn2_b64 s[0:1], s[28:29], exec
	s_and_b64 s[4:5], s[26:27], exec
	s_or_b64 s[28:29], s[0:1], s[4:5]
	s_andn2_b64 s[0:1], s[20:21], exec
	s_and_b64 s[4:5], s[22:23], exec
	;; [unrolled: 3-line block ×3, first 2 shown]
	s_or_b64 s[16:17], s[0:1], s[2:3]
	s_andn2_b64 exec, exec, s[18:19]
	s_cbranch_execz .LBB386_164
.LBB386_162:                            ; =>This Inner Loop Header: Depth=1
	flat_load_dword v68, v[64:65]
	flat_load_dword v69, v[54:55]
	s_andn2_b64 s[26:27], s[26:27], exec
	s_or_b64 s[22:23], s[22:23], exec
	s_or_b64 s[24:25], s[24:25], exec
	s_waitcnt vmcnt(0) lgkmcnt(0)
	v_cmp_le_i32_e64 s[2:3], v68, v69
	v_cmp_lt_i32_e64 s[0:1], v68, v69
	s_and_b64 s[2:3], s[2:3], s[28:29]
	v_cmp_eq_u32_e64 s[4:5], v68, v69
	s_or_b64 s[2:3], s[0:1], s[2:3]
	s_and_saveexec_b64 s[30:31], s[4:5]
	s_cbranch_execz .LBB386_161
; %bb.163:                              ;   in Loop: Header=BB386_162 Depth=1
	v_lshl_add_u64 v[66:67], v[66:67], 0, -1
	v_cmp_eq_u64_e64 s[0:1], 0, v[66:67]
	s_andn2_b64 s[4:5], s[26:27], exec
	s_and_b64 s[26:27], s[2:3], exec
	s_or_b64 s[26:27], s[4:5], s[26:27]
	s_andn2_b64 s[4:5], s[24:25], exec
	s_and_b64 s[0:1], s[0:1], exec
	v_lshl_add_u64 v[54:55], v[54:55], 0, 4
	v_lshl_add_u64 v[64:65], v[64:65], 0, 4
	s_andn2_b64 s[22:23], s[22:23], exec
	s_or_b64 s[24:25], s[4:5], s[0:1]
                                        ; implicit-def: $sgpr28_sgpr29
	s_branch .LBB386_161
.LBB386_164:
	s_or_b64 exec, exec, s[18:19]
	s_and_saveexec_b64 s[0:1], s[20:21]
	s_xor_b64 s[0:1], exec, s[0:1]
; %bb.165:
	v_cndmask_b32_e64 v55, v23, v17, s[16:17]
	v_cndmask_b32_e64 v54, v22, v16, s[16:17]
	;; [unrolled: 1-line block ×4, first 2 shown]
	v_mov_b64_e32 v[22:23], v[54:55]
; %bb.166:
	s_or_b64 exec, exec, s[0:1]
	s_or_b64 exec, exec, s[14:15]
	s_and_saveexec_b64 s[14:15], vcc
	s_cbranch_execz .LBB386_26
.LBB386_167:
	v_mul_lo_u32 v64, v19, v6
	v_mul_lo_u32 v65, v18, v7
	v_mad_u64_u32 v[54:55], s[0:1], v18, v6, 0
	v_add3_u32 v55, v55, v65, v64
	v_mul_lo_u32 v66, v13, v6
	v_mul_lo_u32 v67, v12, v7
	v_mad_u64_u32 v[64:65], s[0:1], v12, v6, 0
	v_add3_u32 v65, v65, v67, v66
	v_lshl_add_u64 v[54:55], v[54:55], 2, v[8:9]
	v_lshl_add_u64 v[64:65], v[64:65], 2, v[8:9]
	s_mov_b64 s[18:19], 0
	v_mov_b64_e32 v[66:67], v[6:7]
                                        ; implicit-def: $sgpr16_sgpr17
                                        ; implicit-def: $sgpr20_sgpr21
                                        ; implicit-def: $sgpr24_sgpr25
                                        ; implicit-def: $sgpr22_sgpr23
                                        ; implicit-def: $sgpr26_sgpr27
                                        ; implicit-def: $sgpr28_sgpr29
	s_branch .LBB386_169
.LBB386_168:                            ;   in Loop: Header=BB386_169 Depth=1
	s_or_b64 exec, exec, s[30:31]
	s_and_b64 s[0:1], exec, s[24:25]
	s_or_b64 s[18:19], s[0:1], s[18:19]
	s_andn2_b64 s[0:1], s[28:29], exec
	s_and_b64 s[4:5], s[26:27], exec
	s_or_b64 s[28:29], s[0:1], s[4:5]
	s_andn2_b64 s[0:1], s[20:21], exec
	s_and_b64 s[4:5], s[22:23], exec
	s_or_b64 s[20:21], s[0:1], s[4:5]
	s_andn2_b64 s[0:1], s[16:17], exec
	s_and_b64 s[2:3], s[2:3], exec
	s_or_b64 s[16:17], s[0:1], s[2:3]
	s_andn2_b64 exec, exec, s[18:19]
	s_cbranch_execz .LBB386_171
.LBB386_169:                            ; =>This Inner Loop Header: Depth=1
	flat_load_dword v68, v[64:65]
	flat_load_dword v69, v[54:55]
	s_andn2_b64 s[26:27], s[26:27], exec
	s_or_b64 s[22:23], s[22:23], exec
	s_or_b64 s[24:25], s[24:25], exec
	s_waitcnt vmcnt(0) lgkmcnt(0)
	v_cmp_le_i32_e64 s[2:3], v68, v69
	v_cmp_lt_i32_e64 s[0:1], v68, v69
	s_and_b64 s[2:3], s[2:3], s[28:29]
	v_cmp_eq_u32_e64 s[4:5], v68, v69
	s_or_b64 s[2:3], s[0:1], s[2:3]
	s_and_saveexec_b64 s[30:31], s[4:5]
	s_cbranch_execz .LBB386_168
; %bb.170:                              ;   in Loop: Header=BB386_169 Depth=1
	v_lshl_add_u64 v[66:67], v[66:67], 0, -1
	v_cmp_eq_u64_e64 s[0:1], 0, v[66:67]
	s_andn2_b64 s[4:5], s[26:27], exec
	s_and_b64 s[26:27], s[2:3], exec
	s_or_b64 s[26:27], s[4:5], s[26:27]
	s_andn2_b64 s[4:5], s[24:25], exec
	s_and_b64 s[0:1], s[0:1], exec
	v_lshl_add_u64 v[54:55], v[54:55], 0, 4
	v_lshl_add_u64 v[64:65], v[64:65], 0, 4
	s_andn2_b64 s[22:23], s[22:23], exec
	s_or_b64 s[24:25], s[4:5], s[0:1]
                                        ; implicit-def: $sgpr28_sgpr29
	s_branch .LBB386_168
.LBB386_171:
	s_or_b64 exec, exec, s[18:19]
	s_and_saveexec_b64 s[0:1], s[20:21]
	s_xor_b64 s[0:1], exec, s[0:1]
; %bb.172:
	v_cndmask_b32_e64 v55, v19, v13, s[16:17]
	v_cndmask_b32_e64 v54, v18, v12, s[16:17]
	;; [unrolled: 1-line block ×4, first 2 shown]
	v_mov_b64_e32 v[18:19], v[54:55]
; %bb.173:
	s_or_b64 exec, exec, s[0:1]
	s_or_b64 exec, exec, s[14:15]
	s_and_saveexec_b64 s[14:15], vcc
	s_cbranch_execz .LBB386_27
.LBB386_174:
	v_mul_lo_u32 v64, v15, v6
	v_mul_lo_u32 v65, v14, v7
	v_mad_u64_u32 v[54:55], s[0:1], v14, v6, 0
	v_add3_u32 v55, v55, v65, v64
	v_mul_lo_u32 v66, v1, v6
	v_mul_lo_u32 v67, v0, v7
	v_mad_u64_u32 v[64:65], s[0:1], v0, v6, 0
	v_add3_u32 v65, v65, v67, v66
	v_lshl_add_u64 v[54:55], v[54:55], 2, v[8:9]
	v_lshl_add_u64 v[64:65], v[64:65], 2, v[8:9]
	s_mov_b64 s[18:19], 0
	v_mov_b64_e32 v[66:67], v[6:7]
                                        ; implicit-def: $sgpr16_sgpr17
                                        ; implicit-def: $sgpr20_sgpr21
                                        ; implicit-def: $sgpr24_sgpr25
                                        ; implicit-def: $sgpr22_sgpr23
                                        ; implicit-def: $sgpr26_sgpr27
                                        ; implicit-def: $sgpr28_sgpr29
	s_branch .LBB386_176
.LBB386_175:                            ;   in Loop: Header=BB386_176 Depth=1
	s_or_b64 exec, exec, s[30:31]
	s_and_b64 s[0:1], exec, s[24:25]
	s_or_b64 s[18:19], s[0:1], s[18:19]
	s_andn2_b64 s[0:1], s[28:29], exec
	s_and_b64 s[4:5], s[26:27], exec
	s_or_b64 s[28:29], s[0:1], s[4:5]
	s_andn2_b64 s[0:1], s[20:21], exec
	s_and_b64 s[4:5], s[22:23], exec
	;; [unrolled: 3-line block ×3, first 2 shown]
	s_or_b64 s[16:17], s[0:1], s[2:3]
	s_andn2_b64 exec, exec, s[18:19]
	s_cbranch_execz .LBB386_178
.LBB386_176:                            ; =>This Inner Loop Header: Depth=1
	flat_load_dword v68, v[64:65]
	flat_load_dword v69, v[54:55]
	s_andn2_b64 s[26:27], s[26:27], exec
	s_or_b64 s[22:23], s[22:23], exec
	s_or_b64 s[24:25], s[24:25], exec
	s_waitcnt vmcnt(0) lgkmcnt(0)
	v_cmp_le_i32_e64 s[2:3], v68, v69
	v_cmp_lt_i32_e64 s[0:1], v68, v69
	s_and_b64 s[2:3], s[2:3], s[28:29]
	v_cmp_eq_u32_e64 s[4:5], v68, v69
	s_or_b64 s[2:3], s[0:1], s[2:3]
	s_and_saveexec_b64 s[30:31], s[4:5]
	s_cbranch_execz .LBB386_175
; %bb.177:                              ;   in Loop: Header=BB386_176 Depth=1
	v_lshl_add_u64 v[66:67], v[66:67], 0, -1
	v_cmp_eq_u64_e64 s[0:1], 0, v[66:67]
	s_andn2_b64 s[4:5], s[26:27], exec
	s_and_b64 s[26:27], s[2:3], exec
	s_or_b64 s[26:27], s[4:5], s[26:27]
	s_andn2_b64 s[4:5], s[24:25], exec
	s_and_b64 s[0:1], s[0:1], exec
	v_lshl_add_u64 v[54:55], v[54:55], 0, 4
	v_lshl_add_u64 v[64:65], v[64:65], 0, 4
	s_andn2_b64 s[22:23], s[22:23], exec
	s_or_b64 s[24:25], s[4:5], s[0:1]
                                        ; implicit-def: $sgpr28_sgpr29
	s_branch .LBB386_175
.LBB386_178:
	s_or_b64 exec, exec, s[18:19]
	s_and_saveexec_b64 s[0:1], s[20:21]
	s_xor_b64 s[0:1], exec, s[0:1]
; %bb.179:
	v_cndmask_b32_e64 v55, v15, v1, s[16:17]
	v_cndmask_b32_e64 v54, v14, v0, s[16:17]
	;; [unrolled: 1-line block ×4, first 2 shown]
	v_mov_b64_e32 v[14:15], v[54:55]
; %bb.180:
	s_or_b64 exec, exec, s[0:1]
	s_or_b64 exec, exec, s[14:15]
	s_and_saveexec_b64 s[14:15], vcc
	s_cbranch_execz .LBB386_28
.LBB386_181:
	v_mul_lo_u32 v64, v21, v6
	v_mul_lo_u32 v65, v20, v7
	v_mad_u64_u32 v[54:55], s[0:1], v20, v6, 0
	v_add3_u32 v55, v55, v65, v64
	v_mul_lo_u32 v66, v23, v6
	v_mul_lo_u32 v67, v22, v7
	v_mad_u64_u32 v[64:65], s[0:1], v22, v6, 0
	v_add3_u32 v65, v65, v67, v66
	v_lshl_add_u64 v[54:55], v[54:55], 2, v[8:9]
	v_lshl_add_u64 v[64:65], v[64:65], 2, v[8:9]
	s_mov_b64 s[18:19], 0
	v_mov_b64_e32 v[66:67], v[6:7]
                                        ; implicit-def: $sgpr16_sgpr17
                                        ; implicit-def: $sgpr20_sgpr21
                                        ; implicit-def: $sgpr24_sgpr25
                                        ; implicit-def: $sgpr22_sgpr23
                                        ; implicit-def: $sgpr26_sgpr27
                                        ; implicit-def: $sgpr28_sgpr29
	s_branch .LBB386_183
.LBB386_182:                            ;   in Loop: Header=BB386_183 Depth=1
	s_or_b64 exec, exec, s[30:31]
	s_and_b64 s[0:1], exec, s[24:25]
	s_or_b64 s[18:19], s[0:1], s[18:19]
	s_andn2_b64 s[0:1], s[28:29], exec
	s_and_b64 s[4:5], s[26:27], exec
	s_or_b64 s[28:29], s[0:1], s[4:5]
	s_andn2_b64 s[0:1], s[20:21], exec
	s_and_b64 s[4:5], s[22:23], exec
	;; [unrolled: 3-line block ×3, first 2 shown]
	s_or_b64 s[16:17], s[0:1], s[2:3]
	s_andn2_b64 exec, exec, s[18:19]
	s_cbranch_execz .LBB386_185
.LBB386_183:                            ; =>This Inner Loop Header: Depth=1
	flat_load_dword v68, v[64:65]
	flat_load_dword v69, v[54:55]
	s_andn2_b64 s[26:27], s[26:27], exec
	s_or_b64 s[22:23], s[22:23], exec
	s_or_b64 s[24:25], s[24:25], exec
	s_waitcnt vmcnt(0) lgkmcnt(0)
	v_cmp_le_i32_e64 s[2:3], v68, v69
	v_cmp_lt_i32_e64 s[0:1], v68, v69
	s_and_b64 s[2:3], s[2:3], s[28:29]
	v_cmp_eq_u32_e64 s[4:5], v68, v69
	s_or_b64 s[2:3], s[0:1], s[2:3]
	s_and_saveexec_b64 s[30:31], s[4:5]
	s_cbranch_execz .LBB386_182
; %bb.184:                              ;   in Loop: Header=BB386_183 Depth=1
	v_lshl_add_u64 v[66:67], v[66:67], 0, -1
	v_cmp_eq_u64_e64 s[0:1], 0, v[66:67]
	s_andn2_b64 s[4:5], s[26:27], exec
	s_and_b64 s[26:27], s[2:3], exec
	s_or_b64 s[26:27], s[4:5], s[26:27]
	s_andn2_b64 s[4:5], s[24:25], exec
	s_and_b64 s[0:1], s[0:1], exec
	v_lshl_add_u64 v[54:55], v[54:55], 0, 4
	v_lshl_add_u64 v[64:65], v[64:65], 0, 4
	s_andn2_b64 s[22:23], s[22:23], exec
	s_or_b64 s[24:25], s[4:5], s[0:1]
                                        ; implicit-def: $sgpr28_sgpr29
	s_branch .LBB386_182
.LBB386_185:
	s_or_b64 exec, exec, s[18:19]
	s_and_saveexec_b64 s[0:1], s[20:21]
	s_xor_b64 s[0:1], exec, s[0:1]
; %bb.186:
	v_cndmask_b32_e64 v55, v23, v21, s[16:17]
	v_cndmask_b32_e64 v54, v22, v20, s[16:17]
	;; [unrolled: 1-line block ×4, first 2 shown]
	v_mov_b64_e32 v[22:23], v[54:55]
; %bb.187:
	s_or_b64 exec, exec, s[0:1]
	s_or_b64 exec, exec, s[14:15]
	s_and_saveexec_b64 s[14:15], vcc
	s_cbranch_execz .LBB386_29
.LBB386_188:
	v_mul_lo_u32 v64, v17, v6
	v_mul_lo_u32 v65, v16, v7
	v_mad_u64_u32 v[54:55], s[0:1], v16, v6, 0
	v_add3_u32 v55, v55, v65, v64
	v_mul_lo_u32 v66, v19, v6
	v_mul_lo_u32 v67, v18, v7
	v_mad_u64_u32 v[64:65], s[0:1], v18, v6, 0
	v_add3_u32 v65, v65, v67, v66
	v_lshl_add_u64 v[54:55], v[54:55], 2, v[8:9]
	v_lshl_add_u64 v[64:65], v[64:65], 2, v[8:9]
	s_mov_b64 s[18:19], 0
	v_mov_b64_e32 v[66:67], v[6:7]
                                        ; implicit-def: $sgpr16_sgpr17
                                        ; implicit-def: $sgpr20_sgpr21
                                        ; implicit-def: $sgpr24_sgpr25
                                        ; implicit-def: $sgpr22_sgpr23
                                        ; implicit-def: $sgpr26_sgpr27
                                        ; implicit-def: $sgpr28_sgpr29
	s_branch .LBB386_190
.LBB386_189:                            ;   in Loop: Header=BB386_190 Depth=1
	s_or_b64 exec, exec, s[30:31]
	s_and_b64 s[0:1], exec, s[24:25]
	s_or_b64 s[18:19], s[0:1], s[18:19]
	s_andn2_b64 s[0:1], s[28:29], exec
	s_and_b64 s[4:5], s[26:27], exec
	s_or_b64 s[28:29], s[0:1], s[4:5]
	s_andn2_b64 s[0:1], s[20:21], exec
	s_and_b64 s[4:5], s[22:23], exec
	;; [unrolled: 3-line block ×3, first 2 shown]
	s_or_b64 s[16:17], s[0:1], s[2:3]
	s_andn2_b64 exec, exec, s[18:19]
	s_cbranch_execz .LBB386_192
.LBB386_190:                            ; =>This Inner Loop Header: Depth=1
	flat_load_dword v68, v[64:65]
	flat_load_dword v69, v[54:55]
	s_andn2_b64 s[26:27], s[26:27], exec
	s_or_b64 s[22:23], s[22:23], exec
	s_or_b64 s[24:25], s[24:25], exec
	s_waitcnt vmcnt(0) lgkmcnt(0)
	v_cmp_le_i32_e64 s[2:3], v68, v69
	v_cmp_lt_i32_e64 s[0:1], v68, v69
	s_and_b64 s[2:3], s[2:3], s[28:29]
	v_cmp_eq_u32_e64 s[4:5], v68, v69
	s_or_b64 s[2:3], s[0:1], s[2:3]
	s_and_saveexec_b64 s[30:31], s[4:5]
	s_cbranch_execz .LBB386_189
; %bb.191:                              ;   in Loop: Header=BB386_190 Depth=1
	v_lshl_add_u64 v[66:67], v[66:67], 0, -1
	v_cmp_eq_u64_e64 s[0:1], 0, v[66:67]
	s_andn2_b64 s[4:5], s[26:27], exec
	s_and_b64 s[26:27], s[2:3], exec
	s_or_b64 s[26:27], s[4:5], s[26:27]
	s_andn2_b64 s[4:5], s[24:25], exec
	s_and_b64 s[0:1], s[0:1], exec
	v_lshl_add_u64 v[54:55], v[54:55], 0, 4
	v_lshl_add_u64 v[64:65], v[64:65], 0, 4
	s_andn2_b64 s[22:23], s[22:23], exec
	s_or_b64 s[24:25], s[4:5], s[0:1]
                                        ; implicit-def: $sgpr28_sgpr29
	s_branch .LBB386_189
.LBB386_192:
	s_or_b64 exec, exec, s[18:19]
	s_and_saveexec_b64 s[0:1], s[20:21]
	s_xor_b64 s[0:1], exec, s[0:1]
; %bb.193:
	v_cndmask_b32_e64 v55, v17, v19, s[16:17]
	v_cndmask_b32_e64 v54, v16, v18, s[16:17]
	;; [unrolled: 1-line block ×4, first 2 shown]
	v_mov_b64_e32 v[16:17], v[54:55]
; %bb.194:
	s_or_b64 exec, exec, s[0:1]
	s_or_b64 exec, exec, s[14:15]
	s_and_saveexec_b64 s[14:15], vcc
	s_cbranch_execz .LBB386_30
.LBB386_195:
	v_mul_lo_u32 v64, v13, v6
	v_mul_lo_u32 v65, v12, v7
	v_mad_u64_u32 v[54:55], s[0:1], v12, v6, 0
	v_add3_u32 v55, v55, v65, v64
	v_mul_lo_u32 v66, v15, v6
	v_mul_lo_u32 v67, v14, v7
	v_mad_u64_u32 v[64:65], s[0:1], v14, v6, 0
	v_add3_u32 v65, v65, v67, v66
	v_lshl_add_u64 v[54:55], v[54:55], 2, v[8:9]
	v_lshl_add_u64 v[64:65], v[64:65], 2, v[8:9]
	s_mov_b64 s[18:19], 0
	v_mov_b64_e32 v[66:67], v[6:7]
                                        ; implicit-def: $sgpr16_sgpr17
                                        ; implicit-def: $sgpr20_sgpr21
                                        ; implicit-def: $sgpr24_sgpr25
                                        ; implicit-def: $sgpr22_sgpr23
                                        ; implicit-def: $sgpr26_sgpr27
                                        ; implicit-def: $sgpr28_sgpr29
	s_branch .LBB386_197
.LBB386_196:                            ;   in Loop: Header=BB386_197 Depth=1
	s_or_b64 exec, exec, s[30:31]
	s_and_b64 s[0:1], exec, s[24:25]
	s_or_b64 s[18:19], s[0:1], s[18:19]
	s_andn2_b64 s[0:1], s[28:29], exec
	s_and_b64 s[4:5], s[26:27], exec
	s_or_b64 s[28:29], s[0:1], s[4:5]
	s_andn2_b64 s[0:1], s[20:21], exec
	s_and_b64 s[4:5], s[22:23], exec
	;; [unrolled: 3-line block ×3, first 2 shown]
	s_or_b64 s[16:17], s[0:1], s[2:3]
	s_andn2_b64 exec, exec, s[18:19]
	s_cbranch_execz .LBB386_199
.LBB386_197:                            ; =>This Inner Loop Header: Depth=1
	flat_load_dword v68, v[64:65]
	flat_load_dword v69, v[54:55]
	s_andn2_b64 s[26:27], s[26:27], exec
	s_or_b64 s[22:23], s[22:23], exec
	s_or_b64 s[24:25], s[24:25], exec
	s_waitcnt vmcnt(0) lgkmcnt(0)
	v_cmp_le_i32_e64 s[2:3], v68, v69
	v_cmp_lt_i32_e64 s[0:1], v68, v69
	s_and_b64 s[2:3], s[2:3], s[28:29]
	v_cmp_eq_u32_e64 s[4:5], v68, v69
	s_or_b64 s[2:3], s[0:1], s[2:3]
	s_and_saveexec_b64 s[30:31], s[4:5]
	s_cbranch_execz .LBB386_196
; %bb.198:                              ;   in Loop: Header=BB386_197 Depth=1
	v_lshl_add_u64 v[66:67], v[66:67], 0, -1
	v_cmp_eq_u64_e64 s[0:1], 0, v[66:67]
	s_andn2_b64 s[4:5], s[26:27], exec
	s_and_b64 s[26:27], s[2:3], exec
	s_or_b64 s[26:27], s[4:5], s[26:27]
	s_andn2_b64 s[4:5], s[24:25], exec
	s_and_b64 s[0:1], s[0:1], exec
	v_lshl_add_u64 v[54:55], v[54:55], 0, 4
	v_lshl_add_u64 v[64:65], v[64:65], 0, 4
	s_andn2_b64 s[22:23], s[22:23], exec
	s_or_b64 s[24:25], s[4:5], s[0:1]
                                        ; implicit-def: $sgpr28_sgpr29
	s_branch .LBB386_196
.LBB386_199:
	s_or_b64 exec, exec, s[18:19]
	s_and_saveexec_b64 s[0:1], s[20:21]
	s_xor_b64 s[0:1], exec, s[0:1]
; %bb.200:
	v_cndmask_b32_e64 v55, v13, v15, s[16:17]
	v_cndmask_b32_e64 v54, v12, v14, s[16:17]
	;; [unrolled: 1-line block ×4, first 2 shown]
	v_mov_b64_e32 v[12:13], v[54:55]
; %bb.201:
	s_or_b64 exec, exec, s[0:1]
	s_or_b64 exec, exec, s[14:15]
	s_and_saveexec_b64 s[14:15], vcc
	s_cbranch_execz .LBB386_31
.LBB386_202:
	v_mul_lo_u32 v64, v1, v6
	v_mul_lo_u32 v65, v0, v7
	v_mad_u64_u32 v[54:55], s[0:1], v0, v6, 0
	v_add3_u32 v55, v55, v65, v64
	v_mul_lo_u32 v66, v3, v6
	v_mul_lo_u32 v67, v2, v7
	v_mad_u64_u32 v[64:65], s[0:1], v2, v6, 0
	v_add3_u32 v65, v65, v67, v66
	v_lshl_add_u64 v[54:55], v[54:55], 2, v[8:9]
	v_lshl_add_u64 v[64:65], v[64:65], 2, v[8:9]
	s_mov_b64 s[18:19], 0
	v_mov_b64_e32 v[66:67], v[6:7]
                                        ; implicit-def: $sgpr16_sgpr17
                                        ; implicit-def: $sgpr20_sgpr21
                                        ; implicit-def: $sgpr24_sgpr25
                                        ; implicit-def: $sgpr22_sgpr23
                                        ; implicit-def: $sgpr26_sgpr27
                                        ; implicit-def: $sgpr28_sgpr29
	s_branch .LBB386_204
.LBB386_203:                            ;   in Loop: Header=BB386_204 Depth=1
	s_or_b64 exec, exec, s[30:31]
	s_and_b64 s[0:1], exec, s[24:25]
	s_or_b64 s[18:19], s[0:1], s[18:19]
	s_andn2_b64 s[0:1], s[28:29], exec
	s_and_b64 s[4:5], s[26:27], exec
	s_or_b64 s[28:29], s[0:1], s[4:5]
	s_andn2_b64 s[0:1], s[20:21], exec
	s_and_b64 s[4:5], s[22:23], exec
	;; [unrolled: 3-line block ×3, first 2 shown]
	s_or_b64 s[16:17], s[0:1], s[2:3]
	s_andn2_b64 exec, exec, s[18:19]
	s_cbranch_execz .LBB386_206
.LBB386_204:                            ; =>This Inner Loop Header: Depth=1
	flat_load_dword v68, v[64:65]
	flat_load_dword v69, v[54:55]
	s_andn2_b64 s[26:27], s[26:27], exec
	s_or_b64 s[22:23], s[22:23], exec
	s_or_b64 s[24:25], s[24:25], exec
	s_waitcnt vmcnt(0) lgkmcnt(0)
	v_cmp_le_i32_e64 s[2:3], v68, v69
	v_cmp_lt_i32_e64 s[0:1], v68, v69
	s_and_b64 s[2:3], s[2:3], s[28:29]
	v_cmp_eq_u32_e64 s[4:5], v68, v69
	s_or_b64 s[2:3], s[0:1], s[2:3]
	s_and_saveexec_b64 s[30:31], s[4:5]
	s_cbranch_execz .LBB386_203
; %bb.205:                              ;   in Loop: Header=BB386_204 Depth=1
	v_lshl_add_u64 v[66:67], v[66:67], 0, -1
	v_cmp_eq_u64_e64 s[0:1], 0, v[66:67]
	s_andn2_b64 s[4:5], s[26:27], exec
	s_and_b64 s[26:27], s[2:3], exec
	s_or_b64 s[26:27], s[4:5], s[26:27]
	s_andn2_b64 s[4:5], s[24:25], exec
	s_and_b64 s[0:1], s[0:1], exec
	v_lshl_add_u64 v[54:55], v[54:55], 0, 4
	v_lshl_add_u64 v[64:65], v[64:65], 0, 4
	s_andn2_b64 s[22:23], s[22:23], exec
	s_or_b64 s[24:25], s[4:5], s[0:1]
                                        ; implicit-def: $sgpr28_sgpr29
	s_branch .LBB386_203
.LBB386_206:
	s_or_b64 exec, exec, s[18:19]
	s_and_saveexec_b64 s[0:1], s[20:21]
	s_xor_b64 s[0:1], exec, s[0:1]
; %bb.207:
	v_cndmask_b32_e64 v55, v1, v3, s[16:17]
	v_cndmask_b32_e64 v54, v0, v2, s[16:17]
	;; [unrolled: 1-line block ×4, first 2 shown]
	v_mov_b64_e32 v[0:1], v[54:55]
; %bb.208:
	s_or_b64 exec, exec, s[0:1]
	s_or_b64 exec, exec, s[14:15]
	s_and_saveexec_b64 s[14:15], vcc
	s_cbranch_execz .LBB386_32
.LBB386_209:
	v_mul_lo_u32 v64, v23, v6
	v_mul_lo_u32 v65, v22, v7
	v_mad_u64_u32 v[54:55], s[0:1], v22, v6, 0
	v_add3_u32 v55, v55, v65, v64
	v_mul_lo_u32 v66, v17, v6
	v_mul_lo_u32 v67, v16, v7
	v_mad_u64_u32 v[64:65], s[0:1], v16, v6, 0
	v_add3_u32 v65, v65, v67, v66
	v_lshl_add_u64 v[54:55], v[54:55], 2, v[8:9]
	v_lshl_add_u64 v[64:65], v[64:65], 2, v[8:9]
	s_mov_b64 s[18:19], 0
	v_mov_b64_e32 v[66:67], v[6:7]
                                        ; implicit-def: $sgpr16_sgpr17
                                        ; implicit-def: $sgpr20_sgpr21
                                        ; implicit-def: $sgpr24_sgpr25
                                        ; implicit-def: $sgpr22_sgpr23
                                        ; implicit-def: $sgpr26_sgpr27
                                        ; implicit-def: $sgpr28_sgpr29
	s_branch .LBB386_211
.LBB386_210:                            ;   in Loop: Header=BB386_211 Depth=1
	s_or_b64 exec, exec, s[30:31]
	s_and_b64 s[0:1], exec, s[24:25]
	s_or_b64 s[18:19], s[0:1], s[18:19]
	s_andn2_b64 s[0:1], s[28:29], exec
	s_and_b64 s[4:5], s[26:27], exec
	s_or_b64 s[28:29], s[0:1], s[4:5]
	s_andn2_b64 s[0:1], s[20:21], exec
	s_and_b64 s[4:5], s[22:23], exec
	;; [unrolled: 3-line block ×3, first 2 shown]
	s_or_b64 s[16:17], s[0:1], s[2:3]
	s_andn2_b64 exec, exec, s[18:19]
	s_cbranch_execz .LBB386_213
.LBB386_211:                            ; =>This Inner Loop Header: Depth=1
	flat_load_dword v68, v[64:65]
	flat_load_dword v69, v[54:55]
	s_andn2_b64 s[26:27], s[26:27], exec
	s_or_b64 s[22:23], s[22:23], exec
	s_or_b64 s[24:25], s[24:25], exec
	s_waitcnt vmcnt(0) lgkmcnt(0)
	v_cmp_le_i32_e64 s[2:3], v68, v69
	v_cmp_lt_i32_e64 s[0:1], v68, v69
	s_and_b64 s[2:3], s[2:3], s[28:29]
	v_cmp_eq_u32_e64 s[4:5], v68, v69
	s_or_b64 s[2:3], s[0:1], s[2:3]
	s_and_saveexec_b64 s[30:31], s[4:5]
	s_cbranch_execz .LBB386_210
; %bb.212:                              ;   in Loop: Header=BB386_211 Depth=1
	v_lshl_add_u64 v[66:67], v[66:67], 0, -1
	v_cmp_eq_u64_e64 s[0:1], 0, v[66:67]
	s_andn2_b64 s[4:5], s[26:27], exec
	s_and_b64 s[26:27], s[2:3], exec
	s_or_b64 s[26:27], s[4:5], s[26:27]
	s_andn2_b64 s[4:5], s[24:25], exec
	s_and_b64 s[0:1], s[0:1], exec
	v_lshl_add_u64 v[54:55], v[54:55], 0, 4
	v_lshl_add_u64 v[64:65], v[64:65], 0, 4
	s_andn2_b64 s[22:23], s[22:23], exec
	s_or_b64 s[24:25], s[4:5], s[0:1]
                                        ; implicit-def: $sgpr28_sgpr29
	s_branch .LBB386_210
.LBB386_213:
	s_or_b64 exec, exec, s[18:19]
	s_and_saveexec_b64 s[0:1], s[20:21]
	s_xor_b64 s[0:1], exec, s[0:1]
; %bb.214:
	v_cndmask_b32_e64 v55, v23, v17, s[16:17]
	v_cndmask_b32_e64 v54, v22, v16, s[16:17]
	;; [unrolled: 1-line block ×4, first 2 shown]
	v_mov_b64_e32 v[22:23], v[54:55]
; %bb.215:
	s_or_b64 exec, exec, s[0:1]
	s_or_b64 exec, exec, s[14:15]
	s_and_saveexec_b64 s[14:15], vcc
	s_cbranch_execz .LBB386_33
.LBB386_216:
	v_mul_lo_u32 v64, v19, v6
	v_mul_lo_u32 v65, v18, v7
	v_mad_u64_u32 v[54:55], s[0:1], v18, v6, 0
	v_add3_u32 v55, v55, v65, v64
	v_mul_lo_u32 v66, v13, v6
	v_mul_lo_u32 v67, v12, v7
	v_mad_u64_u32 v[64:65], s[0:1], v12, v6, 0
	v_add3_u32 v65, v65, v67, v66
	v_lshl_add_u64 v[54:55], v[54:55], 2, v[8:9]
	v_lshl_add_u64 v[64:65], v[64:65], 2, v[8:9]
	s_mov_b64 s[18:19], 0
	v_mov_b64_e32 v[66:67], v[6:7]
                                        ; implicit-def: $sgpr16_sgpr17
                                        ; implicit-def: $sgpr20_sgpr21
                                        ; implicit-def: $sgpr24_sgpr25
                                        ; implicit-def: $sgpr22_sgpr23
                                        ; implicit-def: $sgpr26_sgpr27
                                        ; implicit-def: $sgpr28_sgpr29
	s_branch .LBB386_218
.LBB386_217:                            ;   in Loop: Header=BB386_218 Depth=1
	s_or_b64 exec, exec, s[30:31]
	s_and_b64 s[0:1], exec, s[24:25]
	s_or_b64 s[18:19], s[0:1], s[18:19]
	s_andn2_b64 s[0:1], s[28:29], exec
	s_and_b64 s[4:5], s[26:27], exec
	s_or_b64 s[28:29], s[0:1], s[4:5]
	s_andn2_b64 s[0:1], s[20:21], exec
	s_and_b64 s[4:5], s[22:23], exec
	;; [unrolled: 3-line block ×3, first 2 shown]
	s_or_b64 s[16:17], s[0:1], s[2:3]
	s_andn2_b64 exec, exec, s[18:19]
	s_cbranch_execz .LBB386_220
.LBB386_218:                            ; =>This Inner Loop Header: Depth=1
	flat_load_dword v68, v[64:65]
	flat_load_dword v69, v[54:55]
	s_andn2_b64 s[26:27], s[26:27], exec
	s_or_b64 s[22:23], s[22:23], exec
	s_or_b64 s[24:25], s[24:25], exec
	s_waitcnt vmcnt(0) lgkmcnt(0)
	v_cmp_le_i32_e64 s[2:3], v68, v69
	v_cmp_lt_i32_e64 s[0:1], v68, v69
	s_and_b64 s[2:3], s[2:3], s[28:29]
	v_cmp_eq_u32_e64 s[4:5], v68, v69
	s_or_b64 s[2:3], s[0:1], s[2:3]
	s_and_saveexec_b64 s[30:31], s[4:5]
	s_cbranch_execz .LBB386_217
; %bb.219:                              ;   in Loop: Header=BB386_218 Depth=1
	v_lshl_add_u64 v[66:67], v[66:67], 0, -1
	v_cmp_eq_u64_e64 s[0:1], 0, v[66:67]
	s_andn2_b64 s[4:5], s[26:27], exec
	s_and_b64 s[26:27], s[2:3], exec
	s_or_b64 s[26:27], s[4:5], s[26:27]
	s_andn2_b64 s[4:5], s[24:25], exec
	s_and_b64 s[0:1], s[0:1], exec
	v_lshl_add_u64 v[54:55], v[54:55], 0, 4
	v_lshl_add_u64 v[64:65], v[64:65], 0, 4
	s_andn2_b64 s[22:23], s[22:23], exec
	s_or_b64 s[24:25], s[4:5], s[0:1]
                                        ; implicit-def: $sgpr28_sgpr29
	s_branch .LBB386_217
.LBB386_220:
	s_or_b64 exec, exec, s[18:19]
	s_and_saveexec_b64 s[0:1], s[20:21]
	s_xor_b64 s[0:1], exec, s[0:1]
; %bb.221:
	v_cndmask_b32_e64 v55, v19, v13, s[16:17]
	v_cndmask_b32_e64 v54, v18, v12, s[16:17]
	;; [unrolled: 1-line block ×4, first 2 shown]
	v_mov_b64_e32 v[18:19], v[54:55]
; %bb.222:
	s_or_b64 exec, exec, s[0:1]
	s_or_b64 exec, exec, s[14:15]
	s_and_saveexec_b64 s[14:15], vcc
	s_cbranch_execz .LBB386_230
.LBB386_223:
	v_mul_lo_u32 v64, v15, v6
	v_mul_lo_u32 v65, v14, v7
	v_mad_u64_u32 v[54:55], s[0:1], v14, v6, 0
	v_add3_u32 v55, v55, v65, v64
	v_mul_lo_u32 v66, v1, v6
	v_mul_lo_u32 v67, v0, v7
	v_mad_u64_u32 v[64:65], s[0:1], v0, v6, 0
	v_add3_u32 v65, v65, v67, v66
	v_lshl_add_u64 v[54:55], v[54:55], 2, v[8:9]
	v_lshl_add_u64 v[64:65], v[64:65], 2, v[8:9]
	s_mov_b64 s[20:21], 0
	v_mov_b64_e32 v[66:67], v[6:7]
                                        ; implicit-def: $sgpr16_sgpr17
                                        ; implicit-def: $sgpr18_sgpr19
                                        ; implicit-def: $sgpr24_sgpr25
                                        ; implicit-def: $sgpr22_sgpr23
                                        ; implicit-def: $sgpr26_sgpr27
                                        ; implicit-def: $sgpr28_sgpr29
	s_branch .LBB386_225
.LBB386_224:                            ;   in Loop: Header=BB386_225 Depth=1
	s_or_b64 exec, exec, s[30:31]
	s_and_b64 s[0:1], exec, s[24:25]
	s_or_b64 s[20:21], s[0:1], s[20:21]
	s_andn2_b64 s[0:1], s[28:29], exec
	s_and_b64 s[4:5], s[26:27], exec
	s_or_b64 s[28:29], s[0:1], s[4:5]
	s_andn2_b64 s[0:1], s[18:19], exec
	s_and_b64 s[4:5], s[22:23], exec
	;; [unrolled: 3-line block ×3, first 2 shown]
	s_or_b64 s[16:17], s[0:1], s[2:3]
	s_andn2_b64 exec, exec, s[20:21]
	s_cbranch_execz .LBB386_227
.LBB386_225:                            ; =>This Inner Loop Header: Depth=1
	flat_load_dword v68, v[64:65]
	flat_load_dword v69, v[54:55]
	s_andn2_b64 s[26:27], s[26:27], exec
	s_or_b64 s[22:23], s[22:23], exec
	s_or_b64 s[24:25], s[24:25], exec
	s_waitcnt vmcnt(0) lgkmcnt(0)
	v_cmp_le_i32_e64 s[2:3], v68, v69
	v_cmp_lt_i32_e64 s[0:1], v68, v69
	s_and_b64 s[2:3], s[2:3], s[28:29]
	v_cmp_eq_u32_e64 s[4:5], v68, v69
	s_or_b64 s[2:3], s[0:1], s[2:3]
	s_and_saveexec_b64 s[30:31], s[4:5]
	s_cbranch_execz .LBB386_224
; %bb.226:                              ;   in Loop: Header=BB386_225 Depth=1
	v_lshl_add_u64 v[66:67], v[66:67], 0, -1
	v_cmp_eq_u64_e64 s[0:1], 0, v[66:67]
	s_andn2_b64 s[4:5], s[26:27], exec
	s_and_b64 s[26:27], s[2:3], exec
	s_or_b64 s[26:27], s[4:5], s[26:27]
	s_andn2_b64 s[4:5], s[24:25], exec
	s_and_b64 s[0:1], s[0:1], exec
	v_lshl_add_u64 v[54:55], v[54:55], 0, 4
	v_lshl_add_u64 v[64:65], v[64:65], 0, 4
	s_andn2_b64 s[22:23], s[22:23], exec
	s_or_b64 s[24:25], s[4:5], s[0:1]
                                        ; implicit-def: $sgpr28_sgpr29
	s_branch .LBB386_224
.LBB386_227:
	s_or_b64 exec, exec, s[20:21]
	s_and_saveexec_b64 s[0:1], s[18:19]
	s_xor_b64 s[0:1], exec, s[0:1]
; %bb.228:
	v_cndmask_b32_e64 v55, v15, v1, s[16:17]
	v_cndmask_b32_e64 v54, v14, v0, s[16:17]
	;; [unrolled: 1-line block ×4, first 2 shown]
	v_mov_b64_e32 v[14:15], v[54:55]
; %bb.229:
	s_or_b64 exec, exec, s[0:1]
.LBB386_230:
	s_or_b64 exec, exec, s[14:15]
.LBB386_231:
	s_or_b64 exec, exec, s[10:11]
	v_mbcnt_lo_u32_b32 v54, -1, 0
	v_mbcnt_hi_u32_b32 v64, -1, v54
	v_and_b32_e32 v66, 0xfffffe00, v31
	s_movk_i32 s0, 0x800
	v_mov_b32_e32 v67, 0
	v_sub_u32_e64 v31, s0, v66 clamp
	v_lshl_add_u64 v[54:55], v[66:67], 3, v[10:11]
	v_lshlrev_b32_e32 v98, 3, v64
	v_lshlrev_b32_e32 v66, 6, v64
	v_lshl_add_u64 v[64:65], v[54:55], 0, v[66:67]
	v_or_b32_e32 v66, 8, v98
	v_min_u32_e32 v99, v31, v66
	v_add_u32_e32 v66, 8, v99
	v_and_b32_e32 v101, 0x3f0, v98
	v_min_u32_e32 v100, v31, v66
	v_and_b32_e32 v66, 8, v98
	v_min_u32_e32 v102, v31, v66
	v_sub_u32_e32 v66, v99, v101
	v_sub_u32_e32 v68, v100, v99
	v_sub_u32_e64 v103, v102, v68 clamp
	v_min_u32_e32 v112, v102, v66
	v_cmp_lt_u32_e64 s[0:1], v103, v112
	flat_store_dwordx4 v[64:65], v[20:23]
	flat_store_dwordx4 v[64:65], v[16:19] offset:16
	flat_store_dwordx4 v[64:65], v[12:15] offset:32
	;; [unrolled: 1-line block ×3, first 2 shown]
	; wave barrier
	s_and_saveexec_b64 s[10:11], s[0:1]
	s_cbranch_execz .LBB386_241
; %bb.232:
	v_lshlrev_b32_e32 v66, 3, v101
	v_lshl_add_u64 v[68:69], v[54:55], 0, v[66:67]
	v_lshlrev_b32_e32 v66, 3, v99
	v_lshl_add_u64 v[70:71], v[54:55], 0, v[66:67]
	v_lshlrev_b64 v[80:81], 2, v[6:7]
	s_mov_b64 s[14:15], 0
	s_branch .LBB386_235
.LBB386_233:                            ;   in Loop: Header=BB386_235 Depth=1
	s_or_b64 exec, exec, s[18:19]
	s_and_b64 s[0:1], s[20:21], exec
.LBB386_234:                            ;   in Loop: Header=BB386_235 Depth=1
	s_or_b64 exec, exec, s[16:17]
	v_add_u32_e32 v66, 1, v82
	v_cndmask_b32_e64 v112, v112, v82, s[0:1]
	v_cndmask_b32_e64 v103, v66, v103, s[0:1]
	v_cmp_ge_u32_e64 s[0:1], v103, v112
	s_or_b64 s[14:15], s[0:1], s[14:15]
	s_andn2_b64 exec, exec, s[14:15]
	s_cbranch_execz .LBB386_240
.LBB386_235:                            ; =>This Loop Header: Depth=1
                                        ;     Child Loop BB386_238 Depth 2
	v_add_u32_e32 v66, v112, v103
	v_lshrrev_b32_e32 v82, 1, v66
	s_mov_b64 s[0:1], 0
	s_and_saveexec_b64 s[16:17], vcc
	s_cbranch_execz .LBB386_234
; %bb.236:                              ;   in Loop: Header=BB386_235 Depth=1
	v_mov_b32_e32 v83, v67
	v_xad_u32 v66, v82, -1, v102
	v_lshl_add_u64 v[84:85], v[82:83], 3, v[68:69]
	v_lshl_add_u64 v[86:87], v[66:67], 3, v[70:71]
	flat_load_dwordx2 v[84:85], v[84:85]
	s_mov_b64 s[18:19], 0
	flat_load_dwordx2 v[86:87], v[86:87]
                                        ; implicit-def: $sgpr20_sgpr21
                                        ; implicit-def: $sgpr22_sgpr23
                                        ; implicit-def: $sgpr24_sgpr25
                                        ; implicit-def: $sgpr2_sgpr3
                                        ; implicit-def: $sgpr26_sgpr27
	s_waitcnt vmcnt(0) lgkmcnt(0)
	v_mul_lo_u32 v66, v80, v85
	v_mul_lo_u32 v83, v81, v84
	v_mad_u64_u32 v[84:85], s[0:1], v80, v84, v[8:9]
	v_mul_lo_u32 v96, v80, v87
	v_mul_lo_u32 v97, v81, v86
	v_mad_u64_u32 v[86:87], s[0:1], v80, v86, v[8:9]
	v_add3_u32 v85, v83, v85, v66
	v_add3_u32 v87, v97, v87, v96
	v_mov_b64_e32 v[96:97], v[6:7]
	s_branch .LBB386_238
.LBB386_237:                            ;   in Loop: Header=BB386_238 Depth=2
	s_or_b64 exec, exec, s[28:29]
	s_and_b64 s[0:1], exec, s[22:23]
	s_or_b64 s[18:19], s[0:1], s[18:19]
	s_andn2_b64 s[0:1], s[26:27], exec
	s_and_b64 s[4:5], s[24:25], exec
	s_or_b64 s[26:27], s[0:1], s[4:5]
	s_andn2_b64 s[0:1], s[20:21], exec
	s_and_b64 s[4:5], s[2:3], exec
	s_or_b64 s[20:21], s[0:1], s[4:5]
	s_andn2_b64 exec, exec, s[18:19]
	s_cbranch_execz .LBB386_233
.LBB386_238:                            ;   Parent Loop BB386_235 Depth=1
                                        ; =>  This Inner Loop Header: Depth=2
	flat_load_dword v66, v[86:87]
	flat_load_dword v83, v[84:85]
	s_andn2_b64 s[28:29], s[2:3], exec
	s_andn2_b64 s[24:25], s[24:25], exec
	s_or_b64 s[22:23], s[22:23], exec
	s_waitcnt vmcnt(0) lgkmcnt(0)
	v_cmp_le_i32_e64 s[2:3], v66, v83
	v_cmp_lt_i32_e64 s[0:1], v66, v83
	s_and_b64 s[2:3], s[2:3], s[26:27]
	s_or_b64 s[30:31], s[0:1], s[2:3]
	s_and_b64 s[0:1], s[30:31], exec
	v_cmp_eq_u32_e64 s[4:5], v66, v83
	s_or_b64 s[2:3], s[28:29], s[0:1]
	s_and_saveexec_b64 s[28:29], s[4:5]
	s_cbranch_execz .LBB386_237
; %bb.239:                              ;   in Loop: Header=BB386_238 Depth=2
	v_lshl_add_u64 v[96:97], v[96:97], 0, -1
	v_cmp_eq_u64_e64 s[0:1], 0, v[96:97]
	s_andn2_b64 s[4:5], s[24:25], exec
	s_and_b64 s[24:25], s[30:31], exec
	s_or_b64 s[24:25], s[4:5], s[24:25]
	s_andn2_b64 s[4:5], s[22:23], exec
	s_and_b64 s[0:1], s[0:1], exec
	v_lshl_add_u64 v[84:85], v[84:85], 0, 4
	v_lshl_add_u64 v[86:87], v[86:87], 0, 4
	s_andn2_b64 s[2:3], s[2:3], exec
	s_or_b64 s[22:23], s[4:5], s[0:1]
                                        ; implicit-def: $sgpr26_sgpr27
	s_branch .LBB386_237
.LBB386_240:
	s_or_b64 exec, exec, s[14:15]
.LBB386_241:
	s_or_b64 exec, exec, s[10:11]
	v_add_u32_e32 v67, v99, v102
	v_add_u32_e32 v66, v103, v101
	v_sub_u32_e32 v68, v67, v103
	v_cmp_le_u32_e64 s[0:1], v66, v99
	v_cmp_le_u32_e64 s[2:3], v68, v100
	s_or_b64 s[0:1], s[0:1], s[2:3]
	s_and_saveexec_b64 s[10:11], s[0:1]
	s_cbranch_execz .LBB386_325
; %bb.242:
	v_cmp_ge_u32_e64 s[0:1], v66, v99
	v_cmp_lt_u32_e64 s[2:3], v66, v99
                                        ; implicit-def: $vgpr0_vgpr1
	s_and_saveexec_b64 s[4:5], s[2:3]
	s_cbranch_execz .LBB386_244
; %bb.243:
	v_mov_b32_e32 v67, 0
	v_lshl_add_u64 v[0:1], v[66:67], 3, v[54:55]
	flat_load_dwordx2 v[0:1], v[0:1]
.LBB386_244:
	s_or_b64 exec, exec, s[4:5]
	v_cmp_ge_u32_e64 s[14:15], v68, v100
	v_cmp_lt_u32_e64 s[2:3], v68, v100
                                        ; implicit-def: $vgpr2_vgpr3
	s_and_saveexec_b64 s[4:5], s[2:3]
	s_cbranch_execz .LBB386_246
; %bb.245:
	v_mov_b32_e32 v69, 0
	v_lshl_add_u64 v[2:3], v[68:69], 3, v[54:55]
	flat_load_dwordx2 v[2:3], v[2:3]
.LBB386_246:
	s_or_b64 exec, exec, s[4:5]
	s_or_b64 s[0:1], s[0:1], s[14:15]
	s_xor_b64 s[0:1], s[0:1], -1
	s_and_saveexec_b64 s[16:17], s[0:1]
	s_cbranch_execz .LBB386_254
; %bb.247:
	s_mov_b64 s[0:1], 0
	s_and_saveexec_b64 s[18:19], vcc
	s_cbranch_execz .LBB386_253
; %bb.248:
	s_waitcnt vmcnt(0) lgkmcnt(0)
	v_mul_lo_u32 v14, v1, v6
	v_mul_lo_u32 v15, v0, v7
	v_mad_u64_u32 v[12:13], s[0:1], v0, v6, 0
	v_add3_u32 v13, v13, v15, v14
	v_mul_lo_u32 v16, v3, v6
	v_mul_lo_u32 v17, v2, v7
	v_mad_u64_u32 v[14:15], s[0:1], v2, v6, 0
	v_add3_u32 v15, v15, v17, v16
	v_lshl_add_u64 v[12:13], v[12:13], 2, v[8:9]
	v_lshl_add_u64 v[14:15], v[14:15], 2, v[8:9]
	s_mov_b64 s[20:21], 0
	v_mov_b64_e32 v[16:17], v[6:7]
                                        ; implicit-def: $sgpr22_sgpr23
                                        ; implicit-def: $sgpr24_sgpr25
                                        ; implicit-def: $sgpr26_sgpr27
                                        ; implicit-def: $sgpr2_sgpr3
                                        ; implicit-def: $sgpr28_sgpr29
	s_branch .LBB386_250
.LBB386_249:                            ;   in Loop: Header=BB386_250 Depth=1
	s_or_b64 exec, exec, s[30:31]
	s_and_b64 s[0:1], exec, s[24:25]
	s_or_b64 s[20:21], s[0:1], s[20:21]
	s_andn2_b64 s[0:1], s[28:29], exec
	s_and_b64 s[4:5], s[26:27], exec
	s_or_b64 s[28:29], s[0:1], s[4:5]
	s_andn2_b64 s[0:1], s[22:23], exec
	s_and_b64 s[4:5], s[2:3], exec
	s_or_b64 s[22:23], s[0:1], s[4:5]
	s_andn2_b64 exec, exec, s[20:21]
	s_cbranch_execz .LBB386_252
.LBB386_250:                            ; =>This Inner Loop Header: Depth=1
	flat_load_dword v18, v[14:15]
	flat_load_dword v19, v[12:13]
	s_andn2_b64 s[30:31], s[2:3], exec
	s_andn2_b64 s[26:27], s[26:27], exec
	s_or_b64 s[24:25], s[24:25], exec
	s_waitcnt vmcnt(0) lgkmcnt(0)
	v_cmp_le_i32_e64 s[2:3], v18, v19
	v_cmp_lt_i32_e64 s[0:1], v18, v19
	s_and_b64 s[2:3], s[2:3], s[28:29]
	s_or_b64 s[34:35], s[0:1], s[2:3]
	s_and_b64 s[0:1], s[34:35], exec
	v_cmp_eq_u32_e64 s[4:5], v18, v19
	s_or_b64 s[2:3], s[30:31], s[0:1]
	s_and_saveexec_b64 s[30:31], s[4:5]
	s_cbranch_execz .LBB386_249
; %bb.251:                              ;   in Loop: Header=BB386_250 Depth=1
	v_lshl_add_u64 v[16:17], v[16:17], 0, -1
	v_cmp_eq_u64_e64 s[0:1], 0, v[16:17]
	s_andn2_b64 s[4:5], s[26:27], exec
	s_and_b64 s[26:27], s[34:35], exec
	s_or_b64 s[26:27], s[4:5], s[26:27]
	s_andn2_b64 s[4:5], s[24:25], exec
	s_and_b64 s[0:1], s[0:1], exec
	v_lshl_add_u64 v[12:13], v[12:13], 0, 4
	v_lshl_add_u64 v[14:15], v[14:15], 0, 4
	s_andn2_b64 s[2:3], s[2:3], exec
	s_or_b64 s[24:25], s[4:5], s[0:1]
                                        ; implicit-def: $sgpr28_sgpr29
	s_branch .LBB386_249
.LBB386_252:
	s_or_b64 exec, exec, s[20:21]
	s_and_b64 s[0:1], s[22:23], exec
.LBB386_253:
	s_or_b64 exec, exec, s[18:19]
	s_xor_b64 s[0:1], s[0:1], -1
	s_andn2_b64 s[2:3], s[14:15], exec
	s_and_b64 s[0:1], s[0:1], exec
	s_or_b64 s[14:15], s[2:3], s[0:1]
.LBB386_254:
	s_or_b64 exec, exec, s[16:17]
	v_cndmask_b32_e64 v12, v68, v66, s[14:15]
	v_cndmask_b32_e64 v13, v100, v99, s[14:15]
	v_add_u32_e32 v16, 1, v12
	v_add_u32_e32 v12, -1, v13
	v_min_u32_e32 v12, v16, v12
	v_mov_b32_e32 v13, 0
	v_lshl_add_u64 v[14:15], v[12:13], 3, v[54:55]
	flat_load_dwordx2 v[14:15], v[14:15]
	v_cndmask_b32_e64 v23, v16, v68, s[14:15]
	s_mov_b64 s[16:17], -1
	v_cndmask_b32_e64 v66, v66, v16, s[14:15]
	v_cmp_lt_u32_e64 s[0:1], v23, v100
	s_mov_b64 s[18:19], -1
	s_waitcnt vmcnt(0) lgkmcnt(0)
	v_cndmask_b32_e64 v20, v15, v3, s[14:15]
	v_cndmask_b32_e64 v21, v14, v2, s[14:15]
	;; [unrolled: 1-line block ×4, first 2 shown]
	s_and_saveexec_b64 s[20:21], s[0:1]
	s_cbranch_execz .LBB386_264
; %bb.255:
	v_cmp_lt_u32_e64 s[0:1], v66, v99
	s_mov_b64 s[2:3], 0
	s_and_saveexec_b64 s[18:19], s[0:1]
	s_cbranch_execz .LBB386_263
; %bb.256:
	s_mov_b64 s[0:1], 0
	s_and_saveexec_b64 s[22:23], vcc
	s_cbranch_execz .LBB386_262
; %bb.257:
	v_mul_lo_u32 v12, v22, v6
	v_mul_lo_u32 v16, v68, v7
	v_mad_u64_u32 v[14:15], s[0:1], v68, v6, 0
	v_add3_u32 v15, v15, v16, v12
	v_mul_lo_u32 v12, v20, v6
	v_mul_lo_u32 v18, v21, v7
	v_mad_u64_u32 v[16:17], s[0:1], v21, v6, 0
	v_add3_u32 v17, v17, v18, v12
	v_lshl_add_u64 v[14:15], v[14:15], 2, v[8:9]
	v_lshl_add_u64 v[16:17], v[16:17], 2, v[8:9]
	s_mov_b64 s[24:25], 0
	v_mov_b64_e32 v[18:19], v[6:7]
                                        ; implicit-def: $sgpr26_sgpr27
                                        ; implicit-def: $sgpr28_sgpr29
                                        ; implicit-def: $sgpr30_sgpr31
                                        ; implicit-def: $sgpr2_sgpr3
                                        ; implicit-def: $sgpr34_sgpr35
	s_branch .LBB386_259
.LBB386_258:                            ;   in Loop: Header=BB386_259 Depth=1
	s_or_b64 exec, exec, s[36:37]
	s_and_b64 s[0:1], exec, s[28:29]
	s_or_b64 s[24:25], s[0:1], s[24:25]
	s_andn2_b64 s[0:1], s[34:35], exec
	s_and_b64 s[4:5], s[30:31], exec
	s_or_b64 s[34:35], s[0:1], s[4:5]
	s_andn2_b64 s[0:1], s[26:27], exec
	s_and_b64 s[4:5], s[2:3], exec
	s_or_b64 s[26:27], s[0:1], s[4:5]
	s_andn2_b64 exec, exec, s[24:25]
	s_cbranch_execz .LBB386_261
.LBB386_259:                            ; =>This Inner Loop Header: Depth=1
	flat_load_dword v12, v[16:17]
	flat_load_dword v67, v[14:15]
	s_andn2_b64 s[36:37], s[2:3], exec
	s_andn2_b64 s[30:31], s[30:31], exec
	s_or_b64 s[28:29], s[28:29], exec
	s_waitcnt vmcnt(0) lgkmcnt(0)
	v_cmp_le_i32_e64 s[2:3], v12, v67
	v_cmp_lt_i32_e64 s[0:1], v12, v67
	s_and_b64 s[2:3], s[2:3], s[34:35]
	s_or_b64 s[38:39], s[0:1], s[2:3]
	s_and_b64 s[0:1], s[38:39], exec
	v_cmp_eq_u32_e64 s[4:5], v12, v67
	s_or_b64 s[2:3], s[36:37], s[0:1]
	s_and_saveexec_b64 s[36:37], s[4:5]
	s_cbranch_execz .LBB386_258
; %bb.260:                              ;   in Loop: Header=BB386_259 Depth=1
	v_lshl_add_u64 v[18:19], v[18:19], 0, -1
	v_cmp_eq_u64_e64 s[0:1], 0, v[18:19]
	s_andn2_b64 s[4:5], s[30:31], exec
	s_and_b64 s[30:31], s[38:39], exec
	s_or_b64 s[30:31], s[4:5], s[30:31]
	s_andn2_b64 s[4:5], s[28:29], exec
	s_and_b64 s[0:1], s[0:1], exec
	v_lshl_add_u64 v[14:15], v[14:15], 0, 4
	v_lshl_add_u64 v[16:17], v[16:17], 0, 4
	s_andn2_b64 s[2:3], s[2:3], exec
	s_or_b64 s[28:29], s[4:5], s[0:1]
                                        ; implicit-def: $sgpr34_sgpr35
	s_branch .LBB386_258
.LBB386_261:
	s_or_b64 exec, exec, s[24:25]
	s_and_b64 s[0:1], s[26:27], exec
.LBB386_262:
	s_or_b64 exec, exec, s[22:23]
	s_xor_b64 s[0:1], s[0:1], -1
	s_and_b64 s[2:3], s[0:1], exec
.LBB386_263:
	s_or_b64 exec, exec, s[18:19]
	s_orn2_b64 s[18:19], s[2:3], exec
.LBB386_264:
	s_or_b64 exec, exec, s[20:21]
	v_cndmask_b32_e64 v12, v23, v66, s[18:19]
	v_cndmask_b32_e64 v14, v100, v99, s[18:19]
	v_add_u32_e32 v15, 1, v12
	v_add_u32_e32 v12, -1, v14
	v_min_u32_e32 v12, v15, v12
	v_lshl_add_u64 v[12:13], v[12:13], 3, v[54:55]
	flat_load_dwordx2 v[12:13], v[12:13]
	v_cndmask_b32_e64 v18, v15, v23, s[18:19]
	v_cndmask_b32_e64 v19, v66, v15, s[18:19]
	v_cmp_lt_u32_e64 s[0:1], v18, v100
	s_waitcnt vmcnt(0) lgkmcnt(0)
	v_cndmask_b32_e64 v23, v13, v20, s[18:19]
	v_cndmask_b32_e64 v69, v12, v21, s[18:19]
	;; [unrolled: 1-line block ×4, first 2 shown]
	s_and_saveexec_b64 s[20:21], s[0:1]
	s_cbranch_execz .LBB386_274
; %bb.265:
	v_cmp_lt_u32_e64 s[0:1], v19, v99
	s_mov_b64 s[2:3], 0
	s_and_saveexec_b64 s[16:17], s[0:1]
	s_cbranch_execz .LBB386_273
; %bb.266:
	s_mov_b64 s[0:1], 0
	s_and_saveexec_b64 s[22:23], vcc
	s_cbranch_execz .LBB386_272
; %bb.267:
	v_mul_lo_u32 v14, v70, v6
	v_mul_lo_u32 v15, v71, v7
	v_mad_u64_u32 v[12:13], s[0:1], v71, v6, 0
	v_add3_u32 v13, v13, v15, v14
	v_mul_lo_u32 v16, v23, v6
	v_mul_lo_u32 v17, v69, v7
	v_mad_u64_u32 v[14:15], s[0:1], v69, v6, 0
	v_add3_u32 v15, v15, v17, v16
	v_lshl_add_u64 v[12:13], v[12:13], 2, v[8:9]
	v_lshl_add_u64 v[14:15], v[14:15], 2, v[8:9]
	s_mov_b64 s[24:25], 0
	v_mov_b64_e32 v[16:17], v[6:7]
                                        ; implicit-def: $sgpr26_sgpr27
                                        ; implicit-def: $sgpr28_sgpr29
                                        ; implicit-def: $sgpr30_sgpr31
                                        ; implicit-def: $sgpr2_sgpr3
                                        ; implicit-def: $sgpr34_sgpr35
	s_branch .LBB386_269
.LBB386_268:                            ;   in Loop: Header=BB386_269 Depth=1
	s_or_b64 exec, exec, s[36:37]
	s_and_b64 s[0:1], exec, s[28:29]
	s_or_b64 s[24:25], s[0:1], s[24:25]
	s_andn2_b64 s[0:1], s[34:35], exec
	s_and_b64 s[4:5], s[30:31], exec
	s_or_b64 s[34:35], s[0:1], s[4:5]
	s_andn2_b64 s[0:1], s[26:27], exec
	s_and_b64 s[4:5], s[2:3], exec
	s_or_b64 s[26:27], s[0:1], s[4:5]
	s_andn2_b64 exec, exec, s[24:25]
	s_cbranch_execz .LBB386_271
.LBB386_269:                            ; =>This Inner Loop Header: Depth=1
	flat_load_dword v66, v[14:15]
	flat_load_dword v67, v[12:13]
	s_andn2_b64 s[36:37], s[2:3], exec
	s_andn2_b64 s[30:31], s[30:31], exec
	s_or_b64 s[28:29], s[28:29], exec
	s_waitcnt vmcnt(0) lgkmcnt(0)
	v_cmp_le_i32_e64 s[2:3], v66, v67
	v_cmp_lt_i32_e64 s[0:1], v66, v67
	s_and_b64 s[2:3], s[2:3], s[34:35]
	s_or_b64 s[38:39], s[0:1], s[2:3]
	s_and_b64 s[0:1], s[38:39], exec
	v_cmp_eq_u32_e64 s[4:5], v66, v67
	s_or_b64 s[2:3], s[36:37], s[0:1]
	s_and_saveexec_b64 s[36:37], s[4:5]
	s_cbranch_execz .LBB386_268
; %bb.270:                              ;   in Loop: Header=BB386_269 Depth=1
	v_lshl_add_u64 v[16:17], v[16:17], 0, -1
	v_cmp_eq_u64_e64 s[0:1], 0, v[16:17]
	s_andn2_b64 s[4:5], s[30:31], exec
	s_and_b64 s[30:31], s[38:39], exec
	s_or_b64 s[30:31], s[4:5], s[30:31]
	s_andn2_b64 s[4:5], s[28:29], exec
	s_and_b64 s[0:1], s[0:1], exec
	v_lshl_add_u64 v[12:13], v[12:13], 0, 4
	v_lshl_add_u64 v[14:15], v[14:15], 0, 4
	s_andn2_b64 s[2:3], s[2:3], exec
	s_or_b64 s[28:29], s[4:5], s[0:1]
                                        ; implicit-def: $sgpr34_sgpr35
	s_branch .LBB386_268
.LBB386_271:
	s_or_b64 exec, exec, s[24:25]
	s_and_b64 s[0:1], s[26:27], exec
.LBB386_272:
	s_or_b64 exec, exec, s[22:23]
	s_xor_b64 s[0:1], s[0:1], -1
	s_and_b64 s[2:3], s[0:1], exec
.LBB386_273:
	s_or_b64 exec, exec, s[16:17]
	s_orn2_b64 s[16:17], s[2:3], exec
.LBB386_274:
	s_or_b64 exec, exec, s[20:21]
	v_cndmask_b32_e64 v12, v18, v19, s[16:17]
	v_cndmask_b32_e64 v13, v100, v99, s[16:17]
	v_add_u32_e32 v16, 1, v12
	v_add_u32_e32 v12, -1, v13
	v_min_u32_e32 v12, v16, v12
	v_mov_b32_e32 v13, 0
	v_lshl_add_u64 v[14:15], v[12:13], 3, v[54:55]
	flat_load_dwordx2 v[14:15], v[14:15]
	v_cndmask_b32_e64 v66, v16, v18, s[16:17]
	s_mov_b64 s[20:21], -1
	v_cndmask_b32_e64 v67, v19, v16, s[16:17]
	v_cmp_lt_u32_e64 s[0:1], v66, v100
	s_mov_b64 s[22:23], -1
	s_waitcnt vmcnt(0) lgkmcnt(0)
	v_cndmask_b32_e64 v80, v15, v23, s[16:17]
	v_cndmask_b32_e64 v81, v14, v69, s[16:17]
	;; [unrolled: 1-line block ×4, first 2 shown]
	s_and_saveexec_b64 s[24:25], s[0:1]
	s_cbranch_execz .LBB386_284
; %bb.275:
	v_cmp_lt_u32_e64 s[0:1], v67, v99
	s_mov_b64 s[2:3], 0
	s_and_saveexec_b64 s[22:23], s[0:1]
	s_cbranch_execz .LBB386_283
; %bb.276:
	s_mov_b64 s[0:1], -1
	s_and_saveexec_b64 s[26:27], vcc
	s_cbranch_execz .LBB386_282
; %bb.277:
	v_mul_lo_u32 v12, v82, v6
	v_mul_lo_u32 v16, v83, v7
	v_mad_u64_u32 v[14:15], s[0:1], v83, v6, 0
	v_add3_u32 v15, v15, v16, v12
	v_mul_lo_u32 v12, v80, v6
	v_mul_lo_u32 v18, v81, v7
	v_mad_u64_u32 v[16:17], s[0:1], v81, v6, 0
	v_add3_u32 v17, v17, v18, v12
	v_lshl_add_u64 v[14:15], v[14:15], 2, v[8:9]
	v_lshl_add_u64 v[16:17], v[16:17], 2, v[8:9]
	s_mov_b64 s[28:29], 0
	v_mov_b64_e32 v[18:19], v[6:7]
                                        ; implicit-def: $sgpr30_sgpr31
                                        ; implicit-def: $sgpr34_sgpr35
                                        ; implicit-def: $sgpr2_sgpr3
                                        ; implicit-def: $sgpr36_sgpr37
                                        ; implicit-def: $sgpr38_sgpr39
	s_branch .LBB386_279
.LBB386_278:                            ;   in Loop: Header=BB386_279 Depth=1
	s_or_b64 exec, exec, s[40:41]
	s_and_b64 s[0:1], exec, s[34:35]
	s_or_b64 s[28:29], s[0:1], s[28:29]
	s_andn2_b64 s[0:1], s[38:39], exec
	s_and_b64 s[4:5], s[36:37], exec
	s_or_b64 s[38:39], s[0:1], s[4:5]
	s_andn2_b64 s[0:1], s[30:31], exec
	s_and_b64 s[4:5], s[2:3], exec
	s_or_b64 s[30:31], s[0:1], s[4:5]
	s_andn2_b64 exec, exec, s[28:29]
	s_cbranch_execz .LBB386_281
.LBB386_279:                            ; =>This Inner Loop Header: Depth=1
	flat_load_dword v12, v[16:17]
	flat_load_dword v84, v[14:15]
	s_andn2_b64 s[40:41], s[2:3], exec
	s_andn2_b64 s[36:37], s[36:37], exec
	s_or_b64 s[34:35], s[34:35], exec
	s_waitcnt vmcnt(0) lgkmcnt(0)
	v_cmp_le_i32_e64 s[2:3], v12, v84
	v_cmp_lt_i32_e64 s[0:1], v12, v84
	s_and_b64 s[2:3], s[2:3], s[38:39]
	s_or_b64 s[42:43], s[0:1], s[2:3]
	s_and_b64 s[0:1], s[42:43], exec
	v_cmp_eq_u32_e64 s[4:5], v12, v84
	s_or_b64 s[2:3], s[40:41], s[0:1]
	s_and_saveexec_b64 s[40:41], s[4:5]
	s_cbranch_execz .LBB386_278
; %bb.280:                              ;   in Loop: Header=BB386_279 Depth=1
	v_lshl_add_u64 v[18:19], v[18:19], 0, -1
	v_cmp_eq_u64_e64 s[0:1], 0, v[18:19]
	s_andn2_b64 s[4:5], s[36:37], exec
	s_and_b64 s[36:37], s[42:43], exec
	s_or_b64 s[36:37], s[4:5], s[36:37]
	s_andn2_b64 s[4:5], s[34:35], exec
	s_and_b64 s[0:1], s[0:1], exec
	v_lshl_add_u64 v[14:15], v[14:15], 0, 4
	v_lshl_add_u64 v[16:17], v[16:17], 0, 4
	s_andn2_b64 s[2:3], s[2:3], exec
	s_or_b64 s[34:35], s[4:5], s[0:1]
                                        ; implicit-def: $sgpr38_sgpr39
	s_branch .LBB386_278
.LBB386_281:
	s_or_b64 exec, exec, s[28:29]
	s_xor_b64 s[0:1], s[30:31], -1
	s_orn2_b64 s[0:1], s[0:1], exec
.LBB386_282:
	s_or_b64 exec, exec, s[26:27]
	s_and_b64 s[2:3], s[0:1], exec
.LBB386_283:
	s_or_b64 exec, exec, s[22:23]
	s_orn2_b64 s[22:23], s[2:3], exec
.LBB386_284:
	s_or_b64 exec, exec, s[24:25]
	v_cndmask_b32_e64 v12, v66, v67, s[22:23]
	v_cndmask_b32_e64 v14, v100, v99, s[22:23]
	v_add_u32_e32 v15, 1, v12
	v_add_u32_e32 v12, -1, v14
	v_min_u32_e32 v12, v15, v12
	v_lshl_add_u64 v[12:13], v[12:13], 3, v[54:55]
	flat_load_dwordx2 v[12:13], v[12:13]
	v_cndmask_b32_e64 v18, v15, v66, s[22:23]
	v_cndmask_b32_e64 v19, v67, v15, s[22:23]
	v_cmp_lt_u32_e64 s[0:1], v18, v100
	s_waitcnt vmcnt(0) lgkmcnt(0)
	v_cndmask_b32_e64 v84, v13, v80, s[22:23]
	v_cndmask_b32_e64 v85, v12, v81, s[22:23]
	;; [unrolled: 1-line block ×4, first 2 shown]
	s_and_saveexec_b64 s[24:25], s[0:1]
	s_cbranch_execz .LBB386_294
; %bb.285:
	v_cmp_lt_u32_e64 s[0:1], v19, v99
	s_mov_b64 s[2:3], 0
	s_and_saveexec_b64 s[20:21], s[0:1]
	s_cbranch_execz .LBB386_293
; %bb.286:
	s_mov_b64 s[0:1], -1
	s_and_saveexec_b64 s[26:27], vcc
	s_cbranch_execz .LBB386_292
; %bb.287:
	v_mul_lo_u32 v14, v86, v6
	v_mul_lo_u32 v15, v87, v7
	v_mad_u64_u32 v[12:13], s[0:1], v87, v6, 0
	v_add3_u32 v13, v13, v15, v14
	v_mul_lo_u32 v16, v84, v6
	v_mul_lo_u32 v17, v85, v7
	v_mad_u64_u32 v[14:15], s[0:1], v85, v6, 0
	v_add3_u32 v15, v15, v17, v16
	v_lshl_add_u64 v[12:13], v[12:13], 2, v[8:9]
	v_lshl_add_u64 v[14:15], v[14:15], 2, v[8:9]
	s_mov_b64 s[28:29], 0
	v_mov_b64_e32 v[16:17], v[6:7]
                                        ; implicit-def: $sgpr30_sgpr31
                                        ; implicit-def: $sgpr34_sgpr35
                                        ; implicit-def: $sgpr2_sgpr3
                                        ; implicit-def: $sgpr36_sgpr37
                                        ; implicit-def: $sgpr38_sgpr39
	s_branch .LBB386_289
.LBB386_288:                            ;   in Loop: Header=BB386_289 Depth=1
	s_or_b64 exec, exec, s[40:41]
	s_and_b64 s[0:1], exec, s[34:35]
	s_or_b64 s[28:29], s[0:1], s[28:29]
	s_andn2_b64 s[0:1], s[38:39], exec
	s_and_b64 s[4:5], s[36:37], exec
	s_or_b64 s[38:39], s[0:1], s[4:5]
	s_andn2_b64 s[0:1], s[30:31], exec
	s_and_b64 s[4:5], s[2:3], exec
	s_or_b64 s[30:31], s[0:1], s[4:5]
	s_andn2_b64 exec, exec, s[28:29]
	s_cbranch_execz .LBB386_291
.LBB386_289:                            ; =>This Inner Loop Header: Depth=1
	flat_load_dword v66, v[14:15]
	flat_load_dword v67, v[12:13]
	s_andn2_b64 s[40:41], s[2:3], exec
	s_andn2_b64 s[36:37], s[36:37], exec
	s_or_b64 s[34:35], s[34:35], exec
	s_waitcnt vmcnt(0) lgkmcnt(0)
	v_cmp_le_i32_e64 s[2:3], v66, v67
	v_cmp_lt_i32_e64 s[0:1], v66, v67
	s_and_b64 s[2:3], s[2:3], s[38:39]
	s_or_b64 s[42:43], s[0:1], s[2:3]
	s_and_b64 s[0:1], s[42:43], exec
	v_cmp_eq_u32_e64 s[4:5], v66, v67
	s_or_b64 s[2:3], s[40:41], s[0:1]
	s_and_saveexec_b64 s[40:41], s[4:5]
	s_cbranch_execz .LBB386_288
; %bb.290:                              ;   in Loop: Header=BB386_289 Depth=1
	v_lshl_add_u64 v[16:17], v[16:17], 0, -1
	v_cmp_eq_u64_e64 s[0:1], 0, v[16:17]
	s_andn2_b64 s[4:5], s[36:37], exec
	s_and_b64 s[36:37], s[42:43], exec
	s_or_b64 s[36:37], s[4:5], s[36:37]
	s_andn2_b64 s[4:5], s[34:35], exec
	s_and_b64 s[0:1], s[0:1], exec
	v_lshl_add_u64 v[12:13], v[12:13], 0, 4
	v_lshl_add_u64 v[14:15], v[14:15], 0, 4
	s_andn2_b64 s[2:3], s[2:3], exec
	s_or_b64 s[34:35], s[4:5], s[0:1]
                                        ; implicit-def: $sgpr38_sgpr39
	s_branch .LBB386_288
.LBB386_291:
	s_or_b64 exec, exec, s[28:29]
	s_xor_b64 s[0:1], s[30:31], -1
	s_orn2_b64 s[0:1], s[0:1], exec
.LBB386_292:
	s_or_b64 exec, exec, s[26:27]
	s_and_b64 s[2:3], s[0:1], exec
.LBB386_293:
	s_or_b64 exec, exec, s[20:21]
	s_orn2_b64 s[20:21], s[2:3], exec
.LBB386_294:
	s_or_b64 exec, exec, s[24:25]
	v_cndmask_b32_e64 v12, v18, v19, s[20:21]
	v_cndmask_b32_e64 v13, v100, v99, s[20:21]
	v_add_u32_e32 v16, 1, v12
	v_add_u32_e32 v12, -1, v13
	v_min_u32_e32 v12, v16, v12
	v_mov_b32_e32 v13, 0
	v_lshl_add_u64 v[14:15], v[12:13], 3, v[54:55]
	flat_load_dwordx2 v[14:15], v[14:15]
	v_cndmask_b32_e64 v66, v16, v18, s[20:21]
	s_mov_b64 s[24:25], -1
	v_cndmask_b32_e64 v67, v19, v16, s[20:21]
	v_cmp_lt_u32_e64 s[0:1], v66, v100
	s_mov_b64 s[26:27], -1
	s_waitcnt vmcnt(0) lgkmcnt(0)
	v_cndmask_b32_e64 v96, v15, v84, s[20:21]
	v_cndmask_b32_e64 v97, v14, v85, s[20:21]
	;; [unrolled: 1-line block ×4, first 2 shown]
	s_and_saveexec_b64 s[28:29], s[0:1]
	s_cbranch_execz .LBB386_304
; %bb.295:
	v_cmp_lt_u32_e64 s[0:1], v67, v99
	s_mov_b64 s[2:3], 0
	s_and_saveexec_b64 s[26:27], s[0:1]
	s_cbranch_execz .LBB386_303
; %bb.296:
	s_mov_b64 s[0:1], -1
	s_and_saveexec_b64 s[30:31], vcc
	s_cbranch_execz .LBB386_302
; %bb.297:
	v_mul_lo_u32 v12, v101, v6
	v_mul_lo_u32 v16, v102, v7
	v_mad_u64_u32 v[14:15], s[0:1], v102, v6, 0
	v_add3_u32 v15, v15, v16, v12
	v_mul_lo_u32 v12, v96, v6
	v_mul_lo_u32 v18, v97, v7
	v_mad_u64_u32 v[16:17], s[0:1], v97, v6, 0
	v_add3_u32 v17, v17, v18, v12
	v_lshl_add_u64 v[14:15], v[14:15], 2, v[8:9]
	v_lshl_add_u64 v[16:17], v[16:17], 2, v[8:9]
	s_mov_b64 s[34:35], 0
	v_mov_b64_e32 v[18:19], v[6:7]
                                        ; implicit-def: $sgpr36_sgpr37
                                        ; implicit-def: $sgpr38_sgpr39
                                        ; implicit-def: $sgpr2_sgpr3
                                        ; implicit-def: $sgpr40_sgpr41
                                        ; implicit-def: $sgpr42_sgpr43
	s_branch .LBB386_299
.LBB386_298:                            ;   in Loop: Header=BB386_299 Depth=1
	s_or_b64 exec, exec, s[44:45]
	s_and_b64 s[0:1], exec, s[38:39]
	s_or_b64 s[34:35], s[0:1], s[34:35]
	s_andn2_b64 s[0:1], s[42:43], exec
	s_and_b64 s[4:5], s[40:41], exec
	s_or_b64 s[42:43], s[0:1], s[4:5]
	s_andn2_b64 s[0:1], s[36:37], exec
	s_and_b64 s[4:5], s[2:3], exec
	s_or_b64 s[36:37], s[0:1], s[4:5]
	s_andn2_b64 exec, exec, s[34:35]
	s_cbranch_execz .LBB386_301
.LBB386_299:                            ; =>This Inner Loop Header: Depth=1
	flat_load_dword v12, v[16:17]
	flat_load_dword v103, v[14:15]
	s_andn2_b64 s[44:45], s[2:3], exec
	s_andn2_b64 s[40:41], s[40:41], exec
	s_or_b64 s[38:39], s[38:39], exec
	s_waitcnt vmcnt(0) lgkmcnt(0)
	v_cmp_le_i32_e64 s[2:3], v12, v103
	v_cmp_lt_i32_e64 s[0:1], v12, v103
	s_and_b64 s[2:3], s[2:3], s[42:43]
	s_or_b64 s[46:47], s[0:1], s[2:3]
	s_and_b64 s[0:1], s[46:47], exec
	v_cmp_eq_u32_e64 s[4:5], v12, v103
	s_or_b64 s[2:3], s[44:45], s[0:1]
	s_and_saveexec_b64 s[44:45], s[4:5]
	s_cbranch_execz .LBB386_298
; %bb.300:                              ;   in Loop: Header=BB386_299 Depth=1
	v_lshl_add_u64 v[18:19], v[18:19], 0, -1
	v_cmp_eq_u64_e64 s[0:1], 0, v[18:19]
	s_andn2_b64 s[4:5], s[40:41], exec
	s_and_b64 s[40:41], s[46:47], exec
	s_or_b64 s[40:41], s[4:5], s[40:41]
	s_andn2_b64 s[4:5], s[38:39], exec
	s_and_b64 s[0:1], s[0:1], exec
	v_lshl_add_u64 v[14:15], v[14:15], 0, 4
	v_lshl_add_u64 v[16:17], v[16:17], 0, 4
	s_andn2_b64 s[2:3], s[2:3], exec
	s_or_b64 s[38:39], s[4:5], s[0:1]
                                        ; implicit-def: $sgpr42_sgpr43
	s_branch .LBB386_298
.LBB386_301:
	s_or_b64 exec, exec, s[34:35]
	s_xor_b64 s[0:1], s[36:37], -1
	s_orn2_b64 s[0:1], s[0:1], exec
.LBB386_302:
	s_or_b64 exec, exec, s[30:31]
	s_and_b64 s[2:3], s[0:1], exec
.LBB386_303:
	s_or_b64 exec, exec, s[26:27]
	s_orn2_b64 s[26:27], s[2:3], exec
.LBB386_304:
	s_or_b64 exec, exec, s[28:29]
	v_cndmask_b32_e64 v12, v66, v67, s[26:27]
	v_cndmask_b32_e64 v14, v100, v99, s[26:27]
	v_add_u32_e32 v15, 1, v12
	v_add_u32_e32 v12, -1, v14
	v_min_u32_e32 v12, v15, v12
	v_lshl_add_u64 v[12:13], v[12:13], 3, v[54:55]
	flat_load_dwordx2 v[12:13], v[12:13]
	v_cndmask_b32_e64 v114, v15, v66, s[26:27]
	v_cndmask_b32_e64 v103, v67, v15, s[26:27]
	v_cmp_lt_u32_e64 s[0:1], v114, v100
	s_waitcnt vmcnt(0) lgkmcnt(0)
	v_cndmask_b32_e64 v112, v13, v96, s[26:27]
	v_cndmask_b32_e64 v113, v12, v97, s[26:27]
	;; [unrolled: 1-line block ×4, first 2 shown]
	s_and_saveexec_b64 s[28:29], s[0:1]
	s_cbranch_execz .LBB386_314
; %bb.305:
	v_cmp_lt_u32_e64 s[0:1], v103, v99
	s_mov_b64 s[2:3], 0
	s_and_saveexec_b64 s[24:25], s[0:1]
	s_cbranch_execz .LBB386_313
; %bb.306:
	s_mov_b64 s[0:1], -1
	s_and_saveexec_b64 s[30:31], vcc
	s_cbranch_execz .LBB386_312
; %bb.307:
	v_mul_lo_u32 v14, v115, v6
	v_mul_lo_u32 v15, v116, v7
	v_mad_u64_u32 v[12:13], s[0:1], v116, v6, 0
	v_add3_u32 v13, v13, v15, v14
	v_mul_lo_u32 v16, v112, v6
	v_mul_lo_u32 v17, v113, v7
	v_mad_u64_u32 v[14:15], s[0:1], v113, v6, 0
	v_add3_u32 v15, v15, v17, v16
	v_lshl_add_u64 v[12:13], v[12:13], 2, v[8:9]
	v_lshl_add_u64 v[14:15], v[14:15], 2, v[8:9]
	s_mov_b64 s[34:35], 0
	v_mov_b64_e32 v[16:17], v[6:7]
                                        ; implicit-def: $sgpr36_sgpr37
                                        ; implicit-def: $sgpr38_sgpr39
                                        ; implicit-def: $sgpr2_sgpr3
                                        ; implicit-def: $sgpr40_sgpr41
                                        ; implicit-def: $sgpr42_sgpr43
	s_branch .LBB386_309
.LBB386_308:                            ;   in Loop: Header=BB386_309 Depth=1
	s_or_b64 exec, exec, s[44:45]
	s_and_b64 s[0:1], exec, s[38:39]
	s_or_b64 s[34:35], s[0:1], s[34:35]
	s_andn2_b64 s[0:1], s[42:43], exec
	s_and_b64 s[4:5], s[40:41], exec
	s_or_b64 s[42:43], s[0:1], s[4:5]
	s_andn2_b64 s[0:1], s[36:37], exec
	s_and_b64 s[4:5], s[2:3], exec
	s_or_b64 s[36:37], s[0:1], s[4:5]
	s_andn2_b64 exec, exec, s[34:35]
	s_cbranch_execz .LBB386_311
.LBB386_309:                            ; =>This Inner Loop Header: Depth=1
	flat_load_dword v18, v[14:15]
	flat_load_dword v19, v[12:13]
	s_andn2_b64 s[44:45], s[2:3], exec
	s_andn2_b64 s[40:41], s[40:41], exec
	s_or_b64 s[38:39], s[38:39], exec
	s_waitcnt vmcnt(0) lgkmcnt(0)
	v_cmp_le_i32_e64 s[2:3], v18, v19
	v_cmp_lt_i32_e64 s[0:1], v18, v19
	s_and_b64 s[2:3], s[2:3], s[42:43]
	s_or_b64 s[46:47], s[0:1], s[2:3]
	s_and_b64 s[0:1], s[46:47], exec
	v_cmp_eq_u32_e64 s[4:5], v18, v19
	s_or_b64 s[2:3], s[44:45], s[0:1]
	s_and_saveexec_b64 s[44:45], s[4:5]
	s_cbranch_execz .LBB386_308
; %bb.310:                              ;   in Loop: Header=BB386_309 Depth=1
	v_lshl_add_u64 v[16:17], v[16:17], 0, -1
	v_cmp_eq_u64_e64 s[0:1], 0, v[16:17]
	s_andn2_b64 s[4:5], s[40:41], exec
	s_and_b64 s[40:41], s[46:47], exec
	s_or_b64 s[40:41], s[4:5], s[40:41]
	s_andn2_b64 s[4:5], s[38:39], exec
	s_and_b64 s[0:1], s[0:1], exec
	v_lshl_add_u64 v[12:13], v[12:13], 0, 4
	v_lshl_add_u64 v[14:15], v[14:15], 0, 4
	s_andn2_b64 s[2:3], s[2:3], exec
	s_or_b64 s[38:39], s[4:5], s[0:1]
                                        ; implicit-def: $sgpr42_sgpr43
	s_branch .LBB386_308
.LBB386_311:
	s_or_b64 exec, exec, s[34:35]
	s_xor_b64 s[0:1], s[36:37], -1
	s_orn2_b64 s[0:1], s[0:1], exec
.LBB386_312:
	s_or_b64 exec, exec, s[30:31]
	s_and_b64 s[2:3], s[0:1], exec
.LBB386_313:
	s_or_b64 exec, exec, s[24:25]
	s_orn2_b64 s[24:25], s[2:3], exec
.LBB386_314:
	s_or_b64 exec, exec, s[28:29]
	v_cndmask_b32_e64 v12, v114, v103, s[24:25]
	v_cndmask_b32_e64 v13, v100, v99, s[24:25]
	v_add_u32_e32 v117, 1, v12
	v_add_u32_e32 v12, -1, v13
	v_min_u32_e32 v12, v117, v12
	v_mov_b32_e32 v13, 0
	v_lshl_add_u64 v[12:13], v[12:13], 3, v[54:55]
	flat_load_dwordx2 v[66:67], v[12:13]
	v_cndmask_b32_e64 v17, v23, v70, s[16:17]
	v_cndmask_b32_e64 v23, v20, v22, s[18:19]
	;; [unrolled: 1-line block ×15, first 2 shown]
	v_cmp_lt_u32_e64 s[0:1], v68, v100
	s_waitcnt vmcnt(0) lgkmcnt(0)
	v_cndmask_b32_e64 v3, v115, v67, s[24:25]
	v_cndmask_b32_e64 v2, v116, v66, s[24:25]
	s_and_saveexec_b64 s[14:15], s[0:1]
	s_cbranch_execz .LBB386_324
; %bb.315:
	v_cndmask_b32_e64 v68, v103, v117, s[24:25]
	v_cndmask_b32_e64 v67, v67, v112, s[24:25]
	;; [unrolled: 1-line block ×3, first 2 shown]
	v_cmp_lt_u32_e64 s[0:1], v68, v99
	s_and_saveexec_b64 s[16:17], s[0:1]
	s_cbranch_execz .LBB386_323
; %bb.316:
	s_and_saveexec_b64 s[18:19], vcc
	s_cbranch_execz .LBB386_322
; %bb.317:
	v_mul_lo_u32 v70, v3, v6
	v_mul_lo_u32 v71, v2, v7
	v_mad_u64_u32 v[68:69], s[0:1], v2, v6, 0
	v_add3_u32 v69, v69, v71, v70
	v_mul_lo_u32 v80, v67, v6
	v_mul_lo_u32 v81, v66, v7
	v_mad_u64_u32 v[70:71], s[0:1], v66, v6, 0
	v_add3_u32 v71, v71, v81, v80
	v_lshl_add_u64 v[68:69], v[68:69], 2, v[8:9]
	v_lshl_add_u64 v[70:71], v[70:71], 2, v[8:9]
	s_mov_b64 s[20:21], 0
	v_mov_b64_e32 v[80:81], v[6:7]
                                        ; implicit-def: $sgpr22_sgpr23
                                        ; implicit-def: $sgpr24_sgpr25
                                        ; implicit-def: $sgpr2_sgpr3
                                        ; implicit-def: $sgpr26_sgpr27
                                        ; implicit-def: $sgpr28_sgpr29
	s_branch .LBB386_319
.LBB386_318:                            ;   in Loop: Header=BB386_319 Depth=1
	s_or_b64 exec, exec, s[30:31]
	s_and_b64 s[0:1], exec, s[24:25]
	s_or_b64 s[20:21], s[0:1], s[20:21]
	s_andn2_b64 s[0:1], s[28:29], exec
	s_and_b64 s[4:5], s[26:27], exec
	s_or_b64 s[28:29], s[0:1], s[4:5]
	s_andn2_b64 s[0:1], s[22:23], exec
	s_and_b64 s[4:5], s[2:3], exec
	s_or_b64 s[22:23], s[0:1], s[4:5]
	s_andn2_b64 exec, exec, s[20:21]
	s_cbranch_execz .LBB386_321
.LBB386_319:                            ; =>This Inner Loop Header: Depth=1
	flat_load_dword v82, v[70:71]
	flat_load_dword v83, v[68:69]
	s_andn2_b64 s[30:31], s[2:3], exec
	s_andn2_b64 s[26:27], s[26:27], exec
	s_or_b64 s[24:25], s[24:25], exec
	s_waitcnt vmcnt(0) lgkmcnt(0)
	v_cmp_le_i32_e64 s[2:3], v82, v83
	v_cmp_lt_i32_e64 s[0:1], v82, v83
	s_and_b64 s[2:3], s[2:3], s[28:29]
	s_or_b64 s[34:35], s[0:1], s[2:3]
	s_and_b64 s[0:1], s[34:35], exec
	v_cmp_eq_u32_e64 s[4:5], v82, v83
	s_or_b64 s[2:3], s[30:31], s[0:1]
	s_and_saveexec_b64 s[30:31], s[4:5]
	s_cbranch_execz .LBB386_318
; %bb.320:                              ;   in Loop: Header=BB386_319 Depth=1
	v_lshl_add_u64 v[80:81], v[80:81], 0, -1
	v_cmp_eq_u64_e64 s[0:1], 0, v[80:81]
	s_andn2_b64 s[4:5], s[26:27], exec
	s_and_b64 s[26:27], s[34:35], exec
	s_or_b64 s[26:27], s[4:5], s[26:27]
	s_andn2_b64 s[4:5], s[24:25], exec
	s_and_b64 s[0:1], s[0:1], exec
	v_lshl_add_u64 v[68:69], v[68:69], 0, 4
	v_lshl_add_u64 v[70:71], v[70:71], 0, 4
	s_andn2_b64 s[2:3], s[2:3], exec
	s_or_b64 s[24:25], s[4:5], s[0:1]
                                        ; implicit-def: $sgpr28_sgpr29
	s_branch .LBB386_318
.LBB386_321:
	s_or_b64 exec, exec, s[20:21]
	v_cndmask_b32_e64 v3, v3, v67, s[22:23]
	v_cndmask_b32_e64 v2, v2, v66, s[22:23]
.LBB386_322:
	s_or_b64 exec, exec, s[18:19]
	v_mov_b64_e32 v[66:67], v[2:3]
.LBB386_323:
	s_or_b64 exec, exec, s[16:17]
	v_mov_b64_e32 v[2:3], v[66:67]
.LBB386_324:
	s_or_b64 exec, exec, s[14:15]
.LBB386_325:
	s_or_b64 exec, exec, s[10:11]
	v_and_b32_e32 v101, 0x3e0, v98
	v_or_b32_e32 v66, 16, v101
	v_min_u32_e32 v99, v31, v66
	v_add_u32_e32 v66, 16, v99
	v_min_u32_e32 v100, v31, v66
	v_and_b32_e32 v66, 24, v98
	v_min_u32_e32 v102, v31, v66
	v_sub_u32_e32 v66, v99, v101
	v_sub_u32_e32 v67, v100, v99
	v_sub_u32_e64 v103, v102, v67 clamp
	v_min_u32_e32 v112, v102, v66
	v_cmp_lt_u32_e64 s[0:1], v103, v112
	; wave barrier
	flat_store_dwordx4 v[64:65], v[20:23]
	flat_store_dwordx4 v[64:65], v[16:19] offset:16
	flat_store_dwordx4 v[64:65], v[12:15] offset:32
	;; [unrolled: 1-line block ×3, first 2 shown]
	; wave barrier
	s_and_saveexec_b64 s[10:11], s[0:1]
	s_cbranch_execz .LBB386_335
; %bb.326:
	v_lshlrev_b32_e32 v66, 3, v101
	v_mov_b32_e32 v67, 0
	v_lshl_add_u64 v[68:69], v[54:55], 0, v[66:67]
	v_lshlrev_b32_e32 v66, 3, v99
	v_lshl_add_u64 v[70:71], v[54:55], 0, v[66:67]
	v_lshlrev_b64 v[80:81], 2, v[6:7]
	s_mov_b64 s[14:15], 0
	s_branch .LBB386_329
.LBB386_327:                            ;   in Loop: Header=BB386_329 Depth=1
	s_or_b64 exec, exec, s[18:19]
	s_and_b64 s[0:1], s[20:21], exec
.LBB386_328:                            ;   in Loop: Header=BB386_329 Depth=1
	s_or_b64 exec, exec, s[16:17]
	v_add_u32_e32 v66, 1, v82
	v_cndmask_b32_e64 v112, v112, v82, s[0:1]
	v_cndmask_b32_e64 v103, v66, v103, s[0:1]
	v_cmp_ge_u32_e64 s[0:1], v103, v112
	s_or_b64 s[14:15], s[0:1], s[14:15]
	s_andn2_b64 exec, exec, s[14:15]
	s_cbranch_execz .LBB386_334
.LBB386_329:                            ; =>This Loop Header: Depth=1
                                        ;     Child Loop BB386_332 Depth 2
	v_add_u32_e32 v66, v112, v103
	v_lshrrev_b32_e32 v82, 1, v66
	s_mov_b64 s[0:1], 0
	s_and_saveexec_b64 s[16:17], vcc
	s_cbranch_execz .LBB386_328
; %bb.330:                              ;   in Loop: Header=BB386_329 Depth=1
	v_mov_b32_e32 v83, v67
	v_xad_u32 v66, v82, -1, v102
	v_lshl_add_u64 v[84:85], v[82:83], 3, v[68:69]
	v_lshl_add_u64 v[86:87], v[66:67], 3, v[70:71]
	flat_load_dwordx2 v[84:85], v[84:85]
	s_mov_b64 s[18:19], 0
	flat_load_dwordx2 v[86:87], v[86:87]
                                        ; implicit-def: $sgpr20_sgpr21
                                        ; implicit-def: $sgpr22_sgpr23
                                        ; implicit-def: $sgpr24_sgpr25
                                        ; implicit-def: $sgpr2_sgpr3
                                        ; implicit-def: $sgpr26_sgpr27
	s_waitcnt vmcnt(0) lgkmcnt(0)
	v_mul_lo_u32 v66, v80, v85
	v_mul_lo_u32 v83, v81, v84
	v_mad_u64_u32 v[84:85], s[0:1], v80, v84, v[8:9]
	v_mul_lo_u32 v96, v80, v87
	v_mul_lo_u32 v97, v81, v86
	v_mad_u64_u32 v[86:87], s[0:1], v80, v86, v[8:9]
	v_add3_u32 v85, v83, v85, v66
	v_add3_u32 v87, v97, v87, v96
	v_mov_b64_e32 v[96:97], v[6:7]
	s_branch .LBB386_332
.LBB386_331:                            ;   in Loop: Header=BB386_332 Depth=2
	s_or_b64 exec, exec, s[28:29]
	s_and_b64 s[0:1], exec, s[22:23]
	s_or_b64 s[18:19], s[0:1], s[18:19]
	s_andn2_b64 s[0:1], s[26:27], exec
	s_and_b64 s[4:5], s[24:25], exec
	s_or_b64 s[26:27], s[0:1], s[4:5]
	s_andn2_b64 s[0:1], s[20:21], exec
	s_and_b64 s[4:5], s[2:3], exec
	s_or_b64 s[20:21], s[0:1], s[4:5]
	s_andn2_b64 exec, exec, s[18:19]
	s_cbranch_execz .LBB386_327
.LBB386_332:                            ;   Parent Loop BB386_329 Depth=1
                                        ; =>  This Inner Loop Header: Depth=2
	flat_load_dword v66, v[86:87]
	flat_load_dword v83, v[84:85]
	s_andn2_b64 s[28:29], s[2:3], exec
	s_andn2_b64 s[24:25], s[24:25], exec
	s_or_b64 s[22:23], s[22:23], exec
	s_waitcnt vmcnt(0) lgkmcnt(0)
	v_cmp_le_i32_e64 s[2:3], v66, v83
	v_cmp_lt_i32_e64 s[0:1], v66, v83
	s_and_b64 s[2:3], s[2:3], s[26:27]
	s_or_b64 s[30:31], s[0:1], s[2:3]
	s_and_b64 s[0:1], s[30:31], exec
	v_cmp_eq_u32_e64 s[4:5], v66, v83
	s_or_b64 s[2:3], s[28:29], s[0:1]
	s_and_saveexec_b64 s[28:29], s[4:5]
	s_cbranch_execz .LBB386_331
; %bb.333:                              ;   in Loop: Header=BB386_332 Depth=2
	v_lshl_add_u64 v[96:97], v[96:97], 0, -1
	v_cmp_eq_u64_e64 s[0:1], 0, v[96:97]
	s_andn2_b64 s[4:5], s[24:25], exec
	s_and_b64 s[24:25], s[30:31], exec
	s_or_b64 s[24:25], s[4:5], s[24:25]
	s_andn2_b64 s[4:5], s[22:23], exec
	s_and_b64 s[0:1], s[0:1], exec
	v_lshl_add_u64 v[84:85], v[84:85], 0, 4
	v_lshl_add_u64 v[86:87], v[86:87], 0, 4
	s_andn2_b64 s[2:3], s[2:3], exec
	s_or_b64 s[22:23], s[4:5], s[0:1]
                                        ; implicit-def: $sgpr26_sgpr27
	s_branch .LBB386_331
.LBB386_334:
	s_or_b64 exec, exec, s[14:15]
.LBB386_335:
	s_or_b64 exec, exec, s[10:11]
	v_add_u32_e32 v67, v99, v102
	v_add_u32_e32 v66, v103, v101
	v_sub_u32_e32 v68, v67, v103
	v_cmp_le_u32_e64 s[0:1], v66, v99
	v_cmp_le_u32_e64 s[2:3], v68, v100
	s_or_b64 s[0:1], s[0:1], s[2:3]
	s_and_saveexec_b64 s[10:11], s[0:1]
	s_cbranch_execz .LBB386_419
; %bb.336:
	v_cmp_ge_u32_e64 s[0:1], v66, v99
	v_cmp_lt_u32_e64 s[2:3], v66, v99
                                        ; implicit-def: $vgpr0_vgpr1
	s_and_saveexec_b64 s[4:5], s[2:3]
	s_cbranch_execz .LBB386_338
; %bb.337:
	v_mov_b32_e32 v67, 0
	v_lshl_add_u64 v[0:1], v[66:67], 3, v[54:55]
	flat_load_dwordx2 v[0:1], v[0:1]
.LBB386_338:
	s_or_b64 exec, exec, s[4:5]
	v_cmp_ge_u32_e64 s[14:15], v68, v100
	v_cmp_lt_u32_e64 s[2:3], v68, v100
                                        ; implicit-def: $vgpr2_vgpr3
	s_and_saveexec_b64 s[4:5], s[2:3]
	s_cbranch_execz .LBB386_340
; %bb.339:
	v_mov_b32_e32 v69, 0
	v_lshl_add_u64 v[2:3], v[68:69], 3, v[54:55]
	flat_load_dwordx2 v[2:3], v[2:3]
.LBB386_340:
	s_or_b64 exec, exec, s[4:5]
	s_or_b64 s[0:1], s[0:1], s[14:15]
	s_xor_b64 s[0:1], s[0:1], -1
	s_and_saveexec_b64 s[16:17], s[0:1]
	s_cbranch_execz .LBB386_348
; %bb.341:
	s_mov_b64 s[0:1], 0
	s_and_saveexec_b64 s[18:19], vcc
	s_cbranch_execz .LBB386_347
; %bb.342:
	s_waitcnt vmcnt(0) lgkmcnt(0)
	v_mul_lo_u32 v14, v1, v6
	v_mul_lo_u32 v15, v0, v7
	v_mad_u64_u32 v[12:13], s[0:1], v0, v6, 0
	v_add3_u32 v13, v13, v15, v14
	v_mul_lo_u32 v16, v3, v6
	v_mul_lo_u32 v17, v2, v7
	v_mad_u64_u32 v[14:15], s[0:1], v2, v6, 0
	v_add3_u32 v15, v15, v17, v16
	v_lshl_add_u64 v[12:13], v[12:13], 2, v[8:9]
	v_lshl_add_u64 v[14:15], v[14:15], 2, v[8:9]
	s_mov_b64 s[20:21], 0
	v_mov_b64_e32 v[16:17], v[6:7]
                                        ; implicit-def: $sgpr22_sgpr23
                                        ; implicit-def: $sgpr24_sgpr25
                                        ; implicit-def: $sgpr26_sgpr27
                                        ; implicit-def: $sgpr2_sgpr3
                                        ; implicit-def: $sgpr28_sgpr29
	s_branch .LBB386_344
.LBB386_343:                            ;   in Loop: Header=BB386_344 Depth=1
	s_or_b64 exec, exec, s[30:31]
	s_and_b64 s[0:1], exec, s[24:25]
	s_or_b64 s[20:21], s[0:1], s[20:21]
	s_andn2_b64 s[0:1], s[28:29], exec
	s_and_b64 s[4:5], s[26:27], exec
	s_or_b64 s[28:29], s[0:1], s[4:5]
	s_andn2_b64 s[0:1], s[22:23], exec
	s_and_b64 s[4:5], s[2:3], exec
	s_or_b64 s[22:23], s[0:1], s[4:5]
	s_andn2_b64 exec, exec, s[20:21]
	s_cbranch_execz .LBB386_346
.LBB386_344:                            ; =>This Inner Loop Header: Depth=1
	flat_load_dword v18, v[14:15]
	flat_load_dword v19, v[12:13]
	s_andn2_b64 s[30:31], s[2:3], exec
	s_andn2_b64 s[26:27], s[26:27], exec
	s_or_b64 s[24:25], s[24:25], exec
	s_waitcnt vmcnt(0) lgkmcnt(0)
	v_cmp_le_i32_e64 s[2:3], v18, v19
	v_cmp_lt_i32_e64 s[0:1], v18, v19
	s_and_b64 s[2:3], s[2:3], s[28:29]
	s_or_b64 s[34:35], s[0:1], s[2:3]
	s_and_b64 s[0:1], s[34:35], exec
	v_cmp_eq_u32_e64 s[4:5], v18, v19
	s_or_b64 s[2:3], s[30:31], s[0:1]
	s_and_saveexec_b64 s[30:31], s[4:5]
	s_cbranch_execz .LBB386_343
; %bb.345:                              ;   in Loop: Header=BB386_344 Depth=1
	v_lshl_add_u64 v[16:17], v[16:17], 0, -1
	v_cmp_eq_u64_e64 s[0:1], 0, v[16:17]
	s_andn2_b64 s[4:5], s[26:27], exec
	s_and_b64 s[26:27], s[34:35], exec
	s_or_b64 s[26:27], s[4:5], s[26:27]
	s_andn2_b64 s[4:5], s[24:25], exec
	s_and_b64 s[0:1], s[0:1], exec
	v_lshl_add_u64 v[12:13], v[12:13], 0, 4
	v_lshl_add_u64 v[14:15], v[14:15], 0, 4
	s_andn2_b64 s[2:3], s[2:3], exec
	s_or_b64 s[24:25], s[4:5], s[0:1]
                                        ; implicit-def: $sgpr28_sgpr29
	s_branch .LBB386_343
.LBB386_346:
	s_or_b64 exec, exec, s[20:21]
	s_and_b64 s[0:1], s[22:23], exec
.LBB386_347:
	s_or_b64 exec, exec, s[18:19]
	s_xor_b64 s[0:1], s[0:1], -1
	s_andn2_b64 s[2:3], s[14:15], exec
	s_and_b64 s[0:1], s[0:1], exec
	s_or_b64 s[14:15], s[2:3], s[0:1]
.LBB386_348:
	s_or_b64 exec, exec, s[16:17]
	v_cndmask_b32_e64 v12, v68, v66, s[14:15]
	v_cndmask_b32_e64 v13, v100, v99, s[14:15]
	v_add_u32_e32 v16, 1, v12
	v_add_u32_e32 v12, -1, v13
	v_min_u32_e32 v12, v16, v12
	v_mov_b32_e32 v13, 0
	v_lshl_add_u64 v[14:15], v[12:13], 3, v[54:55]
	flat_load_dwordx2 v[14:15], v[14:15]
	v_cndmask_b32_e64 v23, v16, v68, s[14:15]
	s_mov_b64 s[16:17], -1
	v_cndmask_b32_e64 v66, v66, v16, s[14:15]
	v_cmp_lt_u32_e64 s[0:1], v23, v100
	s_mov_b64 s[18:19], -1
	s_waitcnt vmcnt(0) lgkmcnt(0)
	v_cndmask_b32_e64 v20, v15, v3, s[14:15]
	v_cndmask_b32_e64 v21, v14, v2, s[14:15]
	;; [unrolled: 1-line block ×4, first 2 shown]
	s_and_saveexec_b64 s[20:21], s[0:1]
	s_cbranch_execz .LBB386_358
; %bb.349:
	v_cmp_lt_u32_e64 s[0:1], v66, v99
	s_mov_b64 s[2:3], 0
	s_and_saveexec_b64 s[18:19], s[0:1]
	s_cbranch_execz .LBB386_357
; %bb.350:
	s_mov_b64 s[0:1], 0
	s_and_saveexec_b64 s[22:23], vcc
	s_cbranch_execz .LBB386_356
; %bb.351:
	v_mul_lo_u32 v12, v22, v6
	v_mul_lo_u32 v16, v68, v7
	v_mad_u64_u32 v[14:15], s[0:1], v68, v6, 0
	v_add3_u32 v15, v15, v16, v12
	v_mul_lo_u32 v12, v20, v6
	v_mul_lo_u32 v18, v21, v7
	v_mad_u64_u32 v[16:17], s[0:1], v21, v6, 0
	v_add3_u32 v17, v17, v18, v12
	v_lshl_add_u64 v[14:15], v[14:15], 2, v[8:9]
	v_lshl_add_u64 v[16:17], v[16:17], 2, v[8:9]
	s_mov_b64 s[24:25], 0
	v_mov_b64_e32 v[18:19], v[6:7]
                                        ; implicit-def: $sgpr26_sgpr27
                                        ; implicit-def: $sgpr28_sgpr29
                                        ; implicit-def: $sgpr30_sgpr31
                                        ; implicit-def: $sgpr2_sgpr3
                                        ; implicit-def: $sgpr34_sgpr35
	s_branch .LBB386_353
.LBB386_352:                            ;   in Loop: Header=BB386_353 Depth=1
	s_or_b64 exec, exec, s[36:37]
	s_and_b64 s[0:1], exec, s[28:29]
	s_or_b64 s[24:25], s[0:1], s[24:25]
	s_andn2_b64 s[0:1], s[34:35], exec
	s_and_b64 s[4:5], s[30:31], exec
	s_or_b64 s[34:35], s[0:1], s[4:5]
	s_andn2_b64 s[0:1], s[26:27], exec
	s_and_b64 s[4:5], s[2:3], exec
	s_or_b64 s[26:27], s[0:1], s[4:5]
	s_andn2_b64 exec, exec, s[24:25]
	s_cbranch_execz .LBB386_355
.LBB386_353:                            ; =>This Inner Loop Header: Depth=1
	flat_load_dword v12, v[16:17]
	flat_load_dword v67, v[14:15]
	s_andn2_b64 s[36:37], s[2:3], exec
	s_andn2_b64 s[30:31], s[30:31], exec
	s_or_b64 s[28:29], s[28:29], exec
	s_waitcnt vmcnt(0) lgkmcnt(0)
	v_cmp_le_i32_e64 s[2:3], v12, v67
	v_cmp_lt_i32_e64 s[0:1], v12, v67
	s_and_b64 s[2:3], s[2:3], s[34:35]
	s_or_b64 s[38:39], s[0:1], s[2:3]
	s_and_b64 s[0:1], s[38:39], exec
	v_cmp_eq_u32_e64 s[4:5], v12, v67
	s_or_b64 s[2:3], s[36:37], s[0:1]
	s_and_saveexec_b64 s[36:37], s[4:5]
	s_cbranch_execz .LBB386_352
; %bb.354:                              ;   in Loop: Header=BB386_353 Depth=1
	v_lshl_add_u64 v[18:19], v[18:19], 0, -1
	v_cmp_eq_u64_e64 s[0:1], 0, v[18:19]
	s_andn2_b64 s[4:5], s[30:31], exec
	s_and_b64 s[30:31], s[38:39], exec
	s_or_b64 s[30:31], s[4:5], s[30:31]
	s_andn2_b64 s[4:5], s[28:29], exec
	s_and_b64 s[0:1], s[0:1], exec
	v_lshl_add_u64 v[14:15], v[14:15], 0, 4
	v_lshl_add_u64 v[16:17], v[16:17], 0, 4
	s_andn2_b64 s[2:3], s[2:3], exec
	s_or_b64 s[28:29], s[4:5], s[0:1]
                                        ; implicit-def: $sgpr34_sgpr35
	s_branch .LBB386_352
.LBB386_355:
	s_or_b64 exec, exec, s[24:25]
	s_and_b64 s[0:1], s[26:27], exec
.LBB386_356:
	s_or_b64 exec, exec, s[22:23]
	s_xor_b64 s[0:1], s[0:1], -1
	s_and_b64 s[2:3], s[0:1], exec
.LBB386_357:
	s_or_b64 exec, exec, s[18:19]
	s_orn2_b64 s[18:19], s[2:3], exec
.LBB386_358:
	s_or_b64 exec, exec, s[20:21]
	v_cndmask_b32_e64 v12, v23, v66, s[18:19]
	v_cndmask_b32_e64 v14, v100, v99, s[18:19]
	v_add_u32_e32 v15, 1, v12
	v_add_u32_e32 v12, -1, v14
	v_min_u32_e32 v12, v15, v12
	v_lshl_add_u64 v[12:13], v[12:13], 3, v[54:55]
	flat_load_dwordx2 v[12:13], v[12:13]
	v_cndmask_b32_e64 v18, v15, v23, s[18:19]
	v_cndmask_b32_e64 v19, v66, v15, s[18:19]
	v_cmp_lt_u32_e64 s[0:1], v18, v100
	s_waitcnt vmcnt(0) lgkmcnt(0)
	v_cndmask_b32_e64 v23, v13, v20, s[18:19]
	v_cndmask_b32_e64 v69, v12, v21, s[18:19]
	;; [unrolled: 1-line block ×4, first 2 shown]
	s_and_saveexec_b64 s[20:21], s[0:1]
	s_cbranch_execz .LBB386_368
; %bb.359:
	v_cmp_lt_u32_e64 s[0:1], v19, v99
	s_mov_b64 s[2:3], 0
	s_and_saveexec_b64 s[16:17], s[0:1]
	s_cbranch_execz .LBB386_367
; %bb.360:
	s_mov_b64 s[0:1], 0
	s_and_saveexec_b64 s[22:23], vcc
	s_cbranch_execz .LBB386_366
; %bb.361:
	v_mul_lo_u32 v14, v70, v6
	v_mul_lo_u32 v15, v71, v7
	v_mad_u64_u32 v[12:13], s[0:1], v71, v6, 0
	v_add3_u32 v13, v13, v15, v14
	v_mul_lo_u32 v16, v23, v6
	v_mul_lo_u32 v17, v69, v7
	v_mad_u64_u32 v[14:15], s[0:1], v69, v6, 0
	v_add3_u32 v15, v15, v17, v16
	v_lshl_add_u64 v[12:13], v[12:13], 2, v[8:9]
	v_lshl_add_u64 v[14:15], v[14:15], 2, v[8:9]
	s_mov_b64 s[24:25], 0
	v_mov_b64_e32 v[16:17], v[6:7]
                                        ; implicit-def: $sgpr26_sgpr27
                                        ; implicit-def: $sgpr28_sgpr29
                                        ; implicit-def: $sgpr30_sgpr31
                                        ; implicit-def: $sgpr2_sgpr3
                                        ; implicit-def: $sgpr34_sgpr35
	s_branch .LBB386_363
.LBB386_362:                            ;   in Loop: Header=BB386_363 Depth=1
	s_or_b64 exec, exec, s[36:37]
	s_and_b64 s[0:1], exec, s[28:29]
	s_or_b64 s[24:25], s[0:1], s[24:25]
	s_andn2_b64 s[0:1], s[34:35], exec
	s_and_b64 s[4:5], s[30:31], exec
	s_or_b64 s[34:35], s[0:1], s[4:5]
	s_andn2_b64 s[0:1], s[26:27], exec
	s_and_b64 s[4:5], s[2:3], exec
	s_or_b64 s[26:27], s[0:1], s[4:5]
	s_andn2_b64 exec, exec, s[24:25]
	s_cbranch_execz .LBB386_365
.LBB386_363:                            ; =>This Inner Loop Header: Depth=1
	flat_load_dword v66, v[14:15]
	flat_load_dword v67, v[12:13]
	s_andn2_b64 s[36:37], s[2:3], exec
	s_andn2_b64 s[30:31], s[30:31], exec
	s_or_b64 s[28:29], s[28:29], exec
	s_waitcnt vmcnt(0) lgkmcnt(0)
	v_cmp_le_i32_e64 s[2:3], v66, v67
	v_cmp_lt_i32_e64 s[0:1], v66, v67
	s_and_b64 s[2:3], s[2:3], s[34:35]
	s_or_b64 s[38:39], s[0:1], s[2:3]
	s_and_b64 s[0:1], s[38:39], exec
	v_cmp_eq_u32_e64 s[4:5], v66, v67
	s_or_b64 s[2:3], s[36:37], s[0:1]
	s_and_saveexec_b64 s[36:37], s[4:5]
	s_cbranch_execz .LBB386_362
; %bb.364:                              ;   in Loop: Header=BB386_363 Depth=1
	v_lshl_add_u64 v[16:17], v[16:17], 0, -1
	v_cmp_eq_u64_e64 s[0:1], 0, v[16:17]
	s_andn2_b64 s[4:5], s[30:31], exec
	s_and_b64 s[30:31], s[38:39], exec
	s_or_b64 s[30:31], s[4:5], s[30:31]
	s_andn2_b64 s[4:5], s[28:29], exec
	s_and_b64 s[0:1], s[0:1], exec
	v_lshl_add_u64 v[12:13], v[12:13], 0, 4
	v_lshl_add_u64 v[14:15], v[14:15], 0, 4
	s_andn2_b64 s[2:3], s[2:3], exec
	s_or_b64 s[28:29], s[4:5], s[0:1]
                                        ; implicit-def: $sgpr34_sgpr35
	s_branch .LBB386_362
.LBB386_365:
	s_or_b64 exec, exec, s[24:25]
	s_and_b64 s[0:1], s[26:27], exec
.LBB386_366:
	s_or_b64 exec, exec, s[22:23]
	s_xor_b64 s[0:1], s[0:1], -1
	s_and_b64 s[2:3], s[0:1], exec
.LBB386_367:
	s_or_b64 exec, exec, s[16:17]
	s_orn2_b64 s[16:17], s[2:3], exec
.LBB386_368:
	s_or_b64 exec, exec, s[20:21]
	v_cndmask_b32_e64 v12, v18, v19, s[16:17]
	v_cndmask_b32_e64 v13, v100, v99, s[16:17]
	v_add_u32_e32 v16, 1, v12
	v_add_u32_e32 v12, -1, v13
	v_min_u32_e32 v12, v16, v12
	v_mov_b32_e32 v13, 0
	v_lshl_add_u64 v[14:15], v[12:13], 3, v[54:55]
	flat_load_dwordx2 v[14:15], v[14:15]
	v_cndmask_b32_e64 v66, v16, v18, s[16:17]
	s_mov_b64 s[20:21], -1
	v_cndmask_b32_e64 v67, v19, v16, s[16:17]
	v_cmp_lt_u32_e64 s[0:1], v66, v100
	s_mov_b64 s[22:23], -1
	s_waitcnt vmcnt(0) lgkmcnt(0)
	v_cndmask_b32_e64 v80, v15, v23, s[16:17]
	v_cndmask_b32_e64 v81, v14, v69, s[16:17]
	;; [unrolled: 1-line block ×4, first 2 shown]
	s_and_saveexec_b64 s[24:25], s[0:1]
	s_cbranch_execz .LBB386_378
; %bb.369:
	v_cmp_lt_u32_e64 s[0:1], v67, v99
	s_mov_b64 s[2:3], 0
	s_and_saveexec_b64 s[22:23], s[0:1]
	s_cbranch_execz .LBB386_377
; %bb.370:
	s_mov_b64 s[0:1], -1
	s_and_saveexec_b64 s[26:27], vcc
	s_cbranch_execz .LBB386_376
; %bb.371:
	v_mul_lo_u32 v12, v82, v6
	v_mul_lo_u32 v16, v83, v7
	v_mad_u64_u32 v[14:15], s[0:1], v83, v6, 0
	v_add3_u32 v15, v15, v16, v12
	v_mul_lo_u32 v12, v80, v6
	v_mul_lo_u32 v18, v81, v7
	v_mad_u64_u32 v[16:17], s[0:1], v81, v6, 0
	v_add3_u32 v17, v17, v18, v12
	v_lshl_add_u64 v[14:15], v[14:15], 2, v[8:9]
	v_lshl_add_u64 v[16:17], v[16:17], 2, v[8:9]
	s_mov_b64 s[28:29], 0
	v_mov_b64_e32 v[18:19], v[6:7]
                                        ; implicit-def: $sgpr30_sgpr31
                                        ; implicit-def: $sgpr34_sgpr35
                                        ; implicit-def: $sgpr2_sgpr3
                                        ; implicit-def: $sgpr36_sgpr37
                                        ; implicit-def: $sgpr38_sgpr39
	s_branch .LBB386_373
.LBB386_372:                            ;   in Loop: Header=BB386_373 Depth=1
	s_or_b64 exec, exec, s[40:41]
	s_and_b64 s[0:1], exec, s[34:35]
	s_or_b64 s[28:29], s[0:1], s[28:29]
	s_andn2_b64 s[0:1], s[38:39], exec
	s_and_b64 s[4:5], s[36:37], exec
	s_or_b64 s[38:39], s[0:1], s[4:5]
	s_andn2_b64 s[0:1], s[30:31], exec
	s_and_b64 s[4:5], s[2:3], exec
	s_or_b64 s[30:31], s[0:1], s[4:5]
	s_andn2_b64 exec, exec, s[28:29]
	s_cbranch_execz .LBB386_375
.LBB386_373:                            ; =>This Inner Loop Header: Depth=1
	flat_load_dword v12, v[16:17]
	flat_load_dword v84, v[14:15]
	s_andn2_b64 s[40:41], s[2:3], exec
	s_andn2_b64 s[36:37], s[36:37], exec
	s_or_b64 s[34:35], s[34:35], exec
	s_waitcnt vmcnt(0) lgkmcnt(0)
	v_cmp_le_i32_e64 s[2:3], v12, v84
	v_cmp_lt_i32_e64 s[0:1], v12, v84
	s_and_b64 s[2:3], s[2:3], s[38:39]
	s_or_b64 s[42:43], s[0:1], s[2:3]
	s_and_b64 s[0:1], s[42:43], exec
	v_cmp_eq_u32_e64 s[4:5], v12, v84
	s_or_b64 s[2:3], s[40:41], s[0:1]
	s_and_saveexec_b64 s[40:41], s[4:5]
	s_cbranch_execz .LBB386_372
; %bb.374:                              ;   in Loop: Header=BB386_373 Depth=1
	v_lshl_add_u64 v[18:19], v[18:19], 0, -1
	v_cmp_eq_u64_e64 s[0:1], 0, v[18:19]
	s_andn2_b64 s[4:5], s[36:37], exec
	s_and_b64 s[36:37], s[42:43], exec
	s_or_b64 s[36:37], s[4:5], s[36:37]
	s_andn2_b64 s[4:5], s[34:35], exec
	s_and_b64 s[0:1], s[0:1], exec
	v_lshl_add_u64 v[14:15], v[14:15], 0, 4
	v_lshl_add_u64 v[16:17], v[16:17], 0, 4
	s_andn2_b64 s[2:3], s[2:3], exec
	s_or_b64 s[34:35], s[4:5], s[0:1]
                                        ; implicit-def: $sgpr38_sgpr39
	s_branch .LBB386_372
.LBB386_375:
	s_or_b64 exec, exec, s[28:29]
	s_xor_b64 s[0:1], s[30:31], -1
	s_orn2_b64 s[0:1], s[0:1], exec
.LBB386_376:
	s_or_b64 exec, exec, s[26:27]
	s_and_b64 s[2:3], s[0:1], exec
.LBB386_377:
	s_or_b64 exec, exec, s[22:23]
	s_orn2_b64 s[22:23], s[2:3], exec
.LBB386_378:
	s_or_b64 exec, exec, s[24:25]
	v_cndmask_b32_e64 v12, v66, v67, s[22:23]
	v_cndmask_b32_e64 v14, v100, v99, s[22:23]
	v_add_u32_e32 v15, 1, v12
	v_add_u32_e32 v12, -1, v14
	v_min_u32_e32 v12, v15, v12
	v_lshl_add_u64 v[12:13], v[12:13], 3, v[54:55]
	flat_load_dwordx2 v[12:13], v[12:13]
	v_cndmask_b32_e64 v18, v15, v66, s[22:23]
	v_cndmask_b32_e64 v19, v67, v15, s[22:23]
	v_cmp_lt_u32_e64 s[0:1], v18, v100
	s_waitcnt vmcnt(0) lgkmcnt(0)
	v_cndmask_b32_e64 v84, v13, v80, s[22:23]
	v_cndmask_b32_e64 v85, v12, v81, s[22:23]
	;; [unrolled: 1-line block ×4, first 2 shown]
	s_and_saveexec_b64 s[24:25], s[0:1]
	s_cbranch_execz .LBB386_388
; %bb.379:
	v_cmp_lt_u32_e64 s[0:1], v19, v99
	s_mov_b64 s[2:3], 0
	s_and_saveexec_b64 s[20:21], s[0:1]
	s_cbranch_execz .LBB386_387
; %bb.380:
	s_mov_b64 s[0:1], -1
	s_and_saveexec_b64 s[26:27], vcc
	s_cbranch_execz .LBB386_386
; %bb.381:
	v_mul_lo_u32 v14, v86, v6
	v_mul_lo_u32 v15, v87, v7
	v_mad_u64_u32 v[12:13], s[0:1], v87, v6, 0
	v_add3_u32 v13, v13, v15, v14
	v_mul_lo_u32 v16, v84, v6
	v_mul_lo_u32 v17, v85, v7
	v_mad_u64_u32 v[14:15], s[0:1], v85, v6, 0
	v_add3_u32 v15, v15, v17, v16
	v_lshl_add_u64 v[12:13], v[12:13], 2, v[8:9]
	v_lshl_add_u64 v[14:15], v[14:15], 2, v[8:9]
	s_mov_b64 s[28:29], 0
	v_mov_b64_e32 v[16:17], v[6:7]
                                        ; implicit-def: $sgpr30_sgpr31
                                        ; implicit-def: $sgpr34_sgpr35
                                        ; implicit-def: $sgpr2_sgpr3
                                        ; implicit-def: $sgpr36_sgpr37
                                        ; implicit-def: $sgpr38_sgpr39
	s_branch .LBB386_383
.LBB386_382:                            ;   in Loop: Header=BB386_383 Depth=1
	s_or_b64 exec, exec, s[40:41]
	s_and_b64 s[0:1], exec, s[34:35]
	s_or_b64 s[28:29], s[0:1], s[28:29]
	s_andn2_b64 s[0:1], s[38:39], exec
	s_and_b64 s[4:5], s[36:37], exec
	s_or_b64 s[38:39], s[0:1], s[4:5]
	s_andn2_b64 s[0:1], s[30:31], exec
	s_and_b64 s[4:5], s[2:3], exec
	s_or_b64 s[30:31], s[0:1], s[4:5]
	s_andn2_b64 exec, exec, s[28:29]
	s_cbranch_execz .LBB386_385
.LBB386_383:                            ; =>This Inner Loop Header: Depth=1
	flat_load_dword v66, v[14:15]
	flat_load_dword v67, v[12:13]
	s_andn2_b64 s[40:41], s[2:3], exec
	s_andn2_b64 s[36:37], s[36:37], exec
	s_or_b64 s[34:35], s[34:35], exec
	s_waitcnt vmcnt(0) lgkmcnt(0)
	v_cmp_le_i32_e64 s[2:3], v66, v67
	v_cmp_lt_i32_e64 s[0:1], v66, v67
	s_and_b64 s[2:3], s[2:3], s[38:39]
	s_or_b64 s[42:43], s[0:1], s[2:3]
	s_and_b64 s[0:1], s[42:43], exec
	v_cmp_eq_u32_e64 s[4:5], v66, v67
	s_or_b64 s[2:3], s[40:41], s[0:1]
	s_and_saveexec_b64 s[40:41], s[4:5]
	s_cbranch_execz .LBB386_382
; %bb.384:                              ;   in Loop: Header=BB386_383 Depth=1
	v_lshl_add_u64 v[16:17], v[16:17], 0, -1
	v_cmp_eq_u64_e64 s[0:1], 0, v[16:17]
	s_andn2_b64 s[4:5], s[36:37], exec
	s_and_b64 s[36:37], s[42:43], exec
	s_or_b64 s[36:37], s[4:5], s[36:37]
	s_andn2_b64 s[4:5], s[34:35], exec
	s_and_b64 s[0:1], s[0:1], exec
	v_lshl_add_u64 v[12:13], v[12:13], 0, 4
	v_lshl_add_u64 v[14:15], v[14:15], 0, 4
	s_andn2_b64 s[2:3], s[2:3], exec
	s_or_b64 s[34:35], s[4:5], s[0:1]
                                        ; implicit-def: $sgpr38_sgpr39
	s_branch .LBB386_382
.LBB386_385:
	s_or_b64 exec, exec, s[28:29]
	s_xor_b64 s[0:1], s[30:31], -1
	s_orn2_b64 s[0:1], s[0:1], exec
.LBB386_386:
	s_or_b64 exec, exec, s[26:27]
	s_and_b64 s[2:3], s[0:1], exec
.LBB386_387:
	s_or_b64 exec, exec, s[20:21]
	s_orn2_b64 s[20:21], s[2:3], exec
.LBB386_388:
	s_or_b64 exec, exec, s[24:25]
	v_cndmask_b32_e64 v12, v18, v19, s[20:21]
	v_cndmask_b32_e64 v13, v100, v99, s[20:21]
	v_add_u32_e32 v16, 1, v12
	v_add_u32_e32 v12, -1, v13
	v_min_u32_e32 v12, v16, v12
	v_mov_b32_e32 v13, 0
	v_lshl_add_u64 v[14:15], v[12:13], 3, v[54:55]
	flat_load_dwordx2 v[14:15], v[14:15]
	v_cndmask_b32_e64 v66, v16, v18, s[20:21]
	s_mov_b64 s[24:25], -1
	v_cndmask_b32_e64 v67, v19, v16, s[20:21]
	v_cmp_lt_u32_e64 s[0:1], v66, v100
	s_mov_b64 s[26:27], -1
	s_waitcnt vmcnt(0) lgkmcnt(0)
	v_cndmask_b32_e64 v96, v15, v84, s[20:21]
	v_cndmask_b32_e64 v97, v14, v85, s[20:21]
	;; [unrolled: 1-line block ×4, first 2 shown]
	s_and_saveexec_b64 s[28:29], s[0:1]
	s_cbranch_execz .LBB386_398
; %bb.389:
	v_cmp_lt_u32_e64 s[0:1], v67, v99
	s_mov_b64 s[2:3], 0
	s_and_saveexec_b64 s[26:27], s[0:1]
	s_cbranch_execz .LBB386_397
; %bb.390:
	s_mov_b64 s[0:1], -1
	s_and_saveexec_b64 s[30:31], vcc
	s_cbranch_execz .LBB386_396
; %bb.391:
	v_mul_lo_u32 v12, v101, v6
	v_mul_lo_u32 v16, v102, v7
	v_mad_u64_u32 v[14:15], s[0:1], v102, v6, 0
	v_add3_u32 v15, v15, v16, v12
	v_mul_lo_u32 v12, v96, v6
	v_mul_lo_u32 v18, v97, v7
	v_mad_u64_u32 v[16:17], s[0:1], v97, v6, 0
	v_add3_u32 v17, v17, v18, v12
	v_lshl_add_u64 v[14:15], v[14:15], 2, v[8:9]
	v_lshl_add_u64 v[16:17], v[16:17], 2, v[8:9]
	s_mov_b64 s[34:35], 0
	v_mov_b64_e32 v[18:19], v[6:7]
                                        ; implicit-def: $sgpr36_sgpr37
                                        ; implicit-def: $sgpr38_sgpr39
                                        ; implicit-def: $sgpr2_sgpr3
                                        ; implicit-def: $sgpr40_sgpr41
                                        ; implicit-def: $sgpr42_sgpr43
	s_branch .LBB386_393
.LBB386_392:                            ;   in Loop: Header=BB386_393 Depth=1
	s_or_b64 exec, exec, s[44:45]
	s_and_b64 s[0:1], exec, s[38:39]
	s_or_b64 s[34:35], s[0:1], s[34:35]
	s_andn2_b64 s[0:1], s[42:43], exec
	s_and_b64 s[4:5], s[40:41], exec
	s_or_b64 s[42:43], s[0:1], s[4:5]
	s_andn2_b64 s[0:1], s[36:37], exec
	s_and_b64 s[4:5], s[2:3], exec
	s_or_b64 s[36:37], s[0:1], s[4:5]
	s_andn2_b64 exec, exec, s[34:35]
	s_cbranch_execz .LBB386_395
.LBB386_393:                            ; =>This Inner Loop Header: Depth=1
	flat_load_dword v12, v[16:17]
	flat_load_dword v103, v[14:15]
	s_andn2_b64 s[44:45], s[2:3], exec
	s_andn2_b64 s[40:41], s[40:41], exec
	s_or_b64 s[38:39], s[38:39], exec
	s_waitcnt vmcnt(0) lgkmcnt(0)
	v_cmp_le_i32_e64 s[2:3], v12, v103
	v_cmp_lt_i32_e64 s[0:1], v12, v103
	s_and_b64 s[2:3], s[2:3], s[42:43]
	s_or_b64 s[46:47], s[0:1], s[2:3]
	s_and_b64 s[0:1], s[46:47], exec
	v_cmp_eq_u32_e64 s[4:5], v12, v103
	s_or_b64 s[2:3], s[44:45], s[0:1]
	s_and_saveexec_b64 s[44:45], s[4:5]
	s_cbranch_execz .LBB386_392
; %bb.394:                              ;   in Loop: Header=BB386_393 Depth=1
	v_lshl_add_u64 v[18:19], v[18:19], 0, -1
	v_cmp_eq_u64_e64 s[0:1], 0, v[18:19]
	s_andn2_b64 s[4:5], s[40:41], exec
	s_and_b64 s[40:41], s[46:47], exec
	s_or_b64 s[40:41], s[4:5], s[40:41]
	s_andn2_b64 s[4:5], s[38:39], exec
	s_and_b64 s[0:1], s[0:1], exec
	v_lshl_add_u64 v[14:15], v[14:15], 0, 4
	v_lshl_add_u64 v[16:17], v[16:17], 0, 4
	s_andn2_b64 s[2:3], s[2:3], exec
	s_or_b64 s[38:39], s[4:5], s[0:1]
                                        ; implicit-def: $sgpr42_sgpr43
	s_branch .LBB386_392
.LBB386_395:
	s_or_b64 exec, exec, s[34:35]
	s_xor_b64 s[0:1], s[36:37], -1
	s_orn2_b64 s[0:1], s[0:1], exec
.LBB386_396:
	s_or_b64 exec, exec, s[30:31]
	s_and_b64 s[2:3], s[0:1], exec
.LBB386_397:
	s_or_b64 exec, exec, s[26:27]
	s_orn2_b64 s[26:27], s[2:3], exec
.LBB386_398:
	s_or_b64 exec, exec, s[28:29]
	v_cndmask_b32_e64 v12, v66, v67, s[26:27]
	v_cndmask_b32_e64 v14, v100, v99, s[26:27]
	v_add_u32_e32 v15, 1, v12
	v_add_u32_e32 v12, -1, v14
	v_min_u32_e32 v12, v15, v12
	v_lshl_add_u64 v[12:13], v[12:13], 3, v[54:55]
	flat_load_dwordx2 v[12:13], v[12:13]
	v_cndmask_b32_e64 v114, v15, v66, s[26:27]
	v_cndmask_b32_e64 v103, v67, v15, s[26:27]
	v_cmp_lt_u32_e64 s[0:1], v114, v100
	s_waitcnt vmcnt(0) lgkmcnt(0)
	v_cndmask_b32_e64 v112, v13, v96, s[26:27]
	v_cndmask_b32_e64 v113, v12, v97, s[26:27]
	;; [unrolled: 1-line block ×4, first 2 shown]
	s_and_saveexec_b64 s[28:29], s[0:1]
	s_cbranch_execz .LBB386_408
; %bb.399:
	v_cmp_lt_u32_e64 s[0:1], v103, v99
	s_mov_b64 s[2:3], 0
	s_and_saveexec_b64 s[24:25], s[0:1]
	s_cbranch_execz .LBB386_407
; %bb.400:
	s_mov_b64 s[0:1], -1
	s_and_saveexec_b64 s[30:31], vcc
	s_cbranch_execz .LBB386_406
; %bb.401:
	v_mul_lo_u32 v14, v115, v6
	v_mul_lo_u32 v15, v116, v7
	v_mad_u64_u32 v[12:13], s[0:1], v116, v6, 0
	v_add3_u32 v13, v13, v15, v14
	v_mul_lo_u32 v16, v112, v6
	v_mul_lo_u32 v17, v113, v7
	v_mad_u64_u32 v[14:15], s[0:1], v113, v6, 0
	v_add3_u32 v15, v15, v17, v16
	v_lshl_add_u64 v[12:13], v[12:13], 2, v[8:9]
	v_lshl_add_u64 v[14:15], v[14:15], 2, v[8:9]
	s_mov_b64 s[34:35], 0
	v_mov_b64_e32 v[16:17], v[6:7]
                                        ; implicit-def: $sgpr36_sgpr37
                                        ; implicit-def: $sgpr38_sgpr39
                                        ; implicit-def: $sgpr2_sgpr3
                                        ; implicit-def: $sgpr40_sgpr41
                                        ; implicit-def: $sgpr42_sgpr43
	s_branch .LBB386_403
.LBB386_402:                            ;   in Loop: Header=BB386_403 Depth=1
	s_or_b64 exec, exec, s[44:45]
	s_and_b64 s[0:1], exec, s[38:39]
	s_or_b64 s[34:35], s[0:1], s[34:35]
	s_andn2_b64 s[0:1], s[42:43], exec
	s_and_b64 s[4:5], s[40:41], exec
	s_or_b64 s[42:43], s[0:1], s[4:5]
	s_andn2_b64 s[0:1], s[36:37], exec
	s_and_b64 s[4:5], s[2:3], exec
	s_or_b64 s[36:37], s[0:1], s[4:5]
	s_andn2_b64 exec, exec, s[34:35]
	s_cbranch_execz .LBB386_405
.LBB386_403:                            ; =>This Inner Loop Header: Depth=1
	flat_load_dword v18, v[14:15]
	flat_load_dword v19, v[12:13]
	s_andn2_b64 s[44:45], s[2:3], exec
	s_andn2_b64 s[40:41], s[40:41], exec
	s_or_b64 s[38:39], s[38:39], exec
	s_waitcnt vmcnt(0) lgkmcnt(0)
	v_cmp_le_i32_e64 s[2:3], v18, v19
	v_cmp_lt_i32_e64 s[0:1], v18, v19
	s_and_b64 s[2:3], s[2:3], s[42:43]
	s_or_b64 s[46:47], s[0:1], s[2:3]
	s_and_b64 s[0:1], s[46:47], exec
	v_cmp_eq_u32_e64 s[4:5], v18, v19
	s_or_b64 s[2:3], s[44:45], s[0:1]
	s_and_saveexec_b64 s[44:45], s[4:5]
	s_cbranch_execz .LBB386_402
; %bb.404:                              ;   in Loop: Header=BB386_403 Depth=1
	v_lshl_add_u64 v[16:17], v[16:17], 0, -1
	v_cmp_eq_u64_e64 s[0:1], 0, v[16:17]
	s_andn2_b64 s[4:5], s[40:41], exec
	s_and_b64 s[40:41], s[46:47], exec
	s_or_b64 s[40:41], s[4:5], s[40:41]
	s_andn2_b64 s[4:5], s[38:39], exec
	s_and_b64 s[0:1], s[0:1], exec
	v_lshl_add_u64 v[12:13], v[12:13], 0, 4
	v_lshl_add_u64 v[14:15], v[14:15], 0, 4
	s_andn2_b64 s[2:3], s[2:3], exec
	s_or_b64 s[38:39], s[4:5], s[0:1]
                                        ; implicit-def: $sgpr42_sgpr43
	s_branch .LBB386_402
.LBB386_405:
	s_or_b64 exec, exec, s[34:35]
	s_xor_b64 s[0:1], s[36:37], -1
	s_orn2_b64 s[0:1], s[0:1], exec
.LBB386_406:
	s_or_b64 exec, exec, s[30:31]
	s_and_b64 s[2:3], s[0:1], exec
.LBB386_407:
	s_or_b64 exec, exec, s[24:25]
	s_orn2_b64 s[24:25], s[2:3], exec
.LBB386_408:
	s_or_b64 exec, exec, s[28:29]
	v_cndmask_b32_e64 v12, v114, v103, s[24:25]
	v_cndmask_b32_e64 v13, v100, v99, s[24:25]
	v_add_u32_e32 v117, 1, v12
	v_add_u32_e32 v12, -1, v13
	v_min_u32_e32 v12, v117, v12
	v_mov_b32_e32 v13, 0
	v_lshl_add_u64 v[12:13], v[12:13], 3, v[54:55]
	flat_load_dwordx2 v[66:67], v[12:13]
	v_cndmask_b32_e64 v17, v23, v70, s[16:17]
	v_cndmask_b32_e64 v23, v20, v22, s[18:19]
	;; [unrolled: 1-line block ×15, first 2 shown]
	v_cmp_lt_u32_e64 s[0:1], v68, v100
	s_waitcnt vmcnt(0) lgkmcnt(0)
	v_cndmask_b32_e64 v3, v115, v67, s[24:25]
	v_cndmask_b32_e64 v2, v116, v66, s[24:25]
	s_and_saveexec_b64 s[14:15], s[0:1]
	s_cbranch_execz .LBB386_418
; %bb.409:
	v_cndmask_b32_e64 v68, v103, v117, s[24:25]
	v_cndmask_b32_e64 v67, v67, v112, s[24:25]
	;; [unrolled: 1-line block ×3, first 2 shown]
	v_cmp_lt_u32_e64 s[0:1], v68, v99
	s_and_saveexec_b64 s[16:17], s[0:1]
	s_cbranch_execz .LBB386_417
; %bb.410:
	s_and_saveexec_b64 s[18:19], vcc
	s_cbranch_execz .LBB386_416
; %bb.411:
	v_mul_lo_u32 v70, v3, v6
	v_mul_lo_u32 v71, v2, v7
	v_mad_u64_u32 v[68:69], s[0:1], v2, v6, 0
	v_add3_u32 v69, v69, v71, v70
	v_mul_lo_u32 v80, v67, v6
	v_mul_lo_u32 v81, v66, v7
	v_mad_u64_u32 v[70:71], s[0:1], v66, v6, 0
	v_add3_u32 v71, v71, v81, v80
	v_lshl_add_u64 v[68:69], v[68:69], 2, v[8:9]
	v_lshl_add_u64 v[70:71], v[70:71], 2, v[8:9]
	s_mov_b64 s[20:21], 0
	v_mov_b64_e32 v[80:81], v[6:7]
                                        ; implicit-def: $sgpr22_sgpr23
                                        ; implicit-def: $sgpr24_sgpr25
                                        ; implicit-def: $sgpr2_sgpr3
                                        ; implicit-def: $sgpr26_sgpr27
                                        ; implicit-def: $sgpr28_sgpr29
	s_branch .LBB386_413
.LBB386_412:                            ;   in Loop: Header=BB386_413 Depth=1
	s_or_b64 exec, exec, s[30:31]
	s_and_b64 s[0:1], exec, s[24:25]
	s_or_b64 s[20:21], s[0:1], s[20:21]
	s_andn2_b64 s[0:1], s[28:29], exec
	s_and_b64 s[4:5], s[26:27], exec
	s_or_b64 s[28:29], s[0:1], s[4:5]
	s_andn2_b64 s[0:1], s[22:23], exec
	s_and_b64 s[4:5], s[2:3], exec
	s_or_b64 s[22:23], s[0:1], s[4:5]
	s_andn2_b64 exec, exec, s[20:21]
	s_cbranch_execz .LBB386_415
.LBB386_413:                            ; =>This Inner Loop Header: Depth=1
	flat_load_dword v82, v[70:71]
	flat_load_dword v83, v[68:69]
	s_andn2_b64 s[30:31], s[2:3], exec
	s_andn2_b64 s[26:27], s[26:27], exec
	s_or_b64 s[24:25], s[24:25], exec
	s_waitcnt vmcnt(0) lgkmcnt(0)
	v_cmp_le_i32_e64 s[2:3], v82, v83
	v_cmp_lt_i32_e64 s[0:1], v82, v83
	s_and_b64 s[2:3], s[2:3], s[28:29]
	s_or_b64 s[34:35], s[0:1], s[2:3]
	s_and_b64 s[0:1], s[34:35], exec
	v_cmp_eq_u32_e64 s[4:5], v82, v83
	s_or_b64 s[2:3], s[30:31], s[0:1]
	s_and_saveexec_b64 s[30:31], s[4:5]
	s_cbranch_execz .LBB386_412
; %bb.414:                              ;   in Loop: Header=BB386_413 Depth=1
	v_lshl_add_u64 v[80:81], v[80:81], 0, -1
	v_cmp_eq_u64_e64 s[0:1], 0, v[80:81]
	s_andn2_b64 s[4:5], s[26:27], exec
	s_and_b64 s[26:27], s[34:35], exec
	s_or_b64 s[26:27], s[4:5], s[26:27]
	s_andn2_b64 s[4:5], s[24:25], exec
	s_and_b64 s[0:1], s[0:1], exec
	v_lshl_add_u64 v[68:69], v[68:69], 0, 4
	v_lshl_add_u64 v[70:71], v[70:71], 0, 4
	s_andn2_b64 s[2:3], s[2:3], exec
	s_or_b64 s[24:25], s[4:5], s[0:1]
                                        ; implicit-def: $sgpr28_sgpr29
	s_branch .LBB386_412
.LBB386_415:
	s_or_b64 exec, exec, s[20:21]
	v_cndmask_b32_e64 v3, v3, v67, s[22:23]
	v_cndmask_b32_e64 v2, v2, v66, s[22:23]
.LBB386_416:
	s_or_b64 exec, exec, s[18:19]
	v_mov_b64_e32 v[66:67], v[2:3]
.LBB386_417:
	s_or_b64 exec, exec, s[16:17]
	v_mov_b64_e32 v[2:3], v[66:67]
.LBB386_418:
	s_or_b64 exec, exec, s[14:15]
.LBB386_419:
	s_or_b64 exec, exec, s[10:11]
	v_and_b32_e32 v101, 0x3c0, v98
	v_or_b32_e32 v66, 32, v101
	v_min_u32_e32 v99, v31, v66
	v_add_u32_e32 v66, 32, v99
	v_min_u32_e32 v100, v31, v66
	v_and_b32_e32 v66, 56, v98
	v_min_u32_e32 v102, v31, v66
	v_sub_u32_e32 v66, v99, v101
	v_sub_u32_e32 v67, v100, v99
	v_sub_u32_e64 v103, v102, v67 clamp
	v_min_u32_e32 v112, v102, v66
	v_cmp_lt_u32_e64 s[0:1], v103, v112
	; wave barrier
	flat_store_dwordx4 v[64:65], v[20:23]
	flat_store_dwordx4 v[64:65], v[16:19] offset:16
	flat_store_dwordx4 v[64:65], v[12:15] offset:32
	;; [unrolled: 1-line block ×3, first 2 shown]
	; wave barrier
	s_and_saveexec_b64 s[10:11], s[0:1]
	s_cbranch_execz .LBB386_429
; %bb.420:
	v_lshlrev_b32_e32 v66, 3, v101
	v_mov_b32_e32 v67, 0
	v_lshl_add_u64 v[68:69], v[54:55], 0, v[66:67]
	v_lshlrev_b32_e32 v66, 3, v99
	v_lshl_add_u64 v[70:71], v[54:55], 0, v[66:67]
	v_lshlrev_b64 v[80:81], 2, v[6:7]
	s_mov_b64 s[14:15], 0
	s_branch .LBB386_423
.LBB386_421:                            ;   in Loop: Header=BB386_423 Depth=1
	s_or_b64 exec, exec, s[18:19]
	s_and_b64 s[0:1], s[20:21], exec
.LBB386_422:                            ;   in Loop: Header=BB386_423 Depth=1
	s_or_b64 exec, exec, s[16:17]
	v_add_u32_e32 v66, 1, v82
	v_cndmask_b32_e64 v112, v112, v82, s[0:1]
	v_cndmask_b32_e64 v103, v66, v103, s[0:1]
	v_cmp_ge_u32_e64 s[0:1], v103, v112
	s_or_b64 s[14:15], s[0:1], s[14:15]
	s_andn2_b64 exec, exec, s[14:15]
	s_cbranch_execz .LBB386_428
.LBB386_423:                            ; =>This Loop Header: Depth=1
                                        ;     Child Loop BB386_426 Depth 2
	v_add_u32_e32 v66, v112, v103
	v_lshrrev_b32_e32 v82, 1, v66
	s_mov_b64 s[0:1], 0
	s_and_saveexec_b64 s[16:17], vcc
	s_cbranch_execz .LBB386_422
; %bb.424:                              ;   in Loop: Header=BB386_423 Depth=1
	v_mov_b32_e32 v83, v67
	v_xad_u32 v66, v82, -1, v102
	v_lshl_add_u64 v[84:85], v[82:83], 3, v[68:69]
	v_lshl_add_u64 v[86:87], v[66:67], 3, v[70:71]
	flat_load_dwordx2 v[84:85], v[84:85]
	s_mov_b64 s[18:19], 0
	flat_load_dwordx2 v[86:87], v[86:87]
                                        ; implicit-def: $sgpr20_sgpr21
                                        ; implicit-def: $sgpr22_sgpr23
                                        ; implicit-def: $sgpr24_sgpr25
                                        ; implicit-def: $sgpr2_sgpr3
                                        ; implicit-def: $sgpr26_sgpr27
	s_waitcnt vmcnt(0) lgkmcnt(0)
	v_mul_lo_u32 v66, v80, v85
	v_mul_lo_u32 v83, v81, v84
	v_mad_u64_u32 v[84:85], s[0:1], v80, v84, v[8:9]
	v_mul_lo_u32 v96, v80, v87
	v_mul_lo_u32 v97, v81, v86
	v_mad_u64_u32 v[86:87], s[0:1], v80, v86, v[8:9]
	v_add3_u32 v85, v83, v85, v66
	v_add3_u32 v87, v97, v87, v96
	v_mov_b64_e32 v[96:97], v[6:7]
	s_branch .LBB386_426
.LBB386_425:                            ;   in Loop: Header=BB386_426 Depth=2
	s_or_b64 exec, exec, s[28:29]
	s_and_b64 s[0:1], exec, s[22:23]
	s_or_b64 s[18:19], s[0:1], s[18:19]
	s_andn2_b64 s[0:1], s[26:27], exec
	s_and_b64 s[4:5], s[24:25], exec
	s_or_b64 s[26:27], s[0:1], s[4:5]
	s_andn2_b64 s[0:1], s[20:21], exec
	s_and_b64 s[4:5], s[2:3], exec
	s_or_b64 s[20:21], s[0:1], s[4:5]
	s_andn2_b64 exec, exec, s[18:19]
	s_cbranch_execz .LBB386_421
.LBB386_426:                            ;   Parent Loop BB386_423 Depth=1
                                        ; =>  This Inner Loop Header: Depth=2
	flat_load_dword v66, v[86:87]
	flat_load_dword v83, v[84:85]
	s_andn2_b64 s[28:29], s[2:3], exec
	s_andn2_b64 s[24:25], s[24:25], exec
	s_or_b64 s[22:23], s[22:23], exec
	s_waitcnt vmcnt(0) lgkmcnt(0)
	v_cmp_le_i32_e64 s[2:3], v66, v83
	v_cmp_lt_i32_e64 s[0:1], v66, v83
	s_and_b64 s[2:3], s[2:3], s[26:27]
	s_or_b64 s[30:31], s[0:1], s[2:3]
	s_and_b64 s[0:1], s[30:31], exec
	v_cmp_eq_u32_e64 s[4:5], v66, v83
	s_or_b64 s[2:3], s[28:29], s[0:1]
	s_and_saveexec_b64 s[28:29], s[4:5]
	s_cbranch_execz .LBB386_425
; %bb.427:                              ;   in Loop: Header=BB386_426 Depth=2
	v_lshl_add_u64 v[96:97], v[96:97], 0, -1
	v_cmp_eq_u64_e64 s[0:1], 0, v[96:97]
	s_andn2_b64 s[4:5], s[24:25], exec
	s_and_b64 s[24:25], s[30:31], exec
	s_or_b64 s[24:25], s[4:5], s[24:25]
	s_andn2_b64 s[4:5], s[22:23], exec
	s_and_b64 s[0:1], s[0:1], exec
	v_lshl_add_u64 v[84:85], v[84:85], 0, 4
	v_lshl_add_u64 v[86:87], v[86:87], 0, 4
	s_andn2_b64 s[2:3], s[2:3], exec
	s_or_b64 s[22:23], s[4:5], s[0:1]
                                        ; implicit-def: $sgpr26_sgpr27
	s_branch .LBB386_425
.LBB386_428:
	s_or_b64 exec, exec, s[14:15]
.LBB386_429:
	s_or_b64 exec, exec, s[10:11]
	v_add_u32_e32 v67, v99, v102
	v_add_u32_e32 v66, v103, v101
	v_sub_u32_e32 v68, v67, v103
	v_cmp_le_u32_e64 s[0:1], v66, v99
	v_cmp_le_u32_e64 s[2:3], v68, v100
	s_or_b64 s[0:1], s[0:1], s[2:3]
	s_and_saveexec_b64 s[10:11], s[0:1]
	s_cbranch_execz .LBB386_513
; %bb.430:
	v_cmp_ge_u32_e64 s[0:1], v66, v99
	v_cmp_lt_u32_e64 s[2:3], v66, v99
                                        ; implicit-def: $vgpr0_vgpr1
	s_and_saveexec_b64 s[4:5], s[2:3]
	s_cbranch_execz .LBB386_432
; %bb.431:
	v_mov_b32_e32 v67, 0
	v_lshl_add_u64 v[0:1], v[66:67], 3, v[54:55]
	flat_load_dwordx2 v[0:1], v[0:1]
.LBB386_432:
	s_or_b64 exec, exec, s[4:5]
	v_cmp_ge_u32_e64 s[14:15], v68, v100
	v_cmp_lt_u32_e64 s[2:3], v68, v100
                                        ; implicit-def: $vgpr2_vgpr3
	s_and_saveexec_b64 s[4:5], s[2:3]
	s_cbranch_execz .LBB386_434
; %bb.433:
	v_mov_b32_e32 v69, 0
	v_lshl_add_u64 v[2:3], v[68:69], 3, v[54:55]
	flat_load_dwordx2 v[2:3], v[2:3]
.LBB386_434:
	s_or_b64 exec, exec, s[4:5]
	s_or_b64 s[0:1], s[0:1], s[14:15]
	s_xor_b64 s[0:1], s[0:1], -1
	s_and_saveexec_b64 s[16:17], s[0:1]
	s_cbranch_execz .LBB386_442
; %bb.435:
	s_mov_b64 s[0:1], 0
	s_and_saveexec_b64 s[18:19], vcc
	s_cbranch_execz .LBB386_441
; %bb.436:
	s_waitcnt vmcnt(0) lgkmcnt(0)
	v_mul_lo_u32 v14, v1, v6
	v_mul_lo_u32 v15, v0, v7
	v_mad_u64_u32 v[12:13], s[0:1], v0, v6, 0
	v_add3_u32 v13, v13, v15, v14
	v_mul_lo_u32 v16, v3, v6
	v_mul_lo_u32 v17, v2, v7
	v_mad_u64_u32 v[14:15], s[0:1], v2, v6, 0
	v_add3_u32 v15, v15, v17, v16
	v_lshl_add_u64 v[12:13], v[12:13], 2, v[8:9]
	v_lshl_add_u64 v[14:15], v[14:15], 2, v[8:9]
	s_mov_b64 s[20:21], 0
	v_mov_b64_e32 v[16:17], v[6:7]
                                        ; implicit-def: $sgpr22_sgpr23
                                        ; implicit-def: $sgpr24_sgpr25
                                        ; implicit-def: $sgpr26_sgpr27
                                        ; implicit-def: $sgpr2_sgpr3
                                        ; implicit-def: $sgpr28_sgpr29
	s_branch .LBB386_438
.LBB386_437:                            ;   in Loop: Header=BB386_438 Depth=1
	s_or_b64 exec, exec, s[30:31]
	s_and_b64 s[0:1], exec, s[24:25]
	s_or_b64 s[20:21], s[0:1], s[20:21]
	s_andn2_b64 s[0:1], s[28:29], exec
	s_and_b64 s[4:5], s[26:27], exec
	s_or_b64 s[28:29], s[0:1], s[4:5]
	s_andn2_b64 s[0:1], s[22:23], exec
	s_and_b64 s[4:5], s[2:3], exec
	s_or_b64 s[22:23], s[0:1], s[4:5]
	s_andn2_b64 exec, exec, s[20:21]
	s_cbranch_execz .LBB386_440
.LBB386_438:                            ; =>This Inner Loop Header: Depth=1
	flat_load_dword v18, v[14:15]
	flat_load_dword v19, v[12:13]
	s_andn2_b64 s[30:31], s[2:3], exec
	s_andn2_b64 s[26:27], s[26:27], exec
	s_or_b64 s[24:25], s[24:25], exec
	s_waitcnt vmcnt(0) lgkmcnt(0)
	v_cmp_le_i32_e64 s[2:3], v18, v19
	v_cmp_lt_i32_e64 s[0:1], v18, v19
	s_and_b64 s[2:3], s[2:3], s[28:29]
	s_or_b64 s[34:35], s[0:1], s[2:3]
	s_and_b64 s[0:1], s[34:35], exec
	v_cmp_eq_u32_e64 s[4:5], v18, v19
	s_or_b64 s[2:3], s[30:31], s[0:1]
	s_and_saveexec_b64 s[30:31], s[4:5]
	s_cbranch_execz .LBB386_437
; %bb.439:                              ;   in Loop: Header=BB386_438 Depth=1
	v_lshl_add_u64 v[16:17], v[16:17], 0, -1
	v_cmp_eq_u64_e64 s[0:1], 0, v[16:17]
	s_andn2_b64 s[4:5], s[26:27], exec
	s_and_b64 s[26:27], s[34:35], exec
	s_or_b64 s[26:27], s[4:5], s[26:27]
	s_andn2_b64 s[4:5], s[24:25], exec
	s_and_b64 s[0:1], s[0:1], exec
	v_lshl_add_u64 v[12:13], v[12:13], 0, 4
	v_lshl_add_u64 v[14:15], v[14:15], 0, 4
	s_andn2_b64 s[2:3], s[2:3], exec
	s_or_b64 s[24:25], s[4:5], s[0:1]
                                        ; implicit-def: $sgpr28_sgpr29
	s_branch .LBB386_437
.LBB386_440:
	s_or_b64 exec, exec, s[20:21]
	s_and_b64 s[0:1], s[22:23], exec
.LBB386_441:
	s_or_b64 exec, exec, s[18:19]
	s_xor_b64 s[0:1], s[0:1], -1
	s_andn2_b64 s[2:3], s[14:15], exec
	s_and_b64 s[0:1], s[0:1], exec
	s_or_b64 s[14:15], s[2:3], s[0:1]
.LBB386_442:
	s_or_b64 exec, exec, s[16:17]
	v_cndmask_b32_e64 v12, v68, v66, s[14:15]
	v_cndmask_b32_e64 v13, v100, v99, s[14:15]
	v_add_u32_e32 v16, 1, v12
	v_add_u32_e32 v12, -1, v13
	v_min_u32_e32 v12, v16, v12
	v_mov_b32_e32 v13, 0
	v_lshl_add_u64 v[14:15], v[12:13], 3, v[54:55]
	flat_load_dwordx2 v[14:15], v[14:15]
	v_cndmask_b32_e64 v23, v16, v68, s[14:15]
	s_mov_b64 s[16:17], -1
	v_cndmask_b32_e64 v66, v66, v16, s[14:15]
	v_cmp_lt_u32_e64 s[0:1], v23, v100
	s_mov_b64 s[18:19], -1
	s_waitcnt vmcnt(0) lgkmcnt(0)
	v_cndmask_b32_e64 v20, v15, v3, s[14:15]
	v_cndmask_b32_e64 v21, v14, v2, s[14:15]
	;; [unrolled: 1-line block ×4, first 2 shown]
	s_and_saveexec_b64 s[20:21], s[0:1]
	s_cbranch_execz .LBB386_452
; %bb.443:
	v_cmp_lt_u32_e64 s[0:1], v66, v99
	s_mov_b64 s[2:3], 0
	s_and_saveexec_b64 s[18:19], s[0:1]
	s_cbranch_execz .LBB386_451
; %bb.444:
	s_mov_b64 s[0:1], 0
	s_and_saveexec_b64 s[22:23], vcc
	s_cbranch_execz .LBB386_450
; %bb.445:
	v_mul_lo_u32 v12, v22, v6
	v_mul_lo_u32 v16, v68, v7
	v_mad_u64_u32 v[14:15], s[0:1], v68, v6, 0
	v_add3_u32 v15, v15, v16, v12
	v_mul_lo_u32 v12, v20, v6
	v_mul_lo_u32 v18, v21, v7
	v_mad_u64_u32 v[16:17], s[0:1], v21, v6, 0
	v_add3_u32 v17, v17, v18, v12
	v_lshl_add_u64 v[14:15], v[14:15], 2, v[8:9]
	v_lshl_add_u64 v[16:17], v[16:17], 2, v[8:9]
	s_mov_b64 s[24:25], 0
	v_mov_b64_e32 v[18:19], v[6:7]
                                        ; implicit-def: $sgpr26_sgpr27
                                        ; implicit-def: $sgpr28_sgpr29
                                        ; implicit-def: $sgpr30_sgpr31
                                        ; implicit-def: $sgpr2_sgpr3
                                        ; implicit-def: $sgpr34_sgpr35
	s_branch .LBB386_447
.LBB386_446:                            ;   in Loop: Header=BB386_447 Depth=1
	s_or_b64 exec, exec, s[36:37]
	s_and_b64 s[0:1], exec, s[28:29]
	s_or_b64 s[24:25], s[0:1], s[24:25]
	s_andn2_b64 s[0:1], s[34:35], exec
	s_and_b64 s[4:5], s[30:31], exec
	s_or_b64 s[34:35], s[0:1], s[4:5]
	s_andn2_b64 s[0:1], s[26:27], exec
	s_and_b64 s[4:5], s[2:3], exec
	s_or_b64 s[26:27], s[0:1], s[4:5]
	s_andn2_b64 exec, exec, s[24:25]
	s_cbranch_execz .LBB386_449
.LBB386_447:                            ; =>This Inner Loop Header: Depth=1
	flat_load_dword v12, v[16:17]
	flat_load_dword v67, v[14:15]
	s_andn2_b64 s[36:37], s[2:3], exec
	s_andn2_b64 s[30:31], s[30:31], exec
	s_or_b64 s[28:29], s[28:29], exec
	s_waitcnt vmcnt(0) lgkmcnt(0)
	v_cmp_le_i32_e64 s[2:3], v12, v67
	v_cmp_lt_i32_e64 s[0:1], v12, v67
	s_and_b64 s[2:3], s[2:3], s[34:35]
	s_or_b64 s[38:39], s[0:1], s[2:3]
	s_and_b64 s[0:1], s[38:39], exec
	v_cmp_eq_u32_e64 s[4:5], v12, v67
	s_or_b64 s[2:3], s[36:37], s[0:1]
	s_and_saveexec_b64 s[36:37], s[4:5]
	s_cbranch_execz .LBB386_446
; %bb.448:                              ;   in Loop: Header=BB386_447 Depth=1
	v_lshl_add_u64 v[18:19], v[18:19], 0, -1
	v_cmp_eq_u64_e64 s[0:1], 0, v[18:19]
	s_andn2_b64 s[4:5], s[30:31], exec
	s_and_b64 s[30:31], s[38:39], exec
	s_or_b64 s[30:31], s[4:5], s[30:31]
	s_andn2_b64 s[4:5], s[28:29], exec
	s_and_b64 s[0:1], s[0:1], exec
	v_lshl_add_u64 v[14:15], v[14:15], 0, 4
	v_lshl_add_u64 v[16:17], v[16:17], 0, 4
	s_andn2_b64 s[2:3], s[2:3], exec
	s_or_b64 s[28:29], s[4:5], s[0:1]
                                        ; implicit-def: $sgpr34_sgpr35
	s_branch .LBB386_446
.LBB386_449:
	s_or_b64 exec, exec, s[24:25]
	s_and_b64 s[0:1], s[26:27], exec
.LBB386_450:
	s_or_b64 exec, exec, s[22:23]
	s_xor_b64 s[0:1], s[0:1], -1
	s_and_b64 s[2:3], s[0:1], exec
.LBB386_451:
	s_or_b64 exec, exec, s[18:19]
	s_orn2_b64 s[18:19], s[2:3], exec
.LBB386_452:
	s_or_b64 exec, exec, s[20:21]
	v_cndmask_b32_e64 v12, v23, v66, s[18:19]
	v_cndmask_b32_e64 v14, v100, v99, s[18:19]
	v_add_u32_e32 v15, 1, v12
	v_add_u32_e32 v12, -1, v14
	v_min_u32_e32 v12, v15, v12
	v_lshl_add_u64 v[12:13], v[12:13], 3, v[54:55]
	flat_load_dwordx2 v[12:13], v[12:13]
	v_cndmask_b32_e64 v18, v15, v23, s[18:19]
	v_cndmask_b32_e64 v19, v66, v15, s[18:19]
	v_cmp_lt_u32_e64 s[0:1], v18, v100
	s_waitcnt vmcnt(0) lgkmcnt(0)
	v_cndmask_b32_e64 v23, v13, v20, s[18:19]
	v_cndmask_b32_e64 v69, v12, v21, s[18:19]
	;; [unrolled: 1-line block ×4, first 2 shown]
	s_and_saveexec_b64 s[20:21], s[0:1]
	s_cbranch_execz .LBB386_462
; %bb.453:
	v_cmp_lt_u32_e64 s[0:1], v19, v99
	s_mov_b64 s[2:3], 0
	s_and_saveexec_b64 s[16:17], s[0:1]
	s_cbranch_execz .LBB386_461
; %bb.454:
	s_mov_b64 s[0:1], 0
	s_and_saveexec_b64 s[22:23], vcc
	s_cbranch_execz .LBB386_460
; %bb.455:
	v_mul_lo_u32 v14, v70, v6
	v_mul_lo_u32 v15, v71, v7
	v_mad_u64_u32 v[12:13], s[0:1], v71, v6, 0
	v_add3_u32 v13, v13, v15, v14
	v_mul_lo_u32 v16, v23, v6
	v_mul_lo_u32 v17, v69, v7
	v_mad_u64_u32 v[14:15], s[0:1], v69, v6, 0
	v_add3_u32 v15, v15, v17, v16
	v_lshl_add_u64 v[12:13], v[12:13], 2, v[8:9]
	v_lshl_add_u64 v[14:15], v[14:15], 2, v[8:9]
	s_mov_b64 s[24:25], 0
	v_mov_b64_e32 v[16:17], v[6:7]
                                        ; implicit-def: $sgpr26_sgpr27
                                        ; implicit-def: $sgpr28_sgpr29
                                        ; implicit-def: $sgpr30_sgpr31
                                        ; implicit-def: $sgpr2_sgpr3
                                        ; implicit-def: $sgpr34_sgpr35
	s_branch .LBB386_457
.LBB386_456:                            ;   in Loop: Header=BB386_457 Depth=1
	s_or_b64 exec, exec, s[36:37]
	s_and_b64 s[0:1], exec, s[28:29]
	s_or_b64 s[24:25], s[0:1], s[24:25]
	s_andn2_b64 s[0:1], s[34:35], exec
	s_and_b64 s[4:5], s[30:31], exec
	s_or_b64 s[34:35], s[0:1], s[4:5]
	s_andn2_b64 s[0:1], s[26:27], exec
	s_and_b64 s[4:5], s[2:3], exec
	s_or_b64 s[26:27], s[0:1], s[4:5]
	s_andn2_b64 exec, exec, s[24:25]
	s_cbranch_execz .LBB386_459
.LBB386_457:                            ; =>This Inner Loop Header: Depth=1
	flat_load_dword v66, v[14:15]
	flat_load_dword v67, v[12:13]
	s_andn2_b64 s[36:37], s[2:3], exec
	s_andn2_b64 s[30:31], s[30:31], exec
	s_or_b64 s[28:29], s[28:29], exec
	s_waitcnt vmcnt(0) lgkmcnt(0)
	v_cmp_le_i32_e64 s[2:3], v66, v67
	v_cmp_lt_i32_e64 s[0:1], v66, v67
	s_and_b64 s[2:3], s[2:3], s[34:35]
	s_or_b64 s[38:39], s[0:1], s[2:3]
	s_and_b64 s[0:1], s[38:39], exec
	v_cmp_eq_u32_e64 s[4:5], v66, v67
	s_or_b64 s[2:3], s[36:37], s[0:1]
	s_and_saveexec_b64 s[36:37], s[4:5]
	s_cbranch_execz .LBB386_456
; %bb.458:                              ;   in Loop: Header=BB386_457 Depth=1
	v_lshl_add_u64 v[16:17], v[16:17], 0, -1
	v_cmp_eq_u64_e64 s[0:1], 0, v[16:17]
	s_andn2_b64 s[4:5], s[30:31], exec
	s_and_b64 s[30:31], s[38:39], exec
	s_or_b64 s[30:31], s[4:5], s[30:31]
	s_andn2_b64 s[4:5], s[28:29], exec
	s_and_b64 s[0:1], s[0:1], exec
	v_lshl_add_u64 v[12:13], v[12:13], 0, 4
	v_lshl_add_u64 v[14:15], v[14:15], 0, 4
	s_andn2_b64 s[2:3], s[2:3], exec
	s_or_b64 s[28:29], s[4:5], s[0:1]
                                        ; implicit-def: $sgpr34_sgpr35
	s_branch .LBB386_456
.LBB386_459:
	s_or_b64 exec, exec, s[24:25]
	s_and_b64 s[0:1], s[26:27], exec
.LBB386_460:
	s_or_b64 exec, exec, s[22:23]
	s_xor_b64 s[0:1], s[0:1], -1
	s_and_b64 s[2:3], s[0:1], exec
.LBB386_461:
	s_or_b64 exec, exec, s[16:17]
	s_orn2_b64 s[16:17], s[2:3], exec
.LBB386_462:
	s_or_b64 exec, exec, s[20:21]
	v_cndmask_b32_e64 v12, v18, v19, s[16:17]
	v_cndmask_b32_e64 v13, v100, v99, s[16:17]
	v_add_u32_e32 v16, 1, v12
	v_add_u32_e32 v12, -1, v13
	v_min_u32_e32 v12, v16, v12
	v_mov_b32_e32 v13, 0
	v_lshl_add_u64 v[14:15], v[12:13], 3, v[54:55]
	flat_load_dwordx2 v[14:15], v[14:15]
	v_cndmask_b32_e64 v66, v16, v18, s[16:17]
	s_mov_b64 s[20:21], -1
	v_cndmask_b32_e64 v67, v19, v16, s[16:17]
	v_cmp_lt_u32_e64 s[0:1], v66, v100
	s_mov_b64 s[22:23], -1
	s_waitcnt vmcnt(0) lgkmcnt(0)
	v_cndmask_b32_e64 v80, v15, v23, s[16:17]
	v_cndmask_b32_e64 v81, v14, v69, s[16:17]
	;; [unrolled: 1-line block ×4, first 2 shown]
	s_and_saveexec_b64 s[24:25], s[0:1]
	s_cbranch_execz .LBB386_472
; %bb.463:
	v_cmp_lt_u32_e64 s[0:1], v67, v99
	s_mov_b64 s[2:3], 0
	s_and_saveexec_b64 s[22:23], s[0:1]
	s_cbranch_execz .LBB386_471
; %bb.464:
	s_mov_b64 s[0:1], -1
	s_and_saveexec_b64 s[26:27], vcc
	s_cbranch_execz .LBB386_470
; %bb.465:
	v_mul_lo_u32 v12, v82, v6
	v_mul_lo_u32 v16, v83, v7
	v_mad_u64_u32 v[14:15], s[0:1], v83, v6, 0
	v_add3_u32 v15, v15, v16, v12
	v_mul_lo_u32 v12, v80, v6
	v_mul_lo_u32 v18, v81, v7
	v_mad_u64_u32 v[16:17], s[0:1], v81, v6, 0
	v_add3_u32 v17, v17, v18, v12
	v_lshl_add_u64 v[14:15], v[14:15], 2, v[8:9]
	v_lshl_add_u64 v[16:17], v[16:17], 2, v[8:9]
	s_mov_b64 s[28:29], 0
	v_mov_b64_e32 v[18:19], v[6:7]
                                        ; implicit-def: $sgpr30_sgpr31
                                        ; implicit-def: $sgpr34_sgpr35
                                        ; implicit-def: $sgpr2_sgpr3
                                        ; implicit-def: $sgpr36_sgpr37
                                        ; implicit-def: $sgpr38_sgpr39
	s_branch .LBB386_467
.LBB386_466:                            ;   in Loop: Header=BB386_467 Depth=1
	s_or_b64 exec, exec, s[40:41]
	s_and_b64 s[0:1], exec, s[34:35]
	s_or_b64 s[28:29], s[0:1], s[28:29]
	s_andn2_b64 s[0:1], s[38:39], exec
	s_and_b64 s[4:5], s[36:37], exec
	s_or_b64 s[38:39], s[0:1], s[4:5]
	s_andn2_b64 s[0:1], s[30:31], exec
	s_and_b64 s[4:5], s[2:3], exec
	s_or_b64 s[30:31], s[0:1], s[4:5]
	s_andn2_b64 exec, exec, s[28:29]
	s_cbranch_execz .LBB386_469
.LBB386_467:                            ; =>This Inner Loop Header: Depth=1
	flat_load_dword v12, v[16:17]
	flat_load_dword v84, v[14:15]
	s_andn2_b64 s[40:41], s[2:3], exec
	s_andn2_b64 s[36:37], s[36:37], exec
	s_or_b64 s[34:35], s[34:35], exec
	s_waitcnt vmcnt(0) lgkmcnt(0)
	v_cmp_le_i32_e64 s[2:3], v12, v84
	v_cmp_lt_i32_e64 s[0:1], v12, v84
	s_and_b64 s[2:3], s[2:3], s[38:39]
	s_or_b64 s[42:43], s[0:1], s[2:3]
	s_and_b64 s[0:1], s[42:43], exec
	v_cmp_eq_u32_e64 s[4:5], v12, v84
	s_or_b64 s[2:3], s[40:41], s[0:1]
	s_and_saveexec_b64 s[40:41], s[4:5]
	s_cbranch_execz .LBB386_466
; %bb.468:                              ;   in Loop: Header=BB386_467 Depth=1
	v_lshl_add_u64 v[18:19], v[18:19], 0, -1
	v_cmp_eq_u64_e64 s[0:1], 0, v[18:19]
	s_andn2_b64 s[4:5], s[36:37], exec
	s_and_b64 s[36:37], s[42:43], exec
	s_or_b64 s[36:37], s[4:5], s[36:37]
	s_andn2_b64 s[4:5], s[34:35], exec
	s_and_b64 s[0:1], s[0:1], exec
	v_lshl_add_u64 v[14:15], v[14:15], 0, 4
	v_lshl_add_u64 v[16:17], v[16:17], 0, 4
	s_andn2_b64 s[2:3], s[2:3], exec
	s_or_b64 s[34:35], s[4:5], s[0:1]
                                        ; implicit-def: $sgpr38_sgpr39
	s_branch .LBB386_466
.LBB386_469:
	s_or_b64 exec, exec, s[28:29]
	s_xor_b64 s[0:1], s[30:31], -1
	s_orn2_b64 s[0:1], s[0:1], exec
.LBB386_470:
	s_or_b64 exec, exec, s[26:27]
	s_and_b64 s[2:3], s[0:1], exec
.LBB386_471:
	s_or_b64 exec, exec, s[22:23]
	s_orn2_b64 s[22:23], s[2:3], exec
.LBB386_472:
	s_or_b64 exec, exec, s[24:25]
	v_cndmask_b32_e64 v12, v66, v67, s[22:23]
	v_cndmask_b32_e64 v14, v100, v99, s[22:23]
	v_add_u32_e32 v15, 1, v12
	v_add_u32_e32 v12, -1, v14
	v_min_u32_e32 v12, v15, v12
	v_lshl_add_u64 v[12:13], v[12:13], 3, v[54:55]
	flat_load_dwordx2 v[12:13], v[12:13]
	v_cndmask_b32_e64 v18, v15, v66, s[22:23]
	v_cndmask_b32_e64 v19, v67, v15, s[22:23]
	v_cmp_lt_u32_e64 s[0:1], v18, v100
	s_waitcnt vmcnt(0) lgkmcnt(0)
	v_cndmask_b32_e64 v84, v13, v80, s[22:23]
	v_cndmask_b32_e64 v85, v12, v81, s[22:23]
	;; [unrolled: 1-line block ×4, first 2 shown]
	s_and_saveexec_b64 s[24:25], s[0:1]
	s_cbranch_execz .LBB386_482
; %bb.473:
	v_cmp_lt_u32_e64 s[0:1], v19, v99
	s_mov_b64 s[2:3], 0
	s_and_saveexec_b64 s[20:21], s[0:1]
	s_cbranch_execz .LBB386_481
; %bb.474:
	s_mov_b64 s[0:1], -1
	s_and_saveexec_b64 s[26:27], vcc
	s_cbranch_execz .LBB386_480
; %bb.475:
	v_mul_lo_u32 v14, v86, v6
	v_mul_lo_u32 v15, v87, v7
	v_mad_u64_u32 v[12:13], s[0:1], v87, v6, 0
	v_add3_u32 v13, v13, v15, v14
	v_mul_lo_u32 v16, v84, v6
	v_mul_lo_u32 v17, v85, v7
	v_mad_u64_u32 v[14:15], s[0:1], v85, v6, 0
	v_add3_u32 v15, v15, v17, v16
	v_lshl_add_u64 v[12:13], v[12:13], 2, v[8:9]
	v_lshl_add_u64 v[14:15], v[14:15], 2, v[8:9]
	s_mov_b64 s[28:29], 0
	v_mov_b64_e32 v[16:17], v[6:7]
                                        ; implicit-def: $sgpr30_sgpr31
                                        ; implicit-def: $sgpr34_sgpr35
                                        ; implicit-def: $sgpr2_sgpr3
                                        ; implicit-def: $sgpr36_sgpr37
                                        ; implicit-def: $sgpr38_sgpr39
	s_branch .LBB386_477
.LBB386_476:                            ;   in Loop: Header=BB386_477 Depth=1
	s_or_b64 exec, exec, s[40:41]
	s_and_b64 s[0:1], exec, s[34:35]
	s_or_b64 s[28:29], s[0:1], s[28:29]
	s_andn2_b64 s[0:1], s[38:39], exec
	s_and_b64 s[4:5], s[36:37], exec
	s_or_b64 s[38:39], s[0:1], s[4:5]
	s_andn2_b64 s[0:1], s[30:31], exec
	s_and_b64 s[4:5], s[2:3], exec
	s_or_b64 s[30:31], s[0:1], s[4:5]
	s_andn2_b64 exec, exec, s[28:29]
	s_cbranch_execz .LBB386_479
.LBB386_477:                            ; =>This Inner Loop Header: Depth=1
	flat_load_dword v66, v[14:15]
	flat_load_dword v67, v[12:13]
	s_andn2_b64 s[40:41], s[2:3], exec
	s_andn2_b64 s[36:37], s[36:37], exec
	s_or_b64 s[34:35], s[34:35], exec
	s_waitcnt vmcnt(0) lgkmcnt(0)
	v_cmp_le_i32_e64 s[2:3], v66, v67
	v_cmp_lt_i32_e64 s[0:1], v66, v67
	s_and_b64 s[2:3], s[2:3], s[38:39]
	s_or_b64 s[42:43], s[0:1], s[2:3]
	s_and_b64 s[0:1], s[42:43], exec
	v_cmp_eq_u32_e64 s[4:5], v66, v67
	s_or_b64 s[2:3], s[40:41], s[0:1]
	s_and_saveexec_b64 s[40:41], s[4:5]
	s_cbranch_execz .LBB386_476
; %bb.478:                              ;   in Loop: Header=BB386_477 Depth=1
	v_lshl_add_u64 v[16:17], v[16:17], 0, -1
	v_cmp_eq_u64_e64 s[0:1], 0, v[16:17]
	s_andn2_b64 s[4:5], s[36:37], exec
	s_and_b64 s[36:37], s[42:43], exec
	s_or_b64 s[36:37], s[4:5], s[36:37]
	s_andn2_b64 s[4:5], s[34:35], exec
	s_and_b64 s[0:1], s[0:1], exec
	v_lshl_add_u64 v[12:13], v[12:13], 0, 4
	v_lshl_add_u64 v[14:15], v[14:15], 0, 4
	s_andn2_b64 s[2:3], s[2:3], exec
	s_or_b64 s[34:35], s[4:5], s[0:1]
                                        ; implicit-def: $sgpr38_sgpr39
	s_branch .LBB386_476
.LBB386_479:
	s_or_b64 exec, exec, s[28:29]
	s_xor_b64 s[0:1], s[30:31], -1
	s_orn2_b64 s[0:1], s[0:1], exec
.LBB386_480:
	s_or_b64 exec, exec, s[26:27]
	s_and_b64 s[2:3], s[0:1], exec
.LBB386_481:
	s_or_b64 exec, exec, s[20:21]
	s_orn2_b64 s[20:21], s[2:3], exec
.LBB386_482:
	s_or_b64 exec, exec, s[24:25]
	v_cndmask_b32_e64 v12, v18, v19, s[20:21]
	v_cndmask_b32_e64 v13, v100, v99, s[20:21]
	v_add_u32_e32 v16, 1, v12
	v_add_u32_e32 v12, -1, v13
	v_min_u32_e32 v12, v16, v12
	v_mov_b32_e32 v13, 0
	v_lshl_add_u64 v[14:15], v[12:13], 3, v[54:55]
	flat_load_dwordx2 v[14:15], v[14:15]
	v_cndmask_b32_e64 v66, v16, v18, s[20:21]
	s_mov_b64 s[24:25], -1
	v_cndmask_b32_e64 v67, v19, v16, s[20:21]
	v_cmp_lt_u32_e64 s[0:1], v66, v100
	s_mov_b64 s[26:27], -1
	s_waitcnt vmcnt(0) lgkmcnt(0)
	v_cndmask_b32_e64 v96, v15, v84, s[20:21]
	v_cndmask_b32_e64 v97, v14, v85, s[20:21]
	v_cndmask_b32_e64 v101, v86, v15, s[20:21]
	v_cndmask_b32_e64 v102, v87, v14, s[20:21]
	s_and_saveexec_b64 s[28:29], s[0:1]
	s_cbranch_execz .LBB386_492
; %bb.483:
	v_cmp_lt_u32_e64 s[0:1], v67, v99
	s_mov_b64 s[2:3], 0
	s_and_saveexec_b64 s[26:27], s[0:1]
	s_cbranch_execz .LBB386_491
; %bb.484:
	s_mov_b64 s[0:1], -1
	s_and_saveexec_b64 s[30:31], vcc
	s_cbranch_execz .LBB386_490
; %bb.485:
	v_mul_lo_u32 v12, v101, v6
	v_mul_lo_u32 v16, v102, v7
	v_mad_u64_u32 v[14:15], s[0:1], v102, v6, 0
	v_add3_u32 v15, v15, v16, v12
	v_mul_lo_u32 v12, v96, v6
	v_mul_lo_u32 v18, v97, v7
	v_mad_u64_u32 v[16:17], s[0:1], v97, v6, 0
	v_add3_u32 v17, v17, v18, v12
	v_lshl_add_u64 v[14:15], v[14:15], 2, v[8:9]
	v_lshl_add_u64 v[16:17], v[16:17], 2, v[8:9]
	s_mov_b64 s[34:35], 0
	v_mov_b64_e32 v[18:19], v[6:7]
                                        ; implicit-def: $sgpr36_sgpr37
                                        ; implicit-def: $sgpr38_sgpr39
                                        ; implicit-def: $sgpr2_sgpr3
                                        ; implicit-def: $sgpr40_sgpr41
                                        ; implicit-def: $sgpr42_sgpr43
	s_branch .LBB386_487
.LBB386_486:                            ;   in Loop: Header=BB386_487 Depth=1
	s_or_b64 exec, exec, s[44:45]
	s_and_b64 s[0:1], exec, s[38:39]
	s_or_b64 s[34:35], s[0:1], s[34:35]
	s_andn2_b64 s[0:1], s[42:43], exec
	s_and_b64 s[4:5], s[40:41], exec
	s_or_b64 s[42:43], s[0:1], s[4:5]
	s_andn2_b64 s[0:1], s[36:37], exec
	s_and_b64 s[4:5], s[2:3], exec
	s_or_b64 s[36:37], s[0:1], s[4:5]
	s_andn2_b64 exec, exec, s[34:35]
	s_cbranch_execz .LBB386_489
.LBB386_487:                            ; =>This Inner Loop Header: Depth=1
	flat_load_dword v12, v[16:17]
	flat_load_dword v103, v[14:15]
	s_andn2_b64 s[44:45], s[2:3], exec
	s_andn2_b64 s[40:41], s[40:41], exec
	s_or_b64 s[38:39], s[38:39], exec
	s_waitcnt vmcnt(0) lgkmcnt(0)
	v_cmp_le_i32_e64 s[2:3], v12, v103
	v_cmp_lt_i32_e64 s[0:1], v12, v103
	s_and_b64 s[2:3], s[2:3], s[42:43]
	s_or_b64 s[46:47], s[0:1], s[2:3]
	s_and_b64 s[0:1], s[46:47], exec
	v_cmp_eq_u32_e64 s[4:5], v12, v103
	s_or_b64 s[2:3], s[44:45], s[0:1]
	s_and_saveexec_b64 s[44:45], s[4:5]
	s_cbranch_execz .LBB386_486
; %bb.488:                              ;   in Loop: Header=BB386_487 Depth=1
	v_lshl_add_u64 v[18:19], v[18:19], 0, -1
	v_cmp_eq_u64_e64 s[0:1], 0, v[18:19]
	s_andn2_b64 s[4:5], s[40:41], exec
	s_and_b64 s[40:41], s[46:47], exec
	s_or_b64 s[40:41], s[4:5], s[40:41]
	s_andn2_b64 s[4:5], s[38:39], exec
	s_and_b64 s[0:1], s[0:1], exec
	v_lshl_add_u64 v[14:15], v[14:15], 0, 4
	v_lshl_add_u64 v[16:17], v[16:17], 0, 4
	s_andn2_b64 s[2:3], s[2:3], exec
	s_or_b64 s[38:39], s[4:5], s[0:1]
                                        ; implicit-def: $sgpr42_sgpr43
	s_branch .LBB386_486
.LBB386_489:
	s_or_b64 exec, exec, s[34:35]
	s_xor_b64 s[0:1], s[36:37], -1
	s_orn2_b64 s[0:1], s[0:1], exec
.LBB386_490:
	s_or_b64 exec, exec, s[30:31]
	s_and_b64 s[2:3], s[0:1], exec
.LBB386_491:
	s_or_b64 exec, exec, s[26:27]
	s_orn2_b64 s[26:27], s[2:3], exec
.LBB386_492:
	s_or_b64 exec, exec, s[28:29]
	v_cndmask_b32_e64 v12, v66, v67, s[26:27]
	v_cndmask_b32_e64 v14, v100, v99, s[26:27]
	v_add_u32_e32 v15, 1, v12
	v_add_u32_e32 v12, -1, v14
	v_min_u32_e32 v12, v15, v12
	v_lshl_add_u64 v[12:13], v[12:13], 3, v[54:55]
	flat_load_dwordx2 v[12:13], v[12:13]
	v_cndmask_b32_e64 v114, v15, v66, s[26:27]
	v_cndmask_b32_e64 v103, v67, v15, s[26:27]
	v_cmp_lt_u32_e64 s[0:1], v114, v100
	s_waitcnt vmcnt(0) lgkmcnt(0)
	v_cndmask_b32_e64 v112, v13, v96, s[26:27]
	v_cndmask_b32_e64 v113, v12, v97, s[26:27]
	;; [unrolled: 1-line block ×4, first 2 shown]
	s_and_saveexec_b64 s[28:29], s[0:1]
	s_cbranch_execz .LBB386_502
; %bb.493:
	v_cmp_lt_u32_e64 s[0:1], v103, v99
	s_mov_b64 s[2:3], 0
	s_and_saveexec_b64 s[24:25], s[0:1]
	s_cbranch_execz .LBB386_501
; %bb.494:
	s_mov_b64 s[0:1], -1
	s_and_saveexec_b64 s[30:31], vcc
	s_cbranch_execz .LBB386_500
; %bb.495:
	v_mul_lo_u32 v14, v115, v6
	v_mul_lo_u32 v15, v116, v7
	v_mad_u64_u32 v[12:13], s[0:1], v116, v6, 0
	v_add3_u32 v13, v13, v15, v14
	v_mul_lo_u32 v16, v112, v6
	v_mul_lo_u32 v17, v113, v7
	v_mad_u64_u32 v[14:15], s[0:1], v113, v6, 0
	v_add3_u32 v15, v15, v17, v16
	v_lshl_add_u64 v[12:13], v[12:13], 2, v[8:9]
	v_lshl_add_u64 v[14:15], v[14:15], 2, v[8:9]
	s_mov_b64 s[34:35], 0
	v_mov_b64_e32 v[16:17], v[6:7]
                                        ; implicit-def: $sgpr36_sgpr37
                                        ; implicit-def: $sgpr38_sgpr39
                                        ; implicit-def: $sgpr2_sgpr3
                                        ; implicit-def: $sgpr40_sgpr41
                                        ; implicit-def: $sgpr42_sgpr43
	s_branch .LBB386_497
.LBB386_496:                            ;   in Loop: Header=BB386_497 Depth=1
	s_or_b64 exec, exec, s[44:45]
	s_and_b64 s[0:1], exec, s[38:39]
	s_or_b64 s[34:35], s[0:1], s[34:35]
	s_andn2_b64 s[0:1], s[42:43], exec
	s_and_b64 s[4:5], s[40:41], exec
	s_or_b64 s[42:43], s[0:1], s[4:5]
	s_andn2_b64 s[0:1], s[36:37], exec
	s_and_b64 s[4:5], s[2:3], exec
	s_or_b64 s[36:37], s[0:1], s[4:5]
	s_andn2_b64 exec, exec, s[34:35]
	s_cbranch_execz .LBB386_499
.LBB386_497:                            ; =>This Inner Loop Header: Depth=1
	flat_load_dword v18, v[14:15]
	flat_load_dword v19, v[12:13]
	s_andn2_b64 s[44:45], s[2:3], exec
	s_andn2_b64 s[40:41], s[40:41], exec
	s_or_b64 s[38:39], s[38:39], exec
	s_waitcnt vmcnt(0) lgkmcnt(0)
	v_cmp_le_i32_e64 s[2:3], v18, v19
	v_cmp_lt_i32_e64 s[0:1], v18, v19
	s_and_b64 s[2:3], s[2:3], s[42:43]
	s_or_b64 s[46:47], s[0:1], s[2:3]
	s_and_b64 s[0:1], s[46:47], exec
	v_cmp_eq_u32_e64 s[4:5], v18, v19
	s_or_b64 s[2:3], s[44:45], s[0:1]
	s_and_saveexec_b64 s[44:45], s[4:5]
	s_cbranch_execz .LBB386_496
; %bb.498:                              ;   in Loop: Header=BB386_497 Depth=1
	v_lshl_add_u64 v[16:17], v[16:17], 0, -1
	v_cmp_eq_u64_e64 s[0:1], 0, v[16:17]
	s_andn2_b64 s[4:5], s[40:41], exec
	s_and_b64 s[40:41], s[46:47], exec
	s_or_b64 s[40:41], s[4:5], s[40:41]
	s_andn2_b64 s[4:5], s[38:39], exec
	s_and_b64 s[0:1], s[0:1], exec
	v_lshl_add_u64 v[12:13], v[12:13], 0, 4
	v_lshl_add_u64 v[14:15], v[14:15], 0, 4
	s_andn2_b64 s[2:3], s[2:3], exec
	s_or_b64 s[38:39], s[4:5], s[0:1]
                                        ; implicit-def: $sgpr42_sgpr43
	s_branch .LBB386_496
.LBB386_499:
	s_or_b64 exec, exec, s[34:35]
	s_xor_b64 s[0:1], s[36:37], -1
	s_orn2_b64 s[0:1], s[0:1], exec
.LBB386_500:
	s_or_b64 exec, exec, s[30:31]
	s_and_b64 s[2:3], s[0:1], exec
.LBB386_501:
	s_or_b64 exec, exec, s[24:25]
	s_orn2_b64 s[24:25], s[2:3], exec
.LBB386_502:
	s_or_b64 exec, exec, s[28:29]
	v_cndmask_b32_e64 v12, v114, v103, s[24:25]
	v_cndmask_b32_e64 v13, v100, v99, s[24:25]
	v_add_u32_e32 v117, 1, v12
	v_add_u32_e32 v12, -1, v13
	v_min_u32_e32 v12, v117, v12
	v_mov_b32_e32 v13, 0
	v_lshl_add_u64 v[12:13], v[12:13], 3, v[54:55]
	flat_load_dwordx2 v[66:67], v[12:13]
	v_cndmask_b32_e64 v17, v23, v70, s[16:17]
	v_cndmask_b32_e64 v23, v20, v22, s[18:19]
	;; [unrolled: 1-line block ×15, first 2 shown]
	v_cmp_lt_u32_e64 s[0:1], v68, v100
	s_waitcnt vmcnt(0) lgkmcnt(0)
	v_cndmask_b32_e64 v3, v115, v67, s[24:25]
	v_cndmask_b32_e64 v2, v116, v66, s[24:25]
	s_and_saveexec_b64 s[14:15], s[0:1]
	s_cbranch_execz .LBB386_512
; %bb.503:
	v_cndmask_b32_e64 v68, v103, v117, s[24:25]
	v_cndmask_b32_e64 v67, v67, v112, s[24:25]
	;; [unrolled: 1-line block ×3, first 2 shown]
	v_cmp_lt_u32_e64 s[0:1], v68, v99
	s_and_saveexec_b64 s[16:17], s[0:1]
	s_cbranch_execz .LBB386_511
; %bb.504:
	s_and_saveexec_b64 s[18:19], vcc
	s_cbranch_execz .LBB386_510
; %bb.505:
	v_mul_lo_u32 v70, v3, v6
	v_mul_lo_u32 v71, v2, v7
	v_mad_u64_u32 v[68:69], s[0:1], v2, v6, 0
	v_add3_u32 v69, v69, v71, v70
	v_mul_lo_u32 v80, v67, v6
	v_mul_lo_u32 v81, v66, v7
	v_mad_u64_u32 v[70:71], s[0:1], v66, v6, 0
	v_add3_u32 v71, v71, v81, v80
	v_lshl_add_u64 v[68:69], v[68:69], 2, v[8:9]
	v_lshl_add_u64 v[70:71], v[70:71], 2, v[8:9]
	s_mov_b64 s[20:21], 0
	v_mov_b64_e32 v[80:81], v[6:7]
                                        ; implicit-def: $sgpr22_sgpr23
                                        ; implicit-def: $sgpr24_sgpr25
                                        ; implicit-def: $sgpr2_sgpr3
                                        ; implicit-def: $sgpr26_sgpr27
                                        ; implicit-def: $sgpr28_sgpr29
	s_branch .LBB386_507
.LBB386_506:                            ;   in Loop: Header=BB386_507 Depth=1
	s_or_b64 exec, exec, s[30:31]
	s_and_b64 s[0:1], exec, s[24:25]
	s_or_b64 s[20:21], s[0:1], s[20:21]
	s_andn2_b64 s[0:1], s[28:29], exec
	s_and_b64 s[4:5], s[26:27], exec
	s_or_b64 s[28:29], s[0:1], s[4:5]
	s_andn2_b64 s[0:1], s[22:23], exec
	s_and_b64 s[4:5], s[2:3], exec
	s_or_b64 s[22:23], s[0:1], s[4:5]
	s_andn2_b64 exec, exec, s[20:21]
	s_cbranch_execz .LBB386_509
.LBB386_507:                            ; =>This Inner Loop Header: Depth=1
	flat_load_dword v82, v[70:71]
	flat_load_dword v83, v[68:69]
	s_andn2_b64 s[30:31], s[2:3], exec
	s_andn2_b64 s[26:27], s[26:27], exec
	s_or_b64 s[24:25], s[24:25], exec
	s_waitcnt vmcnt(0) lgkmcnt(0)
	v_cmp_le_i32_e64 s[2:3], v82, v83
	v_cmp_lt_i32_e64 s[0:1], v82, v83
	s_and_b64 s[2:3], s[2:3], s[28:29]
	s_or_b64 s[34:35], s[0:1], s[2:3]
	s_and_b64 s[0:1], s[34:35], exec
	v_cmp_eq_u32_e64 s[4:5], v82, v83
	s_or_b64 s[2:3], s[30:31], s[0:1]
	s_and_saveexec_b64 s[30:31], s[4:5]
	s_cbranch_execz .LBB386_506
; %bb.508:                              ;   in Loop: Header=BB386_507 Depth=1
	v_lshl_add_u64 v[80:81], v[80:81], 0, -1
	v_cmp_eq_u64_e64 s[0:1], 0, v[80:81]
	s_andn2_b64 s[4:5], s[26:27], exec
	s_and_b64 s[26:27], s[34:35], exec
	s_or_b64 s[26:27], s[4:5], s[26:27]
	s_andn2_b64 s[4:5], s[24:25], exec
	s_and_b64 s[0:1], s[0:1], exec
	v_lshl_add_u64 v[68:69], v[68:69], 0, 4
	v_lshl_add_u64 v[70:71], v[70:71], 0, 4
	s_andn2_b64 s[2:3], s[2:3], exec
	s_or_b64 s[24:25], s[4:5], s[0:1]
                                        ; implicit-def: $sgpr28_sgpr29
	s_branch .LBB386_506
.LBB386_509:
	s_or_b64 exec, exec, s[20:21]
	v_cndmask_b32_e64 v3, v3, v67, s[22:23]
	v_cndmask_b32_e64 v2, v2, v66, s[22:23]
.LBB386_510:
	s_or_b64 exec, exec, s[18:19]
	v_mov_b64_e32 v[66:67], v[2:3]
.LBB386_511:
	s_or_b64 exec, exec, s[16:17]
	v_mov_b64_e32 v[2:3], v[66:67]
.LBB386_512:
	s_or_b64 exec, exec, s[14:15]
.LBB386_513:
	s_or_b64 exec, exec, s[10:11]
	v_and_b32_e32 v99, 0x380, v98
	; wave barrier
	flat_store_dwordx4 v[64:65], v[20:23]
	flat_store_dwordx4 v[64:65], v[16:19] offset:16
	flat_store_dwordx4 v[64:65], v[12:15] offset:32
	;; [unrolled: 1-line block ×3, first 2 shown]
	v_or_b32_e32 v64, 64, v99
	v_min_u32_e32 v96, v31, v64
	v_add_u32_e32 v64, 64, v96
	v_min_u32_e32 v97, v31, v64
	v_and_b32_e32 v64, 0x78, v98
	v_min_u32_e32 v31, v31, v64
	v_sub_u32_e32 v64, v96, v99
	v_sub_u32_e32 v65, v97, v96
	v_sub_u32_e64 v98, v31, v65 clamp
	v_min_u32_e32 v100, v31, v64
	v_cmp_lt_u32_e64 s[0:1], v98, v100
	; wave barrier
	s_and_saveexec_b64 s[10:11], s[0:1]
	s_cbranch_execz .LBB386_523
; %bb.514:
	v_lshlrev_b32_e32 v64, 3, v99
	v_mov_b32_e32 v65, 0
	v_lshl_add_u64 v[66:67], v[54:55], 0, v[64:65]
	v_lshlrev_b32_e32 v64, 3, v96
	v_lshl_add_u64 v[68:69], v[54:55], 0, v[64:65]
	v_lshlrev_b64 v[70:71], 2, v[6:7]
	s_mov_b64 s[14:15], 0
	s_branch .LBB386_517
.LBB386_515:                            ;   in Loop: Header=BB386_517 Depth=1
	s_or_b64 exec, exec, s[18:19]
	s_and_b64 s[0:1], s[20:21], exec
.LBB386_516:                            ;   in Loop: Header=BB386_517 Depth=1
	s_or_b64 exec, exec, s[16:17]
	v_add_u32_e32 v64, 1, v80
	v_cndmask_b32_e64 v100, v100, v80, s[0:1]
	v_cndmask_b32_e64 v98, v64, v98, s[0:1]
	v_cmp_ge_u32_e64 s[0:1], v98, v100
	s_or_b64 s[14:15], s[0:1], s[14:15]
	s_andn2_b64 exec, exec, s[14:15]
	s_cbranch_execz .LBB386_522
.LBB386_517:                            ; =>This Loop Header: Depth=1
                                        ;     Child Loop BB386_520 Depth 2
	v_add_u32_e32 v64, v100, v98
	v_lshrrev_b32_e32 v80, 1, v64
	s_mov_b64 s[0:1], 0
	s_and_saveexec_b64 s[16:17], vcc
	s_cbranch_execz .LBB386_516
; %bb.518:                              ;   in Loop: Header=BB386_517 Depth=1
	v_mov_b32_e32 v81, v65
	v_xad_u32 v64, v80, -1, v31
	v_lshl_add_u64 v[82:83], v[80:81], 3, v[66:67]
	v_lshl_add_u64 v[84:85], v[64:65], 3, v[68:69]
	flat_load_dwordx2 v[82:83], v[82:83]
	s_mov_b64 s[18:19], 0
	flat_load_dwordx2 v[84:85], v[84:85]
                                        ; implicit-def: $sgpr20_sgpr21
                                        ; implicit-def: $sgpr22_sgpr23
                                        ; implicit-def: $sgpr24_sgpr25
                                        ; implicit-def: $sgpr2_sgpr3
                                        ; implicit-def: $sgpr26_sgpr27
	s_waitcnt vmcnt(0) lgkmcnt(0)
	v_mul_lo_u32 v64, v70, v83
	v_mul_lo_u32 v81, v71, v82
	v_mad_u64_u32 v[82:83], s[0:1], v70, v82, v[8:9]
	v_mul_lo_u32 v86, v70, v85
	v_mul_lo_u32 v87, v71, v84
	v_mad_u64_u32 v[84:85], s[0:1], v70, v84, v[8:9]
	v_add3_u32 v83, v81, v83, v64
	v_add3_u32 v85, v87, v85, v86
	v_mov_b64_e32 v[86:87], v[6:7]
	s_branch .LBB386_520
.LBB386_519:                            ;   in Loop: Header=BB386_520 Depth=2
	s_or_b64 exec, exec, s[28:29]
	s_and_b64 s[0:1], exec, s[22:23]
	s_or_b64 s[18:19], s[0:1], s[18:19]
	s_andn2_b64 s[0:1], s[26:27], exec
	s_and_b64 s[4:5], s[24:25], exec
	s_or_b64 s[26:27], s[0:1], s[4:5]
	s_andn2_b64 s[0:1], s[20:21], exec
	s_and_b64 s[4:5], s[2:3], exec
	s_or_b64 s[20:21], s[0:1], s[4:5]
	s_andn2_b64 exec, exec, s[18:19]
	s_cbranch_execz .LBB386_515
.LBB386_520:                            ;   Parent Loop BB386_517 Depth=1
                                        ; =>  This Inner Loop Header: Depth=2
	flat_load_dword v64, v[84:85]
	flat_load_dword v81, v[82:83]
	s_andn2_b64 s[28:29], s[2:3], exec
	s_andn2_b64 s[24:25], s[24:25], exec
	s_or_b64 s[22:23], s[22:23], exec
	s_waitcnt vmcnt(0) lgkmcnt(0)
	v_cmp_le_i32_e64 s[2:3], v64, v81
	v_cmp_lt_i32_e64 s[0:1], v64, v81
	s_and_b64 s[2:3], s[2:3], s[26:27]
	s_or_b64 s[30:31], s[0:1], s[2:3]
	s_and_b64 s[0:1], s[30:31], exec
	v_cmp_eq_u32_e64 s[4:5], v64, v81
	s_or_b64 s[2:3], s[28:29], s[0:1]
	s_and_saveexec_b64 s[28:29], s[4:5]
	s_cbranch_execz .LBB386_519
; %bb.521:                              ;   in Loop: Header=BB386_520 Depth=2
	v_lshl_add_u64 v[86:87], v[86:87], 0, -1
	v_cmp_eq_u64_e64 s[0:1], 0, v[86:87]
	s_andn2_b64 s[4:5], s[24:25], exec
	s_and_b64 s[24:25], s[30:31], exec
	s_or_b64 s[24:25], s[4:5], s[24:25]
	s_andn2_b64 s[4:5], s[22:23], exec
	s_and_b64 s[0:1], s[0:1], exec
	v_lshl_add_u64 v[82:83], v[82:83], 0, 4
	v_lshl_add_u64 v[84:85], v[84:85], 0, 4
	s_andn2_b64 s[2:3], s[2:3], exec
	s_or_b64 s[22:23], s[4:5], s[0:1]
                                        ; implicit-def: $sgpr26_sgpr27
	s_branch .LBB386_519
.LBB386_522:
	s_or_b64 exec, exec, s[14:15]
.LBB386_523:
	s_or_b64 exec, exec, s[10:11]
	v_add_u32_e32 v31, v96, v31
	v_add_u32_e32 v64, v98, v99
	v_sub_u32_e32 v66, v31, v98
	v_cmp_le_u32_e64 s[0:1], v64, v96
	v_cmp_le_u32_e64 s[2:3], v66, v97
	s_or_b64 s[0:1], s[0:1], s[2:3]
	s_and_saveexec_b64 s[10:11], s[0:1]
	s_cbranch_execz .LBB386_607
; %bb.524:
	v_cmp_ge_u32_e64 s[0:1], v64, v96
	v_cmp_lt_u32_e64 s[2:3], v64, v96
                                        ; implicit-def: $vgpr0_vgpr1
	s_and_saveexec_b64 s[4:5], s[2:3]
	s_cbranch_execz .LBB386_526
; %bb.525:
	v_mov_b32_e32 v65, 0
	v_lshl_add_u64 v[0:1], v[64:65], 3, v[54:55]
	flat_load_dwordx2 v[0:1], v[0:1]
.LBB386_526:
	s_or_b64 exec, exec, s[4:5]
	v_cmp_ge_u32_e64 s[14:15], v66, v97
	v_cmp_lt_u32_e64 s[2:3], v66, v97
                                        ; implicit-def: $vgpr2_vgpr3
	s_and_saveexec_b64 s[4:5], s[2:3]
	s_cbranch_execz .LBB386_528
; %bb.527:
	v_mov_b32_e32 v67, 0
	v_lshl_add_u64 v[2:3], v[66:67], 3, v[54:55]
	flat_load_dwordx2 v[2:3], v[2:3]
.LBB386_528:
	s_or_b64 exec, exec, s[4:5]
	s_or_b64 s[0:1], s[0:1], s[14:15]
	s_xor_b64 s[0:1], s[0:1], -1
	s_and_saveexec_b64 s[16:17], s[0:1]
	s_cbranch_execz .LBB386_536
; %bb.529:
	s_mov_b64 s[0:1], 0
	s_and_saveexec_b64 s[18:19], vcc
	s_cbranch_execz .LBB386_535
; %bb.530:
	s_waitcnt vmcnt(0) lgkmcnt(0)
	v_mul_lo_u32 v14, v1, v6
	v_mul_lo_u32 v15, v0, v7
	v_mad_u64_u32 v[12:13], s[0:1], v0, v6, 0
	v_add3_u32 v13, v13, v15, v14
	v_mul_lo_u32 v16, v3, v6
	v_mul_lo_u32 v17, v2, v7
	v_mad_u64_u32 v[14:15], s[0:1], v2, v6, 0
	v_add3_u32 v15, v15, v17, v16
	v_lshl_add_u64 v[12:13], v[12:13], 2, v[8:9]
	v_lshl_add_u64 v[14:15], v[14:15], 2, v[8:9]
	s_mov_b64 s[20:21], 0
	v_mov_b64_e32 v[16:17], v[6:7]
                                        ; implicit-def: $sgpr22_sgpr23
                                        ; implicit-def: $sgpr24_sgpr25
                                        ; implicit-def: $sgpr26_sgpr27
                                        ; implicit-def: $sgpr2_sgpr3
                                        ; implicit-def: $sgpr28_sgpr29
	s_branch .LBB386_532
.LBB386_531:                            ;   in Loop: Header=BB386_532 Depth=1
	s_or_b64 exec, exec, s[30:31]
	s_and_b64 s[0:1], exec, s[24:25]
	s_or_b64 s[20:21], s[0:1], s[20:21]
	s_andn2_b64 s[0:1], s[28:29], exec
	s_and_b64 s[4:5], s[26:27], exec
	s_or_b64 s[28:29], s[0:1], s[4:5]
	s_andn2_b64 s[0:1], s[22:23], exec
	s_and_b64 s[4:5], s[2:3], exec
	s_or_b64 s[22:23], s[0:1], s[4:5]
	s_andn2_b64 exec, exec, s[20:21]
	s_cbranch_execz .LBB386_534
.LBB386_532:                            ; =>This Inner Loop Header: Depth=1
	flat_load_dword v18, v[14:15]
	flat_load_dword v19, v[12:13]
	s_andn2_b64 s[30:31], s[2:3], exec
	s_andn2_b64 s[26:27], s[26:27], exec
	s_or_b64 s[24:25], s[24:25], exec
	s_waitcnt vmcnt(0) lgkmcnt(0)
	v_cmp_le_i32_e64 s[2:3], v18, v19
	v_cmp_lt_i32_e64 s[0:1], v18, v19
	s_and_b64 s[2:3], s[2:3], s[28:29]
	s_or_b64 s[34:35], s[0:1], s[2:3]
	s_and_b64 s[0:1], s[34:35], exec
	v_cmp_eq_u32_e64 s[4:5], v18, v19
	s_or_b64 s[2:3], s[30:31], s[0:1]
	s_and_saveexec_b64 s[30:31], s[4:5]
	s_cbranch_execz .LBB386_531
; %bb.533:                              ;   in Loop: Header=BB386_532 Depth=1
	v_lshl_add_u64 v[16:17], v[16:17], 0, -1
	v_cmp_eq_u64_e64 s[0:1], 0, v[16:17]
	s_andn2_b64 s[4:5], s[26:27], exec
	s_and_b64 s[26:27], s[34:35], exec
	s_or_b64 s[26:27], s[4:5], s[26:27]
	s_andn2_b64 s[4:5], s[24:25], exec
	s_and_b64 s[0:1], s[0:1], exec
	v_lshl_add_u64 v[12:13], v[12:13], 0, 4
	v_lshl_add_u64 v[14:15], v[14:15], 0, 4
	s_andn2_b64 s[2:3], s[2:3], exec
	s_or_b64 s[24:25], s[4:5], s[0:1]
                                        ; implicit-def: $sgpr28_sgpr29
	s_branch .LBB386_531
.LBB386_534:
	s_or_b64 exec, exec, s[20:21]
	s_and_b64 s[0:1], s[22:23], exec
.LBB386_535:
	s_or_b64 exec, exec, s[18:19]
	s_xor_b64 s[0:1], s[0:1], -1
	s_andn2_b64 s[2:3], s[14:15], exec
	s_and_b64 s[0:1], s[0:1], exec
	s_or_b64 s[14:15], s[2:3], s[0:1]
.LBB386_536:
	s_or_b64 exec, exec, s[16:17]
	v_cndmask_b32_e64 v12, v66, v64, s[14:15]
	v_cndmask_b32_e64 v13, v97, v96, s[14:15]
	v_add_u32_e32 v16, 1, v12
	v_add_u32_e32 v12, -1, v13
	v_min_u32_e32 v12, v16, v12
	v_mov_b32_e32 v13, 0
	v_lshl_add_u64 v[14:15], v[12:13], 3, v[54:55]
	flat_load_dwordx2 v[14:15], v[14:15]
	v_cndmask_b32_e64 v23, v16, v66, s[14:15]
	s_mov_b64 s[16:17], -1
	v_cndmask_b32_e64 v64, v64, v16, s[14:15]
	v_cmp_lt_u32_e64 s[0:1], v23, v97
	s_mov_b64 s[18:19], -1
	s_waitcnt vmcnt(0) lgkmcnt(0)
	v_cndmask_b32_e64 v20, v15, v3, s[14:15]
	v_cndmask_b32_e64 v21, v14, v2, s[14:15]
	;; [unrolled: 1-line block ×4, first 2 shown]
	s_and_saveexec_b64 s[20:21], s[0:1]
	s_cbranch_execz .LBB386_546
; %bb.537:
	v_cmp_lt_u32_e64 s[0:1], v64, v96
	s_mov_b64 s[2:3], 0
	s_and_saveexec_b64 s[18:19], s[0:1]
	s_cbranch_execz .LBB386_545
; %bb.538:
	s_mov_b64 s[0:1], 0
	s_and_saveexec_b64 s[22:23], vcc
	s_cbranch_execz .LBB386_544
; %bb.539:
	v_mul_lo_u32 v12, v22, v6
	v_mul_lo_u32 v16, v31, v7
	v_mad_u64_u32 v[14:15], s[0:1], v31, v6, 0
	v_add3_u32 v15, v15, v16, v12
	v_mul_lo_u32 v12, v20, v6
	v_mul_lo_u32 v18, v21, v7
	v_mad_u64_u32 v[16:17], s[0:1], v21, v6, 0
	v_add3_u32 v17, v17, v18, v12
	v_lshl_add_u64 v[14:15], v[14:15], 2, v[8:9]
	v_lshl_add_u64 v[16:17], v[16:17], 2, v[8:9]
	s_mov_b64 s[24:25], 0
	v_mov_b64_e32 v[18:19], v[6:7]
                                        ; implicit-def: $sgpr26_sgpr27
                                        ; implicit-def: $sgpr28_sgpr29
                                        ; implicit-def: $sgpr30_sgpr31
                                        ; implicit-def: $sgpr2_sgpr3
                                        ; implicit-def: $sgpr34_sgpr35
	s_branch .LBB386_541
.LBB386_540:                            ;   in Loop: Header=BB386_541 Depth=1
	s_or_b64 exec, exec, s[36:37]
	s_and_b64 s[0:1], exec, s[28:29]
	s_or_b64 s[24:25], s[0:1], s[24:25]
	s_andn2_b64 s[0:1], s[34:35], exec
	s_and_b64 s[4:5], s[30:31], exec
	s_or_b64 s[34:35], s[0:1], s[4:5]
	s_andn2_b64 s[0:1], s[26:27], exec
	s_and_b64 s[4:5], s[2:3], exec
	s_or_b64 s[26:27], s[0:1], s[4:5]
	s_andn2_b64 exec, exec, s[24:25]
	s_cbranch_execz .LBB386_543
.LBB386_541:                            ; =>This Inner Loop Header: Depth=1
	flat_load_dword v12, v[16:17]
	flat_load_dword v65, v[14:15]
	s_andn2_b64 s[36:37], s[2:3], exec
	s_andn2_b64 s[30:31], s[30:31], exec
	s_or_b64 s[28:29], s[28:29], exec
	s_waitcnt vmcnt(0) lgkmcnt(0)
	v_cmp_le_i32_e64 s[2:3], v12, v65
	v_cmp_lt_i32_e64 s[0:1], v12, v65
	s_and_b64 s[2:3], s[2:3], s[34:35]
	s_or_b64 s[38:39], s[0:1], s[2:3]
	s_and_b64 s[0:1], s[38:39], exec
	v_cmp_eq_u32_e64 s[4:5], v12, v65
	s_or_b64 s[2:3], s[36:37], s[0:1]
	s_and_saveexec_b64 s[36:37], s[4:5]
	s_cbranch_execz .LBB386_540
; %bb.542:                              ;   in Loop: Header=BB386_541 Depth=1
	v_lshl_add_u64 v[18:19], v[18:19], 0, -1
	v_cmp_eq_u64_e64 s[0:1], 0, v[18:19]
	s_andn2_b64 s[4:5], s[30:31], exec
	s_and_b64 s[30:31], s[38:39], exec
	s_or_b64 s[30:31], s[4:5], s[30:31]
	s_andn2_b64 s[4:5], s[28:29], exec
	s_and_b64 s[0:1], s[0:1], exec
	v_lshl_add_u64 v[14:15], v[14:15], 0, 4
	v_lshl_add_u64 v[16:17], v[16:17], 0, 4
	s_andn2_b64 s[2:3], s[2:3], exec
	s_or_b64 s[28:29], s[4:5], s[0:1]
                                        ; implicit-def: $sgpr34_sgpr35
	s_branch .LBB386_540
.LBB386_543:
	s_or_b64 exec, exec, s[24:25]
	s_and_b64 s[0:1], s[26:27], exec
.LBB386_544:
	s_or_b64 exec, exec, s[22:23]
	s_xor_b64 s[0:1], s[0:1], -1
	s_and_b64 s[2:3], s[0:1], exec
.LBB386_545:
	s_or_b64 exec, exec, s[18:19]
	s_orn2_b64 s[18:19], s[2:3], exec
.LBB386_546:
	s_or_b64 exec, exec, s[20:21]
	v_cndmask_b32_e64 v12, v23, v64, s[18:19]
	v_cndmask_b32_e64 v14, v97, v96, s[18:19]
	v_add_u32_e32 v15, 1, v12
	v_add_u32_e32 v12, -1, v14
	v_min_u32_e32 v12, v15, v12
	v_lshl_add_u64 v[12:13], v[12:13], 3, v[54:55]
	flat_load_dwordx2 v[12:13], v[12:13]
	v_cndmask_b32_e64 v18, v15, v23, s[18:19]
	v_cndmask_b32_e64 v19, v64, v15, s[18:19]
	v_cmp_lt_u32_e64 s[0:1], v18, v97
	s_waitcnt vmcnt(0) lgkmcnt(0)
	v_cndmask_b32_e64 v23, v13, v20, s[18:19]
	v_cndmask_b32_e64 v64, v12, v21, s[18:19]
	;; [unrolled: 1-line block ×4, first 2 shown]
	s_and_saveexec_b64 s[20:21], s[0:1]
	s_cbranch_execz .LBB386_556
; %bb.547:
	v_cmp_lt_u32_e64 s[0:1], v19, v96
	s_mov_b64 s[2:3], 0
	s_and_saveexec_b64 s[16:17], s[0:1]
	s_cbranch_execz .LBB386_555
; %bb.548:
	s_mov_b64 s[0:1], 0
	s_and_saveexec_b64 s[22:23], vcc
	s_cbranch_execz .LBB386_554
; %bb.549:
	v_mul_lo_u32 v14, v65, v6
	v_mul_lo_u32 v15, v66, v7
	v_mad_u64_u32 v[12:13], s[0:1], v66, v6, 0
	v_add3_u32 v13, v13, v15, v14
	v_mul_lo_u32 v16, v23, v6
	v_mul_lo_u32 v17, v64, v7
	v_mad_u64_u32 v[14:15], s[0:1], v64, v6, 0
	v_add3_u32 v15, v15, v17, v16
	v_lshl_add_u64 v[12:13], v[12:13], 2, v[8:9]
	v_lshl_add_u64 v[14:15], v[14:15], 2, v[8:9]
	s_mov_b64 s[24:25], 0
	v_mov_b64_e32 v[16:17], v[6:7]
                                        ; implicit-def: $sgpr26_sgpr27
                                        ; implicit-def: $sgpr28_sgpr29
                                        ; implicit-def: $sgpr30_sgpr31
                                        ; implicit-def: $sgpr2_sgpr3
                                        ; implicit-def: $sgpr34_sgpr35
	s_branch .LBB386_551
.LBB386_550:                            ;   in Loop: Header=BB386_551 Depth=1
	s_or_b64 exec, exec, s[36:37]
	s_and_b64 s[0:1], exec, s[28:29]
	s_or_b64 s[24:25], s[0:1], s[24:25]
	s_andn2_b64 s[0:1], s[34:35], exec
	s_and_b64 s[4:5], s[30:31], exec
	s_or_b64 s[34:35], s[0:1], s[4:5]
	s_andn2_b64 s[0:1], s[26:27], exec
	s_and_b64 s[4:5], s[2:3], exec
	s_or_b64 s[26:27], s[0:1], s[4:5]
	s_andn2_b64 exec, exec, s[24:25]
	s_cbranch_execz .LBB386_553
.LBB386_551:                            ; =>This Inner Loop Header: Depth=1
	flat_load_dword v67, v[14:15]
	flat_load_dword v68, v[12:13]
	s_andn2_b64 s[36:37], s[2:3], exec
	s_andn2_b64 s[30:31], s[30:31], exec
	s_or_b64 s[28:29], s[28:29], exec
	s_waitcnt vmcnt(0) lgkmcnt(0)
	v_cmp_le_i32_e64 s[2:3], v67, v68
	v_cmp_lt_i32_e64 s[0:1], v67, v68
	s_and_b64 s[2:3], s[2:3], s[34:35]
	s_or_b64 s[38:39], s[0:1], s[2:3]
	s_and_b64 s[0:1], s[38:39], exec
	v_cmp_eq_u32_e64 s[4:5], v67, v68
	s_or_b64 s[2:3], s[36:37], s[0:1]
	s_and_saveexec_b64 s[36:37], s[4:5]
	s_cbranch_execz .LBB386_550
; %bb.552:                              ;   in Loop: Header=BB386_551 Depth=1
	v_lshl_add_u64 v[16:17], v[16:17], 0, -1
	v_cmp_eq_u64_e64 s[0:1], 0, v[16:17]
	s_andn2_b64 s[4:5], s[30:31], exec
	s_and_b64 s[30:31], s[38:39], exec
	s_or_b64 s[30:31], s[4:5], s[30:31]
	s_andn2_b64 s[4:5], s[28:29], exec
	s_and_b64 s[0:1], s[0:1], exec
	v_lshl_add_u64 v[12:13], v[12:13], 0, 4
	v_lshl_add_u64 v[14:15], v[14:15], 0, 4
	s_andn2_b64 s[2:3], s[2:3], exec
	s_or_b64 s[28:29], s[4:5], s[0:1]
                                        ; implicit-def: $sgpr34_sgpr35
	s_branch .LBB386_550
.LBB386_553:
	s_or_b64 exec, exec, s[24:25]
	s_and_b64 s[0:1], s[26:27], exec
.LBB386_554:
	s_or_b64 exec, exec, s[22:23]
	s_xor_b64 s[0:1], s[0:1], -1
	s_and_b64 s[2:3], s[0:1], exec
.LBB386_555:
	s_or_b64 exec, exec, s[16:17]
	s_orn2_b64 s[16:17], s[2:3], exec
.LBB386_556:
	s_or_b64 exec, exec, s[20:21]
	v_cndmask_b32_e64 v12, v18, v19, s[16:17]
	v_cndmask_b32_e64 v13, v97, v96, s[16:17]
	v_add_u32_e32 v16, 1, v12
	v_add_u32_e32 v12, -1, v13
	v_min_u32_e32 v12, v16, v12
	v_mov_b32_e32 v13, 0
	v_lshl_add_u64 v[14:15], v[12:13], 3, v[54:55]
	flat_load_dwordx2 v[14:15], v[14:15]
	v_cndmask_b32_e64 v71, v16, v18, s[16:17]
	s_mov_b64 s[20:21], -1
	v_cndmask_b32_e64 v80, v19, v16, s[16:17]
	v_cmp_lt_u32_e64 s[0:1], v71, v97
	s_mov_b64 s[22:23], -1
	s_waitcnt vmcnt(0) lgkmcnt(0)
	v_cndmask_b32_e64 v67, v15, v23, s[16:17]
	v_cndmask_b32_e64 v68, v14, v64, s[16:17]
	;; [unrolled: 1-line block ×4, first 2 shown]
	s_and_saveexec_b64 s[24:25], s[0:1]
	s_cbranch_execz .LBB386_566
; %bb.557:
	v_cmp_lt_u32_e64 s[0:1], v80, v96
	s_mov_b64 s[2:3], 0
	s_and_saveexec_b64 s[22:23], s[0:1]
	s_cbranch_execz .LBB386_565
; %bb.558:
	s_mov_b64 s[0:1], -1
	s_and_saveexec_b64 s[26:27], vcc
	s_cbranch_execz .LBB386_564
; %bb.559:
	v_mul_lo_u32 v12, v69, v6
	v_mul_lo_u32 v16, v70, v7
	v_mad_u64_u32 v[14:15], s[0:1], v70, v6, 0
	v_add3_u32 v15, v15, v16, v12
	v_mul_lo_u32 v12, v67, v6
	v_mul_lo_u32 v18, v68, v7
	v_mad_u64_u32 v[16:17], s[0:1], v68, v6, 0
	v_add3_u32 v17, v17, v18, v12
	v_lshl_add_u64 v[14:15], v[14:15], 2, v[8:9]
	v_lshl_add_u64 v[16:17], v[16:17], 2, v[8:9]
	s_mov_b64 s[28:29], 0
	v_mov_b64_e32 v[18:19], v[6:7]
                                        ; implicit-def: $sgpr30_sgpr31
                                        ; implicit-def: $sgpr34_sgpr35
                                        ; implicit-def: $sgpr2_sgpr3
                                        ; implicit-def: $sgpr36_sgpr37
                                        ; implicit-def: $sgpr38_sgpr39
	s_branch .LBB386_561
.LBB386_560:                            ;   in Loop: Header=BB386_561 Depth=1
	s_or_b64 exec, exec, s[40:41]
	s_and_b64 s[0:1], exec, s[34:35]
	s_or_b64 s[28:29], s[0:1], s[28:29]
	s_andn2_b64 s[0:1], s[38:39], exec
	s_and_b64 s[4:5], s[36:37], exec
	s_or_b64 s[38:39], s[0:1], s[4:5]
	s_andn2_b64 s[0:1], s[30:31], exec
	s_and_b64 s[4:5], s[2:3], exec
	s_or_b64 s[30:31], s[0:1], s[4:5]
	s_andn2_b64 exec, exec, s[28:29]
	s_cbranch_execz .LBB386_563
.LBB386_561:                            ; =>This Inner Loop Header: Depth=1
	flat_load_dword v12, v[16:17]
	flat_load_dword v81, v[14:15]
	s_andn2_b64 s[40:41], s[2:3], exec
	s_andn2_b64 s[36:37], s[36:37], exec
	s_or_b64 s[34:35], s[34:35], exec
	s_waitcnt vmcnt(0) lgkmcnt(0)
	v_cmp_le_i32_e64 s[2:3], v12, v81
	v_cmp_lt_i32_e64 s[0:1], v12, v81
	s_and_b64 s[2:3], s[2:3], s[38:39]
	s_or_b64 s[42:43], s[0:1], s[2:3]
	s_and_b64 s[0:1], s[42:43], exec
	v_cmp_eq_u32_e64 s[4:5], v12, v81
	s_or_b64 s[2:3], s[40:41], s[0:1]
	s_and_saveexec_b64 s[40:41], s[4:5]
	s_cbranch_execz .LBB386_560
; %bb.562:                              ;   in Loop: Header=BB386_561 Depth=1
	v_lshl_add_u64 v[18:19], v[18:19], 0, -1
	v_cmp_eq_u64_e64 s[0:1], 0, v[18:19]
	s_andn2_b64 s[4:5], s[36:37], exec
	s_and_b64 s[36:37], s[42:43], exec
	s_or_b64 s[36:37], s[4:5], s[36:37]
	s_andn2_b64 s[4:5], s[34:35], exec
	s_and_b64 s[0:1], s[0:1], exec
	v_lshl_add_u64 v[14:15], v[14:15], 0, 4
	v_lshl_add_u64 v[16:17], v[16:17], 0, 4
	s_andn2_b64 s[2:3], s[2:3], exec
	s_or_b64 s[34:35], s[4:5], s[0:1]
                                        ; implicit-def: $sgpr38_sgpr39
	s_branch .LBB386_560
.LBB386_563:
	s_or_b64 exec, exec, s[28:29]
	s_xor_b64 s[0:1], s[30:31], -1
	s_orn2_b64 s[0:1], s[0:1], exec
.LBB386_564:
	s_or_b64 exec, exec, s[26:27]
	s_and_b64 s[2:3], s[0:1], exec
.LBB386_565:
	s_or_b64 exec, exec, s[22:23]
	s_orn2_b64 s[22:23], s[2:3], exec
.LBB386_566:
	s_or_b64 exec, exec, s[24:25]
	v_cndmask_b32_e64 v12, v71, v80, s[22:23]
	v_cndmask_b32_e64 v14, v97, v96, s[22:23]
	v_add_u32_e32 v15, 1, v12
	v_add_u32_e32 v12, -1, v14
	v_min_u32_e32 v12, v15, v12
	v_lshl_add_u64 v[12:13], v[12:13], 3, v[54:55]
	flat_load_dwordx2 v[12:13], v[12:13]
	v_cndmask_b32_e64 v18, v15, v71, s[22:23]
	v_cndmask_b32_e64 v19, v80, v15, s[22:23]
	v_cmp_lt_u32_e64 s[0:1], v18, v97
	s_waitcnt vmcnt(0) lgkmcnt(0)
	v_cndmask_b32_e64 v71, v13, v67, s[22:23]
	v_cndmask_b32_e64 v80, v12, v68, s[22:23]
	;; [unrolled: 1-line block ×4, first 2 shown]
	s_and_saveexec_b64 s[24:25], s[0:1]
	s_cbranch_execz .LBB386_576
; %bb.567:
	v_cmp_lt_u32_e64 s[0:1], v19, v96
	s_mov_b64 s[2:3], 0
	s_and_saveexec_b64 s[20:21], s[0:1]
	s_cbranch_execz .LBB386_575
; %bb.568:
	s_mov_b64 s[0:1], -1
	s_and_saveexec_b64 s[26:27], vcc
	s_cbranch_execz .LBB386_574
; %bb.569:
	v_mul_lo_u32 v14, v81, v6
	v_mul_lo_u32 v15, v82, v7
	v_mad_u64_u32 v[12:13], s[0:1], v82, v6, 0
	v_add3_u32 v13, v13, v15, v14
	v_mul_lo_u32 v16, v71, v6
	v_mul_lo_u32 v17, v80, v7
	v_mad_u64_u32 v[14:15], s[0:1], v80, v6, 0
	v_add3_u32 v15, v15, v17, v16
	v_lshl_add_u64 v[12:13], v[12:13], 2, v[8:9]
	v_lshl_add_u64 v[14:15], v[14:15], 2, v[8:9]
	s_mov_b64 s[28:29], 0
	v_mov_b64_e32 v[16:17], v[6:7]
                                        ; implicit-def: $sgpr30_sgpr31
                                        ; implicit-def: $sgpr34_sgpr35
                                        ; implicit-def: $sgpr2_sgpr3
                                        ; implicit-def: $sgpr36_sgpr37
                                        ; implicit-def: $sgpr38_sgpr39
	s_branch .LBB386_571
.LBB386_570:                            ;   in Loop: Header=BB386_571 Depth=1
	s_or_b64 exec, exec, s[40:41]
	s_and_b64 s[0:1], exec, s[34:35]
	s_or_b64 s[28:29], s[0:1], s[28:29]
	s_andn2_b64 s[0:1], s[38:39], exec
	s_and_b64 s[4:5], s[36:37], exec
	s_or_b64 s[38:39], s[0:1], s[4:5]
	s_andn2_b64 s[0:1], s[30:31], exec
	s_and_b64 s[4:5], s[2:3], exec
	s_or_b64 s[30:31], s[0:1], s[4:5]
	s_andn2_b64 exec, exec, s[28:29]
	s_cbranch_execz .LBB386_573
.LBB386_571:                            ; =>This Inner Loop Header: Depth=1
	flat_load_dword v83, v[14:15]
	flat_load_dword v84, v[12:13]
	s_andn2_b64 s[40:41], s[2:3], exec
	s_andn2_b64 s[36:37], s[36:37], exec
	s_or_b64 s[34:35], s[34:35], exec
	s_waitcnt vmcnt(0) lgkmcnt(0)
	v_cmp_le_i32_e64 s[2:3], v83, v84
	v_cmp_lt_i32_e64 s[0:1], v83, v84
	s_and_b64 s[2:3], s[2:3], s[38:39]
	s_or_b64 s[42:43], s[0:1], s[2:3]
	s_and_b64 s[0:1], s[42:43], exec
	v_cmp_eq_u32_e64 s[4:5], v83, v84
	s_or_b64 s[2:3], s[40:41], s[0:1]
	s_and_saveexec_b64 s[40:41], s[4:5]
	s_cbranch_execz .LBB386_570
; %bb.572:                              ;   in Loop: Header=BB386_571 Depth=1
	v_lshl_add_u64 v[16:17], v[16:17], 0, -1
	v_cmp_eq_u64_e64 s[0:1], 0, v[16:17]
	s_andn2_b64 s[4:5], s[36:37], exec
	s_and_b64 s[36:37], s[42:43], exec
	s_or_b64 s[36:37], s[4:5], s[36:37]
	s_andn2_b64 s[4:5], s[34:35], exec
	s_and_b64 s[0:1], s[0:1], exec
	v_lshl_add_u64 v[12:13], v[12:13], 0, 4
	v_lshl_add_u64 v[14:15], v[14:15], 0, 4
	s_andn2_b64 s[2:3], s[2:3], exec
	s_or_b64 s[34:35], s[4:5], s[0:1]
                                        ; implicit-def: $sgpr38_sgpr39
	s_branch .LBB386_570
.LBB386_573:
	s_or_b64 exec, exec, s[28:29]
	s_xor_b64 s[0:1], s[30:31], -1
	s_orn2_b64 s[0:1], s[0:1], exec
.LBB386_574:
	s_or_b64 exec, exec, s[26:27]
	s_and_b64 s[2:3], s[0:1], exec
.LBB386_575:
	s_or_b64 exec, exec, s[20:21]
	s_orn2_b64 s[20:21], s[2:3], exec
.LBB386_576:
	s_or_b64 exec, exec, s[24:25]
	v_cndmask_b32_e64 v12, v18, v19, s[20:21]
	v_cndmask_b32_e64 v13, v97, v96, s[20:21]
	v_add_u32_e32 v16, 1, v12
	v_add_u32_e32 v12, -1, v13
	v_min_u32_e32 v12, v16, v12
	v_mov_b32_e32 v13, 0
	v_lshl_add_u64 v[14:15], v[12:13], 3, v[54:55]
	flat_load_dwordx2 v[14:15], v[14:15]
	v_cndmask_b32_e64 v87, v16, v18, s[20:21]
	s_mov_b64 s[24:25], -1
	v_cndmask_b32_e64 v98, v19, v16, s[20:21]
	v_cmp_lt_u32_e64 s[0:1], v87, v97
	s_mov_b64 s[26:27], -1
	s_waitcnt vmcnt(0) lgkmcnt(0)
	v_cndmask_b32_e64 v83, v15, v71, s[20:21]
	v_cndmask_b32_e64 v84, v14, v80, s[20:21]
	;; [unrolled: 1-line block ×4, first 2 shown]
	s_and_saveexec_b64 s[28:29], s[0:1]
	s_cbranch_execz .LBB386_586
; %bb.577:
	v_cmp_lt_u32_e64 s[0:1], v98, v96
	s_mov_b64 s[2:3], 0
	s_and_saveexec_b64 s[26:27], s[0:1]
	s_cbranch_execz .LBB386_585
; %bb.578:
	s_mov_b64 s[0:1], -1
	s_and_saveexec_b64 s[30:31], vcc
	s_cbranch_execz .LBB386_584
; %bb.579:
	v_mul_lo_u32 v12, v85, v6
	v_mul_lo_u32 v16, v86, v7
	v_mad_u64_u32 v[14:15], s[0:1], v86, v6, 0
	v_add3_u32 v15, v15, v16, v12
	v_mul_lo_u32 v12, v83, v6
	v_mul_lo_u32 v18, v84, v7
	v_mad_u64_u32 v[16:17], s[0:1], v84, v6, 0
	v_add3_u32 v17, v17, v18, v12
	v_lshl_add_u64 v[14:15], v[14:15], 2, v[8:9]
	v_lshl_add_u64 v[16:17], v[16:17], 2, v[8:9]
	s_mov_b64 s[34:35], 0
	v_mov_b64_e32 v[18:19], v[6:7]
                                        ; implicit-def: $sgpr36_sgpr37
                                        ; implicit-def: $sgpr38_sgpr39
                                        ; implicit-def: $sgpr2_sgpr3
                                        ; implicit-def: $sgpr40_sgpr41
                                        ; implicit-def: $sgpr42_sgpr43
	s_branch .LBB386_581
.LBB386_580:                            ;   in Loop: Header=BB386_581 Depth=1
	s_or_b64 exec, exec, s[44:45]
	s_and_b64 s[0:1], exec, s[38:39]
	s_or_b64 s[34:35], s[0:1], s[34:35]
	s_andn2_b64 s[0:1], s[42:43], exec
	s_and_b64 s[4:5], s[40:41], exec
	s_or_b64 s[42:43], s[0:1], s[4:5]
	s_andn2_b64 s[0:1], s[36:37], exec
	s_and_b64 s[4:5], s[2:3], exec
	s_or_b64 s[36:37], s[0:1], s[4:5]
	s_andn2_b64 exec, exec, s[34:35]
	s_cbranch_execz .LBB386_583
.LBB386_581:                            ; =>This Inner Loop Header: Depth=1
	flat_load_dword v12, v[16:17]
	flat_load_dword v99, v[14:15]
	s_andn2_b64 s[44:45], s[2:3], exec
	s_andn2_b64 s[40:41], s[40:41], exec
	s_or_b64 s[38:39], s[38:39], exec
	s_waitcnt vmcnt(0) lgkmcnt(0)
	v_cmp_le_i32_e64 s[2:3], v12, v99
	v_cmp_lt_i32_e64 s[0:1], v12, v99
	s_and_b64 s[2:3], s[2:3], s[42:43]
	s_or_b64 s[46:47], s[0:1], s[2:3]
	s_and_b64 s[0:1], s[46:47], exec
	v_cmp_eq_u32_e64 s[4:5], v12, v99
	s_or_b64 s[2:3], s[44:45], s[0:1]
	s_and_saveexec_b64 s[44:45], s[4:5]
	s_cbranch_execz .LBB386_580
; %bb.582:                              ;   in Loop: Header=BB386_581 Depth=1
	v_lshl_add_u64 v[18:19], v[18:19], 0, -1
	v_cmp_eq_u64_e64 s[0:1], 0, v[18:19]
	s_andn2_b64 s[4:5], s[40:41], exec
	s_and_b64 s[40:41], s[46:47], exec
	s_or_b64 s[40:41], s[4:5], s[40:41]
	s_andn2_b64 s[4:5], s[38:39], exec
	s_and_b64 s[0:1], s[0:1], exec
	v_lshl_add_u64 v[14:15], v[14:15], 0, 4
	v_lshl_add_u64 v[16:17], v[16:17], 0, 4
	s_andn2_b64 s[2:3], s[2:3], exec
	s_or_b64 s[38:39], s[4:5], s[0:1]
                                        ; implicit-def: $sgpr42_sgpr43
	s_branch .LBB386_580
.LBB386_583:
	s_or_b64 exec, exec, s[34:35]
	s_xor_b64 s[0:1], s[36:37], -1
	s_orn2_b64 s[0:1], s[0:1], exec
.LBB386_584:
	s_or_b64 exec, exec, s[30:31]
	s_and_b64 s[2:3], s[0:1], exec
.LBB386_585:
	s_or_b64 exec, exec, s[26:27]
	s_orn2_b64 s[26:27], s[2:3], exec
.LBB386_586:
	s_or_b64 exec, exec, s[28:29]
	v_cndmask_b32_e64 v12, v87, v98, s[26:27]
	v_cndmask_b32_e64 v14, v97, v96, s[26:27]
	v_add_u32_e32 v15, 1, v12
	v_add_u32_e32 v12, -1, v14
	v_min_u32_e32 v12, v15, v12
	v_lshl_add_u64 v[12:13], v[12:13], 3, v[54:55]
	flat_load_dwordx2 v[12:13], v[12:13]
	v_cndmask_b32_e64 v100, v15, v87, s[26:27]
	v_cndmask_b32_e64 v87, v98, v15, s[26:27]
	v_cmp_lt_u32_e64 s[0:1], v100, v97
	s_waitcnt vmcnt(0) lgkmcnt(0)
	v_cndmask_b32_e64 v98, v13, v83, s[26:27]
	v_cndmask_b32_e64 v99, v12, v84, s[26:27]
	;; [unrolled: 1-line block ×4, first 2 shown]
	s_and_saveexec_b64 s[28:29], s[0:1]
	s_cbranch_execz .LBB386_596
; %bb.587:
	v_cmp_lt_u32_e64 s[0:1], v87, v96
	s_mov_b64 s[2:3], 0
	s_and_saveexec_b64 s[24:25], s[0:1]
	s_cbranch_execz .LBB386_595
; %bb.588:
	s_mov_b64 s[0:1], -1
	s_and_saveexec_b64 s[30:31], vcc
	s_cbranch_execz .LBB386_594
; %bb.589:
	v_mul_lo_u32 v14, v101, v6
	v_mul_lo_u32 v15, v102, v7
	v_mad_u64_u32 v[12:13], s[0:1], v102, v6, 0
	v_add3_u32 v13, v13, v15, v14
	v_mul_lo_u32 v16, v98, v6
	v_mul_lo_u32 v17, v99, v7
	v_mad_u64_u32 v[14:15], s[0:1], v99, v6, 0
	v_add3_u32 v15, v15, v17, v16
	v_lshl_add_u64 v[12:13], v[12:13], 2, v[8:9]
	v_lshl_add_u64 v[14:15], v[14:15], 2, v[8:9]
	s_mov_b64 s[34:35], 0
	v_mov_b64_e32 v[16:17], v[6:7]
                                        ; implicit-def: $sgpr36_sgpr37
                                        ; implicit-def: $sgpr38_sgpr39
                                        ; implicit-def: $sgpr2_sgpr3
                                        ; implicit-def: $sgpr40_sgpr41
                                        ; implicit-def: $sgpr42_sgpr43
	s_branch .LBB386_591
.LBB386_590:                            ;   in Loop: Header=BB386_591 Depth=1
	s_or_b64 exec, exec, s[44:45]
	s_and_b64 s[0:1], exec, s[38:39]
	s_or_b64 s[34:35], s[0:1], s[34:35]
	s_andn2_b64 s[0:1], s[42:43], exec
	s_and_b64 s[4:5], s[40:41], exec
	s_or_b64 s[42:43], s[0:1], s[4:5]
	s_andn2_b64 s[0:1], s[36:37], exec
	s_and_b64 s[4:5], s[2:3], exec
	s_or_b64 s[36:37], s[0:1], s[4:5]
	s_andn2_b64 exec, exec, s[34:35]
	s_cbranch_execz .LBB386_593
.LBB386_591:                            ; =>This Inner Loop Header: Depth=1
	flat_load_dword v18, v[14:15]
	flat_load_dword v19, v[12:13]
	s_andn2_b64 s[44:45], s[2:3], exec
	s_andn2_b64 s[40:41], s[40:41], exec
	s_or_b64 s[38:39], s[38:39], exec
	s_waitcnt vmcnt(0) lgkmcnt(0)
	v_cmp_le_i32_e64 s[2:3], v18, v19
	v_cmp_lt_i32_e64 s[0:1], v18, v19
	s_and_b64 s[2:3], s[2:3], s[42:43]
	s_or_b64 s[46:47], s[0:1], s[2:3]
	s_and_b64 s[0:1], s[46:47], exec
	v_cmp_eq_u32_e64 s[4:5], v18, v19
	s_or_b64 s[2:3], s[44:45], s[0:1]
	s_and_saveexec_b64 s[44:45], s[4:5]
	s_cbranch_execz .LBB386_590
; %bb.592:                              ;   in Loop: Header=BB386_591 Depth=1
	v_lshl_add_u64 v[16:17], v[16:17], 0, -1
	v_cmp_eq_u64_e64 s[0:1], 0, v[16:17]
	s_andn2_b64 s[4:5], s[40:41], exec
	s_and_b64 s[40:41], s[46:47], exec
	s_or_b64 s[40:41], s[4:5], s[40:41]
	s_andn2_b64 s[4:5], s[38:39], exec
	s_and_b64 s[0:1], s[0:1], exec
	v_lshl_add_u64 v[12:13], v[12:13], 0, 4
	v_lshl_add_u64 v[14:15], v[14:15], 0, 4
	s_andn2_b64 s[2:3], s[2:3], exec
	s_or_b64 s[38:39], s[4:5], s[0:1]
                                        ; implicit-def: $sgpr42_sgpr43
	s_branch .LBB386_590
.LBB386_593:
	s_or_b64 exec, exec, s[34:35]
	s_xor_b64 s[0:1], s[36:37], -1
	s_orn2_b64 s[0:1], s[0:1], exec
.LBB386_594:
	s_or_b64 exec, exec, s[30:31]
	s_and_b64 s[2:3], s[0:1], exec
.LBB386_595:
	s_or_b64 exec, exec, s[24:25]
	s_orn2_b64 s[24:25], s[2:3], exec
.LBB386_596:
	s_or_b64 exec, exec, s[28:29]
	v_cndmask_b32_e64 v12, v100, v87, s[24:25]
	v_cndmask_b32_e64 v13, v97, v96, s[24:25]
	v_add_u32_e32 v103, 1, v12
	v_add_u32_e32 v12, -1, v13
	v_min_u32_e32 v12, v103, v12
	v_mov_b32_e32 v13, 0
	v_lshl_add_u64 v[12:13], v[12:13], 3, v[54:55]
	flat_load_dwordx2 v[54:55], v[12:13]
	v_cndmask_b32_e64 v17, v23, v65, s[16:17]
	v_cndmask_b32_e64 v23, v20, v22, s[18:19]
	;; [unrolled: 1-line block ×15, first 2 shown]
	v_cmp_lt_u32_e64 s[0:1], v31, v97
	s_waitcnt vmcnt(0) lgkmcnt(0)
	v_cndmask_b32_e64 v3, v101, v55, s[24:25]
	v_cndmask_b32_e64 v2, v102, v54, s[24:25]
	s_and_saveexec_b64 s[14:15], s[0:1]
	s_cbranch_execz .LBB386_606
; %bb.597:
	v_cndmask_b32_e64 v31, v87, v103, s[24:25]
	v_cndmask_b32_e64 v55, v55, v98, s[24:25]
	;; [unrolled: 1-line block ×3, first 2 shown]
	v_cmp_lt_u32_e64 s[0:1], v31, v96
	s_and_saveexec_b64 s[16:17], s[0:1]
	s_cbranch_execz .LBB386_605
; %bb.598:
	s_and_saveexec_b64 s[18:19], vcc
	s_cbranch_execz .LBB386_604
; %bb.599:
	v_mul_lo_u32 v31, v3, v6
	v_mul_lo_u32 v66, v2, v7
	v_mad_u64_u32 v[64:65], s[0:1], v2, v6, 0
	v_add3_u32 v65, v65, v66, v31
	v_mul_lo_u32 v31, v55, v6
	v_mul_lo_u32 v68, v54, v7
	v_mad_u64_u32 v[66:67], s[0:1], v54, v6, 0
	v_add3_u32 v67, v67, v68, v31
	v_lshl_add_u64 v[64:65], v[64:65], 2, v[8:9]
	v_lshl_add_u64 v[66:67], v[66:67], 2, v[8:9]
	s_mov_b64 s[20:21], 0
	v_mov_b64_e32 v[68:69], v[6:7]
                                        ; implicit-def: $sgpr22_sgpr23
                                        ; implicit-def: $sgpr24_sgpr25
                                        ; implicit-def: $sgpr2_sgpr3
                                        ; implicit-def: $sgpr26_sgpr27
                                        ; implicit-def: $sgpr28_sgpr29
	s_branch .LBB386_601
.LBB386_600:                            ;   in Loop: Header=BB386_601 Depth=1
	s_or_b64 exec, exec, s[30:31]
	s_and_b64 s[0:1], exec, s[24:25]
	s_or_b64 s[20:21], s[0:1], s[20:21]
	s_andn2_b64 s[0:1], s[28:29], exec
	s_and_b64 s[4:5], s[26:27], exec
	s_or_b64 s[28:29], s[0:1], s[4:5]
	s_andn2_b64 s[0:1], s[22:23], exec
	s_and_b64 s[4:5], s[2:3], exec
	s_or_b64 s[22:23], s[0:1], s[4:5]
	s_andn2_b64 exec, exec, s[20:21]
	s_cbranch_execz .LBB386_603
.LBB386_601:                            ; =>This Inner Loop Header: Depth=1
	flat_load_dword v31, v[66:67]
	flat_load_dword v70, v[64:65]
	s_andn2_b64 s[30:31], s[2:3], exec
	s_andn2_b64 s[26:27], s[26:27], exec
	s_or_b64 s[24:25], s[24:25], exec
	s_waitcnt vmcnt(0) lgkmcnt(0)
	v_cmp_le_i32_e64 s[2:3], v31, v70
	v_cmp_lt_i32_e64 s[0:1], v31, v70
	s_and_b64 s[2:3], s[2:3], s[28:29]
	s_or_b64 s[34:35], s[0:1], s[2:3]
	s_and_b64 s[0:1], s[34:35], exec
	v_cmp_eq_u32_e64 s[4:5], v31, v70
	s_or_b64 s[2:3], s[30:31], s[0:1]
	s_and_saveexec_b64 s[30:31], s[4:5]
	s_cbranch_execz .LBB386_600
; %bb.602:                              ;   in Loop: Header=BB386_601 Depth=1
	v_lshl_add_u64 v[68:69], v[68:69], 0, -1
	v_cmp_eq_u64_e64 s[0:1], 0, v[68:69]
	s_andn2_b64 s[4:5], s[26:27], exec
	s_and_b64 s[26:27], s[34:35], exec
	s_or_b64 s[26:27], s[4:5], s[26:27]
	s_andn2_b64 s[4:5], s[24:25], exec
	s_and_b64 s[0:1], s[0:1], exec
	v_lshl_add_u64 v[64:65], v[64:65], 0, 4
	v_lshl_add_u64 v[66:67], v[66:67], 0, 4
	s_andn2_b64 s[2:3], s[2:3], exec
	s_or_b64 s[24:25], s[4:5], s[0:1]
                                        ; implicit-def: $sgpr28_sgpr29
	s_branch .LBB386_600
.LBB386_603:
	s_or_b64 exec, exec, s[20:21]
	v_cndmask_b32_e64 v3, v3, v55, s[22:23]
	v_cndmask_b32_e64 v2, v2, v54, s[22:23]
.LBB386_604:
	s_or_b64 exec, exec, s[18:19]
	v_mov_b64_e32 v[54:55], v[2:3]
.LBB386_605:
	s_or_b64 exec, exec, s[16:17]
	v_mov_b64_e32 v[2:3], v[54:55]
.LBB386_606:
	s_or_b64 exec, exec, s[14:15]
.LBB386_607:
	s_or_b64 exec, exec, s[10:11]
	v_lshlrev_b32_e32 v54, 3, v30
	v_mov_b32_e32 v55, 0
	v_lshl_add_u64 v[64:65], v[10:11], 0, v[54:55]
	v_lshlrev_b64 v[66:67], 2, v[6:7]
	s_movk_i32 s50, 0x80
	; wave barrier
	s_waitcnt lgkmcnt(0)
	s_barrier
.LBB386_608:                            ; =>This Loop Header: Depth=1
                                        ;     Child Loop BB386_612 Depth 2
                                        ;       Child Loop BB386_615 Depth 3
                                        ;     Child Loop BB386_627 Depth 2
                                        ;     Child Loop BB386_636 Depth 2
	;; [unrolled: 1-line block ×8, first 2 shown]
	s_lshl_b32 s51, s50, 1
	s_sub_i32 s1, 0, s51
	v_and_b32_e32 v97, s1, v30
	v_add_u32_e32 v31, s50, v97
	v_min_u32_e32 v31, 0x800, v31
	s_add_i32 s0, s51, -1
	v_add_u32_e32 v54, s50, v31
	v_min_u32_e32 v96, 0x800, v54
	v_and_b32_e32 v54, s0, v30
	v_min_u32_e32 v98, 0x800, v54
	v_sub_u32_e32 v54, v31, v97
	v_sub_u32_e32 v68, v96, v31
	v_sub_u32_e64 v99, v98, v68 clamp
	v_min_u32_e32 v100, v98, v54
	v_cmp_lt_u32_e64 s[0:1], v99, v100
	flat_store_dwordx4 v[64:65], v[20:23]
	flat_store_dwordx4 v[64:65], v[16:19] offset:16
	flat_store_dwordx4 v[64:65], v[12:15] offset:32
	;; [unrolled: 1-line block ×3, first 2 shown]
	s_waitcnt lgkmcnt(0)
	s_barrier
	s_and_saveexec_b64 s[10:11], s[0:1]
	s_cbranch_execz .LBB386_618
; %bb.609:                              ;   in Loop: Header=BB386_608 Depth=1
	v_lshlrev_b32_e32 v54, 3, v97
	v_lshl_add_u64 v[68:69], v[10:11], 0, v[54:55]
	v_lshlrev_b32_e32 v54, 3, v31
	v_lshl_add_u64 v[70:71], v[10:11], 0, v[54:55]
	s_mov_b64 s[14:15], 0
	s_branch .LBB386_612
.LBB386_610:                            ;   in Loop: Header=BB386_612 Depth=2
	s_or_b64 exec, exec, s[18:19]
	s_and_b64 s[0:1], s[20:21], exec
.LBB386_611:                            ;   in Loop: Header=BB386_612 Depth=2
	s_or_b64 exec, exec, s[16:17]
	v_add_u32_e32 v54, 1, v80
	v_cndmask_b32_e64 v100, v100, v80, s[0:1]
	v_cndmask_b32_e64 v99, v54, v99, s[0:1]
	v_cmp_ge_u32_e64 s[0:1], v99, v100
	s_or_b64 s[14:15], s[0:1], s[14:15]
	s_andn2_b64 exec, exec, s[14:15]
	s_cbranch_execz .LBB386_617
.LBB386_612:                            ;   Parent Loop BB386_608 Depth=1
                                        ; =>  This Loop Header: Depth=2
                                        ;       Child Loop BB386_615 Depth 3
	v_add_u32_e32 v54, v100, v99
	v_lshrrev_b32_e32 v80, 1, v54
	s_mov_b64 s[0:1], 0
	s_and_saveexec_b64 s[16:17], vcc
	s_cbranch_execz .LBB386_611
; %bb.613:                              ;   in Loop: Header=BB386_612 Depth=2
	v_mov_b32_e32 v81, v55
	v_xad_u32 v54, v80, -1, v98
	v_lshl_add_u64 v[82:83], v[80:81], 3, v[68:69]
	v_lshl_add_u64 v[84:85], v[54:55], 3, v[70:71]
	flat_load_dwordx2 v[82:83], v[82:83]
	s_mov_b64 s[18:19], 0
	flat_load_dwordx2 v[84:85], v[84:85]
                                        ; implicit-def: $sgpr20_sgpr21
                                        ; implicit-def: $sgpr22_sgpr23
                                        ; implicit-def: $sgpr24_sgpr25
                                        ; implicit-def: $sgpr2_sgpr3
                                        ; implicit-def: $sgpr26_sgpr27
	s_waitcnt vmcnt(0) lgkmcnt(0)
	v_mul_lo_u32 v54, v66, v83
	v_mul_lo_u32 v81, v67, v82
	v_mad_u64_u32 v[82:83], s[0:1], v66, v82, v[8:9]
	v_mul_lo_u32 v86, v66, v85
	v_mul_lo_u32 v87, v67, v84
	v_mad_u64_u32 v[84:85], s[0:1], v66, v84, v[8:9]
	v_add3_u32 v83, v81, v83, v54
	v_add3_u32 v85, v87, v85, v86
	v_mov_b64_e32 v[86:87], v[6:7]
	s_branch .LBB386_615
.LBB386_614:                            ;   in Loop: Header=BB386_615 Depth=3
	s_or_b64 exec, exec, s[28:29]
	s_and_b64 s[0:1], exec, s[22:23]
	s_or_b64 s[18:19], s[0:1], s[18:19]
	s_andn2_b64 s[0:1], s[26:27], exec
	s_and_b64 s[4:5], s[24:25], exec
	s_or_b64 s[26:27], s[0:1], s[4:5]
	s_andn2_b64 s[0:1], s[20:21], exec
	s_and_b64 s[4:5], s[2:3], exec
	s_or_b64 s[20:21], s[0:1], s[4:5]
	s_andn2_b64 exec, exec, s[18:19]
	s_cbranch_execz .LBB386_610
.LBB386_615:                            ;   Parent Loop BB386_608 Depth=1
                                        ;     Parent Loop BB386_612 Depth=2
                                        ; =>    This Inner Loop Header: Depth=3
	flat_load_dword v54, v[84:85]
	flat_load_dword v81, v[82:83]
	s_andn2_b64 s[28:29], s[2:3], exec
	s_andn2_b64 s[24:25], s[24:25], exec
	s_or_b64 s[22:23], s[22:23], exec
	s_waitcnt vmcnt(0) lgkmcnt(0)
	v_cmp_le_i32_e64 s[2:3], v54, v81
	v_cmp_lt_i32_e64 s[0:1], v54, v81
	s_and_b64 s[2:3], s[2:3], s[26:27]
	s_or_b64 s[30:31], s[0:1], s[2:3]
	s_and_b64 s[0:1], s[30:31], exec
	v_cmp_eq_u32_e64 s[4:5], v54, v81
	s_or_b64 s[2:3], s[28:29], s[0:1]
	s_and_saveexec_b64 s[28:29], s[4:5]
	s_cbranch_execz .LBB386_614
; %bb.616:                              ;   in Loop: Header=BB386_615 Depth=3
	v_lshl_add_u64 v[86:87], v[86:87], 0, -1
	v_cmp_eq_u64_e64 s[0:1], 0, v[86:87]
	s_andn2_b64 s[4:5], s[24:25], exec
	s_and_b64 s[24:25], s[30:31], exec
	s_or_b64 s[24:25], s[4:5], s[24:25]
	s_andn2_b64 s[4:5], s[22:23], exec
	s_and_b64 s[0:1], s[0:1], exec
	v_lshl_add_u64 v[82:83], v[82:83], 0, 4
	v_lshl_add_u64 v[84:85], v[84:85], 0, 4
	s_andn2_b64 s[2:3], s[2:3], exec
	s_or_b64 s[22:23], s[4:5], s[0:1]
                                        ; implicit-def: $sgpr26_sgpr27
	s_branch .LBB386_614
.LBB386_617:                            ;   in Loop: Header=BB386_608 Depth=1
	s_or_b64 exec, exec, s[14:15]
.LBB386_618:                            ;   in Loop: Header=BB386_608 Depth=1
	s_or_b64 exec, exec, s[10:11]
	v_sub_u32_e32 v54, v98, v99
	v_add_u32_e32 v68, v99, v97
	v_add_u32_e32 v70, v54, v31
	v_cmp_le_u32_e64 s[0:1], v68, v31
	v_cmp_le_u32_e64 s[2:3], v70, v96
	s_or_b64 s[0:1], s[0:1], s[2:3]
	s_and_saveexec_b64 s[10:11], s[0:1]
	s_cbranch_execz .LBB386_702
; %bb.619:                              ;   in Loop: Header=BB386_608 Depth=1
	v_cmp_ge_u32_e64 s[0:1], v68, v31
	v_cmp_lt_u32_e64 s[2:3], v68, v31
                                        ; implicit-def: $vgpr0_vgpr1
	s_and_saveexec_b64 s[4:5], s[2:3]
	s_cbranch_execz .LBB386_621
; %bb.620:                              ;   in Loop: Header=BB386_608 Depth=1
	v_mov_b32_e32 v69, v55
	v_lshl_add_u64 v[0:1], v[68:69], 3, v[10:11]
	flat_load_dwordx2 v[0:1], v[0:1]
.LBB386_621:                            ;   in Loop: Header=BB386_608 Depth=1
	s_or_b64 exec, exec, s[4:5]
	v_cmp_ge_u32_e64 s[14:15], v70, v96
	v_cmp_lt_u32_e64 s[2:3], v70, v96
                                        ; implicit-def: $vgpr20_vgpr21
	s_and_saveexec_b64 s[4:5], s[2:3]
	s_cbranch_execz .LBB386_623
; %bb.622:                              ;   in Loop: Header=BB386_608 Depth=1
	v_mov_b32_e32 v71, v55
	v_lshl_add_u64 v[2:3], v[70:71], 3, v[10:11]
	flat_load_dwordx2 v[20:21], v[2:3]
.LBB386_623:                            ;   in Loop: Header=BB386_608 Depth=1
	s_or_b64 exec, exec, s[4:5]
	s_or_b64 s[0:1], s[0:1], s[14:15]
	s_xor_b64 s[0:1], s[0:1], -1
	s_and_saveexec_b64 s[16:17], s[0:1]
	s_cbranch_execz .LBB386_631
; %bb.624:                              ;   in Loop: Header=BB386_608 Depth=1
	s_mov_b64 s[0:1], 0
	s_and_saveexec_b64 s[18:19], vcc
	s_cbranch_execz .LBB386_630
; %bb.625:                              ;   in Loop: Header=BB386_608 Depth=1
	s_waitcnt vmcnt(0) lgkmcnt(0)
	v_mad_u64_u32 v[2:3], s[0:1], v66, v0, v[8:9]
	v_mul_lo_u32 v12, v66, v1
	v_mul_lo_u32 v13, v67, v0
	v_add3_u32 v3, v13, v3, v12
	v_mad_u64_u32 v[12:13], s[0:1], v66, v20, v[8:9]
	v_mul_lo_u32 v14, v66, v21
	v_mul_lo_u32 v15, v67, v20
	v_add3_u32 v13, v15, v13, v14
	s_mov_b64 s[20:21], 0
	v_mov_b64_e32 v[14:15], v[6:7]
                                        ; implicit-def: $sgpr22_sgpr23
                                        ; implicit-def: $sgpr24_sgpr25
                                        ; implicit-def: $sgpr26_sgpr27
                                        ; implicit-def: $sgpr2_sgpr3
                                        ; implicit-def: $sgpr28_sgpr29
	s_branch .LBB386_627
.LBB386_626:                            ;   in Loop: Header=BB386_627 Depth=2
	s_or_b64 exec, exec, s[30:31]
	s_and_b64 s[0:1], exec, s[24:25]
	s_or_b64 s[20:21], s[0:1], s[20:21]
	s_andn2_b64 s[0:1], s[28:29], exec
	s_and_b64 s[4:5], s[26:27], exec
	s_or_b64 s[28:29], s[0:1], s[4:5]
	s_andn2_b64 s[0:1], s[22:23], exec
	s_and_b64 s[4:5], s[2:3], exec
	s_or_b64 s[22:23], s[0:1], s[4:5]
	s_andn2_b64 exec, exec, s[20:21]
	s_cbranch_execz .LBB386_629
.LBB386_627:                            ;   Parent Loop BB386_608 Depth=1
                                        ; =>  This Inner Loop Header: Depth=2
	flat_load_dword v16, v[12:13]
	flat_load_dword v17, v[2:3]
	s_andn2_b64 s[30:31], s[2:3], exec
	s_andn2_b64 s[26:27], s[26:27], exec
	s_or_b64 s[24:25], s[24:25], exec
	s_waitcnt vmcnt(0) lgkmcnt(0)
	v_cmp_le_i32_e64 s[2:3], v16, v17
	v_cmp_lt_i32_e64 s[0:1], v16, v17
	s_and_b64 s[2:3], s[2:3], s[28:29]
	s_or_b64 s[34:35], s[0:1], s[2:3]
	s_and_b64 s[0:1], s[34:35], exec
	v_cmp_eq_u32_e64 s[4:5], v16, v17
	s_or_b64 s[2:3], s[30:31], s[0:1]
	s_and_saveexec_b64 s[30:31], s[4:5]
	s_cbranch_execz .LBB386_626
; %bb.628:                              ;   in Loop: Header=BB386_627 Depth=2
	v_lshl_add_u64 v[14:15], v[14:15], 0, -1
	v_cmp_eq_u64_e64 s[0:1], 0, v[14:15]
	s_andn2_b64 s[4:5], s[26:27], exec
	s_and_b64 s[26:27], s[34:35], exec
	s_or_b64 s[26:27], s[4:5], s[26:27]
	s_andn2_b64 s[4:5], s[24:25], exec
	s_and_b64 s[0:1], s[0:1], exec
	v_lshl_add_u64 v[2:3], v[2:3], 0, 4
	v_lshl_add_u64 v[12:13], v[12:13], 0, 4
	s_andn2_b64 s[2:3], s[2:3], exec
	s_or_b64 s[24:25], s[4:5], s[0:1]
                                        ; implicit-def: $sgpr28_sgpr29
	s_branch .LBB386_626
.LBB386_629:                            ;   in Loop: Header=BB386_608 Depth=1
	s_or_b64 exec, exec, s[20:21]
	s_and_b64 s[0:1], s[22:23], exec
.LBB386_630:                            ;   in Loop: Header=BB386_608 Depth=1
	s_or_b64 exec, exec, s[18:19]
	s_xor_b64 s[0:1], s[0:1], -1
	s_andn2_b64 s[2:3], s[14:15], exec
	s_and_b64 s[0:1], s[0:1], exec
	s_or_b64 s[14:15], s[2:3], s[0:1]
.LBB386_631:                            ;   in Loop: Header=BB386_608 Depth=1
	s_or_b64 exec, exec, s[16:17]
	v_cndmask_b32_e64 v2, v70, v68, s[14:15]
	v_cndmask_b32_e64 v3, v96, v31, s[14:15]
	v_add_u32_e32 v12, 1, v2
	v_add_u32_e32 v2, -1, v3
	v_min_u32_e32 v54, v12, v2
	v_lshl_add_u64 v[2:3], v[54:55], 3, v[10:11]
	flat_load_dwordx2 v[2:3], v[2:3]
	v_cndmask_b32_e64 v16, v12, v70, s[14:15]
	s_mov_b64 s[16:17], -1
	v_cndmask_b32_e64 v17, v68, v12, s[14:15]
	v_cmp_lt_u32_e64 s[0:1], v16, v96
	s_mov_b64 s[18:19], -1
	s_waitcnt vmcnt(0) lgkmcnt(0)
	v_cndmask_b32_e64 v22, v3, v21, s[14:15]
	v_cndmask_b32_e64 v68, v2, v20, s[14:15]
	;; [unrolled: 1-line block ×4, first 2 shown]
	s_and_saveexec_b64 s[20:21], s[0:1]
	s_cbranch_execz .LBB386_641
; %bb.632:                              ;   in Loop: Header=BB386_608 Depth=1
	v_cmp_lt_u32_e64 s[0:1], v17, v31
	s_mov_b64 s[2:3], 0
	s_and_saveexec_b64 s[18:19], s[0:1]
	s_cbranch_execz .LBB386_640
; %bb.633:                              ;   in Loop: Header=BB386_608 Depth=1
	s_mov_b64 s[0:1], 0
	s_and_saveexec_b64 s[22:23], vcc
	s_cbranch_execz .LBB386_639
; %bb.634:                              ;   in Loop: Header=BB386_608 Depth=1
	v_mad_u64_u32 v[2:3], s[0:1], v66, v69, v[8:9]
	v_mul_lo_u32 v12, v66, v23
	v_mul_lo_u32 v13, v67, v69
	v_add3_u32 v3, v13, v3, v12
	v_mad_u64_u32 v[12:13], s[0:1], v66, v68, v[8:9]
	v_mul_lo_u32 v14, v66, v22
	v_mul_lo_u32 v15, v67, v68
	v_add3_u32 v13, v15, v13, v14
	s_mov_b64 s[24:25], 0
	v_mov_b64_e32 v[14:15], v[6:7]
                                        ; implicit-def: $sgpr26_sgpr27
                                        ; implicit-def: $sgpr28_sgpr29
                                        ; implicit-def: $sgpr30_sgpr31
                                        ; implicit-def: $sgpr2_sgpr3
                                        ; implicit-def: $sgpr34_sgpr35
	s_branch .LBB386_636
.LBB386_635:                            ;   in Loop: Header=BB386_636 Depth=2
	s_or_b64 exec, exec, s[36:37]
	s_and_b64 s[0:1], exec, s[28:29]
	s_or_b64 s[24:25], s[0:1], s[24:25]
	s_andn2_b64 s[0:1], s[34:35], exec
	s_and_b64 s[4:5], s[30:31], exec
	s_or_b64 s[34:35], s[0:1], s[4:5]
	s_andn2_b64 s[0:1], s[26:27], exec
	s_and_b64 s[4:5], s[2:3], exec
	s_or_b64 s[26:27], s[0:1], s[4:5]
	s_andn2_b64 exec, exec, s[24:25]
	s_cbranch_execz .LBB386_638
.LBB386_636:                            ;   Parent Loop BB386_608 Depth=1
                                        ; =>  This Inner Loop Header: Depth=2
	flat_load_dword v18, v[12:13]
	flat_load_dword v19, v[2:3]
	s_andn2_b64 s[36:37], s[2:3], exec
	s_andn2_b64 s[30:31], s[30:31], exec
	s_or_b64 s[28:29], s[28:29], exec
	s_waitcnt vmcnt(0) lgkmcnt(0)
	v_cmp_le_i32_e64 s[2:3], v18, v19
	v_cmp_lt_i32_e64 s[0:1], v18, v19
	s_and_b64 s[2:3], s[2:3], s[34:35]
	s_or_b64 s[38:39], s[0:1], s[2:3]
	s_and_b64 s[0:1], s[38:39], exec
	v_cmp_eq_u32_e64 s[4:5], v18, v19
	s_or_b64 s[2:3], s[36:37], s[0:1]
	s_and_saveexec_b64 s[36:37], s[4:5]
	s_cbranch_execz .LBB386_635
; %bb.637:                              ;   in Loop: Header=BB386_636 Depth=2
	v_lshl_add_u64 v[14:15], v[14:15], 0, -1
	v_cmp_eq_u64_e64 s[0:1], 0, v[14:15]
	s_andn2_b64 s[4:5], s[30:31], exec
	s_and_b64 s[30:31], s[38:39], exec
	s_or_b64 s[30:31], s[4:5], s[30:31]
	s_andn2_b64 s[4:5], s[28:29], exec
	s_and_b64 s[0:1], s[0:1], exec
	v_lshl_add_u64 v[2:3], v[2:3], 0, 4
	v_lshl_add_u64 v[12:13], v[12:13], 0, 4
	s_andn2_b64 s[2:3], s[2:3], exec
	s_or_b64 s[28:29], s[4:5], s[0:1]
                                        ; implicit-def: $sgpr34_sgpr35
	s_branch .LBB386_635
.LBB386_638:                            ;   in Loop: Header=BB386_608 Depth=1
	s_or_b64 exec, exec, s[24:25]
	s_and_b64 s[0:1], s[26:27], exec
.LBB386_639:                            ;   in Loop: Header=BB386_608 Depth=1
	s_or_b64 exec, exec, s[22:23]
	s_xor_b64 s[0:1], s[0:1], -1
	s_and_b64 s[2:3], s[0:1], exec
.LBB386_640:                            ;   in Loop: Header=BB386_608 Depth=1
	s_or_b64 exec, exec, s[18:19]
	s_orn2_b64 s[18:19], s[2:3], exec
.LBB386_641:                            ;   in Loop: Header=BB386_608 Depth=1
	s_or_b64 exec, exec, s[20:21]
	v_cndmask_b32_e64 v2, v16, v17, s[18:19]
	v_cndmask_b32_e64 v3, v96, v31, s[18:19]
	v_add_u32_e32 v12, 1, v2
	v_add_u32_e32 v2, -1, v3
	v_min_u32_e32 v54, v12, v2
	v_lshl_add_u64 v[2:3], v[54:55], 3, v[10:11]
	flat_load_dwordx2 v[2:3], v[2:3]
	v_cndmask_b32_e64 v16, v12, v16, s[18:19]
	v_cndmask_b32_e64 v17, v17, v12, s[18:19]
	v_cmp_lt_u32_e64 s[0:1], v16, v96
	s_waitcnt vmcnt(0) lgkmcnt(0)
	v_cndmask_b32_e64 v70, v3, v22, s[18:19]
	v_cndmask_b32_e64 v71, v2, v68, s[18:19]
	;; [unrolled: 1-line block ×4, first 2 shown]
	s_and_saveexec_b64 s[20:21], s[0:1]
	s_cbranch_execz .LBB386_651
; %bb.642:                              ;   in Loop: Header=BB386_608 Depth=1
	v_cmp_lt_u32_e64 s[0:1], v17, v31
	s_mov_b64 s[2:3], 0
	s_and_saveexec_b64 s[16:17], s[0:1]
	s_cbranch_execz .LBB386_650
; %bb.643:                              ;   in Loop: Header=BB386_608 Depth=1
	s_mov_b64 s[0:1], 0
	s_and_saveexec_b64 s[22:23], vcc
	s_cbranch_execz .LBB386_649
; %bb.644:                              ;   in Loop: Header=BB386_608 Depth=1
	v_mad_u64_u32 v[2:3], s[0:1], v66, v81, v[8:9]
	v_mul_lo_u32 v12, v66, v80
	v_mul_lo_u32 v13, v67, v81
	v_add3_u32 v3, v13, v3, v12
	v_mad_u64_u32 v[12:13], s[0:1], v66, v71, v[8:9]
	v_mul_lo_u32 v14, v66, v70
	v_mul_lo_u32 v15, v67, v71
	v_add3_u32 v13, v15, v13, v14
	s_mov_b64 s[24:25], 0
	v_mov_b64_e32 v[14:15], v[6:7]
                                        ; implicit-def: $sgpr26_sgpr27
                                        ; implicit-def: $sgpr28_sgpr29
                                        ; implicit-def: $sgpr30_sgpr31
                                        ; implicit-def: $sgpr2_sgpr3
                                        ; implicit-def: $sgpr34_sgpr35
	s_branch .LBB386_646
.LBB386_645:                            ;   in Loop: Header=BB386_646 Depth=2
	s_or_b64 exec, exec, s[36:37]
	s_and_b64 s[0:1], exec, s[28:29]
	s_or_b64 s[24:25], s[0:1], s[24:25]
	s_andn2_b64 s[0:1], s[34:35], exec
	s_and_b64 s[4:5], s[30:31], exec
	s_or_b64 s[34:35], s[0:1], s[4:5]
	s_andn2_b64 s[0:1], s[26:27], exec
	s_and_b64 s[4:5], s[2:3], exec
	s_or_b64 s[26:27], s[0:1], s[4:5]
	s_andn2_b64 exec, exec, s[24:25]
	s_cbranch_execz .LBB386_648
.LBB386_646:                            ;   Parent Loop BB386_608 Depth=1
                                        ; =>  This Inner Loop Header: Depth=2
	flat_load_dword v18, v[12:13]
	flat_load_dword v19, v[2:3]
	s_andn2_b64 s[36:37], s[2:3], exec
	s_andn2_b64 s[30:31], s[30:31], exec
	s_or_b64 s[28:29], s[28:29], exec
	s_waitcnt vmcnt(0) lgkmcnt(0)
	v_cmp_le_i32_e64 s[2:3], v18, v19
	v_cmp_lt_i32_e64 s[0:1], v18, v19
	s_and_b64 s[2:3], s[2:3], s[34:35]
	s_or_b64 s[38:39], s[0:1], s[2:3]
	s_and_b64 s[0:1], s[38:39], exec
	v_cmp_eq_u32_e64 s[4:5], v18, v19
	s_or_b64 s[2:3], s[36:37], s[0:1]
	s_and_saveexec_b64 s[36:37], s[4:5]
	s_cbranch_execz .LBB386_645
; %bb.647:                              ;   in Loop: Header=BB386_646 Depth=2
	v_lshl_add_u64 v[14:15], v[14:15], 0, -1
	v_cmp_eq_u64_e64 s[0:1], 0, v[14:15]
	s_andn2_b64 s[4:5], s[30:31], exec
	s_and_b64 s[30:31], s[38:39], exec
	s_or_b64 s[30:31], s[4:5], s[30:31]
	s_andn2_b64 s[4:5], s[28:29], exec
	s_and_b64 s[0:1], s[0:1], exec
	v_lshl_add_u64 v[2:3], v[2:3], 0, 4
	v_lshl_add_u64 v[12:13], v[12:13], 0, 4
	s_andn2_b64 s[2:3], s[2:3], exec
	s_or_b64 s[28:29], s[4:5], s[0:1]
                                        ; implicit-def: $sgpr34_sgpr35
	s_branch .LBB386_645
.LBB386_648:                            ;   in Loop: Header=BB386_608 Depth=1
	s_or_b64 exec, exec, s[24:25]
	s_and_b64 s[0:1], s[26:27], exec
.LBB386_649:                            ;   in Loop: Header=BB386_608 Depth=1
	s_or_b64 exec, exec, s[22:23]
	s_xor_b64 s[0:1], s[0:1], -1
	s_and_b64 s[2:3], s[0:1], exec
.LBB386_650:                            ;   in Loop: Header=BB386_608 Depth=1
	s_or_b64 exec, exec, s[16:17]
	s_orn2_b64 s[16:17], s[2:3], exec
.LBB386_651:                            ;   in Loop: Header=BB386_608 Depth=1
	s_or_b64 exec, exec, s[20:21]
	v_cndmask_b32_e64 v2, v16, v17, s[16:17]
	v_cndmask_b32_e64 v3, v96, v31, s[16:17]
	v_add_u32_e32 v12, 1, v2
	v_add_u32_e32 v2, -1, v3
	v_min_u32_e32 v54, v12, v2
	v_lshl_add_u64 v[2:3], v[54:55], 3, v[10:11]
	flat_load_dwordx2 v[2:3], v[2:3]
	v_cndmask_b32_e64 v16, v12, v16, s[16:17]
	s_mov_b64 s[20:21], -1
	v_cndmask_b32_e64 v17, v17, v12, s[16:17]
	v_cmp_lt_u32_e64 s[0:1], v16, v96
	s_mov_b64 s[22:23], -1
	s_waitcnt vmcnt(0) lgkmcnt(0)
	v_cndmask_b32_e64 v82, v3, v70, s[16:17]
	v_cndmask_b32_e64 v83, v2, v71, s[16:17]
	;; [unrolled: 1-line block ×4, first 2 shown]
	s_and_saveexec_b64 s[24:25], s[0:1]
	s_cbranch_execz .LBB386_661
; %bb.652:                              ;   in Loop: Header=BB386_608 Depth=1
	v_cmp_lt_u32_e64 s[0:1], v17, v31
	s_mov_b64 s[2:3], 0
	s_and_saveexec_b64 s[22:23], s[0:1]
	s_cbranch_execz .LBB386_660
; %bb.653:                              ;   in Loop: Header=BB386_608 Depth=1
	s_mov_b64 s[0:1], -1
	s_and_saveexec_b64 s[26:27], vcc
	s_cbranch_execz .LBB386_659
; %bb.654:                              ;   in Loop: Header=BB386_608 Depth=1
	v_mad_u64_u32 v[2:3], s[0:1], v66, v85, v[8:9]
	v_mul_lo_u32 v12, v66, v84
	v_mul_lo_u32 v13, v67, v85
	v_add3_u32 v3, v13, v3, v12
	v_mad_u64_u32 v[12:13], s[0:1], v66, v83, v[8:9]
	v_mul_lo_u32 v14, v66, v82
	v_mul_lo_u32 v15, v67, v83
	v_add3_u32 v13, v15, v13, v14
	s_mov_b64 s[28:29], 0
	v_mov_b64_e32 v[14:15], v[6:7]
                                        ; implicit-def: $sgpr30_sgpr31
                                        ; implicit-def: $sgpr34_sgpr35
                                        ; implicit-def: $sgpr2_sgpr3
                                        ; implicit-def: $sgpr36_sgpr37
                                        ; implicit-def: $sgpr38_sgpr39
	s_branch .LBB386_656
.LBB386_655:                            ;   in Loop: Header=BB386_656 Depth=2
	s_or_b64 exec, exec, s[40:41]
	s_and_b64 s[0:1], exec, s[34:35]
	s_or_b64 s[28:29], s[0:1], s[28:29]
	s_andn2_b64 s[0:1], s[38:39], exec
	s_and_b64 s[4:5], s[36:37], exec
	s_or_b64 s[38:39], s[0:1], s[4:5]
	s_andn2_b64 s[0:1], s[30:31], exec
	s_and_b64 s[4:5], s[2:3], exec
	s_or_b64 s[30:31], s[0:1], s[4:5]
	s_andn2_b64 exec, exec, s[28:29]
	s_cbranch_execz .LBB386_658
.LBB386_656:                            ;   Parent Loop BB386_608 Depth=1
                                        ; =>  This Inner Loop Header: Depth=2
	flat_load_dword v18, v[12:13]
	flat_load_dword v19, v[2:3]
	s_andn2_b64 s[40:41], s[2:3], exec
	s_andn2_b64 s[36:37], s[36:37], exec
	s_or_b64 s[34:35], s[34:35], exec
	s_waitcnt vmcnt(0) lgkmcnt(0)
	v_cmp_le_i32_e64 s[2:3], v18, v19
	v_cmp_lt_i32_e64 s[0:1], v18, v19
	s_and_b64 s[2:3], s[2:3], s[38:39]
	s_or_b64 s[42:43], s[0:1], s[2:3]
	s_and_b64 s[0:1], s[42:43], exec
	v_cmp_eq_u32_e64 s[4:5], v18, v19
	s_or_b64 s[2:3], s[40:41], s[0:1]
	s_and_saveexec_b64 s[40:41], s[4:5]
	s_cbranch_execz .LBB386_655
; %bb.657:                              ;   in Loop: Header=BB386_656 Depth=2
	v_lshl_add_u64 v[14:15], v[14:15], 0, -1
	v_cmp_eq_u64_e64 s[0:1], 0, v[14:15]
	s_andn2_b64 s[4:5], s[36:37], exec
	s_and_b64 s[36:37], s[42:43], exec
	s_or_b64 s[36:37], s[4:5], s[36:37]
	s_andn2_b64 s[4:5], s[34:35], exec
	s_and_b64 s[0:1], s[0:1], exec
	v_lshl_add_u64 v[2:3], v[2:3], 0, 4
	v_lshl_add_u64 v[12:13], v[12:13], 0, 4
	s_andn2_b64 s[2:3], s[2:3], exec
	s_or_b64 s[34:35], s[4:5], s[0:1]
                                        ; implicit-def: $sgpr38_sgpr39
	s_branch .LBB386_655
.LBB386_658:                            ;   in Loop: Header=BB386_608 Depth=1
	s_or_b64 exec, exec, s[28:29]
	s_xor_b64 s[0:1], s[30:31], -1
	s_orn2_b64 s[0:1], s[0:1], exec
.LBB386_659:                            ;   in Loop: Header=BB386_608 Depth=1
	s_or_b64 exec, exec, s[26:27]
	s_and_b64 s[2:3], s[0:1], exec
.LBB386_660:                            ;   in Loop: Header=BB386_608 Depth=1
	s_or_b64 exec, exec, s[22:23]
	s_orn2_b64 s[22:23], s[2:3], exec
.LBB386_661:                            ;   in Loop: Header=BB386_608 Depth=1
	s_or_b64 exec, exec, s[24:25]
	v_cndmask_b32_e64 v2, v16, v17, s[22:23]
	v_cndmask_b32_e64 v3, v96, v31, s[22:23]
	v_add_u32_e32 v12, 1, v2
	v_add_u32_e32 v2, -1, v3
	v_min_u32_e32 v54, v12, v2
	v_lshl_add_u64 v[2:3], v[54:55], 3, v[10:11]
	flat_load_dwordx2 v[2:3], v[2:3]
	v_cndmask_b32_e64 v16, v12, v16, s[22:23]
	v_cndmask_b32_e64 v17, v17, v12, s[22:23]
	v_cmp_lt_u32_e64 s[0:1], v16, v96
	s_waitcnt vmcnt(0) lgkmcnt(0)
	v_cndmask_b32_e64 v86, v3, v82, s[22:23]
	v_cndmask_b32_e64 v87, v2, v83, s[22:23]
	;; [unrolled: 1-line block ×4, first 2 shown]
	s_and_saveexec_b64 s[24:25], s[0:1]
	s_cbranch_execz .LBB386_671
; %bb.662:                              ;   in Loop: Header=BB386_608 Depth=1
	v_cmp_lt_u32_e64 s[0:1], v17, v31
	s_mov_b64 s[2:3], 0
	s_and_saveexec_b64 s[20:21], s[0:1]
	s_cbranch_execz .LBB386_670
; %bb.663:                              ;   in Loop: Header=BB386_608 Depth=1
	s_mov_b64 s[0:1], -1
	s_and_saveexec_b64 s[26:27], vcc
	s_cbranch_execz .LBB386_669
; %bb.664:                              ;   in Loop: Header=BB386_608 Depth=1
	v_mad_u64_u32 v[2:3], s[0:1], v66, v98, v[8:9]
	v_mul_lo_u32 v12, v66, v97
	v_mul_lo_u32 v13, v67, v98
	v_add3_u32 v3, v13, v3, v12
	v_mad_u64_u32 v[12:13], s[0:1], v66, v87, v[8:9]
	v_mul_lo_u32 v14, v66, v86
	v_mul_lo_u32 v15, v67, v87
	v_add3_u32 v13, v15, v13, v14
	s_mov_b64 s[28:29], 0
	v_mov_b64_e32 v[14:15], v[6:7]
                                        ; implicit-def: $sgpr30_sgpr31
                                        ; implicit-def: $sgpr34_sgpr35
                                        ; implicit-def: $sgpr2_sgpr3
                                        ; implicit-def: $sgpr36_sgpr37
                                        ; implicit-def: $sgpr38_sgpr39
	s_branch .LBB386_666
.LBB386_665:                            ;   in Loop: Header=BB386_666 Depth=2
	s_or_b64 exec, exec, s[40:41]
	s_and_b64 s[0:1], exec, s[34:35]
	s_or_b64 s[28:29], s[0:1], s[28:29]
	s_andn2_b64 s[0:1], s[38:39], exec
	s_and_b64 s[4:5], s[36:37], exec
	s_or_b64 s[38:39], s[0:1], s[4:5]
	s_andn2_b64 s[0:1], s[30:31], exec
	s_and_b64 s[4:5], s[2:3], exec
	s_or_b64 s[30:31], s[0:1], s[4:5]
	s_andn2_b64 exec, exec, s[28:29]
	s_cbranch_execz .LBB386_668
.LBB386_666:                            ;   Parent Loop BB386_608 Depth=1
                                        ; =>  This Inner Loop Header: Depth=2
	flat_load_dword v18, v[12:13]
	flat_load_dword v19, v[2:3]
	s_andn2_b64 s[40:41], s[2:3], exec
	s_andn2_b64 s[36:37], s[36:37], exec
	s_or_b64 s[34:35], s[34:35], exec
	s_waitcnt vmcnt(0) lgkmcnt(0)
	v_cmp_le_i32_e64 s[2:3], v18, v19
	v_cmp_lt_i32_e64 s[0:1], v18, v19
	s_and_b64 s[2:3], s[2:3], s[38:39]
	s_or_b64 s[42:43], s[0:1], s[2:3]
	s_and_b64 s[0:1], s[42:43], exec
	v_cmp_eq_u32_e64 s[4:5], v18, v19
	s_or_b64 s[2:3], s[40:41], s[0:1]
	s_and_saveexec_b64 s[40:41], s[4:5]
	s_cbranch_execz .LBB386_665
; %bb.667:                              ;   in Loop: Header=BB386_666 Depth=2
	v_lshl_add_u64 v[14:15], v[14:15], 0, -1
	v_cmp_eq_u64_e64 s[0:1], 0, v[14:15]
	s_andn2_b64 s[4:5], s[36:37], exec
	s_and_b64 s[36:37], s[42:43], exec
	s_or_b64 s[36:37], s[4:5], s[36:37]
	s_andn2_b64 s[4:5], s[34:35], exec
	s_and_b64 s[0:1], s[0:1], exec
	v_lshl_add_u64 v[2:3], v[2:3], 0, 4
	v_lshl_add_u64 v[12:13], v[12:13], 0, 4
	s_andn2_b64 s[2:3], s[2:3], exec
	s_or_b64 s[34:35], s[4:5], s[0:1]
                                        ; implicit-def: $sgpr38_sgpr39
	s_branch .LBB386_665
.LBB386_668:                            ;   in Loop: Header=BB386_608 Depth=1
	s_or_b64 exec, exec, s[28:29]
	s_xor_b64 s[0:1], s[30:31], -1
	s_orn2_b64 s[0:1], s[0:1], exec
.LBB386_669:                            ;   in Loop: Header=BB386_608 Depth=1
	s_or_b64 exec, exec, s[26:27]
	s_and_b64 s[2:3], s[0:1], exec
.LBB386_670:                            ;   in Loop: Header=BB386_608 Depth=1
	s_or_b64 exec, exec, s[20:21]
	s_orn2_b64 s[20:21], s[2:3], exec
.LBB386_671:                            ;   in Loop: Header=BB386_608 Depth=1
	s_or_b64 exec, exec, s[24:25]
	v_cndmask_b32_e64 v2, v16, v17, s[20:21]
	v_cndmask_b32_e64 v3, v96, v31, s[20:21]
	v_add_u32_e32 v12, 1, v2
	v_add_u32_e32 v2, -1, v3
	v_min_u32_e32 v54, v12, v2
	v_lshl_add_u64 v[2:3], v[54:55], 3, v[10:11]
	flat_load_dwordx2 v[2:3], v[2:3]
	v_cndmask_b32_e64 v16, v12, v16, s[20:21]
	s_mov_b64 s[24:25], -1
	v_cndmask_b32_e64 v17, v17, v12, s[20:21]
	v_cmp_lt_u32_e64 s[0:1], v16, v96
	s_mov_b64 s[26:27], -1
	s_waitcnt vmcnt(0) lgkmcnt(0)
	v_cndmask_b32_e64 v99, v3, v86, s[20:21]
	v_cndmask_b32_e64 v100, v2, v87, s[20:21]
	v_cndmask_b32_e64 v101, v97, v3, s[20:21]
	v_cndmask_b32_e64 v102, v98, v2, s[20:21]
	s_and_saveexec_b64 s[28:29], s[0:1]
	s_cbranch_execz .LBB386_681
; %bb.672:                              ;   in Loop: Header=BB386_608 Depth=1
	v_cmp_lt_u32_e64 s[0:1], v17, v31
	s_mov_b64 s[2:3], 0
	s_and_saveexec_b64 s[26:27], s[0:1]
	s_cbranch_execz .LBB386_680
; %bb.673:                              ;   in Loop: Header=BB386_608 Depth=1
	s_mov_b64 s[0:1], -1
	s_and_saveexec_b64 s[30:31], vcc
	s_cbranch_execz .LBB386_679
; %bb.674:                              ;   in Loop: Header=BB386_608 Depth=1
	v_mad_u64_u32 v[2:3], s[0:1], v66, v102, v[8:9]
	v_mul_lo_u32 v12, v66, v101
	v_mul_lo_u32 v13, v67, v102
	v_add3_u32 v3, v13, v3, v12
	v_mad_u64_u32 v[12:13], s[0:1], v66, v100, v[8:9]
	v_mul_lo_u32 v14, v66, v99
	v_mul_lo_u32 v15, v67, v100
	v_add3_u32 v13, v15, v13, v14
	s_mov_b64 s[34:35], 0
	v_mov_b64_e32 v[14:15], v[6:7]
                                        ; implicit-def: $sgpr36_sgpr37
                                        ; implicit-def: $sgpr38_sgpr39
                                        ; implicit-def: $sgpr2_sgpr3
                                        ; implicit-def: $sgpr40_sgpr41
                                        ; implicit-def: $sgpr42_sgpr43
	s_branch .LBB386_676
.LBB386_675:                            ;   in Loop: Header=BB386_676 Depth=2
	s_or_b64 exec, exec, s[44:45]
	s_and_b64 s[0:1], exec, s[38:39]
	s_or_b64 s[34:35], s[0:1], s[34:35]
	s_andn2_b64 s[0:1], s[42:43], exec
	s_and_b64 s[4:5], s[40:41], exec
	s_or_b64 s[42:43], s[0:1], s[4:5]
	s_andn2_b64 s[0:1], s[36:37], exec
	s_and_b64 s[4:5], s[2:3], exec
	s_or_b64 s[36:37], s[0:1], s[4:5]
	s_andn2_b64 exec, exec, s[34:35]
	s_cbranch_execz .LBB386_678
.LBB386_676:                            ;   Parent Loop BB386_608 Depth=1
                                        ; =>  This Inner Loop Header: Depth=2
	flat_load_dword v18, v[12:13]
	flat_load_dword v19, v[2:3]
	s_andn2_b64 s[44:45], s[2:3], exec
	s_andn2_b64 s[40:41], s[40:41], exec
	s_or_b64 s[38:39], s[38:39], exec
	s_waitcnt vmcnt(0) lgkmcnt(0)
	v_cmp_le_i32_e64 s[2:3], v18, v19
	v_cmp_lt_i32_e64 s[0:1], v18, v19
	s_and_b64 s[2:3], s[2:3], s[42:43]
	s_or_b64 s[46:47], s[0:1], s[2:3]
	s_and_b64 s[0:1], s[46:47], exec
	v_cmp_eq_u32_e64 s[4:5], v18, v19
	s_or_b64 s[2:3], s[44:45], s[0:1]
	s_and_saveexec_b64 s[44:45], s[4:5]
	s_cbranch_execz .LBB386_675
; %bb.677:                              ;   in Loop: Header=BB386_676 Depth=2
	v_lshl_add_u64 v[14:15], v[14:15], 0, -1
	v_cmp_eq_u64_e64 s[0:1], 0, v[14:15]
	s_andn2_b64 s[4:5], s[40:41], exec
	s_and_b64 s[40:41], s[46:47], exec
	s_or_b64 s[40:41], s[4:5], s[40:41]
	s_andn2_b64 s[4:5], s[38:39], exec
	s_and_b64 s[0:1], s[0:1], exec
	v_lshl_add_u64 v[2:3], v[2:3], 0, 4
	v_lshl_add_u64 v[12:13], v[12:13], 0, 4
	s_andn2_b64 s[2:3], s[2:3], exec
	s_or_b64 s[38:39], s[4:5], s[0:1]
                                        ; implicit-def: $sgpr42_sgpr43
	s_branch .LBB386_675
.LBB386_678:                            ;   in Loop: Header=BB386_608 Depth=1
	s_or_b64 exec, exec, s[34:35]
	s_xor_b64 s[0:1], s[36:37], -1
	s_orn2_b64 s[0:1], s[0:1], exec
.LBB386_679:                            ;   in Loop: Header=BB386_608 Depth=1
	s_or_b64 exec, exec, s[30:31]
	s_and_b64 s[2:3], s[0:1], exec
.LBB386_680:                            ;   in Loop: Header=BB386_608 Depth=1
	s_or_b64 exec, exec, s[26:27]
	s_orn2_b64 s[26:27], s[2:3], exec
.LBB386_681:                            ;   in Loop: Header=BB386_608 Depth=1
	s_or_b64 exec, exec, s[28:29]
	v_cndmask_b32_e64 v2, v16, v17, s[26:27]
	v_cndmask_b32_e64 v3, v96, v31, s[26:27]
	v_add_u32_e32 v12, 1, v2
	v_add_u32_e32 v2, -1, v3
	v_min_u32_e32 v54, v12, v2
	v_lshl_add_u64 v[2:3], v[54:55], 3, v[10:11]
	flat_load_dwordx2 v[2:3], v[2:3]
	v_cndmask_b32_e64 v18, v12, v16, s[26:27]
	v_cndmask_b32_e64 v16, v17, v12, s[26:27]
	v_cmp_lt_u32_e64 s[0:1], v18, v96
	s_waitcnt vmcnt(0) lgkmcnt(0)
	v_cndmask_b32_e64 v103, v3, v99, s[26:27]
	v_cndmask_b32_e64 v112, v2, v100, s[26:27]
	;; [unrolled: 1-line block ×4, first 2 shown]
	s_and_saveexec_b64 s[28:29], s[0:1]
	s_cbranch_execz .LBB386_691
; %bb.682:                              ;   in Loop: Header=BB386_608 Depth=1
	v_cmp_lt_u32_e64 s[0:1], v16, v31
	s_mov_b64 s[2:3], 0
	s_and_saveexec_b64 s[24:25], s[0:1]
	s_cbranch_execz .LBB386_690
; %bb.683:                              ;   in Loop: Header=BB386_608 Depth=1
	s_mov_b64 s[0:1], -1
	s_and_saveexec_b64 s[30:31], vcc
	s_cbranch_execz .LBB386_689
; %bb.684:                              ;   in Loop: Header=BB386_608 Depth=1
	v_mad_u64_u32 v[2:3], s[0:1], v66, v114, v[8:9]
	v_mul_lo_u32 v12, v66, v113
	v_mul_lo_u32 v13, v67, v114
	v_add3_u32 v3, v13, v3, v12
	v_mad_u64_u32 v[12:13], s[0:1], v66, v112, v[8:9]
	v_mul_lo_u32 v14, v66, v103
	v_mul_lo_u32 v15, v67, v112
	v_add3_u32 v13, v15, v13, v14
	s_mov_b64 s[34:35], 0
	v_mov_b64_e32 v[14:15], v[6:7]
                                        ; implicit-def: $sgpr36_sgpr37
                                        ; implicit-def: $sgpr38_sgpr39
                                        ; implicit-def: $sgpr2_sgpr3
                                        ; implicit-def: $sgpr40_sgpr41
                                        ; implicit-def: $sgpr42_sgpr43
	s_branch .LBB386_686
.LBB386_685:                            ;   in Loop: Header=BB386_686 Depth=2
	s_or_b64 exec, exec, s[44:45]
	s_and_b64 s[0:1], exec, s[38:39]
	s_or_b64 s[34:35], s[0:1], s[34:35]
	s_andn2_b64 s[0:1], s[42:43], exec
	s_and_b64 s[4:5], s[40:41], exec
	s_or_b64 s[42:43], s[0:1], s[4:5]
	s_andn2_b64 s[0:1], s[36:37], exec
	s_and_b64 s[4:5], s[2:3], exec
	s_or_b64 s[36:37], s[0:1], s[4:5]
	s_andn2_b64 exec, exec, s[34:35]
	s_cbranch_execz .LBB386_688
.LBB386_686:                            ;   Parent Loop BB386_608 Depth=1
                                        ; =>  This Inner Loop Header: Depth=2
	flat_load_dword v17, v[12:13]
	flat_load_dword v19, v[2:3]
	s_andn2_b64 s[44:45], s[2:3], exec
	s_andn2_b64 s[40:41], s[40:41], exec
	s_or_b64 s[38:39], s[38:39], exec
	s_waitcnt vmcnt(0) lgkmcnt(0)
	v_cmp_le_i32_e64 s[2:3], v17, v19
	v_cmp_lt_i32_e64 s[0:1], v17, v19
	s_and_b64 s[2:3], s[2:3], s[42:43]
	s_or_b64 s[46:47], s[0:1], s[2:3]
	s_and_b64 s[0:1], s[46:47], exec
	v_cmp_eq_u32_e64 s[4:5], v17, v19
	s_or_b64 s[2:3], s[44:45], s[0:1]
	s_and_saveexec_b64 s[44:45], s[4:5]
	s_cbranch_execz .LBB386_685
; %bb.687:                              ;   in Loop: Header=BB386_686 Depth=2
	v_lshl_add_u64 v[14:15], v[14:15], 0, -1
	v_cmp_eq_u64_e64 s[0:1], 0, v[14:15]
	s_andn2_b64 s[4:5], s[40:41], exec
	s_and_b64 s[40:41], s[46:47], exec
	s_or_b64 s[40:41], s[4:5], s[40:41]
	s_andn2_b64 s[4:5], s[38:39], exec
	s_and_b64 s[0:1], s[0:1], exec
	v_lshl_add_u64 v[2:3], v[2:3], 0, 4
	v_lshl_add_u64 v[12:13], v[12:13], 0, 4
	s_andn2_b64 s[2:3], s[2:3], exec
	s_or_b64 s[38:39], s[4:5], s[0:1]
                                        ; implicit-def: $sgpr42_sgpr43
	s_branch .LBB386_685
.LBB386_688:                            ;   in Loop: Header=BB386_608 Depth=1
	s_or_b64 exec, exec, s[34:35]
	s_xor_b64 s[0:1], s[36:37], -1
	s_orn2_b64 s[0:1], s[0:1], exec
.LBB386_689:                            ;   in Loop: Header=BB386_608 Depth=1
	s_or_b64 exec, exec, s[30:31]
	s_and_b64 s[2:3], s[0:1], exec
.LBB386_690:                            ;   in Loop: Header=BB386_608 Depth=1
	s_or_b64 exec, exec, s[24:25]
	s_orn2_b64 s[24:25], s[2:3], exec
.LBB386_691:                            ;   in Loop: Header=BB386_608 Depth=1
	s_or_b64 exec, exec, s[28:29]
	v_cndmask_b32_e64 v2, v18, v16, s[24:25]
	v_cndmask_b32_e64 v3, v96, v31, s[24:25]
	v_add_u32_e32 v14, 1, v2
	v_add_u32_e32 v2, -1, v3
	v_min_u32_e32 v54, v14, v2
	v_lshl_add_u64 v[2:3], v[54:55], 3, v[10:11]
	flat_load_dwordx2 v[12:13], v[2:3]
	v_cndmask_b32_e64 v15, v14, v18, s[24:25]
	v_cmp_lt_u32_e64 s[0:1], v15, v96
	s_waitcnt vmcnt(0) lgkmcnt(0)
	v_cndmask_b32_e64 v3, v113, v13, s[24:25]
	v_cndmask_b32_e64 v2, v114, v12, s[24:25]
	s_and_saveexec_b64 s[28:29], s[0:1]
	s_cbranch_execz .LBB386_701
; %bb.692:                              ;   in Loop: Header=BB386_608 Depth=1
	v_cndmask_b32_e64 v14, v16, v14, s[24:25]
	v_cndmask_b32_e64 v13, v13, v103, s[24:25]
	;; [unrolled: 1-line block ×3, first 2 shown]
	v_cmp_lt_u32_e64 s[0:1], v14, v31
	s_and_saveexec_b64 s[30:31], s[0:1]
	s_cbranch_execz .LBB386_700
; %bb.693:                              ;   in Loop: Header=BB386_608 Depth=1
	s_and_saveexec_b64 s[34:35], vcc
	s_cbranch_execz .LBB386_699
; %bb.694:                              ;   in Loop: Header=BB386_608 Depth=1
	v_mad_u64_u32 v[14:15], s[0:1], v66, v2, v[8:9]
	v_mul_lo_u32 v16, v66, v3
	v_mul_lo_u32 v17, v67, v2
	v_add3_u32 v15, v17, v15, v16
	v_mad_u64_u32 v[16:17], s[0:1], v66, v12, v[8:9]
	v_mul_lo_u32 v18, v66, v13
	v_mul_lo_u32 v19, v67, v12
	v_add3_u32 v17, v19, v17, v18
	s_mov_b64 s[36:37], 0
	v_mov_b64_e32 v[18:19], v[6:7]
                                        ; implicit-def: $sgpr38_sgpr39
                                        ; implicit-def: $sgpr40_sgpr41
                                        ; implicit-def: $sgpr2_sgpr3
                                        ; implicit-def: $sgpr42_sgpr43
                                        ; implicit-def: $sgpr44_sgpr45
	s_branch .LBB386_696
.LBB386_695:                            ;   in Loop: Header=BB386_696 Depth=2
	s_or_b64 exec, exec, s[46:47]
	s_and_b64 s[0:1], exec, s[40:41]
	s_or_b64 s[36:37], s[0:1], s[36:37]
	s_andn2_b64 s[0:1], s[44:45], exec
	s_and_b64 s[4:5], s[42:43], exec
	s_or_b64 s[44:45], s[0:1], s[4:5]
	s_andn2_b64 s[0:1], s[38:39], exec
	s_and_b64 s[4:5], s[2:3], exec
	s_or_b64 s[38:39], s[0:1], s[4:5]
	s_andn2_b64 exec, exec, s[36:37]
	s_cbranch_execz .LBB386_698
.LBB386_696:                            ;   Parent Loop BB386_608 Depth=1
                                        ; =>  This Inner Loop Header: Depth=2
	flat_load_dword v31, v[16:17]
	flat_load_dword v54, v[14:15]
	s_andn2_b64 s[46:47], s[2:3], exec
	s_andn2_b64 s[42:43], s[42:43], exec
	s_or_b64 s[40:41], s[40:41], exec
	s_waitcnt vmcnt(0) lgkmcnt(0)
	v_cmp_le_i32_e64 s[2:3], v31, v54
	v_cmp_lt_i32_e64 s[0:1], v31, v54
	s_and_b64 s[2:3], s[2:3], s[44:45]
	s_or_b64 s[48:49], s[0:1], s[2:3]
	s_and_b64 s[0:1], s[48:49], exec
	v_cmp_eq_u32_e64 s[4:5], v31, v54
	s_or_b64 s[2:3], s[46:47], s[0:1]
	s_and_saveexec_b64 s[46:47], s[4:5]
	s_cbranch_execz .LBB386_695
; %bb.697:                              ;   in Loop: Header=BB386_696 Depth=2
	v_lshl_add_u64 v[18:19], v[18:19], 0, -1
	v_cmp_eq_u64_e64 s[0:1], 0, v[18:19]
	s_andn2_b64 s[4:5], s[42:43], exec
	s_and_b64 s[42:43], s[48:49], exec
	s_or_b64 s[42:43], s[4:5], s[42:43]
	s_andn2_b64 s[4:5], s[40:41], exec
	s_and_b64 s[0:1], s[0:1], exec
	v_lshl_add_u64 v[14:15], v[14:15], 0, 4
	v_lshl_add_u64 v[16:17], v[16:17], 0, 4
	s_andn2_b64 s[2:3], s[2:3], exec
	s_or_b64 s[40:41], s[4:5], s[0:1]
                                        ; implicit-def: $sgpr44_sgpr45
	s_branch .LBB386_695
.LBB386_698:                            ;   in Loop: Header=BB386_608 Depth=1
	s_or_b64 exec, exec, s[36:37]
	v_cndmask_b32_e64 v3, v3, v13, s[38:39]
	v_cndmask_b32_e64 v2, v2, v12, s[38:39]
.LBB386_699:                            ;   in Loop: Header=BB386_608 Depth=1
	s_or_b64 exec, exec, s[34:35]
	v_mov_b64_e32 v[12:13], v[2:3]
.LBB386_700:                            ;   in Loop: Header=BB386_608 Depth=1
	s_or_b64 exec, exec, s[30:31]
	v_mov_b64_e32 v[2:3], v[12:13]
.LBB386_701:                            ;   in Loop: Header=BB386_608 Depth=1
	s_or_b64 exec, exec, s[28:29]
	v_cndmask_b32_e64 v15, v99, v101, s[26:27]
	v_cndmask_b32_e64 v14, v100, v102, s[26:27]
	;; [unrolled: 1-line block ×14, first 2 shown]
.LBB386_702:                            ;   in Loop: Header=BB386_608 Depth=1
	s_or_b64 exec, exec, s[10:11]
	s_cmpk_lt_u32 s50, 0x400
	s_barrier
	s_cbranch_scc0 .LBB386_704
; %bb.703:                              ;   in Loop: Header=BB386_608 Depth=1
	s_mov_b32 s50, s51
	s_branch .LBB386_608
.LBB386_704:
	s_barrier
	flat_store_dwordx4 v[52:53], v[20:23]
	flat_store_dwordx4 v[52:53], v[16:19] offset:16
	flat_store_dwordx4 v[52:53], v[12:15] offset:32
	;; [unrolled: 1-line block ×3, first 2 shown]
	s_waitcnt lgkmcnt(0)
	s_barrier
	flat_load_dwordx2 v[0:1], v[24:25]
	flat_load_dwordx2 v[2:3], v[26:27] offset:2048
	flat_load_dwordx2 v[6:7], v[34:35]
	flat_load_dwordx2 v[8:9], v[32:33]
	flat_load_dwordx2 v[10:11], v[38:39]
	flat_load_dwordx2 v[14:15], v[36:37]
	flat_load_dwordx2 v[16:17], v[50:51]
	flat_load_dwordx2 v[12:13], v[48:49]
	v_mov_b32_e32 v31, 0
	s_movk_i32 s0, 0x1000
	v_lshl_add_u64 v[18:19], v[4:5], 0, v[30:31]
	v_add_co_u32_e32 v20, vcc, s0, v18
	s_mov_b64 s[38:39], exec
	s_nop 0
	v_addc_co_u32_e32 v21, vcc, 0, v19, vcc
	v_add_co_u32_e32 v22, vcc, 0x2000, v18
                                        ; implicit-def: $vgpr64
                                        ; implicit-def: $vgpr65
                                        ; implicit-def: $vgpr30
                                        ; implicit-def: $vgpr32
	s_nop 1
	v_addc_co_u32_e32 v23, vcc, 0, v19, vcc
	v_add_co_u32_e32 v24, vcc, 0x3000, v18
	s_nop 1
	v_addc_co_u32_e32 v25, vcc, 0, v19, vcc
	s_waitcnt vmcnt(0) lgkmcnt(0)
	flat_store_dwordx2 v[18:19], v[0:1]
	flat_store_dwordx2 v[18:19], v[2:3] offset:2048
	flat_store_dwordx2 v[20:21], v[6:7]
	flat_store_dwordx2 v[20:21], v[8:9] offset:2048
	;; [unrolled: 2-line block ×3, first 2 shown]
	flat_store_dwordx2 v[24:25], v[16:17]
                                        ; implicit-def: $vgpr0
                                        ; implicit-def: $vgpr6_vgpr7
                                        ; implicit-def: $vgpr2_vgpr3
                                        ; implicit-def: $vgpr8_vgpr9
                                        ; implicit-def: $vgpr10_vgpr11
                                        ; implicit-def: $vgpr1
	s_andn2_saveexec_b64 s[40:41], s[6:7]
	s_cbranch_execz .LBB386_2
.LBB386_705:
	v_cmp_lt_u32_e32 vcc, v28, v0
                                        ; implicit-def: $vgpr12_vgpr13
	s_and_saveexec_b64 s[0:1], vcc
	s_cbranch_execz .LBB386_707
; %bb.706:
	v_mov_b32_e32 v31, 0
	v_lshl_add_u64 v[12:13], v[2:3], 0, v[30:31]
	flat_load_dwordx2 v[12:13], v[12:13]
.LBB386_707:
	s_or_b64 exec, exec, s[0:1]
	v_add_u32_e32 v33, 0x100, v28
	v_cmp_lt_u32_e64 s[0:1], v33, v0
                                        ; implicit-def: $vgpr14_vgpr15
	s_and_saveexec_b64 s[2:3], s[0:1]
	s_cbranch_execz .LBB386_709
; %bb.708:
	v_mov_b32_e32 v31, 0
	v_lshl_add_u64 v[14:15], v[2:3], 0, v[30:31]
	flat_load_dwordx2 v[14:15], v[14:15] offset:2048
.LBB386_709:
	s_or_b64 exec, exec, s[2:3]
	v_add_u32_e32 v31, 0x200, v28
	v_cmp_lt_u32_e64 s[2:3], v31, v0
                                        ; implicit-def: $vgpr16_vgpr17
	s_and_saveexec_b64 s[4:5], s[2:3]
	s_cbranch_execz .LBB386_711
; %bb.710:
	v_lshlrev_b32_e32 v16, 3, v31
	v_mov_b32_e32 v17, 0
	v_lshl_add_u64 v[16:17], v[2:3], 0, v[16:17]
	flat_load_dwordx2 v[16:17], v[16:17]
.LBB386_711:
	s_or_b64 exec, exec, s[4:5]
	v_add_u32_e32 v36, 0x300, v28
	v_cmp_lt_u32_e64 s[4:5], v36, v0
                                        ; implicit-def: $vgpr18_vgpr19
	s_and_saveexec_b64 s[6:7], s[4:5]
	s_cbranch_execz .LBB386_713
; %bb.712:
	v_lshlrev_b32_e32 v18, 3, v36
	v_mov_b32_e32 v19, 0
	v_lshl_add_u64 v[18:19], v[2:3], 0, v[18:19]
	flat_load_dwordx2 v[18:19], v[18:19]
.LBB386_713:
	s_or_b64 exec, exec, s[6:7]
	v_or_b32_e32 v38, 0x400, v28
	v_cmp_lt_u32_e64 s[6:7], v38, v0
                                        ; implicit-def: $vgpr20_vgpr21
	s_and_saveexec_b64 s[10:11], s[6:7]
	s_cbranch_execz .LBB386_715
; %bb.714:
	v_lshlrev_b32_e32 v20, 3, v38
	v_mov_b32_e32 v21, 0
	v_lshl_add_u64 v[20:21], v[2:3], 0, v[20:21]
	flat_load_dwordx2 v[20:21], v[20:21]
.LBB386_715:
	s_or_b64 exec, exec, s[10:11]
	v_add_u32_e32 v48, 0x500, v28
	v_cmp_lt_u32_e64 s[30:31], v48, v0
                                        ; implicit-def: $vgpr22_vgpr23
	s_and_saveexec_b64 s[10:11], s[30:31]
	s_cbranch_execz .LBB386_717
; %bb.716:
	v_lshlrev_b32_e32 v22, 3, v48
	v_mov_b32_e32 v23, 0
	v_lshl_add_u64 v[22:23], v[2:3], 0, v[22:23]
	flat_load_dwordx2 v[22:23], v[22:23]
.LBB386_717:
	s_or_b64 exec, exec, s[10:11]
	v_add_u32_e32 v50, 0x600, v28
	v_cmp_lt_u32_e64 s[10:11], v50, v0
                                        ; implicit-def: $vgpr24_vgpr25
	s_and_saveexec_b64 s[14:15], s[10:11]
	s_cbranch_execz .LBB386_719
; %bb.718:
	v_lshlrev_b32_e32 v24, 3, v50
	v_mov_b32_e32 v25, 0
	v_lshl_add_u64 v[24:25], v[2:3], 0, v[24:25]
	flat_load_dwordx2 v[24:25], v[24:25]
.LBB386_719:
	s_or_b64 exec, exec, s[14:15]
	v_add_u32_e32 v52, 0x700, v28
	v_cmp_lt_u32_e64 s[14:15], v52, v0
                                        ; implicit-def: $vgpr26_vgpr27
	s_and_saveexec_b64 s[16:17], s[14:15]
	s_cbranch_execz .LBB386_721
; %bb.720:
	v_lshlrev_b32_e32 v26, 3, v52
	v_mov_b32_e32 v27, 0
	v_lshl_add_u64 v[2:3], v[2:3], 0, v[26:27]
	flat_load_dwordx2 v[26:27], v[2:3]
.LBB386_721:
	s_or_b64 exec, exec, s[16:17]
	v_mov_b32_e32 v29, 0
	v_add_lshl_u32 v2, v32, v28, 3
	v_mov_b32_e32 v3, v29
	v_lshl_add_u64 v[2:3], v[10:11], 0, v[2:3]
	s_waitcnt vmcnt(0) lgkmcnt(0)
	flat_store_dwordx2 v[2:3], v[12:13]
	v_lshrrev_b32_e32 v12, 5, v33
	v_add_lshl_u32 v12, v12, v28, 3
	v_mov_b32_e32 v13, v29
	v_lshl_add_u64 v[32:33], v[10:11], 0, v[12:13]
	v_lshrrev_b32_e32 v12, 5, v31
	v_add_lshl_u32 v12, v12, v31, 3
	v_lshl_add_u64 v[34:35], v[10:11], 0, v[12:13]
	v_lshrrev_b32_e32 v12, 5, v36
	v_add_lshl_u32 v12, v12, v36, 3
	;; [unrolled: 3-line block ×6, first 2 shown]
	v_lshl_add_u64 v[52:53], v[10:11], 0, v[12:13]
	v_add_lshl_u32 v12, v1, v30, 3
	v_lshl_add_u64 v[54:55], v[10:11], 0, v[12:13]
	flat_store_dwordx2 v[32:33], v[14:15] offset:2048
	flat_store_dwordx2 v[34:35], v[16:17]
	flat_store_dwordx2 v[36:37], v[18:19]
	;; [unrolled: 1-line block ×6, first 2 shown]
	s_waitcnt lgkmcnt(0)
	s_barrier
	flat_load_dwordx4 v[24:27], v[54:55]
	flat_load_dwordx4 v[20:23], v[54:55] offset:16
	flat_load_dwordx4 v[16:19], v[54:55] offset:32
	;; [unrolled: 1-line block ×3, first 2 shown]
	s_waitcnt lgkmcnt(0)
	s_barrier
	s_load_dwordx2 s[16:17], s[8:9], 0x0
	s_waitcnt lgkmcnt(0)
	s_cmp_lt_u32 s12, s16
	s_cselect_b32 s16, 12, 18
	s_cmp_lt_u32 s13, s17
	s_cselect_b32 s12, 14, 20
	s_add_u32 s12, s8, s12
	s_addc_u32 s13, s9, 0
	s_add_u32 s8, s8, s16
	s_addc_u32 s9, s9, 0
	global_load_ushort v1, v29, s[12:13]
	global_load_ushort v31, v29, s[8:9]
	v_cmp_lt_i64_e64 s[8:9], 0, v[6:7]
	s_waitcnt vmcnt(0)
	v_mad_u32_u24 v1, v65, v1, v64
	v_mul_lo_u32 v1, v1, v31
	v_add_lshl_u32 v1, v1, v28, 3
	v_sub_u32_e64 v31, v0, v1 clamp
	v_cmp_lt_u32_e64 s[16:17], 1, v31
	s_and_saveexec_b64 s[22:23], s[16:17]
	s_cbranch_execnz .LBB386_725
; %bb.722:
	s_or_b64 exec, exec, s[22:23]
	v_cmp_lt_u32_e64 s[18:19], 3, v31
	s_and_saveexec_b64 s[24:25], s[18:19]
	s_cbranch_execnz .LBB386_734
.LBB386_723:
	s_or_b64 exec, exec, s[24:25]
	v_cmp_lt_u32_e64 s[20:21], 5, v31
	s_and_saveexec_b64 s[26:27], s[20:21]
	s_cbranch_execnz .LBB386_743
.LBB386_724:
	s_or_b64 exec, exec, s[26:27]
	v_cmp_lt_u32_e64 s[22:23], 7, v31
	s_and_saveexec_b64 s[28:29], s[22:23]
	s_cbranch_execnz .LBB386_752
	s_branch .LBB386_761
.LBB386_725:
	s_and_saveexec_b64 s[24:25], s[8:9]
	s_cbranch_execz .LBB386_733
; %bb.726:
	v_mul_lo_u32 v66, v25, v6
	v_mul_lo_u32 v67, v24, v7
	v_mad_u64_u32 v[64:65], s[12:13], v24, v6, 0
	v_add3_u32 v65, v65, v67, v66
	v_mul_lo_u32 v68, v27, v6
	v_mul_lo_u32 v69, v26, v7
	v_mad_u64_u32 v[66:67], s[12:13], v26, v6, 0
	v_add3_u32 v67, v67, v69, v68
	v_lshl_add_u64 v[64:65], v[64:65], 2, v[8:9]
	v_lshl_add_u64 v[66:67], v[66:67], 2, v[8:9]
	s_mov_b64 s[28:29], 0
	v_mov_b64_e32 v[68:69], v[6:7]
                                        ; implicit-def: $sgpr26_sgpr27
                                        ; implicit-def: $sgpr34_sgpr35
                                        ; implicit-def: $sgpr42_sgpr43
                                        ; implicit-def: $sgpr36_sgpr37
                                        ; implicit-def: $sgpr44_sgpr45
                                        ; implicit-def: $sgpr46_sgpr47
	s_branch .LBB386_728
.LBB386_727:                            ;   in Loop: Header=BB386_728 Depth=1
	s_or_b64 exec, exec, s[48:49]
	s_and_b64 s[12:13], exec, s[42:43]
	s_or_b64 s[28:29], s[12:13], s[28:29]
	s_andn2_b64 s[12:13], s[46:47], exec
	s_and_b64 s[20:21], s[44:45], exec
	s_or_b64 s[46:47], s[12:13], s[20:21]
	s_andn2_b64 s[12:13], s[34:35], exec
	s_and_b64 s[20:21], s[36:37], exec
	s_or_b64 s[34:35], s[12:13], s[20:21]
	s_andn2_b64 s[12:13], s[26:27], exec
	s_and_b64 s[18:19], s[18:19], exec
	s_or_b64 s[26:27], s[12:13], s[18:19]
	s_andn2_b64 exec, exec, s[28:29]
	s_cbranch_execz .LBB386_730
.LBB386_728:                            ; =>This Inner Loop Header: Depth=1
	flat_load_dword v70, v[66:67]
	flat_load_dword v71, v[64:65]
	s_andn2_b64 s[44:45], s[44:45], exec
	s_or_b64 s[36:37], s[36:37], exec
	s_or_b64 s[42:43], s[42:43], exec
	s_waitcnt vmcnt(0) lgkmcnt(0)
	v_cmp_le_i32_e64 s[18:19], v70, v71
	v_cmp_lt_i32_e64 s[12:13], v70, v71
	s_and_b64 s[18:19], s[18:19], s[46:47]
	v_cmp_eq_u32_e64 s[20:21], v70, v71
	s_or_b64 s[18:19], s[12:13], s[18:19]
	s_and_saveexec_b64 s[48:49], s[20:21]
	s_cbranch_execz .LBB386_727
; %bb.729:                              ;   in Loop: Header=BB386_728 Depth=1
	v_lshl_add_u64 v[68:69], v[68:69], 0, -1
	v_cmp_eq_u64_e64 s[12:13], 0, v[68:69]
	s_andn2_b64 s[20:21], s[44:45], exec
	s_and_b64 s[44:45], s[18:19], exec
	s_or_b64 s[44:45], s[20:21], s[44:45]
	s_andn2_b64 s[20:21], s[42:43], exec
	s_and_b64 s[12:13], s[12:13], exec
	v_lshl_add_u64 v[64:65], v[64:65], 0, 4
	v_lshl_add_u64 v[66:67], v[66:67], 0, 4
	s_andn2_b64 s[36:37], s[36:37], exec
	s_or_b64 s[42:43], s[20:21], s[12:13]
                                        ; implicit-def: $sgpr46_sgpr47
	s_branch .LBB386_727
.LBB386_730:
	s_or_b64 exec, exec, s[28:29]
	s_and_saveexec_b64 s[12:13], s[34:35]
	s_xor_b64 s[12:13], exec, s[12:13]
; %bb.731:
	v_cndmask_b32_e64 v65, v27, v25, s[26:27]
	v_cndmask_b32_e64 v64, v26, v24, s[26:27]
	;; [unrolled: 1-line block ×4, first 2 shown]
	v_mov_b64_e32 v[26:27], v[64:65]
; %bb.732:
	s_or_b64 exec, exec, s[12:13]
.LBB386_733:
	s_or_b64 exec, exec, s[24:25]
	s_or_b64 exec, exec, s[22:23]
	v_cmp_lt_u32_e64 s[18:19], 3, v31
	s_and_saveexec_b64 s[24:25], s[18:19]
	s_cbranch_execz .LBB386_723
.LBB386_734:
	s_and_saveexec_b64 s[26:27], s[8:9]
	s_cbranch_execz .LBB386_742
; %bb.735:
	v_mul_lo_u32 v66, v21, v6
	v_mul_lo_u32 v67, v20, v7
	v_mad_u64_u32 v[64:65], s[12:13], v20, v6, 0
	v_add3_u32 v65, v65, v67, v66
	v_mul_lo_u32 v68, v23, v6
	v_mul_lo_u32 v69, v22, v7
	v_mad_u64_u32 v[66:67], s[12:13], v22, v6, 0
	v_add3_u32 v67, v67, v69, v68
	v_lshl_add_u64 v[64:65], v[64:65], 2, v[8:9]
	v_lshl_add_u64 v[66:67], v[66:67], 2, v[8:9]
	s_mov_b64 s[34:35], 0
	v_mov_b64_e32 v[68:69], v[6:7]
                                        ; implicit-def: $sgpr28_sgpr29
                                        ; implicit-def: $sgpr36_sgpr37
                                        ; implicit-def: $sgpr44_sgpr45
                                        ; implicit-def: $sgpr42_sgpr43
                                        ; implicit-def: $sgpr46_sgpr47
                                        ; implicit-def: $sgpr48_sgpr49
	s_branch .LBB386_737
.LBB386_736:                            ;   in Loop: Header=BB386_737 Depth=1
	s_or_b64 exec, exec, s[50:51]
	s_and_b64 s[12:13], exec, s[44:45]
	s_or_b64 s[34:35], s[12:13], s[34:35]
	s_andn2_b64 s[12:13], s[48:49], exec
	s_and_b64 s[22:23], s[46:47], exec
	s_or_b64 s[48:49], s[12:13], s[22:23]
	s_andn2_b64 s[12:13], s[36:37], exec
	s_and_b64 s[22:23], s[42:43], exec
	;; [unrolled: 3-line block ×3, first 2 shown]
	s_or_b64 s[28:29], s[12:13], s[20:21]
	s_andn2_b64 exec, exec, s[34:35]
	s_cbranch_execz .LBB386_739
.LBB386_737:                            ; =>This Inner Loop Header: Depth=1
	flat_load_dword v70, v[66:67]
	flat_load_dword v71, v[64:65]
	s_andn2_b64 s[46:47], s[46:47], exec
	s_or_b64 s[42:43], s[42:43], exec
	s_or_b64 s[44:45], s[44:45], exec
	s_waitcnt vmcnt(0) lgkmcnt(0)
	v_cmp_le_i32_e64 s[20:21], v70, v71
	v_cmp_lt_i32_e64 s[12:13], v70, v71
	s_and_b64 s[20:21], s[20:21], s[48:49]
	v_cmp_eq_u32_e64 s[22:23], v70, v71
	s_or_b64 s[20:21], s[12:13], s[20:21]
	s_and_saveexec_b64 s[50:51], s[22:23]
	s_cbranch_execz .LBB386_736
; %bb.738:                              ;   in Loop: Header=BB386_737 Depth=1
	v_lshl_add_u64 v[68:69], v[68:69], 0, -1
	v_cmp_eq_u64_e64 s[12:13], 0, v[68:69]
	s_andn2_b64 s[22:23], s[46:47], exec
	s_and_b64 s[46:47], s[20:21], exec
	s_or_b64 s[46:47], s[22:23], s[46:47]
	s_andn2_b64 s[22:23], s[44:45], exec
	s_and_b64 s[12:13], s[12:13], exec
	v_lshl_add_u64 v[64:65], v[64:65], 0, 4
	v_lshl_add_u64 v[66:67], v[66:67], 0, 4
	s_andn2_b64 s[42:43], s[42:43], exec
	s_or_b64 s[44:45], s[22:23], s[12:13]
                                        ; implicit-def: $sgpr48_sgpr49
	s_branch .LBB386_736
.LBB386_739:
	s_or_b64 exec, exec, s[34:35]
	s_and_saveexec_b64 s[12:13], s[36:37]
	s_xor_b64 s[12:13], exec, s[12:13]
; %bb.740:
	v_cndmask_b32_e64 v65, v21, v23, s[28:29]
	v_cndmask_b32_e64 v64, v20, v22, s[28:29]
	;; [unrolled: 1-line block ×4, first 2 shown]
	v_mov_b64_e32 v[20:21], v[64:65]
; %bb.741:
	s_or_b64 exec, exec, s[12:13]
.LBB386_742:
	s_or_b64 exec, exec, s[26:27]
	s_or_b64 exec, exec, s[24:25]
	v_cmp_lt_u32_e64 s[20:21], 5, v31
	s_and_saveexec_b64 s[26:27], s[20:21]
	s_cbranch_execz .LBB386_724
.LBB386_743:
	s_and_saveexec_b64 s[28:29], s[8:9]
	s_cbranch_execz .LBB386_751
; %bb.744:
	v_mul_lo_u32 v66, v17, v6
	v_mul_lo_u32 v67, v16, v7
	v_mad_u64_u32 v[64:65], s[12:13], v16, v6, 0
	v_add3_u32 v65, v65, v67, v66
	v_mul_lo_u32 v68, v19, v6
	v_mul_lo_u32 v69, v18, v7
	v_mad_u64_u32 v[66:67], s[12:13], v18, v6, 0
	v_add3_u32 v67, v67, v69, v68
	v_lshl_add_u64 v[64:65], v[64:65], 2, v[8:9]
	v_lshl_add_u64 v[66:67], v[66:67], 2, v[8:9]
	s_mov_b64 s[36:37], 0
	v_mov_b64_e32 v[68:69], v[6:7]
                                        ; implicit-def: $sgpr34_sgpr35
                                        ; implicit-def: $sgpr42_sgpr43
                                        ; implicit-def: $sgpr46_sgpr47
                                        ; implicit-def: $sgpr44_sgpr45
                                        ; implicit-def: $sgpr48_sgpr49
                                        ; implicit-def: $sgpr50_sgpr51
	s_branch .LBB386_746
.LBB386_745:                            ;   in Loop: Header=BB386_746 Depth=1
	s_or_b64 exec, exec, s[52:53]
	s_and_b64 s[12:13], exec, s[46:47]
	s_or_b64 s[36:37], s[12:13], s[36:37]
	s_andn2_b64 s[12:13], s[50:51], exec
	s_and_b64 s[24:25], s[48:49], exec
	s_or_b64 s[50:51], s[12:13], s[24:25]
	s_andn2_b64 s[12:13], s[42:43], exec
	s_and_b64 s[24:25], s[44:45], exec
	;; [unrolled: 3-line block ×3, first 2 shown]
	s_or_b64 s[34:35], s[12:13], s[22:23]
	s_andn2_b64 exec, exec, s[36:37]
	s_cbranch_execz .LBB386_748
.LBB386_746:                            ; =>This Inner Loop Header: Depth=1
	flat_load_dword v70, v[66:67]
	flat_load_dword v71, v[64:65]
	s_andn2_b64 s[48:49], s[48:49], exec
	s_or_b64 s[44:45], s[44:45], exec
	s_or_b64 s[46:47], s[46:47], exec
	s_waitcnt vmcnt(0) lgkmcnt(0)
	v_cmp_le_i32_e64 s[22:23], v70, v71
	v_cmp_lt_i32_e64 s[12:13], v70, v71
	s_and_b64 s[22:23], s[22:23], s[50:51]
	v_cmp_eq_u32_e64 s[24:25], v70, v71
	s_or_b64 s[22:23], s[12:13], s[22:23]
	s_and_saveexec_b64 s[52:53], s[24:25]
	s_cbranch_execz .LBB386_745
; %bb.747:                              ;   in Loop: Header=BB386_746 Depth=1
	v_lshl_add_u64 v[68:69], v[68:69], 0, -1
	v_cmp_eq_u64_e64 s[12:13], 0, v[68:69]
	s_andn2_b64 s[24:25], s[48:49], exec
	s_and_b64 s[48:49], s[22:23], exec
	s_or_b64 s[48:49], s[24:25], s[48:49]
	s_andn2_b64 s[24:25], s[46:47], exec
	s_and_b64 s[12:13], s[12:13], exec
	v_lshl_add_u64 v[64:65], v[64:65], 0, 4
	v_lshl_add_u64 v[66:67], v[66:67], 0, 4
	s_andn2_b64 s[44:45], s[44:45], exec
	s_or_b64 s[46:47], s[24:25], s[12:13]
                                        ; implicit-def: $sgpr50_sgpr51
	s_branch .LBB386_745
.LBB386_748:
	s_or_b64 exec, exec, s[36:37]
	s_and_saveexec_b64 s[12:13], s[42:43]
	s_xor_b64 s[12:13], exec, s[12:13]
; %bb.749:
	v_cndmask_b32_e64 v65, v17, v19, s[34:35]
	v_cndmask_b32_e64 v64, v16, v18, s[34:35]
	;; [unrolled: 1-line block ×4, first 2 shown]
	v_mov_b64_e32 v[16:17], v[64:65]
; %bb.750:
	s_or_b64 exec, exec, s[12:13]
.LBB386_751:
	s_or_b64 exec, exec, s[28:29]
	s_or_b64 exec, exec, s[26:27]
	v_cmp_lt_u32_e64 s[22:23], 7, v31
	s_and_saveexec_b64 s[28:29], s[22:23]
	s_cbranch_execz .LBB386_761
.LBB386_752:
	s_and_saveexec_b64 s[34:35], s[8:9]
	s_cbranch_execz .LBB386_760
; %bb.753:
	v_mul_lo_u32 v66, v13, v6
	v_mul_lo_u32 v67, v12, v7
	v_mad_u64_u32 v[64:65], s[12:13], v12, v6, 0
	v_add3_u32 v65, v65, v67, v66
	v_mul_lo_u32 v68, v15, v6
	v_mul_lo_u32 v69, v14, v7
	v_mad_u64_u32 v[66:67], s[12:13], v14, v6, 0
	v_add3_u32 v67, v67, v69, v68
	v_lshl_add_u64 v[64:65], v[64:65], 2, v[8:9]
	v_lshl_add_u64 v[66:67], v[66:67], 2, v[8:9]
	s_mov_b64 s[42:43], 0
	v_mov_b64_e32 v[68:69], v[6:7]
                                        ; implicit-def: $sgpr36_sgpr37
                                        ; implicit-def: $sgpr44_sgpr45
                                        ; implicit-def: $sgpr48_sgpr49
                                        ; implicit-def: $sgpr46_sgpr47
                                        ; implicit-def: $sgpr50_sgpr51
                                        ; implicit-def: $sgpr52_sgpr53
	s_branch .LBB386_755
.LBB386_754:                            ;   in Loop: Header=BB386_755 Depth=1
	s_or_b64 exec, exec, s[54:55]
	s_and_b64 s[12:13], exec, s[48:49]
	s_or_b64 s[42:43], s[12:13], s[42:43]
	s_andn2_b64 s[12:13], s[52:53], exec
	s_and_b64 s[26:27], s[50:51], exec
	s_or_b64 s[52:53], s[12:13], s[26:27]
	s_andn2_b64 s[12:13], s[44:45], exec
	s_and_b64 s[26:27], s[46:47], exec
	;; [unrolled: 3-line block ×3, first 2 shown]
	s_or_b64 s[36:37], s[12:13], s[24:25]
	s_andn2_b64 exec, exec, s[42:43]
	s_cbranch_execz .LBB386_757
.LBB386_755:                            ; =>This Inner Loop Header: Depth=1
	flat_load_dword v70, v[66:67]
	flat_load_dword v71, v[64:65]
	s_andn2_b64 s[50:51], s[50:51], exec
	s_or_b64 s[46:47], s[46:47], exec
	s_or_b64 s[48:49], s[48:49], exec
	s_waitcnt vmcnt(0) lgkmcnt(0)
	v_cmp_le_i32_e64 s[24:25], v70, v71
	v_cmp_lt_i32_e64 s[12:13], v70, v71
	s_and_b64 s[24:25], s[24:25], s[52:53]
	v_cmp_eq_u32_e64 s[26:27], v70, v71
	s_or_b64 s[24:25], s[12:13], s[24:25]
	s_and_saveexec_b64 s[54:55], s[26:27]
	s_cbranch_execz .LBB386_754
; %bb.756:                              ;   in Loop: Header=BB386_755 Depth=1
	v_lshl_add_u64 v[68:69], v[68:69], 0, -1
	v_cmp_eq_u64_e64 s[12:13], 0, v[68:69]
	s_andn2_b64 s[26:27], s[50:51], exec
	s_and_b64 s[50:51], s[24:25], exec
	s_or_b64 s[50:51], s[26:27], s[50:51]
	s_andn2_b64 s[26:27], s[48:49], exec
	s_and_b64 s[12:13], s[12:13], exec
	v_lshl_add_u64 v[64:65], v[64:65], 0, 4
	v_lshl_add_u64 v[66:67], v[66:67], 0, 4
	s_andn2_b64 s[46:47], s[46:47], exec
	s_or_b64 s[48:49], s[26:27], s[12:13]
                                        ; implicit-def: $sgpr52_sgpr53
	s_branch .LBB386_754
.LBB386_757:
	s_or_b64 exec, exec, s[42:43]
	s_and_saveexec_b64 s[12:13], s[44:45]
	s_xor_b64 s[12:13], exec, s[12:13]
; %bb.758:
	v_cndmask_b32_e64 v65, v13, v15, s[36:37]
	v_cndmask_b32_e64 v64, v12, v14, s[36:37]
	;; [unrolled: 1-line block ×4, first 2 shown]
	v_mov_b64_e32 v[12:13], v[64:65]
; %bb.759:
	s_or_b64 exec, exec, s[12:13]
.LBB386_760:
	s_or_b64 exec, exec, s[34:35]
.LBB386_761:
	s_or_b64 exec, exec, s[28:29]
	v_cmp_lt_u32_e64 s[24:25], 2, v31
	s_and_saveexec_b64 s[12:13], s[24:25]
	s_xor_b64 s[34:35], exec, s[12:13]
	s_cbranch_execnz .LBB386_785
; %bb.762:
	s_or_b64 exec, exec, s[34:35]
	v_cmp_lt_u32_e64 s[26:27], 4, v31
	s_and_saveexec_b64 s[36:37], s[26:27]
	s_cbranch_execnz .LBB386_794
.LBB386_763:
	s_or_b64 exec, exec, s[36:37]
	v_cmp_lt_u32_e64 s[28:29], 6, v31
	s_and_saveexec_b64 s[42:43], s[28:29]
	s_cbranch_execnz .LBB386_803
.LBB386_764:
	s_or_b64 exec, exec, s[42:43]
	s_and_saveexec_b64 s[42:43], s[16:17]
	s_cbranch_execnz .LBB386_812
.LBB386_765:
	s_or_b64 exec, exec, s[42:43]
	s_and_saveexec_b64 s[42:43], s[18:19]
	s_cbranch_execnz .LBB386_821
.LBB386_766:
	s_or_b64 exec, exec, s[42:43]
	s_and_saveexec_b64 s[42:43], s[20:21]
	s_cbranch_execnz .LBB386_830
.LBB386_767:
	s_or_b64 exec, exec, s[42:43]
	s_and_saveexec_b64 s[42:43], s[22:23]
	s_cbranch_execnz .LBB386_839
.LBB386_768:
	s_or_b64 exec, exec, s[42:43]
	s_and_saveexec_b64 s[42:43], s[24:25]
	s_cbranch_execnz .LBB386_848
.LBB386_769:
	s_or_b64 exec, exec, s[42:43]
	s_and_saveexec_b64 s[42:43], s[26:27]
	s_cbranch_execnz .LBB386_857
.LBB386_770:
	s_or_b64 exec, exec, s[42:43]
	s_and_saveexec_b64 s[42:43], s[28:29]
	s_cbranch_execnz .LBB386_866
.LBB386_771:
	s_or_b64 exec, exec, s[42:43]
	s_and_saveexec_b64 s[42:43], s[16:17]
	s_cbranch_execnz .LBB386_875
.LBB386_772:
	s_or_b64 exec, exec, s[42:43]
	s_and_saveexec_b64 s[42:43], s[18:19]
	s_cbranch_execnz .LBB386_884
.LBB386_773:
	s_or_b64 exec, exec, s[42:43]
	s_and_saveexec_b64 s[42:43], s[20:21]
	s_cbranch_execnz .LBB386_893
.LBB386_774:
	s_or_b64 exec, exec, s[42:43]
	s_and_saveexec_b64 s[42:43], s[22:23]
	s_cbranch_execnz .LBB386_902
.LBB386_775:
	s_or_b64 exec, exec, s[42:43]
	s_and_saveexec_b64 s[42:43], s[24:25]
	s_cbranch_execnz .LBB386_911
.LBB386_776:
	s_or_b64 exec, exec, s[42:43]
	s_and_saveexec_b64 s[42:43], s[26:27]
	s_cbranch_execnz .LBB386_920
.LBB386_777:
	s_or_b64 exec, exec, s[42:43]
	s_and_saveexec_b64 s[42:43], s[28:29]
	s_cbranch_execnz .LBB386_929
.LBB386_778:
	s_or_b64 exec, exec, s[42:43]
	s_and_saveexec_b64 s[36:37], s[16:17]
	s_cbranch_execnz .LBB386_938
.LBB386_779:
	s_or_b64 exec, exec, s[36:37]
	s_and_saveexec_b64 s[34:35], s[18:19]
	s_cbranch_execnz .LBB386_947
.LBB386_780:
	s_or_b64 exec, exec, s[34:35]
	s_and_saveexec_b64 s[34:35], s[20:21]
	s_cbranch_execnz .LBB386_956
.LBB386_781:
	s_or_b64 exec, exec, s[34:35]
	s_and_saveexec_b64 s[20:21], s[22:23]
	s_cbranch_execnz .LBB386_965
.LBB386_782:
	s_or_b64 exec, exec, s[20:21]
	s_and_saveexec_b64 s[20:21], s[24:25]
	s_cbranch_execnz .LBB386_974
.LBB386_783:
	s_or_b64 exec, exec, s[20:21]
	s_and_saveexec_b64 s[20:21], s[26:27]
	s_cbranch_execnz .LBB386_983
.LBB386_784:
	s_or_b64 exec, exec, s[20:21]
	s_and_saveexec_b64 s[20:21], s[28:29]
	s_cbranch_execnz .LBB386_992
	s_branch .LBB386_1001
.LBB386_785:
	s_and_saveexec_b64 s[36:37], s[8:9]
	s_cbranch_execz .LBB386_793
; %bb.786:
	v_mul_lo_u32 v66, v27, v6
	v_mul_lo_u32 v67, v26, v7
	v_mad_u64_u32 v[64:65], s[12:13], v26, v6, 0
	v_add3_u32 v65, v65, v67, v66
	v_mul_lo_u32 v68, v21, v6
	v_mul_lo_u32 v69, v20, v7
	v_mad_u64_u32 v[66:67], s[12:13], v20, v6, 0
	v_add3_u32 v67, v67, v69, v68
	v_lshl_add_u64 v[64:65], v[64:65], 2, v[8:9]
	v_lshl_add_u64 v[66:67], v[66:67], 2, v[8:9]
	s_mov_b64 s[44:45], 0
	v_mov_b64_e32 v[68:69], v[6:7]
                                        ; implicit-def: $sgpr42_sgpr43
                                        ; implicit-def: $sgpr46_sgpr47
                                        ; implicit-def: $sgpr50_sgpr51
                                        ; implicit-def: $sgpr48_sgpr49
                                        ; implicit-def: $sgpr52_sgpr53
                                        ; implicit-def: $sgpr54_sgpr55
	s_branch .LBB386_788
.LBB386_787:                            ;   in Loop: Header=BB386_788 Depth=1
	s_or_b64 exec, exec, s[56:57]
	s_and_b64 s[12:13], exec, s[50:51]
	s_or_b64 s[44:45], s[12:13], s[44:45]
	s_andn2_b64 s[12:13], s[54:55], exec
	s_and_b64 s[28:29], s[52:53], exec
	s_or_b64 s[54:55], s[12:13], s[28:29]
	s_andn2_b64 s[12:13], s[46:47], exec
	s_and_b64 s[28:29], s[48:49], exec
	;; [unrolled: 3-line block ×3, first 2 shown]
	s_or_b64 s[42:43], s[12:13], s[26:27]
	s_andn2_b64 exec, exec, s[44:45]
	s_cbranch_execz .LBB386_790
.LBB386_788:                            ; =>This Inner Loop Header: Depth=1
	flat_load_dword v70, v[66:67]
	flat_load_dword v71, v[64:65]
	s_andn2_b64 s[52:53], s[52:53], exec
	s_or_b64 s[48:49], s[48:49], exec
	s_or_b64 s[50:51], s[50:51], exec
	s_waitcnt vmcnt(0) lgkmcnt(0)
	v_cmp_le_i32_e64 s[26:27], v70, v71
	v_cmp_lt_i32_e64 s[12:13], v70, v71
	s_and_b64 s[26:27], s[26:27], s[54:55]
	v_cmp_eq_u32_e64 s[28:29], v70, v71
	s_or_b64 s[26:27], s[12:13], s[26:27]
	s_and_saveexec_b64 s[56:57], s[28:29]
	s_cbranch_execz .LBB386_787
; %bb.789:                              ;   in Loop: Header=BB386_788 Depth=1
	v_lshl_add_u64 v[68:69], v[68:69], 0, -1
	v_cmp_eq_u64_e64 s[12:13], 0, v[68:69]
	s_andn2_b64 s[28:29], s[52:53], exec
	s_and_b64 s[52:53], s[26:27], exec
	s_or_b64 s[52:53], s[28:29], s[52:53]
	s_andn2_b64 s[28:29], s[50:51], exec
	s_and_b64 s[12:13], s[12:13], exec
	v_lshl_add_u64 v[64:65], v[64:65], 0, 4
	v_lshl_add_u64 v[66:67], v[66:67], 0, 4
	s_andn2_b64 s[48:49], s[48:49], exec
	s_or_b64 s[50:51], s[28:29], s[12:13]
                                        ; implicit-def: $sgpr54_sgpr55
	s_branch .LBB386_787
.LBB386_790:
	s_or_b64 exec, exec, s[44:45]
	s_and_saveexec_b64 s[12:13], s[46:47]
	s_xor_b64 s[12:13], exec, s[12:13]
; %bb.791:
	v_cndmask_b32_e64 v65, v27, v21, s[42:43]
	v_cndmask_b32_e64 v64, v26, v20, s[42:43]
	;; [unrolled: 1-line block ×4, first 2 shown]
	v_mov_b64_e32 v[26:27], v[64:65]
; %bb.792:
	s_or_b64 exec, exec, s[12:13]
.LBB386_793:
	s_or_b64 exec, exec, s[36:37]
	s_or_b64 exec, exec, s[34:35]
	v_cmp_lt_u32_e64 s[26:27], 4, v31
	s_and_saveexec_b64 s[36:37], s[26:27]
	s_cbranch_execz .LBB386_763
.LBB386_794:
	s_and_saveexec_b64 s[42:43], s[8:9]
	s_cbranch_execz .LBB386_802
; %bb.795:
	v_mul_lo_u32 v66, v23, v6
	v_mul_lo_u32 v67, v22, v7
	v_mad_u64_u32 v[64:65], s[12:13], v22, v6, 0
	v_add3_u32 v65, v65, v67, v66
	v_mul_lo_u32 v68, v17, v6
	v_mul_lo_u32 v69, v16, v7
	v_mad_u64_u32 v[66:67], s[12:13], v16, v6, 0
	v_add3_u32 v67, v67, v69, v68
	v_lshl_add_u64 v[64:65], v[64:65], 2, v[8:9]
	v_lshl_add_u64 v[66:67], v[66:67], 2, v[8:9]
	s_mov_b64 s[46:47], 0
	v_mov_b64_e32 v[68:69], v[6:7]
                                        ; implicit-def: $sgpr44_sgpr45
                                        ; implicit-def: $sgpr48_sgpr49
                                        ; implicit-def: $sgpr52_sgpr53
                                        ; implicit-def: $sgpr50_sgpr51
                                        ; implicit-def: $sgpr54_sgpr55
                                        ; implicit-def: $sgpr56_sgpr57
	s_branch .LBB386_797
.LBB386_796:                            ;   in Loop: Header=BB386_797 Depth=1
	s_or_b64 exec, exec, s[58:59]
	s_and_b64 s[12:13], exec, s[52:53]
	s_or_b64 s[46:47], s[12:13], s[46:47]
	s_andn2_b64 s[12:13], s[56:57], exec
	s_and_b64 s[34:35], s[54:55], exec
	s_or_b64 s[56:57], s[12:13], s[34:35]
	s_andn2_b64 s[12:13], s[48:49], exec
	s_and_b64 s[34:35], s[50:51], exec
	;; [unrolled: 3-line block ×3, first 2 shown]
	s_or_b64 s[44:45], s[12:13], s[28:29]
	s_andn2_b64 exec, exec, s[46:47]
	s_cbranch_execz .LBB386_799
.LBB386_797:                            ; =>This Inner Loop Header: Depth=1
	flat_load_dword v70, v[66:67]
	flat_load_dword v71, v[64:65]
	s_andn2_b64 s[54:55], s[54:55], exec
	s_or_b64 s[50:51], s[50:51], exec
	s_or_b64 s[52:53], s[52:53], exec
	s_waitcnt vmcnt(0) lgkmcnt(0)
	v_cmp_le_i32_e64 s[28:29], v70, v71
	v_cmp_lt_i32_e64 s[12:13], v70, v71
	s_and_b64 s[28:29], s[28:29], s[56:57]
	v_cmp_eq_u32_e64 s[34:35], v70, v71
	s_or_b64 s[28:29], s[12:13], s[28:29]
	s_and_saveexec_b64 s[58:59], s[34:35]
	s_cbranch_execz .LBB386_796
; %bb.798:                              ;   in Loop: Header=BB386_797 Depth=1
	v_lshl_add_u64 v[68:69], v[68:69], 0, -1
	v_cmp_eq_u64_e64 s[12:13], 0, v[68:69]
	s_andn2_b64 s[34:35], s[54:55], exec
	s_and_b64 s[54:55], s[28:29], exec
	s_or_b64 s[54:55], s[34:35], s[54:55]
	s_andn2_b64 s[34:35], s[52:53], exec
	s_and_b64 s[12:13], s[12:13], exec
	v_lshl_add_u64 v[64:65], v[64:65], 0, 4
	v_lshl_add_u64 v[66:67], v[66:67], 0, 4
	s_andn2_b64 s[50:51], s[50:51], exec
	s_or_b64 s[52:53], s[34:35], s[12:13]
                                        ; implicit-def: $sgpr56_sgpr57
	s_branch .LBB386_796
.LBB386_799:
	s_or_b64 exec, exec, s[46:47]
	s_and_saveexec_b64 s[12:13], s[48:49]
	s_xor_b64 s[12:13], exec, s[12:13]
; %bb.800:
	v_cndmask_b32_e64 v65, v23, v17, s[44:45]
	v_cndmask_b32_e64 v64, v22, v16, s[44:45]
	v_cndmask_b32_e64 v17, v17, v23, s[44:45]
	v_cndmask_b32_e64 v16, v16, v22, s[44:45]
	v_mov_b64_e32 v[22:23], v[64:65]
; %bb.801:
	s_or_b64 exec, exec, s[12:13]
.LBB386_802:
	s_or_b64 exec, exec, s[42:43]
	s_or_b64 exec, exec, s[36:37]
	v_cmp_lt_u32_e64 s[28:29], 6, v31
	s_and_saveexec_b64 s[42:43], s[28:29]
	s_cbranch_execz .LBB386_764
.LBB386_803:
	s_and_saveexec_b64 s[44:45], s[8:9]
	s_cbranch_execz .LBB386_811
; %bb.804:
	v_mul_lo_u32 v31, v19, v6
	v_mul_lo_u32 v66, v18, v7
	v_mad_u64_u32 v[64:65], s[12:13], v18, v6, 0
	v_add3_u32 v65, v65, v66, v31
	v_mul_lo_u32 v31, v13, v6
	v_mul_lo_u32 v68, v12, v7
	v_mad_u64_u32 v[66:67], s[12:13], v12, v6, 0
	v_add3_u32 v67, v67, v68, v31
	v_lshl_add_u64 v[64:65], v[64:65], 2, v[8:9]
	v_lshl_add_u64 v[66:67], v[66:67], 2, v[8:9]
	s_mov_b64 s[48:49], 0
	v_mov_b64_e32 v[68:69], v[6:7]
                                        ; implicit-def: $sgpr46_sgpr47
                                        ; implicit-def: $sgpr50_sgpr51
                                        ; implicit-def: $sgpr54_sgpr55
                                        ; implicit-def: $sgpr52_sgpr53
                                        ; implicit-def: $sgpr56_sgpr57
                                        ; implicit-def: $sgpr58_sgpr59
	s_branch .LBB386_806
.LBB386_805:                            ;   in Loop: Header=BB386_806 Depth=1
	s_or_b64 exec, exec, s[60:61]
	s_and_b64 s[12:13], exec, s[54:55]
	s_or_b64 s[48:49], s[12:13], s[48:49]
	s_andn2_b64 s[12:13], s[58:59], exec
	s_and_b64 s[36:37], s[56:57], exec
	s_or_b64 s[58:59], s[12:13], s[36:37]
	s_andn2_b64 s[12:13], s[50:51], exec
	s_and_b64 s[36:37], s[52:53], exec
	;; [unrolled: 3-line block ×3, first 2 shown]
	s_or_b64 s[46:47], s[12:13], s[34:35]
	s_andn2_b64 exec, exec, s[48:49]
	s_cbranch_execz .LBB386_808
.LBB386_806:                            ; =>This Inner Loop Header: Depth=1
	flat_load_dword v31, v[66:67]
	flat_load_dword v70, v[64:65]
	s_andn2_b64 s[56:57], s[56:57], exec
	s_or_b64 s[52:53], s[52:53], exec
	s_or_b64 s[54:55], s[54:55], exec
	s_waitcnt vmcnt(0) lgkmcnt(0)
	v_cmp_le_i32_e64 s[34:35], v31, v70
	v_cmp_lt_i32_e64 s[12:13], v31, v70
	s_and_b64 s[34:35], s[34:35], s[58:59]
	v_cmp_eq_u32_e64 s[36:37], v31, v70
	s_or_b64 s[34:35], s[12:13], s[34:35]
	s_and_saveexec_b64 s[60:61], s[36:37]
	s_cbranch_execz .LBB386_805
; %bb.807:                              ;   in Loop: Header=BB386_806 Depth=1
	v_lshl_add_u64 v[68:69], v[68:69], 0, -1
	v_cmp_eq_u64_e64 s[12:13], 0, v[68:69]
	s_andn2_b64 s[36:37], s[56:57], exec
	s_and_b64 s[56:57], s[34:35], exec
	s_or_b64 s[56:57], s[36:37], s[56:57]
	s_andn2_b64 s[36:37], s[54:55], exec
	s_and_b64 s[12:13], s[12:13], exec
	v_lshl_add_u64 v[64:65], v[64:65], 0, 4
	v_lshl_add_u64 v[66:67], v[66:67], 0, 4
	s_andn2_b64 s[52:53], s[52:53], exec
	s_or_b64 s[54:55], s[36:37], s[12:13]
                                        ; implicit-def: $sgpr58_sgpr59
	s_branch .LBB386_805
.LBB386_808:
	s_or_b64 exec, exec, s[48:49]
	s_and_saveexec_b64 s[12:13], s[50:51]
	s_xor_b64 s[12:13], exec, s[12:13]
; %bb.809:
	v_cndmask_b32_e64 v65, v19, v13, s[46:47]
	v_cndmask_b32_e64 v64, v18, v12, s[46:47]
	;; [unrolled: 1-line block ×4, first 2 shown]
	v_mov_b64_e32 v[18:19], v[64:65]
; %bb.810:
	s_or_b64 exec, exec, s[12:13]
.LBB386_811:
	s_or_b64 exec, exec, s[44:45]
	s_or_b64 exec, exec, s[42:43]
	s_and_saveexec_b64 s[42:43], s[16:17]
	s_cbranch_execz .LBB386_765
.LBB386_812:
	s_and_saveexec_b64 s[44:45], s[8:9]
	s_cbranch_execz .LBB386_820
; %bb.813:
	v_mul_lo_u32 v31, v25, v6
	v_mul_lo_u32 v66, v24, v7
	v_mad_u64_u32 v[64:65], s[12:13], v24, v6, 0
	v_add3_u32 v65, v65, v66, v31
	v_mul_lo_u32 v31, v27, v6
	v_mul_lo_u32 v68, v26, v7
	v_mad_u64_u32 v[66:67], s[12:13], v26, v6, 0
	v_add3_u32 v67, v67, v68, v31
	v_lshl_add_u64 v[64:65], v[64:65], 2, v[8:9]
	v_lshl_add_u64 v[66:67], v[66:67], 2, v[8:9]
	s_mov_b64 s[48:49], 0
	v_mov_b64_e32 v[68:69], v[6:7]
                                        ; implicit-def: $sgpr46_sgpr47
                                        ; implicit-def: $sgpr50_sgpr51
                                        ; implicit-def: $sgpr54_sgpr55
                                        ; implicit-def: $sgpr52_sgpr53
                                        ; implicit-def: $sgpr56_sgpr57
                                        ; implicit-def: $sgpr58_sgpr59
	s_branch .LBB386_815
.LBB386_814:                            ;   in Loop: Header=BB386_815 Depth=1
	s_or_b64 exec, exec, s[60:61]
	s_and_b64 s[12:13], exec, s[54:55]
	s_or_b64 s[48:49], s[12:13], s[48:49]
	s_andn2_b64 s[12:13], s[58:59], exec
	s_and_b64 s[36:37], s[56:57], exec
	s_or_b64 s[58:59], s[12:13], s[36:37]
	s_andn2_b64 s[12:13], s[50:51], exec
	s_and_b64 s[36:37], s[52:53], exec
	s_or_b64 s[50:51], s[12:13], s[36:37]
	s_andn2_b64 s[12:13], s[46:47], exec
	s_and_b64 s[34:35], s[34:35], exec
	s_or_b64 s[46:47], s[12:13], s[34:35]
	s_andn2_b64 exec, exec, s[48:49]
	s_cbranch_execz .LBB386_817
.LBB386_815:                            ; =>This Inner Loop Header: Depth=1
	flat_load_dword v31, v[66:67]
	flat_load_dword v70, v[64:65]
	s_andn2_b64 s[56:57], s[56:57], exec
	s_or_b64 s[52:53], s[52:53], exec
	s_or_b64 s[54:55], s[54:55], exec
	s_waitcnt vmcnt(0) lgkmcnt(0)
	v_cmp_le_i32_e64 s[34:35], v31, v70
	v_cmp_lt_i32_e64 s[12:13], v31, v70
	s_and_b64 s[34:35], s[34:35], s[58:59]
	v_cmp_eq_u32_e64 s[36:37], v31, v70
	s_or_b64 s[34:35], s[12:13], s[34:35]
	s_and_saveexec_b64 s[60:61], s[36:37]
	s_cbranch_execz .LBB386_814
; %bb.816:                              ;   in Loop: Header=BB386_815 Depth=1
	v_lshl_add_u64 v[68:69], v[68:69], 0, -1
	v_cmp_eq_u64_e64 s[12:13], 0, v[68:69]
	s_andn2_b64 s[36:37], s[56:57], exec
	s_and_b64 s[56:57], s[34:35], exec
	s_or_b64 s[56:57], s[36:37], s[56:57]
	s_andn2_b64 s[36:37], s[54:55], exec
	s_and_b64 s[12:13], s[12:13], exec
	v_lshl_add_u64 v[64:65], v[64:65], 0, 4
	v_lshl_add_u64 v[66:67], v[66:67], 0, 4
	s_andn2_b64 s[52:53], s[52:53], exec
	s_or_b64 s[54:55], s[36:37], s[12:13]
                                        ; implicit-def: $sgpr58_sgpr59
	s_branch .LBB386_814
.LBB386_817:
	s_or_b64 exec, exec, s[48:49]
	s_and_saveexec_b64 s[12:13], s[50:51]
	s_xor_b64 s[12:13], exec, s[12:13]
; %bb.818:
	v_cndmask_b32_e64 v65, v27, v25, s[46:47]
	v_cndmask_b32_e64 v64, v26, v24, s[46:47]
	;; [unrolled: 1-line block ×4, first 2 shown]
	v_mov_b64_e32 v[26:27], v[64:65]
; %bb.819:
	s_or_b64 exec, exec, s[12:13]
.LBB386_820:
	s_or_b64 exec, exec, s[44:45]
	s_or_b64 exec, exec, s[42:43]
	s_and_saveexec_b64 s[42:43], s[18:19]
	s_cbranch_execz .LBB386_766
.LBB386_821:
	s_and_saveexec_b64 s[44:45], s[8:9]
	s_cbranch_execz .LBB386_829
; %bb.822:
	v_mul_lo_u32 v31, v21, v6
	v_mul_lo_u32 v66, v20, v7
	v_mad_u64_u32 v[64:65], s[12:13], v20, v6, 0
	v_add3_u32 v65, v65, v66, v31
	v_mul_lo_u32 v31, v23, v6
	v_mul_lo_u32 v68, v22, v7
	v_mad_u64_u32 v[66:67], s[12:13], v22, v6, 0
	v_add3_u32 v67, v67, v68, v31
	v_lshl_add_u64 v[64:65], v[64:65], 2, v[8:9]
	v_lshl_add_u64 v[66:67], v[66:67], 2, v[8:9]
	s_mov_b64 s[48:49], 0
	v_mov_b64_e32 v[68:69], v[6:7]
                                        ; implicit-def: $sgpr46_sgpr47
                                        ; implicit-def: $sgpr50_sgpr51
                                        ; implicit-def: $sgpr54_sgpr55
                                        ; implicit-def: $sgpr52_sgpr53
                                        ; implicit-def: $sgpr56_sgpr57
                                        ; implicit-def: $sgpr58_sgpr59
	s_branch .LBB386_824
.LBB386_823:                            ;   in Loop: Header=BB386_824 Depth=1
	s_or_b64 exec, exec, s[60:61]
	s_and_b64 s[12:13], exec, s[54:55]
	s_or_b64 s[48:49], s[12:13], s[48:49]
	s_andn2_b64 s[12:13], s[58:59], exec
	s_and_b64 s[36:37], s[56:57], exec
	s_or_b64 s[58:59], s[12:13], s[36:37]
	s_andn2_b64 s[12:13], s[50:51], exec
	s_and_b64 s[36:37], s[52:53], exec
	;; [unrolled: 3-line block ×3, first 2 shown]
	s_or_b64 s[46:47], s[12:13], s[34:35]
	s_andn2_b64 exec, exec, s[48:49]
	s_cbranch_execz .LBB386_826
.LBB386_824:                            ; =>This Inner Loop Header: Depth=1
	flat_load_dword v31, v[66:67]
	flat_load_dword v70, v[64:65]
	s_andn2_b64 s[56:57], s[56:57], exec
	s_or_b64 s[52:53], s[52:53], exec
	s_or_b64 s[54:55], s[54:55], exec
	s_waitcnt vmcnt(0) lgkmcnt(0)
	v_cmp_le_i32_e64 s[34:35], v31, v70
	v_cmp_lt_i32_e64 s[12:13], v31, v70
	s_and_b64 s[34:35], s[34:35], s[58:59]
	v_cmp_eq_u32_e64 s[36:37], v31, v70
	s_or_b64 s[34:35], s[12:13], s[34:35]
	s_and_saveexec_b64 s[60:61], s[36:37]
	s_cbranch_execz .LBB386_823
; %bb.825:                              ;   in Loop: Header=BB386_824 Depth=1
	v_lshl_add_u64 v[68:69], v[68:69], 0, -1
	v_cmp_eq_u64_e64 s[12:13], 0, v[68:69]
	s_andn2_b64 s[36:37], s[56:57], exec
	s_and_b64 s[56:57], s[34:35], exec
	s_or_b64 s[56:57], s[36:37], s[56:57]
	s_andn2_b64 s[36:37], s[54:55], exec
	s_and_b64 s[12:13], s[12:13], exec
	v_lshl_add_u64 v[64:65], v[64:65], 0, 4
	v_lshl_add_u64 v[66:67], v[66:67], 0, 4
	s_andn2_b64 s[52:53], s[52:53], exec
	s_or_b64 s[54:55], s[36:37], s[12:13]
                                        ; implicit-def: $sgpr58_sgpr59
	s_branch .LBB386_823
.LBB386_826:
	s_or_b64 exec, exec, s[48:49]
	s_and_saveexec_b64 s[12:13], s[50:51]
	s_xor_b64 s[12:13], exec, s[12:13]
; %bb.827:
	v_cndmask_b32_e64 v65, v21, v23, s[46:47]
	v_cndmask_b32_e64 v64, v20, v22, s[46:47]
	;; [unrolled: 1-line block ×4, first 2 shown]
	v_mov_b64_e32 v[20:21], v[64:65]
; %bb.828:
	s_or_b64 exec, exec, s[12:13]
.LBB386_829:
	s_or_b64 exec, exec, s[44:45]
	s_or_b64 exec, exec, s[42:43]
	s_and_saveexec_b64 s[42:43], s[20:21]
	s_cbranch_execz .LBB386_767
.LBB386_830:
	s_and_saveexec_b64 s[44:45], s[8:9]
	s_cbranch_execz .LBB386_838
; %bb.831:
	v_mul_lo_u32 v31, v17, v6
	v_mul_lo_u32 v66, v16, v7
	v_mad_u64_u32 v[64:65], s[12:13], v16, v6, 0
	v_add3_u32 v65, v65, v66, v31
	v_mul_lo_u32 v31, v19, v6
	v_mul_lo_u32 v68, v18, v7
	v_mad_u64_u32 v[66:67], s[12:13], v18, v6, 0
	v_add3_u32 v67, v67, v68, v31
	v_lshl_add_u64 v[64:65], v[64:65], 2, v[8:9]
	v_lshl_add_u64 v[66:67], v[66:67], 2, v[8:9]
	s_mov_b64 s[48:49], 0
	v_mov_b64_e32 v[68:69], v[6:7]
                                        ; implicit-def: $sgpr46_sgpr47
                                        ; implicit-def: $sgpr50_sgpr51
                                        ; implicit-def: $sgpr54_sgpr55
                                        ; implicit-def: $sgpr52_sgpr53
                                        ; implicit-def: $sgpr56_sgpr57
                                        ; implicit-def: $sgpr58_sgpr59
	s_branch .LBB386_833
.LBB386_832:                            ;   in Loop: Header=BB386_833 Depth=1
	s_or_b64 exec, exec, s[60:61]
	s_and_b64 s[12:13], exec, s[54:55]
	s_or_b64 s[48:49], s[12:13], s[48:49]
	s_andn2_b64 s[12:13], s[58:59], exec
	s_and_b64 s[36:37], s[56:57], exec
	s_or_b64 s[58:59], s[12:13], s[36:37]
	s_andn2_b64 s[12:13], s[50:51], exec
	s_and_b64 s[36:37], s[52:53], exec
	;; [unrolled: 3-line block ×3, first 2 shown]
	s_or_b64 s[46:47], s[12:13], s[34:35]
	s_andn2_b64 exec, exec, s[48:49]
	s_cbranch_execz .LBB386_835
.LBB386_833:                            ; =>This Inner Loop Header: Depth=1
	flat_load_dword v31, v[66:67]
	flat_load_dword v70, v[64:65]
	s_andn2_b64 s[56:57], s[56:57], exec
	s_or_b64 s[52:53], s[52:53], exec
	s_or_b64 s[54:55], s[54:55], exec
	s_waitcnt vmcnt(0) lgkmcnt(0)
	v_cmp_le_i32_e64 s[34:35], v31, v70
	v_cmp_lt_i32_e64 s[12:13], v31, v70
	s_and_b64 s[34:35], s[34:35], s[58:59]
	v_cmp_eq_u32_e64 s[36:37], v31, v70
	s_or_b64 s[34:35], s[12:13], s[34:35]
	s_and_saveexec_b64 s[60:61], s[36:37]
	s_cbranch_execz .LBB386_832
; %bb.834:                              ;   in Loop: Header=BB386_833 Depth=1
	v_lshl_add_u64 v[68:69], v[68:69], 0, -1
	v_cmp_eq_u64_e64 s[12:13], 0, v[68:69]
	s_andn2_b64 s[36:37], s[56:57], exec
	s_and_b64 s[56:57], s[34:35], exec
	s_or_b64 s[56:57], s[36:37], s[56:57]
	s_andn2_b64 s[36:37], s[54:55], exec
	s_and_b64 s[12:13], s[12:13], exec
	v_lshl_add_u64 v[64:65], v[64:65], 0, 4
	v_lshl_add_u64 v[66:67], v[66:67], 0, 4
	s_andn2_b64 s[52:53], s[52:53], exec
	s_or_b64 s[54:55], s[36:37], s[12:13]
                                        ; implicit-def: $sgpr58_sgpr59
	s_branch .LBB386_832
.LBB386_835:
	s_or_b64 exec, exec, s[48:49]
	s_and_saveexec_b64 s[12:13], s[50:51]
	s_xor_b64 s[12:13], exec, s[12:13]
; %bb.836:
	v_cndmask_b32_e64 v65, v17, v19, s[46:47]
	v_cndmask_b32_e64 v64, v16, v18, s[46:47]
	v_cndmask_b32_e64 v19, v19, v17, s[46:47]
	v_cndmask_b32_e64 v18, v18, v16, s[46:47]
	v_mov_b64_e32 v[16:17], v[64:65]
; %bb.837:
	s_or_b64 exec, exec, s[12:13]
.LBB386_838:
	s_or_b64 exec, exec, s[44:45]
	s_or_b64 exec, exec, s[42:43]
	s_and_saveexec_b64 s[42:43], s[22:23]
	s_cbranch_execz .LBB386_768
.LBB386_839:
	s_and_saveexec_b64 s[44:45], s[8:9]
	s_cbranch_execz .LBB386_847
; %bb.840:
	v_mul_lo_u32 v31, v13, v6
	v_mul_lo_u32 v66, v12, v7
	v_mad_u64_u32 v[64:65], s[12:13], v12, v6, 0
	v_add3_u32 v65, v65, v66, v31
	v_mul_lo_u32 v31, v15, v6
	v_mul_lo_u32 v68, v14, v7
	v_mad_u64_u32 v[66:67], s[12:13], v14, v6, 0
	v_add3_u32 v67, v67, v68, v31
	v_lshl_add_u64 v[64:65], v[64:65], 2, v[8:9]
	v_lshl_add_u64 v[66:67], v[66:67], 2, v[8:9]
	s_mov_b64 s[48:49], 0
	v_mov_b64_e32 v[68:69], v[6:7]
                                        ; implicit-def: $sgpr46_sgpr47
                                        ; implicit-def: $sgpr50_sgpr51
                                        ; implicit-def: $sgpr54_sgpr55
                                        ; implicit-def: $sgpr52_sgpr53
                                        ; implicit-def: $sgpr56_sgpr57
                                        ; implicit-def: $sgpr58_sgpr59
	s_branch .LBB386_842
.LBB386_841:                            ;   in Loop: Header=BB386_842 Depth=1
	s_or_b64 exec, exec, s[60:61]
	s_and_b64 s[12:13], exec, s[54:55]
	s_or_b64 s[48:49], s[12:13], s[48:49]
	s_andn2_b64 s[12:13], s[58:59], exec
	s_and_b64 s[36:37], s[56:57], exec
	s_or_b64 s[58:59], s[12:13], s[36:37]
	s_andn2_b64 s[12:13], s[50:51], exec
	s_and_b64 s[36:37], s[52:53], exec
	;; [unrolled: 3-line block ×3, first 2 shown]
	s_or_b64 s[46:47], s[12:13], s[34:35]
	s_andn2_b64 exec, exec, s[48:49]
	s_cbranch_execz .LBB386_844
.LBB386_842:                            ; =>This Inner Loop Header: Depth=1
	flat_load_dword v31, v[66:67]
	flat_load_dword v70, v[64:65]
	s_andn2_b64 s[56:57], s[56:57], exec
	s_or_b64 s[52:53], s[52:53], exec
	s_or_b64 s[54:55], s[54:55], exec
	s_waitcnt vmcnt(0) lgkmcnt(0)
	v_cmp_le_i32_e64 s[34:35], v31, v70
	v_cmp_lt_i32_e64 s[12:13], v31, v70
	s_and_b64 s[34:35], s[34:35], s[58:59]
	v_cmp_eq_u32_e64 s[36:37], v31, v70
	s_or_b64 s[34:35], s[12:13], s[34:35]
	s_and_saveexec_b64 s[60:61], s[36:37]
	s_cbranch_execz .LBB386_841
; %bb.843:                              ;   in Loop: Header=BB386_842 Depth=1
	v_lshl_add_u64 v[68:69], v[68:69], 0, -1
	v_cmp_eq_u64_e64 s[12:13], 0, v[68:69]
	s_andn2_b64 s[36:37], s[56:57], exec
	s_and_b64 s[56:57], s[34:35], exec
	s_or_b64 s[56:57], s[36:37], s[56:57]
	s_andn2_b64 s[36:37], s[54:55], exec
	s_and_b64 s[12:13], s[12:13], exec
	v_lshl_add_u64 v[64:65], v[64:65], 0, 4
	v_lshl_add_u64 v[66:67], v[66:67], 0, 4
	s_andn2_b64 s[52:53], s[52:53], exec
	s_or_b64 s[54:55], s[36:37], s[12:13]
                                        ; implicit-def: $sgpr58_sgpr59
	s_branch .LBB386_841
.LBB386_844:
	s_or_b64 exec, exec, s[48:49]
	s_and_saveexec_b64 s[12:13], s[50:51]
	s_xor_b64 s[12:13], exec, s[12:13]
; %bb.845:
	v_cndmask_b32_e64 v65, v13, v15, s[46:47]
	v_cndmask_b32_e64 v64, v12, v14, s[46:47]
	v_cndmask_b32_e64 v15, v15, v13, s[46:47]
	v_cndmask_b32_e64 v14, v14, v12, s[46:47]
	v_mov_b64_e32 v[12:13], v[64:65]
; %bb.846:
	s_or_b64 exec, exec, s[12:13]
.LBB386_847:
	s_or_b64 exec, exec, s[44:45]
	s_or_b64 exec, exec, s[42:43]
	s_and_saveexec_b64 s[42:43], s[24:25]
	s_cbranch_execz .LBB386_769
.LBB386_848:
	s_and_saveexec_b64 s[44:45], s[8:9]
	s_cbranch_execz .LBB386_856
; %bb.849:
	v_mul_lo_u32 v31, v27, v6
	v_mul_lo_u32 v66, v26, v7
	v_mad_u64_u32 v[64:65], s[12:13], v26, v6, 0
	v_add3_u32 v65, v65, v66, v31
	v_mul_lo_u32 v31, v21, v6
	v_mul_lo_u32 v68, v20, v7
	v_mad_u64_u32 v[66:67], s[12:13], v20, v6, 0
	v_add3_u32 v67, v67, v68, v31
	v_lshl_add_u64 v[64:65], v[64:65], 2, v[8:9]
	v_lshl_add_u64 v[66:67], v[66:67], 2, v[8:9]
	s_mov_b64 s[48:49], 0
	v_mov_b64_e32 v[68:69], v[6:7]
                                        ; implicit-def: $sgpr46_sgpr47
                                        ; implicit-def: $sgpr50_sgpr51
                                        ; implicit-def: $sgpr54_sgpr55
                                        ; implicit-def: $sgpr52_sgpr53
                                        ; implicit-def: $sgpr56_sgpr57
                                        ; implicit-def: $sgpr58_sgpr59
	s_branch .LBB386_851
.LBB386_850:                            ;   in Loop: Header=BB386_851 Depth=1
	s_or_b64 exec, exec, s[60:61]
	s_and_b64 s[12:13], exec, s[54:55]
	s_or_b64 s[48:49], s[12:13], s[48:49]
	s_andn2_b64 s[12:13], s[58:59], exec
	s_and_b64 s[36:37], s[56:57], exec
	s_or_b64 s[58:59], s[12:13], s[36:37]
	s_andn2_b64 s[12:13], s[50:51], exec
	s_and_b64 s[36:37], s[52:53], exec
	;; [unrolled: 3-line block ×3, first 2 shown]
	s_or_b64 s[46:47], s[12:13], s[34:35]
	s_andn2_b64 exec, exec, s[48:49]
	s_cbranch_execz .LBB386_853
.LBB386_851:                            ; =>This Inner Loop Header: Depth=1
	flat_load_dword v31, v[66:67]
	flat_load_dword v70, v[64:65]
	s_andn2_b64 s[56:57], s[56:57], exec
	s_or_b64 s[52:53], s[52:53], exec
	s_or_b64 s[54:55], s[54:55], exec
	s_waitcnt vmcnt(0) lgkmcnt(0)
	v_cmp_le_i32_e64 s[34:35], v31, v70
	v_cmp_lt_i32_e64 s[12:13], v31, v70
	s_and_b64 s[34:35], s[34:35], s[58:59]
	v_cmp_eq_u32_e64 s[36:37], v31, v70
	s_or_b64 s[34:35], s[12:13], s[34:35]
	s_and_saveexec_b64 s[60:61], s[36:37]
	s_cbranch_execz .LBB386_850
; %bb.852:                              ;   in Loop: Header=BB386_851 Depth=1
	v_lshl_add_u64 v[68:69], v[68:69], 0, -1
	v_cmp_eq_u64_e64 s[12:13], 0, v[68:69]
	s_andn2_b64 s[36:37], s[56:57], exec
	s_and_b64 s[56:57], s[34:35], exec
	s_or_b64 s[56:57], s[36:37], s[56:57]
	s_andn2_b64 s[36:37], s[54:55], exec
	s_and_b64 s[12:13], s[12:13], exec
	v_lshl_add_u64 v[64:65], v[64:65], 0, 4
	v_lshl_add_u64 v[66:67], v[66:67], 0, 4
	s_andn2_b64 s[52:53], s[52:53], exec
	s_or_b64 s[54:55], s[36:37], s[12:13]
                                        ; implicit-def: $sgpr58_sgpr59
	s_branch .LBB386_850
.LBB386_853:
	s_or_b64 exec, exec, s[48:49]
	s_and_saveexec_b64 s[12:13], s[50:51]
	s_xor_b64 s[12:13], exec, s[12:13]
; %bb.854:
	v_cndmask_b32_e64 v65, v27, v21, s[46:47]
	v_cndmask_b32_e64 v64, v26, v20, s[46:47]
	;; [unrolled: 1-line block ×4, first 2 shown]
	v_mov_b64_e32 v[26:27], v[64:65]
; %bb.855:
	s_or_b64 exec, exec, s[12:13]
.LBB386_856:
	s_or_b64 exec, exec, s[44:45]
	s_or_b64 exec, exec, s[42:43]
	s_and_saveexec_b64 s[42:43], s[26:27]
	s_cbranch_execz .LBB386_770
.LBB386_857:
	s_and_saveexec_b64 s[44:45], s[8:9]
	s_cbranch_execz .LBB386_865
; %bb.858:
	v_mul_lo_u32 v31, v23, v6
	v_mul_lo_u32 v66, v22, v7
	v_mad_u64_u32 v[64:65], s[12:13], v22, v6, 0
	v_add3_u32 v65, v65, v66, v31
	v_mul_lo_u32 v31, v17, v6
	v_mul_lo_u32 v68, v16, v7
	v_mad_u64_u32 v[66:67], s[12:13], v16, v6, 0
	v_add3_u32 v67, v67, v68, v31
	v_lshl_add_u64 v[64:65], v[64:65], 2, v[8:9]
	v_lshl_add_u64 v[66:67], v[66:67], 2, v[8:9]
	s_mov_b64 s[48:49], 0
	v_mov_b64_e32 v[68:69], v[6:7]
                                        ; implicit-def: $sgpr46_sgpr47
                                        ; implicit-def: $sgpr50_sgpr51
                                        ; implicit-def: $sgpr54_sgpr55
                                        ; implicit-def: $sgpr52_sgpr53
                                        ; implicit-def: $sgpr56_sgpr57
                                        ; implicit-def: $sgpr58_sgpr59
	s_branch .LBB386_860
.LBB386_859:                            ;   in Loop: Header=BB386_860 Depth=1
	s_or_b64 exec, exec, s[60:61]
	s_and_b64 s[12:13], exec, s[54:55]
	s_or_b64 s[48:49], s[12:13], s[48:49]
	s_andn2_b64 s[12:13], s[58:59], exec
	s_and_b64 s[36:37], s[56:57], exec
	s_or_b64 s[58:59], s[12:13], s[36:37]
	s_andn2_b64 s[12:13], s[50:51], exec
	s_and_b64 s[36:37], s[52:53], exec
	;; [unrolled: 3-line block ×3, first 2 shown]
	s_or_b64 s[46:47], s[12:13], s[34:35]
	s_andn2_b64 exec, exec, s[48:49]
	s_cbranch_execz .LBB386_862
.LBB386_860:                            ; =>This Inner Loop Header: Depth=1
	flat_load_dword v31, v[66:67]
	flat_load_dword v70, v[64:65]
	s_andn2_b64 s[56:57], s[56:57], exec
	s_or_b64 s[52:53], s[52:53], exec
	s_or_b64 s[54:55], s[54:55], exec
	s_waitcnt vmcnt(0) lgkmcnt(0)
	v_cmp_le_i32_e64 s[34:35], v31, v70
	v_cmp_lt_i32_e64 s[12:13], v31, v70
	s_and_b64 s[34:35], s[34:35], s[58:59]
	v_cmp_eq_u32_e64 s[36:37], v31, v70
	s_or_b64 s[34:35], s[12:13], s[34:35]
	s_and_saveexec_b64 s[60:61], s[36:37]
	s_cbranch_execz .LBB386_859
; %bb.861:                              ;   in Loop: Header=BB386_860 Depth=1
	v_lshl_add_u64 v[68:69], v[68:69], 0, -1
	v_cmp_eq_u64_e64 s[12:13], 0, v[68:69]
	s_andn2_b64 s[36:37], s[56:57], exec
	s_and_b64 s[56:57], s[34:35], exec
	s_or_b64 s[56:57], s[36:37], s[56:57]
	s_andn2_b64 s[36:37], s[54:55], exec
	s_and_b64 s[12:13], s[12:13], exec
	v_lshl_add_u64 v[64:65], v[64:65], 0, 4
	v_lshl_add_u64 v[66:67], v[66:67], 0, 4
	s_andn2_b64 s[52:53], s[52:53], exec
	s_or_b64 s[54:55], s[36:37], s[12:13]
                                        ; implicit-def: $sgpr58_sgpr59
	s_branch .LBB386_859
.LBB386_862:
	s_or_b64 exec, exec, s[48:49]
	s_and_saveexec_b64 s[12:13], s[50:51]
	s_xor_b64 s[12:13], exec, s[12:13]
; %bb.863:
	v_cndmask_b32_e64 v65, v23, v17, s[46:47]
	v_cndmask_b32_e64 v64, v22, v16, s[46:47]
	;; [unrolled: 1-line block ×4, first 2 shown]
	v_mov_b64_e32 v[22:23], v[64:65]
; %bb.864:
	s_or_b64 exec, exec, s[12:13]
.LBB386_865:
	s_or_b64 exec, exec, s[44:45]
	s_or_b64 exec, exec, s[42:43]
	s_and_saveexec_b64 s[42:43], s[28:29]
	s_cbranch_execz .LBB386_771
.LBB386_866:
	s_and_saveexec_b64 s[44:45], s[8:9]
	s_cbranch_execz .LBB386_874
; %bb.867:
	v_mul_lo_u32 v31, v19, v6
	v_mul_lo_u32 v66, v18, v7
	v_mad_u64_u32 v[64:65], s[12:13], v18, v6, 0
	v_add3_u32 v65, v65, v66, v31
	v_mul_lo_u32 v31, v13, v6
	v_mul_lo_u32 v68, v12, v7
	v_mad_u64_u32 v[66:67], s[12:13], v12, v6, 0
	v_add3_u32 v67, v67, v68, v31
	v_lshl_add_u64 v[64:65], v[64:65], 2, v[8:9]
	v_lshl_add_u64 v[66:67], v[66:67], 2, v[8:9]
	s_mov_b64 s[48:49], 0
	v_mov_b64_e32 v[68:69], v[6:7]
                                        ; implicit-def: $sgpr46_sgpr47
                                        ; implicit-def: $sgpr50_sgpr51
                                        ; implicit-def: $sgpr54_sgpr55
                                        ; implicit-def: $sgpr52_sgpr53
                                        ; implicit-def: $sgpr56_sgpr57
                                        ; implicit-def: $sgpr58_sgpr59
	s_branch .LBB386_869
.LBB386_868:                            ;   in Loop: Header=BB386_869 Depth=1
	s_or_b64 exec, exec, s[60:61]
	s_and_b64 s[12:13], exec, s[54:55]
	s_or_b64 s[48:49], s[12:13], s[48:49]
	s_andn2_b64 s[12:13], s[58:59], exec
	s_and_b64 s[36:37], s[56:57], exec
	s_or_b64 s[58:59], s[12:13], s[36:37]
	s_andn2_b64 s[12:13], s[50:51], exec
	s_and_b64 s[36:37], s[52:53], exec
	;; [unrolled: 3-line block ×3, first 2 shown]
	s_or_b64 s[46:47], s[12:13], s[34:35]
	s_andn2_b64 exec, exec, s[48:49]
	s_cbranch_execz .LBB386_871
.LBB386_869:                            ; =>This Inner Loop Header: Depth=1
	flat_load_dword v31, v[66:67]
	flat_load_dword v70, v[64:65]
	s_andn2_b64 s[56:57], s[56:57], exec
	s_or_b64 s[52:53], s[52:53], exec
	s_or_b64 s[54:55], s[54:55], exec
	s_waitcnt vmcnt(0) lgkmcnt(0)
	v_cmp_le_i32_e64 s[34:35], v31, v70
	v_cmp_lt_i32_e64 s[12:13], v31, v70
	s_and_b64 s[34:35], s[34:35], s[58:59]
	v_cmp_eq_u32_e64 s[36:37], v31, v70
	s_or_b64 s[34:35], s[12:13], s[34:35]
	s_and_saveexec_b64 s[60:61], s[36:37]
	s_cbranch_execz .LBB386_868
; %bb.870:                              ;   in Loop: Header=BB386_869 Depth=1
	v_lshl_add_u64 v[68:69], v[68:69], 0, -1
	v_cmp_eq_u64_e64 s[12:13], 0, v[68:69]
	s_andn2_b64 s[36:37], s[56:57], exec
	s_and_b64 s[56:57], s[34:35], exec
	s_or_b64 s[56:57], s[36:37], s[56:57]
	s_andn2_b64 s[36:37], s[54:55], exec
	s_and_b64 s[12:13], s[12:13], exec
	v_lshl_add_u64 v[64:65], v[64:65], 0, 4
	v_lshl_add_u64 v[66:67], v[66:67], 0, 4
	s_andn2_b64 s[52:53], s[52:53], exec
	s_or_b64 s[54:55], s[36:37], s[12:13]
                                        ; implicit-def: $sgpr58_sgpr59
	s_branch .LBB386_868
.LBB386_871:
	s_or_b64 exec, exec, s[48:49]
	s_and_saveexec_b64 s[12:13], s[50:51]
	s_xor_b64 s[12:13], exec, s[12:13]
; %bb.872:
	v_cndmask_b32_e64 v65, v19, v13, s[46:47]
	v_cndmask_b32_e64 v64, v18, v12, s[46:47]
	;; [unrolled: 1-line block ×4, first 2 shown]
	v_mov_b64_e32 v[18:19], v[64:65]
; %bb.873:
	s_or_b64 exec, exec, s[12:13]
.LBB386_874:
	s_or_b64 exec, exec, s[44:45]
	s_or_b64 exec, exec, s[42:43]
	s_and_saveexec_b64 s[42:43], s[16:17]
	s_cbranch_execz .LBB386_772
.LBB386_875:
	s_and_saveexec_b64 s[44:45], s[8:9]
	s_cbranch_execz .LBB386_883
; %bb.876:
	v_mul_lo_u32 v31, v25, v6
	v_mul_lo_u32 v66, v24, v7
	v_mad_u64_u32 v[64:65], s[12:13], v24, v6, 0
	v_add3_u32 v65, v65, v66, v31
	v_mul_lo_u32 v31, v27, v6
	v_mul_lo_u32 v68, v26, v7
	v_mad_u64_u32 v[66:67], s[12:13], v26, v6, 0
	v_add3_u32 v67, v67, v68, v31
	v_lshl_add_u64 v[64:65], v[64:65], 2, v[8:9]
	v_lshl_add_u64 v[66:67], v[66:67], 2, v[8:9]
	s_mov_b64 s[48:49], 0
	v_mov_b64_e32 v[68:69], v[6:7]
                                        ; implicit-def: $sgpr46_sgpr47
                                        ; implicit-def: $sgpr50_sgpr51
                                        ; implicit-def: $sgpr54_sgpr55
                                        ; implicit-def: $sgpr52_sgpr53
                                        ; implicit-def: $sgpr56_sgpr57
                                        ; implicit-def: $sgpr58_sgpr59
	s_branch .LBB386_878
.LBB386_877:                            ;   in Loop: Header=BB386_878 Depth=1
	s_or_b64 exec, exec, s[60:61]
	s_and_b64 s[12:13], exec, s[54:55]
	s_or_b64 s[48:49], s[12:13], s[48:49]
	s_andn2_b64 s[12:13], s[58:59], exec
	s_and_b64 s[36:37], s[56:57], exec
	s_or_b64 s[58:59], s[12:13], s[36:37]
	s_andn2_b64 s[12:13], s[50:51], exec
	s_and_b64 s[36:37], s[52:53], exec
	;; [unrolled: 3-line block ×3, first 2 shown]
	s_or_b64 s[46:47], s[12:13], s[34:35]
	s_andn2_b64 exec, exec, s[48:49]
	s_cbranch_execz .LBB386_880
.LBB386_878:                            ; =>This Inner Loop Header: Depth=1
	flat_load_dword v31, v[66:67]
	flat_load_dword v70, v[64:65]
	s_andn2_b64 s[56:57], s[56:57], exec
	s_or_b64 s[52:53], s[52:53], exec
	s_or_b64 s[54:55], s[54:55], exec
	s_waitcnt vmcnt(0) lgkmcnt(0)
	v_cmp_le_i32_e64 s[34:35], v31, v70
	v_cmp_lt_i32_e64 s[12:13], v31, v70
	s_and_b64 s[34:35], s[34:35], s[58:59]
	v_cmp_eq_u32_e64 s[36:37], v31, v70
	s_or_b64 s[34:35], s[12:13], s[34:35]
	s_and_saveexec_b64 s[60:61], s[36:37]
	s_cbranch_execz .LBB386_877
; %bb.879:                              ;   in Loop: Header=BB386_878 Depth=1
	v_lshl_add_u64 v[68:69], v[68:69], 0, -1
	v_cmp_eq_u64_e64 s[12:13], 0, v[68:69]
	s_andn2_b64 s[36:37], s[56:57], exec
	s_and_b64 s[56:57], s[34:35], exec
	s_or_b64 s[56:57], s[36:37], s[56:57]
	s_andn2_b64 s[36:37], s[54:55], exec
	s_and_b64 s[12:13], s[12:13], exec
	v_lshl_add_u64 v[64:65], v[64:65], 0, 4
	v_lshl_add_u64 v[66:67], v[66:67], 0, 4
	s_andn2_b64 s[52:53], s[52:53], exec
	s_or_b64 s[54:55], s[36:37], s[12:13]
                                        ; implicit-def: $sgpr58_sgpr59
	s_branch .LBB386_877
.LBB386_880:
	s_or_b64 exec, exec, s[48:49]
	s_and_saveexec_b64 s[12:13], s[50:51]
	s_xor_b64 s[12:13], exec, s[12:13]
; %bb.881:
	v_cndmask_b32_e64 v65, v27, v25, s[46:47]
	v_cndmask_b32_e64 v64, v26, v24, s[46:47]
	;; [unrolled: 1-line block ×4, first 2 shown]
	v_mov_b64_e32 v[26:27], v[64:65]
; %bb.882:
	s_or_b64 exec, exec, s[12:13]
.LBB386_883:
	s_or_b64 exec, exec, s[44:45]
	s_or_b64 exec, exec, s[42:43]
	s_and_saveexec_b64 s[42:43], s[18:19]
	s_cbranch_execz .LBB386_773
.LBB386_884:
	s_and_saveexec_b64 s[44:45], s[8:9]
	s_cbranch_execz .LBB386_892
; %bb.885:
	v_mul_lo_u32 v31, v21, v6
	v_mul_lo_u32 v66, v20, v7
	v_mad_u64_u32 v[64:65], s[12:13], v20, v6, 0
	v_add3_u32 v65, v65, v66, v31
	v_mul_lo_u32 v31, v23, v6
	v_mul_lo_u32 v68, v22, v7
	v_mad_u64_u32 v[66:67], s[12:13], v22, v6, 0
	v_add3_u32 v67, v67, v68, v31
	v_lshl_add_u64 v[64:65], v[64:65], 2, v[8:9]
	v_lshl_add_u64 v[66:67], v[66:67], 2, v[8:9]
	s_mov_b64 s[48:49], 0
	v_mov_b64_e32 v[68:69], v[6:7]
                                        ; implicit-def: $sgpr46_sgpr47
                                        ; implicit-def: $sgpr50_sgpr51
                                        ; implicit-def: $sgpr54_sgpr55
                                        ; implicit-def: $sgpr52_sgpr53
                                        ; implicit-def: $sgpr56_sgpr57
                                        ; implicit-def: $sgpr58_sgpr59
	s_branch .LBB386_887
.LBB386_886:                            ;   in Loop: Header=BB386_887 Depth=1
	s_or_b64 exec, exec, s[60:61]
	s_and_b64 s[12:13], exec, s[54:55]
	s_or_b64 s[48:49], s[12:13], s[48:49]
	s_andn2_b64 s[12:13], s[58:59], exec
	s_and_b64 s[36:37], s[56:57], exec
	s_or_b64 s[58:59], s[12:13], s[36:37]
	s_andn2_b64 s[12:13], s[50:51], exec
	s_and_b64 s[36:37], s[52:53], exec
	;; [unrolled: 3-line block ×3, first 2 shown]
	s_or_b64 s[46:47], s[12:13], s[34:35]
	s_andn2_b64 exec, exec, s[48:49]
	s_cbranch_execz .LBB386_889
.LBB386_887:                            ; =>This Inner Loop Header: Depth=1
	flat_load_dword v31, v[66:67]
	flat_load_dword v70, v[64:65]
	s_andn2_b64 s[56:57], s[56:57], exec
	s_or_b64 s[52:53], s[52:53], exec
	s_or_b64 s[54:55], s[54:55], exec
	s_waitcnt vmcnt(0) lgkmcnt(0)
	v_cmp_le_i32_e64 s[34:35], v31, v70
	v_cmp_lt_i32_e64 s[12:13], v31, v70
	s_and_b64 s[34:35], s[34:35], s[58:59]
	v_cmp_eq_u32_e64 s[36:37], v31, v70
	s_or_b64 s[34:35], s[12:13], s[34:35]
	s_and_saveexec_b64 s[60:61], s[36:37]
	s_cbranch_execz .LBB386_886
; %bb.888:                              ;   in Loop: Header=BB386_887 Depth=1
	v_lshl_add_u64 v[68:69], v[68:69], 0, -1
	v_cmp_eq_u64_e64 s[12:13], 0, v[68:69]
	s_andn2_b64 s[36:37], s[56:57], exec
	s_and_b64 s[56:57], s[34:35], exec
	s_or_b64 s[56:57], s[36:37], s[56:57]
	s_andn2_b64 s[36:37], s[54:55], exec
	s_and_b64 s[12:13], s[12:13], exec
	v_lshl_add_u64 v[64:65], v[64:65], 0, 4
	v_lshl_add_u64 v[66:67], v[66:67], 0, 4
	s_andn2_b64 s[52:53], s[52:53], exec
	s_or_b64 s[54:55], s[36:37], s[12:13]
                                        ; implicit-def: $sgpr58_sgpr59
	s_branch .LBB386_886
.LBB386_889:
	s_or_b64 exec, exec, s[48:49]
	s_and_saveexec_b64 s[12:13], s[50:51]
	s_xor_b64 s[12:13], exec, s[12:13]
; %bb.890:
	v_cndmask_b32_e64 v65, v21, v23, s[46:47]
	v_cndmask_b32_e64 v64, v20, v22, s[46:47]
	;; [unrolled: 1-line block ×4, first 2 shown]
	v_mov_b64_e32 v[20:21], v[64:65]
; %bb.891:
	s_or_b64 exec, exec, s[12:13]
.LBB386_892:
	s_or_b64 exec, exec, s[44:45]
	s_or_b64 exec, exec, s[42:43]
	s_and_saveexec_b64 s[42:43], s[20:21]
	s_cbranch_execz .LBB386_774
.LBB386_893:
	s_and_saveexec_b64 s[44:45], s[8:9]
	s_cbranch_execz .LBB386_901
; %bb.894:
	v_mul_lo_u32 v31, v17, v6
	v_mul_lo_u32 v66, v16, v7
	v_mad_u64_u32 v[64:65], s[12:13], v16, v6, 0
	v_add3_u32 v65, v65, v66, v31
	v_mul_lo_u32 v31, v19, v6
	v_mul_lo_u32 v68, v18, v7
	v_mad_u64_u32 v[66:67], s[12:13], v18, v6, 0
	v_add3_u32 v67, v67, v68, v31
	v_lshl_add_u64 v[64:65], v[64:65], 2, v[8:9]
	v_lshl_add_u64 v[66:67], v[66:67], 2, v[8:9]
	s_mov_b64 s[48:49], 0
	v_mov_b64_e32 v[68:69], v[6:7]
                                        ; implicit-def: $sgpr46_sgpr47
                                        ; implicit-def: $sgpr50_sgpr51
                                        ; implicit-def: $sgpr54_sgpr55
                                        ; implicit-def: $sgpr52_sgpr53
                                        ; implicit-def: $sgpr56_sgpr57
                                        ; implicit-def: $sgpr58_sgpr59
	s_branch .LBB386_896
.LBB386_895:                            ;   in Loop: Header=BB386_896 Depth=1
	s_or_b64 exec, exec, s[60:61]
	s_and_b64 s[12:13], exec, s[54:55]
	s_or_b64 s[48:49], s[12:13], s[48:49]
	s_andn2_b64 s[12:13], s[58:59], exec
	s_and_b64 s[36:37], s[56:57], exec
	s_or_b64 s[58:59], s[12:13], s[36:37]
	s_andn2_b64 s[12:13], s[50:51], exec
	s_and_b64 s[36:37], s[52:53], exec
	;; [unrolled: 3-line block ×3, first 2 shown]
	s_or_b64 s[46:47], s[12:13], s[34:35]
	s_andn2_b64 exec, exec, s[48:49]
	s_cbranch_execz .LBB386_898
.LBB386_896:                            ; =>This Inner Loop Header: Depth=1
	flat_load_dword v31, v[66:67]
	flat_load_dword v70, v[64:65]
	s_andn2_b64 s[56:57], s[56:57], exec
	s_or_b64 s[52:53], s[52:53], exec
	s_or_b64 s[54:55], s[54:55], exec
	s_waitcnt vmcnt(0) lgkmcnt(0)
	v_cmp_le_i32_e64 s[34:35], v31, v70
	v_cmp_lt_i32_e64 s[12:13], v31, v70
	s_and_b64 s[34:35], s[34:35], s[58:59]
	v_cmp_eq_u32_e64 s[36:37], v31, v70
	s_or_b64 s[34:35], s[12:13], s[34:35]
	s_and_saveexec_b64 s[60:61], s[36:37]
	s_cbranch_execz .LBB386_895
; %bb.897:                              ;   in Loop: Header=BB386_896 Depth=1
	v_lshl_add_u64 v[68:69], v[68:69], 0, -1
	v_cmp_eq_u64_e64 s[12:13], 0, v[68:69]
	s_andn2_b64 s[36:37], s[56:57], exec
	s_and_b64 s[56:57], s[34:35], exec
	s_or_b64 s[56:57], s[36:37], s[56:57]
	s_andn2_b64 s[36:37], s[54:55], exec
	s_and_b64 s[12:13], s[12:13], exec
	v_lshl_add_u64 v[64:65], v[64:65], 0, 4
	v_lshl_add_u64 v[66:67], v[66:67], 0, 4
	s_andn2_b64 s[52:53], s[52:53], exec
	s_or_b64 s[54:55], s[36:37], s[12:13]
                                        ; implicit-def: $sgpr58_sgpr59
	s_branch .LBB386_895
.LBB386_898:
	s_or_b64 exec, exec, s[48:49]
	s_and_saveexec_b64 s[12:13], s[50:51]
	s_xor_b64 s[12:13], exec, s[12:13]
; %bb.899:
	v_cndmask_b32_e64 v65, v17, v19, s[46:47]
	v_cndmask_b32_e64 v64, v16, v18, s[46:47]
	;; [unrolled: 1-line block ×4, first 2 shown]
	v_mov_b64_e32 v[16:17], v[64:65]
; %bb.900:
	s_or_b64 exec, exec, s[12:13]
.LBB386_901:
	s_or_b64 exec, exec, s[44:45]
	s_or_b64 exec, exec, s[42:43]
	s_and_saveexec_b64 s[42:43], s[22:23]
	s_cbranch_execz .LBB386_775
.LBB386_902:
	s_and_saveexec_b64 s[44:45], s[8:9]
	s_cbranch_execz .LBB386_910
; %bb.903:
	v_mul_lo_u32 v31, v13, v6
	v_mul_lo_u32 v66, v12, v7
	v_mad_u64_u32 v[64:65], s[12:13], v12, v6, 0
	v_add3_u32 v65, v65, v66, v31
	v_mul_lo_u32 v31, v15, v6
	v_mul_lo_u32 v68, v14, v7
	v_mad_u64_u32 v[66:67], s[12:13], v14, v6, 0
	v_add3_u32 v67, v67, v68, v31
	v_lshl_add_u64 v[64:65], v[64:65], 2, v[8:9]
	v_lshl_add_u64 v[66:67], v[66:67], 2, v[8:9]
	s_mov_b64 s[48:49], 0
	v_mov_b64_e32 v[68:69], v[6:7]
                                        ; implicit-def: $sgpr46_sgpr47
                                        ; implicit-def: $sgpr50_sgpr51
                                        ; implicit-def: $sgpr54_sgpr55
                                        ; implicit-def: $sgpr52_sgpr53
                                        ; implicit-def: $sgpr56_sgpr57
                                        ; implicit-def: $sgpr58_sgpr59
	s_branch .LBB386_905
.LBB386_904:                            ;   in Loop: Header=BB386_905 Depth=1
	s_or_b64 exec, exec, s[60:61]
	s_and_b64 s[12:13], exec, s[54:55]
	s_or_b64 s[48:49], s[12:13], s[48:49]
	s_andn2_b64 s[12:13], s[58:59], exec
	s_and_b64 s[36:37], s[56:57], exec
	s_or_b64 s[58:59], s[12:13], s[36:37]
	s_andn2_b64 s[12:13], s[50:51], exec
	s_and_b64 s[36:37], s[52:53], exec
	s_or_b64 s[50:51], s[12:13], s[36:37]
	s_andn2_b64 s[12:13], s[46:47], exec
	s_and_b64 s[34:35], s[34:35], exec
	s_or_b64 s[46:47], s[12:13], s[34:35]
	s_andn2_b64 exec, exec, s[48:49]
	s_cbranch_execz .LBB386_907
.LBB386_905:                            ; =>This Inner Loop Header: Depth=1
	flat_load_dword v31, v[66:67]
	flat_load_dword v70, v[64:65]
	s_andn2_b64 s[56:57], s[56:57], exec
	s_or_b64 s[52:53], s[52:53], exec
	s_or_b64 s[54:55], s[54:55], exec
	s_waitcnt vmcnt(0) lgkmcnt(0)
	v_cmp_le_i32_e64 s[34:35], v31, v70
	v_cmp_lt_i32_e64 s[12:13], v31, v70
	s_and_b64 s[34:35], s[34:35], s[58:59]
	v_cmp_eq_u32_e64 s[36:37], v31, v70
	s_or_b64 s[34:35], s[12:13], s[34:35]
	s_and_saveexec_b64 s[60:61], s[36:37]
	s_cbranch_execz .LBB386_904
; %bb.906:                              ;   in Loop: Header=BB386_905 Depth=1
	v_lshl_add_u64 v[68:69], v[68:69], 0, -1
	v_cmp_eq_u64_e64 s[12:13], 0, v[68:69]
	s_andn2_b64 s[36:37], s[56:57], exec
	s_and_b64 s[56:57], s[34:35], exec
	s_or_b64 s[56:57], s[36:37], s[56:57]
	s_andn2_b64 s[36:37], s[54:55], exec
	s_and_b64 s[12:13], s[12:13], exec
	v_lshl_add_u64 v[64:65], v[64:65], 0, 4
	v_lshl_add_u64 v[66:67], v[66:67], 0, 4
	s_andn2_b64 s[52:53], s[52:53], exec
	s_or_b64 s[54:55], s[36:37], s[12:13]
                                        ; implicit-def: $sgpr58_sgpr59
	s_branch .LBB386_904
.LBB386_907:
	s_or_b64 exec, exec, s[48:49]
	s_and_saveexec_b64 s[12:13], s[50:51]
	s_xor_b64 s[12:13], exec, s[12:13]
; %bb.908:
	v_cndmask_b32_e64 v65, v13, v15, s[46:47]
	v_cndmask_b32_e64 v64, v12, v14, s[46:47]
	;; [unrolled: 1-line block ×4, first 2 shown]
	v_mov_b64_e32 v[12:13], v[64:65]
; %bb.909:
	s_or_b64 exec, exec, s[12:13]
.LBB386_910:
	s_or_b64 exec, exec, s[44:45]
	s_or_b64 exec, exec, s[42:43]
	s_and_saveexec_b64 s[42:43], s[24:25]
	s_cbranch_execz .LBB386_776
.LBB386_911:
	s_and_saveexec_b64 s[44:45], s[8:9]
	s_cbranch_execz .LBB386_919
; %bb.912:
	v_mul_lo_u32 v31, v27, v6
	v_mul_lo_u32 v66, v26, v7
	v_mad_u64_u32 v[64:65], s[12:13], v26, v6, 0
	v_add3_u32 v65, v65, v66, v31
	v_mul_lo_u32 v31, v21, v6
	v_mul_lo_u32 v68, v20, v7
	v_mad_u64_u32 v[66:67], s[12:13], v20, v6, 0
	v_add3_u32 v67, v67, v68, v31
	v_lshl_add_u64 v[64:65], v[64:65], 2, v[8:9]
	v_lshl_add_u64 v[66:67], v[66:67], 2, v[8:9]
	s_mov_b64 s[48:49], 0
	v_mov_b64_e32 v[68:69], v[6:7]
                                        ; implicit-def: $sgpr46_sgpr47
                                        ; implicit-def: $sgpr50_sgpr51
                                        ; implicit-def: $sgpr54_sgpr55
                                        ; implicit-def: $sgpr52_sgpr53
                                        ; implicit-def: $sgpr56_sgpr57
                                        ; implicit-def: $sgpr58_sgpr59
	s_branch .LBB386_914
.LBB386_913:                            ;   in Loop: Header=BB386_914 Depth=1
	s_or_b64 exec, exec, s[60:61]
	s_and_b64 s[12:13], exec, s[54:55]
	s_or_b64 s[48:49], s[12:13], s[48:49]
	s_andn2_b64 s[12:13], s[58:59], exec
	s_and_b64 s[36:37], s[56:57], exec
	s_or_b64 s[58:59], s[12:13], s[36:37]
	s_andn2_b64 s[12:13], s[50:51], exec
	s_and_b64 s[36:37], s[52:53], exec
	;; [unrolled: 3-line block ×3, first 2 shown]
	s_or_b64 s[46:47], s[12:13], s[34:35]
	s_andn2_b64 exec, exec, s[48:49]
	s_cbranch_execz .LBB386_916
.LBB386_914:                            ; =>This Inner Loop Header: Depth=1
	flat_load_dword v31, v[66:67]
	flat_load_dword v70, v[64:65]
	s_andn2_b64 s[56:57], s[56:57], exec
	s_or_b64 s[52:53], s[52:53], exec
	s_or_b64 s[54:55], s[54:55], exec
	s_waitcnt vmcnt(0) lgkmcnt(0)
	v_cmp_le_i32_e64 s[34:35], v31, v70
	v_cmp_lt_i32_e64 s[12:13], v31, v70
	s_and_b64 s[34:35], s[34:35], s[58:59]
	v_cmp_eq_u32_e64 s[36:37], v31, v70
	s_or_b64 s[34:35], s[12:13], s[34:35]
	s_and_saveexec_b64 s[60:61], s[36:37]
	s_cbranch_execz .LBB386_913
; %bb.915:                              ;   in Loop: Header=BB386_914 Depth=1
	v_lshl_add_u64 v[68:69], v[68:69], 0, -1
	v_cmp_eq_u64_e64 s[12:13], 0, v[68:69]
	s_andn2_b64 s[36:37], s[56:57], exec
	s_and_b64 s[56:57], s[34:35], exec
	s_or_b64 s[56:57], s[36:37], s[56:57]
	s_andn2_b64 s[36:37], s[54:55], exec
	s_and_b64 s[12:13], s[12:13], exec
	v_lshl_add_u64 v[64:65], v[64:65], 0, 4
	v_lshl_add_u64 v[66:67], v[66:67], 0, 4
	s_andn2_b64 s[52:53], s[52:53], exec
	s_or_b64 s[54:55], s[36:37], s[12:13]
                                        ; implicit-def: $sgpr58_sgpr59
	s_branch .LBB386_913
.LBB386_916:
	s_or_b64 exec, exec, s[48:49]
	s_and_saveexec_b64 s[12:13], s[50:51]
	s_xor_b64 s[12:13], exec, s[12:13]
; %bb.917:
	v_cndmask_b32_e64 v65, v27, v21, s[46:47]
	v_cndmask_b32_e64 v64, v26, v20, s[46:47]
	;; [unrolled: 1-line block ×4, first 2 shown]
	v_mov_b64_e32 v[26:27], v[64:65]
; %bb.918:
	s_or_b64 exec, exec, s[12:13]
.LBB386_919:
	s_or_b64 exec, exec, s[44:45]
	s_or_b64 exec, exec, s[42:43]
	s_and_saveexec_b64 s[42:43], s[26:27]
	s_cbranch_execz .LBB386_777
.LBB386_920:
	s_and_saveexec_b64 s[44:45], s[8:9]
	s_cbranch_execz .LBB386_928
; %bb.921:
	v_mul_lo_u32 v31, v23, v6
	v_mul_lo_u32 v66, v22, v7
	v_mad_u64_u32 v[64:65], s[12:13], v22, v6, 0
	v_add3_u32 v65, v65, v66, v31
	v_mul_lo_u32 v31, v17, v6
	v_mul_lo_u32 v68, v16, v7
	v_mad_u64_u32 v[66:67], s[12:13], v16, v6, 0
	v_add3_u32 v67, v67, v68, v31
	v_lshl_add_u64 v[64:65], v[64:65], 2, v[8:9]
	v_lshl_add_u64 v[66:67], v[66:67], 2, v[8:9]
	s_mov_b64 s[48:49], 0
	v_mov_b64_e32 v[68:69], v[6:7]
                                        ; implicit-def: $sgpr46_sgpr47
                                        ; implicit-def: $sgpr50_sgpr51
                                        ; implicit-def: $sgpr54_sgpr55
                                        ; implicit-def: $sgpr52_sgpr53
                                        ; implicit-def: $sgpr56_sgpr57
                                        ; implicit-def: $sgpr58_sgpr59
	s_branch .LBB386_923
.LBB386_922:                            ;   in Loop: Header=BB386_923 Depth=1
	s_or_b64 exec, exec, s[60:61]
	s_and_b64 s[12:13], exec, s[54:55]
	s_or_b64 s[48:49], s[12:13], s[48:49]
	s_andn2_b64 s[12:13], s[58:59], exec
	s_and_b64 s[36:37], s[56:57], exec
	s_or_b64 s[58:59], s[12:13], s[36:37]
	s_andn2_b64 s[12:13], s[50:51], exec
	s_and_b64 s[36:37], s[52:53], exec
	;; [unrolled: 3-line block ×3, first 2 shown]
	s_or_b64 s[46:47], s[12:13], s[34:35]
	s_andn2_b64 exec, exec, s[48:49]
	s_cbranch_execz .LBB386_925
.LBB386_923:                            ; =>This Inner Loop Header: Depth=1
	flat_load_dword v31, v[66:67]
	flat_load_dword v70, v[64:65]
	s_andn2_b64 s[56:57], s[56:57], exec
	s_or_b64 s[52:53], s[52:53], exec
	s_or_b64 s[54:55], s[54:55], exec
	s_waitcnt vmcnt(0) lgkmcnt(0)
	v_cmp_le_i32_e64 s[34:35], v31, v70
	v_cmp_lt_i32_e64 s[12:13], v31, v70
	s_and_b64 s[34:35], s[34:35], s[58:59]
	v_cmp_eq_u32_e64 s[36:37], v31, v70
	s_or_b64 s[34:35], s[12:13], s[34:35]
	s_and_saveexec_b64 s[60:61], s[36:37]
	s_cbranch_execz .LBB386_922
; %bb.924:                              ;   in Loop: Header=BB386_923 Depth=1
	v_lshl_add_u64 v[68:69], v[68:69], 0, -1
	v_cmp_eq_u64_e64 s[12:13], 0, v[68:69]
	s_andn2_b64 s[36:37], s[56:57], exec
	s_and_b64 s[56:57], s[34:35], exec
	s_or_b64 s[56:57], s[36:37], s[56:57]
	s_andn2_b64 s[36:37], s[54:55], exec
	s_and_b64 s[12:13], s[12:13], exec
	v_lshl_add_u64 v[64:65], v[64:65], 0, 4
	v_lshl_add_u64 v[66:67], v[66:67], 0, 4
	s_andn2_b64 s[52:53], s[52:53], exec
	s_or_b64 s[54:55], s[36:37], s[12:13]
                                        ; implicit-def: $sgpr58_sgpr59
	s_branch .LBB386_922
.LBB386_925:
	s_or_b64 exec, exec, s[48:49]
	s_and_saveexec_b64 s[12:13], s[50:51]
	s_xor_b64 s[12:13], exec, s[12:13]
; %bb.926:
	v_cndmask_b32_e64 v65, v23, v17, s[46:47]
	v_cndmask_b32_e64 v64, v22, v16, s[46:47]
	;; [unrolled: 1-line block ×4, first 2 shown]
	v_mov_b64_e32 v[22:23], v[64:65]
; %bb.927:
	s_or_b64 exec, exec, s[12:13]
.LBB386_928:
	s_or_b64 exec, exec, s[44:45]
	s_or_b64 exec, exec, s[42:43]
	s_and_saveexec_b64 s[42:43], s[28:29]
	s_cbranch_execz .LBB386_778
.LBB386_929:
	s_and_saveexec_b64 s[44:45], s[8:9]
	s_cbranch_execz .LBB386_937
; %bb.930:
	v_mul_lo_u32 v31, v19, v6
	v_mul_lo_u32 v66, v18, v7
	v_mad_u64_u32 v[64:65], s[12:13], v18, v6, 0
	v_add3_u32 v65, v65, v66, v31
	v_mul_lo_u32 v31, v13, v6
	v_mul_lo_u32 v68, v12, v7
	v_mad_u64_u32 v[66:67], s[12:13], v12, v6, 0
	v_add3_u32 v67, v67, v68, v31
	v_lshl_add_u64 v[64:65], v[64:65], 2, v[8:9]
	v_lshl_add_u64 v[66:67], v[66:67], 2, v[8:9]
	s_mov_b64 s[48:49], 0
	v_mov_b64_e32 v[68:69], v[6:7]
                                        ; implicit-def: $sgpr46_sgpr47
                                        ; implicit-def: $sgpr50_sgpr51
                                        ; implicit-def: $sgpr54_sgpr55
                                        ; implicit-def: $sgpr52_sgpr53
                                        ; implicit-def: $sgpr56_sgpr57
                                        ; implicit-def: $sgpr58_sgpr59
	s_branch .LBB386_932
.LBB386_931:                            ;   in Loop: Header=BB386_932 Depth=1
	s_or_b64 exec, exec, s[60:61]
	s_and_b64 s[12:13], exec, s[54:55]
	s_or_b64 s[48:49], s[12:13], s[48:49]
	s_andn2_b64 s[12:13], s[58:59], exec
	s_and_b64 s[36:37], s[56:57], exec
	s_or_b64 s[58:59], s[12:13], s[36:37]
	s_andn2_b64 s[12:13], s[50:51], exec
	s_and_b64 s[36:37], s[52:53], exec
	s_or_b64 s[50:51], s[12:13], s[36:37]
	s_andn2_b64 s[12:13], s[46:47], exec
	s_and_b64 s[34:35], s[34:35], exec
	s_or_b64 s[46:47], s[12:13], s[34:35]
	s_andn2_b64 exec, exec, s[48:49]
	s_cbranch_execz .LBB386_934
.LBB386_932:                            ; =>This Inner Loop Header: Depth=1
	flat_load_dword v31, v[66:67]
	flat_load_dword v70, v[64:65]
	s_andn2_b64 s[56:57], s[56:57], exec
	s_or_b64 s[52:53], s[52:53], exec
	s_or_b64 s[54:55], s[54:55], exec
	s_waitcnt vmcnt(0) lgkmcnt(0)
	v_cmp_le_i32_e64 s[34:35], v31, v70
	v_cmp_lt_i32_e64 s[12:13], v31, v70
	s_and_b64 s[34:35], s[34:35], s[58:59]
	v_cmp_eq_u32_e64 s[36:37], v31, v70
	s_or_b64 s[34:35], s[12:13], s[34:35]
	s_and_saveexec_b64 s[60:61], s[36:37]
	s_cbranch_execz .LBB386_931
; %bb.933:                              ;   in Loop: Header=BB386_932 Depth=1
	v_lshl_add_u64 v[68:69], v[68:69], 0, -1
	v_cmp_eq_u64_e64 s[12:13], 0, v[68:69]
	s_andn2_b64 s[36:37], s[56:57], exec
	s_and_b64 s[56:57], s[34:35], exec
	s_or_b64 s[56:57], s[36:37], s[56:57]
	s_andn2_b64 s[36:37], s[54:55], exec
	s_and_b64 s[12:13], s[12:13], exec
	v_lshl_add_u64 v[64:65], v[64:65], 0, 4
	v_lshl_add_u64 v[66:67], v[66:67], 0, 4
	s_andn2_b64 s[52:53], s[52:53], exec
	s_or_b64 s[54:55], s[36:37], s[12:13]
                                        ; implicit-def: $sgpr58_sgpr59
	s_branch .LBB386_931
.LBB386_934:
	s_or_b64 exec, exec, s[48:49]
	s_and_saveexec_b64 s[12:13], s[50:51]
	s_xor_b64 s[12:13], exec, s[12:13]
; %bb.935:
	v_cndmask_b32_e64 v65, v19, v13, s[46:47]
	v_cndmask_b32_e64 v64, v18, v12, s[46:47]
	;; [unrolled: 1-line block ×4, first 2 shown]
	v_mov_b64_e32 v[18:19], v[64:65]
; %bb.936:
	s_or_b64 exec, exec, s[12:13]
.LBB386_937:
	s_or_b64 exec, exec, s[44:45]
	s_or_b64 exec, exec, s[42:43]
	s_and_saveexec_b64 s[36:37], s[16:17]
	s_cbranch_execz .LBB386_779
.LBB386_938:
	s_and_saveexec_b64 s[42:43], s[8:9]
	s_cbranch_execz .LBB386_946
; %bb.939:
	v_mul_lo_u32 v31, v25, v6
	v_mul_lo_u32 v66, v24, v7
	v_mad_u64_u32 v[64:65], s[12:13], v24, v6, 0
	v_add3_u32 v65, v65, v66, v31
	v_mul_lo_u32 v31, v27, v6
	v_mul_lo_u32 v68, v26, v7
	v_mad_u64_u32 v[66:67], s[12:13], v26, v6, 0
	v_add3_u32 v67, v67, v68, v31
	v_lshl_add_u64 v[64:65], v[64:65], 2, v[8:9]
	v_lshl_add_u64 v[66:67], v[66:67], 2, v[8:9]
	s_mov_b64 s[46:47], 0
	v_mov_b64_e32 v[68:69], v[6:7]
                                        ; implicit-def: $sgpr44_sgpr45
                                        ; implicit-def: $sgpr48_sgpr49
                                        ; implicit-def: $sgpr52_sgpr53
                                        ; implicit-def: $sgpr50_sgpr51
                                        ; implicit-def: $sgpr54_sgpr55
                                        ; implicit-def: $sgpr56_sgpr57
	s_branch .LBB386_941
.LBB386_940:                            ;   in Loop: Header=BB386_941 Depth=1
	s_or_b64 exec, exec, s[58:59]
	s_and_b64 s[12:13], exec, s[52:53]
	s_or_b64 s[46:47], s[12:13], s[46:47]
	s_andn2_b64 s[12:13], s[56:57], exec
	s_and_b64 s[34:35], s[54:55], exec
	s_or_b64 s[56:57], s[12:13], s[34:35]
	s_andn2_b64 s[12:13], s[48:49], exec
	s_and_b64 s[34:35], s[50:51], exec
	;; [unrolled: 3-line block ×3, first 2 shown]
	s_or_b64 s[44:45], s[12:13], s[16:17]
	s_andn2_b64 exec, exec, s[46:47]
	s_cbranch_execz .LBB386_943
.LBB386_941:                            ; =>This Inner Loop Header: Depth=1
	flat_load_dword v31, v[66:67]
	flat_load_dword v70, v[64:65]
	s_andn2_b64 s[54:55], s[54:55], exec
	s_or_b64 s[50:51], s[50:51], exec
	s_or_b64 s[52:53], s[52:53], exec
	s_waitcnt vmcnt(0) lgkmcnt(0)
	v_cmp_le_i32_e64 s[16:17], v31, v70
	v_cmp_lt_i32_e64 s[12:13], v31, v70
	s_and_b64 s[16:17], s[16:17], s[56:57]
	v_cmp_eq_u32_e64 s[34:35], v31, v70
	s_or_b64 s[16:17], s[12:13], s[16:17]
	s_and_saveexec_b64 s[58:59], s[34:35]
	s_cbranch_execz .LBB386_940
; %bb.942:                              ;   in Loop: Header=BB386_941 Depth=1
	v_lshl_add_u64 v[68:69], v[68:69], 0, -1
	v_cmp_eq_u64_e64 s[12:13], 0, v[68:69]
	s_andn2_b64 s[34:35], s[54:55], exec
	s_and_b64 s[54:55], s[16:17], exec
	s_or_b64 s[54:55], s[34:35], s[54:55]
	s_andn2_b64 s[34:35], s[52:53], exec
	s_and_b64 s[12:13], s[12:13], exec
	v_lshl_add_u64 v[64:65], v[64:65], 0, 4
	v_lshl_add_u64 v[66:67], v[66:67], 0, 4
	s_andn2_b64 s[50:51], s[50:51], exec
	s_or_b64 s[52:53], s[34:35], s[12:13]
                                        ; implicit-def: $sgpr56_sgpr57
	s_branch .LBB386_940
.LBB386_943:
	s_or_b64 exec, exec, s[46:47]
	s_and_saveexec_b64 s[12:13], s[48:49]
	s_xor_b64 s[12:13], exec, s[12:13]
; %bb.944:
	v_cndmask_b32_e64 v65, v27, v25, s[44:45]
	v_cndmask_b32_e64 v64, v26, v24, s[44:45]
	;; [unrolled: 1-line block ×4, first 2 shown]
	v_mov_b64_e32 v[26:27], v[64:65]
; %bb.945:
	s_or_b64 exec, exec, s[12:13]
.LBB386_946:
	s_or_b64 exec, exec, s[42:43]
	s_or_b64 exec, exec, s[36:37]
	s_and_saveexec_b64 s[34:35], s[18:19]
	s_cbranch_execz .LBB386_780
.LBB386_947:
	s_and_saveexec_b64 s[36:37], s[8:9]
	s_cbranch_execz .LBB386_955
; %bb.948:
	v_mul_lo_u32 v31, v21, v6
	v_mul_lo_u32 v66, v20, v7
	v_mad_u64_u32 v[64:65], s[12:13], v20, v6, 0
	v_add3_u32 v65, v65, v66, v31
	v_mul_lo_u32 v31, v23, v6
	v_mul_lo_u32 v68, v22, v7
	v_mad_u64_u32 v[66:67], s[12:13], v22, v6, 0
	v_add3_u32 v67, v67, v68, v31
	v_lshl_add_u64 v[64:65], v[64:65], 2, v[8:9]
	v_lshl_add_u64 v[66:67], v[66:67], 2, v[8:9]
	s_mov_b64 s[44:45], 0
	v_mov_b64_e32 v[68:69], v[6:7]
                                        ; implicit-def: $sgpr42_sgpr43
                                        ; implicit-def: $sgpr46_sgpr47
                                        ; implicit-def: $sgpr50_sgpr51
                                        ; implicit-def: $sgpr48_sgpr49
                                        ; implicit-def: $sgpr52_sgpr53
                                        ; implicit-def: $sgpr54_sgpr55
	s_branch .LBB386_950
.LBB386_949:                            ;   in Loop: Header=BB386_950 Depth=1
	s_or_b64 exec, exec, s[56:57]
	s_and_b64 s[12:13], exec, s[50:51]
	s_or_b64 s[44:45], s[12:13], s[44:45]
	s_andn2_b64 s[12:13], s[54:55], exec
	s_and_b64 s[18:19], s[52:53], exec
	s_or_b64 s[54:55], s[12:13], s[18:19]
	s_andn2_b64 s[12:13], s[46:47], exec
	s_and_b64 s[18:19], s[48:49], exec
	;; [unrolled: 3-line block ×3, first 2 shown]
	s_or_b64 s[42:43], s[12:13], s[16:17]
	s_andn2_b64 exec, exec, s[44:45]
	s_cbranch_execz .LBB386_952
.LBB386_950:                            ; =>This Inner Loop Header: Depth=1
	flat_load_dword v31, v[66:67]
	flat_load_dword v70, v[64:65]
	s_andn2_b64 s[52:53], s[52:53], exec
	s_or_b64 s[48:49], s[48:49], exec
	s_or_b64 s[50:51], s[50:51], exec
	s_waitcnt vmcnt(0) lgkmcnt(0)
	v_cmp_le_i32_e64 s[16:17], v31, v70
	v_cmp_lt_i32_e64 s[12:13], v31, v70
	s_and_b64 s[16:17], s[16:17], s[54:55]
	v_cmp_eq_u32_e64 s[18:19], v31, v70
	s_or_b64 s[16:17], s[12:13], s[16:17]
	s_and_saveexec_b64 s[56:57], s[18:19]
	s_cbranch_execz .LBB386_949
; %bb.951:                              ;   in Loop: Header=BB386_950 Depth=1
	v_lshl_add_u64 v[68:69], v[68:69], 0, -1
	v_cmp_eq_u64_e64 s[12:13], 0, v[68:69]
	s_andn2_b64 s[18:19], s[52:53], exec
	s_and_b64 s[52:53], s[16:17], exec
	s_or_b64 s[52:53], s[18:19], s[52:53]
	s_andn2_b64 s[18:19], s[50:51], exec
	s_and_b64 s[12:13], s[12:13], exec
	v_lshl_add_u64 v[64:65], v[64:65], 0, 4
	v_lshl_add_u64 v[66:67], v[66:67], 0, 4
	s_andn2_b64 s[48:49], s[48:49], exec
	s_or_b64 s[50:51], s[18:19], s[12:13]
                                        ; implicit-def: $sgpr54_sgpr55
	s_branch .LBB386_949
.LBB386_952:
	s_or_b64 exec, exec, s[44:45]
	s_and_saveexec_b64 s[12:13], s[46:47]
	s_xor_b64 s[12:13], exec, s[12:13]
; %bb.953:
	v_cndmask_b32_e64 v65, v21, v23, s[42:43]
	v_cndmask_b32_e64 v64, v20, v22, s[42:43]
	;; [unrolled: 1-line block ×4, first 2 shown]
	v_mov_b64_e32 v[20:21], v[64:65]
; %bb.954:
	s_or_b64 exec, exec, s[12:13]
.LBB386_955:
	s_or_b64 exec, exec, s[36:37]
	s_or_b64 exec, exec, s[34:35]
	s_and_saveexec_b64 s[34:35], s[20:21]
	s_cbranch_execz .LBB386_781
.LBB386_956:
	s_and_saveexec_b64 s[20:21], s[8:9]
	s_cbranch_execz .LBB386_964
; %bb.957:
	v_mul_lo_u32 v31, v17, v6
	v_mul_lo_u32 v66, v16, v7
	v_mad_u64_u32 v[64:65], s[12:13], v16, v6, 0
	v_add3_u32 v65, v65, v66, v31
	v_mul_lo_u32 v31, v19, v6
	v_mul_lo_u32 v68, v18, v7
	v_mad_u64_u32 v[66:67], s[12:13], v18, v6, 0
	v_add3_u32 v67, v67, v68, v31
	v_lshl_add_u64 v[64:65], v[64:65], 2, v[8:9]
	v_lshl_add_u64 v[66:67], v[66:67], 2, v[8:9]
	s_mov_b64 s[42:43], 0
	v_mov_b64_e32 v[68:69], v[6:7]
                                        ; implicit-def: $sgpr36_sgpr37
                                        ; implicit-def: $sgpr44_sgpr45
                                        ; implicit-def: $sgpr48_sgpr49
                                        ; implicit-def: $sgpr46_sgpr47
                                        ; implicit-def: $sgpr50_sgpr51
                                        ; implicit-def: $sgpr52_sgpr53
	s_branch .LBB386_959
.LBB386_958:                            ;   in Loop: Header=BB386_959 Depth=1
	s_or_b64 exec, exec, s[54:55]
	s_and_b64 s[12:13], exec, s[48:49]
	s_or_b64 s[42:43], s[12:13], s[42:43]
	s_andn2_b64 s[12:13], s[52:53], exec
	s_and_b64 s[18:19], s[50:51], exec
	s_or_b64 s[52:53], s[12:13], s[18:19]
	s_andn2_b64 s[12:13], s[44:45], exec
	s_and_b64 s[18:19], s[46:47], exec
	;; [unrolled: 3-line block ×3, first 2 shown]
	s_or_b64 s[36:37], s[12:13], s[16:17]
	s_andn2_b64 exec, exec, s[42:43]
	s_cbranch_execz .LBB386_961
.LBB386_959:                            ; =>This Inner Loop Header: Depth=1
	flat_load_dword v31, v[66:67]
	flat_load_dword v70, v[64:65]
	s_andn2_b64 s[50:51], s[50:51], exec
	s_or_b64 s[46:47], s[46:47], exec
	s_or_b64 s[48:49], s[48:49], exec
	s_waitcnt vmcnt(0) lgkmcnt(0)
	v_cmp_le_i32_e64 s[16:17], v31, v70
	v_cmp_lt_i32_e64 s[12:13], v31, v70
	s_and_b64 s[16:17], s[16:17], s[52:53]
	v_cmp_eq_u32_e64 s[18:19], v31, v70
	s_or_b64 s[16:17], s[12:13], s[16:17]
	s_and_saveexec_b64 s[54:55], s[18:19]
	s_cbranch_execz .LBB386_958
; %bb.960:                              ;   in Loop: Header=BB386_959 Depth=1
	v_lshl_add_u64 v[68:69], v[68:69], 0, -1
	v_cmp_eq_u64_e64 s[12:13], 0, v[68:69]
	s_andn2_b64 s[18:19], s[50:51], exec
	s_and_b64 s[50:51], s[16:17], exec
	s_or_b64 s[50:51], s[18:19], s[50:51]
	s_andn2_b64 s[18:19], s[48:49], exec
	s_and_b64 s[12:13], s[12:13], exec
	v_lshl_add_u64 v[64:65], v[64:65], 0, 4
	v_lshl_add_u64 v[66:67], v[66:67], 0, 4
	s_andn2_b64 s[46:47], s[46:47], exec
	s_or_b64 s[48:49], s[18:19], s[12:13]
                                        ; implicit-def: $sgpr52_sgpr53
	s_branch .LBB386_958
.LBB386_961:
	s_or_b64 exec, exec, s[42:43]
	s_and_saveexec_b64 s[12:13], s[44:45]
	s_xor_b64 s[12:13], exec, s[12:13]
; %bb.962:
	v_cndmask_b32_e64 v65, v17, v19, s[36:37]
	v_cndmask_b32_e64 v64, v16, v18, s[36:37]
	;; [unrolled: 1-line block ×4, first 2 shown]
	v_mov_b64_e32 v[16:17], v[64:65]
; %bb.963:
	s_or_b64 exec, exec, s[12:13]
.LBB386_964:
	s_or_b64 exec, exec, s[20:21]
	s_or_b64 exec, exec, s[34:35]
	s_and_saveexec_b64 s[20:21], s[22:23]
	s_cbranch_execz .LBB386_782
.LBB386_965:
	s_and_saveexec_b64 s[22:23], s[8:9]
	s_cbranch_execz .LBB386_973
; %bb.966:
	v_mul_lo_u32 v31, v13, v6
	v_mul_lo_u32 v66, v12, v7
	v_mad_u64_u32 v[64:65], s[12:13], v12, v6, 0
	v_add3_u32 v65, v65, v66, v31
	v_mul_lo_u32 v31, v15, v6
	v_mul_lo_u32 v68, v14, v7
	v_mad_u64_u32 v[66:67], s[12:13], v14, v6, 0
	v_add3_u32 v67, v67, v68, v31
	v_lshl_add_u64 v[64:65], v[64:65], 2, v[8:9]
	v_lshl_add_u64 v[66:67], v[66:67], 2, v[8:9]
	s_mov_b64 s[36:37], 0
	v_mov_b64_e32 v[68:69], v[6:7]
                                        ; implicit-def: $sgpr34_sgpr35
                                        ; implicit-def: $sgpr42_sgpr43
                                        ; implicit-def: $sgpr46_sgpr47
                                        ; implicit-def: $sgpr44_sgpr45
                                        ; implicit-def: $sgpr48_sgpr49
                                        ; implicit-def: $sgpr50_sgpr51
	s_branch .LBB386_968
.LBB386_967:                            ;   in Loop: Header=BB386_968 Depth=1
	s_or_b64 exec, exec, s[52:53]
	s_and_b64 s[12:13], exec, s[46:47]
	s_or_b64 s[36:37], s[12:13], s[36:37]
	s_andn2_b64 s[12:13], s[50:51], exec
	s_and_b64 s[18:19], s[48:49], exec
	s_or_b64 s[50:51], s[12:13], s[18:19]
	s_andn2_b64 s[12:13], s[42:43], exec
	s_and_b64 s[18:19], s[44:45], exec
	;; [unrolled: 3-line block ×3, first 2 shown]
	s_or_b64 s[34:35], s[12:13], s[16:17]
	s_andn2_b64 exec, exec, s[36:37]
	s_cbranch_execz .LBB386_970
.LBB386_968:                            ; =>This Inner Loop Header: Depth=1
	flat_load_dword v31, v[66:67]
	flat_load_dword v70, v[64:65]
	s_andn2_b64 s[48:49], s[48:49], exec
	s_or_b64 s[44:45], s[44:45], exec
	s_or_b64 s[46:47], s[46:47], exec
	s_waitcnt vmcnt(0) lgkmcnt(0)
	v_cmp_le_i32_e64 s[16:17], v31, v70
	v_cmp_lt_i32_e64 s[12:13], v31, v70
	s_and_b64 s[16:17], s[16:17], s[50:51]
	v_cmp_eq_u32_e64 s[18:19], v31, v70
	s_or_b64 s[16:17], s[12:13], s[16:17]
	s_and_saveexec_b64 s[52:53], s[18:19]
	s_cbranch_execz .LBB386_967
; %bb.969:                              ;   in Loop: Header=BB386_968 Depth=1
	v_lshl_add_u64 v[68:69], v[68:69], 0, -1
	v_cmp_eq_u64_e64 s[12:13], 0, v[68:69]
	s_andn2_b64 s[18:19], s[48:49], exec
	s_and_b64 s[48:49], s[16:17], exec
	s_or_b64 s[48:49], s[18:19], s[48:49]
	s_andn2_b64 s[18:19], s[46:47], exec
	s_and_b64 s[12:13], s[12:13], exec
	v_lshl_add_u64 v[64:65], v[64:65], 0, 4
	v_lshl_add_u64 v[66:67], v[66:67], 0, 4
	s_andn2_b64 s[44:45], s[44:45], exec
	s_or_b64 s[46:47], s[18:19], s[12:13]
                                        ; implicit-def: $sgpr50_sgpr51
	s_branch .LBB386_967
.LBB386_970:
	s_or_b64 exec, exec, s[36:37]
	s_and_saveexec_b64 s[12:13], s[42:43]
	s_xor_b64 s[12:13], exec, s[12:13]
; %bb.971:
	v_cndmask_b32_e64 v65, v13, v15, s[34:35]
	v_cndmask_b32_e64 v64, v12, v14, s[34:35]
	;; [unrolled: 1-line block ×4, first 2 shown]
	v_mov_b64_e32 v[12:13], v[64:65]
; %bb.972:
	s_or_b64 exec, exec, s[12:13]
.LBB386_973:
	s_or_b64 exec, exec, s[22:23]
	s_or_b64 exec, exec, s[20:21]
	s_and_saveexec_b64 s[20:21], s[24:25]
	s_cbranch_execz .LBB386_783
.LBB386_974:
	s_and_saveexec_b64 s[22:23], s[8:9]
	s_cbranch_execz .LBB386_982
; %bb.975:
	v_mul_lo_u32 v31, v27, v6
	v_mul_lo_u32 v66, v26, v7
	v_mad_u64_u32 v[64:65], s[12:13], v26, v6, 0
	v_add3_u32 v65, v65, v66, v31
	v_mul_lo_u32 v31, v21, v6
	v_mul_lo_u32 v68, v20, v7
	v_mad_u64_u32 v[66:67], s[12:13], v20, v6, 0
	v_add3_u32 v67, v67, v68, v31
	v_lshl_add_u64 v[64:65], v[64:65], 2, v[8:9]
	v_lshl_add_u64 v[66:67], v[66:67], 2, v[8:9]
	s_mov_b64 s[34:35], 0
	v_mov_b64_e32 v[68:69], v[6:7]
                                        ; implicit-def: $sgpr24_sgpr25
                                        ; implicit-def: $sgpr36_sgpr37
                                        ; implicit-def: $sgpr44_sgpr45
                                        ; implicit-def: $sgpr42_sgpr43
                                        ; implicit-def: $sgpr46_sgpr47
                                        ; implicit-def: $sgpr48_sgpr49
	s_branch .LBB386_977
.LBB386_976:                            ;   in Loop: Header=BB386_977 Depth=1
	s_or_b64 exec, exec, s[50:51]
	s_and_b64 s[12:13], exec, s[44:45]
	s_or_b64 s[34:35], s[12:13], s[34:35]
	s_andn2_b64 s[12:13], s[48:49], exec
	s_and_b64 s[18:19], s[46:47], exec
	s_or_b64 s[48:49], s[12:13], s[18:19]
	s_andn2_b64 s[12:13], s[36:37], exec
	s_and_b64 s[18:19], s[42:43], exec
	;; [unrolled: 3-line block ×3, first 2 shown]
	s_or_b64 s[24:25], s[12:13], s[16:17]
	s_andn2_b64 exec, exec, s[34:35]
	s_cbranch_execz .LBB386_979
.LBB386_977:                            ; =>This Inner Loop Header: Depth=1
	flat_load_dword v31, v[66:67]
	flat_load_dword v70, v[64:65]
	s_andn2_b64 s[46:47], s[46:47], exec
	s_or_b64 s[42:43], s[42:43], exec
	s_or_b64 s[44:45], s[44:45], exec
	s_waitcnt vmcnt(0) lgkmcnt(0)
	v_cmp_le_i32_e64 s[16:17], v31, v70
	v_cmp_lt_i32_e64 s[12:13], v31, v70
	s_and_b64 s[16:17], s[16:17], s[48:49]
	v_cmp_eq_u32_e64 s[18:19], v31, v70
	s_or_b64 s[16:17], s[12:13], s[16:17]
	s_and_saveexec_b64 s[50:51], s[18:19]
	s_cbranch_execz .LBB386_976
; %bb.978:                              ;   in Loop: Header=BB386_977 Depth=1
	v_lshl_add_u64 v[68:69], v[68:69], 0, -1
	v_cmp_eq_u64_e64 s[12:13], 0, v[68:69]
	s_andn2_b64 s[18:19], s[46:47], exec
	s_and_b64 s[46:47], s[16:17], exec
	s_or_b64 s[46:47], s[18:19], s[46:47]
	s_andn2_b64 s[18:19], s[44:45], exec
	s_and_b64 s[12:13], s[12:13], exec
	v_lshl_add_u64 v[64:65], v[64:65], 0, 4
	v_lshl_add_u64 v[66:67], v[66:67], 0, 4
	s_andn2_b64 s[42:43], s[42:43], exec
	s_or_b64 s[44:45], s[18:19], s[12:13]
                                        ; implicit-def: $sgpr48_sgpr49
	s_branch .LBB386_976
.LBB386_979:
	s_or_b64 exec, exec, s[34:35]
	s_and_saveexec_b64 s[12:13], s[36:37]
	s_xor_b64 s[12:13], exec, s[12:13]
; %bb.980:
	v_cndmask_b32_e64 v65, v27, v21, s[24:25]
	v_cndmask_b32_e64 v64, v26, v20, s[24:25]
	;; [unrolled: 1-line block ×4, first 2 shown]
	v_mov_b64_e32 v[26:27], v[64:65]
; %bb.981:
	s_or_b64 exec, exec, s[12:13]
.LBB386_982:
	s_or_b64 exec, exec, s[22:23]
	s_or_b64 exec, exec, s[20:21]
	s_and_saveexec_b64 s[20:21], s[26:27]
	s_cbranch_execz .LBB386_784
.LBB386_983:
	s_and_saveexec_b64 s[22:23], s[8:9]
	s_cbranch_execz .LBB386_991
; %bb.984:
	v_mul_lo_u32 v31, v23, v6
	v_mul_lo_u32 v66, v22, v7
	v_mad_u64_u32 v[64:65], s[12:13], v22, v6, 0
	v_add3_u32 v65, v65, v66, v31
	v_mul_lo_u32 v31, v17, v6
	v_mul_lo_u32 v68, v16, v7
	v_mad_u64_u32 v[66:67], s[12:13], v16, v6, 0
	v_add3_u32 v67, v67, v68, v31
	v_lshl_add_u64 v[64:65], v[64:65], 2, v[8:9]
	v_lshl_add_u64 v[66:67], v[66:67], 2, v[8:9]
	s_mov_b64 s[26:27], 0
	v_mov_b64_e32 v[68:69], v[6:7]
                                        ; implicit-def: $sgpr24_sgpr25
                                        ; implicit-def: $sgpr34_sgpr35
                                        ; implicit-def: $sgpr42_sgpr43
                                        ; implicit-def: $sgpr36_sgpr37
                                        ; implicit-def: $sgpr44_sgpr45
                                        ; implicit-def: $sgpr46_sgpr47
	s_branch .LBB386_986
.LBB386_985:                            ;   in Loop: Header=BB386_986 Depth=1
	s_or_b64 exec, exec, s[48:49]
	s_and_b64 s[12:13], exec, s[42:43]
	s_or_b64 s[26:27], s[12:13], s[26:27]
	s_andn2_b64 s[12:13], s[46:47], exec
	s_and_b64 s[18:19], s[44:45], exec
	s_or_b64 s[46:47], s[12:13], s[18:19]
	s_andn2_b64 s[12:13], s[34:35], exec
	s_and_b64 s[18:19], s[36:37], exec
	;; [unrolled: 3-line block ×3, first 2 shown]
	s_or_b64 s[24:25], s[12:13], s[16:17]
	s_andn2_b64 exec, exec, s[26:27]
	s_cbranch_execz .LBB386_988
.LBB386_986:                            ; =>This Inner Loop Header: Depth=1
	flat_load_dword v31, v[66:67]
	flat_load_dword v70, v[64:65]
	s_andn2_b64 s[44:45], s[44:45], exec
	s_or_b64 s[36:37], s[36:37], exec
	s_or_b64 s[42:43], s[42:43], exec
	s_waitcnt vmcnt(0) lgkmcnt(0)
	v_cmp_le_i32_e64 s[16:17], v31, v70
	v_cmp_lt_i32_e64 s[12:13], v31, v70
	s_and_b64 s[16:17], s[16:17], s[46:47]
	v_cmp_eq_u32_e64 s[18:19], v31, v70
	s_or_b64 s[16:17], s[12:13], s[16:17]
	s_and_saveexec_b64 s[48:49], s[18:19]
	s_cbranch_execz .LBB386_985
; %bb.987:                              ;   in Loop: Header=BB386_986 Depth=1
	v_lshl_add_u64 v[68:69], v[68:69], 0, -1
	v_cmp_eq_u64_e64 s[12:13], 0, v[68:69]
	s_andn2_b64 s[18:19], s[44:45], exec
	s_and_b64 s[44:45], s[16:17], exec
	s_or_b64 s[44:45], s[18:19], s[44:45]
	s_andn2_b64 s[18:19], s[42:43], exec
	s_and_b64 s[12:13], s[12:13], exec
	v_lshl_add_u64 v[64:65], v[64:65], 0, 4
	v_lshl_add_u64 v[66:67], v[66:67], 0, 4
	s_andn2_b64 s[36:37], s[36:37], exec
	s_or_b64 s[42:43], s[18:19], s[12:13]
                                        ; implicit-def: $sgpr46_sgpr47
	s_branch .LBB386_985
.LBB386_988:
	s_or_b64 exec, exec, s[26:27]
	s_and_saveexec_b64 s[12:13], s[34:35]
	s_xor_b64 s[12:13], exec, s[12:13]
; %bb.989:
	v_cndmask_b32_e64 v65, v23, v17, s[24:25]
	v_cndmask_b32_e64 v64, v22, v16, s[24:25]
	;; [unrolled: 1-line block ×4, first 2 shown]
	v_mov_b64_e32 v[22:23], v[64:65]
; %bb.990:
	s_or_b64 exec, exec, s[12:13]
.LBB386_991:
	s_or_b64 exec, exec, s[22:23]
	s_or_b64 exec, exec, s[20:21]
	s_and_saveexec_b64 s[20:21], s[28:29]
	s_cbranch_execz .LBB386_1001
.LBB386_992:
	s_and_saveexec_b64 s[22:23], s[8:9]
	s_cbranch_execz .LBB386_1000
; %bb.993:
	v_mul_lo_u32 v31, v19, v6
	v_mul_lo_u32 v66, v18, v7
	v_mad_u64_u32 v[64:65], s[12:13], v18, v6, 0
	v_add3_u32 v65, v65, v66, v31
	v_mul_lo_u32 v31, v13, v6
	v_mul_lo_u32 v68, v12, v7
	v_mad_u64_u32 v[66:67], s[12:13], v12, v6, 0
	v_add3_u32 v67, v67, v68, v31
	v_lshl_add_u64 v[64:65], v[64:65], 2, v[8:9]
	v_lshl_add_u64 v[66:67], v[66:67], 2, v[8:9]
	s_mov_b64 s[26:27], 0
	v_mov_b64_e32 v[68:69], v[6:7]
                                        ; implicit-def: $sgpr24_sgpr25
                                        ; implicit-def: $sgpr28_sgpr29
                                        ; implicit-def: $sgpr36_sgpr37
                                        ; implicit-def: $sgpr34_sgpr35
                                        ; implicit-def: $sgpr42_sgpr43
                                        ; implicit-def: $sgpr44_sgpr45
	s_branch .LBB386_995
.LBB386_994:                            ;   in Loop: Header=BB386_995 Depth=1
	s_or_b64 exec, exec, s[46:47]
	s_and_b64 s[12:13], exec, s[36:37]
	s_or_b64 s[26:27], s[12:13], s[26:27]
	s_andn2_b64 s[12:13], s[44:45], exec
	s_and_b64 s[18:19], s[42:43], exec
	s_or_b64 s[44:45], s[12:13], s[18:19]
	s_andn2_b64 s[12:13], s[28:29], exec
	s_and_b64 s[18:19], s[34:35], exec
	;; [unrolled: 3-line block ×3, first 2 shown]
	s_or_b64 s[24:25], s[12:13], s[16:17]
	s_andn2_b64 exec, exec, s[26:27]
	s_cbranch_execz .LBB386_997
.LBB386_995:                            ; =>This Inner Loop Header: Depth=1
	flat_load_dword v31, v[66:67]
	flat_load_dword v70, v[64:65]
	s_andn2_b64 s[42:43], s[42:43], exec
	s_or_b64 s[34:35], s[34:35], exec
	s_or_b64 s[36:37], s[36:37], exec
	s_waitcnt vmcnt(0) lgkmcnt(0)
	v_cmp_le_i32_e64 s[16:17], v31, v70
	v_cmp_lt_i32_e64 s[12:13], v31, v70
	s_and_b64 s[16:17], s[16:17], s[44:45]
	v_cmp_eq_u32_e64 s[18:19], v31, v70
	s_or_b64 s[16:17], s[12:13], s[16:17]
	s_and_saveexec_b64 s[46:47], s[18:19]
	s_cbranch_execz .LBB386_994
; %bb.996:                              ;   in Loop: Header=BB386_995 Depth=1
	v_lshl_add_u64 v[68:69], v[68:69], 0, -1
	v_cmp_eq_u64_e64 s[12:13], 0, v[68:69]
	s_andn2_b64 s[18:19], s[42:43], exec
	s_and_b64 s[42:43], s[16:17], exec
	s_or_b64 s[42:43], s[18:19], s[42:43]
	s_andn2_b64 s[18:19], s[36:37], exec
	s_and_b64 s[12:13], s[12:13], exec
	v_lshl_add_u64 v[64:65], v[64:65], 0, 4
	v_lshl_add_u64 v[66:67], v[66:67], 0, 4
	s_andn2_b64 s[34:35], s[34:35], exec
	s_or_b64 s[36:37], s[18:19], s[12:13]
                                        ; implicit-def: $sgpr44_sgpr45
	s_branch .LBB386_994
.LBB386_997:
	s_or_b64 exec, exec, s[26:27]
	s_and_saveexec_b64 s[12:13], s[28:29]
	s_xor_b64 s[12:13], exec, s[12:13]
; %bb.998:
	v_cndmask_b32_e64 v65, v19, v13, s[24:25]
	v_cndmask_b32_e64 v64, v18, v12, s[24:25]
	;; [unrolled: 1-line block ×4, first 2 shown]
	v_mov_b64_e32 v[18:19], v[64:65]
; %bb.999:
	s_or_b64 exec, exec, s[12:13]
.LBB386_1000:
	s_or_b64 exec, exec, s[22:23]
.LBB386_1001:
	s_or_b64 exec, exec, s[20:21]
	v_mbcnt_lo_u32_b32 v31, -1, 0
	v_mbcnt_hi_u32_b32 v64, -1, v31
	v_and_b32_e32 v70, 0xfffffe00, v1
	v_mov_b32_e32 v71, 0
	v_lshlrev_b32_e32 v31, 3, v64
	v_sub_u32_e64 v1, v0, v70 clamp
	v_lshl_add_u64 v[66:67], v[70:71], 3, v[10:11]
	v_lshlrev_b32_e32 v70, 6, v64
	v_or_b32_e32 v64, 8, v31
	v_min_u32_e32 v100, v1, v64
	v_add_u32_e32 v64, 8, v100
	v_and_b32_e32 v102, 0x3f0, v31
	v_min_u32_e32 v101, v1, v64
	v_and_b32_e32 v64, 8, v31
	v_min_u32_e32 v103, v1, v64
	v_sub_u32_e32 v64, v100, v102
	v_sub_u32_e32 v65, v101, v100
	v_sub_u32_e64 v112, v103, v65 clamp
	v_min_u32_e32 v113, v103, v64
	v_lshl_add_u64 v[68:69], v[66:67], 0, v[70:71]
	v_cmp_lt_u32_e64 s[12:13], v112, v113
	v_lshlrev_b64 v[64:65], 2, v[6:7]
	flat_store_dwordx4 v[68:69], v[24:27]
	flat_store_dwordx4 v[68:69], v[20:23] offset:16
	flat_store_dwordx4 v[68:69], v[16:19] offset:32
	;; [unrolled: 1-line block ×3, first 2 shown]
	; wave barrier
	s_and_saveexec_b64 s[20:21], s[12:13]
	s_cbranch_execz .LBB386_1011
; %bb.1002:
	v_lshlrev_b32_e32 v70, 3, v102
	v_lshl_add_u64 v[80:81], v[66:67], 0, v[70:71]
	v_lshlrev_b32_e32 v70, 3, v100
	v_lshl_add_u64 v[82:83], v[66:67], 0, v[70:71]
	s_mov_b64 s[22:23], 0
	s_branch .LBB386_1005
.LBB386_1003:                           ;   in Loop: Header=BB386_1005 Depth=1
	s_or_b64 exec, exec, s[26:27]
	s_and_b64 s[12:13], s[28:29], exec
.LBB386_1004:                           ;   in Loop: Header=BB386_1005 Depth=1
	s_or_b64 exec, exec, s[24:25]
	v_add_u32_e32 v70, 1, v84
	v_cndmask_b32_e64 v113, v113, v84, s[12:13]
	v_cndmask_b32_e64 v112, v70, v112, s[12:13]
	v_cmp_ge_u32_e64 s[12:13], v112, v113
	s_or_b64 s[22:23], s[12:13], s[22:23]
	s_andn2_b64 exec, exec, s[22:23]
	s_cbranch_execz .LBB386_1010
.LBB386_1005:                           ; =>This Loop Header: Depth=1
                                        ;     Child Loop BB386_1008 Depth 2
	v_add_u32_e32 v70, v113, v112
	v_lshrrev_b32_e32 v84, 1, v70
	s_mov_b64 s[12:13], 0
	s_and_saveexec_b64 s[24:25], s[8:9]
	s_cbranch_execz .LBB386_1004
; %bb.1006:                             ;   in Loop: Header=BB386_1005 Depth=1
	v_mov_b32_e32 v85, v71
	v_xad_u32 v70, v84, -1, v103
	v_lshl_add_u64 v[86:87], v[84:85], 3, v[80:81]
	v_lshl_add_u64 v[96:97], v[70:71], 3, v[82:83]
	flat_load_dwordx2 v[86:87], v[86:87]
	s_mov_b64 s[26:27], 0
	flat_load_dwordx2 v[96:97], v[96:97]
                                        ; implicit-def: $sgpr28_sgpr29
                                        ; implicit-def: $sgpr34_sgpr35
                                        ; implicit-def: $sgpr36_sgpr37
                                        ; implicit-def: $sgpr16_sgpr17
                                        ; implicit-def: $sgpr42_sgpr43
	s_waitcnt vmcnt(0) lgkmcnt(0)
	v_mul_lo_u32 v70, v64, v87
	v_mul_lo_u32 v85, v65, v86
	v_mad_u64_u32 v[86:87], s[12:13], v64, v86, v[8:9]
	v_mul_lo_u32 v98, v64, v97
	v_mul_lo_u32 v99, v65, v96
	v_mad_u64_u32 v[96:97], s[12:13], v64, v96, v[8:9]
	v_add3_u32 v87, v85, v87, v70
	v_add3_u32 v97, v99, v97, v98
	v_mov_b64_e32 v[98:99], v[6:7]
	s_branch .LBB386_1008
.LBB386_1007:                           ;   in Loop: Header=BB386_1008 Depth=2
	s_or_b64 exec, exec, s[44:45]
	s_and_b64 s[12:13], exec, s[34:35]
	s_or_b64 s[26:27], s[12:13], s[26:27]
	s_andn2_b64 s[12:13], s[42:43], exec
	s_and_b64 s[18:19], s[36:37], exec
	s_or_b64 s[42:43], s[12:13], s[18:19]
	s_andn2_b64 s[12:13], s[28:29], exec
	s_and_b64 s[18:19], s[16:17], exec
	s_or_b64 s[28:29], s[12:13], s[18:19]
	s_andn2_b64 exec, exec, s[26:27]
	s_cbranch_execz .LBB386_1003
.LBB386_1008:                           ;   Parent Loop BB386_1005 Depth=1
                                        ; =>  This Inner Loop Header: Depth=2
	flat_load_dword v70, v[96:97]
	flat_load_dword v85, v[86:87]
	s_andn2_b64 s[44:45], s[16:17], exec
	s_andn2_b64 s[36:37], s[36:37], exec
	s_or_b64 s[34:35], s[34:35], exec
	s_waitcnt vmcnt(0) lgkmcnt(0)
	v_cmp_le_i32_e64 s[16:17], v70, v85
	v_cmp_lt_i32_e64 s[12:13], v70, v85
	s_and_b64 s[16:17], s[16:17], s[42:43]
	s_or_b64 s[46:47], s[12:13], s[16:17]
	s_and_b64 s[12:13], s[46:47], exec
	v_cmp_eq_u32_e64 s[18:19], v70, v85
	s_or_b64 s[16:17], s[44:45], s[12:13]
	s_and_saveexec_b64 s[44:45], s[18:19]
	s_cbranch_execz .LBB386_1007
; %bb.1009:                             ;   in Loop: Header=BB386_1008 Depth=2
	v_lshl_add_u64 v[98:99], v[98:99], 0, -1
	v_cmp_eq_u64_e64 s[12:13], 0, v[98:99]
	s_andn2_b64 s[18:19], s[36:37], exec
	s_and_b64 s[36:37], s[46:47], exec
	s_or_b64 s[36:37], s[18:19], s[36:37]
	s_andn2_b64 s[18:19], s[34:35], exec
	s_and_b64 s[12:13], s[12:13], exec
	v_lshl_add_u64 v[86:87], v[86:87], 0, 4
	v_lshl_add_u64 v[96:97], v[96:97], 0, 4
	s_andn2_b64 s[16:17], s[16:17], exec
	s_or_b64 s[34:35], s[18:19], s[12:13]
                                        ; implicit-def: $sgpr42_sgpr43
	s_branch .LBB386_1007
.LBB386_1010:
	s_or_b64 exec, exec, s[22:23]
.LBB386_1011:
	s_or_b64 exec, exec, s[20:21]
	v_add_u32_e32 v71, v100, v103
	v_add_u32_e32 v70, v112, v102
	v_sub_u32_e32 v80, v71, v112
	v_cmp_le_u32_e64 s[12:13], v70, v100
	v_cmp_le_u32_e64 s[16:17], v80, v101
	s_or_b64 s[12:13], s[12:13], s[16:17]
	s_and_saveexec_b64 s[20:21], s[12:13]
	s_cbranch_execz .LBB386_1095
; %bb.1012:
	v_cmp_ge_u32_e64 s[16:17], v70, v100
	v_cmp_lt_u32_e64 s[12:13], v70, v100
                                        ; implicit-def: $vgpr12_vgpr13
	s_and_saveexec_b64 s[18:19], s[12:13]
	s_cbranch_execz .LBB386_1014
; %bb.1013:
	v_mov_b32_e32 v71, 0
	v_lshl_add_u64 v[12:13], v[70:71], 3, v[66:67]
	flat_load_dwordx2 v[12:13], v[12:13]
.LBB386_1014:
	s_or_b64 exec, exec, s[18:19]
	v_cmp_ge_u32_e64 s[22:23], v80, v101
	v_cmp_lt_u32_e64 s[12:13], v80, v101
                                        ; implicit-def: $vgpr14_vgpr15
	s_and_saveexec_b64 s[18:19], s[12:13]
	s_cbranch_execz .LBB386_1016
; %bb.1015:
	v_mov_b32_e32 v81, 0
	v_lshl_add_u64 v[14:15], v[80:81], 3, v[66:67]
	flat_load_dwordx2 v[14:15], v[14:15]
.LBB386_1016:
	s_or_b64 exec, exec, s[18:19]
	s_or_b64 s[12:13], s[16:17], s[22:23]
	s_xor_b64 s[12:13], s[12:13], -1
	s_and_saveexec_b64 s[24:25], s[12:13]
	s_cbranch_execz .LBB386_1024
; %bb.1017:
	s_mov_b64 s[12:13], 0
	s_and_saveexec_b64 s[26:27], s[8:9]
	s_cbranch_execz .LBB386_1023
; %bb.1018:
	s_waitcnt vmcnt(0) lgkmcnt(0)
	v_mul_lo_u32 v18, v13, v6
	v_mul_lo_u32 v19, v12, v7
	v_mad_u64_u32 v[16:17], s[12:13], v12, v6, 0
	v_add3_u32 v17, v17, v19, v18
	v_mul_lo_u32 v20, v15, v6
	v_mul_lo_u32 v21, v14, v7
	v_mad_u64_u32 v[18:19], s[12:13], v14, v6, 0
	v_add3_u32 v19, v19, v21, v20
	v_lshl_add_u64 v[16:17], v[16:17], 2, v[8:9]
	v_lshl_add_u64 v[18:19], v[18:19], 2, v[8:9]
	s_mov_b64 s[28:29], 0
	v_mov_b64_e32 v[20:21], v[6:7]
                                        ; implicit-def: $sgpr34_sgpr35
                                        ; implicit-def: $sgpr36_sgpr37
                                        ; implicit-def: $sgpr42_sgpr43
                                        ; implicit-def: $sgpr16_sgpr17
                                        ; implicit-def: $sgpr44_sgpr45
	s_branch .LBB386_1020
.LBB386_1019:                           ;   in Loop: Header=BB386_1020 Depth=1
	s_or_b64 exec, exec, s[46:47]
	s_and_b64 s[12:13], exec, s[36:37]
	s_or_b64 s[28:29], s[12:13], s[28:29]
	s_andn2_b64 s[12:13], s[44:45], exec
	s_and_b64 s[18:19], s[42:43], exec
	s_or_b64 s[44:45], s[12:13], s[18:19]
	s_andn2_b64 s[12:13], s[34:35], exec
	s_and_b64 s[18:19], s[16:17], exec
	s_or_b64 s[34:35], s[12:13], s[18:19]
	s_andn2_b64 exec, exec, s[28:29]
	s_cbranch_execz .LBB386_1022
.LBB386_1020:                           ; =>This Inner Loop Header: Depth=1
	flat_load_dword v22, v[18:19]
	flat_load_dword v23, v[16:17]
	s_andn2_b64 s[46:47], s[16:17], exec
	s_andn2_b64 s[42:43], s[42:43], exec
	s_or_b64 s[36:37], s[36:37], exec
	s_waitcnt vmcnt(0) lgkmcnt(0)
	v_cmp_le_i32_e64 s[16:17], v22, v23
	v_cmp_lt_i32_e64 s[12:13], v22, v23
	s_and_b64 s[16:17], s[16:17], s[44:45]
	s_or_b64 s[48:49], s[12:13], s[16:17]
	s_and_b64 s[12:13], s[48:49], exec
	v_cmp_eq_u32_e64 s[18:19], v22, v23
	s_or_b64 s[16:17], s[46:47], s[12:13]
	s_and_saveexec_b64 s[46:47], s[18:19]
	s_cbranch_execz .LBB386_1019
; %bb.1021:                             ;   in Loop: Header=BB386_1020 Depth=1
	v_lshl_add_u64 v[20:21], v[20:21], 0, -1
	v_cmp_eq_u64_e64 s[12:13], 0, v[20:21]
	s_andn2_b64 s[18:19], s[42:43], exec
	s_and_b64 s[42:43], s[48:49], exec
	s_or_b64 s[42:43], s[18:19], s[42:43]
	s_andn2_b64 s[18:19], s[36:37], exec
	s_and_b64 s[12:13], s[12:13], exec
	v_lshl_add_u64 v[16:17], v[16:17], 0, 4
	v_lshl_add_u64 v[18:19], v[18:19], 0, 4
	s_andn2_b64 s[16:17], s[16:17], exec
	s_or_b64 s[36:37], s[18:19], s[12:13]
                                        ; implicit-def: $sgpr44_sgpr45
	s_branch .LBB386_1019
.LBB386_1022:
	s_or_b64 exec, exec, s[28:29]
	s_and_b64 s[12:13], s[34:35], exec
.LBB386_1023:
	s_or_b64 exec, exec, s[26:27]
	s_xor_b64 s[12:13], s[12:13], -1
	s_andn2_b64 s[16:17], s[22:23], exec
	s_and_b64 s[12:13], s[12:13], exec
	s_or_b64 s[22:23], s[16:17], s[12:13]
.LBB386_1024:
	s_or_b64 exec, exec, s[24:25]
	v_cndmask_b32_e64 v16, v80, v70, s[22:23]
	v_cndmask_b32_e64 v17, v101, v100, s[22:23]
	v_add_u32_e32 v20, 1, v16
	v_add_u32_e32 v16, -1, v17
	v_min_u32_e32 v16, v20, v16
	v_mov_b32_e32 v17, 0
	v_lshl_add_u64 v[18:19], v[16:17], 3, v[66:67]
	flat_load_dwordx2 v[18:19], v[18:19]
	v_cndmask_b32_e64 v27, v20, v80, s[22:23]
	s_mov_b64 s[24:25], -1
	v_cndmask_b32_e64 v70, v70, v20, s[22:23]
	v_cmp_lt_u32_e64 s[12:13], v27, v101
	s_mov_b64 s[26:27], -1
	s_waitcnt vmcnt(0) lgkmcnt(0)
	v_cndmask_b32_e64 v24, v19, v15, s[22:23]
	v_cndmask_b32_e64 v25, v18, v14, s[22:23]
	;; [unrolled: 1-line block ×4, first 2 shown]
	s_and_saveexec_b64 s[28:29], s[12:13]
	s_cbranch_execz .LBB386_1034
; %bb.1025:
	v_cmp_lt_u32_e64 s[12:13], v70, v100
	s_mov_b64 s[16:17], 0
	s_and_saveexec_b64 s[26:27], s[12:13]
	s_cbranch_execz .LBB386_1033
; %bb.1026:
	s_mov_b64 s[12:13], 0
	s_and_saveexec_b64 s[34:35], s[8:9]
	s_cbranch_execz .LBB386_1032
; %bb.1027:
	v_mul_lo_u32 v16, v26, v6
	v_mul_lo_u32 v20, v80, v7
	v_mad_u64_u32 v[18:19], s[12:13], v80, v6, 0
	v_add3_u32 v19, v19, v20, v16
	v_mul_lo_u32 v16, v24, v6
	v_mul_lo_u32 v22, v25, v7
	v_mad_u64_u32 v[20:21], s[12:13], v25, v6, 0
	v_add3_u32 v21, v21, v22, v16
	v_lshl_add_u64 v[18:19], v[18:19], 2, v[8:9]
	v_lshl_add_u64 v[20:21], v[20:21], 2, v[8:9]
	s_mov_b64 s[36:37], 0
	v_mov_b64_e32 v[22:23], v[6:7]
                                        ; implicit-def: $sgpr42_sgpr43
                                        ; implicit-def: $sgpr44_sgpr45
                                        ; implicit-def: $sgpr46_sgpr47
                                        ; implicit-def: $sgpr16_sgpr17
                                        ; implicit-def: $sgpr48_sgpr49
	s_branch .LBB386_1029
.LBB386_1028:                           ;   in Loop: Header=BB386_1029 Depth=1
	s_or_b64 exec, exec, s[50:51]
	s_and_b64 s[12:13], exec, s[44:45]
	s_or_b64 s[36:37], s[12:13], s[36:37]
	s_andn2_b64 s[12:13], s[48:49], exec
	s_and_b64 s[18:19], s[46:47], exec
	s_or_b64 s[48:49], s[12:13], s[18:19]
	s_andn2_b64 s[12:13], s[42:43], exec
	s_and_b64 s[18:19], s[16:17], exec
	s_or_b64 s[42:43], s[12:13], s[18:19]
	s_andn2_b64 exec, exec, s[36:37]
	s_cbranch_execz .LBB386_1031
.LBB386_1029:                           ; =>This Inner Loop Header: Depth=1
	flat_load_dword v16, v[20:21]
	flat_load_dword v71, v[18:19]
	s_andn2_b64 s[50:51], s[16:17], exec
	s_andn2_b64 s[46:47], s[46:47], exec
	s_or_b64 s[44:45], s[44:45], exec
	s_waitcnt vmcnt(0) lgkmcnt(0)
	v_cmp_le_i32_e64 s[16:17], v16, v71
	v_cmp_lt_i32_e64 s[12:13], v16, v71
	s_and_b64 s[16:17], s[16:17], s[48:49]
	s_or_b64 s[52:53], s[12:13], s[16:17]
	s_and_b64 s[12:13], s[52:53], exec
	v_cmp_eq_u32_e64 s[18:19], v16, v71
	s_or_b64 s[16:17], s[50:51], s[12:13]
	s_and_saveexec_b64 s[50:51], s[18:19]
	s_cbranch_execz .LBB386_1028
; %bb.1030:                             ;   in Loop: Header=BB386_1029 Depth=1
	v_lshl_add_u64 v[22:23], v[22:23], 0, -1
	v_cmp_eq_u64_e64 s[12:13], 0, v[22:23]
	s_andn2_b64 s[18:19], s[46:47], exec
	s_and_b64 s[46:47], s[52:53], exec
	s_or_b64 s[46:47], s[18:19], s[46:47]
	s_andn2_b64 s[18:19], s[44:45], exec
	s_and_b64 s[12:13], s[12:13], exec
	v_lshl_add_u64 v[18:19], v[18:19], 0, 4
	v_lshl_add_u64 v[20:21], v[20:21], 0, 4
	s_andn2_b64 s[16:17], s[16:17], exec
	s_or_b64 s[44:45], s[18:19], s[12:13]
                                        ; implicit-def: $sgpr48_sgpr49
	s_branch .LBB386_1028
.LBB386_1031:
	s_or_b64 exec, exec, s[36:37]
	s_and_b64 s[12:13], s[42:43], exec
.LBB386_1032:
	s_or_b64 exec, exec, s[34:35]
	s_xor_b64 s[12:13], s[12:13], -1
	s_and_b64 s[16:17], s[12:13], exec
.LBB386_1033:
	s_or_b64 exec, exec, s[26:27]
	s_orn2_b64 s[26:27], s[16:17], exec
.LBB386_1034:
	s_or_b64 exec, exec, s[28:29]
	v_cndmask_b32_e64 v16, v27, v70, s[26:27]
	v_cndmask_b32_e64 v18, v101, v100, s[26:27]
	v_add_u32_e32 v19, 1, v16
	v_add_u32_e32 v16, -1, v18
	v_min_u32_e32 v16, v19, v16
	v_lshl_add_u64 v[16:17], v[16:17], 3, v[66:67]
	flat_load_dwordx2 v[16:17], v[16:17]
	v_cndmask_b32_e64 v22, v19, v27, s[26:27]
	v_cndmask_b32_e64 v23, v70, v19, s[26:27]
	v_cmp_lt_u32_e64 s[12:13], v22, v101
	s_waitcnt vmcnt(0) lgkmcnt(0)
	v_cndmask_b32_e64 v27, v17, v24, s[26:27]
	v_cndmask_b32_e64 v81, v16, v25, s[26:27]
	;; [unrolled: 1-line block ×4, first 2 shown]
	s_and_saveexec_b64 s[28:29], s[12:13]
	s_cbranch_execz .LBB386_1044
; %bb.1035:
	v_cmp_lt_u32_e64 s[12:13], v23, v100
	s_mov_b64 s[16:17], 0
	s_and_saveexec_b64 s[24:25], s[12:13]
	s_cbranch_execz .LBB386_1043
; %bb.1036:
	s_mov_b64 s[12:13], 0
	s_and_saveexec_b64 s[34:35], s[8:9]
	s_cbranch_execz .LBB386_1042
; %bb.1037:
	v_mul_lo_u32 v18, v82, v6
	v_mul_lo_u32 v19, v83, v7
	v_mad_u64_u32 v[16:17], s[12:13], v83, v6, 0
	v_add3_u32 v17, v17, v19, v18
	v_mul_lo_u32 v20, v27, v6
	v_mul_lo_u32 v21, v81, v7
	v_mad_u64_u32 v[18:19], s[12:13], v81, v6, 0
	v_add3_u32 v19, v19, v21, v20
	v_lshl_add_u64 v[16:17], v[16:17], 2, v[8:9]
	v_lshl_add_u64 v[18:19], v[18:19], 2, v[8:9]
	s_mov_b64 s[36:37], 0
	v_mov_b64_e32 v[20:21], v[6:7]
                                        ; implicit-def: $sgpr42_sgpr43
                                        ; implicit-def: $sgpr44_sgpr45
                                        ; implicit-def: $sgpr46_sgpr47
                                        ; implicit-def: $sgpr16_sgpr17
                                        ; implicit-def: $sgpr48_sgpr49
	s_branch .LBB386_1039
.LBB386_1038:                           ;   in Loop: Header=BB386_1039 Depth=1
	s_or_b64 exec, exec, s[50:51]
	s_and_b64 s[12:13], exec, s[44:45]
	s_or_b64 s[36:37], s[12:13], s[36:37]
	s_andn2_b64 s[12:13], s[48:49], exec
	s_and_b64 s[18:19], s[46:47], exec
	s_or_b64 s[48:49], s[12:13], s[18:19]
	s_andn2_b64 s[12:13], s[42:43], exec
	s_and_b64 s[18:19], s[16:17], exec
	s_or_b64 s[42:43], s[12:13], s[18:19]
	s_andn2_b64 exec, exec, s[36:37]
	s_cbranch_execz .LBB386_1041
.LBB386_1039:                           ; =>This Inner Loop Header: Depth=1
	flat_load_dword v70, v[18:19]
	flat_load_dword v71, v[16:17]
	s_andn2_b64 s[50:51], s[16:17], exec
	s_andn2_b64 s[46:47], s[46:47], exec
	s_or_b64 s[44:45], s[44:45], exec
	s_waitcnt vmcnt(0) lgkmcnt(0)
	v_cmp_le_i32_e64 s[16:17], v70, v71
	v_cmp_lt_i32_e64 s[12:13], v70, v71
	s_and_b64 s[16:17], s[16:17], s[48:49]
	s_or_b64 s[52:53], s[12:13], s[16:17]
	s_and_b64 s[12:13], s[52:53], exec
	v_cmp_eq_u32_e64 s[18:19], v70, v71
	s_or_b64 s[16:17], s[50:51], s[12:13]
	s_and_saveexec_b64 s[50:51], s[18:19]
	s_cbranch_execz .LBB386_1038
; %bb.1040:                             ;   in Loop: Header=BB386_1039 Depth=1
	v_lshl_add_u64 v[20:21], v[20:21], 0, -1
	v_cmp_eq_u64_e64 s[12:13], 0, v[20:21]
	s_andn2_b64 s[18:19], s[46:47], exec
	s_and_b64 s[46:47], s[52:53], exec
	s_or_b64 s[46:47], s[18:19], s[46:47]
	s_andn2_b64 s[18:19], s[44:45], exec
	s_and_b64 s[12:13], s[12:13], exec
	v_lshl_add_u64 v[16:17], v[16:17], 0, 4
	v_lshl_add_u64 v[18:19], v[18:19], 0, 4
	s_andn2_b64 s[16:17], s[16:17], exec
	s_or_b64 s[44:45], s[18:19], s[12:13]
                                        ; implicit-def: $sgpr48_sgpr49
	s_branch .LBB386_1038
.LBB386_1041:
	s_or_b64 exec, exec, s[36:37]
	s_and_b64 s[12:13], s[42:43], exec
.LBB386_1042:
	s_or_b64 exec, exec, s[34:35]
	s_xor_b64 s[12:13], s[12:13], -1
	s_and_b64 s[16:17], s[12:13], exec
.LBB386_1043:
	s_or_b64 exec, exec, s[24:25]
	s_orn2_b64 s[24:25], s[16:17], exec
.LBB386_1044:
	s_or_b64 exec, exec, s[28:29]
	v_cndmask_b32_e64 v16, v22, v23, s[24:25]
	v_cndmask_b32_e64 v17, v101, v100, s[24:25]
	v_add_u32_e32 v20, 1, v16
	v_add_u32_e32 v16, -1, v17
	v_min_u32_e32 v16, v20, v16
	v_mov_b32_e32 v17, 0
	v_lshl_add_u64 v[18:19], v[16:17], 3, v[66:67]
	flat_load_dwordx2 v[18:19], v[18:19]
	v_cndmask_b32_e64 v70, v20, v22, s[24:25]
	s_mov_b64 s[28:29], -1
	v_cndmask_b32_e64 v71, v23, v20, s[24:25]
	v_cmp_lt_u32_e64 s[12:13], v70, v101
	s_mov_b64 s[34:35], -1
	s_waitcnt vmcnt(0) lgkmcnt(0)
	v_cndmask_b32_e64 v84, v19, v27, s[24:25]
	v_cndmask_b32_e64 v85, v18, v81, s[24:25]
	;; [unrolled: 1-line block ×4, first 2 shown]
	s_and_saveexec_b64 s[36:37], s[12:13]
	s_cbranch_execz .LBB386_1054
; %bb.1045:
	v_cmp_lt_u32_e64 s[12:13], v71, v100
	s_mov_b64 s[16:17], 0
	s_and_saveexec_b64 s[34:35], s[12:13]
	s_cbranch_execz .LBB386_1053
; %bb.1046:
	s_mov_b64 s[12:13], -1
	s_and_saveexec_b64 s[42:43], s[8:9]
	s_cbranch_execz .LBB386_1052
; %bb.1047:
	v_mul_lo_u32 v16, v86, v6
	v_mul_lo_u32 v20, v87, v7
	v_mad_u64_u32 v[18:19], s[12:13], v87, v6, 0
	v_add3_u32 v19, v19, v20, v16
	v_mul_lo_u32 v16, v84, v6
	v_mul_lo_u32 v22, v85, v7
	v_mad_u64_u32 v[20:21], s[12:13], v85, v6, 0
	v_add3_u32 v21, v21, v22, v16
	v_lshl_add_u64 v[18:19], v[18:19], 2, v[8:9]
	v_lshl_add_u64 v[20:21], v[20:21], 2, v[8:9]
	s_mov_b64 s[44:45], 0
	v_mov_b64_e32 v[22:23], v[6:7]
                                        ; implicit-def: $sgpr46_sgpr47
                                        ; implicit-def: $sgpr48_sgpr49
                                        ; implicit-def: $sgpr16_sgpr17
                                        ; implicit-def: $sgpr50_sgpr51
                                        ; implicit-def: $sgpr52_sgpr53
	s_branch .LBB386_1049
.LBB386_1048:                           ;   in Loop: Header=BB386_1049 Depth=1
	s_or_b64 exec, exec, s[54:55]
	s_and_b64 s[12:13], exec, s[48:49]
	s_or_b64 s[44:45], s[12:13], s[44:45]
	s_andn2_b64 s[12:13], s[52:53], exec
	s_and_b64 s[18:19], s[50:51], exec
	s_or_b64 s[52:53], s[12:13], s[18:19]
	s_andn2_b64 s[12:13], s[46:47], exec
	s_and_b64 s[18:19], s[16:17], exec
	s_or_b64 s[46:47], s[12:13], s[18:19]
	s_andn2_b64 exec, exec, s[44:45]
	s_cbranch_execz .LBB386_1051
.LBB386_1049:                           ; =>This Inner Loop Header: Depth=1
	flat_load_dword v16, v[20:21]
	flat_load_dword v96, v[18:19]
	s_andn2_b64 s[54:55], s[16:17], exec
	s_andn2_b64 s[50:51], s[50:51], exec
	s_or_b64 s[48:49], s[48:49], exec
	s_waitcnt vmcnt(0) lgkmcnt(0)
	v_cmp_le_i32_e64 s[16:17], v16, v96
	v_cmp_lt_i32_e64 s[12:13], v16, v96
	s_and_b64 s[16:17], s[16:17], s[52:53]
	s_or_b64 s[56:57], s[12:13], s[16:17]
	s_and_b64 s[12:13], s[56:57], exec
	v_cmp_eq_u32_e64 s[18:19], v16, v96
	s_or_b64 s[16:17], s[54:55], s[12:13]
	s_and_saveexec_b64 s[54:55], s[18:19]
	s_cbranch_execz .LBB386_1048
; %bb.1050:                             ;   in Loop: Header=BB386_1049 Depth=1
	v_lshl_add_u64 v[22:23], v[22:23], 0, -1
	v_cmp_eq_u64_e64 s[12:13], 0, v[22:23]
	s_andn2_b64 s[18:19], s[50:51], exec
	s_and_b64 s[50:51], s[56:57], exec
	s_or_b64 s[50:51], s[18:19], s[50:51]
	s_andn2_b64 s[18:19], s[48:49], exec
	s_and_b64 s[12:13], s[12:13], exec
	v_lshl_add_u64 v[18:19], v[18:19], 0, 4
	v_lshl_add_u64 v[20:21], v[20:21], 0, 4
	s_andn2_b64 s[16:17], s[16:17], exec
	s_or_b64 s[48:49], s[18:19], s[12:13]
                                        ; implicit-def: $sgpr52_sgpr53
	s_branch .LBB386_1048
.LBB386_1051:
	s_or_b64 exec, exec, s[44:45]
	s_xor_b64 s[12:13], s[46:47], -1
	s_orn2_b64 s[12:13], s[12:13], exec
.LBB386_1052:
	s_or_b64 exec, exec, s[42:43]
	s_and_b64 s[16:17], s[12:13], exec
.LBB386_1053:
	s_or_b64 exec, exec, s[34:35]
	s_orn2_b64 s[34:35], s[16:17], exec
.LBB386_1054:
	s_or_b64 exec, exec, s[36:37]
	v_cndmask_b32_e64 v16, v70, v71, s[34:35]
	v_cndmask_b32_e64 v18, v101, v100, s[34:35]
	v_add_u32_e32 v19, 1, v16
	v_add_u32_e32 v16, -1, v18
	v_min_u32_e32 v16, v19, v16
	v_lshl_add_u64 v[16:17], v[16:17], 3, v[66:67]
	flat_load_dwordx2 v[16:17], v[16:17]
	v_cndmask_b32_e64 v22, v19, v70, s[34:35]
	v_cndmask_b32_e64 v23, v71, v19, s[34:35]
	v_cmp_lt_u32_e64 s[12:13], v22, v101
	s_waitcnt vmcnt(0) lgkmcnt(0)
	v_cndmask_b32_e64 v96, v17, v84, s[34:35]
	v_cndmask_b32_e64 v97, v16, v85, s[34:35]
	v_cndmask_b32_e64 v98, v86, v17, s[34:35]
	v_cndmask_b32_e64 v99, v87, v16, s[34:35]
	s_and_saveexec_b64 s[36:37], s[12:13]
	s_cbranch_execz .LBB386_1064
; %bb.1055:
	v_cmp_lt_u32_e64 s[12:13], v23, v100
	s_mov_b64 s[16:17], 0
	s_and_saveexec_b64 s[28:29], s[12:13]
	s_cbranch_execz .LBB386_1063
; %bb.1056:
	s_mov_b64 s[12:13], -1
	s_and_saveexec_b64 s[42:43], s[8:9]
	s_cbranch_execz .LBB386_1062
; %bb.1057:
	v_mul_lo_u32 v18, v98, v6
	v_mul_lo_u32 v19, v99, v7
	v_mad_u64_u32 v[16:17], s[12:13], v99, v6, 0
	v_add3_u32 v17, v17, v19, v18
	v_mul_lo_u32 v20, v96, v6
	v_mul_lo_u32 v21, v97, v7
	v_mad_u64_u32 v[18:19], s[12:13], v97, v6, 0
	v_add3_u32 v19, v19, v21, v20
	v_lshl_add_u64 v[16:17], v[16:17], 2, v[8:9]
	v_lshl_add_u64 v[18:19], v[18:19], 2, v[8:9]
	s_mov_b64 s[44:45], 0
	v_mov_b64_e32 v[20:21], v[6:7]
                                        ; implicit-def: $sgpr46_sgpr47
                                        ; implicit-def: $sgpr48_sgpr49
                                        ; implicit-def: $sgpr16_sgpr17
                                        ; implicit-def: $sgpr50_sgpr51
                                        ; implicit-def: $sgpr52_sgpr53
	s_branch .LBB386_1059
.LBB386_1058:                           ;   in Loop: Header=BB386_1059 Depth=1
	s_or_b64 exec, exec, s[54:55]
	s_and_b64 s[12:13], exec, s[48:49]
	s_or_b64 s[44:45], s[12:13], s[44:45]
	s_andn2_b64 s[12:13], s[52:53], exec
	s_and_b64 s[18:19], s[50:51], exec
	s_or_b64 s[52:53], s[12:13], s[18:19]
	s_andn2_b64 s[12:13], s[46:47], exec
	s_and_b64 s[18:19], s[16:17], exec
	s_or_b64 s[46:47], s[12:13], s[18:19]
	s_andn2_b64 exec, exec, s[44:45]
	s_cbranch_execz .LBB386_1061
.LBB386_1059:                           ; =>This Inner Loop Header: Depth=1
	flat_load_dword v70, v[18:19]
	flat_load_dword v71, v[16:17]
	s_andn2_b64 s[54:55], s[16:17], exec
	s_andn2_b64 s[50:51], s[50:51], exec
	s_or_b64 s[48:49], s[48:49], exec
	s_waitcnt vmcnt(0) lgkmcnt(0)
	v_cmp_le_i32_e64 s[16:17], v70, v71
	v_cmp_lt_i32_e64 s[12:13], v70, v71
	s_and_b64 s[16:17], s[16:17], s[52:53]
	s_or_b64 s[56:57], s[12:13], s[16:17]
	s_and_b64 s[12:13], s[56:57], exec
	v_cmp_eq_u32_e64 s[18:19], v70, v71
	s_or_b64 s[16:17], s[54:55], s[12:13]
	s_and_saveexec_b64 s[54:55], s[18:19]
	s_cbranch_execz .LBB386_1058
; %bb.1060:                             ;   in Loop: Header=BB386_1059 Depth=1
	v_lshl_add_u64 v[20:21], v[20:21], 0, -1
	v_cmp_eq_u64_e64 s[12:13], 0, v[20:21]
	s_andn2_b64 s[18:19], s[50:51], exec
	s_and_b64 s[50:51], s[56:57], exec
	s_or_b64 s[50:51], s[18:19], s[50:51]
	s_andn2_b64 s[18:19], s[48:49], exec
	s_and_b64 s[12:13], s[12:13], exec
	v_lshl_add_u64 v[16:17], v[16:17], 0, 4
	v_lshl_add_u64 v[18:19], v[18:19], 0, 4
	s_andn2_b64 s[16:17], s[16:17], exec
	s_or_b64 s[48:49], s[18:19], s[12:13]
                                        ; implicit-def: $sgpr52_sgpr53
	s_branch .LBB386_1058
.LBB386_1061:
	s_or_b64 exec, exec, s[44:45]
	s_xor_b64 s[12:13], s[46:47], -1
	s_orn2_b64 s[12:13], s[12:13], exec
.LBB386_1062:
	s_or_b64 exec, exec, s[42:43]
	s_and_b64 s[16:17], s[12:13], exec
.LBB386_1063:
	s_or_b64 exec, exec, s[28:29]
	s_orn2_b64 s[28:29], s[16:17], exec
.LBB386_1064:
	s_or_b64 exec, exec, s[36:37]
	v_cndmask_b32_e64 v16, v22, v23, s[28:29]
	v_cndmask_b32_e64 v17, v101, v100, s[28:29]
	v_add_u32_e32 v20, 1, v16
	v_add_u32_e32 v16, -1, v17
	v_min_u32_e32 v16, v20, v16
	v_mov_b32_e32 v17, 0
	v_lshl_add_u64 v[18:19], v[16:17], 3, v[66:67]
	flat_load_dwordx2 v[18:19], v[18:19]
	v_cndmask_b32_e64 v70, v20, v22, s[28:29]
	s_mov_b64 s[36:37], -1
	v_cndmask_b32_e64 v71, v23, v20, s[28:29]
	v_cmp_lt_u32_e64 s[12:13], v70, v101
	s_mov_b64 s[42:43], -1
	s_waitcnt vmcnt(0) lgkmcnt(0)
	v_cndmask_b32_e64 v102, v19, v96, s[28:29]
	v_cndmask_b32_e64 v103, v18, v97, s[28:29]
	;; [unrolled: 1-line block ×4, first 2 shown]
	s_and_saveexec_b64 s[44:45], s[12:13]
	s_cbranch_execz .LBB386_1074
; %bb.1065:
	v_cmp_lt_u32_e64 s[12:13], v71, v100
	s_mov_b64 s[16:17], 0
	s_and_saveexec_b64 s[42:43], s[12:13]
	s_cbranch_execz .LBB386_1073
; %bb.1066:
	s_mov_b64 s[12:13], -1
	s_and_saveexec_b64 s[46:47], s[8:9]
	s_cbranch_execz .LBB386_1072
; %bb.1067:
	v_mul_lo_u32 v16, v112, v6
	v_mul_lo_u32 v20, v113, v7
	v_mad_u64_u32 v[18:19], s[12:13], v113, v6, 0
	v_add3_u32 v19, v19, v20, v16
	v_mul_lo_u32 v16, v102, v6
	v_mul_lo_u32 v22, v103, v7
	v_mad_u64_u32 v[20:21], s[12:13], v103, v6, 0
	v_add3_u32 v21, v21, v22, v16
	v_lshl_add_u64 v[18:19], v[18:19], 2, v[8:9]
	v_lshl_add_u64 v[20:21], v[20:21], 2, v[8:9]
	s_mov_b64 s[48:49], 0
	v_mov_b64_e32 v[22:23], v[6:7]
                                        ; implicit-def: $sgpr50_sgpr51
                                        ; implicit-def: $sgpr52_sgpr53
                                        ; implicit-def: $sgpr16_sgpr17
                                        ; implicit-def: $sgpr54_sgpr55
                                        ; implicit-def: $sgpr56_sgpr57
	s_branch .LBB386_1069
.LBB386_1068:                           ;   in Loop: Header=BB386_1069 Depth=1
	s_or_b64 exec, exec, s[58:59]
	s_and_b64 s[12:13], exec, s[52:53]
	s_or_b64 s[48:49], s[12:13], s[48:49]
	s_andn2_b64 s[12:13], s[56:57], exec
	s_and_b64 s[18:19], s[54:55], exec
	s_or_b64 s[56:57], s[12:13], s[18:19]
	s_andn2_b64 s[12:13], s[50:51], exec
	s_and_b64 s[18:19], s[16:17], exec
	s_or_b64 s[50:51], s[12:13], s[18:19]
	s_andn2_b64 exec, exec, s[48:49]
	s_cbranch_execz .LBB386_1071
.LBB386_1069:                           ; =>This Inner Loop Header: Depth=1
	flat_load_dword v16, v[20:21]
	flat_load_dword v114, v[18:19]
	s_andn2_b64 s[58:59], s[16:17], exec
	s_andn2_b64 s[54:55], s[54:55], exec
	s_or_b64 s[52:53], s[52:53], exec
	s_waitcnt vmcnt(0) lgkmcnt(0)
	v_cmp_le_i32_e64 s[16:17], v16, v114
	v_cmp_lt_i32_e64 s[12:13], v16, v114
	s_and_b64 s[16:17], s[16:17], s[56:57]
	s_or_b64 s[60:61], s[12:13], s[16:17]
	s_and_b64 s[12:13], s[60:61], exec
	v_cmp_eq_u32_e64 s[18:19], v16, v114
	s_or_b64 s[16:17], s[58:59], s[12:13]
	s_and_saveexec_b64 s[58:59], s[18:19]
	s_cbranch_execz .LBB386_1068
; %bb.1070:                             ;   in Loop: Header=BB386_1069 Depth=1
	v_lshl_add_u64 v[22:23], v[22:23], 0, -1
	v_cmp_eq_u64_e64 s[12:13], 0, v[22:23]
	s_andn2_b64 s[18:19], s[54:55], exec
	s_and_b64 s[54:55], s[60:61], exec
	s_or_b64 s[54:55], s[18:19], s[54:55]
	s_andn2_b64 s[18:19], s[52:53], exec
	s_and_b64 s[12:13], s[12:13], exec
	v_lshl_add_u64 v[18:19], v[18:19], 0, 4
	v_lshl_add_u64 v[20:21], v[20:21], 0, 4
	s_andn2_b64 s[16:17], s[16:17], exec
	s_or_b64 s[52:53], s[18:19], s[12:13]
                                        ; implicit-def: $sgpr56_sgpr57
	s_branch .LBB386_1068
.LBB386_1071:
	s_or_b64 exec, exec, s[48:49]
	s_xor_b64 s[12:13], s[50:51], -1
	s_orn2_b64 s[12:13], s[12:13], exec
.LBB386_1072:
	s_or_b64 exec, exec, s[46:47]
	s_and_b64 s[16:17], s[12:13], exec
.LBB386_1073:
	s_or_b64 exec, exec, s[42:43]
	s_orn2_b64 s[42:43], s[16:17], exec
.LBB386_1074:
	s_or_b64 exec, exec, s[44:45]
	v_cndmask_b32_e64 v16, v70, v71, s[42:43]
	v_cndmask_b32_e64 v18, v101, v100, s[42:43]
	v_add_u32_e32 v19, 1, v16
	v_add_u32_e32 v16, -1, v18
	v_min_u32_e32 v16, v19, v16
	v_lshl_add_u64 v[16:17], v[16:17], 3, v[66:67]
	flat_load_dwordx2 v[16:17], v[16:17]
	v_cndmask_b32_e64 v117, v19, v70, s[42:43]
	v_cndmask_b32_e64 v114, v71, v19, s[42:43]
	v_cmp_lt_u32_e64 s[12:13], v117, v101
	s_waitcnt vmcnt(0) lgkmcnt(0)
	v_cndmask_b32_e64 v115, v17, v102, s[42:43]
	v_cndmask_b32_e64 v116, v16, v103, s[42:43]
	;; [unrolled: 1-line block ×4, first 2 shown]
	s_and_saveexec_b64 s[44:45], s[12:13]
	s_cbranch_execz .LBB386_1084
; %bb.1075:
	v_cmp_lt_u32_e64 s[12:13], v114, v100
	s_mov_b64 s[16:17], 0
	s_and_saveexec_b64 s[36:37], s[12:13]
	s_cbranch_execz .LBB386_1083
; %bb.1076:
	s_mov_b64 s[12:13], -1
	s_and_saveexec_b64 s[46:47], s[8:9]
	s_cbranch_execz .LBB386_1082
; %bb.1077:
	v_mul_lo_u32 v18, v118, v6
	v_mul_lo_u32 v19, v119, v7
	v_mad_u64_u32 v[16:17], s[12:13], v119, v6, 0
	v_add3_u32 v17, v17, v19, v18
	v_mul_lo_u32 v20, v115, v6
	v_mul_lo_u32 v21, v116, v7
	v_mad_u64_u32 v[18:19], s[12:13], v116, v6, 0
	v_add3_u32 v19, v19, v21, v20
	v_lshl_add_u64 v[16:17], v[16:17], 2, v[8:9]
	v_lshl_add_u64 v[18:19], v[18:19], 2, v[8:9]
	s_mov_b64 s[48:49], 0
	v_mov_b64_e32 v[20:21], v[6:7]
                                        ; implicit-def: $sgpr50_sgpr51
                                        ; implicit-def: $sgpr52_sgpr53
                                        ; implicit-def: $sgpr16_sgpr17
                                        ; implicit-def: $sgpr54_sgpr55
                                        ; implicit-def: $sgpr56_sgpr57
	s_branch .LBB386_1079
.LBB386_1078:                           ;   in Loop: Header=BB386_1079 Depth=1
	s_or_b64 exec, exec, s[58:59]
	s_and_b64 s[12:13], exec, s[52:53]
	s_or_b64 s[48:49], s[12:13], s[48:49]
	s_andn2_b64 s[12:13], s[56:57], exec
	s_and_b64 s[18:19], s[54:55], exec
	s_or_b64 s[56:57], s[12:13], s[18:19]
	s_andn2_b64 s[12:13], s[50:51], exec
	s_and_b64 s[18:19], s[16:17], exec
	s_or_b64 s[50:51], s[12:13], s[18:19]
	s_andn2_b64 exec, exec, s[48:49]
	s_cbranch_execz .LBB386_1081
.LBB386_1079:                           ; =>This Inner Loop Header: Depth=1
	flat_load_dword v22, v[18:19]
	flat_load_dword v23, v[16:17]
	s_andn2_b64 s[58:59], s[16:17], exec
	s_andn2_b64 s[54:55], s[54:55], exec
	s_or_b64 s[52:53], s[52:53], exec
	s_waitcnt vmcnt(0) lgkmcnt(0)
	v_cmp_le_i32_e64 s[16:17], v22, v23
	v_cmp_lt_i32_e64 s[12:13], v22, v23
	s_and_b64 s[16:17], s[16:17], s[56:57]
	s_or_b64 s[60:61], s[12:13], s[16:17]
	s_and_b64 s[12:13], s[60:61], exec
	v_cmp_eq_u32_e64 s[18:19], v22, v23
	s_or_b64 s[16:17], s[58:59], s[12:13]
	s_and_saveexec_b64 s[58:59], s[18:19]
	s_cbranch_execz .LBB386_1078
; %bb.1080:                             ;   in Loop: Header=BB386_1079 Depth=1
	v_lshl_add_u64 v[20:21], v[20:21], 0, -1
	v_cmp_eq_u64_e64 s[12:13], 0, v[20:21]
	s_andn2_b64 s[18:19], s[54:55], exec
	s_and_b64 s[54:55], s[60:61], exec
	s_or_b64 s[54:55], s[18:19], s[54:55]
	s_andn2_b64 s[18:19], s[52:53], exec
	s_and_b64 s[12:13], s[12:13], exec
	v_lshl_add_u64 v[16:17], v[16:17], 0, 4
	v_lshl_add_u64 v[18:19], v[18:19], 0, 4
	s_andn2_b64 s[16:17], s[16:17], exec
	s_or_b64 s[52:53], s[18:19], s[12:13]
                                        ; implicit-def: $sgpr56_sgpr57
	s_branch .LBB386_1078
.LBB386_1081:
	s_or_b64 exec, exec, s[48:49]
	s_xor_b64 s[12:13], s[50:51], -1
	s_orn2_b64 s[12:13], s[12:13], exec
.LBB386_1082:
	s_or_b64 exec, exec, s[46:47]
	s_and_b64 s[16:17], s[12:13], exec
.LBB386_1083:
	s_or_b64 exec, exec, s[36:37]
	s_orn2_b64 s[36:37], s[16:17], exec
.LBB386_1084:
	s_or_b64 exec, exec, s[44:45]
	v_cndmask_b32_e64 v16, v117, v114, s[36:37]
	v_cndmask_b32_e64 v17, v101, v100, s[36:37]
	v_add_u32_e32 v128, 1, v16
	v_add_u32_e32 v16, -1, v17
	v_min_u32_e32 v16, v128, v16
	v_mov_b32_e32 v17, 0
	v_lshl_add_u64 v[16:17], v[16:17], 3, v[66:67]
	flat_load_dwordx2 v[70:71], v[16:17]
	v_cndmask_b32_e64 v21, v27, v82, s[24:25]
	v_cndmask_b32_e64 v27, v24, v26, s[26:27]
	;; [unrolled: 1-line block ×15, first 2 shown]
	v_cmp_lt_u32_e64 s[12:13], v80, v101
	s_waitcnt vmcnt(0) lgkmcnt(0)
	v_cndmask_b32_e64 v15, v118, v71, s[36:37]
	v_cndmask_b32_e64 v14, v119, v70, s[36:37]
	s_and_saveexec_b64 s[22:23], s[12:13]
	s_cbranch_execz .LBB386_1094
; %bb.1085:
	v_cndmask_b32_e64 v80, v114, v128, s[36:37]
	v_cndmask_b32_e64 v71, v71, v115, s[36:37]
	;; [unrolled: 1-line block ×3, first 2 shown]
	v_cmp_lt_u32_e64 s[12:13], v80, v100
	s_and_saveexec_b64 s[24:25], s[12:13]
	s_cbranch_execz .LBB386_1093
; %bb.1086:
	s_and_saveexec_b64 s[26:27], s[8:9]
	s_cbranch_execz .LBB386_1092
; %bb.1087:
	v_mul_lo_u32 v82, v15, v6
	v_mul_lo_u32 v83, v14, v7
	v_mad_u64_u32 v[80:81], s[12:13], v14, v6, 0
	v_add3_u32 v81, v81, v83, v82
	v_mul_lo_u32 v84, v71, v6
	v_mul_lo_u32 v85, v70, v7
	v_mad_u64_u32 v[82:83], s[12:13], v70, v6, 0
	v_add3_u32 v83, v83, v85, v84
	v_lshl_add_u64 v[80:81], v[80:81], 2, v[8:9]
	v_lshl_add_u64 v[82:83], v[82:83], 2, v[8:9]
	s_mov_b64 s[28:29], 0
	v_mov_b64_e32 v[84:85], v[6:7]
                                        ; implicit-def: $sgpr34_sgpr35
                                        ; implicit-def: $sgpr36_sgpr37
                                        ; implicit-def: $sgpr16_sgpr17
                                        ; implicit-def: $sgpr42_sgpr43
                                        ; implicit-def: $sgpr44_sgpr45
	s_branch .LBB386_1089
.LBB386_1088:                           ;   in Loop: Header=BB386_1089 Depth=1
	s_or_b64 exec, exec, s[46:47]
	s_and_b64 s[12:13], exec, s[36:37]
	s_or_b64 s[28:29], s[12:13], s[28:29]
	s_andn2_b64 s[12:13], s[44:45], exec
	s_and_b64 s[18:19], s[42:43], exec
	s_or_b64 s[44:45], s[12:13], s[18:19]
	s_andn2_b64 s[12:13], s[34:35], exec
	s_and_b64 s[18:19], s[16:17], exec
	s_or_b64 s[34:35], s[12:13], s[18:19]
	s_andn2_b64 exec, exec, s[28:29]
	s_cbranch_execz .LBB386_1091
.LBB386_1089:                           ; =>This Inner Loop Header: Depth=1
	flat_load_dword v86, v[82:83]
	flat_load_dword v87, v[80:81]
	s_andn2_b64 s[46:47], s[16:17], exec
	s_andn2_b64 s[42:43], s[42:43], exec
	s_or_b64 s[36:37], s[36:37], exec
	s_waitcnt vmcnt(0) lgkmcnt(0)
	v_cmp_le_i32_e64 s[16:17], v86, v87
	v_cmp_lt_i32_e64 s[12:13], v86, v87
	s_and_b64 s[16:17], s[16:17], s[44:45]
	s_or_b64 s[48:49], s[12:13], s[16:17]
	s_and_b64 s[12:13], s[48:49], exec
	v_cmp_eq_u32_e64 s[18:19], v86, v87
	s_or_b64 s[16:17], s[46:47], s[12:13]
	s_and_saveexec_b64 s[46:47], s[18:19]
	s_cbranch_execz .LBB386_1088
; %bb.1090:                             ;   in Loop: Header=BB386_1089 Depth=1
	v_lshl_add_u64 v[84:85], v[84:85], 0, -1
	v_cmp_eq_u64_e64 s[12:13], 0, v[84:85]
	s_andn2_b64 s[18:19], s[42:43], exec
	s_and_b64 s[42:43], s[48:49], exec
	s_or_b64 s[42:43], s[18:19], s[42:43]
	s_andn2_b64 s[18:19], s[36:37], exec
	s_and_b64 s[12:13], s[12:13], exec
	v_lshl_add_u64 v[80:81], v[80:81], 0, 4
	v_lshl_add_u64 v[82:83], v[82:83], 0, 4
	s_andn2_b64 s[16:17], s[16:17], exec
	s_or_b64 s[36:37], s[18:19], s[12:13]
                                        ; implicit-def: $sgpr44_sgpr45
	s_branch .LBB386_1088
.LBB386_1091:
	s_or_b64 exec, exec, s[28:29]
	v_cndmask_b32_e64 v15, v15, v71, s[34:35]
	v_cndmask_b32_e64 v14, v14, v70, s[34:35]
.LBB386_1092:
	s_or_b64 exec, exec, s[26:27]
	v_mov_b64_e32 v[70:71], v[14:15]
.LBB386_1093:
	s_or_b64 exec, exec, s[24:25]
	v_mov_b64_e32 v[14:15], v[70:71]
.LBB386_1094:
	s_or_b64 exec, exec, s[22:23]
.LBB386_1095:
	s_or_b64 exec, exec, s[20:21]
	v_and_b32_e32 v102, 0x3e0, v31
	v_or_b32_e32 v70, 16, v102
	v_min_u32_e32 v100, v1, v70
	v_add_u32_e32 v70, 16, v100
	v_min_u32_e32 v101, v1, v70
	v_and_b32_e32 v70, 24, v31
	v_min_u32_e32 v103, v1, v70
	v_sub_u32_e32 v70, v100, v102
	v_sub_u32_e32 v71, v101, v100
	v_sub_u32_e64 v112, v103, v71 clamp
	v_min_u32_e32 v113, v103, v70
	v_cmp_lt_u32_e64 s[12:13], v112, v113
	; wave barrier
	flat_store_dwordx4 v[68:69], v[24:27]
	flat_store_dwordx4 v[68:69], v[20:23] offset:16
	flat_store_dwordx4 v[68:69], v[16:19] offset:32
	;; [unrolled: 1-line block ×3, first 2 shown]
	; wave barrier
	s_and_saveexec_b64 s[20:21], s[12:13]
	s_cbranch_execz .LBB386_1105
; %bb.1096:
	v_lshlrev_b32_e32 v70, 3, v102
	v_mov_b32_e32 v71, 0
	v_lshl_add_u64 v[80:81], v[66:67], 0, v[70:71]
	v_lshlrev_b32_e32 v70, 3, v100
	v_lshl_add_u64 v[82:83], v[66:67], 0, v[70:71]
	s_mov_b64 s[22:23], 0
	s_branch .LBB386_1099
.LBB386_1097:                           ;   in Loop: Header=BB386_1099 Depth=1
	s_or_b64 exec, exec, s[26:27]
	s_and_b64 s[12:13], s[28:29], exec
.LBB386_1098:                           ;   in Loop: Header=BB386_1099 Depth=1
	s_or_b64 exec, exec, s[24:25]
	v_add_u32_e32 v70, 1, v84
	v_cndmask_b32_e64 v113, v113, v84, s[12:13]
	v_cndmask_b32_e64 v112, v70, v112, s[12:13]
	v_cmp_ge_u32_e64 s[12:13], v112, v113
	s_or_b64 s[22:23], s[12:13], s[22:23]
	s_andn2_b64 exec, exec, s[22:23]
	s_cbranch_execz .LBB386_1104
.LBB386_1099:                           ; =>This Loop Header: Depth=1
                                        ;     Child Loop BB386_1102 Depth 2
	v_add_u32_e32 v70, v113, v112
	v_lshrrev_b32_e32 v84, 1, v70
	s_mov_b64 s[12:13], 0
	s_and_saveexec_b64 s[24:25], s[8:9]
	s_cbranch_execz .LBB386_1098
; %bb.1100:                             ;   in Loop: Header=BB386_1099 Depth=1
	v_mov_b32_e32 v85, v71
	v_xad_u32 v70, v84, -1, v103
	v_lshl_add_u64 v[86:87], v[84:85], 3, v[80:81]
	v_lshl_add_u64 v[96:97], v[70:71], 3, v[82:83]
	flat_load_dwordx2 v[86:87], v[86:87]
	s_mov_b64 s[26:27], 0
	flat_load_dwordx2 v[96:97], v[96:97]
                                        ; implicit-def: $sgpr28_sgpr29
                                        ; implicit-def: $sgpr34_sgpr35
                                        ; implicit-def: $sgpr36_sgpr37
                                        ; implicit-def: $sgpr16_sgpr17
                                        ; implicit-def: $sgpr42_sgpr43
	s_waitcnt vmcnt(0) lgkmcnt(0)
	v_mul_lo_u32 v70, v64, v87
	v_mul_lo_u32 v85, v65, v86
	v_mad_u64_u32 v[86:87], s[12:13], v64, v86, v[8:9]
	v_mul_lo_u32 v98, v64, v97
	v_mul_lo_u32 v99, v65, v96
	v_mad_u64_u32 v[96:97], s[12:13], v64, v96, v[8:9]
	v_add3_u32 v87, v85, v87, v70
	v_add3_u32 v97, v99, v97, v98
	v_mov_b64_e32 v[98:99], v[6:7]
	s_branch .LBB386_1102
.LBB386_1101:                           ;   in Loop: Header=BB386_1102 Depth=2
	s_or_b64 exec, exec, s[44:45]
	s_and_b64 s[12:13], exec, s[34:35]
	s_or_b64 s[26:27], s[12:13], s[26:27]
	s_andn2_b64 s[12:13], s[42:43], exec
	s_and_b64 s[18:19], s[36:37], exec
	s_or_b64 s[42:43], s[12:13], s[18:19]
	s_andn2_b64 s[12:13], s[28:29], exec
	s_and_b64 s[18:19], s[16:17], exec
	s_or_b64 s[28:29], s[12:13], s[18:19]
	s_andn2_b64 exec, exec, s[26:27]
	s_cbranch_execz .LBB386_1097
.LBB386_1102:                           ;   Parent Loop BB386_1099 Depth=1
                                        ; =>  This Inner Loop Header: Depth=2
	flat_load_dword v70, v[96:97]
	flat_load_dword v85, v[86:87]
	s_andn2_b64 s[44:45], s[16:17], exec
	s_andn2_b64 s[36:37], s[36:37], exec
	s_or_b64 s[34:35], s[34:35], exec
	s_waitcnt vmcnt(0) lgkmcnt(0)
	v_cmp_le_i32_e64 s[16:17], v70, v85
	v_cmp_lt_i32_e64 s[12:13], v70, v85
	s_and_b64 s[16:17], s[16:17], s[42:43]
	s_or_b64 s[46:47], s[12:13], s[16:17]
	s_and_b64 s[12:13], s[46:47], exec
	v_cmp_eq_u32_e64 s[18:19], v70, v85
	s_or_b64 s[16:17], s[44:45], s[12:13]
	s_and_saveexec_b64 s[44:45], s[18:19]
	s_cbranch_execz .LBB386_1101
; %bb.1103:                             ;   in Loop: Header=BB386_1102 Depth=2
	v_lshl_add_u64 v[98:99], v[98:99], 0, -1
	v_cmp_eq_u64_e64 s[12:13], 0, v[98:99]
	s_andn2_b64 s[18:19], s[36:37], exec
	s_and_b64 s[36:37], s[46:47], exec
	s_or_b64 s[36:37], s[18:19], s[36:37]
	s_andn2_b64 s[18:19], s[34:35], exec
	s_and_b64 s[12:13], s[12:13], exec
	v_lshl_add_u64 v[86:87], v[86:87], 0, 4
	v_lshl_add_u64 v[96:97], v[96:97], 0, 4
	s_andn2_b64 s[16:17], s[16:17], exec
	s_or_b64 s[34:35], s[18:19], s[12:13]
                                        ; implicit-def: $sgpr42_sgpr43
	s_branch .LBB386_1101
.LBB386_1104:
	s_or_b64 exec, exec, s[22:23]
.LBB386_1105:
	s_or_b64 exec, exec, s[20:21]
	v_add_u32_e32 v71, v100, v103
	v_add_u32_e32 v70, v112, v102
	v_sub_u32_e32 v80, v71, v112
	v_cmp_le_u32_e64 s[12:13], v70, v100
	v_cmp_le_u32_e64 s[16:17], v80, v101
	s_or_b64 s[12:13], s[12:13], s[16:17]
	s_and_saveexec_b64 s[20:21], s[12:13]
	s_cbranch_execz .LBB386_1189
; %bb.1106:
	v_cmp_ge_u32_e64 s[16:17], v70, v100
	v_cmp_lt_u32_e64 s[12:13], v70, v100
                                        ; implicit-def: $vgpr12_vgpr13
	s_and_saveexec_b64 s[18:19], s[12:13]
	s_cbranch_execz .LBB386_1108
; %bb.1107:
	v_mov_b32_e32 v71, 0
	v_lshl_add_u64 v[12:13], v[70:71], 3, v[66:67]
	flat_load_dwordx2 v[12:13], v[12:13]
.LBB386_1108:
	s_or_b64 exec, exec, s[18:19]
	v_cmp_ge_u32_e64 s[22:23], v80, v101
	v_cmp_lt_u32_e64 s[12:13], v80, v101
                                        ; implicit-def: $vgpr14_vgpr15
	s_and_saveexec_b64 s[18:19], s[12:13]
	s_cbranch_execz .LBB386_1110
; %bb.1109:
	v_mov_b32_e32 v81, 0
	v_lshl_add_u64 v[14:15], v[80:81], 3, v[66:67]
	flat_load_dwordx2 v[14:15], v[14:15]
.LBB386_1110:
	s_or_b64 exec, exec, s[18:19]
	s_or_b64 s[12:13], s[16:17], s[22:23]
	s_xor_b64 s[12:13], s[12:13], -1
	s_and_saveexec_b64 s[24:25], s[12:13]
	s_cbranch_execz .LBB386_1118
; %bb.1111:
	s_mov_b64 s[12:13], 0
	s_and_saveexec_b64 s[26:27], s[8:9]
	s_cbranch_execz .LBB386_1117
; %bb.1112:
	s_waitcnt vmcnt(0) lgkmcnt(0)
	v_mul_lo_u32 v18, v13, v6
	v_mul_lo_u32 v19, v12, v7
	v_mad_u64_u32 v[16:17], s[12:13], v12, v6, 0
	v_add3_u32 v17, v17, v19, v18
	v_mul_lo_u32 v20, v15, v6
	v_mul_lo_u32 v21, v14, v7
	v_mad_u64_u32 v[18:19], s[12:13], v14, v6, 0
	v_add3_u32 v19, v19, v21, v20
	v_lshl_add_u64 v[16:17], v[16:17], 2, v[8:9]
	v_lshl_add_u64 v[18:19], v[18:19], 2, v[8:9]
	s_mov_b64 s[28:29], 0
	v_mov_b64_e32 v[20:21], v[6:7]
                                        ; implicit-def: $sgpr34_sgpr35
                                        ; implicit-def: $sgpr36_sgpr37
                                        ; implicit-def: $sgpr42_sgpr43
                                        ; implicit-def: $sgpr16_sgpr17
                                        ; implicit-def: $sgpr44_sgpr45
	s_branch .LBB386_1114
.LBB386_1113:                           ;   in Loop: Header=BB386_1114 Depth=1
	s_or_b64 exec, exec, s[46:47]
	s_and_b64 s[12:13], exec, s[36:37]
	s_or_b64 s[28:29], s[12:13], s[28:29]
	s_andn2_b64 s[12:13], s[44:45], exec
	s_and_b64 s[18:19], s[42:43], exec
	s_or_b64 s[44:45], s[12:13], s[18:19]
	s_andn2_b64 s[12:13], s[34:35], exec
	s_and_b64 s[18:19], s[16:17], exec
	s_or_b64 s[34:35], s[12:13], s[18:19]
	s_andn2_b64 exec, exec, s[28:29]
	s_cbranch_execz .LBB386_1116
.LBB386_1114:                           ; =>This Inner Loop Header: Depth=1
	flat_load_dword v22, v[18:19]
	flat_load_dword v23, v[16:17]
	s_andn2_b64 s[46:47], s[16:17], exec
	s_andn2_b64 s[42:43], s[42:43], exec
	s_or_b64 s[36:37], s[36:37], exec
	s_waitcnt vmcnt(0) lgkmcnt(0)
	v_cmp_le_i32_e64 s[16:17], v22, v23
	v_cmp_lt_i32_e64 s[12:13], v22, v23
	s_and_b64 s[16:17], s[16:17], s[44:45]
	s_or_b64 s[48:49], s[12:13], s[16:17]
	s_and_b64 s[12:13], s[48:49], exec
	v_cmp_eq_u32_e64 s[18:19], v22, v23
	s_or_b64 s[16:17], s[46:47], s[12:13]
	s_and_saveexec_b64 s[46:47], s[18:19]
	s_cbranch_execz .LBB386_1113
; %bb.1115:                             ;   in Loop: Header=BB386_1114 Depth=1
	v_lshl_add_u64 v[20:21], v[20:21], 0, -1
	v_cmp_eq_u64_e64 s[12:13], 0, v[20:21]
	s_andn2_b64 s[18:19], s[42:43], exec
	s_and_b64 s[42:43], s[48:49], exec
	s_or_b64 s[42:43], s[18:19], s[42:43]
	s_andn2_b64 s[18:19], s[36:37], exec
	s_and_b64 s[12:13], s[12:13], exec
	v_lshl_add_u64 v[16:17], v[16:17], 0, 4
	v_lshl_add_u64 v[18:19], v[18:19], 0, 4
	s_andn2_b64 s[16:17], s[16:17], exec
	s_or_b64 s[36:37], s[18:19], s[12:13]
                                        ; implicit-def: $sgpr44_sgpr45
	s_branch .LBB386_1113
.LBB386_1116:
	s_or_b64 exec, exec, s[28:29]
	s_and_b64 s[12:13], s[34:35], exec
.LBB386_1117:
	s_or_b64 exec, exec, s[26:27]
	s_xor_b64 s[12:13], s[12:13], -1
	s_andn2_b64 s[16:17], s[22:23], exec
	s_and_b64 s[12:13], s[12:13], exec
	s_or_b64 s[22:23], s[16:17], s[12:13]
.LBB386_1118:
	s_or_b64 exec, exec, s[24:25]
	v_cndmask_b32_e64 v16, v80, v70, s[22:23]
	v_cndmask_b32_e64 v17, v101, v100, s[22:23]
	v_add_u32_e32 v20, 1, v16
	v_add_u32_e32 v16, -1, v17
	v_min_u32_e32 v16, v20, v16
	v_mov_b32_e32 v17, 0
	v_lshl_add_u64 v[18:19], v[16:17], 3, v[66:67]
	flat_load_dwordx2 v[18:19], v[18:19]
	v_cndmask_b32_e64 v27, v20, v80, s[22:23]
	s_mov_b64 s[24:25], -1
	v_cndmask_b32_e64 v70, v70, v20, s[22:23]
	v_cmp_lt_u32_e64 s[12:13], v27, v101
	s_mov_b64 s[26:27], -1
	s_waitcnt vmcnt(0) lgkmcnt(0)
	v_cndmask_b32_e64 v24, v19, v15, s[22:23]
	v_cndmask_b32_e64 v25, v18, v14, s[22:23]
	;; [unrolled: 1-line block ×4, first 2 shown]
	s_and_saveexec_b64 s[28:29], s[12:13]
	s_cbranch_execz .LBB386_1128
; %bb.1119:
	v_cmp_lt_u32_e64 s[12:13], v70, v100
	s_mov_b64 s[16:17], 0
	s_and_saveexec_b64 s[26:27], s[12:13]
	s_cbranch_execz .LBB386_1127
; %bb.1120:
	s_mov_b64 s[12:13], 0
	s_and_saveexec_b64 s[34:35], s[8:9]
	s_cbranch_execz .LBB386_1126
; %bb.1121:
	v_mul_lo_u32 v16, v26, v6
	v_mul_lo_u32 v20, v80, v7
	v_mad_u64_u32 v[18:19], s[12:13], v80, v6, 0
	v_add3_u32 v19, v19, v20, v16
	v_mul_lo_u32 v16, v24, v6
	v_mul_lo_u32 v22, v25, v7
	v_mad_u64_u32 v[20:21], s[12:13], v25, v6, 0
	v_add3_u32 v21, v21, v22, v16
	v_lshl_add_u64 v[18:19], v[18:19], 2, v[8:9]
	v_lshl_add_u64 v[20:21], v[20:21], 2, v[8:9]
	s_mov_b64 s[36:37], 0
	v_mov_b64_e32 v[22:23], v[6:7]
                                        ; implicit-def: $sgpr42_sgpr43
                                        ; implicit-def: $sgpr44_sgpr45
                                        ; implicit-def: $sgpr46_sgpr47
                                        ; implicit-def: $sgpr16_sgpr17
                                        ; implicit-def: $sgpr48_sgpr49
	s_branch .LBB386_1123
.LBB386_1122:                           ;   in Loop: Header=BB386_1123 Depth=1
	s_or_b64 exec, exec, s[50:51]
	s_and_b64 s[12:13], exec, s[44:45]
	s_or_b64 s[36:37], s[12:13], s[36:37]
	s_andn2_b64 s[12:13], s[48:49], exec
	s_and_b64 s[18:19], s[46:47], exec
	s_or_b64 s[48:49], s[12:13], s[18:19]
	s_andn2_b64 s[12:13], s[42:43], exec
	s_and_b64 s[18:19], s[16:17], exec
	s_or_b64 s[42:43], s[12:13], s[18:19]
	s_andn2_b64 exec, exec, s[36:37]
	s_cbranch_execz .LBB386_1125
.LBB386_1123:                           ; =>This Inner Loop Header: Depth=1
	flat_load_dword v16, v[20:21]
	flat_load_dword v71, v[18:19]
	s_andn2_b64 s[50:51], s[16:17], exec
	s_andn2_b64 s[46:47], s[46:47], exec
	s_or_b64 s[44:45], s[44:45], exec
	s_waitcnt vmcnt(0) lgkmcnt(0)
	v_cmp_le_i32_e64 s[16:17], v16, v71
	v_cmp_lt_i32_e64 s[12:13], v16, v71
	s_and_b64 s[16:17], s[16:17], s[48:49]
	s_or_b64 s[52:53], s[12:13], s[16:17]
	s_and_b64 s[12:13], s[52:53], exec
	v_cmp_eq_u32_e64 s[18:19], v16, v71
	s_or_b64 s[16:17], s[50:51], s[12:13]
	s_and_saveexec_b64 s[50:51], s[18:19]
	s_cbranch_execz .LBB386_1122
; %bb.1124:                             ;   in Loop: Header=BB386_1123 Depth=1
	v_lshl_add_u64 v[22:23], v[22:23], 0, -1
	v_cmp_eq_u64_e64 s[12:13], 0, v[22:23]
	s_andn2_b64 s[18:19], s[46:47], exec
	s_and_b64 s[46:47], s[52:53], exec
	s_or_b64 s[46:47], s[18:19], s[46:47]
	s_andn2_b64 s[18:19], s[44:45], exec
	s_and_b64 s[12:13], s[12:13], exec
	v_lshl_add_u64 v[18:19], v[18:19], 0, 4
	v_lshl_add_u64 v[20:21], v[20:21], 0, 4
	s_andn2_b64 s[16:17], s[16:17], exec
	s_or_b64 s[44:45], s[18:19], s[12:13]
                                        ; implicit-def: $sgpr48_sgpr49
	s_branch .LBB386_1122
.LBB386_1125:
	s_or_b64 exec, exec, s[36:37]
	s_and_b64 s[12:13], s[42:43], exec
.LBB386_1126:
	s_or_b64 exec, exec, s[34:35]
	s_xor_b64 s[12:13], s[12:13], -1
	s_and_b64 s[16:17], s[12:13], exec
.LBB386_1127:
	s_or_b64 exec, exec, s[26:27]
	s_orn2_b64 s[26:27], s[16:17], exec
.LBB386_1128:
	s_or_b64 exec, exec, s[28:29]
	v_cndmask_b32_e64 v16, v27, v70, s[26:27]
	v_cndmask_b32_e64 v18, v101, v100, s[26:27]
	v_add_u32_e32 v19, 1, v16
	v_add_u32_e32 v16, -1, v18
	v_min_u32_e32 v16, v19, v16
	v_lshl_add_u64 v[16:17], v[16:17], 3, v[66:67]
	flat_load_dwordx2 v[16:17], v[16:17]
	v_cndmask_b32_e64 v22, v19, v27, s[26:27]
	v_cndmask_b32_e64 v23, v70, v19, s[26:27]
	v_cmp_lt_u32_e64 s[12:13], v22, v101
	s_waitcnt vmcnt(0) lgkmcnt(0)
	v_cndmask_b32_e64 v27, v17, v24, s[26:27]
	v_cndmask_b32_e64 v81, v16, v25, s[26:27]
	v_cndmask_b32_e64 v82, v26, v17, s[26:27]
	v_cndmask_b32_e64 v83, v80, v16, s[26:27]
	s_and_saveexec_b64 s[28:29], s[12:13]
	s_cbranch_execz .LBB386_1138
; %bb.1129:
	v_cmp_lt_u32_e64 s[12:13], v23, v100
	s_mov_b64 s[16:17], 0
	s_and_saveexec_b64 s[24:25], s[12:13]
	s_cbranch_execz .LBB386_1137
; %bb.1130:
	s_mov_b64 s[12:13], 0
	s_and_saveexec_b64 s[34:35], s[8:9]
	s_cbranch_execz .LBB386_1136
; %bb.1131:
	v_mul_lo_u32 v18, v82, v6
	v_mul_lo_u32 v19, v83, v7
	v_mad_u64_u32 v[16:17], s[12:13], v83, v6, 0
	v_add3_u32 v17, v17, v19, v18
	v_mul_lo_u32 v20, v27, v6
	v_mul_lo_u32 v21, v81, v7
	v_mad_u64_u32 v[18:19], s[12:13], v81, v6, 0
	v_add3_u32 v19, v19, v21, v20
	v_lshl_add_u64 v[16:17], v[16:17], 2, v[8:9]
	v_lshl_add_u64 v[18:19], v[18:19], 2, v[8:9]
	s_mov_b64 s[36:37], 0
	v_mov_b64_e32 v[20:21], v[6:7]
                                        ; implicit-def: $sgpr42_sgpr43
                                        ; implicit-def: $sgpr44_sgpr45
                                        ; implicit-def: $sgpr46_sgpr47
                                        ; implicit-def: $sgpr16_sgpr17
                                        ; implicit-def: $sgpr48_sgpr49
	s_branch .LBB386_1133
.LBB386_1132:                           ;   in Loop: Header=BB386_1133 Depth=1
	s_or_b64 exec, exec, s[50:51]
	s_and_b64 s[12:13], exec, s[44:45]
	s_or_b64 s[36:37], s[12:13], s[36:37]
	s_andn2_b64 s[12:13], s[48:49], exec
	s_and_b64 s[18:19], s[46:47], exec
	s_or_b64 s[48:49], s[12:13], s[18:19]
	s_andn2_b64 s[12:13], s[42:43], exec
	s_and_b64 s[18:19], s[16:17], exec
	s_or_b64 s[42:43], s[12:13], s[18:19]
	s_andn2_b64 exec, exec, s[36:37]
	s_cbranch_execz .LBB386_1135
.LBB386_1133:                           ; =>This Inner Loop Header: Depth=1
	flat_load_dword v70, v[18:19]
	flat_load_dword v71, v[16:17]
	s_andn2_b64 s[50:51], s[16:17], exec
	s_andn2_b64 s[46:47], s[46:47], exec
	s_or_b64 s[44:45], s[44:45], exec
	s_waitcnt vmcnt(0) lgkmcnt(0)
	v_cmp_le_i32_e64 s[16:17], v70, v71
	v_cmp_lt_i32_e64 s[12:13], v70, v71
	s_and_b64 s[16:17], s[16:17], s[48:49]
	s_or_b64 s[52:53], s[12:13], s[16:17]
	s_and_b64 s[12:13], s[52:53], exec
	v_cmp_eq_u32_e64 s[18:19], v70, v71
	s_or_b64 s[16:17], s[50:51], s[12:13]
	s_and_saveexec_b64 s[50:51], s[18:19]
	s_cbranch_execz .LBB386_1132
; %bb.1134:                             ;   in Loop: Header=BB386_1133 Depth=1
	v_lshl_add_u64 v[20:21], v[20:21], 0, -1
	v_cmp_eq_u64_e64 s[12:13], 0, v[20:21]
	s_andn2_b64 s[18:19], s[46:47], exec
	s_and_b64 s[46:47], s[52:53], exec
	s_or_b64 s[46:47], s[18:19], s[46:47]
	s_andn2_b64 s[18:19], s[44:45], exec
	s_and_b64 s[12:13], s[12:13], exec
	v_lshl_add_u64 v[16:17], v[16:17], 0, 4
	v_lshl_add_u64 v[18:19], v[18:19], 0, 4
	s_andn2_b64 s[16:17], s[16:17], exec
	s_or_b64 s[44:45], s[18:19], s[12:13]
                                        ; implicit-def: $sgpr48_sgpr49
	s_branch .LBB386_1132
.LBB386_1135:
	s_or_b64 exec, exec, s[36:37]
	s_and_b64 s[12:13], s[42:43], exec
.LBB386_1136:
	s_or_b64 exec, exec, s[34:35]
	s_xor_b64 s[12:13], s[12:13], -1
	s_and_b64 s[16:17], s[12:13], exec
.LBB386_1137:
	s_or_b64 exec, exec, s[24:25]
	s_orn2_b64 s[24:25], s[16:17], exec
.LBB386_1138:
	s_or_b64 exec, exec, s[28:29]
	v_cndmask_b32_e64 v16, v22, v23, s[24:25]
	v_cndmask_b32_e64 v17, v101, v100, s[24:25]
	v_add_u32_e32 v20, 1, v16
	v_add_u32_e32 v16, -1, v17
	v_min_u32_e32 v16, v20, v16
	v_mov_b32_e32 v17, 0
	v_lshl_add_u64 v[18:19], v[16:17], 3, v[66:67]
	flat_load_dwordx2 v[18:19], v[18:19]
	v_cndmask_b32_e64 v70, v20, v22, s[24:25]
	s_mov_b64 s[28:29], -1
	v_cndmask_b32_e64 v71, v23, v20, s[24:25]
	v_cmp_lt_u32_e64 s[12:13], v70, v101
	s_mov_b64 s[34:35], -1
	s_waitcnt vmcnt(0) lgkmcnt(0)
	v_cndmask_b32_e64 v84, v19, v27, s[24:25]
	v_cndmask_b32_e64 v85, v18, v81, s[24:25]
	;; [unrolled: 1-line block ×4, first 2 shown]
	s_and_saveexec_b64 s[36:37], s[12:13]
	s_cbranch_execz .LBB386_1148
; %bb.1139:
	v_cmp_lt_u32_e64 s[12:13], v71, v100
	s_mov_b64 s[16:17], 0
	s_and_saveexec_b64 s[34:35], s[12:13]
	s_cbranch_execz .LBB386_1147
; %bb.1140:
	s_mov_b64 s[12:13], -1
	s_and_saveexec_b64 s[42:43], s[8:9]
	s_cbranch_execz .LBB386_1146
; %bb.1141:
	v_mul_lo_u32 v16, v86, v6
	v_mul_lo_u32 v20, v87, v7
	v_mad_u64_u32 v[18:19], s[12:13], v87, v6, 0
	v_add3_u32 v19, v19, v20, v16
	v_mul_lo_u32 v16, v84, v6
	v_mul_lo_u32 v22, v85, v7
	v_mad_u64_u32 v[20:21], s[12:13], v85, v6, 0
	v_add3_u32 v21, v21, v22, v16
	v_lshl_add_u64 v[18:19], v[18:19], 2, v[8:9]
	v_lshl_add_u64 v[20:21], v[20:21], 2, v[8:9]
	s_mov_b64 s[44:45], 0
	v_mov_b64_e32 v[22:23], v[6:7]
                                        ; implicit-def: $sgpr46_sgpr47
                                        ; implicit-def: $sgpr48_sgpr49
                                        ; implicit-def: $sgpr16_sgpr17
                                        ; implicit-def: $sgpr50_sgpr51
                                        ; implicit-def: $sgpr52_sgpr53
	s_branch .LBB386_1143
.LBB386_1142:                           ;   in Loop: Header=BB386_1143 Depth=1
	s_or_b64 exec, exec, s[54:55]
	s_and_b64 s[12:13], exec, s[48:49]
	s_or_b64 s[44:45], s[12:13], s[44:45]
	s_andn2_b64 s[12:13], s[52:53], exec
	s_and_b64 s[18:19], s[50:51], exec
	s_or_b64 s[52:53], s[12:13], s[18:19]
	s_andn2_b64 s[12:13], s[46:47], exec
	s_and_b64 s[18:19], s[16:17], exec
	s_or_b64 s[46:47], s[12:13], s[18:19]
	s_andn2_b64 exec, exec, s[44:45]
	s_cbranch_execz .LBB386_1145
.LBB386_1143:                           ; =>This Inner Loop Header: Depth=1
	flat_load_dword v16, v[20:21]
	flat_load_dword v96, v[18:19]
	s_andn2_b64 s[54:55], s[16:17], exec
	s_andn2_b64 s[50:51], s[50:51], exec
	s_or_b64 s[48:49], s[48:49], exec
	s_waitcnt vmcnt(0) lgkmcnt(0)
	v_cmp_le_i32_e64 s[16:17], v16, v96
	v_cmp_lt_i32_e64 s[12:13], v16, v96
	s_and_b64 s[16:17], s[16:17], s[52:53]
	s_or_b64 s[56:57], s[12:13], s[16:17]
	s_and_b64 s[12:13], s[56:57], exec
	v_cmp_eq_u32_e64 s[18:19], v16, v96
	s_or_b64 s[16:17], s[54:55], s[12:13]
	s_and_saveexec_b64 s[54:55], s[18:19]
	s_cbranch_execz .LBB386_1142
; %bb.1144:                             ;   in Loop: Header=BB386_1143 Depth=1
	v_lshl_add_u64 v[22:23], v[22:23], 0, -1
	v_cmp_eq_u64_e64 s[12:13], 0, v[22:23]
	s_andn2_b64 s[18:19], s[50:51], exec
	s_and_b64 s[50:51], s[56:57], exec
	s_or_b64 s[50:51], s[18:19], s[50:51]
	s_andn2_b64 s[18:19], s[48:49], exec
	s_and_b64 s[12:13], s[12:13], exec
	v_lshl_add_u64 v[18:19], v[18:19], 0, 4
	v_lshl_add_u64 v[20:21], v[20:21], 0, 4
	s_andn2_b64 s[16:17], s[16:17], exec
	s_or_b64 s[48:49], s[18:19], s[12:13]
                                        ; implicit-def: $sgpr52_sgpr53
	s_branch .LBB386_1142
.LBB386_1145:
	s_or_b64 exec, exec, s[44:45]
	s_xor_b64 s[12:13], s[46:47], -1
	s_orn2_b64 s[12:13], s[12:13], exec
.LBB386_1146:
	s_or_b64 exec, exec, s[42:43]
	s_and_b64 s[16:17], s[12:13], exec
.LBB386_1147:
	s_or_b64 exec, exec, s[34:35]
	s_orn2_b64 s[34:35], s[16:17], exec
.LBB386_1148:
	s_or_b64 exec, exec, s[36:37]
	v_cndmask_b32_e64 v16, v70, v71, s[34:35]
	v_cndmask_b32_e64 v18, v101, v100, s[34:35]
	v_add_u32_e32 v19, 1, v16
	v_add_u32_e32 v16, -1, v18
	v_min_u32_e32 v16, v19, v16
	v_lshl_add_u64 v[16:17], v[16:17], 3, v[66:67]
	flat_load_dwordx2 v[16:17], v[16:17]
	v_cndmask_b32_e64 v22, v19, v70, s[34:35]
	v_cndmask_b32_e64 v23, v71, v19, s[34:35]
	v_cmp_lt_u32_e64 s[12:13], v22, v101
	s_waitcnt vmcnt(0) lgkmcnt(0)
	v_cndmask_b32_e64 v96, v17, v84, s[34:35]
	v_cndmask_b32_e64 v97, v16, v85, s[34:35]
	v_cndmask_b32_e64 v98, v86, v17, s[34:35]
	v_cndmask_b32_e64 v99, v87, v16, s[34:35]
	s_and_saveexec_b64 s[36:37], s[12:13]
	s_cbranch_execz .LBB386_1158
; %bb.1149:
	v_cmp_lt_u32_e64 s[12:13], v23, v100
	s_mov_b64 s[16:17], 0
	s_and_saveexec_b64 s[28:29], s[12:13]
	s_cbranch_execz .LBB386_1157
; %bb.1150:
	s_mov_b64 s[12:13], -1
	s_and_saveexec_b64 s[42:43], s[8:9]
	s_cbranch_execz .LBB386_1156
; %bb.1151:
	v_mul_lo_u32 v18, v98, v6
	v_mul_lo_u32 v19, v99, v7
	v_mad_u64_u32 v[16:17], s[12:13], v99, v6, 0
	v_add3_u32 v17, v17, v19, v18
	v_mul_lo_u32 v20, v96, v6
	v_mul_lo_u32 v21, v97, v7
	v_mad_u64_u32 v[18:19], s[12:13], v97, v6, 0
	v_add3_u32 v19, v19, v21, v20
	v_lshl_add_u64 v[16:17], v[16:17], 2, v[8:9]
	v_lshl_add_u64 v[18:19], v[18:19], 2, v[8:9]
	s_mov_b64 s[44:45], 0
	v_mov_b64_e32 v[20:21], v[6:7]
                                        ; implicit-def: $sgpr46_sgpr47
                                        ; implicit-def: $sgpr48_sgpr49
                                        ; implicit-def: $sgpr16_sgpr17
                                        ; implicit-def: $sgpr50_sgpr51
                                        ; implicit-def: $sgpr52_sgpr53
	s_branch .LBB386_1153
.LBB386_1152:                           ;   in Loop: Header=BB386_1153 Depth=1
	s_or_b64 exec, exec, s[54:55]
	s_and_b64 s[12:13], exec, s[48:49]
	s_or_b64 s[44:45], s[12:13], s[44:45]
	s_andn2_b64 s[12:13], s[52:53], exec
	s_and_b64 s[18:19], s[50:51], exec
	s_or_b64 s[52:53], s[12:13], s[18:19]
	s_andn2_b64 s[12:13], s[46:47], exec
	s_and_b64 s[18:19], s[16:17], exec
	s_or_b64 s[46:47], s[12:13], s[18:19]
	s_andn2_b64 exec, exec, s[44:45]
	s_cbranch_execz .LBB386_1155
.LBB386_1153:                           ; =>This Inner Loop Header: Depth=1
	flat_load_dword v70, v[18:19]
	flat_load_dword v71, v[16:17]
	s_andn2_b64 s[54:55], s[16:17], exec
	s_andn2_b64 s[50:51], s[50:51], exec
	s_or_b64 s[48:49], s[48:49], exec
	s_waitcnt vmcnt(0) lgkmcnt(0)
	v_cmp_le_i32_e64 s[16:17], v70, v71
	v_cmp_lt_i32_e64 s[12:13], v70, v71
	s_and_b64 s[16:17], s[16:17], s[52:53]
	s_or_b64 s[56:57], s[12:13], s[16:17]
	s_and_b64 s[12:13], s[56:57], exec
	v_cmp_eq_u32_e64 s[18:19], v70, v71
	s_or_b64 s[16:17], s[54:55], s[12:13]
	s_and_saveexec_b64 s[54:55], s[18:19]
	s_cbranch_execz .LBB386_1152
; %bb.1154:                             ;   in Loop: Header=BB386_1153 Depth=1
	v_lshl_add_u64 v[20:21], v[20:21], 0, -1
	v_cmp_eq_u64_e64 s[12:13], 0, v[20:21]
	s_andn2_b64 s[18:19], s[50:51], exec
	s_and_b64 s[50:51], s[56:57], exec
	s_or_b64 s[50:51], s[18:19], s[50:51]
	s_andn2_b64 s[18:19], s[48:49], exec
	s_and_b64 s[12:13], s[12:13], exec
	v_lshl_add_u64 v[16:17], v[16:17], 0, 4
	v_lshl_add_u64 v[18:19], v[18:19], 0, 4
	s_andn2_b64 s[16:17], s[16:17], exec
	s_or_b64 s[48:49], s[18:19], s[12:13]
                                        ; implicit-def: $sgpr52_sgpr53
	s_branch .LBB386_1152
.LBB386_1155:
	s_or_b64 exec, exec, s[44:45]
	s_xor_b64 s[12:13], s[46:47], -1
	s_orn2_b64 s[12:13], s[12:13], exec
.LBB386_1156:
	s_or_b64 exec, exec, s[42:43]
	s_and_b64 s[16:17], s[12:13], exec
.LBB386_1157:
	s_or_b64 exec, exec, s[28:29]
	s_orn2_b64 s[28:29], s[16:17], exec
.LBB386_1158:
	s_or_b64 exec, exec, s[36:37]
	v_cndmask_b32_e64 v16, v22, v23, s[28:29]
	v_cndmask_b32_e64 v17, v101, v100, s[28:29]
	v_add_u32_e32 v20, 1, v16
	v_add_u32_e32 v16, -1, v17
	v_min_u32_e32 v16, v20, v16
	v_mov_b32_e32 v17, 0
	v_lshl_add_u64 v[18:19], v[16:17], 3, v[66:67]
	flat_load_dwordx2 v[18:19], v[18:19]
	v_cndmask_b32_e64 v70, v20, v22, s[28:29]
	s_mov_b64 s[36:37], -1
	v_cndmask_b32_e64 v71, v23, v20, s[28:29]
	v_cmp_lt_u32_e64 s[12:13], v70, v101
	s_mov_b64 s[42:43], -1
	s_waitcnt vmcnt(0) lgkmcnt(0)
	v_cndmask_b32_e64 v102, v19, v96, s[28:29]
	v_cndmask_b32_e64 v103, v18, v97, s[28:29]
	;; [unrolled: 1-line block ×4, first 2 shown]
	s_and_saveexec_b64 s[44:45], s[12:13]
	s_cbranch_execz .LBB386_1168
; %bb.1159:
	v_cmp_lt_u32_e64 s[12:13], v71, v100
	s_mov_b64 s[16:17], 0
	s_and_saveexec_b64 s[42:43], s[12:13]
	s_cbranch_execz .LBB386_1167
; %bb.1160:
	s_mov_b64 s[12:13], -1
	s_and_saveexec_b64 s[46:47], s[8:9]
	s_cbranch_execz .LBB386_1166
; %bb.1161:
	v_mul_lo_u32 v16, v112, v6
	v_mul_lo_u32 v20, v113, v7
	v_mad_u64_u32 v[18:19], s[12:13], v113, v6, 0
	v_add3_u32 v19, v19, v20, v16
	v_mul_lo_u32 v16, v102, v6
	v_mul_lo_u32 v22, v103, v7
	v_mad_u64_u32 v[20:21], s[12:13], v103, v6, 0
	v_add3_u32 v21, v21, v22, v16
	v_lshl_add_u64 v[18:19], v[18:19], 2, v[8:9]
	v_lshl_add_u64 v[20:21], v[20:21], 2, v[8:9]
	s_mov_b64 s[48:49], 0
	v_mov_b64_e32 v[22:23], v[6:7]
                                        ; implicit-def: $sgpr50_sgpr51
                                        ; implicit-def: $sgpr52_sgpr53
                                        ; implicit-def: $sgpr16_sgpr17
                                        ; implicit-def: $sgpr54_sgpr55
                                        ; implicit-def: $sgpr56_sgpr57
	s_branch .LBB386_1163
.LBB386_1162:                           ;   in Loop: Header=BB386_1163 Depth=1
	s_or_b64 exec, exec, s[58:59]
	s_and_b64 s[12:13], exec, s[52:53]
	s_or_b64 s[48:49], s[12:13], s[48:49]
	s_andn2_b64 s[12:13], s[56:57], exec
	s_and_b64 s[18:19], s[54:55], exec
	s_or_b64 s[56:57], s[12:13], s[18:19]
	s_andn2_b64 s[12:13], s[50:51], exec
	s_and_b64 s[18:19], s[16:17], exec
	s_or_b64 s[50:51], s[12:13], s[18:19]
	s_andn2_b64 exec, exec, s[48:49]
	s_cbranch_execz .LBB386_1165
.LBB386_1163:                           ; =>This Inner Loop Header: Depth=1
	flat_load_dword v16, v[20:21]
	flat_load_dword v114, v[18:19]
	s_andn2_b64 s[58:59], s[16:17], exec
	s_andn2_b64 s[54:55], s[54:55], exec
	s_or_b64 s[52:53], s[52:53], exec
	s_waitcnt vmcnt(0) lgkmcnt(0)
	v_cmp_le_i32_e64 s[16:17], v16, v114
	v_cmp_lt_i32_e64 s[12:13], v16, v114
	s_and_b64 s[16:17], s[16:17], s[56:57]
	s_or_b64 s[60:61], s[12:13], s[16:17]
	s_and_b64 s[12:13], s[60:61], exec
	v_cmp_eq_u32_e64 s[18:19], v16, v114
	s_or_b64 s[16:17], s[58:59], s[12:13]
	s_and_saveexec_b64 s[58:59], s[18:19]
	s_cbranch_execz .LBB386_1162
; %bb.1164:                             ;   in Loop: Header=BB386_1163 Depth=1
	v_lshl_add_u64 v[22:23], v[22:23], 0, -1
	v_cmp_eq_u64_e64 s[12:13], 0, v[22:23]
	s_andn2_b64 s[18:19], s[54:55], exec
	s_and_b64 s[54:55], s[60:61], exec
	s_or_b64 s[54:55], s[18:19], s[54:55]
	s_andn2_b64 s[18:19], s[52:53], exec
	s_and_b64 s[12:13], s[12:13], exec
	v_lshl_add_u64 v[18:19], v[18:19], 0, 4
	v_lshl_add_u64 v[20:21], v[20:21], 0, 4
	s_andn2_b64 s[16:17], s[16:17], exec
	s_or_b64 s[52:53], s[18:19], s[12:13]
                                        ; implicit-def: $sgpr56_sgpr57
	s_branch .LBB386_1162
.LBB386_1165:
	s_or_b64 exec, exec, s[48:49]
	s_xor_b64 s[12:13], s[50:51], -1
	s_orn2_b64 s[12:13], s[12:13], exec
.LBB386_1166:
	s_or_b64 exec, exec, s[46:47]
	s_and_b64 s[16:17], s[12:13], exec
.LBB386_1167:
	s_or_b64 exec, exec, s[42:43]
	s_orn2_b64 s[42:43], s[16:17], exec
.LBB386_1168:
	s_or_b64 exec, exec, s[44:45]
	v_cndmask_b32_e64 v16, v70, v71, s[42:43]
	v_cndmask_b32_e64 v18, v101, v100, s[42:43]
	v_add_u32_e32 v19, 1, v16
	v_add_u32_e32 v16, -1, v18
	v_min_u32_e32 v16, v19, v16
	v_lshl_add_u64 v[16:17], v[16:17], 3, v[66:67]
	flat_load_dwordx2 v[16:17], v[16:17]
	v_cndmask_b32_e64 v117, v19, v70, s[42:43]
	v_cndmask_b32_e64 v114, v71, v19, s[42:43]
	v_cmp_lt_u32_e64 s[12:13], v117, v101
	s_waitcnt vmcnt(0) lgkmcnt(0)
	v_cndmask_b32_e64 v115, v17, v102, s[42:43]
	v_cndmask_b32_e64 v116, v16, v103, s[42:43]
	;; [unrolled: 1-line block ×4, first 2 shown]
	s_and_saveexec_b64 s[44:45], s[12:13]
	s_cbranch_execz .LBB386_1178
; %bb.1169:
	v_cmp_lt_u32_e64 s[12:13], v114, v100
	s_mov_b64 s[16:17], 0
	s_and_saveexec_b64 s[36:37], s[12:13]
	s_cbranch_execz .LBB386_1177
; %bb.1170:
	s_mov_b64 s[12:13], -1
	s_and_saveexec_b64 s[46:47], s[8:9]
	s_cbranch_execz .LBB386_1176
; %bb.1171:
	v_mul_lo_u32 v18, v118, v6
	v_mul_lo_u32 v19, v119, v7
	v_mad_u64_u32 v[16:17], s[12:13], v119, v6, 0
	v_add3_u32 v17, v17, v19, v18
	v_mul_lo_u32 v20, v115, v6
	v_mul_lo_u32 v21, v116, v7
	v_mad_u64_u32 v[18:19], s[12:13], v116, v6, 0
	v_add3_u32 v19, v19, v21, v20
	v_lshl_add_u64 v[16:17], v[16:17], 2, v[8:9]
	v_lshl_add_u64 v[18:19], v[18:19], 2, v[8:9]
	s_mov_b64 s[48:49], 0
	v_mov_b64_e32 v[20:21], v[6:7]
                                        ; implicit-def: $sgpr50_sgpr51
                                        ; implicit-def: $sgpr52_sgpr53
                                        ; implicit-def: $sgpr16_sgpr17
                                        ; implicit-def: $sgpr54_sgpr55
                                        ; implicit-def: $sgpr56_sgpr57
	s_branch .LBB386_1173
.LBB386_1172:                           ;   in Loop: Header=BB386_1173 Depth=1
	s_or_b64 exec, exec, s[58:59]
	s_and_b64 s[12:13], exec, s[52:53]
	s_or_b64 s[48:49], s[12:13], s[48:49]
	s_andn2_b64 s[12:13], s[56:57], exec
	s_and_b64 s[18:19], s[54:55], exec
	s_or_b64 s[56:57], s[12:13], s[18:19]
	s_andn2_b64 s[12:13], s[50:51], exec
	s_and_b64 s[18:19], s[16:17], exec
	s_or_b64 s[50:51], s[12:13], s[18:19]
	s_andn2_b64 exec, exec, s[48:49]
	s_cbranch_execz .LBB386_1175
.LBB386_1173:                           ; =>This Inner Loop Header: Depth=1
	flat_load_dword v22, v[18:19]
	flat_load_dword v23, v[16:17]
	s_andn2_b64 s[58:59], s[16:17], exec
	s_andn2_b64 s[54:55], s[54:55], exec
	s_or_b64 s[52:53], s[52:53], exec
	s_waitcnt vmcnt(0) lgkmcnt(0)
	v_cmp_le_i32_e64 s[16:17], v22, v23
	v_cmp_lt_i32_e64 s[12:13], v22, v23
	s_and_b64 s[16:17], s[16:17], s[56:57]
	s_or_b64 s[60:61], s[12:13], s[16:17]
	s_and_b64 s[12:13], s[60:61], exec
	v_cmp_eq_u32_e64 s[18:19], v22, v23
	s_or_b64 s[16:17], s[58:59], s[12:13]
	s_and_saveexec_b64 s[58:59], s[18:19]
	s_cbranch_execz .LBB386_1172
; %bb.1174:                             ;   in Loop: Header=BB386_1173 Depth=1
	v_lshl_add_u64 v[20:21], v[20:21], 0, -1
	v_cmp_eq_u64_e64 s[12:13], 0, v[20:21]
	s_andn2_b64 s[18:19], s[54:55], exec
	s_and_b64 s[54:55], s[60:61], exec
	s_or_b64 s[54:55], s[18:19], s[54:55]
	s_andn2_b64 s[18:19], s[52:53], exec
	s_and_b64 s[12:13], s[12:13], exec
	v_lshl_add_u64 v[16:17], v[16:17], 0, 4
	v_lshl_add_u64 v[18:19], v[18:19], 0, 4
	s_andn2_b64 s[16:17], s[16:17], exec
	s_or_b64 s[52:53], s[18:19], s[12:13]
                                        ; implicit-def: $sgpr56_sgpr57
	s_branch .LBB386_1172
.LBB386_1175:
	s_or_b64 exec, exec, s[48:49]
	s_xor_b64 s[12:13], s[50:51], -1
	s_orn2_b64 s[12:13], s[12:13], exec
.LBB386_1176:
	s_or_b64 exec, exec, s[46:47]
	s_and_b64 s[16:17], s[12:13], exec
.LBB386_1177:
	s_or_b64 exec, exec, s[36:37]
	s_orn2_b64 s[36:37], s[16:17], exec
.LBB386_1178:
	s_or_b64 exec, exec, s[44:45]
	v_cndmask_b32_e64 v16, v117, v114, s[36:37]
	v_cndmask_b32_e64 v17, v101, v100, s[36:37]
	v_add_u32_e32 v128, 1, v16
	v_add_u32_e32 v16, -1, v17
	v_min_u32_e32 v16, v128, v16
	v_mov_b32_e32 v17, 0
	v_lshl_add_u64 v[16:17], v[16:17], 3, v[66:67]
	flat_load_dwordx2 v[70:71], v[16:17]
	v_cndmask_b32_e64 v21, v27, v82, s[24:25]
	v_cndmask_b32_e64 v27, v24, v26, s[26:27]
	v_cndmask_b32_e64 v26, v25, v80, s[26:27]
	v_cndmask_b32_e64 v80, v128, v117, s[36:37]
	v_cndmask_b32_e64 v19, v102, v112, s[42:43]
	v_cndmask_b32_e64 v18, v103, v113, s[42:43]
	v_cndmask_b32_e64 v17, v96, v98, s[28:29]
	v_cndmask_b32_e64 v16, v97, v99, s[28:29]
	v_cndmask_b32_e64 v23, v84, v86, s[34:35]
	v_cndmask_b32_e64 v22, v85, v87, s[34:35]
	v_cndmask_b32_e64 v20, v81, v83, s[24:25]
	v_cndmask_b32_e64 v25, v15, v13, s[22:23]
	v_cndmask_b32_e64 v24, v14, v12, s[22:23]
	v_cndmask_b32_e64 v13, v115, v118, s[36:37]
	v_cndmask_b32_e64 v12, v116, v119, s[36:37]
	v_cmp_lt_u32_e64 s[12:13], v80, v101
	s_waitcnt vmcnt(0) lgkmcnt(0)
	v_cndmask_b32_e64 v15, v118, v71, s[36:37]
	v_cndmask_b32_e64 v14, v119, v70, s[36:37]
	s_and_saveexec_b64 s[22:23], s[12:13]
	s_cbranch_execz .LBB386_1188
; %bb.1179:
	v_cndmask_b32_e64 v80, v114, v128, s[36:37]
	v_cndmask_b32_e64 v71, v71, v115, s[36:37]
	;; [unrolled: 1-line block ×3, first 2 shown]
	v_cmp_lt_u32_e64 s[12:13], v80, v100
	s_and_saveexec_b64 s[24:25], s[12:13]
	s_cbranch_execz .LBB386_1187
; %bb.1180:
	s_and_saveexec_b64 s[26:27], s[8:9]
	s_cbranch_execz .LBB386_1186
; %bb.1181:
	v_mul_lo_u32 v82, v15, v6
	v_mul_lo_u32 v83, v14, v7
	v_mad_u64_u32 v[80:81], s[12:13], v14, v6, 0
	v_add3_u32 v81, v81, v83, v82
	v_mul_lo_u32 v84, v71, v6
	v_mul_lo_u32 v85, v70, v7
	v_mad_u64_u32 v[82:83], s[12:13], v70, v6, 0
	v_add3_u32 v83, v83, v85, v84
	v_lshl_add_u64 v[80:81], v[80:81], 2, v[8:9]
	v_lshl_add_u64 v[82:83], v[82:83], 2, v[8:9]
	s_mov_b64 s[28:29], 0
	v_mov_b64_e32 v[84:85], v[6:7]
                                        ; implicit-def: $sgpr34_sgpr35
                                        ; implicit-def: $sgpr36_sgpr37
                                        ; implicit-def: $sgpr16_sgpr17
                                        ; implicit-def: $sgpr42_sgpr43
                                        ; implicit-def: $sgpr44_sgpr45
	s_branch .LBB386_1183
.LBB386_1182:                           ;   in Loop: Header=BB386_1183 Depth=1
	s_or_b64 exec, exec, s[46:47]
	s_and_b64 s[12:13], exec, s[36:37]
	s_or_b64 s[28:29], s[12:13], s[28:29]
	s_andn2_b64 s[12:13], s[44:45], exec
	s_and_b64 s[18:19], s[42:43], exec
	s_or_b64 s[44:45], s[12:13], s[18:19]
	s_andn2_b64 s[12:13], s[34:35], exec
	s_and_b64 s[18:19], s[16:17], exec
	s_or_b64 s[34:35], s[12:13], s[18:19]
	s_andn2_b64 exec, exec, s[28:29]
	s_cbranch_execz .LBB386_1185
.LBB386_1183:                           ; =>This Inner Loop Header: Depth=1
	flat_load_dword v86, v[82:83]
	flat_load_dword v87, v[80:81]
	s_andn2_b64 s[46:47], s[16:17], exec
	s_andn2_b64 s[42:43], s[42:43], exec
	s_or_b64 s[36:37], s[36:37], exec
	s_waitcnt vmcnt(0) lgkmcnt(0)
	v_cmp_le_i32_e64 s[16:17], v86, v87
	v_cmp_lt_i32_e64 s[12:13], v86, v87
	s_and_b64 s[16:17], s[16:17], s[44:45]
	s_or_b64 s[48:49], s[12:13], s[16:17]
	s_and_b64 s[12:13], s[48:49], exec
	v_cmp_eq_u32_e64 s[18:19], v86, v87
	s_or_b64 s[16:17], s[46:47], s[12:13]
	s_and_saveexec_b64 s[46:47], s[18:19]
	s_cbranch_execz .LBB386_1182
; %bb.1184:                             ;   in Loop: Header=BB386_1183 Depth=1
	v_lshl_add_u64 v[84:85], v[84:85], 0, -1
	v_cmp_eq_u64_e64 s[12:13], 0, v[84:85]
	s_andn2_b64 s[18:19], s[42:43], exec
	s_and_b64 s[42:43], s[48:49], exec
	s_or_b64 s[42:43], s[18:19], s[42:43]
	s_andn2_b64 s[18:19], s[36:37], exec
	s_and_b64 s[12:13], s[12:13], exec
	v_lshl_add_u64 v[80:81], v[80:81], 0, 4
	v_lshl_add_u64 v[82:83], v[82:83], 0, 4
	s_andn2_b64 s[16:17], s[16:17], exec
	s_or_b64 s[36:37], s[18:19], s[12:13]
                                        ; implicit-def: $sgpr44_sgpr45
	s_branch .LBB386_1182
.LBB386_1185:
	s_or_b64 exec, exec, s[28:29]
	v_cndmask_b32_e64 v15, v15, v71, s[34:35]
	v_cndmask_b32_e64 v14, v14, v70, s[34:35]
.LBB386_1186:
	s_or_b64 exec, exec, s[26:27]
	v_mov_b64_e32 v[70:71], v[14:15]
.LBB386_1187:
	s_or_b64 exec, exec, s[24:25]
	v_mov_b64_e32 v[14:15], v[70:71]
.LBB386_1188:
	s_or_b64 exec, exec, s[22:23]
.LBB386_1189:
	s_or_b64 exec, exec, s[20:21]
	v_and_b32_e32 v102, 0x3c0, v31
	v_or_b32_e32 v70, 32, v102
	v_min_u32_e32 v100, v1, v70
	v_add_u32_e32 v70, 32, v100
	v_min_u32_e32 v101, v1, v70
	v_and_b32_e32 v70, 56, v31
	v_min_u32_e32 v103, v1, v70
	v_sub_u32_e32 v70, v100, v102
	v_sub_u32_e32 v71, v101, v100
	v_sub_u32_e64 v112, v103, v71 clamp
	v_min_u32_e32 v113, v103, v70
	v_cmp_lt_u32_e64 s[12:13], v112, v113
	; wave barrier
	flat_store_dwordx4 v[68:69], v[24:27]
	flat_store_dwordx4 v[68:69], v[20:23] offset:16
	flat_store_dwordx4 v[68:69], v[16:19] offset:32
	;; [unrolled: 1-line block ×3, first 2 shown]
	; wave barrier
	s_and_saveexec_b64 s[20:21], s[12:13]
	s_cbranch_execz .LBB386_1199
; %bb.1190:
	v_lshlrev_b32_e32 v70, 3, v102
	v_mov_b32_e32 v71, 0
	v_lshl_add_u64 v[80:81], v[66:67], 0, v[70:71]
	v_lshlrev_b32_e32 v70, 3, v100
	v_lshl_add_u64 v[82:83], v[66:67], 0, v[70:71]
	s_mov_b64 s[22:23], 0
	s_branch .LBB386_1193
.LBB386_1191:                           ;   in Loop: Header=BB386_1193 Depth=1
	s_or_b64 exec, exec, s[26:27]
	s_and_b64 s[12:13], s[28:29], exec
.LBB386_1192:                           ;   in Loop: Header=BB386_1193 Depth=1
	s_or_b64 exec, exec, s[24:25]
	v_add_u32_e32 v70, 1, v84
	v_cndmask_b32_e64 v113, v113, v84, s[12:13]
	v_cndmask_b32_e64 v112, v70, v112, s[12:13]
	v_cmp_ge_u32_e64 s[12:13], v112, v113
	s_or_b64 s[22:23], s[12:13], s[22:23]
	s_andn2_b64 exec, exec, s[22:23]
	s_cbranch_execz .LBB386_1198
.LBB386_1193:                           ; =>This Loop Header: Depth=1
                                        ;     Child Loop BB386_1196 Depth 2
	v_add_u32_e32 v70, v113, v112
	v_lshrrev_b32_e32 v84, 1, v70
	s_mov_b64 s[12:13], 0
	s_and_saveexec_b64 s[24:25], s[8:9]
	s_cbranch_execz .LBB386_1192
; %bb.1194:                             ;   in Loop: Header=BB386_1193 Depth=1
	v_mov_b32_e32 v85, v71
	v_xad_u32 v70, v84, -1, v103
	v_lshl_add_u64 v[86:87], v[84:85], 3, v[80:81]
	v_lshl_add_u64 v[96:97], v[70:71], 3, v[82:83]
	flat_load_dwordx2 v[86:87], v[86:87]
	s_mov_b64 s[26:27], 0
	flat_load_dwordx2 v[96:97], v[96:97]
                                        ; implicit-def: $sgpr28_sgpr29
                                        ; implicit-def: $sgpr34_sgpr35
                                        ; implicit-def: $sgpr36_sgpr37
                                        ; implicit-def: $sgpr16_sgpr17
                                        ; implicit-def: $sgpr42_sgpr43
	s_waitcnt vmcnt(0) lgkmcnt(0)
	v_mul_lo_u32 v70, v64, v87
	v_mul_lo_u32 v85, v65, v86
	v_mad_u64_u32 v[86:87], s[12:13], v64, v86, v[8:9]
	v_mul_lo_u32 v98, v64, v97
	v_mul_lo_u32 v99, v65, v96
	v_mad_u64_u32 v[96:97], s[12:13], v64, v96, v[8:9]
	v_add3_u32 v87, v85, v87, v70
	v_add3_u32 v97, v99, v97, v98
	v_mov_b64_e32 v[98:99], v[6:7]
	s_branch .LBB386_1196
.LBB386_1195:                           ;   in Loop: Header=BB386_1196 Depth=2
	s_or_b64 exec, exec, s[44:45]
	s_and_b64 s[12:13], exec, s[34:35]
	s_or_b64 s[26:27], s[12:13], s[26:27]
	s_andn2_b64 s[12:13], s[42:43], exec
	s_and_b64 s[18:19], s[36:37], exec
	s_or_b64 s[42:43], s[12:13], s[18:19]
	s_andn2_b64 s[12:13], s[28:29], exec
	s_and_b64 s[18:19], s[16:17], exec
	s_or_b64 s[28:29], s[12:13], s[18:19]
	s_andn2_b64 exec, exec, s[26:27]
	s_cbranch_execz .LBB386_1191
.LBB386_1196:                           ;   Parent Loop BB386_1193 Depth=1
                                        ; =>  This Inner Loop Header: Depth=2
	flat_load_dword v70, v[96:97]
	flat_load_dword v85, v[86:87]
	s_andn2_b64 s[44:45], s[16:17], exec
	s_andn2_b64 s[36:37], s[36:37], exec
	s_or_b64 s[34:35], s[34:35], exec
	s_waitcnt vmcnt(0) lgkmcnt(0)
	v_cmp_le_i32_e64 s[16:17], v70, v85
	v_cmp_lt_i32_e64 s[12:13], v70, v85
	s_and_b64 s[16:17], s[16:17], s[42:43]
	s_or_b64 s[46:47], s[12:13], s[16:17]
	s_and_b64 s[12:13], s[46:47], exec
	v_cmp_eq_u32_e64 s[18:19], v70, v85
	s_or_b64 s[16:17], s[44:45], s[12:13]
	s_and_saveexec_b64 s[44:45], s[18:19]
	s_cbranch_execz .LBB386_1195
; %bb.1197:                             ;   in Loop: Header=BB386_1196 Depth=2
	v_lshl_add_u64 v[98:99], v[98:99], 0, -1
	v_cmp_eq_u64_e64 s[12:13], 0, v[98:99]
	s_andn2_b64 s[18:19], s[36:37], exec
	s_and_b64 s[36:37], s[46:47], exec
	s_or_b64 s[36:37], s[18:19], s[36:37]
	s_andn2_b64 s[18:19], s[34:35], exec
	s_and_b64 s[12:13], s[12:13], exec
	v_lshl_add_u64 v[86:87], v[86:87], 0, 4
	v_lshl_add_u64 v[96:97], v[96:97], 0, 4
	s_andn2_b64 s[16:17], s[16:17], exec
	s_or_b64 s[34:35], s[18:19], s[12:13]
                                        ; implicit-def: $sgpr42_sgpr43
	s_branch .LBB386_1195
.LBB386_1198:
	s_or_b64 exec, exec, s[22:23]
.LBB386_1199:
	s_or_b64 exec, exec, s[20:21]
	v_add_u32_e32 v71, v100, v103
	v_add_u32_e32 v70, v112, v102
	v_sub_u32_e32 v80, v71, v112
	v_cmp_le_u32_e64 s[12:13], v70, v100
	v_cmp_le_u32_e64 s[16:17], v80, v101
	s_or_b64 s[12:13], s[12:13], s[16:17]
	s_and_saveexec_b64 s[20:21], s[12:13]
	s_cbranch_execz .LBB386_1283
; %bb.1200:
	v_cmp_ge_u32_e64 s[16:17], v70, v100
	v_cmp_lt_u32_e64 s[12:13], v70, v100
                                        ; implicit-def: $vgpr12_vgpr13
	s_and_saveexec_b64 s[18:19], s[12:13]
	s_cbranch_execz .LBB386_1202
; %bb.1201:
	v_mov_b32_e32 v71, 0
	v_lshl_add_u64 v[12:13], v[70:71], 3, v[66:67]
	flat_load_dwordx2 v[12:13], v[12:13]
.LBB386_1202:
	s_or_b64 exec, exec, s[18:19]
	v_cmp_ge_u32_e64 s[22:23], v80, v101
	v_cmp_lt_u32_e64 s[12:13], v80, v101
                                        ; implicit-def: $vgpr14_vgpr15
	s_and_saveexec_b64 s[18:19], s[12:13]
	s_cbranch_execz .LBB386_1204
; %bb.1203:
	v_mov_b32_e32 v81, 0
	v_lshl_add_u64 v[14:15], v[80:81], 3, v[66:67]
	flat_load_dwordx2 v[14:15], v[14:15]
.LBB386_1204:
	s_or_b64 exec, exec, s[18:19]
	s_or_b64 s[12:13], s[16:17], s[22:23]
	s_xor_b64 s[12:13], s[12:13], -1
	s_and_saveexec_b64 s[24:25], s[12:13]
	s_cbranch_execz .LBB386_1212
; %bb.1205:
	s_mov_b64 s[12:13], 0
	s_and_saveexec_b64 s[26:27], s[8:9]
	s_cbranch_execz .LBB386_1211
; %bb.1206:
	s_waitcnt vmcnt(0) lgkmcnt(0)
	v_mul_lo_u32 v18, v13, v6
	v_mul_lo_u32 v19, v12, v7
	v_mad_u64_u32 v[16:17], s[12:13], v12, v6, 0
	v_add3_u32 v17, v17, v19, v18
	v_mul_lo_u32 v20, v15, v6
	v_mul_lo_u32 v21, v14, v7
	v_mad_u64_u32 v[18:19], s[12:13], v14, v6, 0
	v_add3_u32 v19, v19, v21, v20
	v_lshl_add_u64 v[16:17], v[16:17], 2, v[8:9]
	v_lshl_add_u64 v[18:19], v[18:19], 2, v[8:9]
	s_mov_b64 s[28:29], 0
	v_mov_b64_e32 v[20:21], v[6:7]
                                        ; implicit-def: $sgpr34_sgpr35
                                        ; implicit-def: $sgpr36_sgpr37
                                        ; implicit-def: $sgpr42_sgpr43
                                        ; implicit-def: $sgpr16_sgpr17
                                        ; implicit-def: $sgpr44_sgpr45
	s_branch .LBB386_1208
.LBB386_1207:                           ;   in Loop: Header=BB386_1208 Depth=1
	s_or_b64 exec, exec, s[46:47]
	s_and_b64 s[12:13], exec, s[36:37]
	s_or_b64 s[28:29], s[12:13], s[28:29]
	s_andn2_b64 s[12:13], s[44:45], exec
	s_and_b64 s[18:19], s[42:43], exec
	s_or_b64 s[44:45], s[12:13], s[18:19]
	s_andn2_b64 s[12:13], s[34:35], exec
	s_and_b64 s[18:19], s[16:17], exec
	s_or_b64 s[34:35], s[12:13], s[18:19]
	s_andn2_b64 exec, exec, s[28:29]
	s_cbranch_execz .LBB386_1210
.LBB386_1208:                           ; =>This Inner Loop Header: Depth=1
	flat_load_dword v22, v[18:19]
	flat_load_dword v23, v[16:17]
	s_andn2_b64 s[46:47], s[16:17], exec
	s_andn2_b64 s[42:43], s[42:43], exec
	s_or_b64 s[36:37], s[36:37], exec
	s_waitcnt vmcnt(0) lgkmcnt(0)
	v_cmp_le_i32_e64 s[16:17], v22, v23
	v_cmp_lt_i32_e64 s[12:13], v22, v23
	s_and_b64 s[16:17], s[16:17], s[44:45]
	s_or_b64 s[48:49], s[12:13], s[16:17]
	s_and_b64 s[12:13], s[48:49], exec
	v_cmp_eq_u32_e64 s[18:19], v22, v23
	s_or_b64 s[16:17], s[46:47], s[12:13]
	s_and_saveexec_b64 s[46:47], s[18:19]
	s_cbranch_execz .LBB386_1207
; %bb.1209:                             ;   in Loop: Header=BB386_1208 Depth=1
	v_lshl_add_u64 v[20:21], v[20:21], 0, -1
	v_cmp_eq_u64_e64 s[12:13], 0, v[20:21]
	s_andn2_b64 s[18:19], s[42:43], exec
	s_and_b64 s[42:43], s[48:49], exec
	s_or_b64 s[42:43], s[18:19], s[42:43]
	s_andn2_b64 s[18:19], s[36:37], exec
	s_and_b64 s[12:13], s[12:13], exec
	v_lshl_add_u64 v[16:17], v[16:17], 0, 4
	v_lshl_add_u64 v[18:19], v[18:19], 0, 4
	s_andn2_b64 s[16:17], s[16:17], exec
	s_or_b64 s[36:37], s[18:19], s[12:13]
                                        ; implicit-def: $sgpr44_sgpr45
	s_branch .LBB386_1207
.LBB386_1210:
	s_or_b64 exec, exec, s[28:29]
	s_and_b64 s[12:13], s[34:35], exec
.LBB386_1211:
	s_or_b64 exec, exec, s[26:27]
	s_xor_b64 s[12:13], s[12:13], -1
	s_andn2_b64 s[16:17], s[22:23], exec
	s_and_b64 s[12:13], s[12:13], exec
	s_or_b64 s[22:23], s[16:17], s[12:13]
.LBB386_1212:
	s_or_b64 exec, exec, s[24:25]
	v_cndmask_b32_e64 v16, v80, v70, s[22:23]
	v_cndmask_b32_e64 v17, v101, v100, s[22:23]
	v_add_u32_e32 v20, 1, v16
	v_add_u32_e32 v16, -1, v17
	v_min_u32_e32 v16, v20, v16
	v_mov_b32_e32 v17, 0
	v_lshl_add_u64 v[18:19], v[16:17], 3, v[66:67]
	flat_load_dwordx2 v[18:19], v[18:19]
	v_cndmask_b32_e64 v27, v20, v80, s[22:23]
	s_mov_b64 s[24:25], -1
	v_cndmask_b32_e64 v70, v70, v20, s[22:23]
	v_cmp_lt_u32_e64 s[12:13], v27, v101
	s_mov_b64 s[26:27], -1
	s_waitcnt vmcnt(0) lgkmcnt(0)
	v_cndmask_b32_e64 v24, v19, v15, s[22:23]
	v_cndmask_b32_e64 v25, v18, v14, s[22:23]
	;; [unrolled: 1-line block ×4, first 2 shown]
	s_and_saveexec_b64 s[28:29], s[12:13]
	s_cbranch_execz .LBB386_1222
; %bb.1213:
	v_cmp_lt_u32_e64 s[12:13], v70, v100
	s_mov_b64 s[16:17], 0
	s_and_saveexec_b64 s[26:27], s[12:13]
	s_cbranch_execz .LBB386_1221
; %bb.1214:
	s_mov_b64 s[12:13], 0
	s_and_saveexec_b64 s[34:35], s[8:9]
	s_cbranch_execz .LBB386_1220
; %bb.1215:
	v_mul_lo_u32 v16, v26, v6
	v_mul_lo_u32 v20, v80, v7
	v_mad_u64_u32 v[18:19], s[12:13], v80, v6, 0
	v_add3_u32 v19, v19, v20, v16
	v_mul_lo_u32 v16, v24, v6
	v_mul_lo_u32 v22, v25, v7
	v_mad_u64_u32 v[20:21], s[12:13], v25, v6, 0
	v_add3_u32 v21, v21, v22, v16
	v_lshl_add_u64 v[18:19], v[18:19], 2, v[8:9]
	v_lshl_add_u64 v[20:21], v[20:21], 2, v[8:9]
	s_mov_b64 s[36:37], 0
	v_mov_b64_e32 v[22:23], v[6:7]
                                        ; implicit-def: $sgpr42_sgpr43
                                        ; implicit-def: $sgpr44_sgpr45
                                        ; implicit-def: $sgpr46_sgpr47
                                        ; implicit-def: $sgpr16_sgpr17
                                        ; implicit-def: $sgpr48_sgpr49
	s_branch .LBB386_1217
.LBB386_1216:                           ;   in Loop: Header=BB386_1217 Depth=1
	s_or_b64 exec, exec, s[50:51]
	s_and_b64 s[12:13], exec, s[44:45]
	s_or_b64 s[36:37], s[12:13], s[36:37]
	s_andn2_b64 s[12:13], s[48:49], exec
	s_and_b64 s[18:19], s[46:47], exec
	s_or_b64 s[48:49], s[12:13], s[18:19]
	s_andn2_b64 s[12:13], s[42:43], exec
	s_and_b64 s[18:19], s[16:17], exec
	s_or_b64 s[42:43], s[12:13], s[18:19]
	s_andn2_b64 exec, exec, s[36:37]
	s_cbranch_execz .LBB386_1219
.LBB386_1217:                           ; =>This Inner Loop Header: Depth=1
	flat_load_dword v16, v[20:21]
	flat_load_dword v71, v[18:19]
	s_andn2_b64 s[50:51], s[16:17], exec
	s_andn2_b64 s[46:47], s[46:47], exec
	s_or_b64 s[44:45], s[44:45], exec
	s_waitcnt vmcnt(0) lgkmcnt(0)
	v_cmp_le_i32_e64 s[16:17], v16, v71
	v_cmp_lt_i32_e64 s[12:13], v16, v71
	s_and_b64 s[16:17], s[16:17], s[48:49]
	s_or_b64 s[52:53], s[12:13], s[16:17]
	s_and_b64 s[12:13], s[52:53], exec
	v_cmp_eq_u32_e64 s[18:19], v16, v71
	s_or_b64 s[16:17], s[50:51], s[12:13]
	s_and_saveexec_b64 s[50:51], s[18:19]
	s_cbranch_execz .LBB386_1216
; %bb.1218:                             ;   in Loop: Header=BB386_1217 Depth=1
	v_lshl_add_u64 v[22:23], v[22:23], 0, -1
	v_cmp_eq_u64_e64 s[12:13], 0, v[22:23]
	s_andn2_b64 s[18:19], s[46:47], exec
	s_and_b64 s[46:47], s[52:53], exec
	s_or_b64 s[46:47], s[18:19], s[46:47]
	s_andn2_b64 s[18:19], s[44:45], exec
	s_and_b64 s[12:13], s[12:13], exec
	v_lshl_add_u64 v[18:19], v[18:19], 0, 4
	v_lshl_add_u64 v[20:21], v[20:21], 0, 4
	s_andn2_b64 s[16:17], s[16:17], exec
	s_or_b64 s[44:45], s[18:19], s[12:13]
                                        ; implicit-def: $sgpr48_sgpr49
	s_branch .LBB386_1216
.LBB386_1219:
	s_or_b64 exec, exec, s[36:37]
	s_and_b64 s[12:13], s[42:43], exec
.LBB386_1220:
	s_or_b64 exec, exec, s[34:35]
	s_xor_b64 s[12:13], s[12:13], -1
	s_and_b64 s[16:17], s[12:13], exec
.LBB386_1221:
	s_or_b64 exec, exec, s[26:27]
	s_orn2_b64 s[26:27], s[16:17], exec
.LBB386_1222:
	s_or_b64 exec, exec, s[28:29]
	v_cndmask_b32_e64 v16, v27, v70, s[26:27]
	v_cndmask_b32_e64 v18, v101, v100, s[26:27]
	v_add_u32_e32 v19, 1, v16
	v_add_u32_e32 v16, -1, v18
	v_min_u32_e32 v16, v19, v16
	v_lshl_add_u64 v[16:17], v[16:17], 3, v[66:67]
	flat_load_dwordx2 v[16:17], v[16:17]
	v_cndmask_b32_e64 v22, v19, v27, s[26:27]
	v_cndmask_b32_e64 v23, v70, v19, s[26:27]
	v_cmp_lt_u32_e64 s[12:13], v22, v101
	s_waitcnt vmcnt(0) lgkmcnt(0)
	v_cndmask_b32_e64 v27, v17, v24, s[26:27]
	v_cndmask_b32_e64 v81, v16, v25, s[26:27]
	;; [unrolled: 1-line block ×4, first 2 shown]
	s_and_saveexec_b64 s[28:29], s[12:13]
	s_cbranch_execz .LBB386_1232
; %bb.1223:
	v_cmp_lt_u32_e64 s[12:13], v23, v100
	s_mov_b64 s[16:17], 0
	s_and_saveexec_b64 s[24:25], s[12:13]
	s_cbranch_execz .LBB386_1231
; %bb.1224:
	s_mov_b64 s[12:13], 0
	s_and_saveexec_b64 s[34:35], s[8:9]
	s_cbranch_execz .LBB386_1230
; %bb.1225:
	v_mul_lo_u32 v18, v82, v6
	v_mul_lo_u32 v19, v83, v7
	v_mad_u64_u32 v[16:17], s[12:13], v83, v6, 0
	v_add3_u32 v17, v17, v19, v18
	v_mul_lo_u32 v20, v27, v6
	v_mul_lo_u32 v21, v81, v7
	v_mad_u64_u32 v[18:19], s[12:13], v81, v6, 0
	v_add3_u32 v19, v19, v21, v20
	v_lshl_add_u64 v[16:17], v[16:17], 2, v[8:9]
	v_lshl_add_u64 v[18:19], v[18:19], 2, v[8:9]
	s_mov_b64 s[36:37], 0
	v_mov_b64_e32 v[20:21], v[6:7]
                                        ; implicit-def: $sgpr42_sgpr43
                                        ; implicit-def: $sgpr44_sgpr45
                                        ; implicit-def: $sgpr46_sgpr47
                                        ; implicit-def: $sgpr16_sgpr17
                                        ; implicit-def: $sgpr48_sgpr49
	s_branch .LBB386_1227
.LBB386_1226:                           ;   in Loop: Header=BB386_1227 Depth=1
	s_or_b64 exec, exec, s[50:51]
	s_and_b64 s[12:13], exec, s[44:45]
	s_or_b64 s[36:37], s[12:13], s[36:37]
	s_andn2_b64 s[12:13], s[48:49], exec
	s_and_b64 s[18:19], s[46:47], exec
	s_or_b64 s[48:49], s[12:13], s[18:19]
	s_andn2_b64 s[12:13], s[42:43], exec
	s_and_b64 s[18:19], s[16:17], exec
	s_or_b64 s[42:43], s[12:13], s[18:19]
	s_andn2_b64 exec, exec, s[36:37]
	s_cbranch_execz .LBB386_1229
.LBB386_1227:                           ; =>This Inner Loop Header: Depth=1
	flat_load_dword v70, v[18:19]
	flat_load_dword v71, v[16:17]
	s_andn2_b64 s[50:51], s[16:17], exec
	s_andn2_b64 s[46:47], s[46:47], exec
	s_or_b64 s[44:45], s[44:45], exec
	s_waitcnt vmcnt(0) lgkmcnt(0)
	v_cmp_le_i32_e64 s[16:17], v70, v71
	v_cmp_lt_i32_e64 s[12:13], v70, v71
	s_and_b64 s[16:17], s[16:17], s[48:49]
	s_or_b64 s[52:53], s[12:13], s[16:17]
	s_and_b64 s[12:13], s[52:53], exec
	v_cmp_eq_u32_e64 s[18:19], v70, v71
	s_or_b64 s[16:17], s[50:51], s[12:13]
	s_and_saveexec_b64 s[50:51], s[18:19]
	s_cbranch_execz .LBB386_1226
; %bb.1228:                             ;   in Loop: Header=BB386_1227 Depth=1
	v_lshl_add_u64 v[20:21], v[20:21], 0, -1
	v_cmp_eq_u64_e64 s[12:13], 0, v[20:21]
	s_andn2_b64 s[18:19], s[46:47], exec
	s_and_b64 s[46:47], s[52:53], exec
	s_or_b64 s[46:47], s[18:19], s[46:47]
	s_andn2_b64 s[18:19], s[44:45], exec
	s_and_b64 s[12:13], s[12:13], exec
	v_lshl_add_u64 v[16:17], v[16:17], 0, 4
	v_lshl_add_u64 v[18:19], v[18:19], 0, 4
	s_andn2_b64 s[16:17], s[16:17], exec
	s_or_b64 s[44:45], s[18:19], s[12:13]
                                        ; implicit-def: $sgpr48_sgpr49
	s_branch .LBB386_1226
.LBB386_1229:
	s_or_b64 exec, exec, s[36:37]
	s_and_b64 s[12:13], s[42:43], exec
.LBB386_1230:
	s_or_b64 exec, exec, s[34:35]
	s_xor_b64 s[12:13], s[12:13], -1
	s_and_b64 s[16:17], s[12:13], exec
.LBB386_1231:
	s_or_b64 exec, exec, s[24:25]
	s_orn2_b64 s[24:25], s[16:17], exec
.LBB386_1232:
	s_or_b64 exec, exec, s[28:29]
	v_cndmask_b32_e64 v16, v22, v23, s[24:25]
	v_cndmask_b32_e64 v17, v101, v100, s[24:25]
	v_add_u32_e32 v20, 1, v16
	v_add_u32_e32 v16, -1, v17
	v_min_u32_e32 v16, v20, v16
	v_mov_b32_e32 v17, 0
	v_lshl_add_u64 v[18:19], v[16:17], 3, v[66:67]
	flat_load_dwordx2 v[18:19], v[18:19]
	v_cndmask_b32_e64 v70, v20, v22, s[24:25]
	s_mov_b64 s[28:29], -1
	v_cndmask_b32_e64 v71, v23, v20, s[24:25]
	v_cmp_lt_u32_e64 s[12:13], v70, v101
	s_mov_b64 s[34:35], -1
	s_waitcnt vmcnt(0) lgkmcnt(0)
	v_cndmask_b32_e64 v84, v19, v27, s[24:25]
	v_cndmask_b32_e64 v85, v18, v81, s[24:25]
	;; [unrolled: 1-line block ×4, first 2 shown]
	s_and_saveexec_b64 s[36:37], s[12:13]
	s_cbranch_execz .LBB386_1242
; %bb.1233:
	v_cmp_lt_u32_e64 s[12:13], v71, v100
	s_mov_b64 s[16:17], 0
	s_and_saveexec_b64 s[34:35], s[12:13]
	s_cbranch_execz .LBB386_1241
; %bb.1234:
	s_mov_b64 s[12:13], -1
	s_and_saveexec_b64 s[42:43], s[8:9]
	s_cbranch_execz .LBB386_1240
; %bb.1235:
	v_mul_lo_u32 v16, v86, v6
	v_mul_lo_u32 v20, v87, v7
	v_mad_u64_u32 v[18:19], s[12:13], v87, v6, 0
	v_add3_u32 v19, v19, v20, v16
	v_mul_lo_u32 v16, v84, v6
	v_mul_lo_u32 v22, v85, v7
	v_mad_u64_u32 v[20:21], s[12:13], v85, v6, 0
	v_add3_u32 v21, v21, v22, v16
	v_lshl_add_u64 v[18:19], v[18:19], 2, v[8:9]
	v_lshl_add_u64 v[20:21], v[20:21], 2, v[8:9]
	s_mov_b64 s[44:45], 0
	v_mov_b64_e32 v[22:23], v[6:7]
                                        ; implicit-def: $sgpr46_sgpr47
                                        ; implicit-def: $sgpr48_sgpr49
                                        ; implicit-def: $sgpr16_sgpr17
                                        ; implicit-def: $sgpr50_sgpr51
                                        ; implicit-def: $sgpr52_sgpr53
	s_branch .LBB386_1237
.LBB386_1236:                           ;   in Loop: Header=BB386_1237 Depth=1
	s_or_b64 exec, exec, s[54:55]
	s_and_b64 s[12:13], exec, s[48:49]
	s_or_b64 s[44:45], s[12:13], s[44:45]
	s_andn2_b64 s[12:13], s[52:53], exec
	s_and_b64 s[18:19], s[50:51], exec
	s_or_b64 s[52:53], s[12:13], s[18:19]
	s_andn2_b64 s[12:13], s[46:47], exec
	s_and_b64 s[18:19], s[16:17], exec
	s_or_b64 s[46:47], s[12:13], s[18:19]
	s_andn2_b64 exec, exec, s[44:45]
	s_cbranch_execz .LBB386_1239
.LBB386_1237:                           ; =>This Inner Loop Header: Depth=1
	flat_load_dword v16, v[20:21]
	flat_load_dword v96, v[18:19]
	s_andn2_b64 s[54:55], s[16:17], exec
	s_andn2_b64 s[50:51], s[50:51], exec
	s_or_b64 s[48:49], s[48:49], exec
	s_waitcnt vmcnt(0) lgkmcnt(0)
	v_cmp_le_i32_e64 s[16:17], v16, v96
	v_cmp_lt_i32_e64 s[12:13], v16, v96
	s_and_b64 s[16:17], s[16:17], s[52:53]
	s_or_b64 s[56:57], s[12:13], s[16:17]
	s_and_b64 s[12:13], s[56:57], exec
	v_cmp_eq_u32_e64 s[18:19], v16, v96
	s_or_b64 s[16:17], s[54:55], s[12:13]
	s_and_saveexec_b64 s[54:55], s[18:19]
	s_cbranch_execz .LBB386_1236
; %bb.1238:                             ;   in Loop: Header=BB386_1237 Depth=1
	v_lshl_add_u64 v[22:23], v[22:23], 0, -1
	v_cmp_eq_u64_e64 s[12:13], 0, v[22:23]
	s_andn2_b64 s[18:19], s[50:51], exec
	s_and_b64 s[50:51], s[56:57], exec
	s_or_b64 s[50:51], s[18:19], s[50:51]
	s_andn2_b64 s[18:19], s[48:49], exec
	s_and_b64 s[12:13], s[12:13], exec
	v_lshl_add_u64 v[18:19], v[18:19], 0, 4
	v_lshl_add_u64 v[20:21], v[20:21], 0, 4
	s_andn2_b64 s[16:17], s[16:17], exec
	s_or_b64 s[48:49], s[18:19], s[12:13]
                                        ; implicit-def: $sgpr52_sgpr53
	s_branch .LBB386_1236
.LBB386_1239:
	s_or_b64 exec, exec, s[44:45]
	s_xor_b64 s[12:13], s[46:47], -1
	s_orn2_b64 s[12:13], s[12:13], exec
.LBB386_1240:
	s_or_b64 exec, exec, s[42:43]
	s_and_b64 s[16:17], s[12:13], exec
.LBB386_1241:
	s_or_b64 exec, exec, s[34:35]
	s_orn2_b64 s[34:35], s[16:17], exec
.LBB386_1242:
	s_or_b64 exec, exec, s[36:37]
	v_cndmask_b32_e64 v16, v70, v71, s[34:35]
	v_cndmask_b32_e64 v18, v101, v100, s[34:35]
	v_add_u32_e32 v19, 1, v16
	v_add_u32_e32 v16, -1, v18
	v_min_u32_e32 v16, v19, v16
	v_lshl_add_u64 v[16:17], v[16:17], 3, v[66:67]
	flat_load_dwordx2 v[16:17], v[16:17]
	v_cndmask_b32_e64 v22, v19, v70, s[34:35]
	v_cndmask_b32_e64 v23, v71, v19, s[34:35]
	v_cmp_lt_u32_e64 s[12:13], v22, v101
	s_waitcnt vmcnt(0) lgkmcnt(0)
	v_cndmask_b32_e64 v96, v17, v84, s[34:35]
	v_cndmask_b32_e64 v97, v16, v85, s[34:35]
	;; [unrolled: 1-line block ×4, first 2 shown]
	s_and_saveexec_b64 s[36:37], s[12:13]
	s_cbranch_execz .LBB386_1252
; %bb.1243:
	v_cmp_lt_u32_e64 s[12:13], v23, v100
	s_mov_b64 s[16:17], 0
	s_and_saveexec_b64 s[28:29], s[12:13]
	s_cbranch_execz .LBB386_1251
; %bb.1244:
	s_mov_b64 s[12:13], -1
	s_and_saveexec_b64 s[42:43], s[8:9]
	s_cbranch_execz .LBB386_1250
; %bb.1245:
	v_mul_lo_u32 v18, v98, v6
	v_mul_lo_u32 v19, v99, v7
	v_mad_u64_u32 v[16:17], s[12:13], v99, v6, 0
	v_add3_u32 v17, v17, v19, v18
	v_mul_lo_u32 v20, v96, v6
	v_mul_lo_u32 v21, v97, v7
	v_mad_u64_u32 v[18:19], s[12:13], v97, v6, 0
	v_add3_u32 v19, v19, v21, v20
	v_lshl_add_u64 v[16:17], v[16:17], 2, v[8:9]
	v_lshl_add_u64 v[18:19], v[18:19], 2, v[8:9]
	s_mov_b64 s[44:45], 0
	v_mov_b64_e32 v[20:21], v[6:7]
                                        ; implicit-def: $sgpr46_sgpr47
                                        ; implicit-def: $sgpr48_sgpr49
                                        ; implicit-def: $sgpr16_sgpr17
                                        ; implicit-def: $sgpr50_sgpr51
                                        ; implicit-def: $sgpr52_sgpr53
	s_branch .LBB386_1247
.LBB386_1246:                           ;   in Loop: Header=BB386_1247 Depth=1
	s_or_b64 exec, exec, s[54:55]
	s_and_b64 s[12:13], exec, s[48:49]
	s_or_b64 s[44:45], s[12:13], s[44:45]
	s_andn2_b64 s[12:13], s[52:53], exec
	s_and_b64 s[18:19], s[50:51], exec
	s_or_b64 s[52:53], s[12:13], s[18:19]
	s_andn2_b64 s[12:13], s[46:47], exec
	s_and_b64 s[18:19], s[16:17], exec
	s_or_b64 s[46:47], s[12:13], s[18:19]
	s_andn2_b64 exec, exec, s[44:45]
	s_cbranch_execz .LBB386_1249
.LBB386_1247:                           ; =>This Inner Loop Header: Depth=1
	flat_load_dword v70, v[18:19]
	flat_load_dword v71, v[16:17]
	s_andn2_b64 s[54:55], s[16:17], exec
	s_andn2_b64 s[50:51], s[50:51], exec
	s_or_b64 s[48:49], s[48:49], exec
	s_waitcnt vmcnt(0) lgkmcnt(0)
	v_cmp_le_i32_e64 s[16:17], v70, v71
	v_cmp_lt_i32_e64 s[12:13], v70, v71
	s_and_b64 s[16:17], s[16:17], s[52:53]
	s_or_b64 s[56:57], s[12:13], s[16:17]
	s_and_b64 s[12:13], s[56:57], exec
	v_cmp_eq_u32_e64 s[18:19], v70, v71
	s_or_b64 s[16:17], s[54:55], s[12:13]
	s_and_saveexec_b64 s[54:55], s[18:19]
	s_cbranch_execz .LBB386_1246
; %bb.1248:                             ;   in Loop: Header=BB386_1247 Depth=1
	v_lshl_add_u64 v[20:21], v[20:21], 0, -1
	v_cmp_eq_u64_e64 s[12:13], 0, v[20:21]
	s_andn2_b64 s[18:19], s[50:51], exec
	s_and_b64 s[50:51], s[56:57], exec
	s_or_b64 s[50:51], s[18:19], s[50:51]
	s_andn2_b64 s[18:19], s[48:49], exec
	s_and_b64 s[12:13], s[12:13], exec
	v_lshl_add_u64 v[16:17], v[16:17], 0, 4
	v_lshl_add_u64 v[18:19], v[18:19], 0, 4
	s_andn2_b64 s[16:17], s[16:17], exec
	s_or_b64 s[48:49], s[18:19], s[12:13]
                                        ; implicit-def: $sgpr52_sgpr53
	s_branch .LBB386_1246
.LBB386_1249:
	s_or_b64 exec, exec, s[44:45]
	s_xor_b64 s[12:13], s[46:47], -1
	s_orn2_b64 s[12:13], s[12:13], exec
.LBB386_1250:
	s_or_b64 exec, exec, s[42:43]
	s_and_b64 s[16:17], s[12:13], exec
.LBB386_1251:
	s_or_b64 exec, exec, s[28:29]
	s_orn2_b64 s[28:29], s[16:17], exec
.LBB386_1252:
	s_or_b64 exec, exec, s[36:37]
	v_cndmask_b32_e64 v16, v22, v23, s[28:29]
	v_cndmask_b32_e64 v17, v101, v100, s[28:29]
	v_add_u32_e32 v20, 1, v16
	v_add_u32_e32 v16, -1, v17
	v_min_u32_e32 v16, v20, v16
	v_mov_b32_e32 v17, 0
	v_lshl_add_u64 v[18:19], v[16:17], 3, v[66:67]
	flat_load_dwordx2 v[18:19], v[18:19]
	v_cndmask_b32_e64 v70, v20, v22, s[28:29]
	s_mov_b64 s[36:37], -1
	v_cndmask_b32_e64 v71, v23, v20, s[28:29]
	v_cmp_lt_u32_e64 s[12:13], v70, v101
	s_mov_b64 s[42:43], -1
	s_waitcnt vmcnt(0) lgkmcnt(0)
	v_cndmask_b32_e64 v102, v19, v96, s[28:29]
	v_cndmask_b32_e64 v103, v18, v97, s[28:29]
	;; [unrolled: 1-line block ×4, first 2 shown]
	s_and_saveexec_b64 s[44:45], s[12:13]
	s_cbranch_execz .LBB386_1262
; %bb.1253:
	v_cmp_lt_u32_e64 s[12:13], v71, v100
	s_mov_b64 s[16:17], 0
	s_and_saveexec_b64 s[42:43], s[12:13]
	s_cbranch_execz .LBB386_1261
; %bb.1254:
	s_mov_b64 s[12:13], -1
	s_and_saveexec_b64 s[46:47], s[8:9]
	s_cbranch_execz .LBB386_1260
; %bb.1255:
	v_mul_lo_u32 v16, v112, v6
	v_mul_lo_u32 v20, v113, v7
	v_mad_u64_u32 v[18:19], s[12:13], v113, v6, 0
	v_add3_u32 v19, v19, v20, v16
	v_mul_lo_u32 v16, v102, v6
	v_mul_lo_u32 v22, v103, v7
	v_mad_u64_u32 v[20:21], s[12:13], v103, v6, 0
	v_add3_u32 v21, v21, v22, v16
	v_lshl_add_u64 v[18:19], v[18:19], 2, v[8:9]
	v_lshl_add_u64 v[20:21], v[20:21], 2, v[8:9]
	s_mov_b64 s[48:49], 0
	v_mov_b64_e32 v[22:23], v[6:7]
                                        ; implicit-def: $sgpr50_sgpr51
                                        ; implicit-def: $sgpr52_sgpr53
                                        ; implicit-def: $sgpr16_sgpr17
                                        ; implicit-def: $sgpr54_sgpr55
                                        ; implicit-def: $sgpr56_sgpr57
	s_branch .LBB386_1257
.LBB386_1256:                           ;   in Loop: Header=BB386_1257 Depth=1
	s_or_b64 exec, exec, s[58:59]
	s_and_b64 s[12:13], exec, s[52:53]
	s_or_b64 s[48:49], s[12:13], s[48:49]
	s_andn2_b64 s[12:13], s[56:57], exec
	s_and_b64 s[18:19], s[54:55], exec
	s_or_b64 s[56:57], s[12:13], s[18:19]
	s_andn2_b64 s[12:13], s[50:51], exec
	s_and_b64 s[18:19], s[16:17], exec
	s_or_b64 s[50:51], s[12:13], s[18:19]
	s_andn2_b64 exec, exec, s[48:49]
	s_cbranch_execz .LBB386_1259
.LBB386_1257:                           ; =>This Inner Loop Header: Depth=1
	flat_load_dword v16, v[20:21]
	flat_load_dword v114, v[18:19]
	s_andn2_b64 s[58:59], s[16:17], exec
	s_andn2_b64 s[54:55], s[54:55], exec
	s_or_b64 s[52:53], s[52:53], exec
	s_waitcnt vmcnt(0) lgkmcnt(0)
	v_cmp_le_i32_e64 s[16:17], v16, v114
	v_cmp_lt_i32_e64 s[12:13], v16, v114
	s_and_b64 s[16:17], s[16:17], s[56:57]
	s_or_b64 s[60:61], s[12:13], s[16:17]
	s_and_b64 s[12:13], s[60:61], exec
	v_cmp_eq_u32_e64 s[18:19], v16, v114
	s_or_b64 s[16:17], s[58:59], s[12:13]
	s_and_saveexec_b64 s[58:59], s[18:19]
	s_cbranch_execz .LBB386_1256
; %bb.1258:                             ;   in Loop: Header=BB386_1257 Depth=1
	v_lshl_add_u64 v[22:23], v[22:23], 0, -1
	v_cmp_eq_u64_e64 s[12:13], 0, v[22:23]
	s_andn2_b64 s[18:19], s[54:55], exec
	s_and_b64 s[54:55], s[60:61], exec
	s_or_b64 s[54:55], s[18:19], s[54:55]
	s_andn2_b64 s[18:19], s[52:53], exec
	s_and_b64 s[12:13], s[12:13], exec
	v_lshl_add_u64 v[18:19], v[18:19], 0, 4
	v_lshl_add_u64 v[20:21], v[20:21], 0, 4
	s_andn2_b64 s[16:17], s[16:17], exec
	s_or_b64 s[52:53], s[18:19], s[12:13]
                                        ; implicit-def: $sgpr56_sgpr57
	s_branch .LBB386_1256
.LBB386_1259:
	s_or_b64 exec, exec, s[48:49]
	s_xor_b64 s[12:13], s[50:51], -1
	s_orn2_b64 s[12:13], s[12:13], exec
.LBB386_1260:
	s_or_b64 exec, exec, s[46:47]
	s_and_b64 s[16:17], s[12:13], exec
.LBB386_1261:
	s_or_b64 exec, exec, s[42:43]
	s_orn2_b64 s[42:43], s[16:17], exec
.LBB386_1262:
	s_or_b64 exec, exec, s[44:45]
	v_cndmask_b32_e64 v16, v70, v71, s[42:43]
	v_cndmask_b32_e64 v18, v101, v100, s[42:43]
	v_add_u32_e32 v19, 1, v16
	v_add_u32_e32 v16, -1, v18
	v_min_u32_e32 v16, v19, v16
	v_lshl_add_u64 v[16:17], v[16:17], 3, v[66:67]
	flat_load_dwordx2 v[16:17], v[16:17]
	v_cndmask_b32_e64 v117, v19, v70, s[42:43]
	v_cndmask_b32_e64 v114, v71, v19, s[42:43]
	v_cmp_lt_u32_e64 s[12:13], v117, v101
	s_waitcnt vmcnt(0) lgkmcnt(0)
	v_cndmask_b32_e64 v115, v17, v102, s[42:43]
	v_cndmask_b32_e64 v116, v16, v103, s[42:43]
	;; [unrolled: 1-line block ×4, first 2 shown]
	s_and_saveexec_b64 s[44:45], s[12:13]
	s_cbranch_execz .LBB386_1272
; %bb.1263:
	v_cmp_lt_u32_e64 s[12:13], v114, v100
	s_mov_b64 s[16:17], 0
	s_and_saveexec_b64 s[36:37], s[12:13]
	s_cbranch_execz .LBB386_1271
; %bb.1264:
	s_mov_b64 s[12:13], -1
	s_and_saveexec_b64 s[46:47], s[8:9]
	s_cbranch_execz .LBB386_1270
; %bb.1265:
	v_mul_lo_u32 v18, v118, v6
	v_mul_lo_u32 v19, v119, v7
	v_mad_u64_u32 v[16:17], s[12:13], v119, v6, 0
	v_add3_u32 v17, v17, v19, v18
	v_mul_lo_u32 v20, v115, v6
	v_mul_lo_u32 v21, v116, v7
	v_mad_u64_u32 v[18:19], s[12:13], v116, v6, 0
	v_add3_u32 v19, v19, v21, v20
	v_lshl_add_u64 v[16:17], v[16:17], 2, v[8:9]
	v_lshl_add_u64 v[18:19], v[18:19], 2, v[8:9]
	s_mov_b64 s[48:49], 0
	v_mov_b64_e32 v[20:21], v[6:7]
                                        ; implicit-def: $sgpr50_sgpr51
                                        ; implicit-def: $sgpr52_sgpr53
                                        ; implicit-def: $sgpr16_sgpr17
                                        ; implicit-def: $sgpr54_sgpr55
                                        ; implicit-def: $sgpr56_sgpr57
	s_branch .LBB386_1267
.LBB386_1266:                           ;   in Loop: Header=BB386_1267 Depth=1
	s_or_b64 exec, exec, s[58:59]
	s_and_b64 s[12:13], exec, s[52:53]
	s_or_b64 s[48:49], s[12:13], s[48:49]
	s_andn2_b64 s[12:13], s[56:57], exec
	s_and_b64 s[18:19], s[54:55], exec
	s_or_b64 s[56:57], s[12:13], s[18:19]
	s_andn2_b64 s[12:13], s[50:51], exec
	s_and_b64 s[18:19], s[16:17], exec
	s_or_b64 s[50:51], s[12:13], s[18:19]
	s_andn2_b64 exec, exec, s[48:49]
	s_cbranch_execz .LBB386_1269
.LBB386_1267:                           ; =>This Inner Loop Header: Depth=1
	flat_load_dword v22, v[18:19]
	flat_load_dword v23, v[16:17]
	s_andn2_b64 s[58:59], s[16:17], exec
	s_andn2_b64 s[54:55], s[54:55], exec
	s_or_b64 s[52:53], s[52:53], exec
	s_waitcnt vmcnt(0) lgkmcnt(0)
	v_cmp_le_i32_e64 s[16:17], v22, v23
	v_cmp_lt_i32_e64 s[12:13], v22, v23
	s_and_b64 s[16:17], s[16:17], s[56:57]
	s_or_b64 s[60:61], s[12:13], s[16:17]
	s_and_b64 s[12:13], s[60:61], exec
	v_cmp_eq_u32_e64 s[18:19], v22, v23
	s_or_b64 s[16:17], s[58:59], s[12:13]
	s_and_saveexec_b64 s[58:59], s[18:19]
	s_cbranch_execz .LBB386_1266
; %bb.1268:                             ;   in Loop: Header=BB386_1267 Depth=1
	v_lshl_add_u64 v[20:21], v[20:21], 0, -1
	v_cmp_eq_u64_e64 s[12:13], 0, v[20:21]
	s_andn2_b64 s[18:19], s[54:55], exec
	s_and_b64 s[54:55], s[60:61], exec
	s_or_b64 s[54:55], s[18:19], s[54:55]
	s_andn2_b64 s[18:19], s[52:53], exec
	s_and_b64 s[12:13], s[12:13], exec
	v_lshl_add_u64 v[16:17], v[16:17], 0, 4
	v_lshl_add_u64 v[18:19], v[18:19], 0, 4
	s_andn2_b64 s[16:17], s[16:17], exec
	s_or_b64 s[52:53], s[18:19], s[12:13]
                                        ; implicit-def: $sgpr56_sgpr57
	s_branch .LBB386_1266
.LBB386_1269:
	s_or_b64 exec, exec, s[48:49]
	s_xor_b64 s[12:13], s[50:51], -1
	s_orn2_b64 s[12:13], s[12:13], exec
.LBB386_1270:
	s_or_b64 exec, exec, s[46:47]
	s_and_b64 s[16:17], s[12:13], exec
.LBB386_1271:
	s_or_b64 exec, exec, s[36:37]
	s_orn2_b64 s[36:37], s[16:17], exec
.LBB386_1272:
	s_or_b64 exec, exec, s[44:45]
	v_cndmask_b32_e64 v16, v117, v114, s[36:37]
	v_cndmask_b32_e64 v17, v101, v100, s[36:37]
	v_add_u32_e32 v128, 1, v16
	v_add_u32_e32 v16, -1, v17
	v_min_u32_e32 v16, v128, v16
	v_mov_b32_e32 v17, 0
	v_lshl_add_u64 v[16:17], v[16:17], 3, v[66:67]
	flat_load_dwordx2 v[70:71], v[16:17]
	v_cndmask_b32_e64 v21, v27, v82, s[24:25]
	v_cndmask_b32_e64 v27, v24, v26, s[26:27]
	;; [unrolled: 1-line block ×15, first 2 shown]
	v_cmp_lt_u32_e64 s[12:13], v80, v101
	s_waitcnt vmcnt(0) lgkmcnt(0)
	v_cndmask_b32_e64 v15, v118, v71, s[36:37]
	v_cndmask_b32_e64 v14, v119, v70, s[36:37]
	s_and_saveexec_b64 s[22:23], s[12:13]
	s_cbranch_execz .LBB386_1282
; %bb.1273:
	v_cndmask_b32_e64 v80, v114, v128, s[36:37]
	v_cndmask_b32_e64 v71, v71, v115, s[36:37]
	;; [unrolled: 1-line block ×3, first 2 shown]
	v_cmp_lt_u32_e64 s[12:13], v80, v100
	s_and_saveexec_b64 s[24:25], s[12:13]
	s_cbranch_execz .LBB386_1281
; %bb.1274:
	s_and_saveexec_b64 s[26:27], s[8:9]
	s_cbranch_execz .LBB386_1280
; %bb.1275:
	v_mul_lo_u32 v82, v15, v6
	v_mul_lo_u32 v83, v14, v7
	v_mad_u64_u32 v[80:81], s[12:13], v14, v6, 0
	v_add3_u32 v81, v81, v83, v82
	v_mul_lo_u32 v84, v71, v6
	v_mul_lo_u32 v85, v70, v7
	v_mad_u64_u32 v[82:83], s[12:13], v70, v6, 0
	v_add3_u32 v83, v83, v85, v84
	v_lshl_add_u64 v[80:81], v[80:81], 2, v[8:9]
	v_lshl_add_u64 v[82:83], v[82:83], 2, v[8:9]
	s_mov_b64 s[28:29], 0
	v_mov_b64_e32 v[84:85], v[6:7]
                                        ; implicit-def: $sgpr34_sgpr35
                                        ; implicit-def: $sgpr36_sgpr37
                                        ; implicit-def: $sgpr16_sgpr17
                                        ; implicit-def: $sgpr42_sgpr43
                                        ; implicit-def: $sgpr44_sgpr45
	s_branch .LBB386_1277
.LBB386_1276:                           ;   in Loop: Header=BB386_1277 Depth=1
	s_or_b64 exec, exec, s[46:47]
	s_and_b64 s[12:13], exec, s[36:37]
	s_or_b64 s[28:29], s[12:13], s[28:29]
	s_andn2_b64 s[12:13], s[44:45], exec
	s_and_b64 s[18:19], s[42:43], exec
	s_or_b64 s[44:45], s[12:13], s[18:19]
	s_andn2_b64 s[12:13], s[34:35], exec
	s_and_b64 s[18:19], s[16:17], exec
	s_or_b64 s[34:35], s[12:13], s[18:19]
	s_andn2_b64 exec, exec, s[28:29]
	s_cbranch_execz .LBB386_1279
.LBB386_1277:                           ; =>This Inner Loop Header: Depth=1
	flat_load_dword v86, v[82:83]
	flat_load_dword v87, v[80:81]
	s_andn2_b64 s[46:47], s[16:17], exec
	s_andn2_b64 s[42:43], s[42:43], exec
	s_or_b64 s[36:37], s[36:37], exec
	s_waitcnt vmcnt(0) lgkmcnt(0)
	v_cmp_le_i32_e64 s[16:17], v86, v87
	v_cmp_lt_i32_e64 s[12:13], v86, v87
	s_and_b64 s[16:17], s[16:17], s[44:45]
	s_or_b64 s[48:49], s[12:13], s[16:17]
	s_and_b64 s[12:13], s[48:49], exec
	v_cmp_eq_u32_e64 s[18:19], v86, v87
	s_or_b64 s[16:17], s[46:47], s[12:13]
	s_and_saveexec_b64 s[46:47], s[18:19]
	s_cbranch_execz .LBB386_1276
; %bb.1278:                             ;   in Loop: Header=BB386_1277 Depth=1
	v_lshl_add_u64 v[84:85], v[84:85], 0, -1
	v_cmp_eq_u64_e64 s[12:13], 0, v[84:85]
	s_andn2_b64 s[18:19], s[42:43], exec
	s_and_b64 s[42:43], s[48:49], exec
	s_or_b64 s[42:43], s[18:19], s[42:43]
	s_andn2_b64 s[18:19], s[36:37], exec
	s_and_b64 s[12:13], s[12:13], exec
	v_lshl_add_u64 v[80:81], v[80:81], 0, 4
	v_lshl_add_u64 v[82:83], v[82:83], 0, 4
	s_andn2_b64 s[16:17], s[16:17], exec
	s_or_b64 s[36:37], s[18:19], s[12:13]
                                        ; implicit-def: $sgpr44_sgpr45
	s_branch .LBB386_1276
.LBB386_1279:
	s_or_b64 exec, exec, s[28:29]
	v_cndmask_b32_e64 v15, v15, v71, s[34:35]
	v_cndmask_b32_e64 v14, v14, v70, s[34:35]
.LBB386_1280:
	s_or_b64 exec, exec, s[26:27]
	v_mov_b64_e32 v[70:71], v[14:15]
.LBB386_1281:
	s_or_b64 exec, exec, s[24:25]
	v_mov_b64_e32 v[14:15], v[70:71]
.LBB386_1282:
	s_or_b64 exec, exec, s[22:23]
.LBB386_1283:
	s_or_b64 exec, exec, s[20:21]
	v_and_b32_e32 v100, 0x380, v31
	; wave barrier
	flat_store_dwordx4 v[68:69], v[24:27]
	flat_store_dwordx4 v[68:69], v[20:23] offset:16
	flat_store_dwordx4 v[68:69], v[16:19] offset:32
	;; [unrolled: 1-line block ×3, first 2 shown]
	v_or_b32_e32 v68, 64, v100
	v_min_u32_e32 v98, v1, v68
	v_add_u32_e32 v68, 64, v98
	v_min_u32_e32 v99, v1, v68
	v_and_b32_e32 v31, 0x78, v31
	v_min_u32_e32 v1, v1, v31
	v_sub_u32_e32 v68, v98, v100
	v_sub_u32_e32 v31, v99, v98
	v_sub_u32_e64 v31, v1, v31 clamp
	v_min_u32_e32 v101, v1, v68
	v_cmp_lt_u32_e64 s[12:13], v31, v101
	; wave barrier
	s_and_saveexec_b64 s[20:21], s[12:13]
	s_cbranch_execz .LBB386_1293
; %bb.1284:
	v_lshlrev_b32_e32 v68, 3, v100
	v_mov_b32_e32 v69, 0
	v_lshl_add_u64 v[70:71], v[66:67], 0, v[68:69]
	v_lshlrev_b32_e32 v68, 3, v98
	v_lshl_add_u64 v[80:81], v[66:67], 0, v[68:69]
	s_mov_b64 s[22:23], 0
	s_branch .LBB386_1287
.LBB386_1285:                           ;   in Loop: Header=BB386_1287 Depth=1
	s_or_b64 exec, exec, s[26:27]
	s_and_b64 s[12:13], s[28:29], exec
.LBB386_1286:                           ;   in Loop: Header=BB386_1287 Depth=1
	s_or_b64 exec, exec, s[24:25]
	v_add_u32_e32 v68, 1, v82
	v_cndmask_b32_e64 v101, v101, v82, s[12:13]
	v_cndmask_b32_e64 v31, v68, v31, s[12:13]
	v_cmp_ge_u32_e64 s[12:13], v31, v101
	s_or_b64 s[22:23], s[12:13], s[22:23]
	s_andn2_b64 exec, exec, s[22:23]
	s_cbranch_execz .LBB386_1292
.LBB386_1287:                           ; =>This Loop Header: Depth=1
                                        ;     Child Loop BB386_1290 Depth 2
	v_add_u32_e32 v68, v101, v31
	v_lshrrev_b32_e32 v82, 1, v68
	s_mov_b64 s[12:13], 0
	s_and_saveexec_b64 s[24:25], s[8:9]
	s_cbranch_execz .LBB386_1286
; %bb.1288:                             ;   in Loop: Header=BB386_1287 Depth=1
	v_mov_b32_e32 v83, v69
	v_xad_u32 v68, v82, -1, v1
	v_lshl_add_u64 v[84:85], v[82:83], 3, v[70:71]
	v_lshl_add_u64 v[86:87], v[68:69], 3, v[80:81]
	flat_load_dwordx2 v[84:85], v[84:85]
	s_mov_b64 s[26:27], 0
	flat_load_dwordx2 v[86:87], v[86:87]
                                        ; implicit-def: $sgpr28_sgpr29
                                        ; implicit-def: $sgpr34_sgpr35
                                        ; implicit-def: $sgpr36_sgpr37
                                        ; implicit-def: $sgpr16_sgpr17
                                        ; implicit-def: $sgpr42_sgpr43
	s_waitcnt vmcnt(0) lgkmcnt(0)
	v_mul_lo_u32 v68, v64, v85
	v_mul_lo_u32 v83, v65, v84
	v_mad_u64_u32 v[84:85], s[12:13], v64, v84, v[8:9]
	v_mul_lo_u32 v96, v64, v87
	v_mul_lo_u32 v97, v65, v86
	v_mad_u64_u32 v[86:87], s[12:13], v64, v86, v[8:9]
	v_add3_u32 v85, v83, v85, v68
	v_add3_u32 v87, v97, v87, v96
	v_mov_b64_e32 v[96:97], v[6:7]
	s_branch .LBB386_1290
.LBB386_1289:                           ;   in Loop: Header=BB386_1290 Depth=2
	s_or_b64 exec, exec, s[44:45]
	s_and_b64 s[12:13], exec, s[34:35]
	s_or_b64 s[26:27], s[12:13], s[26:27]
	s_andn2_b64 s[12:13], s[42:43], exec
	s_and_b64 s[18:19], s[36:37], exec
	s_or_b64 s[42:43], s[12:13], s[18:19]
	s_andn2_b64 s[12:13], s[28:29], exec
	s_and_b64 s[18:19], s[16:17], exec
	s_or_b64 s[28:29], s[12:13], s[18:19]
	s_andn2_b64 exec, exec, s[26:27]
	s_cbranch_execz .LBB386_1285
.LBB386_1290:                           ;   Parent Loop BB386_1287 Depth=1
                                        ; =>  This Inner Loop Header: Depth=2
	flat_load_dword v68, v[86:87]
	flat_load_dword v83, v[84:85]
	s_andn2_b64 s[44:45], s[16:17], exec
	s_andn2_b64 s[36:37], s[36:37], exec
	s_or_b64 s[34:35], s[34:35], exec
	s_waitcnt vmcnt(0) lgkmcnt(0)
	v_cmp_le_i32_e64 s[16:17], v68, v83
	v_cmp_lt_i32_e64 s[12:13], v68, v83
	s_and_b64 s[16:17], s[16:17], s[42:43]
	s_or_b64 s[46:47], s[12:13], s[16:17]
	s_and_b64 s[12:13], s[46:47], exec
	v_cmp_eq_u32_e64 s[18:19], v68, v83
	s_or_b64 s[16:17], s[44:45], s[12:13]
	s_and_saveexec_b64 s[44:45], s[18:19]
	s_cbranch_execz .LBB386_1289
; %bb.1291:                             ;   in Loop: Header=BB386_1290 Depth=2
	v_lshl_add_u64 v[96:97], v[96:97], 0, -1
	v_cmp_eq_u64_e64 s[12:13], 0, v[96:97]
	s_andn2_b64 s[18:19], s[36:37], exec
	s_and_b64 s[36:37], s[46:47], exec
	s_or_b64 s[36:37], s[18:19], s[36:37]
	s_andn2_b64 s[18:19], s[34:35], exec
	s_and_b64 s[12:13], s[12:13], exec
	v_lshl_add_u64 v[84:85], v[84:85], 0, 4
	v_lshl_add_u64 v[86:87], v[86:87], 0, 4
	s_andn2_b64 s[16:17], s[16:17], exec
	s_or_b64 s[34:35], s[18:19], s[12:13]
                                        ; implicit-def: $sgpr42_sgpr43
	s_branch .LBB386_1289
.LBB386_1292:
	s_or_b64 exec, exec, s[22:23]
.LBB386_1293:
	s_or_b64 exec, exec, s[20:21]
	v_add_u32_e32 v1, v98, v1
	v_add_u32_e32 v68, v31, v100
	v_sub_u32_e32 v70, v1, v31
	v_cmp_le_u32_e64 s[12:13], v68, v98
	v_cmp_le_u32_e64 s[16:17], v70, v99
	s_or_b64 s[12:13], s[12:13], s[16:17]
	s_and_saveexec_b64 s[20:21], s[12:13]
	s_cbranch_execz .LBB386_1377
; %bb.1294:
	v_cmp_ge_u32_e64 s[16:17], v68, v98
	v_cmp_lt_u32_e64 s[12:13], v68, v98
                                        ; implicit-def: $vgpr12_vgpr13
	s_and_saveexec_b64 s[18:19], s[12:13]
	s_cbranch_execz .LBB386_1296
; %bb.1295:
	v_mov_b32_e32 v69, 0
	v_lshl_add_u64 v[12:13], v[68:69], 3, v[66:67]
	flat_load_dwordx2 v[12:13], v[12:13]
.LBB386_1296:
	s_or_b64 exec, exec, s[18:19]
	v_cmp_ge_u32_e64 s[22:23], v70, v99
	v_cmp_lt_u32_e64 s[12:13], v70, v99
                                        ; implicit-def: $vgpr14_vgpr15
	s_and_saveexec_b64 s[18:19], s[12:13]
	s_cbranch_execz .LBB386_1298
; %bb.1297:
	v_mov_b32_e32 v71, 0
	v_lshl_add_u64 v[14:15], v[70:71], 3, v[66:67]
	flat_load_dwordx2 v[14:15], v[14:15]
.LBB386_1298:
	s_or_b64 exec, exec, s[18:19]
	s_or_b64 s[12:13], s[16:17], s[22:23]
	s_xor_b64 s[12:13], s[12:13], -1
	s_and_saveexec_b64 s[24:25], s[12:13]
	s_cbranch_execz .LBB386_1306
; %bb.1299:
	s_mov_b64 s[12:13], 0
	s_and_saveexec_b64 s[26:27], s[8:9]
	s_cbranch_execz .LBB386_1305
; %bb.1300:
	s_waitcnt vmcnt(0) lgkmcnt(0)
	v_mul_lo_u32 v1, v13, v6
	v_mul_lo_u32 v18, v12, v7
	v_mad_u64_u32 v[16:17], s[12:13], v12, v6, 0
	v_add3_u32 v17, v17, v18, v1
	v_mul_lo_u32 v1, v15, v6
	v_mul_lo_u32 v20, v14, v7
	v_mad_u64_u32 v[18:19], s[12:13], v14, v6, 0
	v_add3_u32 v19, v19, v20, v1
	v_lshl_add_u64 v[16:17], v[16:17], 2, v[8:9]
	v_lshl_add_u64 v[18:19], v[18:19], 2, v[8:9]
	s_mov_b64 s[28:29], 0
	v_mov_b64_e32 v[20:21], v[6:7]
                                        ; implicit-def: $sgpr34_sgpr35
                                        ; implicit-def: $sgpr36_sgpr37
                                        ; implicit-def: $sgpr42_sgpr43
                                        ; implicit-def: $sgpr16_sgpr17
                                        ; implicit-def: $sgpr44_sgpr45
	s_branch .LBB386_1302
.LBB386_1301:                           ;   in Loop: Header=BB386_1302 Depth=1
	s_or_b64 exec, exec, s[46:47]
	s_and_b64 s[12:13], exec, s[36:37]
	s_or_b64 s[28:29], s[12:13], s[28:29]
	s_andn2_b64 s[12:13], s[44:45], exec
	s_and_b64 s[18:19], s[42:43], exec
	s_or_b64 s[44:45], s[12:13], s[18:19]
	s_andn2_b64 s[12:13], s[34:35], exec
	s_and_b64 s[18:19], s[16:17], exec
	s_or_b64 s[34:35], s[12:13], s[18:19]
	s_andn2_b64 exec, exec, s[28:29]
	s_cbranch_execz .LBB386_1304
.LBB386_1302:                           ; =>This Inner Loop Header: Depth=1
	flat_load_dword v1, v[18:19]
	flat_load_dword v22, v[16:17]
	s_andn2_b64 s[46:47], s[16:17], exec
	s_andn2_b64 s[42:43], s[42:43], exec
	s_or_b64 s[36:37], s[36:37], exec
	s_waitcnt vmcnt(0) lgkmcnt(0)
	v_cmp_le_i32_e64 s[16:17], v1, v22
	v_cmp_lt_i32_e64 s[12:13], v1, v22
	s_and_b64 s[16:17], s[16:17], s[44:45]
	s_or_b64 s[48:49], s[12:13], s[16:17]
	s_and_b64 s[12:13], s[48:49], exec
	v_cmp_eq_u32_e64 s[18:19], v1, v22
	s_or_b64 s[16:17], s[46:47], s[12:13]
	s_and_saveexec_b64 s[46:47], s[18:19]
	s_cbranch_execz .LBB386_1301
; %bb.1303:                             ;   in Loop: Header=BB386_1302 Depth=1
	v_lshl_add_u64 v[20:21], v[20:21], 0, -1
	v_cmp_eq_u64_e64 s[12:13], 0, v[20:21]
	s_andn2_b64 s[18:19], s[42:43], exec
	s_and_b64 s[42:43], s[48:49], exec
	s_or_b64 s[42:43], s[18:19], s[42:43]
	s_andn2_b64 s[18:19], s[36:37], exec
	s_and_b64 s[12:13], s[12:13], exec
	v_lshl_add_u64 v[16:17], v[16:17], 0, 4
	v_lshl_add_u64 v[18:19], v[18:19], 0, 4
	s_andn2_b64 s[16:17], s[16:17], exec
	s_or_b64 s[36:37], s[18:19], s[12:13]
                                        ; implicit-def: $sgpr44_sgpr45
	s_branch .LBB386_1301
.LBB386_1304:
	s_or_b64 exec, exec, s[28:29]
	s_and_b64 s[12:13], s[34:35], exec
.LBB386_1305:
	s_or_b64 exec, exec, s[26:27]
	s_xor_b64 s[12:13], s[12:13], -1
	s_andn2_b64 s[16:17], s[22:23], exec
	s_and_b64 s[12:13], s[12:13], exec
	s_or_b64 s[22:23], s[16:17], s[12:13]
.LBB386_1306:
	s_or_b64 exec, exec, s[24:25]
	v_cndmask_b32_e64 v1, v70, v68, s[22:23]
	v_cndmask_b32_e64 v16, v99, v98, s[22:23]
	v_add_u32_e32 v1, 1, v1
	v_add_u32_e32 v16, -1, v16
	v_min_u32_e32 v16, v1, v16
	v_mov_b32_e32 v17, 0
	v_lshl_add_u64 v[18:19], v[16:17], 3, v[66:67]
	flat_load_dwordx2 v[18:19], v[18:19]
	v_cndmask_b32_e64 v27, v1, v70, s[22:23]
	s_mov_b64 s[24:25], -1
	v_cndmask_b32_e64 v31, v68, v1, s[22:23]
	v_cmp_lt_u32_e64 s[12:13], v27, v99
	s_mov_b64 s[26:27], -1
	s_waitcnt vmcnt(0) lgkmcnt(0)
	v_cndmask_b32_e64 v1, v19, v15, s[22:23]
	v_cndmask_b32_e64 v24, v18, v14, s[22:23]
	;; [unrolled: 1-line block ×4, first 2 shown]
	s_and_saveexec_b64 s[28:29], s[12:13]
	s_cbranch_execz .LBB386_1316
; %bb.1307:
	v_cmp_lt_u32_e64 s[12:13], v31, v98
	s_mov_b64 s[16:17], 0
	s_and_saveexec_b64 s[26:27], s[12:13]
	s_cbranch_execz .LBB386_1315
; %bb.1308:
	s_mov_b64 s[12:13], 0
	s_and_saveexec_b64 s[34:35], s[8:9]
	s_cbranch_execz .LBB386_1314
; %bb.1309:
	v_mul_lo_u32 v16, v25, v6
	v_mul_lo_u32 v20, v26, v7
	v_mad_u64_u32 v[18:19], s[12:13], v26, v6, 0
	v_add3_u32 v19, v19, v20, v16
	v_mul_lo_u32 v16, v1, v6
	v_mul_lo_u32 v22, v24, v7
	v_mad_u64_u32 v[20:21], s[12:13], v24, v6, 0
	v_add3_u32 v21, v21, v22, v16
	v_lshl_add_u64 v[18:19], v[18:19], 2, v[8:9]
	v_lshl_add_u64 v[20:21], v[20:21], 2, v[8:9]
	s_mov_b64 s[36:37], 0
	v_mov_b64_e32 v[22:23], v[6:7]
                                        ; implicit-def: $sgpr42_sgpr43
                                        ; implicit-def: $sgpr44_sgpr45
                                        ; implicit-def: $sgpr46_sgpr47
                                        ; implicit-def: $sgpr16_sgpr17
                                        ; implicit-def: $sgpr48_sgpr49
	s_branch .LBB386_1311
.LBB386_1310:                           ;   in Loop: Header=BB386_1311 Depth=1
	s_or_b64 exec, exec, s[50:51]
	s_and_b64 s[12:13], exec, s[44:45]
	s_or_b64 s[36:37], s[12:13], s[36:37]
	s_andn2_b64 s[12:13], s[48:49], exec
	s_and_b64 s[18:19], s[46:47], exec
	s_or_b64 s[48:49], s[12:13], s[18:19]
	s_andn2_b64 s[12:13], s[42:43], exec
	s_and_b64 s[18:19], s[16:17], exec
	s_or_b64 s[42:43], s[12:13], s[18:19]
	s_andn2_b64 exec, exec, s[36:37]
	s_cbranch_execz .LBB386_1313
.LBB386_1311:                           ; =>This Inner Loop Header: Depth=1
	flat_load_dword v16, v[20:21]
	flat_load_dword v68, v[18:19]
	s_andn2_b64 s[50:51], s[16:17], exec
	s_andn2_b64 s[46:47], s[46:47], exec
	s_or_b64 s[44:45], s[44:45], exec
	s_waitcnt vmcnt(0) lgkmcnt(0)
	v_cmp_le_i32_e64 s[16:17], v16, v68
	v_cmp_lt_i32_e64 s[12:13], v16, v68
	s_and_b64 s[16:17], s[16:17], s[48:49]
	s_or_b64 s[52:53], s[12:13], s[16:17]
	s_and_b64 s[12:13], s[52:53], exec
	v_cmp_eq_u32_e64 s[18:19], v16, v68
	s_or_b64 s[16:17], s[50:51], s[12:13]
	s_and_saveexec_b64 s[50:51], s[18:19]
	s_cbranch_execz .LBB386_1310
; %bb.1312:                             ;   in Loop: Header=BB386_1311 Depth=1
	v_lshl_add_u64 v[22:23], v[22:23], 0, -1
	v_cmp_eq_u64_e64 s[12:13], 0, v[22:23]
	s_andn2_b64 s[18:19], s[46:47], exec
	s_and_b64 s[46:47], s[52:53], exec
	s_or_b64 s[46:47], s[18:19], s[46:47]
	s_andn2_b64 s[18:19], s[44:45], exec
	s_and_b64 s[12:13], s[12:13], exec
	v_lshl_add_u64 v[18:19], v[18:19], 0, 4
	v_lshl_add_u64 v[20:21], v[20:21], 0, 4
	s_andn2_b64 s[16:17], s[16:17], exec
	s_or_b64 s[44:45], s[18:19], s[12:13]
                                        ; implicit-def: $sgpr48_sgpr49
	s_branch .LBB386_1310
.LBB386_1313:
	s_or_b64 exec, exec, s[36:37]
	s_and_b64 s[12:13], s[42:43], exec
.LBB386_1314:
	s_or_b64 exec, exec, s[34:35]
	s_xor_b64 s[12:13], s[12:13], -1
	s_and_b64 s[16:17], s[12:13], exec
.LBB386_1315:
	s_or_b64 exec, exec, s[26:27]
	s_orn2_b64 s[26:27], s[16:17], exec
.LBB386_1316:
	s_or_b64 exec, exec, s[28:29]
	v_cndmask_b32_e64 v16, v27, v31, s[26:27]
	v_cndmask_b32_e64 v18, v99, v98, s[26:27]
	v_add_u32_e32 v19, 1, v16
	v_add_u32_e32 v16, -1, v18
	v_min_u32_e32 v16, v19, v16
	v_lshl_add_u64 v[16:17], v[16:17], 3, v[66:67]
	flat_load_dwordx2 v[16:17], v[16:17]
	v_cndmask_b32_e64 v22, v19, v27, s[26:27]
	v_cndmask_b32_e64 v23, v31, v19, s[26:27]
	v_cmp_lt_u32_e64 s[12:13], v22, v99
	s_waitcnt vmcnt(0) lgkmcnt(0)
	v_cndmask_b32_e64 v27, v17, v1, s[26:27]
	v_cndmask_b32_e64 v31, v16, v24, s[26:27]
	;; [unrolled: 1-line block ×4, first 2 shown]
	s_and_saveexec_b64 s[28:29], s[12:13]
	s_cbranch_execz .LBB386_1326
; %bb.1317:
	v_cmp_lt_u32_e64 s[12:13], v23, v98
	s_mov_b64 s[16:17], 0
	s_and_saveexec_b64 s[24:25], s[12:13]
	s_cbranch_execz .LBB386_1325
; %bb.1318:
	s_mov_b64 s[12:13], 0
	s_and_saveexec_b64 s[34:35], s[8:9]
	s_cbranch_execz .LBB386_1324
; %bb.1319:
	v_mul_lo_u32 v18, v68, v6
	v_mul_lo_u32 v19, v69, v7
	v_mad_u64_u32 v[16:17], s[12:13], v69, v6, 0
	v_add3_u32 v17, v17, v19, v18
	v_mul_lo_u32 v20, v27, v6
	v_mul_lo_u32 v21, v31, v7
	v_mad_u64_u32 v[18:19], s[12:13], v31, v6, 0
	v_add3_u32 v19, v19, v21, v20
	v_lshl_add_u64 v[16:17], v[16:17], 2, v[8:9]
	v_lshl_add_u64 v[18:19], v[18:19], 2, v[8:9]
	s_mov_b64 s[36:37], 0
	v_mov_b64_e32 v[20:21], v[6:7]
                                        ; implicit-def: $sgpr42_sgpr43
                                        ; implicit-def: $sgpr44_sgpr45
                                        ; implicit-def: $sgpr46_sgpr47
                                        ; implicit-def: $sgpr16_sgpr17
                                        ; implicit-def: $sgpr48_sgpr49
	s_branch .LBB386_1321
.LBB386_1320:                           ;   in Loop: Header=BB386_1321 Depth=1
	s_or_b64 exec, exec, s[50:51]
	s_and_b64 s[12:13], exec, s[44:45]
	s_or_b64 s[36:37], s[12:13], s[36:37]
	s_andn2_b64 s[12:13], s[48:49], exec
	s_and_b64 s[18:19], s[46:47], exec
	s_or_b64 s[48:49], s[12:13], s[18:19]
	s_andn2_b64 s[12:13], s[42:43], exec
	s_and_b64 s[18:19], s[16:17], exec
	s_or_b64 s[42:43], s[12:13], s[18:19]
	s_andn2_b64 exec, exec, s[36:37]
	s_cbranch_execz .LBB386_1323
.LBB386_1321:                           ; =>This Inner Loop Header: Depth=1
	flat_load_dword v70, v[18:19]
	flat_load_dword v71, v[16:17]
	s_andn2_b64 s[50:51], s[16:17], exec
	s_andn2_b64 s[46:47], s[46:47], exec
	s_or_b64 s[44:45], s[44:45], exec
	s_waitcnt vmcnt(0) lgkmcnt(0)
	v_cmp_le_i32_e64 s[16:17], v70, v71
	v_cmp_lt_i32_e64 s[12:13], v70, v71
	s_and_b64 s[16:17], s[16:17], s[48:49]
	s_or_b64 s[52:53], s[12:13], s[16:17]
	s_and_b64 s[12:13], s[52:53], exec
	v_cmp_eq_u32_e64 s[18:19], v70, v71
	s_or_b64 s[16:17], s[50:51], s[12:13]
	s_and_saveexec_b64 s[50:51], s[18:19]
	s_cbranch_execz .LBB386_1320
; %bb.1322:                             ;   in Loop: Header=BB386_1321 Depth=1
	v_lshl_add_u64 v[20:21], v[20:21], 0, -1
	v_cmp_eq_u64_e64 s[12:13], 0, v[20:21]
	s_andn2_b64 s[18:19], s[46:47], exec
	s_and_b64 s[46:47], s[52:53], exec
	s_or_b64 s[46:47], s[18:19], s[46:47]
	s_andn2_b64 s[18:19], s[44:45], exec
	s_and_b64 s[12:13], s[12:13], exec
	v_lshl_add_u64 v[16:17], v[16:17], 0, 4
	v_lshl_add_u64 v[18:19], v[18:19], 0, 4
	s_andn2_b64 s[16:17], s[16:17], exec
	s_or_b64 s[44:45], s[18:19], s[12:13]
                                        ; implicit-def: $sgpr48_sgpr49
	s_branch .LBB386_1320
.LBB386_1323:
	s_or_b64 exec, exec, s[36:37]
	s_and_b64 s[12:13], s[42:43], exec
.LBB386_1324:
	s_or_b64 exec, exec, s[34:35]
	s_xor_b64 s[12:13], s[12:13], -1
	s_and_b64 s[16:17], s[12:13], exec
.LBB386_1325:
	s_or_b64 exec, exec, s[24:25]
	s_orn2_b64 s[24:25], s[16:17], exec
.LBB386_1326:
	s_or_b64 exec, exec, s[28:29]
	v_cndmask_b32_e64 v16, v22, v23, s[24:25]
	v_cndmask_b32_e64 v17, v99, v98, s[24:25]
	v_add_u32_e32 v20, 1, v16
	v_add_u32_e32 v16, -1, v17
	v_min_u32_e32 v16, v20, v16
	v_mov_b32_e32 v17, 0
	v_lshl_add_u64 v[18:19], v[16:17], 3, v[66:67]
	flat_load_dwordx2 v[18:19], v[18:19]
	v_cndmask_b32_e64 v82, v20, v22, s[24:25]
	s_mov_b64 s[28:29], -1
	v_cndmask_b32_e64 v83, v23, v20, s[24:25]
	v_cmp_lt_u32_e64 s[12:13], v82, v99
	s_mov_b64 s[34:35], -1
	s_waitcnt vmcnt(0) lgkmcnt(0)
	v_cndmask_b32_e64 v70, v19, v27, s[24:25]
	v_cndmask_b32_e64 v71, v18, v31, s[24:25]
	;; [unrolled: 1-line block ×4, first 2 shown]
	s_and_saveexec_b64 s[36:37], s[12:13]
	s_cbranch_execz .LBB386_1336
; %bb.1327:
	v_cmp_lt_u32_e64 s[12:13], v83, v98
	s_mov_b64 s[16:17], 0
	s_and_saveexec_b64 s[34:35], s[12:13]
	s_cbranch_execz .LBB386_1335
; %bb.1328:
	s_mov_b64 s[12:13], -1
	s_and_saveexec_b64 s[42:43], s[8:9]
	s_cbranch_execz .LBB386_1334
; %bb.1329:
	v_mul_lo_u32 v16, v80, v6
	v_mul_lo_u32 v20, v81, v7
	v_mad_u64_u32 v[18:19], s[12:13], v81, v6, 0
	v_add3_u32 v19, v19, v20, v16
	v_mul_lo_u32 v16, v70, v6
	v_mul_lo_u32 v22, v71, v7
	v_mad_u64_u32 v[20:21], s[12:13], v71, v6, 0
	v_add3_u32 v21, v21, v22, v16
	v_lshl_add_u64 v[18:19], v[18:19], 2, v[8:9]
	v_lshl_add_u64 v[20:21], v[20:21], 2, v[8:9]
	s_mov_b64 s[44:45], 0
	v_mov_b64_e32 v[22:23], v[6:7]
                                        ; implicit-def: $sgpr46_sgpr47
                                        ; implicit-def: $sgpr48_sgpr49
                                        ; implicit-def: $sgpr16_sgpr17
                                        ; implicit-def: $sgpr50_sgpr51
                                        ; implicit-def: $sgpr52_sgpr53
	s_branch .LBB386_1331
.LBB386_1330:                           ;   in Loop: Header=BB386_1331 Depth=1
	s_or_b64 exec, exec, s[54:55]
	s_and_b64 s[12:13], exec, s[48:49]
	s_or_b64 s[44:45], s[12:13], s[44:45]
	s_andn2_b64 s[12:13], s[52:53], exec
	s_and_b64 s[18:19], s[50:51], exec
	s_or_b64 s[52:53], s[12:13], s[18:19]
	s_andn2_b64 s[12:13], s[46:47], exec
	s_and_b64 s[18:19], s[16:17], exec
	s_or_b64 s[46:47], s[12:13], s[18:19]
	s_andn2_b64 exec, exec, s[44:45]
	s_cbranch_execz .LBB386_1333
.LBB386_1331:                           ; =>This Inner Loop Header: Depth=1
	flat_load_dword v16, v[20:21]
	flat_load_dword v84, v[18:19]
	s_andn2_b64 s[54:55], s[16:17], exec
	s_andn2_b64 s[50:51], s[50:51], exec
	s_or_b64 s[48:49], s[48:49], exec
	s_waitcnt vmcnt(0) lgkmcnt(0)
	v_cmp_le_i32_e64 s[16:17], v16, v84
	v_cmp_lt_i32_e64 s[12:13], v16, v84
	s_and_b64 s[16:17], s[16:17], s[52:53]
	s_or_b64 s[56:57], s[12:13], s[16:17]
	s_and_b64 s[12:13], s[56:57], exec
	v_cmp_eq_u32_e64 s[18:19], v16, v84
	s_or_b64 s[16:17], s[54:55], s[12:13]
	s_and_saveexec_b64 s[54:55], s[18:19]
	s_cbranch_execz .LBB386_1330
; %bb.1332:                             ;   in Loop: Header=BB386_1331 Depth=1
	v_lshl_add_u64 v[22:23], v[22:23], 0, -1
	v_cmp_eq_u64_e64 s[12:13], 0, v[22:23]
	s_andn2_b64 s[18:19], s[50:51], exec
	s_and_b64 s[50:51], s[56:57], exec
	s_or_b64 s[50:51], s[18:19], s[50:51]
	s_andn2_b64 s[18:19], s[48:49], exec
	s_and_b64 s[12:13], s[12:13], exec
	v_lshl_add_u64 v[18:19], v[18:19], 0, 4
	v_lshl_add_u64 v[20:21], v[20:21], 0, 4
	s_andn2_b64 s[16:17], s[16:17], exec
	s_or_b64 s[48:49], s[18:19], s[12:13]
                                        ; implicit-def: $sgpr52_sgpr53
	s_branch .LBB386_1330
.LBB386_1333:
	s_or_b64 exec, exec, s[44:45]
	s_xor_b64 s[12:13], s[46:47], -1
	s_orn2_b64 s[12:13], s[12:13], exec
.LBB386_1334:
	s_or_b64 exec, exec, s[42:43]
	s_and_b64 s[16:17], s[12:13], exec
.LBB386_1335:
	s_or_b64 exec, exec, s[34:35]
	s_orn2_b64 s[34:35], s[16:17], exec
.LBB386_1336:
	s_or_b64 exec, exec, s[36:37]
	v_cndmask_b32_e64 v16, v82, v83, s[34:35]
	v_cndmask_b32_e64 v18, v99, v98, s[34:35]
	v_add_u32_e32 v19, 1, v16
	v_add_u32_e32 v16, -1, v18
	v_min_u32_e32 v16, v19, v16
	v_lshl_add_u64 v[16:17], v[16:17], 3, v[66:67]
	flat_load_dwordx2 v[16:17], v[16:17]
	v_cndmask_b32_e64 v22, v19, v82, s[34:35]
	v_cndmask_b32_e64 v23, v83, v19, s[34:35]
	v_cmp_lt_u32_e64 s[12:13], v22, v99
	s_waitcnt vmcnt(0) lgkmcnt(0)
	v_cndmask_b32_e64 v82, v17, v70, s[34:35]
	v_cndmask_b32_e64 v83, v16, v71, s[34:35]
	;; [unrolled: 1-line block ×4, first 2 shown]
	s_and_saveexec_b64 s[36:37], s[12:13]
	s_cbranch_execz .LBB386_1346
; %bb.1337:
	v_cmp_lt_u32_e64 s[12:13], v23, v98
	s_mov_b64 s[16:17], 0
	s_and_saveexec_b64 s[28:29], s[12:13]
	s_cbranch_execz .LBB386_1345
; %bb.1338:
	s_mov_b64 s[12:13], -1
	s_and_saveexec_b64 s[42:43], s[8:9]
	s_cbranch_execz .LBB386_1344
; %bb.1339:
	v_mul_lo_u32 v18, v84, v6
	v_mul_lo_u32 v19, v85, v7
	v_mad_u64_u32 v[16:17], s[12:13], v85, v6, 0
	v_add3_u32 v17, v17, v19, v18
	v_mul_lo_u32 v20, v82, v6
	v_mul_lo_u32 v21, v83, v7
	v_mad_u64_u32 v[18:19], s[12:13], v83, v6, 0
	v_add3_u32 v19, v19, v21, v20
	v_lshl_add_u64 v[16:17], v[16:17], 2, v[8:9]
	v_lshl_add_u64 v[18:19], v[18:19], 2, v[8:9]
	s_mov_b64 s[44:45], 0
	v_mov_b64_e32 v[20:21], v[6:7]
                                        ; implicit-def: $sgpr46_sgpr47
                                        ; implicit-def: $sgpr48_sgpr49
                                        ; implicit-def: $sgpr16_sgpr17
                                        ; implicit-def: $sgpr50_sgpr51
                                        ; implicit-def: $sgpr52_sgpr53
	s_branch .LBB386_1341
.LBB386_1340:                           ;   in Loop: Header=BB386_1341 Depth=1
	s_or_b64 exec, exec, s[54:55]
	s_and_b64 s[12:13], exec, s[48:49]
	s_or_b64 s[44:45], s[12:13], s[44:45]
	s_andn2_b64 s[12:13], s[52:53], exec
	s_and_b64 s[18:19], s[50:51], exec
	s_or_b64 s[52:53], s[12:13], s[18:19]
	s_andn2_b64 s[12:13], s[46:47], exec
	s_and_b64 s[18:19], s[16:17], exec
	s_or_b64 s[46:47], s[12:13], s[18:19]
	s_andn2_b64 exec, exec, s[44:45]
	s_cbranch_execz .LBB386_1343
.LBB386_1341:                           ; =>This Inner Loop Header: Depth=1
	flat_load_dword v86, v[18:19]
	flat_load_dword v87, v[16:17]
	s_andn2_b64 s[54:55], s[16:17], exec
	s_andn2_b64 s[50:51], s[50:51], exec
	s_or_b64 s[48:49], s[48:49], exec
	s_waitcnt vmcnt(0) lgkmcnt(0)
	v_cmp_le_i32_e64 s[16:17], v86, v87
	v_cmp_lt_i32_e64 s[12:13], v86, v87
	s_and_b64 s[16:17], s[16:17], s[52:53]
	s_or_b64 s[56:57], s[12:13], s[16:17]
	s_and_b64 s[12:13], s[56:57], exec
	v_cmp_eq_u32_e64 s[18:19], v86, v87
	s_or_b64 s[16:17], s[54:55], s[12:13]
	s_and_saveexec_b64 s[54:55], s[18:19]
	s_cbranch_execz .LBB386_1340
; %bb.1342:                             ;   in Loop: Header=BB386_1341 Depth=1
	v_lshl_add_u64 v[20:21], v[20:21], 0, -1
	v_cmp_eq_u64_e64 s[12:13], 0, v[20:21]
	s_andn2_b64 s[18:19], s[50:51], exec
	s_and_b64 s[50:51], s[56:57], exec
	s_or_b64 s[50:51], s[18:19], s[50:51]
	s_andn2_b64 s[18:19], s[48:49], exec
	s_and_b64 s[12:13], s[12:13], exec
	v_lshl_add_u64 v[16:17], v[16:17], 0, 4
	v_lshl_add_u64 v[18:19], v[18:19], 0, 4
	s_andn2_b64 s[16:17], s[16:17], exec
	s_or_b64 s[48:49], s[18:19], s[12:13]
                                        ; implicit-def: $sgpr52_sgpr53
	s_branch .LBB386_1340
.LBB386_1343:
	s_or_b64 exec, exec, s[44:45]
	s_xor_b64 s[12:13], s[46:47], -1
	s_orn2_b64 s[12:13], s[12:13], exec
.LBB386_1344:
	s_or_b64 exec, exec, s[42:43]
	s_and_b64 s[16:17], s[12:13], exec
.LBB386_1345:
	s_or_b64 exec, exec, s[28:29]
	s_orn2_b64 s[28:29], s[16:17], exec
.LBB386_1346:
	s_or_b64 exec, exec, s[36:37]
	v_cndmask_b32_e64 v16, v22, v23, s[28:29]
	v_cndmask_b32_e64 v17, v99, v98, s[28:29]
	v_add_u32_e32 v20, 1, v16
	v_add_u32_e32 v16, -1, v17
	v_min_u32_e32 v16, v20, v16
	v_mov_b32_e32 v17, 0
	v_lshl_add_u64 v[18:19], v[16:17], 3, v[66:67]
	flat_load_dwordx2 v[18:19], v[18:19]
	v_cndmask_b32_e64 v100, v20, v22, s[28:29]
	s_mov_b64 s[36:37], -1
	v_cndmask_b32_e64 v101, v23, v20, s[28:29]
	v_cmp_lt_u32_e64 s[12:13], v100, v99
	s_mov_b64 s[42:43], -1
	s_waitcnt vmcnt(0) lgkmcnt(0)
	v_cndmask_b32_e64 v86, v19, v82, s[28:29]
	v_cndmask_b32_e64 v87, v18, v83, s[28:29]
	;; [unrolled: 1-line block ×4, first 2 shown]
	s_and_saveexec_b64 s[44:45], s[12:13]
	s_cbranch_execz .LBB386_1356
; %bb.1347:
	v_cmp_lt_u32_e64 s[12:13], v101, v98
	s_mov_b64 s[16:17], 0
	s_and_saveexec_b64 s[42:43], s[12:13]
	s_cbranch_execz .LBB386_1355
; %bb.1348:
	s_mov_b64 s[12:13], -1
	s_and_saveexec_b64 s[46:47], s[8:9]
	s_cbranch_execz .LBB386_1354
; %bb.1349:
	v_mul_lo_u32 v16, v96, v6
	v_mul_lo_u32 v20, v97, v7
	v_mad_u64_u32 v[18:19], s[12:13], v97, v6, 0
	v_add3_u32 v19, v19, v20, v16
	v_mul_lo_u32 v16, v86, v6
	v_mul_lo_u32 v22, v87, v7
	v_mad_u64_u32 v[20:21], s[12:13], v87, v6, 0
	v_add3_u32 v21, v21, v22, v16
	v_lshl_add_u64 v[18:19], v[18:19], 2, v[8:9]
	v_lshl_add_u64 v[20:21], v[20:21], 2, v[8:9]
	s_mov_b64 s[48:49], 0
	v_mov_b64_e32 v[22:23], v[6:7]
                                        ; implicit-def: $sgpr50_sgpr51
                                        ; implicit-def: $sgpr52_sgpr53
                                        ; implicit-def: $sgpr16_sgpr17
                                        ; implicit-def: $sgpr54_sgpr55
                                        ; implicit-def: $sgpr56_sgpr57
	s_branch .LBB386_1351
.LBB386_1350:                           ;   in Loop: Header=BB386_1351 Depth=1
	s_or_b64 exec, exec, s[58:59]
	s_and_b64 s[12:13], exec, s[52:53]
	s_or_b64 s[48:49], s[12:13], s[48:49]
	s_andn2_b64 s[12:13], s[56:57], exec
	s_and_b64 s[18:19], s[54:55], exec
	s_or_b64 s[56:57], s[12:13], s[18:19]
	s_andn2_b64 s[12:13], s[50:51], exec
	s_and_b64 s[18:19], s[16:17], exec
	s_or_b64 s[50:51], s[12:13], s[18:19]
	s_andn2_b64 exec, exec, s[48:49]
	s_cbranch_execz .LBB386_1353
.LBB386_1351:                           ; =>This Inner Loop Header: Depth=1
	flat_load_dword v16, v[20:21]
	flat_load_dword v102, v[18:19]
	s_andn2_b64 s[58:59], s[16:17], exec
	s_andn2_b64 s[54:55], s[54:55], exec
	s_or_b64 s[52:53], s[52:53], exec
	s_waitcnt vmcnt(0) lgkmcnt(0)
	v_cmp_le_i32_e64 s[16:17], v16, v102
	v_cmp_lt_i32_e64 s[12:13], v16, v102
	s_and_b64 s[16:17], s[16:17], s[56:57]
	s_or_b64 s[60:61], s[12:13], s[16:17]
	s_and_b64 s[12:13], s[60:61], exec
	v_cmp_eq_u32_e64 s[18:19], v16, v102
	s_or_b64 s[16:17], s[58:59], s[12:13]
	s_and_saveexec_b64 s[58:59], s[18:19]
	s_cbranch_execz .LBB386_1350
; %bb.1352:                             ;   in Loop: Header=BB386_1351 Depth=1
	v_lshl_add_u64 v[22:23], v[22:23], 0, -1
	v_cmp_eq_u64_e64 s[12:13], 0, v[22:23]
	s_andn2_b64 s[18:19], s[54:55], exec
	s_and_b64 s[54:55], s[60:61], exec
	s_or_b64 s[54:55], s[18:19], s[54:55]
	s_andn2_b64 s[18:19], s[52:53], exec
	s_and_b64 s[12:13], s[12:13], exec
	v_lshl_add_u64 v[18:19], v[18:19], 0, 4
	v_lshl_add_u64 v[20:21], v[20:21], 0, 4
	s_andn2_b64 s[16:17], s[16:17], exec
	s_or_b64 s[52:53], s[18:19], s[12:13]
                                        ; implicit-def: $sgpr56_sgpr57
	s_branch .LBB386_1350
.LBB386_1353:
	s_or_b64 exec, exec, s[48:49]
	s_xor_b64 s[12:13], s[50:51], -1
	s_orn2_b64 s[12:13], s[12:13], exec
.LBB386_1354:
	s_or_b64 exec, exec, s[46:47]
	s_and_b64 s[16:17], s[12:13], exec
.LBB386_1355:
	s_or_b64 exec, exec, s[42:43]
	s_orn2_b64 s[42:43], s[16:17], exec
.LBB386_1356:
	s_or_b64 exec, exec, s[44:45]
	v_cndmask_b32_e64 v16, v100, v101, s[42:43]
	v_cndmask_b32_e64 v18, v99, v98, s[42:43]
	v_add_u32_e32 v19, 1, v16
	v_add_u32_e32 v16, -1, v18
	v_min_u32_e32 v16, v19, v16
	v_lshl_add_u64 v[16:17], v[16:17], 3, v[66:67]
	flat_load_dwordx2 v[16:17], v[16:17]
	v_cndmask_b32_e64 v103, v19, v100, s[42:43]
	v_cndmask_b32_e64 v100, v101, v19, s[42:43]
	v_cmp_lt_u32_e64 s[12:13], v103, v99
	s_waitcnt vmcnt(0) lgkmcnt(0)
	v_cndmask_b32_e64 v101, v17, v86, s[42:43]
	v_cndmask_b32_e64 v102, v16, v87, s[42:43]
	;; [unrolled: 1-line block ×4, first 2 shown]
	s_and_saveexec_b64 s[44:45], s[12:13]
	s_cbranch_execz .LBB386_1366
; %bb.1357:
	v_cmp_lt_u32_e64 s[12:13], v100, v98
	s_mov_b64 s[16:17], 0
	s_and_saveexec_b64 s[36:37], s[12:13]
	s_cbranch_execz .LBB386_1365
; %bb.1358:
	s_mov_b64 s[12:13], -1
	s_and_saveexec_b64 s[46:47], s[8:9]
	s_cbranch_execz .LBB386_1364
; %bb.1359:
	v_mul_lo_u32 v18, v112, v6
	v_mul_lo_u32 v19, v113, v7
	v_mad_u64_u32 v[16:17], s[12:13], v113, v6, 0
	v_add3_u32 v17, v17, v19, v18
	v_mul_lo_u32 v20, v101, v6
	v_mul_lo_u32 v21, v102, v7
	v_mad_u64_u32 v[18:19], s[12:13], v102, v6, 0
	v_add3_u32 v19, v19, v21, v20
	v_lshl_add_u64 v[16:17], v[16:17], 2, v[8:9]
	v_lshl_add_u64 v[18:19], v[18:19], 2, v[8:9]
	s_mov_b64 s[48:49], 0
	v_mov_b64_e32 v[20:21], v[6:7]
                                        ; implicit-def: $sgpr50_sgpr51
                                        ; implicit-def: $sgpr52_sgpr53
                                        ; implicit-def: $sgpr16_sgpr17
                                        ; implicit-def: $sgpr54_sgpr55
                                        ; implicit-def: $sgpr56_sgpr57
	s_branch .LBB386_1361
.LBB386_1360:                           ;   in Loop: Header=BB386_1361 Depth=1
	s_or_b64 exec, exec, s[58:59]
	s_and_b64 s[12:13], exec, s[52:53]
	s_or_b64 s[48:49], s[12:13], s[48:49]
	s_andn2_b64 s[12:13], s[56:57], exec
	s_and_b64 s[18:19], s[54:55], exec
	s_or_b64 s[56:57], s[12:13], s[18:19]
	s_andn2_b64 s[12:13], s[50:51], exec
	s_and_b64 s[18:19], s[16:17], exec
	s_or_b64 s[50:51], s[12:13], s[18:19]
	s_andn2_b64 exec, exec, s[48:49]
	s_cbranch_execz .LBB386_1363
.LBB386_1361:                           ; =>This Inner Loop Header: Depth=1
	flat_load_dword v22, v[18:19]
	flat_load_dword v23, v[16:17]
	s_andn2_b64 s[58:59], s[16:17], exec
	s_andn2_b64 s[54:55], s[54:55], exec
	s_or_b64 s[52:53], s[52:53], exec
	s_waitcnt vmcnt(0) lgkmcnt(0)
	v_cmp_le_i32_e64 s[16:17], v22, v23
	v_cmp_lt_i32_e64 s[12:13], v22, v23
	s_and_b64 s[16:17], s[16:17], s[56:57]
	s_or_b64 s[60:61], s[12:13], s[16:17]
	s_and_b64 s[12:13], s[60:61], exec
	v_cmp_eq_u32_e64 s[18:19], v22, v23
	s_or_b64 s[16:17], s[58:59], s[12:13]
	s_and_saveexec_b64 s[58:59], s[18:19]
	s_cbranch_execz .LBB386_1360
; %bb.1362:                             ;   in Loop: Header=BB386_1361 Depth=1
	v_lshl_add_u64 v[20:21], v[20:21], 0, -1
	v_cmp_eq_u64_e64 s[12:13], 0, v[20:21]
	s_andn2_b64 s[18:19], s[54:55], exec
	s_and_b64 s[54:55], s[60:61], exec
	s_or_b64 s[54:55], s[18:19], s[54:55]
	s_andn2_b64 s[18:19], s[52:53], exec
	s_and_b64 s[12:13], s[12:13], exec
	v_lshl_add_u64 v[16:17], v[16:17], 0, 4
	v_lshl_add_u64 v[18:19], v[18:19], 0, 4
	s_andn2_b64 s[16:17], s[16:17], exec
	s_or_b64 s[52:53], s[18:19], s[12:13]
                                        ; implicit-def: $sgpr56_sgpr57
	s_branch .LBB386_1360
.LBB386_1363:
	s_or_b64 exec, exec, s[48:49]
	s_xor_b64 s[12:13], s[50:51], -1
	s_orn2_b64 s[12:13], s[12:13], exec
.LBB386_1364:
	s_or_b64 exec, exec, s[46:47]
	s_and_b64 s[16:17], s[12:13], exec
.LBB386_1365:
	s_or_b64 exec, exec, s[36:37]
	s_orn2_b64 s[36:37], s[16:17], exec
.LBB386_1366:
	s_or_b64 exec, exec, s[44:45]
	v_cndmask_b32_e64 v16, v103, v100, s[36:37]
	v_cndmask_b32_e64 v17, v99, v98, s[36:37]
	v_add_u32_e32 v114, 1, v16
	v_add_u32_e32 v16, -1, v17
	v_min_u32_e32 v16, v114, v16
	v_mov_b32_e32 v17, 0
	v_lshl_add_u64 v[16:17], v[16:17], 3, v[66:67]
	flat_load_dwordx2 v[66:67], v[16:17]
	v_cndmask_b32_e64 v21, v27, v68, s[24:25]
	v_cndmask_b32_e64 v27, v1, v25, s[26:27]
	;; [unrolled: 1-line block ×15, first 2 shown]
	v_cmp_lt_u32_e64 s[12:13], v1, v99
	s_waitcnt vmcnt(0) lgkmcnt(0)
	v_cndmask_b32_e64 v15, v112, v67, s[36:37]
	v_cndmask_b32_e64 v14, v113, v66, s[36:37]
	s_and_saveexec_b64 s[22:23], s[12:13]
	s_cbranch_execz .LBB386_1376
; %bb.1367:
	v_cndmask_b32_e64 v1, v100, v114, s[36:37]
	v_cndmask_b32_e64 v67, v67, v101, s[36:37]
	v_cndmask_b32_e64 v66, v66, v102, s[36:37]
	v_cmp_lt_u32_e64 s[12:13], v1, v98
	s_and_saveexec_b64 s[24:25], s[12:13]
	s_cbranch_execz .LBB386_1375
; %bb.1368:
	s_and_saveexec_b64 s[26:27], s[8:9]
	s_cbranch_execz .LBB386_1374
; %bb.1369:
	v_mul_lo_u32 v1, v15, v6
	v_mul_lo_u32 v31, v14, v7
	v_mad_u64_u32 v[68:69], s[12:13], v14, v6, 0
	v_add3_u32 v69, v69, v31, v1
	v_mul_lo_u32 v1, v67, v6
	v_mul_lo_u32 v31, v66, v7
	v_mad_u64_u32 v[70:71], s[12:13], v66, v6, 0
	v_add3_u32 v71, v71, v31, v1
	v_lshl_add_u64 v[68:69], v[68:69], 2, v[8:9]
	v_lshl_add_u64 v[70:71], v[70:71], 2, v[8:9]
	s_mov_b64 s[28:29], 0
	v_mov_b64_e32 v[80:81], v[6:7]
                                        ; implicit-def: $sgpr34_sgpr35
                                        ; implicit-def: $sgpr36_sgpr37
                                        ; implicit-def: $sgpr16_sgpr17
                                        ; implicit-def: $sgpr42_sgpr43
                                        ; implicit-def: $sgpr44_sgpr45
	s_branch .LBB386_1371
.LBB386_1370:                           ;   in Loop: Header=BB386_1371 Depth=1
	s_or_b64 exec, exec, s[46:47]
	s_and_b64 s[12:13], exec, s[36:37]
	s_or_b64 s[28:29], s[12:13], s[28:29]
	s_andn2_b64 s[12:13], s[44:45], exec
	s_and_b64 s[18:19], s[42:43], exec
	s_or_b64 s[44:45], s[12:13], s[18:19]
	s_andn2_b64 s[12:13], s[34:35], exec
	s_and_b64 s[18:19], s[16:17], exec
	s_or_b64 s[34:35], s[12:13], s[18:19]
	s_andn2_b64 exec, exec, s[28:29]
	s_cbranch_execz .LBB386_1373
.LBB386_1371:                           ; =>This Inner Loop Header: Depth=1
	flat_load_dword v1, v[70:71]
	flat_load_dword v31, v[68:69]
	s_andn2_b64 s[46:47], s[16:17], exec
	s_andn2_b64 s[42:43], s[42:43], exec
	s_or_b64 s[36:37], s[36:37], exec
	s_waitcnt vmcnt(0) lgkmcnt(0)
	v_cmp_le_i32_e64 s[16:17], v1, v31
	v_cmp_lt_i32_e64 s[12:13], v1, v31
	s_and_b64 s[16:17], s[16:17], s[44:45]
	s_or_b64 s[48:49], s[12:13], s[16:17]
	s_and_b64 s[12:13], s[48:49], exec
	v_cmp_eq_u32_e64 s[18:19], v1, v31
	s_or_b64 s[16:17], s[46:47], s[12:13]
	s_and_saveexec_b64 s[46:47], s[18:19]
	s_cbranch_execz .LBB386_1370
; %bb.1372:                             ;   in Loop: Header=BB386_1371 Depth=1
	v_lshl_add_u64 v[80:81], v[80:81], 0, -1
	v_cmp_eq_u64_e64 s[12:13], 0, v[80:81]
	s_andn2_b64 s[18:19], s[42:43], exec
	s_and_b64 s[42:43], s[48:49], exec
	s_or_b64 s[42:43], s[18:19], s[42:43]
	s_andn2_b64 s[18:19], s[36:37], exec
	s_and_b64 s[12:13], s[12:13], exec
	v_lshl_add_u64 v[68:69], v[68:69], 0, 4
	v_lshl_add_u64 v[70:71], v[70:71], 0, 4
	s_andn2_b64 s[16:17], s[16:17], exec
	s_or_b64 s[36:37], s[18:19], s[12:13]
                                        ; implicit-def: $sgpr44_sgpr45
	s_branch .LBB386_1370
.LBB386_1373:
	s_or_b64 exec, exec, s[28:29]
	v_cndmask_b32_e64 v15, v15, v67, s[34:35]
	v_cndmask_b32_e64 v14, v14, v66, s[34:35]
.LBB386_1374:
	s_or_b64 exec, exec, s[26:27]
	v_mov_b64_e32 v[66:67], v[14:15]
.LBB386_1375:
	s_or_b64 exec, exec, s[24:25]
	v_mov_b64_e32 v[14:15], v[66:67]
.LBB386_1376:
	s_or_b64 exec, exec, s[22:23]
.LBB386_1377:
	s_or_b64 exec, exec, s[20:21]
	s_movk_i32 s68, 0x80
	v_cmp_lt_u32_e64 s[12:13], s68, v0
	; wave barrier
	s_waitcnt lgkmcnt(0)
	s_barrier
	s_and_saveexec_b64 s[20:21], s[12:13]
	s_cbranch_execz .LBB386_1475
; %bb.1378:
	v_lshlrev_b32_e32 v66, 3, v30
	v_mov_b32_e32 v67, 0
	v_lshl_add_u64 v[68:69], v[10:11], 0, v[66:67]
	s_mov_b64 s[22:23], 0
	s_branch .LBB386_1384
.LBB386_1379:                           ;   in Loop: Header=BB386_1384 Depth=1
	s_or_b64 exec, exec, s[54:55]
	v_cndmask_b32_e64 v15, v15, v17, s[56:57]
	v_cndmask_b32_e64 v14, v14, v16, s[56:57]
.LBB386_1380:                           ;   in Loop: Header=BB386_1384 Depth=1
	s_or_b64 exec, exec, s[52:53]
	v_mov_b64_e32 v[16:17], v[14:15]
.LBB386_1381:                           ;   in Loop: Header=BB386_1384 Depth=1
	s_or_b64 exec, exec, s[50:51]
	v_mov_b64_e32 v[14:15], v[16:17]
.LBB386_1382:                           ;   in Loop: Header=BB386_1384 Depth=1
	s_or_b64 exec, exec, s[48:49]
	v_cndmask_b32_e64 v19, v100, v102, s[46:47]
	v_cndmask_b32_e64 v18, v101, v103, s[46:47]
	v_cndmask_b32_e64 v17, v96, v98, s[36:37]
	v_cndmask_b32_e64 v16, v97, v99, s[36:37]
	v_cndmask_b32_e64 v23, v84, v86, s[42:43]
	v_cndmask_b32_e64 v22, v85, v87, s[42:43]
	v_cndmask_b32_e64 v21, v80, v82, s[28:29]
	v_cndmask_b32_e64 v20, v81, v83, s[28:29]
	v_cndmask_b32_e64 v27, v26, v27, s[34:35]
	v_cndmask_b32_e64 v26, v31, v71, s[34:35]
	v_cndmask_b32_e64 v25, v25, v13, s[26:27]
	v_cndmask_b32_e64 v24, v24, v12, s[26:27]
	v_cndmask_b32_e64 v13, v112, v114, s[44:45]
	v_cndmask_b32_e64 v12, v113, v115, s[44:45]
.LBB386_1383:                           ;   in Loop: Header=BB386_1384 Depth=1
	s_or_b64 exec, exec, s[24:25]
	v_cmp_ge_u32_e64 s[12:13], s68, v0
	s_or_b64 s[22:23], s[12:13], s[22:23]
	s_barrier
	s_andn2_b64 exec, exec, s[22:23]
	s_cbranch_execz .LBB386_1474
.LBB386_1384:                           ; =>This Loop Header: Depth=1
                                        ;     Child Loop BB386_1388 Depth 2
                                        ;       Child Loop BB386_1391 Depth 3
                                        ;     Child Loop BB386_1403 Depth 2
                                        ;     Child Loop BB386_1412 Depth 2
	;; [unrolled: 1-line block ×8, first 2 shown]
	s_mov_b32 s12, s68
	s_lshl_b32 s68, s68, 1
	s_sub_i32 s16, 0, s68
	v_and_b32_e32 v31, s16, v30
	v_add_u32_e32 v1, s12, v31
	v_min_u32_e32 v70, v1, v0
	s_add_i32 s13, s68, -1
	v_add_u32_e32 v1, s12, v70
	v_min_u32_e32 v1, v1, v0
	v_and_b32_e32 v66, s13, v30
	v_min_u32_e32 v100, v66, v0
	v_sub_u32_e32 v66, v70, v31
	v_sub_u32_e32 v71, v1, v70
	v_sub_u32_e64 v101, v100, v71 clamp
	v_min_u32_e32 v102, v100, v66
	v_cmp_lt_u32_e64 s[12:13], v101, v102
	flat_store_dwordx4 v[68:69], v[24:27]
	flat_store_dwordx4 v[68:69], v[20:23] offset:16
	flat_store_dwordx4 v[68:69], v[16:19] offset:32
	;; [unrolled: 1-line block ×3, first 2 shown]
	s_waitcnt lgkmcnt(0)
	s_barrier
	s_and_saveexec_b64 s[24:25], s[12:13]
	s_cbranch_execz .LBB386_1394
; %bb.1385:                             ;   in Loop: Header=BB386_1384 Depth=1
	v_lshlrev_b32_e32 v66, 3, v31
	v_mov_b32_e32 v71, v67
	v_lshl_add_u64 v[80:81], v[10:11], 0, v[66:67]
	v_lshl_add_u64 v[82:83], v[70:71], 3, v[10:11]
	s_mov_b64 s[26:27], 0
	s_branch .LBB386_1388
.LBB386_1386:                           ;   in Loop: Header=BB386_1388 Depth=2
	s_or_b64 exec, exec, s[34:35]
	s_and_b64 s[12:13], s[36:37], exec
.LBB386_1387:                           ;   in Loop: Header=BB386_1388 Depth=2
	s_or_b64 exec, exec, s[28:29]
	v_add_u32_e32 v66, 1, v84
	v_cndmask_b32_e64 v102, v102, v84, s[12:13]
	v_cndmask_b32_e64 v101, v66, v101, s[12:13]
	v_cmp_ge_u32_e64 s[12:13], v101, v102
	s_or_b64 s[26:27], s[12:13], s[26:27]
	s_andn2_b64 exec, exec, s[26:27]
	s_cbranch_execz .LBB386_1393
.LBB386_1388:                           ;   Parent Loop BB386_1384 Depth=1
                                        ; =>  This Loop Header: Depth=2
                                        ;       Child Loop BB386_1391 Depth 3
	v_add_u32_e32 v66, v102, v101
	v_lshrrev_b32_e32 v84, 1, v66
	s_mov_b64 s[12:13], 0
	s_and_saveexec_b64 s[28:29], s[8:9]
	s_cbranch_execz .LBB386_1387
; %bb.1389:                             ;   in Loop: Header=BB386_1388 Depth=2
	v_mov_b32_e32 v85, v67
	v_xad_u32 v66, v84, -1, v100
	v_lshl_add_u64 v[86:87], v[84:85], 3, v[80:81]
	v_lshl_add_u64 v[96:97], v[66:67], 3, v[82:83]
	flat_load_dwordx2 v[86:87], v[86:87]
	s_mov_b64 s[34:35], 0
	flat_load_dwordx2 v[96:97], v[96:97]
                                        ; implicit-def: $sgpr36_sgpr37
                                        ; implicit-def: $sgpr42_sgpr43
                                        ; implicit-def: $sgpr44_sgpr45
                                        ; implicit-def: $sgpr16_sgpr17
                                        ; implicit-def: $sgpr46_sgpr47
	s_waitcnt vmcnt(0) lgkmcnt(0)
	v_mul_lo_u32 v66, v64, v87
	v_mul_lo_u32 v71, v65, v86
	v_mad_u64_u32 v[86:87], s[12:13], v64, v86, v[8:9]
	v_mul_lo_u32 v85, v64, v97
	v_mul_lo_u32 v98, v65, v96
	v_mad_u64_u32 v[96:97], s[12:13], v64, v96, v[8:9]
	v_add3_u32 v87, v71, v87, v66
	v_add3_u32 v97, v98, v97, v85
	v_mov_b64_e32 v[98:99], v[6:7]
	s_branch .LBB386_1391
.LBB386_1390:                           ;   in Loop: Header=BB386_1391 Depth=3
	s_or_b64 exec, exec, s[48:49]
	s_and_b64 s[12:13], exec, s[42:43]
	s_or_b64 s[34:35], s[12:13], s[34:35]
	s_andn2_b64 s[12:13], s[46:47], exec
	s_and_b64 s[18:19], s[44:45], exec
	s_or_b64 s[46:47], s[12:13], s[18:19]
	s_andn2_b64 s[12:13], s[36:37], exec
	s_and_b64 s[18:19], s[16:17], exec
	s_or_b64 s[36:37], s[12:13], s[18:19]
	s_andn2_b64 exec, exec, s[34:35]
	s_cbranch_execz .LBB386_1386
.LBB386_1391:                           ;   Parent Loop BB386_1384 Depth=1
                                        ;     Parent Loop BB386_1388 Depth=2
                                        ; =>    This Inner Loop Header: Depth=3
	flat_load_dword v66, v[96:97]
	flat_load_dword v71, v[86:87]
	s_andn2_b64 s[48:49], s[16:17], exec
	s_andn2_b64 s[44:45], s[44:45], exec
	s_or_b64 s[42:43], s[42:43], exec
	s_waitcnt vmcnt(0) lgkmcnt(0)
	v_cmp_le_i32_e64 s[16:17], v66, v71
	v_cmp_lt_i32_e64 s[12:13], v66, v71
	s_and_b64 s[16:17], s[16:17], s[46:47]
	s_or_b64 s[50:51], s[12:13], s[16:17]
	s_and_b64 s[12:13], s[50:51], exec
	v_cmp_eq_u32_e64 s[18:19], v66, v71
	s_or_b64 s[16:17], s[48:49], s[12:13]
	s_and_saveexec_b64 s[48:49], s[18:19]
	s_cbranch_execz .LBB386_1390
; %bb.1392:                             ;   in Loop: Header=BB386_1391 Depth=3
	v_lshl_add_u64 v[98:99], v[98:99], 0, -1
	v_cmp_eq_u64_e64 s[12:13], 0, v[98:99]
	s_andn2_b64 s[18:19], s[44:45], exec
	s_and_b64 s[44:45], s[50:51], exec
	s_or_b64 s[44:45], s[18:19], s[44:45]
	s_andn2_b64 s[18:19], s[42:43], exec
	s_and_b64 s[12:13], s[12:13], exec
	v_lshl_add_u64 v[86:87], v[86:87], 0, 4
	v_lshl_add_u64 v[96:97], v[96:97], 0, 4
	s_andn2_b64 s[16:17], s[16:17], exec
	s_or_b64 s[42:43], s[18:19], s[12:13]
                                        ; implicit-def: $sgpr46_sgpr47
	s_branch .LBB386_1390
.LBB386_1393:                           ;   in Loop: Header=BB386_1384 Depth=1
	s_or_b64 exec, exec, s[26:27]
.LBB386_1394:                           ;   in Loop: Header=BB386_1384 Depth=1
	s_or_b64 exec, exec, s[24:25]
	v_sub_u32_e32 v66, v100, v101
	v_add_u32_e32 v80, v101, v31
	v_add_u32_e32 v82, v66, v70
	v_cmp_le_u32_e64 s[12:13], v80, v70
	v_cmp_le_u32_e64 s[16:17], v82, v1
	s_or_b64 s[12:13], s[12:13], s[16:17]
	s_and_saveexec_b64 s[24:25], s[12:13]
	s_cbranch_execz .LBB386_1383
; %bb.1395:                             ;   in Loop: Header=BB386_1384 Depth=1
	v_cmp_ge_u32_e64 s[16:17], v80, v70
	v_cmp_lt_u32_e64 s[12:13], v80, v70
                                        ; implicit-def: $vgpr12_vgpr13
	s_and_saveexec_b64 s[18:19], s[12:13]
	s_cbranch_execz .LBB386_1397
; %bb.1396:                             ;   in Loop: Header=BB386_1384 Depth=1
	v_mov_b32_e32 v81, v67
	v_lshl_add_u64 v[12:13], v[80:81], 3, v[10:11]
	flat_load_dwordx2 v[12:13], v[12:13]
.LBB386_1397:                           ;   in Loop: Header=BB386_1384 Depth=1
	s_or_b64 exec, exec, s[18:19]
	v_cmp_ge_u32_e64 s[26:27], v82, v1
	v_cmp_lt_u32_e64 s[12:13], v82, v1
                                        ; implicit-def: $vgpr24_vgpr25
	s_and_saveexec_b64 s[18:19], s[12:13]
	s_cbranch_execz .LBB386_1399
; %bb.1398:                             ;   in Loop: Header=BB386_1384 Depth=1
	v_mov_b32_e32 v83, v67
	v_lshl_add_u64 v[14:15], v[82:83], 3, v[10:11]
	flat_load_dwordx2 v[24:25], v[14:15]
.LBB386_1399:                           ;   in Loop: Header=BB386_1384 Depth=1
	s_or_b64 exec, exec, s[18:19]
	s_or_b64 s[12:13], s[16:17], s[26:27]
	s_xor_b64 s[12:13], s[12:13], -1
	s_and_saveexec_b64 s[28:29], s[12:13]
	s_cbranch_execz .LBB386_1407
; %bb.1400:                             ;   in Loop: Header=BB386_1384 Depth=1
	s_mov_b64 s[12:13], 0
	s_and_saveexec_b64 s[34:35], s[8:9]
	s_cbranch_execz .LBB386_1406
; %bb.1401:                             ;   in Loop: Header=BB386_1384 Depth=1
	s_waitcnt vmcnt(0) lgkmcnt(0)
	v_mad_u64_u32 v[14:15], s[12:13], v64, v12, v[8:9]
	v_mul_lo_u32 v16, v64, v13
	v_mul_lo_u32 v17, v65, v12
	v_add3_u32 v15, v17, v15, v16
	v_mad_u64_u32 v[16:17], s[12:13], v64, v24, v[8:9]
	v_mul_lo_u32 v18, v64, v25
	v_mul_lo_u32 v19, v65, v24
	v_add3_u32 v17, v19, v17, v18
	s_mov_b64 s[36:37], 0
	v_mov_b64_e32 v[18:19], v[6:7]
                                        ; implicit-def: $sgpr42_sgpr43
                                        ; implicit-def: $sgpr44_sgpr45
                                        ; implicit-def: $sgpr46_sgpr47
                                        ; implicit-def: $sgpr16_sgpr17
                                        ; implicit-def: $sgpr48_sgpr49
	s_branch .LBB386_1403
.LBB386_1402:                           ;   in Loop: Header=BB386_1403 Depth=2
	s_or_b64 exec, exec, s[50:51]
	s_and_b64 s[12:13], exec, s[44:45]
	s_or_b64 s[36:37], s[12:13], s[36:37]
	s_andn2_b64 s[12:13], s[48:49], exec
	s_and_b64 s[18:19], s[46:47], exec
	s_or_b64 s[48:49], s[12:13], s[18:19]
	s_andn2_b64 s[12:13], s[42:43], exec
	s_and_b64 s[18:19], s[16:17], exec
	s_or_b64 s[42:43], s[12:13], s[18:19]
	s_andn2_b64 exec, exec, s[36:37]
	s_cbranch_execz .LBB386_1405
.LBB386_1403:                           ;   Parent Loop BB386_1384 Depth=1
                                        ; =>  This Inner Loop Header: Depth=2
	flat_load_dword v20, v[16:17]
	flat_load_dword v21, v[14:15]
	s_andn2_b64 s[50:51], s[16:17], exec
	s_andn2_b64 s[46:47], s[46:47], exec
	s_or_b64 s[44:45], s[44:45], exec
	s_waitcnt vmcnt(0) lgkmcnt(0)
	v_cmp_le_i32_e64 s[16:17], v20, v21
	v_cmp_lt_i32_e64 s[12:13], v20, v21
	s_and_b64 s[16:17], s[16:17], s[48:49]
	s_or_b64 s[52:53], s[12:13], s[16:17]
	s_and_b64 s[12:13], s[52:53], exec
	v_cmp_eq_u32_e64 s[18:19], v20, v21
	s_or_b64 s[16:17], s[50:51], s[12:13]
	s_and_saveexec_b64 s[50:51], s[18:19]
	s_cbranch_execz .LBB386_1402
; %bb.1404:                             ;   in Loop: Header=BB386_1403 Depth=2
	v_lshl_add_u64 v[18:19], v[18:19], 0, -1
	v_cmp_eq_u64_e64 s[12:13], 0, v[18:19]
	s_andn2_b64 s[18:19], s[46:47], exec
	s_and_b64 s[46:47], s[52:53], exec
	s_or_b64 s[46:47], s[18:19], s[46:47]
	s_andn2_b64 s[18:19], s[44:45], exec
	s_and_b64 s[12:13], s[12:13], exec
	v_lshl_add_u64 v[14:15], v[14:15], 0, 4
	v_lshl_add_u64 v[16:17], v[16:17], 0, 4
	s_andn2_b64 s[16:17], s[16:17], exec
	s_or_b64 s[44:45], s[18:19], s[12:13]
                                        ; implicit-def: $sgpr48_sgpr49
	s_branch .LBB386_1402
.LBB386_1405:                           ;   in Loop: Header=BB386_1384 Depth=1
	s_or_b64 exec, exec, s[36:37]
	s_and_b64 s[12:13], s[42:43], exec
.LBB386_1406:                           ;   in Loop: Header=BB386_1384 Depth=1
	s_or_b64 exec, exec, s[34:35]
	s_xor_b64 s[12:13], s[12:13], -1
	s_andn2_b64 s[16:17], s[26:27], exec
	s_and_b64 s[12:13], s[12:13], exec
	s_or_b64 s[26:27], s[16:17], s[12:13]
.LBB386_1407:                           ;   in Loop: Header=BB386_1384 Depth=1
	s_or_b64 exec, exec, s[28:29]
	v_cndmask_b32_e64 v14, v82, v80, s[26:27]
	v_cndmask_b32_e64 v15, v1, v70, s[26:27]
	v_add_u32_e32 v16, 1, v14
	v_add_u32_e32 v14, -1, v15
	v_min_u32_e32 v66, v16, v14
	v_lshl_add_u64 v[14:15], v[66:67], 3, v[10:11]
	flat_load_dwordx2 v[14:15], v[14:15]
	v_cndmask_b32_e64 v20, v16, v82, s[26:27]
	s_mov_b64 s[28:29], -1
	v_cndmask_b32_e64 v21, v80, v16, s[26:27]
	v_cmp_lt_u32_e64 s[12:13], v20, v1
	s_mov_b64 s[34:35], -1
	s_waitcnt vmcnt(0) lgkmcnt(0)
	v_cndmask_b32_e64 v26, v15, v25, s[26:27]
	v_cndmask_b32_e64 v31, v14, v24, s[26:27]
	;; [unrolled: 1-line block ×4, first 2 shown]
	s_and_saveexec_b64 s[36:37], s[12:13]
	s_cbranch_execz .LBB386_1417
; %bb.1408:                             ;   in Loop: Header=BB386_1384 Depth=1
	v_cmp_lt_u32_e64 s[12:13], v21, v70
	s_mov_b64 s[16:17], 0
	s_and_saveexec_b64 s[34:35], s[12:13]
	s_cbranch_execz .LBB386_1416
; %bb.1409:                             ;   in Loop: Header=BB386_1384 Depth=1
	s_mov_b64 s[12:13], 0
	s_and_saveexec_b64 s[42:43], s[8:9]
	s_cbranch_execz .LBB386_1415
; %bb.1410:                             ;   in Loop: Header=BB386_1384 Depth=1
	v_mad_u64_u32 v[14:15], s[12:13], v64, v71, v[8:9]
	v_mul_lo_u32 v16, v64, v27
	v_mul_lo_u32 v17, v65, v71
	v_add3_u32 v15, v17, v15, v16
	v_mad_u64_u32 v[16:17], s[12:13], v64, v31, v[8:9]
	v_mul_lo_u32 v18, v64, v26
	v_mul_lo_u32 v19, v65, v31
	v_add3_u32 v17, v19, v17, v18
	s_mov_b64 s[44:45], 0
	v_mov_b64_e32 v[18:19], v[6:7]
                                        ; implicit-def: $sgpr46_sgpr47
                                        ; implicit-def: $sgpr48_sgpr49
                                        ; implicit-def: $sgpr50_sgpr51
                                        ; implicit-def: $sgpr16_sgpr17
                                        ; implicit-def: $sgpr52_sgpr53
	s_branch .LBB386_1412
.LBB386_1411:                           ;   in Loop: Header=BB386_1412 Depth=2
	s_or_b64 exec, exec, s[54:55]
	s_and_b64 s[12:13], exec, s[48:49]
	s_or_b64 s[44:45], s[12:13], s[44:45]
	s_andn2_b64 s[12:13], s[52:53], exec
	s_and_b64 s[18:19], s[50:51], exec
	s_or_b64 s[52:53], s[12:13], s[18:19]
	s_andn2_b64 s[12:13], s[46:47], exec
	s_and_b64 s[18:19], s[16:17], exec
	s_or_b64 s[46:47], s[12:13], s[18:19]
	s_andn2_b64 exec, exec, s[44:45]
	s_cbranch_execz .LBB386_1414
.LBB386_1412:                           ;   Parent Loop BB386_1384 Depth=1
                                        ; =>  This Inner Loop Header: Depth=2
	flat_load_dword v22, v[16:17]
	flat_load_dword v23, v[14:15]
	s_andn2_b64 s[54:55], s[16:17], exec
	s_andn2_b64 s[50:51], s[50:51], exec
	s_or_b64 s[48:49], s[48:49], exec
	s_waitcnt vmcnt(0) lgkmcnt(0)
	v_cmp_le_i32_e64 s[16:17], v22, v23
	v_cmp_lt_i32_e64 s[12:13], v22, v23
	s_and_b64 s[16:17], s[16:17], s[52:53]
	s_or_b64 s[56:57], s[12:13], s[16:17]
	s_and_b64 s[12:13], s[56:57], exec
	v_cmp_eq_u32_e64 s[18:19], v22, v23
	s_or_b64 s[16:17], s[54:55], s[12:13]
	s_and_saveexec_b64 s[54:55], s[18:19]
	s_cbranch_execz .LBB386_1411
; %bb.1413:                             ;   in Loop: Header=BB386_1412 Depth=2
	v_lshl_add_u64 v[18:19], v[18:19], 0, -1
	v_cmp_eq_u64_e64 s[12:13], 0, v[18:19]
	s_andn2_b64 s[18:19], s[50:51], exec
	s_and_b64 s[50:51], s[56:57], exec
	s_or_b64 s[50:51], s[18:19], s[50:51]
	s_andn2_b64 s[18:19], s[48:49], exec
	s_and_b64 s[12:13], s[12:13], exec
	v_lshl_add_u64 v[14:15], v[14:15], 0, 4
	v_lshl_add_u64 v[16:17], v[16:17], 0, 4
	s_andn2_b64 s[16:17], s[16:17], exec
	s_or_b64 s[48:49], s[18:19], s[12:13]
                                        ; implicit-def: $sgpr52_sgpr53
	s_branch .LBB386_1411
.LBB386_1414:                           ;   in Loop: Header=BB386_1384 Depth=1
	s_or_b64 exec, exec, s[44:45]
	s_and_b64 s[12:13], s[46:47], exec
.LBB386_1415:                           ;   in Loop: Header=BB386_1384 Depth=1
	s_or_b64 exec, exec, s[42:43]
	s_xor_b64 s[12:13], s[12:13], -1
	s_and_b64 s[16:17], s[12:13], exec
.LBB386_1416:                           ;   in Loop: Header=BB386_1384 Depth=1
	s_or_b64 exec, exec, s[34:35]
	s_orn2_b64 s[34:35], s[16:17], exec
.LBB386_1417:                           ;   in Loop: Header=BB386_1384 Depth=1
	s_or_b64 exec, exec, s[36:37]
	v_cndmask_b32_e64 v14, v20, v21, s[34:35]
	v_cndmask_b32_e64 v15, v1, v70, s[34:35]
	v_add_u32_e32 v16, 1, v14
	v_add_u32_e32 v14, -1, v15
	v_min_u32_e32 v66, v16, v14
	v_lshl_add_u64 v[14:15], v[66:67], 3, v[10:11]
	flat_load_dwordx2 v[14:15], v[14:15]
	v_cndmask_b32_e64 v20, v16, v20, s[34:35]
	v_cndmask_b32_e64 v21, v21, v16, s[34:35]
	v_cmp_lt_u32_e64 s[12:13], v20, v1
	s_waitcnt vmcnt(0) lgkmcnt(0)
	v_cndmask_b32_e64 v80, v15, v26, s[34:35]
	v_cndmask_b32_e64 v81, v14, v31, s[34:35]
	;; [unrolled: 1-line block ×4, first 2 shown]
	s_and_saveexec_b64 s[36:37], s[12:13]
	s_cbranch_execz .LBB386_1427
; %bb.1418:                             ;   in Loop: Header=BB386_1384 Depth=1
	v_cmp_lt_u32_e64 s[12:13], v21, v70
	s_mov_b64 s[16:17], 0
	s_and_saveexec_b64 s[28:29], s[12:13]
	s_cbranch_execz .LBB386_1426
; %bb.1419:                             ;   in Loop: Header=BB386_1384 Depth=1
	s_mov_b64 s[12:13], 0
	s_and_saveexec_b64 s[42:43], s[8:9]
	s_cbranch_execz .LBB386_1425
; %bb.1420:                             ;   in Loop: Header=BB386_1384 Depth=1
	v_mad_u64_u32 v[14:15], s[12:13], v64, v83, v[8:9]
	v_mul_lo_u32 v16, v64, v82
	v_mul_lo_u32 v17, v65, v83
	v_add3_u32 v15, v17, v15, v16
	v_mad_u64_u32 v[16:17], s[12:13], v64, v81, v[8:9]
	v_mul_lo_u32 v18, v64, v80
	v_mul_lo_u32 v19, v65, v81
	v_add3_u32 v17, v19, v17, v18
	s_mov_b64 s[44:45], 0
	v_mov_b64_e32 v[18:19], v[6:7]
                                        ; implicit-def: $sgpr46_sgpr47
                                        ; implicit-def: $sgpr48_sgpr49
                                        ; implicit-def: $sgpr50_sgpr51
                                        ; implicit-def: $sgpr16_sgpr17
                                        ; implicit-def: $sgpr52_sgpr53
	s_branch .LBB386_1422
.LBB386_1421:                           ;   in Loop: Header=BB386_1422 Depth=2
	s_or_b64 exec, exec, s[54:55]
	s_and_b64 s[12:13], exec, s[48:49]
	s_or_b64 s[44:45], s[12:13], s[44:45]
	s_andn2_b64 s[12:13], s[52:53], exec
	s_and_b64 s[18:19], s[50:51], exec
	s_or_b64 s[52:53], s[12:13], s[18:19]
	s_andn2_b64 s[12:13], s[46:47], exec
	s_and_b64 s[18:19], s[16:17], exec
	s_or_b64 s[46:47], s[12:13], s[18:19]
	s_andn2_b64 exec, exec, s[44:45]
	s_cbranch_execz .LBB386_1424
.LBB386_1422:                           ;   Parent Loop BB386_1384 Depth=1
                                        ; =>  This Inner Loop Header: Depth=2
	flat_load_dword v22, v[16:17]
	flat_load_dword v23, v[14:15]
	s_andn2_b64 s[54:55], s[16:17], exec
	s_andn2_b64 s[50:51], s[50:51], exec
	s_or_b64 s[48:49], s[48:49], exec
	s_waitcnt vmcnt(0) lgkmcnt(0)
	v_cmp_le_i32_e64 s[16:17], v22, v23
	v_cmp_lt_i32_e64 s[12:13], v22, v23
	s_and_b64 s[16:17], s[16:17], s[52:53]
	s_or_b64 s[56:57], s[12:13], s[16:17]
	s_and_b64 s[12:13], s[56:57], exec
	v_cmp_eq_u32_e64 s[18:19], v22, v23
	s_or_b64 s[16:17], s[54:55], s[12:13]
	s_and_saveexec_b64 s[54:55], s[18:19]
	s_cbranch_execz .LBB386_1421
; %bb.1423:                             ;   in Loop: Header=BB386_1422 Depth=2
	v_lshl_add_u64 v[18:19], v[18:19], 0, -1
	v_cmp_eq_u64_e64 s[12:13], 0, v[18:19]
	s_andn2_b64 s[18:19], s[50:51], exec
	s_and_b64 s[50:51], s[56:57], exec
	s_or_b64 s[50:51], s[18:19], s[50:51]
	s_andn2_b64 s[18:19], s[48:49], exec
	s_and_b64 s[12:13], s[12:13], exec
	v_lshl_add_u64 v[14:15], v[14:15], 0, 4
	v_lshl_add_u64 v[16:17], v[16:17], 0, 4
	s_andn2_b64 s[16:17], s[16:17], exec
	s_or_b64 s[48:49], s[18:19], s[12:13]
                                        ; implicit-def: $sgpr52_sgpr53
	s_branch .LBB386_1421
.LBB386_1424:                           ;   in Loop: Header=BB386_1384 Depth=1
	s_or_b64 exec, exec, s[44:45]
	s_and_b64 s[12:13], s[46:47], exec
.LBB386_1425:                           ;   in Loop: Header=BB386_1384 Depth=1
	s_or_b64 exec, exec, s[42:43]
	s_xor_b64 s[12:13], s[12:13], -1
	s_and_b64 s[16:17], s[12:13], exec
.LBB386_1426:                           ;   in Loop: Header=BB386_1384 Depth=1
	s_or_b64 exec, exec, s[28:29]
	s_orn2_b64 s[28:29], s[16:17], exec
.LBB386_1427:                           ;   in Loop: Header=BB386_1384 Depth=1
	s_or_b64 exec, exec, s[36:37]
	v_cndmask_b32_e64 v14, v20, v21, s[28:29]
	v_cndmask_b32_e64 v15, v1, v70, s[28:29]
	v_add_u32_e32 v16, 1, v14
	v_add_u32_e32 v14, -1, v15
	v_min_u32_e32 v66, v16, v14
	v_lshl_add_u64 v[14:15], v[66:67], 3, v[10:11]
	flat_load_dwordx2 v[14:15], v[14:15]
	v_cndmask_b32_e64 v20, v16, v20, s[28:29]
	s_mov_b64 s[36:37], -1
	v_cndmask_b32_e64 v21, v21, v16, s[28:29]
	v_cmp_lt_u32_e64 s[12:13], v20, v1
	s_mov_b64 s[42:43], -1
	s_waitcnt vmcnt(0) lgkmcnt(0)
	v_cndmask_b32_e64 v84, v15, v80, s[28:29]
	v_cndmask_b32_e64 v85, v14, v81, s[28:29]
	;; [unrolled: 1-line block ×4, first 2 shown]
	s_and_saveexec_b64 s[44:45], s[12:13]
	s_cbranch_execz .LBB386_1437
; %bb.1428:                             ;   in Loop: Header=BB386_1384 Depth=1
	v_cmp_lt_u32_e64 s[12:13], v21, v70
	s_mov_b64 s[16:17], 0
	s_and_saveexec_b64 s[42:43], s[12:13]
	s_cbranch_execz .LBB386_1436
; %bb.1429:                             ;   in Loop: Header=BB386_1384 Depth=1
	s_mov_b64 s[12:13], -1
	s_and_saveexec_b64 s[46:47], s[8:9]
	s_cbranch_execz .LBB386_1435
; %bb.1430:                             ;   in Loop: Header=BB386_1384 Depth=1
	v_mad_u64_u32 v[14:15], s[12:13], v64, v87, v[8:9]
	v_mul_lo_u32 v16, v64, v86
	v_mul_lo_u32 v17, v65, v87
	v_add3_u32 v15, v17, v15, v16
	v_mad_u64_u32 v[16:17], s[12:13], v64, v85, v[8:9]
	v_mul_lo_u32 v18, v64, v84
	v_mul_lo_u32 v19, v65, v85
	v_add3_u32 v17, v19, v17, v18
	s_mov_b64 s[48:49], 0
	v_mov_b64_e32 v[18:19], v[6:7]
                                        ; implicit-def: $sgpr50_sgpr51
                                        ; implicit-def: $sgpr52_sgpr53
                                        ; implicit-def: $sgpr16_sgpr17
                                        ; implicit-def: $sgpr54_sgpr55
                                        ; implicit-def: $sgpr56_sgpr57
	s_branch .LBB386_1432
.LBB386_1431:                           ;   in Loop: Header=BB386_1432 Depth=2
	s_or_b64 exec, exec, s[58:59]
	s_and_b64 s[12:13], exec, s[52:53]
	s_or_b64 s[48:49], s[12:13], s[48:49]
	s_andn2_b64 s[12:13], s[56:57], exec
	s_and_b64 s[18:19], s[54:55], exec
	s_or_b64 s[56:57], s[12:13], s[18:19]
	s_andn2_b64 s[12:13], s[50:51], exec
	s_and_b64 s[18:19], s[16:17], exec
	s_or_b64 s[50:51], s[12:13], s[18:19]
	s_andn2_b64 exec, exec, s[48:49]
	s_cbranch_execz .LBB386_1434
.LBB386_1432:                           ;   Parent Loop BB386_1384 Depth=1
                                        ; =>  This Inner Loop Header: Depth=2
	flat_load_dword v22, v[16:17]
	flat_load_dword v23, v[14:15]
	s_andn2_b64 s[58:59], s[16:17], exec
	s_andn2_b64 s[54:55], s[54:55], exec
	s_or_b64 s[52:53], s[52:53], exec
	s_waitcnt vmcnt(0) lgkmcnt(0)
	v_cmp_le_i32_e64 s[16:17], v22, v23
	v_cmp_lt_i32_e64 s[12:13], v22, v23
	s_and_b64 s[16:17], s[16:17], s[56:57]
	s_or_b64 s[60:61], s[12:13], s[16:17]
	s_and_b64 s[12:13], s[60:61], exec
	v_cmp_eq_u32_e64 s[18:19], v22, v23
	s_or_b64 s[16:17], s[58:59], s[12:13]
	s_and_saveexec_b64 s[58:59], s[18:19]
	s_cbranch_execz .LBB386_1431
; %bb.1433:                             ;   in Loop: Header=BB386_1432 Depth=2
	v_lshl_add_u64 v[18:19], v[18:19], 0, -1
	v_cmp_eq_u64_e64 s[12:13], 0, v[18:19]
	s_andn2_b64 s[18:19], s[54:55], exec
	s_and_b64 s[54:55], s[60:61], exec
	s_or_b64 s[54:55], s[18:19], s[54:55]
	s_andn2_b64 s[18:19], s[52:53], exec
	s_and_b64 s[12:13], s[12:13], exec
	v_lshl_add_u64 v[14:15], v[14:15], 0, 4
	v_lshl_add_u64 v[16:17], v[16:17], 0, 4
	s_andn2_b64 s[16:17], s[16:17], exec
	s_or_b64 s[52:53], s[18:19], s[12:13]
                                        ; implicit-def: $sgpr56_sgpr57
	s_branch .LBB386_1431
.LBB386_1434:                           ;   in Loop: Header=BB386_1384 Depth=1
	s_or_b64 exec, exec, s[48:49]
	s_xor_b64 s[12:13], s[50:51], -1
	s_orn2_b64 s[12:13], s[12:13], exec
.LBB386_1435:                           ;   in Loop: Header=BB386_1384 Depth=1
	s_or_b64 exec, exec, s[46:47]
	s_and_b64 s[16:17], s[12:13], exec
.LBB386_1436:                           ;   in Loop: Header=BB386_1384 Depth=1
	s_or_b64 exec, exec, s[42:43]
	s_orn2_b64 s[42:43], s[16:17], exec
.LBB386_1437:                           ;   in Loop: Header=BB386_1384 Depth=1
	s_or_b64 exec, exec, s[44:45]
	v_cndmask_b32_e64 v14, v20, v21, s[42:43]
	v_cndmask_b32_e64 v15, v1, v70, s[42:43]
	v_add_u32_e32 v16, 1, v14
	v_add_u32_e32 v14, -1, v15
	v_min_u32_e32 v66, v16, v14
	v_lshl_add_u64 v[14:15], v[66:67], 3, v[10:11]
	flat_load_dwordx2 v[14:15], v[14:15]
	v_cndmask_b32_e64 v20, v16, v20, s[42:43]
	v_cndmask_b32_e64 v21, v21, v16, s[42:43]
	v_cmp_lt_u32_e64 s[12:13], v20, v1
	s_waitcnt vmcnt(0) lgkmcnt(0)
	v_cndmask_b32_e64 v96, v15, v84, s[42:43]
	v_cndmask_b32_e64 v97, v14, v85, s[42:43]
	;; [unrolled: 1-line block ×4, first 2 shown]
	s_and_saveexec_b64 s[44:45], s[12:13]
	s_cbranch_execz .LBB386_1447
; %bb.1438:                             ;   in Loop: Header=BB386_1384 Depth=1
	v_cmp_lt_u32_e64 s[12:13], v21, v70
	s_mov_b64 s[16:17], 0
	s_and_saveexec_b64 s[36:37], s[12:13]
	s_cbranch_execz .LBB386_1446
; %bb.1439:                             ;   in Loop: Header=BB386_1384 Depth=1
	s_mov_b64 s[12:13], -1
	s_and_saveexec_b64 s[46:47], s[8:9]
	s_cbranch_execz .LBB386_1445
; %bb.1440:                             ;   in Loop: Header=BB386_1384 Depth=1
	v_mad_u64_u32 v[14:15], s[12:13], v64, v99, v[8:9]
	v_mul_lo_u32 v16, v64, v98
	v_mul_lo_u32 v17, v65, v99
	v_add3_u32 v15, v17, v15, v16
	v_mad_u64_u32 v[16:17], s[12:13], v64, v97, v[8:9]
	v_mul_lo_u32 v18, v64, v96
	v_mul_lo_u32 v19, v65, v97
	v_add3_u32 v17, v19, v17, v18
	s_mov_b64 s[48:49], 0
	v_mov_b64_e32 v[18:19], v[6:7]
                                        ; implicit-def: $sgpr50_sgpr51
                                        ; implicit-def: $sgpr52_sgpr53
                                        ; implicit-def: $sgpr16_sgpr17
                                        ; implicit-def: $sgpr54_sgpr55
                                        ; implicit-def: $sgpr56_sgpr57
	s_branch .LBB386_1442
.LBB386_1441:                           ;   in Loop: Header=BB386_1442 Depth=2
	s_or_b64 exec, exec, s[58:59]
	s_and_b64 s[12:13], exec, s[52:53]
	s_or_b64 s[48:49], s[12:13], s[48:49]
	s_andn2_b64 s[12:13], s[56:57], exec
	s_and_b64 s[18:19], s[54:55], exec
	s_or_b64 s[56:57], s[12:13], s[18:19]
	s_andn2_b64 s[12:13], s[50:51], exec
	s_and_b64 s[18:19], s[16:17], exec
	s_or_b64 s[50:51], s[12:13], s[18:19]
	s_andn2_b64 exec, exec, s[48:49]
	s_cbranch_execz .LBB386_1444
.LBB386_1442:                           ;   Parent Loop BB386_1384 Depth=1
                                        ; =>  This Inner Loop Header: Depth=2
	flat_load_dword v22, v[16:17]
	flat_load_dword v23, v[14:15]
	s_andn2_b64 s[58:59], s[16:17], exec
	s_andn2_b64 s[54:55], s[54:55], exec
	s_or_b64 s[52:53], s[52:53], exec
	s_waitcnt vmcnt(0) lgkmcnt(0)
	v_cmp_le_i32_e64 s[16:17], v22, v23
	v_cmp_lt_i32_e64 s[12:13], v22, v23
	s_and_b64 s[16:17], s[16:17], s[56:57]
	s_or_b64 s[60:61], s[12:13], s[16:17]
	s_and_b64 s[12:13], s[60:61], exec
	v_cmp_eq_u32_e64 s[18:19], v22, v23
	s_or_b64 s[16:17], s[58:59], s[12:13]
	s_and_saveexec_b64 s[58:59], s[18:19]
	s_cbranch_execz .LBB386_1441
; %bb.1443:                             ;   in Loop: Header=BB386_1442 Depth=2
	v_lshl_add_u64 v[18:19], v[18:19], 0, -1
	v_cmp_eq_u64_e64 s[12:13], 0, v[18:19]
	s_andn2_b64 s[18:19], s[54:55], exec
	s_and_b64 s[54:55], s[60:61], exec
	s_or_b64 s[54:55], s[18:19], s[54:55]
	s_andn2_b64 s[18:19], s[52:53], exec
	s_and_b64 s[12:13], s[12:13], exec
	v_lshl_add_u64 v[14:15], v[14:15], 0, 4
	v_lshl_add_u64 v[16:17], v[16:17], 0, 4
	s_andn2_b64 s[16:17], s[16:17], exec
	s_or_b64 s[52:53], s[18:19], s[12:13]
                                        ; implicit-def: $sgpr56_sgpr57
	s_branch .LBB386_1441
.LBB386_1444:                           ;   in Loop: Header=BB386_1384 Depth=1
	s_or_b64 exec, exec, s[48:49]
	s_xor_b64 s[12:13], s[50:51], -1
	s_orn2_b64 s[12:13], s[12:13], exec
.LBB386_1445:                           ;   in Loop: Header=BB386_1384 Depth=1
	s_or_b64 exec, exec, s[46:47]
	s_and_b64 s[16:17], s[12:13], exec
.LBB386_1446:                           ;   in Loop: Header=BB386_1384 Depth=1
	s_or_b64 exec, exec, s[36:37]
	s_orn2_b64 s[36:37], s[16:17], exec
.LBB386_1447:                           ;   in Loop: Header=BB386_1384 Depth=1
	s_or_b64 exec, exec, s[44:45]
	v_cndmask_b32_e64 v14, v20, v21, s[36:37]
	v_cndmask_b32_e64 v15, v1, v70, s[36:37]
	v_add_u32_e32 v16, 1, v14
	v_add_u32_e32 v14, -1, v15
	v_min_u32_e32 v66, v16, v14
	v_lshl_add_u64 v[14:15], v[66:67], 3, v[10:11]
	flat_load_dwordx2 v[14:15], v[14:15]
	v_cndmask_b32_e64 v20, v16, v20, s[36:37]
	s_mov_b64 s[44:45], -1
	v_cndmask_b32_e64 v21, v21, v16, s[36:37]
	v_cmp_lt_u32_e64 s[12:13], v20, v1
	s_mov_b64 s[46:47], -1
	s_waitcnt vmcnt(0) lgkmcnt(0)
	v_cndmask_b32_e64 v100, v15, v96, s[36:37]
	v_cndmask_b32_e64 v101, v14, v97, s[36:37]
	;; [unrolled: 1-line block ×4, first 2 shown]
	s_and_saveexec_b64 s[48:49], s[12:13]
	s_cbranch_execz .LBB386_1457
; %bb.1448:                             ;   in Loop: Header=BB386_1384 Depth=1
	v_cmp_lt_u32_e64 s[12:13], v21, v70
	s_mov_b64 s[16:17], 0
	s_and_saveexec_b64 s[46:47], s[12:13]
	s_cbranch_execz .LBB386_1456
; %bb.1449:                             ;   in Loop: Header=BB386_1384 Depth=1
	s_mov_b64 s[12:13], -1
	s_and_saveexec_b64 s[50:51], s[8:9]
	s_cbranch_execz .LBB386_1455
; %bb.1450:                             ;   in Loop: Header=BB386_1384 Depth=1
	v_mad_u64_u32 v[14:15], s[12:13], v64, v103, v[8:9]
	v_mul_lo_u32 v16, v64, v102
	v_mul_lo_u32 v17, v65, v103
	v_add3_u32 v15, v17, v15, v16
	v_mad_u64_u32 v[16:17], s[12:13], v64, v101, v[8:9]
	v_mul_lo_u32 v18, v64, v100
	v_mul_lo_u32 v19, v65, v101
	v_add3_u32 v17, v19, v17, v18
	s_mov_b64 s[52:53], 0
	v_mov_b64_e32 v[18:19], v[6:7]
                                        ; implicit-def: $sgpr54_sgpr55
                                        ; implicit-def: $sgpr56_sgpr57
                                        ; implicit-def: $sgpr16_sgpr17
                                        ; implicit-def: $sgpr58_sgpr59
                                        ; implicit-def: $sgpr60_sgpr61
	s_branch .LBB386_1452
.LBB386_1451:                           ;   in Loop: Header=BB386_1452 Depth=2
	s_or_b64 exec, exec, s[62:63]
	s_and_b64 s[12:13], exec, s[56:57]
	s_or_b64 s[52:53], s[12:13], s[52:53]
	s_andn2_b64 s[12:13], s[60:61], exec
	s_and_b64 s[18:19], s[58:59], exec
	s_or_b64 s[60:61], s[12:13], s[18:19]
	s_andn2_b64 s[12:13], s[54:55], exec
	s_and_b64 s[18:19], s[16:17], exec
	s_or_b64 s[54:55], s[12:13], s[18:19]
	s_andn2_b64 exec, exec, s[52:53]
	s_cbranch_execz .LBB386_1454
.LBB386_1452:                           ;   Parent Loop BB386_1384 Depth=1
                                        ; =>  This Inner Loop Header: Depth=2
	flat_load_dword v22, v[16:17]
	flat_load_dword v23, v[14:15]
	s_andn2_b64 s[62:63], s[16:17], exec
	s_andn2_b64 s[58:59], s[58:59], exec
	s_or_b64 s[56:57], s[56:57], exec
	s_waitcnt vmcnt(0) lgkmcnt(0)
	v_cmp_le_i32_e64 s[16:17], v22, v23
	v_cmp_lt_i32_e64 s[12:13], v22, v23
	s_and_b64 s[16:17], s[16:17], s[60:61]
	s_or_b64 s[64:65], s[12:13], s[16:17]
	s_and_b64 s[12:13], s[64:65], exec
	v_cmp_eq_u32_e64 s[18:19], v22, v23
	s_or_b64 s[16:17], s[62:63], s[12:13]
	s_and_saveexec_b64 s[62:63], s[18:19]
	s_cbranch_execz .LBB386_1451
; %bb.1453:                             ;   in Loop: Header=BB386_1452 Depth=2
	v_lshl_add_u64 v[18:19], v[18:19], 0, -1
	v_cmp_eq_u64_e64 s[12:13], 0, v[18:19]
	s_andn2_b64 s[18:19], s[58:59], exec
	s_and_b64 s[58:59], s[64:65], exec
	s_or_b64 s[58:59], s[18:19], s[58:59]
	s_andn2_b64 s[18:19], s[56:57], exec
	s_and_b64 s[12:13], s[12:13], exec
	v_lshl_add_u64 v[14:15], v[14:15], 0, 4
	v_lshl_add_u64 v[16:17], v[16:17], 0, 4
	s_andn2_b64 s[16:17], s[16:17], exec
	s_or_b64 s[56:57], s[18:19], s[12:13]
                                        ; implicit-def: $sgpr60_sgpr61
	s_branch .LBB386_1451
.LBB386_1454:                           ;   in Loop: Header=BB386_1384 Depth=1
	s_or_b64 exec, exec, s[52:53]
	s_xor_b64 s[12:13], s[54:55], -1
	s_orn2_b64 s[12:13], s[12:13], exec
.LBB386_1455:                           ;   in Loop: Header=BB386_1384 Depth=1
	s_or_b64 exec, exec, s[50:51]
	s_and_b64 s[16:17], s[12:13], exec
.LBB386_1456:                           ;   in Loop: Header=BB386_1384 Depth=1
	s_or_b64 exec, exec, s[46:47]
	s_orn2_b64 s[46:47], s[16:17], exec
.LBB386_1457:                           ;   in Loop: Header=BB386_1384 Depth=1
	s_or_b64 exec, exec, s[48:49]
	v_cndmask_b32_e64 v14, v20, v21, s[46:47]
	v_cndmask_b32_e64 v15, v1, v70, s[46:47]
	v_add_u32_e32 v16, 1, v14
	v_add_u32_e32 v14, -1, v15
	v_min_u32_e32 v66, v16, v14
	v_lshl_add_u64 v[14:15], v[66:67], 3, v[10:11]
	flat_load_dwordx2 v[14:15], v[14:15]
	v_cndmask_b32_e64 v22, v16, v20, s[46:47]
	v_cndmask_b32_e64 v20, v21, v16, s[46:47]
	v_cmp_lt_u32_e64 s[12:13], v22, v1
	s_waitcnt vmcnt(0) lgkmcnt(0)
	v_cndmask_b32_e64 v112, v15, v100, s[46:47]
	v_cndmask_b32_e64 v113, v14, v101, s[46:47]
	;; [unrolled: 1-line block ×4, first 2 shown]
	s_and_saveexec_b64 s[48:49], s[12:13]
	s_cbranch_execz .LBB386_1467
; %bb.1458:                             ;   in Loop: Header=BB386_1384 Depth=1
	v_cmp_lt_u32_e64 s[12:13], v20, v70
	s_mov_b64 s[16:17], 0
	s_and_saveexec_b64 s[44:45], s[12:13]
	s_cbranch_execz .LBB386_1466
; %bb.1459:                             ;   in Loop: Header=BB386_1384 Depth=1
	s_mov_b64 s[12:13], -1
	s_and_saveexec_b64 s[50:51], s[8:9]
	s_cbranch_execz .LBB386_1465
; %bb.1460:                             ;   in Loop: Header=BB386_1384 Depth=1
	v_mad_u64_u32 v[14:15], s[12:13], v64, v115, v[8:9]
	v_mul_lo_u32 v16, v64, v114
	v_mul_lo_u32 v17, v65, v115
	v_add3_u32 v15, v17, v15, v16
	v_mad_u64_u32 v[16:17], s[12:13], v64, v113, v[8:9]
	v_mul_lo_u32 v18, v64, v112
	v_mul_lo_u32 v19, v65, v113
	v_add3_u32 v17, v19, v17, v18
	s_mov_b64 s[52:53], 0
	v_mov_b64_e32 v[18:19], v[6:7]
                                        ; implicit-def: $sgpr54_sgpr55
                                        ; implicit-def: $sgpr56_sgpr57
                                        ; implicit-def: $sgpr16_sgpr17
                                        ; implicit-def: $sgpr58_sgpr59
                                        ; implicit-def: $sgpr60_sgpr61
	s_branch .LBB386_1462
.LBB386_1461:                           ;   in Loop: Header=BB386_1462 Depth=2
	s_or_b64 exec, exec, s[62:63]
	s_and_b64 s[12:13], exec, s[56:57]
	s_or_b64 s[52:53], s[12:13], s[52:53]
	s_andn2_b64 s[12:13], s[60:61], exec
	s_and_b64 s[18:19], s[58:59], exec
	s_or_b64 s[60:61], s[12:13], s[18:19]
	s_andn2_b64 s[12:13], s[54:55], exec
	s_and_b64 s[18:19], s[16:17], exec
	s_or_b64 s[54:55], s[12:13], s[18:19]
	s_andn2_b64 exec, exec, s[52:53]
	s_cbranch_execz .LBB386_1464
.LBB386_1462:                           ;   Parent Loop BB386_1384 Depth=1
                                        ; =>  This Inner Loop Header: Depth=2
	flat_load_dword v21, v[16:17]
	flat_load_dword v23, v[14:15]
	s_andn2_b64 s[62:63], s[16:17], exec
	s_andn2_b64 s[58:59], s[58:59], exec
	s_or_b64 s[56:57], s[56:57], exec
	s_waitcnt vmcnt(0) lgkmcnt(0)
	v_cmp_le_i32_e64 s[16:17], v21, v23
	v_cmp_lt_i32_e64 s[12:13], v21, v23
	s_and_b64 s[16:17], s[16:17], s[60:61]
	s_or_b64 s[64:65], s[12:13], s[16:17]
	s_and_b64 s[12:13], s[64:65], exec
	v_cmp_eq_u32_e64 s[18:19], v21, v23
	s_or_b64 s[16:17], s[62:63], s[12:13]
	s_and_saveexec_b64 s[62:63], s[18:19]
	s_cbranch_execz .LBB386_1461
; %bb.1463:                             ;   in Loop: Header=BB386_1462 Depth=2
	v_lshl_add_u64 v[18:19], v[18:19], 0, -1
	v_cmp_eq_u64_e64 s[12:13], 0, v[18:19]
	s_andn2_b64 s[18:19], s[58:59], exec
	s_and_b64 s[58:59], s[64:65], exec
	s_or_b64 s[58:59], s[18:19], s[58:59]
	s_andn2_b64 s[18:19], s[56:57], exec
	s_and_b64 s[12:13], s[12:13], exec
	v_lshl_add_u64 v[14:15], v[14:15], 0, 4
	v_lshl_add_u64 v[16:17], v[16:17], 0, 4
	s_andn2_b64 s[16:17], s[16:17], exec
	s_or_b64 s[56:57], s[18:19], s[12:13]
                                        ; implicit-def: $sgpr60_sgpr61
	s_branch .LBB386_1461
.LBB386_1464:                           ;   in Loop: Header=BB386_1384 Depth=1
	s_or_b64 exec, exec, s[52:53]
	s_xor_b64 s[12:13], s[54:55], -1
	s_orn2_b64 s[12:13], s[12:13], exec
.LBB386_1465:                           ;   in Loop: Header=BB386_1384 Depth=1
	s_or_b64 exec, exec, s[50:51]
	s_and_b64 s[16:17], s[12:13], exec
.LBB386_1466:                           ;   in Loop: Header=BB386_1384 Depth=1
	s_or_b64 exec, exec, s[44:45]
	s_orn2_b64 s[44:45], s[16:17], exec
.LBB386_1467:                           ;   in Loop: Header=BB386_1384 Depth=1
	s_or_b64 exec, exec, s[48:49]
	v_cndmask_b32_e64 v14, v22, v20, s[44:45]
	v_cndmask_b32_e64 v15, v1, v70, s[44:45]
	v_add_u32_e32 v18, 1, v14
	v_add_u32_e32 v14, -1, v15
	v_min_u32_e32 v66, v18, v14
	v_lshl_add_u64 v[14:15], v[66:67], 3, v[10:11]
	flat_load_dwordx2 v[16:17], v[14:15]
	v_cndmask_b32_e64 v19, v18, v22, s[44:45]
	v_cmp_lt_u32_e64 s[12:13], v19, v1
	s_waitcnt vmcnt(0) lgkmcnt(0)
	v_cndmask_b32_e64 v15, v114, v17, s[44:45]
	v_cndmask_b32_e64 v14, v115, v16, s[44:45]
	s_and_saveexec_b64 s[48:49], s[12:13]
	s_cbranch_execz .LBB386_1382
; %bb.1468:                             ;   in Loop: Header=BB386_1384 Depth=1
	v_cndmask_b32_e64 v1, v20, v18, s[44:45]
	v_cndmask_b32_e64 v17, v17, v112, s[44:45]
	;; [unrolled: 1-line block ×3, first 2 shown]
	v_cmp_lt_u32_e64 s[12:13], v1, v70
	s_and_saveexec_b64 s[50:51], s[12:13]
	s_cbranch_execz .LBB386_1381
; %bb.1469:                             ;   in Loop: Header=BB386_1384 Depth=1
	s_and_saveexec_b64 s[52:53], s[8:9]
	s_cbranch_execz .LBB386_1380
; %bb.1470:                             ;   in Loop: Header=BB386_1384 Depth=1
	v_mad_u64_u32 v[18:19], s[12:13], v64, v14, v[8:9]
	v_mul_lo_u32 v1, v64, v15
	v_mul_lo_u32 v20, v65, v14
	v_add3_u32 v19, v20, v19, v1
	v_mad_u64_u32 v[20:21], s[12:13], v64, v16, v[8:9]
	v_mul_lo_u32 v1, v64, v17
	v_mul_lo_u32 v22, v65, v16
	v_add3_u32 v21, v22, v21, v1
	s_mov_b64 s[54:55], 0
	v_mov_b64_e32 v[22:23], v[6:7]
                                        ; implicit-def: $sgpr56_sgpr57
                                        ; implicit-def: $sgpr58_sgpr59
                                        ; implicit-def: $sgpr16_sgpr17
                                        ; implicit-def: $sgpr60_sgpr61
                                        ; implicit-def: $sgpr62_sgpr63
	s_branch .LBB386_1472
.LBB386_1471:                           ;   in Loop: Header=BB386_1472 Depth=2
	s_or_b64 exec, exec, s[64:65]
	s_and_b64 s[12:13], exec, s[58:59]
	s_or_b64 s[54:55], s[12:13], s[54:55]
	s_andn2_b64 s[12:13], s[62:63], exec
	s_and_b64 s[18:19], s[60:61], exec
	s_or_b64 s[62:63], s[12:13], s[18:19]
	s_andn2_b64 s[12:13], s[56:57], exec
	s_and_b64 s[18:19], s[16:17], exec
	s_or_b64 s[56:57], s[12:13], s[18:19]
	s_andn2_b64 exec, exec, s[54:55]
	s_cbranch_execz .LBB386_1379
.LBB386_1472:                           ;   Parent Loop BB386_1384 Depth=1
                                        ; =>  This Inner Loop Header: Depth=2
	flat_load_dword v1, v[20:21]
	flat_load_dword v66, v[18:19]
	s_andn2_b64 s[64:65], s[16:17], exec
	s_andn2_b64 s[60:61], s[60:61], exec
	s_or_b64 s[58:59], s[58:59], exec
	s_waitcnt vmcnt(0) lgkmcnt(0)
	v_cmp_le_i32_e64 s[16:17], v1, v66
	v_cmp_lt_i32_e64 s[12:13], v1, v66
	s_and_b64 s[16:17], s[16:17], s[62:63]
	s_or_b64 s[66:67], s[12:13], s[16:17]
	s_and_b64 s[12:13], s[66:67], exec
	v_cmp_eq_u32_e64 s[18:19], v1, v66
	s_or_b64 s[16:17], s[64:65], s[12:13]
	s_and_saveexec_b64 s[64:65], s[18:19]
	s_cbranch_execz .LBB386_1471
; %bb.1473:                             ;   in Loop: Header=BB386_1472 Depth=2
	v_lshl_add_u64 v[22:23], v[22:23], 0, -1
	v_cmp_eq_u64_e64 s[12:13], 0, v[22:23]
	s_andn2_b64 s[18:19], s[60:61], exec
	s_and_b64 s[60:61], s[66:67], exec
	s_or_b64 s[60:61], s[18:19], s[60:61]
	s_andn2_b64 s[18:19], s[58:59], exec
	s_and_b64 s[12:13], s[12:13], exec
	v_lshl_add_u64 v[18:19], v[18:19], 0, 4
	v_lshl_add_u64 v[20:21], v[20:21], 0, 4
	s_andn2_b64 s[16:17], s[16:17], exec
	s_or_b64 s[58:59], s[18:19], s[12:13]
                                        ; implicit-def: $sgpr62_sgpr63
	s_branch .LBB386_1471
.LBB386_1474:
	s_or_b64 exec, exec, s[22:23]
.LBB386_1475:
	s_or_b64 exec, exec, s[20:21]
	s_barrier
	flat_store_dwordx4 v[54:55], v[24:27]
	flat_store_dwordx4 v[54:55], v[20:23] offset:16
	flat_store_dwordx4 v[54:55], v[16:19] offset:32
	;; [unrolled: 1-line block ×3, first 2 shown]
	s_waitcnt lgkmcnt(0)
	s_barrier
	flat_load_dwordx2 v[18:19], v[32:33] offset:2048
	flat_load_dwordx2 v[16:17], v[34:35]
	flat_load_dwordx2 v[14:15], v[36:37]
	;; [unrolled: 1-line block ×6, first 2 shown]
	v_mov_b32_e32 v31, 0
	v_lshl_add_u64 v[8:9], v[4:5], 0, v[30:31]
	s_and_saveexec_b64 s[8:9], vcc
	s_cbranch_execnz .LBB386_1484
; %bb.1476:
	s_or_b64 exec, exec, s[8:9]
	s_and_saveexec_b64 s[8:9], s[0:1]
	s_cbranch_execnz .LBB386_1485
.LBB386_1477:
	s_or_b64 exec, exec, s[8:9]
	s_and_saveexec_b64 s[0:1], s[2:3]
	s_cbranch_execnz .LBB386_1486
.LBB386_1478:
	s_or_b64 exec, exec, s[0:1]
	s_and_saveexec_b64 s[0:1], s[4:5]
	s_cbranch_execnz .LBB386_1487
.LBB386_1479:
	s_or_b64 exec, exec, s[0:1]
	s_and_saveexec_b64 s[0:1], s[6:7]
	s_cbranch_execnz .LBB386_1488
.LBB386_1480:
	s_or_b64 exec, exec, s[0:1]
	s_and_saveexec_b64 s[0:1], s[30:31]
	s_cbranch_execnz .LBB386_1489
.LBB386_1481:
	s_or_b64 exec, exec, s[0:1]
	s_and_saveexec_b64 s[0:1], s[10:11]
	s_cbranch_execz .LBB386_1483
.LBB386_1482:
	v_add_co_u32_e32 v2, vcc, 0x3000, v8
	s_nop 1
	v_addc_co_u32_e32 v3, vcc, 0, v9, vcc
	s_waitcnt vmcnt(0) lgkmcnt(0)
	flat_store_dwordx2 v[2:3], v[0:1]
.LBB386_1483:
	s_or_b64 exec, exec, s[0:1]
	s_andn2_b64 s[0:1], s[38:39], exec
	s_and_b64 s[2:3], s[14:15], exec
	s_or_b64 s[38:39], s[0:1], s[2:3]
	s_or_b64 exec, exec, s[40:41]
	s_and_saveexec_b64 s[0:1], s[38:39]
	s_cbranch_execnz .LBB386_3
	s_branch .LBB386_4
.LBB386_1484:
	flat_load_dwordx2 v[2:3], v[2:3]
	s_waitcnt vmcnt(0) lgkmcnt(0)
	flat_store_dwordx2 v[8:9], v[2:3]
	s_or_b64 exec, exec, s[8:9]
	s_and_saveexec_b64 s[8:9], s[0:1]
	s_cbranch_execz .LBB386_1477
.LBB386_1485:
	s_waitcnt vmcnt(0) lgkmcnt(0)
	flat_store_dwordx2 v[8:9], v[18:19] offset:2048
	s_or_b64 exec, exec, s[8:9]
	s_and_saveexec_b64 s[0:1], s[2:3]
	s_cbranch_execz .LBB386_1478
.LBB386_1486:
	v_add_co_u32_e32 v2, vcc, 0x1000, v8
	s_nop 1
	v_addc_co_u32_e32 v3, vcc, 0, v9, vcc
	s_waitcnt vmcnt(0) lgkmcnt(0)
	flat_store_dwordx2 v[2:3], v[16:17]
	s_or_b64 exec, exec, s[0:1]
	s_and_saveexec_b64 s[0:1], s[4:5]
	s_cbranch_execz .LBB386_1479
.LBB386_1487:
	v_add_co_u32_e32 v2, vcc, 0x1000, v8
	s_nop 1
	v_addc_co_u32_e32 v3, vcc, 0, v9, vcc
	s_waitcnt vmcnt(0) lgkmcnt(0)
	flat_store_dwordx2 v[2:3], v[14:15] offset:2048
	s_or_b64 exec, exec, s[0:1]
	s_and_saveexec_b64 s[0:1], s[6:7]
	s_cbranch_execz .LBB386_1480
.LBB386_1488:
	v_add_co_u32_e32 v2, vcc, 0x2000, v8
	s_nop 1
	v_addc_co_u32_e32 v3, vcc, 0, v9, vcc
	s_waitcnt vmcnt(0) lgkmcnt(0)
	flat_store_dwordx2 v[2:3], v[10:11]
	s_or_b64 exec, exec, s[0:1]
	s_and_saveexec_b64 s[0:1], s[30:31]
	s_cbranch_execz .LBB386_1481
.LBB386_1489:
	v_add_co_u32_e32 v2, vcc, 0x2000, v8
	s_nop 1
	v_addc_co_u32_e32 v3, vcc, 0, v9, vcc
	s_waitcnt vmcnt(0) lgkmcnt(0)
	flat_store_dwordx2 v[2:3], v[6:7] offset:2048
	s_or_b64 exec, exec, s[0:1]
	s_and_saveexec_b64 s[0:1], s[10:11]
	s_cbranch_execnz .LBB386_1482
	s_branch .LBB386_1483
.Lfunc_end386:
	.size	_ZN7rocprim17ROCPRIM_400000_NS6detail15block_sort_implIlNS0_10empty_typeELj256ELj8ELNS0_4arch9wavefront6targetE1EvE4sortIPlS9_PS3_SA_ZN2at6native12_GLOBAL__N_124unique_dim_cuda_templateIiEESt5tupleIJNSB_6TensorESG_SG_EERKSG_lbbbEUlllE_EEvjbT_T0_T1_T2_T3_RNS7_12storage_typeE, .Lfunc_end386-_ZN7rocprim17ROCPRIM_400000_NS6detail15block_sort_implIlNS0_10empty_typeELj256ELj8ELNS0_4arch9wavefront6targetE1EvE4sortIPlS9_PS3_SA_ZN2at6native12_GLOBAL__N_124unique_dim_cuda_templateIiEESt5tupleIJNSB_6TensorESG_SG_EERKSG_lbbbEUlllE_EEvjbT_T0_T1_T2_T3_RNS7_12storage_typeE
                                        ; -- End function
	.section	.AMDGPU.csdata,"",@progbits
; Function info:
; codeLenInByte = 67096
; NumSgprs: 75
; NumVgprs: 129
; NumAgprs: 0
; TotalNumVgprs: 129
; ScratchSize: 8
; MemoryBound: 1
	.section	.text._ZN7rocprim17ROCPRIM_400000_NS6detail17trampoline_kernelINS0_14default_configENS1_37merge_sort_block_sort_config_selectorIlNS0_10empty_typeEEEZNS1_21merge_sort_block_sortIS3_PlS8_PS5_S9_ZN2at6native12_GLOBAL__N_124unique_dim_cuda_templateIiEESt5tupleIJNSA_6TensorESF_SF_EERKSF_lbbbEUlllE_EE10hipError_tT0_T1_T2_T3_mRjT4_P12ihipStream_tbNS1_7vsmem_tEEUlT_E_NS1_11comp_targetILNS1_3genE5ELNS1_11target_archE942ELNS1_3gpuE9ELNS1_3repE0EEENS1_30default_config_static_selectorELNS0_4arch9wavefront6targetE1EEEvSM_,"axG",@progbits,_ZN7rocprim17ROCPRIM_400000_NS6detail17trampoline_kernelINS0_14default_configENS1_37merge_sort_block_sort_config_selectorIlNS0_10empty_typeEEEZNS1_21merge_sort_block_sortIS3_PlS8_PS5_S9_ZN2at6native12_GLOBAL__N_124unique_dim_cuda_templateIiEESt5tupleIJNSA_6TensorESF_SF_EERKSF_lbbbEUlllE_EE10hipError_tT0_T1_T2_T3_mRjT4_P12ihipStream_tbNS1_7vsmem_tEEUlT_E_NS1_11comp_targetILNS1_3genE5ELNS1_11target_archE942ELNS1_3gpuE9ELNS1_3repE0EEENS1_30default_config_static_selectorELNS0_4arch9wavefront6targetE1EEEvSM_,comdat
	.globl	_ZN7rocprim17ROCPRIM_400000_NS6detail17trampoline_kernelINS0_14default_configENS1_37merge_sort_block_sort_config_selectorIlNS0_10empty_typeEEEZNS1_21merge_sort_block_sortIS3_PlS8_PS5_S9_ZN2at6native12_GLOBAL__N_124unique_dim_cuda_templateIiEESt5tupleIJNSA_6TensorESF_SF_EERKSF_lbbbEUlllE_EE10hipError_tT0_T1_T2_T3_mRjT4_P12ihipStream_tbNS1_7vsmem_tEEUlT_E_NS1_11comp_targetILNS1_3genE5ELNS1_11target_archE942ELNS1_3gpuE9ELNS1_3repE0EEENS1_30default_config_static_selectorELNS0_4arch9wavefront6targetE1EEEvSM_ ; -- Begin function _ZN7rocprim17ROCPRIM_400000_NS6detail17trampoline_kernelINS0_14default_configENS1_37merge_sort_block_sort_config_selectorIlNS0_10empty_typeEEEZNS1_21merge_sort_block_sortIS3_PlS8_PS5_S9_ZN2at6native12_GLOBAL__N_124unique_dim_cuda_templateIiEESt5tupleIJNSA_6TensorESF_SF_EERKSF_lbbbEUlllE_EE10hipError_tT0_T1_T2_T3_mRjT4_P12ihipStream_tbNS1_7vsmem_tEEUlT_E_NS1_11comp_targetILNS1_3genE5ELNS1_11target_archE942ELNS1_3gpuE9ELNS1_3repE0EEENS1_30default_config_static_selectorELNS0_4arch9wavefront6targetE1EEEvSM_
	.p2align	8
	.type	_ZN7rocprim17ROCPRIM_400000_NS6detail17trampoline_kernelINS0_14default_configENS1_37merge_sort_block_sort_config_selectorIlNS0_10empty_typeEEEZNS1_21merge_sort_block_sortIS3_PlS8_PS5_S9_ZN2at6native12_GLOBAL__N_124unique_dim_cuda_templateIiEESt5tupleIJNSA_6TensorESF_SF_EERKSF_lbbbEUlllE_EE10hipError_tT0_T1_T2_T3_mRjT4_P12ihipStream_tbNS1_7vsmem_tEEUlT_E_NS1_11comp_targetILNS1_3genE5ELNS1_11target_archE942ELNS1_3gpuE9ELNS1_3repE0EEENS1_30default_config_static_selectorELNS0_4arch9wavefront6targetE1EEEvSM_,@function
_ZN7rocprim17ROCPRIM_400000_NS6detail17trampoline_kernelINS0_14default_configENS1_37merge_sort_block_sort_config_selectorIlNS0_10empty_typeEEEZNS1_21merge_sort_block_sortIS3_PlS8_PS5_S9_ZN2at6native12_GLOBAL__N_124unique_dim_cuda_templateIiEESt5tupleIJNSA_6TensorESF_SF_EERKSF_lbbbEUlllE_EE10hipError_tT0_T1_T2_T3_mRjT4_P12ihipStream_tbNS1_7vsmem_tEEUlT_E_NS1_11comp_targetILNS1_3genE5ELNS1_11target_archE942ELNS1_3gpuE9ELNS1_3repE0EEENS1_30default_config_static_selectorELNS0_4arch9wavefront6targetE1EEEvSM_: ; @_ZN7rocprim17ROCPRIM_400000_NS6detail17trampoline_kernelINS0_14default_configENS1_37merge_sort_block_sort_config_selectorIlNS0_10empty_typeEEEZNS1_21merge_sort_block_sortIS3_PlS8_PS5_S9_ZN2at6native12_GLOBAL__N_124unique_dim_cuda_templateIiEESt5tupleIJNSA_6TensorESF_SF_EERKSF_lbbbEUlllE_EE10hipError_tT0_T1_T2_T3_mRjT4_P12ihipStream_tbNS1_7vsmem_tEEUlT_E_NS1_11comp_targetILNS1_3genE5ELNS1_11target_archE942ELNS1_3gpuE9ELNS1_3repE0EEENS1_30default_config_static_selectorELNS0_4arch9wavefront6targetE1EEEvSM_
; %bb.0:
	s_load_dwordx2 s[6:7], s[0:1], 0x48
	s_load_dword s5, s[0:1], 0x0
	s_mov_b32 s32, 0
	s_waitcnt lgkmcnt(0)
	s_mul_i32 s4, s7, s4
	s_add_i32 s4, s4, s3
	s_mul_i32 s4, s4, s6
	s_add_i32 s4, s4, s2
	s_cmp_ge_u32 s4, s5
	s_cbranch_scc1 .LBB387_2
; %bb.1:
	s_load_dwordx4 s[8:11], s[0:1], 0x18
	s_load_dwordx2 s[6:7], s[0:1], 0x8
	s_load_dwordx4 s[16:19], s[0:1], 0x38
	s_mov_b32 s5, 0
	s_lshl_b64 s[12:13], s[4:5], 14
	s_waitcnt lgkmcnt(0)
	s_add_u32 s10, s10, s12
	s_addc_u32 s11, s11, s13
	s_add_u32 s14, s8, s12
	s_addc_u32 s15, s9, s13
	s_lshr_b64 s[8:9], s[6:7], 11
	s_cmp_eq_u64 s[8:9], s[4:5]
	s_cselect_b64 s[8:9], -1, 0
	s_lshl_b32 s4, s4, 11
	s_sub_i32 s6, s6, s4
	v_cndmask_b32_e64 v1, 0, 1, s[8:9]
	s_add_u32 s8, s0, 0x48
	s_addc_u32 s9, s1, 0
	s_mov_b64 s[0:1], src_shared_base
	s_mov_b32 s12, s2
	s_mov_b32 s13, s3
	v_mov_b32_e32 v31, v0
	v_mov_b32_e32 v0, s6
	v_mov_b32_e32 v2, s14
	v_mov_b32_e32 v3, s15
	v_mov_b32_e32 v4, s10
	v_mov_b32_e32 v5, s11
	v_mov_b32_e32 v6, s16
	v_mov_b32_e32 v7, s17
	v_mov_b32_e32 v8, s18
	v_mov_b32_e32 v9, s19
	v_mov_b32_e32 v10, 0
	v_mov_b32_e32 v11, s1
	s_getpc_b64 s[4:5]
	s_add_u32 s4, s4, _ZN7rocprim17ROCPRIM_400000_NS6detail15block_sort_implIlNS0_10empty_typeELj256ELj8ELNS0_4arch9wavefront6targetE1EvE4sortIPlS9_PS3_SA_ZN2at6native12_GLOBAL__N_124unique_dim_cuda_templateIiEESt5tupleIJNSB_6TensorESG_SG_EERKSG_lbbbEUlllE_EEvjbT_T0_T1_T2_T3_RNS7_12storage_typeE@rel32@lo+4
	s_addc_u32 s5, s5, _ZN7rocprim17ROCPRIM_400000_NS6detail15block_sort_implIlNS0_10empty_typeELj256ELj8ELNS0_4arch9wavefront6targetE1EvE4sortIPlS9_PS3_SA_ZN2at6native12_GLOBAL__N_124unique_dim_cuda_templateIiEESt5tupleIJNSB_6TensorESG_SG_EERKSG_lbbbEUlllE_EEvjbT_T0_T1_T2_T3_RNS7_12storage_typeE@rel32@hi+12
	s_swappc_b64 s[30:31], s[4:5]
.LBB387_2:
	s_endpgm
	.section	.rodata,"a",@progbits
	.p2align	6, 0x0
	.amdhsa_kernel _ZN7rocprim17ROCPRIM_400000_NS6detail17trampoline_kernelINS0_14default_configENS1_37merge_sort_block_sort_config_selectorIlNS0_10empty_typeEEEZNS1_21merge_sort_block_sortIS3_PlS8_PS5_S9_ZN2at6native12_GLOBAL__N_124unique_dim_cuda_templateIiEESt5tupleIJNSA_6TensorESF_SF_EERKSF_lbbbEUlllE_EE10hipError_tT0_T1_T2_T3_mRjT4_P12ihipStream_tbNS1_7vsmem_tEEUlT_E_NS1_11comp_targetILNS1_3genE5ELNS1_11target_archE942ELNS1_3gpuE9ELNS1_3repE0EEENS1_30default_config_static_selectorELNS0_4arch9wavefront6targetE1EEEvSM_
		.amdhsa_group_segment_fixed_size 16896
		.amdhsa_private_segment_fixed_size 8
		.amdhsa_kernarg_size 328
		.amdhsa_user_sgpr_count 2
		.amdhsa_user_sgpr_dispatch_ptr 0
		.amdhsa_user_sgpr_queue_ptr 0
		.amdhsa_user_sgpr_kernarg_segment_ptr 1
		.amdhsa_user_sgpr_dispatch_id 0
		.amdhsa_user_sgpr_kernarg_preload_length 0
		.amdhsa_user_sgpr_kernarg_preload_offset 0
		.amdhsa_user_sgpr_private_segment_size 0
		.amdhsa_uses_dynamic_stack 0
		.amdhsa_enable_private_segment 1
		.amdhsa_system_sgpr_workgroup_id_x 1
		.amdhsa_system_sgpr_workgroup_id_y 1
		.amdhsa_system_sgpr_workgroup_id_z 1
		.amdhsa_system_sgpr_workgroup_info 0
		.amdhsa_system_vgpr_workitem_id 2
		.amdhsa_next_free_vgpr 129
		.amdhsa_next_free_sgpr 69
		.amdhsa_accum_offset 132
		.amdhsa_reserve_vcc 1
		.amdhsa_float_round_mode_32 0
		.amdhsa_float_round_mode_16_64 0
		.amdhsa_float_denorm_mode_32 3
		.amdhsa_float_denorm_mode_16_64 3
		.amdhsa_dx10_clamp 1
		.amdhsa_ieee_mode 1
		.amdhsa_fp16_overflow 0
		.amdhsa_tg_split 0
		.amdhsa_exception_fp_ieee_invalid_op 0
		.amdhsa_exception_fp_denorm_src 0
		.amdhsa_exception_fp_ieee_div_zero 0
		.amdhsa_exception_fp_ieee_overflow 0
		.amdhsa_exception_fp_ieee_underflow 0
		.amdhsa_exception_fp_ieee_inexact 0
		.amdhsa_exception_int_div_zero 0
	.end_amdhsa_kernel
	.section	.text._ZN7rocprim17ROCPRIM_400000_NS6detail17trampoline_kernelINS0_14default_configENS1_37merge_sort_block_sort_config_selectorIlNS0_10empty_typeEEEZNS1_21merge_sort_block_sortIS3_PlS8_PS5_S9_ZN2at6native12_GLOBAL__N_124unique_dim_cuda_templateIiEESt5tupleIJNSA_6TensorESF_SF_EERKSF_lbbbEUlllE_EE10hipError_tT0_T1_T2_T3_mRjT4_P12ihipStream_tbNS1_7vsmem_tEEUlT_E_NS1_11comp_targetILNS1_3genE5ELNS1_11target_archE942ELNS1_3gpuE9ELNS1_3repE0EEENS1_30default_config_static_selectorELNS0_4arch9wavefront6targetE1EEEvSM_,"axG",@progbits,_ZN7rocprim17ROCPRIM_400000_NS6detail17trampoline_kernelINS0_14default_configENS1_37merge_sort_block_sort_config_selectorIlNS0_10empty_typeEEEZNS1_21merge_sort_block_sortIS3_PlS8_PS5_S9_ZN2at6native12_GLOBAL__N_124unique_dim_cuda_templateIiEESt5tupleIJNSA_6TensorESF_SF_EERKSF_lbbbEUlllE_EE10hipError_tT0_T1_T2_T3_mRjT4_P12ihipStream_tbNS1_7vsmem_tEEUlT_E_NS1_11comp_targetILNS1_3genE5ELNS1_11target_archE942ELNS1_3gpuE9ELNS1_3repE0EEENS1_30default_config_static_selectorELNS0_4arch9wavefront6targetE1EEEvSM_,comdat
.Lfunc_end387:
	.size	_ZN7rocprim17ROCPRIM_400000_NS6detail17trampoline_kernelINS0_14default_configENS1_37merge_sort_block_sort_config_selectorIlNS0_10empty_typeEEEZNS1_21merge_sort_block_sortIS3_PlS8_PS5_S9_ZN2at6native12_GLOBAL__N_124unique_dim_cuda_templateIiEESt5tupleIJNSA_6TensorESF_SF_EERKSF_lbbbEUlllE_EE10hipError_tT0_T1_T2_T3_mRjT4_P12ihipStream_tbNS1_7vsmem_tEEUlT_E_NS1_11comp_targetILNS1_3genE5ELNS1_11target_archE942ELNS1_3gpuE9ELNS1_3repE0EEENS1_30default_config_static_selectorELNS0_4arch9wavefront6targetE1EEEvSM_, .Lfunc_end387-_ZN7rocprim17ROCPRIM_400000_NS6detail17trampoline_kernelINS0_14default_configENS1_37merge_sort_block_sort_config_selectorIlNS0_10empty_typeEEEZNS1_21merge_sort_block_sortIS3_PlS8_PS5_S9_ZN2at6native12_GLOBAL__N_124unique_dim_cuda_templateIiEESt5tupleIJNSA_6TensorESF_SF_EERKSF_lbbbEUlllE_EE10hipError_tT0_T1_T2_T3_mRjT4_P12ihipStream_tbNS1_7vsmem_tEEUlT_E_NS1_11comp_targetILNS1_3genE5ELNS1_11target_archE942ELNS1_3gpuE9ELNS1_3repE0EEENS1_30default_config_static_selectorELNS0_4arch9wavefront6targetE1EEEvSM_
                                        ; -- End function
	.section	.AMDGPU.csdata,"",@progbits
; Kernel info:
; codeLenInByte = 228
; NumSgprs: 75
; NumVgprs: 129
; NumAgprs: 0
; TotalNumVgprs: 129
; ScratchSize: 8
; MemoryBound: 0
; FloatMode: 240
; IeeeMode: 1
; LDSByteSize: 16896 bytes/workgroup (compile time only)
; SGPRBlocks: 9
; VGPRBlocks: 16
; NumSGPRsForWavesPerEU: 75
; NumVGPRsForWavesPerEU: 129
; AccumOffset: 132
; Occupancy: 3
; WaveLimiterHint : 1
; COMPUTE_PGM_RSRC2:SCRATCH_EN: 1
; COMPUTE_PGM_RSRC2:USER_SGPR: 2
; COMPUTE_PGM_RSRC2:TRAP_HANDLER: 0
; COMPUTE_PGM_RSRC2:TGID_X_EN: 1
; COMPUTE_PGM_RSRC2:TGID_Y_EN: 1
; COMPUTE_PGM_RSRC2:TGID_Z_EN: 1
; COMPUTE_PGM_RSRC2:TIDIG_COMP_CNT: 2
; COMPUTE_PGM_RSRC3_GFX90A:ACCUM_OFFSET: 32
; COMPUTE_PGM_RSRC3_GFX90A:TG_SPLIT: 0
	.section	.text._ZN7rocprim17ROCPRIM_400000_NS6detail17trampoline_kernelINS0_14default_configENS1_37merge_sort_block_sort_config_selectorIlNS0_10empty_typeEEEZNS1_21merge_sort_block_sortIS3_PlS8_PS5_S9_ZN2at6native12_GLOBAL__N_124unique_dim_cuda_templateIiEESt5tupleIJNSA_6TensorESF_SF_EERKSF_lbbbEUlllE_EE10hipError_tT0_T1_T2_T3_mRjT4_P12ihipStream_tbNS1_7vsmem_tEEUlT_E_NS1_11comp_targetILNS1_3genE4ELNS1_11target_archE910ELNS1_3gpuE8ELNS1_3repE0EEENS1_30default_config_static_selectorELNS0_4arch9wavefront6targetE1EEEvSM_,"axG",@progbits,_ZN7rocprim17ROCPRIM_400000_NS6detail17trampoline_kernelINS0_14default_configENS1_37merge_sort_block_sort_config_selectorIlNS0_10empty_typeEEEZNS1_21merge_sort_block_sortIS3_PlS8_PS5_S9_ZN2at6native12_GLOBAL__N_124unique_dim_cuda_templateIiEESt5tupleIJNSA_6TensorESF_SF_EERKSF_lbbbEUlllE_EE10hipError_tT0_T1_T2_T3_mRjT4_P12ihipStream_tbNS1_7vsmem_tEEUlT_E_NS1_11comp_targetILNS1_3genE4ELNS1_11target_archE910ELNS1_3gpuE8ELNS1_3repE0EEENS1_30default_config_static_selectorELNS0_4arch9wavefront6targetE1EEEvSM_,comdat
	.globl	_ZN7rocprim17ROCPRIM_400000_NS6detail17trampoline_kernelINS0_14default_configENS1_37merge_sort_block_sort_config_selectorIlNS0_10empty_typeEEEZNS1_21merge_sort_block_sortIS3_PlS8_PS5_S9_ZN2at6native12_GLOBAL__N_124unique_dim_cuda_templateIiEESt5tupleIJNSA_6TensorESF_SF_EERKSF_lbbbEUlllE_EE10hipError_tT0_T1_T2_T3_mRjT4_P12ihipStream_tbNS1_7vsmem_tEEUlT_E_NS1_11comp_targetILNS1_3genE4ELNS1_11target_archE910ELNS1_3gpuE8ELNS1_3repE0EEENS1_30default_config_static_selectorELNS0_4arch9wavefront6targetE1EEEvSM_ ; -- Begin function _ZN7rocprim17ROCPRIM_400000_NS6detail17trampoline_kernelINS0_14default_configENS1_37merge_sort_block_sort_config_selectorIlNS0_10empty_typeEEEZNS1_21merge_sort_block_sortIS3_PlS8_PS5_S9_ZN2at6native12_GLOBAL__N_124unique_dim_cuda_templateIiEESt5tupleIJNSA_6TensorESF_SF_EERKSF_lbbbEUlllE_EE10hipError_tT0_T1_T2_T3_mRjT4_P12ihipStream_tbNS1_7vsmem_tEEUlT_E_NS1_11comp_targetILNS1_3genE4ELNS1_11target_archE910ELNS1_3gpuE8ELNS1_3repE0EEENS1_30default_config_static_selectorELNS0_4arch9wavefront6targetE1EEEvSM_
	.p2align	8
	.type	_ZN7rocprim17ROCPRIM_400000_NS6detail17trampoline_kernelINS0_14default_configENS1_37merge_sort_block_sort_config_selectorIlNS0_10empty_typeEEEZNS1_21merge_sort_block_sortIS3_PlS8_PS5_S9_ZN2at6native12_GLOBAL__N_124unique_dim_cuda_templateIiEESt5tupleIJNSA_6TensorESF_SF_EERKSF_lbbbEUlllE_EE10hipError_tT0_T1_T2_T3_mRjT4_P12ihipStream_tbNS1_7vsmem_tEEUlT_E_NS1_11comp_targetILNS1_3genE4ELNS1_11target_archE910ELNS1_3gpuE8ELNS1_3repE0EEENS1_30default_config_static_selectorELNS0_4arch9wavefront6targetE1EEEvSM_,@function
_ZN7rocprim17ROCPRIM_400000_NS6detail17trampoline_kernelINS0_14default_configENS1_37merge_sort_block_sort_config_selectorIlNS0_10empty_typeEEEZNS1_21merge_sort_block_sortIS3_PlS8_PS5_S9_ZN2at6native12_GLOBAL__N_124unique_dim_cuda_templateIiEESt5tupleIJNSA_6TensorESF_SF_EERKSF_lbbbEUlllE_EE10hipError_tT0_T1_T2_T3_mRjT4_P12ihipStream_tbNS1_7vsmem_tEEUlT_E_NS1_11comp_targetILNS1_3genE4ELNS1_11target_archE910ELNS1_3gpuE8ELNS1_3repE0EEENS1_30default_config_static_selectorELNS0_4arch9wavefront6targetE1EEEvSM_: ; @_ZN7rocprim17ROCPRIM_400000_NS6detail17trampoline_kernelINS0_14default_configENS1_37merge_sort_block_sort_config_selectorIlNS0_10empty_typeEEEZNS1_21merge_sort_block_sortIS3_PlS8_PS5_S9_ZN2at6native12_GLOBAL__N_124unique_dim_cuda_templateIiEESt5tupleIJNSA_6TensorESF_SF_EERKSF_lbbbEUlllE_EE10hipError_tT0_T1_T2_T3_mRjT4_P12ihipStream_tbNS1_7vsmem_tEEUlT_E_NS1_11comp_targetILNS1_3genE4ELNS1_11target_archE910ELNS1_3gpuE8ELNS1_3repE0EEENS1_30default_config_static_selectorELNS0_4arch9wavefront6targetE1EEEvSM_
; %bb.0:
	.section	.rodata,"a",@progbits
	.p2align	6, 0x0
	.amdhsa_kernel _ZN7rocprim17ROCPRIM_400000_NS6detail17trampoline_kernelINS0_14default_configENS1_37merge_sort_block_sort_config_selectorIlNS0_10empty_typeEEEZNS1_21merge_sort_block_sortIS3_PlS8_PS5_S9_ZN2at6native12_GLOBAL__N_124unique_dim_cuda_templateIiEESt5tupleIJNSA_6TensorESF_SF_EERKSF_lbbbEUlllE_EE10hipError_tT0_T1_T2_T3_mRjT4_P12ihipStream_tbNS1_7vsmem_tEEUlT_E_NS1_11comp_targetILNS1_3genE4ELNS1_11target_archE910ELNS1_3gpuE8ELNS1_3repE0EEENS1_30default_config_static_selectorELNS0_4arch9wavefront6targetE1EEEvSM_
		.amdhsa_group_segment_fixed_size 0
		.amdhsa_private_segment_fixed_size 0
		.amdhsa_kernarg_size 72
		.amdhsa_user_sgpr_count 2
		.amdhsa_user_sgpr_dispatch_ptr 0
		.amdhsa_user_sgpr_queue_ptr 0
		.amdhsa_user_sgpr_kernarg_segment_ptr 1
		.amdhsa_user_sgpr_dispatch_id 0
		.amdhsa_user_sgpr_kernarg_preload_length 0
		.amdhsa_user_sgpr_kernarg_preload_offset 0
		.amdhsa_user_sgpr_private_segment_size 0
		.amdhsa_uses_dynamic_stack 0
		.amdhsa_enable_private_segment 0
		.amdhsa_system_sgpr_workgroup_id_x 1
		.amdhsa_system_sgpr_workgroup_id_y 0
		.amdhsa_system_sgpr_workgroup_id_z 0
		.amdhsa_system_sgpr_workgroup_info 0
		.amdhsa_system_vgpr_workitem_id 0
		.amdhsa_next_free_vgpr 1
		.amdhsa_next_free_sgpr 0
		.amdhsa_accum_offset 4
		.amdhsa_reserve_vcc 0
		.amdhsa_float_round_mode_32 0
		.amdhsa_float_round_mode_16_64 0
		.amdhsa_float_denorm_mode_32 3
		.amdhsa_float_denorm_mode_16_64 3
		.amdhsa_dx10_clamp 1
		.amdhsa_ieee_mode 1
		.amdhsa_fp16_overflow 0
		.amdhsa_tg_split 0
		.amdhsa_exception_fp_ieee_invalid_op 0
		.amdhsa_exception_fp_denorm_src 0
		.amdhsa_exception_fp_ieee_div_zero 0
		.amdhsa_exception_fp_ieee_overflow 0
		.amdhsa_exception_fp_ieee_underflow 0
		.amdhsa_exception_fp_ieee_inexact 0
		.amdhsa_exception_int_div_zero 0
	.end_amdhsa_kernel
	.section	.text._ZN7rocprim17ROCPRIM_400000_NS6detail17trampoline_kernelINS0_14default_configENS1_37merge_sort_block_sort_config_selectorIlNS0_10empty_typeEEEZNS1_21merge_sort_block_sortIS3_PlS8_PS5_S9_ZN2at6native12_GLOBAL__N_124unique_dim_cuda_templateIiEESt5tupleIJNSA_6TensorESF_SF_EERKSF_lbbbEUlllE_EE10hipError_tT0_T1_T2_T3_mRjT4_P12ihipStream_tbNS1_7vsmem_tEEUlT_E_NS1_11comp_targetILNS1_3genE4ELNS1_11target_archE910ELNS1_3gpuE8ELNS1_3repE0EEENS1_30default_config_static_selectorELNS0_4arch9wavefront6targetE1EEEvSM_,"axG",@progbits,_ZN7rocprim17ROCPRIM_400000_NS6detail17trampoline_kernelINS0_14default_configENS1_37merge_sort_block_sort_config_selectorIlNS0_10empty_typeEEEZNS1_21merge_sort_block_sortIS3_PlS8_PS5_S9_ZN2at6native12_GLOBAL__N_124unique_dim_cuda_templateIiEESt5tupleIJNSA_6TensorESF_SF_EERKSF_lbbbEUlllE_EE10hipError_tT0_T1_T2_T3_mRjT4_P12ihipStream_tbNS1_7vsmem_tEEUlT_E_NS1_11comp_targetILNS1_3genE4ELNS1_11target_archE910ELNS1_3gpuE8ELNS1_3repE0EEENS1_30default_config_static_selectorELNS0_4arch9wavefront6targetE1EEEvSM_,comdat
.Lfunc_end388:
	.size	_ZN7rocprim17ROCPRIM_400000_NS6detail17trampoline_kernelINS0_14default_configENS1_37merge_sort_block_sort_config_selectorIlNS0_10empty_typeEEEZNS1_21merge_sort_block_sortIS3_PlS8_PS5_S9_ZN2at6native12_GLOBAL__N_124unique_dim_cuda_templateIiEESt5tupleIJNSA_6TensorESF_SF_EERKSF_lbbbEUlllE_EE10hipError_tT0_T1_T2_T3_mRjT4_P12ihipStream_tbNS1_7vsmem_tEEUlT_E_NS1_11comp_targetILNS1_3genE4ELNS1_11target_archE910ELNS1_3gpuE8ELNS1_3repE0EEENS1_30default_config_static_selectorELNS0_4arch9wavefront6targetE1EEEvSM_, .Lfunc_end388-_ZN7rocprim17ROCPRIM_400000_NS6detail17trampoline_kernelINS0_14default_configENS1_37merge_sort_block_sort_config_selectorIlNS0_10empty_typeEEEZNS1_21merge_sort_block_sortIS3_PlS8_PS5_S9_ZN2at6native12_GLOBAL__N_124unique_dim_cuda_templateIiEESt5tupleIJNSA_6TensorESF_SF_EERKSF_lbbbEUlllE_EE10hipError_tT0_T1_T2_T3_mRjT4_P12ihipStream_tbNS1_7vsmem_tEEUlT_E_NS1_11comp_targetILNS1_3genE4ELNS1_11target_archE910ELNS1_3gpuE8ELNS1_3repE0EEENS1_30default_config_static_selectorELNS0_4arch9wavefront6targetE1EEEvSM_
                                        ; -- End function
	.section	.AMDGPU.csdata,"",@progbits
; Kernel info:
; codeLenInByte = 0
; NumSgprs: 6
; NumVgprs: 0
; NumAgprs: 0
; TotalNumVgprs: 0
; ScratchSize: 0
; MemoryBound: 0
; FloatMode: 240
; IeeeMode: 1
; LDSByteSize: 0 bytes/workgroup (compile time only)
; SGPRBlocks: 0
; VGPRBlocks: 0
; NumSGPRsForWavesPerEU: 6
; NumVGPRsForWavesPerEU: 1
; AccumOffset: 4
; Occupancy: 8
; WaveLimiterHint : 0
; COMPUTE_PGM_RSRC2:SCRATCH_EN: 0
; COMPUTE_PGM_RSRC2:USER_SGPR: 2
; COMPUTE_PGM_RSRC2:TRAP_HANDLER: 0
; COMPUTE_PGM_RSRC2:TGID_X_EN: 1
; COMPUTE_PGM_RSRC2:TGID_Y_EN: 0
; COMPUTE_PGM_RSRC2:TGID_Z_EN: 0
; COMPUTE_PGM_RSRC2:TIDIG_COMP_CNT: 0
; COMPUTE_PGM_RSRC3_GFX90A:ACCUM_OFFSET: 0
; COMPUTE_PGM_RSRC3_GFX90A:TG_SPLIT: 0
	.section	.text._ZN7rocprim17ROCPRIM_400000_NS6detail17trampoline_kernelINS0_14default_configENS1_37merge_sort_block_sort_config_selectorIlNS0_10empty_typeEEEZNS1_21merge_sort_block_sortIS3_PlS8_PS5_S9_ZN2at6native12_GLOBAL__N_124unique_dim_cuda_templateIiEESt5tupleIJNSA_6TensorESF_SF_EERKSF_lbbbEUlllE_EE10hipError_tT0_T1_T2_T3_mRjT4_P12ihipStream_tbNS1_7vsmem_tEEUlT_E_NS1_11comp_targetILNS1_3genE3ELNS1_11target_archE908ELNS1_3gpuE7ELNS1_3repE0EEENS1_30default_config_static_selectorELNS0_4arch9wavefront6targetE1EEEvSM_,"axG",@progbits,_ZN7rocprim17ROCPRIM_400000_NS6detail17trampoline_kernelINS0_14default_configENS1_37merge_sort_block_sort_config_selectorIlNS0_10empty_typeEEEZNS1_21merge_sort_block_sortIS3_PlS8_PS5_S9_ZN2at6native12_GLOBAL__N_124unique_dim_cuda_templateIiEESt5tupleIJNSA_6TensorESF_SF_EERKSF_lbbbEUlllE_EE10hipError_tT0_T1_T2_T3_mRjT4_P12ihipStream_tbNS1_7vsmem_tEEUlT_E_NS1_11comp_targetILNS1_3genE3ELNS1_11target_archE908ELNS1_3gpuE7ELNS1_3repE0EEENS1_30default_config_static_selectorELNS0_4arch9wavefront6targetE1EEEvSM_,comdat
	.globl	_ZN7rocprim17ROCPRIM_400000_NS6detail17trampoline_kernelINS0_14default_configENS1_37merge_sort_block_sort_config_selectorIlNS0_10empty_typeEEEZNS1_21merge_sort_block_sortIS3_PlS8_PS5_S9_ZN2at6native12_GLOBAL__N_124unique_dim_cuda_templateIiEESt5tupleIJNSA_6TensorESF_SF_EERKSF_lbbbEUlllE_EE10hipError_tT0_T1_T2_T3_mRjT4_P12ihipStream_tbNS1_7vsmem_tEEUlT_E_NS1_11comp_targetILNS1_3genE3ELNS1_11target_archE908ELNS1_3gpuE7ELNS1_3repE0EEENS1_30default_config_static_selectorELNS0_4arch9wavefront6targetE1EEEvSM_ ; -- Begin function _ZN7rocprim17ROCPRIM_400000_NS6detail17trampoline_kernelINS0_14default_configENS1_37merge_sort_block_sort_config_selectorIlNS0_10empty_typeEEEZNS1_21merge_sort_block_sortIS3_PlS8_PS5_S9_ZN2at6native12_GLOBAL__N_124unique_dim_cuda_templateIiEESt5tupleIJNSA_6TensorESF_SF_EERKSF_lbbbEUlllE_EE10hipError_tT0_T1_T2_T3_mRjT4_P12ihipStream_tbNS1_7vsmem_tEEUlT_E_NS1_11comp_targetILNS1_3genE3ELNS1_11target_archE908ELNS1_3gpuE7ELNS1_3repE0EEENS1_30default_config_static_selectorELNS0_4arch9wavefront6targetE1EEEvSM_
	.p2align	8
	.type	_ZN7rocprim17ROCPRIM_400000_NS6detail17trampoline_kernelINS0_14default_configENS1_37merge_sort_block_sort_config_selectorIlNS0_10empty_typeEEEZNS1_21merge_sort_block_sortIS3_PlS8_PS5_S9_ZN2at6native12_GLOBAL__N_124unique_dim_cuda_templateIiEESt5tupleIJNSA_6TensorESF_SF_EERKSF_lbbbEUlllE_EE10hipError_tT0_T1_T2_T3_mRjT4_P12ihipStream_tbNS1_7vsmem_tEEUlT_E_NS1_11comp_targetILNS1_3genE3ELNS1_11target_archE908ELNS1_3gpuE7ELNS1_3repE0EEENS1_30default_config_static_selectorELNS0_4arch9wavefront6targetE1EEEvSM_,@function
_ZN7rocprim17ROCPRIM_400000_NS6detail17trampoline_kernelINS0_14default_configENS1_37merge_sort_block_sort_config_selectorIlNS0_10empty_typeEEEZNS1_21merge_sort_block_sortIS3_PlS8_PS5_S9_ZN2at6native12_GLOBAL__N_124unique_dim_cuda_templateIiEESt5tupleIJNSA_6TensorESF_SF_EERKSF_lbbbEUlllE_EE10hipError_tT0_T1_T2_T3_mRjT4_P12ihipStream_tbNS1_7vsmem_tEEUlT_E_NS1_11comp_targetILNS1_3genE3ELNS1_11target_archE908ELNS1_3gpuE7ELNS1_3repE0EEENS1_30default_config_static_selectorELNS0_4arch9wavefront6targetE1EEEvSM_: ; @_ZN7rocprim17ROCPRIM_400000_NS6detail17trampoline_kernelINS0_14default_configENS1_37merge_sort_block_sort_config_selectorIlNS0_10empty_typeEEEZNS1_21merge_sort_block_sortIS3_PlS8_PS5_S9_ZN2at6native12_GLOBAL__N_124unique_dim_cuda_templateIiEESt5tupleIJNSA_6TensorESF_SF_EERKSF_lbbbEUlllE_EE10hipError_tT0_T1_T2_T3_mRjT4_P12ihipStream_tbNS1_7vsmem_tEEUlT_E_NS1_11comp_targetILNS1_3genE3ELNS1_11target_archE908ELNS1_3gpuE7ELNS1_3repE0EEENS1_30default_config_static_selectorELNS0_4arch9wavefront6targetE1EEEvSM_
; %bb.0:
	.section	.rodata,"a",@progbits
	.p2align	6, 0x0
	.amdhsa_kernel _ZN7rocprim17ROCPRIM_400000_NS6detail17trampoline_kernelINS0_14default_configENS1_37merge_sort_block_sort_config_selectorIlNS0_10empty_typeEEEZNS1_21merge_sort_block_sortIS3_PlS8_PS5_S9_ZN2at6native12_GLOBAL__N_124unique_dim_cuda_templateIiEESt5tupleIJNSA_6TensorESF_SF_EERKSF_lbbbEUlllE_EE10hipError_tT0_T1_T2_T3_mRjT4_P12ihipStream_tbNS1_7vsmem_tEEUlT_E_NS1_11comp_targetILNS1_3genE3ELNS1_11target_archE908ELNS1_3gpuE7ELNS1_3repE0EEENS1_30default_config_static_selectorELNS0_4arch9wavefront6targetE1EEEvSM_
		.amdhsa_group_segment_fixed_size 0
		.amdhsa_private_segment_fixed_size 0
		.amdhsa_kernarg_size 72
		.amdhsa_user_sgpr_count 2
		.amdhsa_user_sgpr_dispatch_ptr 0
		.amdhsa_user_sgpr_queue_ptr 0
		.amdhsa_user_sgpr_kernarg_segment_ptr 1
		.amdhsa_user_sgpr_dispatch_id 0
		.amdhsa_user_sgpr_kernarg_preload_length 0
		.amdhsa_user_sgpr_kernarg_preload_offset 0
		.amdhsa_user_sgpr_private_segment_size 0
		.amdhsa_uses_dynamic_stack 0
		.amdhsa_enable_private_segment 0
		.amdhsa_system_sgpr_workgroup_id_x 1
		.amdhsa_system_sgpr_workgroup_id_y 0
		.amdhsa_system_sgpr_workgroup_id_z 0
		.amdhsa_system_sgpr_workgroup_info 0
		.amdhsa_system_vgpr_workitem_id 0
		.amdhsa_next_free_vgpr 1
		.amdhsa_next_free_sgpr 0
		.amdhsa_accum_offset 4
		.amdhsa_reserve_vcc 0
		.amdhsa_float_round_mode_32 0
		.amdhsa_float_round_mode_16_64 0
		.amdhsa_float_denorm_mode_32 3
		.amdhsa_float_denorm_mode_16_64 3
		.amdhsa_dx10_clamp 1
		.amdhsa_ieee_mode 1
		.amdhsa_fp16_overflow 0
		.amdhsa_tg_split 0
		.amdhsa_exception_fp_ieee_invalid_op 0
		.amdhsa_exception_fp_denorm_src 0
		.amdhsa_exception_fp_ieee_div_zero 0
		.amdhsa_exception_fp_ieee_overflow 0
		.amdhsa_exception_fp_ieee_underflow 0
		.amdhsa_exception_fp_ieee_inexact 0
		.amdhsa_exception_int_div_zero 0
	.end_amdhsa_kernel
	.section	.text._ZN7rocprim17ROCPRIM_400000_NS6detail17trampoline_kernelINS0_14default_configENS1_37merge_sort_block_sort_config_selectorIlNS0_10empty_typeEEEZNS1_21merge_sort_block_sortIS3_PlS8_PS5_S9_ZN2at6native12_GLOBAL__N_124unique_dim_cuda_templateIiEESt5tupleIJNSA_6TensorESF_SF_EERKSF_lbbbEUlllE_EE10hipError_tT0_T1_T2_T3_mRjT4_P12ihipStream_tbNS1_7vsmem_tEEUlT_E_NS1_11comp_targetILNS1_3genE3ELNS1_11target_archE908ELNS1_3gpuE7ELNS1_3repE0EEENS1_30default_config_static_selectorELNS0_4arch9wavefront6targetE1EEEvSM_,"axG",@progbits,_ZN7rocprim17ROCPRIM_400000_NS6detail17trampoline_kernelINS0_14default_configENS1_37merge_sort_block_sort_config_selectorIlNS0_10empty_typeEEEZNS1_21merge_sort_block_sortIS3_PlS8_PS5_S9_ZN2at6native12_GLOBAL__N_124unique_dim_cuda_templateIiEESt5tupleIJNSA_6TensorESF_SF_EERKSF_lbbbEUlllE_EE10hipError_tT0_T1_T2_T3_mRjT4_P12ihipStream_tbNS1_7vsmem_tEEUlT_E_NS1_11comp_targetILNS1_3genE3ELNS1_11target_archE908ELNS1_3gpuE7ELNS1_3repE0EEENS1_30default_config_static_selectorELNS0_4arch9wavefront6targetE1EEEvSM_,comdat
.Lfunc_end389:
	.size	_ZN7rocprim17ROCPRIM_400000_NS6detail17trampoline_kernelINS0_14default_configENS1_37merge_sort_block_sort_config_selectorIlNS0_10empty_typeEEEZNS1_21merge_sort_block_sortIS3_PlS8_PS5_S9_ZN2at6native12_GLOBAL__N_124unique_dim_cuda_templateIiEESt5tupleIJNSA_6TensorESF_SF_EERKSF_lbbbEUlllE_EE10hipError_tT0_T1_T2_T3_mRjT4_P12ihipStream_tbNS1_7vsmem_tEEUlT_E_NS1_11comp_targetILNS1_3genE3ELNS1_11target_archE908ELNS1_3gpuE7ELNS1_3repE0EEENS1_30default_config_static_selectorELNS0_4arch9wavefront6targetE1EEEvSM_, .Lfunc_end389-_ZN7rocprim17ROCPRIM_400000_NS6detail17trampoline_kernelINS0_14default_configENS1_37merge_sort_block_sort_config_selectorIlNS0_10empty_typeEEEZNS1_21merge_sort_block_sortIS3_PlS8_PS5_S9_ZN2at6native12_GLOBAL__N_124unique_dim_cuda_templateIiEESt5tupleIJNSA_6TensorESF_SF_EERKSF_lbbbEUlllE_EE10hipError_tT0_T1_T2_T3_mRjT4_P12ihipStream_tbNS1_7vsmem_tEEUlT_E_NS1_11comp_targetILNS1_3genE3ELNS1_11target_archE908ELNS1_3gpuE7ELNS1_3repE0EEENS1_30default_config_static_selectorELNS0_4arch9wavefront6targetE1EEEvSM_
                                        ; -- End function
	.section	.AMDGPU.csdata,"",@progbits
; Kernel info:
; codeLenInByte = 0
; NumSgprs: 6
; NumVgprs: 0
; NumAgprs: 0
; TotalNumVgprs: 0
; ScratchSize: 0
; MemoryBound: 0
; FloatMode: 240
; IeeeMode: 1
; LDSByteSize: 0 bytes/workgroup (compile time only)
; SGPRBlocks: 0
; VGPRBlocks: 0
; NumSGPRsForWavesPerEU: 6
; NumVGPRsForWavesPerEU: 1
; AccumOffset: 4
; Occupancy: 8
; WaveLimiterHint : 0
; COMPUTE_PGM_RSRC2:SCRATCH_EN: 0
; COMPUTE_PGM_RSRC2:USER_SGPR: 2
; COMPUTE_PGM_RSRC2:TRAP_HANDLER: 0
; COMPUTE_PGM_RSRC2:TGID_X_EN: 1
; COMPUTE_PGM_RSRC2:TGID_Y_EN: 0
; COMPUTE_PGM_RSRC2:TGID_Z_EN: 0
; COMPUTE_PGM_RSRC2:TIDIG_COMP_CNT: 0
; COMPUTE_PGM_RSRC3_GFX90A:ACCUM_OFFSET: 0
; COMPUTE_PGM_RSRC3_GFX90A:TG_SPLIT: 0
	.section	.text._ZN7rocprim17ROCPRIM_400000_NS6detail17trampoline_kernelINS0_14default_configENS1_37merge_sort_block_sort_config_selectorIlNS0_10empty_typeEEEZNS1_21merge_sort_block_sortIS3_PlS8_PS5_S9_ZN2at6native12_GLOBAL__N_124unique_dim_cuda_templateIiEESt5tupleIJNSA_6TensorESF_SF_EERKSF_lbbbEUlllE_EE10hipError_tT0_T1_T2_T3_mRjT4_P12ihipStream_tbNS1_7vsmem_tEEUlT_E_NS1_11comp_targetILNS1_3genE2ELNS1_11target_archE906ELNS1_3gpuE6ELNS1_3repE0EEENS1_30default_config_static_selectorELNS0_4arch9wavefront6targetE1EEEvSM_,"axG",@progbits,_ZN7rocprim17ROCPRIM_400000_NS6detail17trampoline_kernelINS0_14default_configENS1_37merge_sort_block_sort_config_selectorIlNS0_10empty_typeEEEZNS1_21merge_sort_block_sortIS3_PlS8_PS5_S9_ZN2at6native12_GLOBAL__N_124unique_dim_cuda_templateIiEESt5tupleIJNSA_6TensorESF_SF_EERKSF_lbbbEUlllE_EE10hipError_tT0_T1_T2_T3_mRjT4_P12ihipStream_tbNS1_7vsmem_tEEUlT_E_NS1_11comp_targetILNS1_3genE2ELNS1_11target_archE906ELNS1_3gpuE6ELNS1_3repE0EEENS1_30default_config_static_selectorELNS0_4arch9wavefront6targetE1EEEvSM_,comdat
	.globl	_ZN7rocprim17ROCPRIM_400000_NS6detail17trampoline_kernelINS0_14default_configENS1_37merge_sort_block_sort_config_selectorIlNS0_10empty_typeEEEZNS1_21merge_sort_block_sortIS3_PlS8_PS5_S9_ZN2at6native12_GLOBAL__N_124unique_dim_cuda_templateIiEESt5tupleIJNSA_6TensorESF_SF_EERKSF_lbbbEUlllE_EE10hipError_tT0_T1_T2_T3_mRjT4_P12ihipStream_tbNS1_7vsmem_tEEUlT_E_NS1_11comp_targetILNS1_3genE2ELNS1_11target_archE906ELNS1_3gpuE6ELNS1_3repE0EEENS1_30default_config_static_selectorELNS0_4arch9wavefront6targetE1EEEvSM_ ; -- Begin function _ZN7rocprim17ROCPRIM_400000_NS6detail17trampoline_kernelINS0_14default_configENS1_37merge_sort_block_sort_config_selectorIlNS0_10empty_typeEEEZNS1_21merge_sort_block_sortIS3_PlS8_PS5_S9_ZN2at6native12_GLOBAL__N_124unique_dim_cuda_templateIiEESt5tupleIJNSA_6TensorESF_SF_EERKSF_lbbbEUlllE_EE10hipError_tT0_T1_T2_T3_mRjT4_P12ihipStream_tbNS1_7vsmem_tEEUlT_E_NS1_11comp_targetILNS1_3genE2ELNS1_11target_archE906ELNS1_3gpuE6ELNS1_3repE0EEENS1_30default_config_static_selectorELNS0_4arch9wavefront6targetE1EEEvSM_
	.p2align	8
	.type	_ZN7rocprim17ROCPRIM_400000_NS6detail17trampoline_kernelINS0_14default_configENS1_37merge_sort_block_sort_config_selectorIlNS0_10empty_typeEEEZNS1_21merge_sort_block_sortIS3_PlS8_PS5_S9_ZN2at6native12_GLOBAL__N_124unique_dim_cuda_templateIiEESt5tupleIJNSA_6TensorESF_SF_EERKSF_lbbbEUlllE_EE10hipError_tT0_T1_T2_T3_mRjT4_P12ihipStream_tbNS1_7vsmem_tEEUlT_E_NS1_11comp_targetILNS1_3genE2ELNS1_11target_archE906ELNS1_3gpuE6ELNS1_3repE0EEENS1_30default_config_static_selectorELNS0_4arch9wavefront6targetE1EEEvSM_,@function
_ZN7rocprim17ROCPRIM_400000_NS6detail17trampoline_kernelINS0_14default_configENS1_37merge_sort_block_sort_config_selectorIlNS0_10empty_typeEEEZNS1_21merge_sort_block_sortIS3_PlS8_PS5_S9_ZN2at6native12_GLOBAL__N_124unique_dim_cuda_templateIiEESt5tupleIJNSA_6TensorESF_SF_EERKSF_lbbbEUlllE_EE10hipError_tT0_T1_T2_T3_mRjT4_P12ihipStream_tbNS1_7vsmem_tEEUlT_E_NS1_11comp_targetILNS1_3genE2ELNS1_11target_archE906ELNS1_3gpuE6ELNS1_3repE0EEENS1_30default_config_static_selectorELNS0_4arch9wavefront6targetE1EEEvSM_: ; @_ZN7rocprim17ROCPRIM_400000_NS6detail17trampoline_kernelINS0_14default_configENS1_37merge_sort_block_sort_config_selectorIlNS0_10empty_typeEEEZNS1_21merge_sort_block_sortIS3_PlS8_PS5_S9_ZN2at6native12_GLOBAL__N_124unique_dim_cuda_templateIiEESt5tupleIJNSA_6TensorESF_SF_EERKSF_lbbbEUlllE_EE10hipError_tT0_T1_T2_T3_mRjT4_P12ihipStream_tbNS1_7vsmem_tEEUlT_E_NS1_11comp_targetILNS1_3genE2ELNS1_11target_archE906ELNS1_3gpuE6ELNS1_3repE0EEENS1_30default_config_static_selectorELNS0_4arch9wavefront6targetE1EEEvSM_
; %bb.0:
	.section	.rodata,"a",@progbits
	.p2align	6, 0x0
	.amdhsa_kernel _ZN7rocprim17ROCPRIM_400000_NS6detail17trampoline_kernelINS0_14default_configENS1_37merge_sort_block_sort_config_selectorIlNS0_10empty_typeEEEZNS1_21merge_sort_block_sortIS3_PlS8_PS5_S9_ZN2at6native12_GLOBAL__N_124unique_dim_cuda_templateIiEESt5tupleIJNSA_6TensorESF_SF_EERKSF_lbbbEUlllE_EE10hipError_tT0_T1_T2_T3_mRjT4_P12ihipStream_tbNS1_7vsmem_tEEUlT_E_NS1_11comp_targetILNS1_3genE2ELNS1_11target_archE906ELNS1_3gpuE6ELNS1_3repE0EEENS1_30default_config_static_selectorELNS0_4arch9wavefront6targetE1EEEvSM_
		.amdhsa_group_segment_fixed_size 0
		.amdhsa_private_segment_fixed_size 0
		.amdhsa_kernarg_size 72
		.amdhsa_user_sgpr_count 2
		.amdhsa_user_sgpr_dispatch_ptr 0
		.amdhsa_user_sgpr_queue_ptr 0
		.amdhsa_user_sgpr_kernarg_segment_ptr 1
		.amdhsa_user_sgpr_dispatch_id 0
		.amdhsa_user_sgpr_kernarg_preload_length 0
		.amdhsa_user_sgpr_kernarg_preload_offset 0
		.amdhsa_user_sgpr_private_segment_size 0
		.amdhsa_uses_dynamic_stack 0
		.amdhsa_enable_private_segment 0
		.amdhsa_system_sgpr_workgroup_id_x 1
		.amdhsa_system_sgpr_workgroup_id_y 0
		.amdhsa_system_sgpr_workgroup_id_z 0
		.amdhsa_system_sgpr_workgroup_info 0
		.amdhsa_system_vgpr_workitem_id 0
		.amdhsa_next_free_vgpr 1
		.amdhsa_next_free_sgpr 0
		.amdhsa_accum_offset 4
		.amdhsa_reserve_vcc 0
		.amdhsa_float_round_mode_32 0
		.amdhsa_float_round_mode_16_64 0
		.amdhsa_float_denorm_mode_32 3
		.amdhsa_float_denorm_mode_16_64 3
		.amdhsa_dx10_clamp 1
		.amdhsa_ieee_mode 1
		.amdhsa_fp16_overflow 0
		.amdhsa_tg_split 0
		.amdhsa_exception_fp_ieee_invalid_op 0
		.amdhsa_exception_fp_denorm_src 0
		.amdhsa_exception_fp_ieee_div_zero 0
		.amdhsa_exception_fp_ieee_overflow 0
		.amdhsa_exception_fp_ieee_underflow 0
		.amdhsa_exception_fp_ieee_inexact 0
		.amdhsa_exception_int_div_zero 0
	.end_amdhsa_kernel
	.section	.text._ZN7rocprim17ROCPRIM_400000_NS6detail17trampoline_kernelINS0_14default_configENS1_37merge_sort_block_sort_config_selectorIlNS0_10empty_typeEEEZNS1_21merge_sort_block_sortIS3_PlS8_PS5_S9_ZN2at6native12_GLOBAL__N_124unique_dim_cuda_templateIiEESt5tupleIJNSA_6TensorESF_SF_EERKSF_lbbbEUlllE_EE10hipError_tT0_T1_T2_T3_mRjT4_P12ihipStream_tbNS1_7vsmem_tEEUlT_E_NS1_11comp_targetILNS1_3genE2ELNS1_11target_archE906ELNS1_3gpuE6ELNS1_3repE0EEENS1_30default_config_static_selectorELNS0_4arch9wavefront6targetE1EEEvSM_,"axG",@progbits,_ZN7rocprim17ROCPRIM_400000_NS6detail17trampoline_kernelINS0_14default_configENS1_37merge_sort_block_sort_config_selectorIlNS0_10empty_typeEEEZNS1_21merge_sort_block_sortIS3_PlS8_PS5_S9_ZN2at6native12_GLOBAL__N_124unique_dim_cuda_templateIiEESt5tupleIJNSA_6TensorESF_SF_EERKSF_lbbbEUlllE_EE10hipError_tT0_T1_T2_T3_mRjT4_P12ihipStream_tbNS1_7vsmem_tEEUlT_E_NS1_11comp_targetILNS1_3genE2ELNS1_11target_archE906ELNS1_3gpuE6ELNS1_3repE0EEENS1_30default_config_static_selectorELNS0_4arch9wavefront6targetE1EEEvSM_,comdat
.Lfunc_end390:
	.size	_ZN7rocprim17ROCPRIM_400000_NS6detail17trampoline_kernelINS0_14default_configENS1_37merge_sort_block_sort_config_selectorIlNS0_10empty_typeEEEZNS1_21merge_sort_block_sortIS3_PlS8_PS5_S9_ZN2at6native12_GLOBAL__N_124unique_dim_cuda_templateIiEESt5tupleIJNSA_6TensorESF_SF_EERKSF_lbbbEUlllE_EE10hipError_tT0_T1_T2_T3_mRjT4_P12ihipStream_tbNS1_7vsmem_tEEUlT_E_NS1_11comp_targetILNS1_3genE2ELNS1_11target_archE906ELNS1_3gpuE6ELNS1_3repE0EEENS1_30default_config_static_selectorELNS0_4arch9wavefront6targetE1EEEvSM_, .Lfunc_end390-_ZN7rocprim17ROCPRIM_400000_NS6detail17trampoline_kernelINS0_14default_configENS1_37merge_sort_block_sort_config_selectorIlNS0_10empty_typeEEEZNS1_21merge_sort_block_sortIS3_PlS8_PS5_S9_ZN2at6native12_GLOBAL__N_124unique_dim_cuda_templateIiEESt5tupleIJNSA_6TensorESF_SF_EERKSF_lbbbEUlllE_EE10hipError_tT0_T1_T2_T3_mRjT4_P12ihipStream_tbNS1_7vsmem_tEEUlT_E_NS1_11comp_targetILNS1_3genE2ELNS1_11target_archE906ELNS1_3gpuE6ELNS1_3repE0EEENS1_30default_config_static_selectorELNS0_4arch9wavefront6targetE1EEEvSM_
                                        ; -- End function
	.section	.AMDGPU.csdata,"",@progbits
; Kernel info:
; codeLenInByte = 0
; NumSgprs: 6
; NumVgprs: 0
; NumAgprs: 0
; TotalNumVgprs: 0
; ScratchSize: 0
; MemoryBound: 0
; FloatMode: 240
; IeeeMode: 1
; LDSByteSize: 0 bytes/workgroup (compile time only)
; SGPRBlocks: 0
; VGPRBlocks: 0
; NumSGPRsForWavesPerEU: 6
; NumVGPRsForWavesPerEU: 1
; AccumOffset: 4
; Occupancy: 8
; WaveLimiterHint : 0
; COMPUTE_PGM_RSRC2:SCRATCH_EN: 0
; COMPUTE_PGM_RSRC2:USER_SGPR: 2
; COMPUTE_PGM_RSRC2:TRAP_HANDLER: 0
; COMPUTE_PGM_RSRC2:TGID_X_EN: 1
; COMPUTE_PGM_RSRC2:TGID_Y_EN: 0
; COMPUTE_PGM_RSRC2:TGID_Z_EN: 0
; COMPUTE_PGM_RSRC2:TIDIG_COMP_CNT: 0
; COMPUTE_PGM_RSRC3_GFX90A:ACCUM_OFFSET: 0
; COMPUTE_PGM_RSRC3_GFX90A:TG_SPLIT: 0
	.section	.text._ZN7rocprim17ROCPRIM_400000_NS6detail17trampoline_kernelINS0_14default_configENS1_37merge_sort_block_sort_config_selectorIlNS0_10empty_typeEEEZNS1_21merge_sort_block_sortIS3_PlS8_PS5_S9_ZN2at6native12_GLOBAL__N_124unique_dim_cuda_templateIiEESt5tupleIJNSA_6TensorESF_SF_EERKSF_lbbbEUlllE_EE10hipError_tT0_T1_T2_T3_mRjT4_P12ihipStream_tbNS1_7vsmem_tEEUlT_E_NS1_11comp_targetILNS1_3genE10ELNS1_11target_archE1201ELNS1_3gpuE5ELNS1_3repE0EEENS1_30default_config_static_selectorELNS0_4arch9wavefront6targetE1EEEvSM_,"axG",@progbits,_ZN7rocprim17ROCPRIM_400000_NS6detail17trampoline_kernelINS0_14default_configENS1_37merge_sort_block_sort_config_selectorIlNS0_10empty_typeEEEZNS1_21merge_sort_block_sortIS3_PlS8_PS5_S9_ZN2at6native12_GLOBAL__N_124unique_dim_cuda_templateIiEESt5tupleIJNSA_6TensorESF_SF_EERKSF_lbbbEUlllE_EE10hipError_tT0_T1_T2_T3_mRjT4_P12ihipStream_tbNS1_7vsmem_tEEUlT_E_NS1_11comp_targetILNS1_3genE10ELNS1_11target_archE1201ELNS1_3gpuE5ELNS1_3repE0EEENS1_30default_config_static_selectorELNS0_4arch9wavefront6targetE1EEEvSM_,comdat
	.globl	_ZN7rocprim17ROCPRIM_400000_NS6detail17trampoline_kernelINS0_14default_configENS1_37merge_sort_block_sort_config_selectorIlNS0_10empty_typeEEEZNS1_21merge_sort_block_sortIS3_PlS8_PS5_S9_ZN2at6native12_GLOBAL__N_124unique_dim_cuda_templateIiEESt5tupleIJNSA_6TensorESF_SF_EERKSF_lbbbEUlllE_EE10hipError_tT0_T1_T2_T3_mRjT4_P12ihipStream_tbNS1_7vsmem_tEEUlT_E_NS1_11comp_targetILNS1_3genE10ELNS1_11target_archE1201ELNS1_3gpuE5ELNS1_3repE0EEENS1_30default_config_static_selectorELNS0_4arch9wavefront6targetE1EEEvSM_ ; -- Begin function _ZN7rocprim17ROCPRIM_400000_NS6detail17trampoline_kernelINS0_14default_configENS1_37merge_sort_block_sort_config_selectorIlNS0_10empty_typeEEEZNS1_21merge_sort_block_sortIS3_PlS8_PS5_S9_ZN2at6native12_GLOBAL__N_124unique_dim_cuda_templateIiEESt5tupleIJNSA_6TensorESF_SF_EERKSF_lbbbEUlllE_EE10hipError_tT0_T1_T2_T3_mRjT4_P12ihipStream_tbNS1_7vsmem_tEEUlT_E_NS1_11comp_targetILNS1_3genE10ELNS1_11target_archE1201ELNS1_3gpuE5ELNS1_3repE0EEENS1_30default_config_static_selectorELNS0_4arch9wavefront6targetE1EEEvSM_
	.p2align	8
	.type	_ZN7rocprim17ROCPRIM_400000_NS6detail17trampoline_kernelINS0_14default_configENS1_37merge_sort_block_sort_config_selectorIlNS0_10empty_typeEEEZNS1_21merge_sort_block_sortIS3_PlS8_PS5_S9_ZN2at6native12_GLOBAL__N_124unique_dim_cuda_templateIiEESt5tupleIJNSA_6TensorESF_SF_EERKSF_lbbbEUlllE_EE10hipError_tT0_T1_T2_T3_mRjT4_P12ihipStream_tbNS1_7vsmem_tEEUlT_E_NS1_11comp_targetILNS1_3genE10ELNS1_11target_archE1201ELNS1_3gpuE5ELNS1_3repE0EEENS1_30default_config_static_selectorELNS0_4arch9wavefront6targetE1EEEvSM_,@function
_ZN7rocprim17ROCPRIM_400000_NS6detail17trampoline_kernelINS0_14default_configENS1_37merge_sort_block_sort_config_selectorIlNS0_10empty_typeEEEZNS1_21merge_sort_block_sortIS3_PlS8_PS5_S9_ZN2at6native12_GLOBAL__N_124unique_dim_cuda_templateIiEESt5tupleIJNSA_6TensorESF_SF_EERKSF_lbbbEUlllE_EE10hipError_tT0_T1_T2_T3_mRjT4_P12ihipStream_tbNS1_7vsmem_tEEUlT_E_NS1_11comp_targetILNS1_3genE10ELNS1_11target_archE1201ELNS1_3gpuE5ELNS1_3repE0EEENS1_30default_config_static_selectorELNS0_4arch9wavefront6targetE1EEEvSM_: ; @_ZN7rocprim17ROCPRIM_400000_NS6detail17trampoline_kernelINS0_14default_configENS1_37merge_sort_block_sort_config_selectorIlNS0_10empty_typeEEEZNS1_21merge_sort_block_sortIS3_PlS8_PS5_S9_ZN2at6native12_GLOBAL__N_124unique_dim_cuda_templateIiEESt5tupleIJNSA_6TensorESF_SF_EERKSF_lbbbEUlllE_EE10hipError_tT0_T1_T2_T3_mRjT4_P12ihipStream_tbNS1_7vsmem_tEEUlT_E_NS1_11comp_targetILNS1_3genE10ELNS1_11target_archE1201ELNS1_3gpuE5ELNS1_3repE0EEENS1_30default_config_static_selectorELNS0_4arch9wavefront6targetE1EEEvSM_
; %bb.0:
	.section	.rodata,"a",@progbits
	.p2align	6, 0x0
	.amdhsa_kernel _ZN7rocprim17ROCPRIM_400000_NS6detail17trampoline_kernelINS0_14default_configENS1_37merge_sort_block_sort_config_selectorIlNS0_10empty_typeEEEZNS1_21merge_sort_block_sortIS3_PlS8_PS5_S9_ZN2at6native12_GLOBAL__N_124unique_dim_cuda_templateIiEESt5tupleIJNSA_6TensorESF_SF_EERKSF_lbbbEUlllE_EE10hipError_tT0_T1_T2_T3_mRjT4_P12ihipStream_tbNS1_7vsmem_tEEUlT_E_NS1_11comp_targetILNS1_3genE10ELNS1_11target_archE1201ELNS1_3gpuE5ELNS1_3repE0EEENS1_30default_config_static_selectorELNS0_4arch9wavefront6targetE1EEEvSM_
		.amdhsa_group_segment_fixed_size 0
		.amdhsa_private_segment_fixed_size 0
		.amdhsa_kernarg_size 72
		.amdhsa_user_sgpr_count 2
		.amdhsa_user_sgpr_dispatch_ptr 0
		.amdhsa_user_sgpr_queue_ptr 0
		.amdhsa_user_sgpr_kernarg_segment_ptr 1
		.amdhsa_user_sgpr_dispatch_id 0
		.amdhsa_user_sgpr_kernarg_preload_length 0
		.amdhsa_user_sgpr_kernarg_preload_offset 0
		.amdhsa_user_sgpr_private_segment_size 0
		.amdhsa_uses_dynamic_stack 0
		.amdhsa_enable_private_segment 0
		.amdhsa_system_sgpr_workgroup_id_x 1
		.amdhsa_system_sgpr_workgroup_id_y 0
		.amdhsa_system_sgpr_workgroup_id_z 0
		.amdhsa_system_sgpr_workgroup_info 0
		.amdhsa_system_vgpr_workitem_id 0
		.amdhsa_next_free_vgpr 1
		.amdhsa_next_free_sgpr 0
		.amdhsa_accum_offset 4
		.amdhsa_reserve_vcc 0
		.amdhsa_float_round_mode_32 0
		.amdhsa_float_round_mode_16_64 0
		.amdhsa_float_denorm_mode_32 3
		.amdhsa_float_denorm_mode_16_64 3
		.amdhsa_dx10_clamp 1
		.amdhsa_ieee_mode 1
		.amdhsa_fp16_overflow 0
		.amdhsa_tg_split 0
		.amdhsa_exception_fp_ieee_invalid_op 0
		.amdhsa_exception_fp_denorm_src 0
		.amdhsa_exception_fp_ieee_div_zero 0
		.amdhsa_exception_fp_ieee_overflow 0
		.amdhsa_exception_fp_ieee_underflow 0
		.amdhsa_exception_fp_ieee_inexact 0
		.amdhsa_exception_int_div_zero 0
	.end_amdhsa_kernel
	.section	.text._ZN7rocprim17ROCPRIM_400000_NS6detail17trampoline_kernelINS0_14default_configENS1_37merge_sort_block_sort_config_selectorIlNS0_10empty_typeEEEZNS1_21merge_sort_block_sortIS3_PlS8_PS5_S9_ZN2at6native12_GLOBAL__N_124unique_dim_cuda_templateIiEESt5tupleIJNSA_6TensorESF_SF_EERKSF_lbbbEUlllE_EE10hipError_tT0_T1_T2_T3_mRjT4_P12ihipStream_tbNS1_7vsmem_tEEUlT_E_NS1_11comp_targetILNS1_3genE10ELNS1_11target_archE1201ELNS1_3gpuE5ELNS1_3repE0EEENS1_30default_config_static_selectorELNS0_4arch9wavefront6targetE1EEEvSM_,"axG",@progbits,_ZN7rocprim17ROCPRIM_400000_NS6detail17trampoline_kernelINS0_14default_configENS1_37merge_sort_block_sort_config_selectorIlNS0_10empty_typeEEEZNS1_21merge_sort_block_sortIS3_PlS8_PS5_S9_ZN2at6native12_GLOBAL__N_124unique_dim_cuda_templateIiEESt5tupleIJNSA_6TensorESF_SF_EERKSF_lbbbEUlllE_EE10hipError_tT0_T1_T2_T3_mRjT4_P12ihipStream_tbNS1_7vsmem_tEEUlT_E_NS1_11comp_targetILNS1_3genE10ELNS1_11target_archE1201ELNS1_3gpuE5ELNS1_3repE0EEENS1_30default_config_static_selectorELNS0_4arch9wavefront6targetE1EEEvSM_,comdat
.Lfunc_end391:
	.size	_ZN7rocprim17ROCPRIM_400000_NS6detail17trampoline_kernelINS0_14default_configENS1_37merge_sort_block_sort_config_selectorIlNS0_10empty_typeEEEZNS1_21merge_sort_block_sortIS3_PlS8_PS5_S9_ZN2at6native12_GLOBAL__N_124unique_dim_cuda_templateIiEESt5tupleIJNSA_6TensorESF_SF_EERKSF_lbbbEUlllE_EE10hipError_tT0_T1_T2_T3_mRjT4_P12ihipStream_tbNS1_7vsmem_tEEUlT_E_NS1_11comp_targetILNS1_3genE10ELNS1_11target_archE1201ELNS1_3gpuE5ELNS1_3repE0EEENS1_30default_config_static_selectorELNS0_4arch9wavefront6targetE1EEEvSM_, .Lfunc_end391-_ZN7rocprim17ROCPRIM_400000_NS6detail17trampoline_kernelINS0_14default_configENS1_37merge_sort_block_sort_config_selectorIlNS0_10empty_typeEEEZNS1_21merge_sort_block_sortIS3_PlS8_PS5_S9_ZN2at6native12_GLOBAL__N_124unique_dim_cuda_templateIiEESt5tupleIJNSA_6TensorESF_SF_EERKSF_lbbbEUlllE_EE10hipError_tT0_T1_T2_T3_mRjT4_P12ihipStream_tbNS1_7vsmem_tEEUlT_E_NS1_11comp_targetILNS1_3genE10ELNS1_11target_archE1201ELNS1_3gpuE5ELNS1_3repE0EEENS1_30default_config_static_selectorELNS0_4arch9wavefront6targetE1EEEvSM_
                                        ; -- End function
	.section	.AMDGPU.csdata,"",@progbits
; Kernel info:
; codeLenInByte = 0
; NumSgprs: 6
; NumVgprs: 0
; NumAgprs: 0
; TotalNumVgprs: 0
; ScratchSize: 0
; MemoryBound: 0
; FloatMode: 240
; IeeeMode: 1
; LDSByteSize: 0 bytes/workgroup (compile time only)
; SGPRBlocks: 0
; VGPRBlocks: 0
; NumSGPRsForWavesPerEU: 6
; NumVGPRsForWavesPerEU: 1
; AccumOffset: 4
; Occupancy: 8
; WaveLimiterHint : 0
; COMPUTE_PGM_RSRC2:SCRATCH_EN: 0
; COMPUTE_PGM_RSRC2:USER_SGPR: 2
; COMPUTE_PGM_RSRC2:TRAP_HANDLER: 0
; COMPUTE_PGM_RSRC2:TGID_X_EN: 1
; COMPUTE_PGM_RSRC2:TGID_Y_EN: 0
; COMPUTE_PGM_RSRC2:TGID_Z_EN: 0
; COMPUTE_PGM_RSRC2:TIDIG_COMP_CNT: 0
; COMPUTE_PGM_RSRC3_GFX90A:ACCUM_OFFSET: 0
; COMPUTE_PGM_RSRC3_GFX90A:TG_SPLIT: 0
	.section	.text._ZN7rocprim17ROCPRIM_400000_NS6detail17trampoline_kernelINS0_14default_configENS1_37merge_sort_block_sort_config_selectorIlNS0_10empty_typeEEEZNS1_21merge_sort_block_sortIS3_PlS8_PS5_S9_ZN2at6native12_GLOBAL__N_124unique_dim_cuda_templateIiEESt5tupleIJNSA_6TensorESF_SF_EERKSF_lbbbEUlllE_EE10hipError_tT0_T1_T2_T3_mRjT4_P12ihipStream_tbNS1_7vsmem_tEEUlT_E_NS1_11comp_targetILNS1_3genE10ELNS1_11target_archE1200ELNS1_3gpuE4ELNS1_3repE0EEENS1_30default_config_static_selectorELNS0_4arch9wavefront6targetE1EEEvSM_,"axG",@progbits,_ZN7rocprim17ROCPRIM_400000_NS6detail17trampoline_kernelINS0_14default_configENS1_37merge_sort_block_sort_config_selectorIlNS0_10empty_typeEEEZNS1_21merge_sort_block_sortIS3_PlS8_PS5_S9_ZN2at6native12_GLOBAL__N_124unique_dim_cuda_templateIiEESt5tupleIJNSA_6TensorESF_SF_EERKSF_lbbbEUlllE_EE10hipError_tT0_T1_T2_T3_mRjT4_P12ihipStream_tbNS1_7vsmem_tEEUlT_E_NS1_11comp_targetILNS1_3genE10ELNS1_11target_archE1200ELNS1_3gpuE4ELNS1_3repE0EEENS1_30default_config_static_selectorELNS0_4arch9wavefront6targetE1EEEvSM_,comdat
	.globl	_ZN7rocprim17ROCPRIM_400000_NS6detail17trampoline_kernelINS0_14default_configENS1_37merge_sort_block_sort_config_selectorIlNS0_10empty_typeEEEZNS1_21merge_sort_block_sortIS3_PlS8_PS5_S9_ZN2at6native12_GLOBAL__N_124unique_dim_cuda_templateIiEESt5tupleIJNSA_6TensorESF_SF_EERKSF_lbbbEUlllE_EE10hipError_tT0_T1_T2_T3_mRjT4_P12ihipStream_tbNS1_7vsmem_tEEUlT_E_NS1_11comp_targetILNS1_3genE10ELNS1_11target_archE1200ELNS1_3gpuE4ELNS1_3repE0EEENS1_30default_config_static_selectorELNS0_4arch9wavefront6targetE1EEEvSM_ ; -- Begin function _ZN7rocprim17ROCPRIM_400000_NS6detail17trampoline_kernelINS0_14default_configENS1_37merge_sort_block_sort_config_selectorIlNS0_10empty_typeEEEZNS1_21merge_sort_block_sortIS3_PlS8_PS5_S9_ZN2at6native12_GLOBAL__N_124unique_dim_cuda_templateIiEESt5tupleIJNSA_6TensorESF_SF_EERKSF_lbbbEUlllE_EE10hipError_tT0_T1_T2_T3_mRjT4_P12ihipStream_tbNS1_7vsmem_tEEUlT_E_NS1_11comp_targetILNS1_3genE10ELNS1_11target_archE1200ELNS1_3gpuE4ELNS1_3repE0EEENS1_30default_config_static_selectorELNS0_4arch9wavefront6targetE1EEEvSM_
	.p2align	8
	.type	_ZN7rocprim17ROCPRIM_400000_NS6detail17trampoline_kernelINS0_14default_configENS1_37merge_sort_block_sort_config_selectorIlNS0_10empty_typeEEEZNS1_21merge_sort_block_sortIS3_PlS8_PS5_S9_ZN2at6native12_GLOBAL__N_124unique_dim_cuda_templateIiEESt5tupleIJNSA_6TensorESF_SF_EERKSF_lbbbEUlllE_EE10hipError_tT0_T1_T2_T3_mRjT4_P12ihipStream_tbNS1_7vsmem_tEEUlT_E_NS1_11comp_targetILNS1_3genE10ELNS1_11target_archE1200ELNS1_3gpuE4ELNS1_3repE0EEENS1_30default_config_static_selectorELNS0_4arch9wavefront6targetE1EEEvSM_,@function
_ZN7rocprim17ROCPRIM_400000_NS6detail17trampoline_kernelINS0_14default_configENS1_37merge_sort_block_sort_config_selectorIlNS0_10empty_typeEEEZNS1_21merge_sort_block_sortIS3_PlS8_PS5_S9_ZN2at6native12_GLOBAL__N_124unique_dim_cuda_templateIiEESt5tupleIJNSA_6TensorESF_SF_EERKSF_lbbbEUlllE_EE10hipError_tT0_T1_T2_T3_mRjT4_P12ihipStream_tbNS1_7vsmem_tEEUlT_E_NS1_11comp_targetILNS1_3genE10ELNS1_11target_archE1200ELNS1_3gpuE4ELNS1_3repE0EEENS1_30default_config_static_selectorELNS0_4arch9wavefront6targetE1EEEvSM_: ; @_ZN7rocprim17ROCPRIM_400000_NS6detail17trampoline_kernelINS0_14default_configENS1_37merge_sort_block_sort_config_selectorIlNS0_10empty_typeEEEZNS1_21merge_sort_block_sortIS3_PlS8_PS5_S9_ZN2at6native12_GLOBAL__N_124unique_dim_cuda_templateIiEESt5tupleIJNSA_6TensorESF_SF_EERKSF_lbbbEUlllE_EE10hipError_tT0_T1_T2_T3_mRjT4_P12ihipStream_tbNS1_7vsmem_tEEUlT_E_NS1_11comp_targetILNS1_3genE10ELNS1_11target_archE1200ELNS1_3gpuE4ELNS1_3repE0EEENS1_30default_config_static_selectorELNS0_4arch9wavefront6targetE1EEEvSM_
; %bb.0:
	.section	.rodata,"a",@progbits
	.p2align	6, 0x0
	.amdhsa_kernel _ZN7rocprim17ROCPRIM_400000_NS6detail17trampoline_kernelINS0_14default_configENS1_37merge_sort_block_sort_config_selectorIlNS0_10empty_typeEEEZNS1_21merge_sort_block_sortIS3_PlS8_PS5_S9_ZN2at6native12_GLOBAL__N_124unique_dim_cuda_templateIiEESt5tupleIJNSA_6TensorESF_SF_EERKSF_lbbbEUlllE_EE10hipError_tT0_T1_T2_T3_mRjT4_P12ihipStream_tbNS1_7vsmem_tEEUlT_E_NS1_11comp_targetILNS1_3genE10ELNS1_11target_archE1200ELNS1_3gpuE4ELNS1_3repE0EEENS1_30default_config_static_selectorELNS0_4arch9wavefront6targetE1EEEvSM_
		.amdhsa_group_segment_fixed_size 0
		.amdhsa_private_segment_fixed_size 0
		.amdhsa_kernarg_size 72
		.amdhsa_user_sgpr_count 2
		.amdhsa_user_sgpr_dispatch_ptr 0
		.amdhsa_user_sgpr_queue_ptr 0
		.amdhsa_user_sgpr_kernarg_segment_ptr 1
		.amdhsa_user_sgpr_dispatch_id 0
		.amdhsa_user_sgpr_kernarg_preload_length 0
		.amdhsa_user_sgpr_kernarg_preload_offset 0
		.amdhsa_user_sgpr_private_segment_size 0
		.amdhsa_uses_dynamic_stack 0
		.amdhsa_enable_private_segment 0
		.amdhsa_system_sgpr_workgroup_id_x 1
		.amdhsa_system_sgpr_workgroup_id_y 0
		.amdhsa_system_sgpr_workgroup_id_z 0
		.amdhsa_system_sgpr_workgroup_info 0
		.amdhsa_system_vgpr_workitem_id 0
		.amdhsa_next_free_vgpr 1
		.amdhsa_next_free_sgpr 0
		.amdhsa_accum_offset 4
		.amdhsa_reserve_vcc 0
		.amdhsa_float_round_mode_32 0
		.amdhsa_float_round_mode_16_64 0
		.amdhsa_float_denorm_mode_32 3
		.amdhsa_float_denorm_mode_16_64 3
		.amdhsa_dx10_clamp 1
		.amdhsa_ieee_mode 1
		.amdhsa_fp16_overflow 0
		.amdhsa_tg_split 0
		.amdhsa_exception_fp_ieee_invalid_op 0
		.amdhsa_exception_fp_denorm_src 0
		.amdhsa_exception_fp_ieee_div_zero 0
		.amdhsa_exception_fp_ieee_overflow 0
		.amdhsa_exception_fp_ieee_underflow 0
		.amdhsa_exception_fp_ieee_inexact 0
		.amdhsa_exception_int_div_zero 0
	.end_amdhsa_kernel
	.section	.text._ZN7rocprim17ROCPRIM_400000_NS6detail17trampoline_kernelINS0_14default_configENS1_37merge_sort_block_sort_config_selectorIlNS0_10empty_typeEEEZNS1_21merge_sort_block_sortIS3_PlS8_PS5_S9_ZN2at6native12_GLOBAL__N_124unique_dim_cuda_templateIiEESt5tupleIJNSA_6TensorESF_SF_EERKSF_lbbbEUlllE_EE10hipError_tT0_T1_T2_T3_mRjT4_P12ihipStream_tbNS1_7vsmem_tEEUlT_E_NS1_11comp_targetILNS1_3genE10ELNS1_11target_archE1200ELNS1_3gpuE4ELNS1_3repE0EEENS1_30default_config_static_selectorELNS0_4arch9wavefront6targetE1EEEvSM_,"axG",@progbits,_ZN7rocprim17ROCPRIM_400000_NS6detail17trampoline_kernelINS0_14default_configENS1_37merge_sort_block_sort_config_selectorIlNS0_10empty_typeEEEZNS1_21merge_sort_block_sortIS3_PlS8_PS5_S9_ZN2at6native12_GLOBAL__N_124unique_dim_cuda_templateIiEESt5tupleIJNSA_6TensorESF_SF_EERKSF_lbbbEUlllE_EE10hipError_tT0_T1_T2_T3_mRjT4_P12ihipStream_tbNS1_7vsmem_tEEUlT_E_NS1_11comp_targetILNS1_3genE10ELNS1_11target_archE1200ELNS1_3gpuE4ELNS1_3repE0EEENS1_30default_config_static_selectorELNS0_4arch9wavefront6targetE1EEEvSM_,comdat
.Lfunc_end392:
	.size	_ZN7rocprim17ROCPRIM_400000_NS6detail17trampoline_kernelINS0_14default_configENS1_37merge_sort_block_sort_config_selectorIlNS0_10empty_typeEEEZNS1_21merge_sort_block_sortIS3_PlS8_PS5_S9_ZN2at6native12_GLOBAL__N_124unique_dim_cuda_templateIiEESt5tupleIJNSA_6TensorESF_SF_EERKSF_lbbbEUlllE_EE10hipError_tT0_T1_T2_T3_mRjT4_P12ihipStream_tbNS1_7vsmem_tEEUlT_E_NS1_11comp_targetILNS1_3genE10ELNS1_11target_archE1200ELNS1_3gpuE4ELNS1_3repE0EEENS1_30default_config_static_selectorELNS0_4arch9wavefront6targetE1EEEvSM_, .Lfunc_end392-_ZN7rocprim17ROCPRIM_400000_NS6detail17trampoline_kernelINS0_14default_configENS1_37merge_sort_block_sort_config_selectorIlNS0_10empty_typeEEEZNS1_21merge_sort_block_sortIS3_PlS8_PS5_S9_ZN2at6native12_GLOBAL__N_124unique_dim_cuda_templateIiEESt5tupleIJNSA_6TensorESF_SF_EERKSF_lbbbEUlllE_EE10hipError_tT0_T1_T2_T3_mRjT4_P12ihipStream_tbNS1_7vsmem_tEEUlT_E_NS1_11comp_targetILNS1_3genE10ELNS1_11target_archE1200ELNS1_3gpuE4ELNS1_3repE0EEENS1_30default_config_static_selectorELNS0_4arch9wavefront6targetE1EEEvSM_
                                        ; -- End function
	.section	.AMDGPU.csdata,"",@progbits
; Kernel info:
; codeLenInByte = 0
; NumSgprs: 6
; NumVgprs: 0
; NumAgprs: 0
; TotalNumVgprs: 0
; ScratchSize: 0
; MemoryBound: 0
; FloatMode: 240
; IeeeMode: 1
; LDSByteSize: 0 bytes/workgroup (compile time only)
; SGPRBlocks: 0
; VGPRBlocks: 0
; NumSGPRsForWavesPerEU: 6
; NumVGPRsForWavesPerEU: 1
; AccumOffset: 4
; Occupancy: 8
; WaveLimiterHint : 0
; COMPUTE_PGM_RSRC2:SCRATCH_EN: 0
; COMPUTE_PGM_RSRC2:USER_SGPR: 2
; COMPUTE_PGM_RSRC2:TRAP_HANDLER: 0
; COMPUTE_PGM_RSRC2:TGID_X_EN: 1
; COMPUTE_PGM_RSRC2:TGID_Y_EN: 0
; COMPUTE_PGM_RSRC2:TGID_Z_EN: 0
; COMPUTE_PGM_RSRC2:TIDIG_COMP_CNT: 0
; COMPUTE_PGM_RSRC3_GFX90A:ACCUM_OFFSET: 0
; COMPUTE_PGM_RSRC3_GFX90A:TG_SPLIT: 0
	.section	.text._ZN7rocprim17ROCPRIM_400000_NS6detail17trampoline_kernelINS0_14default_configENS1_37merge_sort_block_sort_config_selectorIlNS0_10empty_typeEEEZNS1_21merge_sort_block_sortIS3_PlS8_PS5_S9_ZN2at6native12_GLOBAL__N_124unique_dim_cuda_templateIiEESt5tupleIJNSA_6TensorESF_SF_EERKSF_lbbbEUlllE_EE10hipError_tT0_T1_T2_T3_mRjT4_P12ihipStream_tbNS1_7vsmem_tEEUlT_E_NS1_11comp_targetILNS1_3genE9ELNS1_11target_archE1100ELNS1_3gpuE3ELNS1_3repE0EEENS1_30default_config_static_selectorELNS0_4arch9wavefront6targetE1EEEvSM_,"axG",@progbits,_ZN7rocprim17ROCPRIM_400000_NS6detail17trampoline_kernelINS0_14default_configENS1_37merge_sort_block_sort_config_selectorIlNS0_10empty_typeEEEZNS1_21merge_sort_block_sortIS3_PlS8_PS5_S9_ZN2at6native12_GLOBAL__N_124unique_dim_cuda_templateIiEESt5tupleIJNSA_6TensorESF_SF_EERKSF_lbbbEUlllE_EE10hipError_tT0_T1_T2_T3_mRjT4_P12ihipStream_tbNS1_7vsmem_tEEUlT_E_NS1_11comp_targetILNS1_3genE9ELNS1_11target_archE1100ELNS1_3gpuE3ELNS1_3repE0EEENS1_30default_config_static_selectorELNS0_4arch9wavefront6targetE1EEEvSM_,comdat
	.globl	_ZN7rocprim17ROCPRIM_400000_NS6detail17trampoline_kernelINS0_14default_configENS1_37merge_sort_block_sort_config_selectorIlNS0_10empty_typeEEEZNS1_21merge_sort_block_sortIS3_PlS8_PS5_S9_ZN2at6native12_GLOBAL__N_124unique_dim_cuda_templateIiEESt5tupleIJNSA_6TensorESF_SF_EERKSF_lbbbEUlllE_EE10hipError_tT0_T1_T2_T3_mRjT4_P12ihipStream_tbNS1_7vsmem_tEEUlT_E_NS1_11comp_targetILNS1_3genE9ELNS1_11target_archE1100ELNS1_3gpuE3ELNS1_3repE0EEENS1_30default_config_static_selectorELNS0_4arch9wavefront6targetE1EEEvSM_ ; -- Begin function _ZN7rocprim17ROCPRIM_400000_NS6detail17trampoline_kernelINS0_14default_configENS1_37merge_sort_block_sort_config_selectorIlNS0_10empty_typeEEEZNS1_21merge_sort_block_sortIS3_PlS8_PS5_S9_ZN2at6native12_GLOBAL__N_124unique_dim_cuda_templateIiEESt5tupleIJNSA_6TensorESF_SF_EERKSF_lbbbEUlllE_EE10hipError_tT0_T1_T2_T3_mRjT4_P12ihipStream_tbNS1_7vsmem_tEEUlT_E_NS1_11comp_targetILNS1_3genE9ELNS1_11target_archE1100ELNS1_3gpuE3ELNS1_3repE0EEENS1_30default_config_static_selectorELNS0_4arch9wavefront6targetE1EEEvSM_
	.p2align	8
	.type	_ZN7rocprim17ROCPRIM_400000_NS6detail17trampoline_kernelINS0_14default_configENS1_37merge_sort_block_sort_config_selectorIlNS0_10empty_typeEEEZNS1_21merge_sort_block_sortIS3_PlS8_PS5_S9_ZN2at6native12_GLOBAL__N_124unique_dim_cuda_templateIiEESt5tupleIJNSA_6TensorESF_SF_EERKSF_lbbbEUlllE_EE10hipError_tT0_T1_T2_T3_mRjT4_P12ihipStream_tbNS1_7vsmem_tEEUlT_E_NS1_11comp_targetILNS1_3genE9ELNS1_11target_archE1100ELNS1_3gpuE3ELNS1_3repE0EEENS1_30default_config_static_selectorELNS0_4arch9wavefront6targetE1EEEvSM_,@function
_ZN7rocprim17ROCPRIM_400000_NS6detail17trampoline_kernelINS0_14default_configENS1_37merge_sort_block_sort_config_selectorIlNS0_10empty_typeEEEZNS1_21merge_sort_block_sortIS3_PlS8_PS5_S9_ZN2at6native12_GLOBAL__N_124unique_dim_cuda_templateIiEESt5tupleIJNSA_6TensorESF_SF_EERKSF_lbbbEUlllE_EE10hipError_tT0_T1_T2_T3_mRjT4_P12ihipStream_tbNS1_7vsmem_tEEUlT_E_NS1_11comp_targetILNS1_3genE9ELNS1_11target_archE1100ELNS1_3gpuE3ELNS1_3repE0EEENS1_30default_config_static_selectorELNS0_4arch9wavefront6targetE1EEEvSM_: ; @_ZN7rocprim17ROCPRIM_400000_NS6detail17trampoline_kernelINS0_14default_configENS1_37merge_sort_block_sort_config_selectorIlNS0_10empty_typeEEEZNS1_21merge_sort_block_sortIS3_PlS8_PS5_S9_ZN2at6native12_GLOBAL__N_124unique_dim_cuda_templateIiEESt5tupleIJNSA_6TensorESF_SF_EERKSF_lbbbEUlllE_EE10hipError_tT0_T1_T2_T3_mRjT4_P12ihipStream_tbNS1_7vsmem_tEEUlT_E_NS1_11comp_targetILNS1_3genE9ELNS1_11target_archE1100ELNS1_3gpuE3ELNS1_3repE0EEENS1_30default_config_static_selectorELNS0_4arch9wavefront6targetE1EEEvSM_
; %bb.0:
	.section	.rodata,"a",@progbits
	.p2align	6, 0x0
	.amdhsa_kernel _ZN7rocprim17ROCPRIM_400000_NS6detail17trampoline_kernelINS0_14default_configENS1_37merge_sort_block_sort_config_selectorIlNS0_10empty_typeEEEZNS1_21merge_sort_block_sortIS3_PlS8_PS5_S9_ZN2at6native12_GLOBAL__N_124unique_dim_cuda_templateIiEESt5tupleIJNSA_6TensorESF_SF_EERKSF_lbbbEUlllE_EE10hipError_tT0_T1_T2_T3_mRjT4_P12ihipStream_tbNS1_7vsmem_tEEUlT_E_NS1_11comp_targetILNS1_3genE9ELNS1_11target_archE1100ELNS1_3gpuE3ELNS1_3repE0EEENS1_30default_config_static_selectorELNS0_4arch9wavefront6targetE1EEEvSM_
		.amdhsa_group_segment_fixed_size 0
		.amdhsa_private_segment_fixed_size 0
		.amdhsa_kernarg_size 72
		.amdhsa_user_sgpr_count 2
		.amdhsa_user_sgpr_dispatch_ptr 0
		.amdhsa_user_sgpr_queue_ptr 0
		.amdhsa_user_sgpr_kernarg_segment_ptr 1
		.amdhsa_user_sgpr_dispatch_id 0
		.amdhsa_user_sgpr_kernarg_preload_length 0
		.amdhsa_user_sgpr_kernarg_preload_offset 0
		.amdhsa_user_sgpr_private_segment_size 0
		.amdhsa_uses_dynamic_stack 0
		.amdhsa_enable_private_segment 0
		.amdhsa_system_sgpr_workgroup_id_x 1
		.amdhsa_system_sgpr_workgroup_id_y 0
		.amdhsa_system_sgpr_workgroup_id_z 0
		.amdhsa_system_sgpr_workgroup_info 0
		.amdhsa_system_vgpr_workitem_id 0
		.amdhsa_next_free_vgpr 1
		.amdhsa_next_free_sgpr 0
		.amdhsa_accum_offset 4
		.amdhsa_reserve_vcc 0
		.amdhsa_float_round_mode_32 0
		.amdhsa_float_round_mode_16_64 0
		.amdhsa_float_denorm_mode_32 3
		.amdhsa_float_denorm_mode_16_64 3
		.amdhsa_dx10_clamp 1
		.amdhsa_ieee_mode 1
		.amdhsa_fp16_overflow 0
		.amdhsa_tg_split 0
		.amdhsa_exception_fp_ieee_invalid_op 0
		.amdhsa_exception_fp_denorm_src 0
		.amdhsa_exception_fp_ieee_div_zero 0
		.amdhsa_exception_fp_ieee_overflow 0
		.amdhsa_exception_fp_ieee_underflow 0
		.amdhsa_exception_fp_ieee_inexact 0
		.amdhsa_exception_int_div_zero 0
	.end_amdhsa_kernel
	.section	.text._ZN7rocprim17ROCPRIM_400000_NS6detail17trampoline_kernelINS0_14default_configENS1_37merge_sort_block_sort_config_selectorIlNS0_10empty_typeEEEZNS1_21merge_sort_block_sortIS3_PlS8_PS5_S9_ZN2at6native12_GLOBAL__N_124unique_dim_cuda_templateIiEESt5tupleIJNSA_6TensorESF_SF_EERKSF_lbbbEUlllE_EE10hipError_tT0_T1_T2_T3_mRjT4_P12ihipStream_tbNS1_7vsmem_tEEUlT_E_NS1_11comp_targetILNS1_3genE9ELNS1_11target_archE1100ELNS1_3gpuE3ELNS1_3repE0EEENS1_30default_config_static_selectorELNS0_4arch9wavefront6targetE1EEEvSM_,"axG",@progbits,_ZN7rocprim17ROCPRIM_400000_NS6detail17trampoline_kernelINS0_14default_configENS1_37merge_sort_block_sort_config_selectorIlNS0_10empty_typeEEEZNS1_21merge_sort_block_sortIS3_PlS8_PS5_S9_ZN2at6native12_GLOBAL__N_124unique_dim_cuda_templateIiEESt5tupleIJNSA_6TensorESF_SF_EERKSF_lbbbEUlllE_EE10hipError_tT0_T1_T2_T3_mRjT4_P12ihipStream_tbNS1_7vsmem_tEEUlT_E_NS1_11comp_targetILNS1_3genE9ELNS1_11target_archE1100ELNS1_3gpuE3ELNS1_3repE0EEENS1_30default_config_static_selectorELNS0_4arch9wavefront6targetE1EEEvSM_,comdat
.Lfunc_end393:
	.size	_ZN7rocprim17ROCPRIM_400000_NS6detail17trampoline_kernelINS0_14default_configENS1_37merge_sort_block_sort_config_selectorIlNS0_10empty_typeEEEZNS1_21merge_sort_block_sortIS3_PlS8_PS5_S9_ZN2at6native12_GLOBAL__N_124unique_dim_cuda_templateIiEESt5tupleIJNSA_6TensorESF_SF_EERKSF_lbbbEUlllE_EE10hipError_tT0_T1_T2_T3_mRjT4_P12ihipStream_tbNS1_7vsmem_tEEUlT_E_NS1_11comp_targetILNS1_3genE9ELNS1_11target_archE1100ELNS1_3gpuE3ELNS1_3repE0EEENS1_30default_config_static_selectorELNS0_4arch9wavefront6targetE1EEEvSM_, .Lfunc_end393-_ZN7rocprim17ROCPRIM_400000_NS6detail17trampoline_kernelINS0_14default_configENS1_37merge_sort_block_sort_config_selectorIlNS0_10empty_typeEEEZNS1_21merge_sort_block_sortIS3_PlS8_PS5_S9_ZN2at6native12_GLOBAL__N_124unique_dim_cuda_templateIiEESt5tupleIJNSA_6TensorESF_SF_EERKSF_lbbbEUlllE_EE10hipError_tT0_T1_T2_T3_mRjT4_P12ihipStream_tbNS1_7vsmem_tEEUlT_E_NS1_11comp_targetILNS1_3genE9ELNS1_11target_archE1100ELNS1_3gpuE3ELNS1_3repE0EEENS1_30default_config_static_selectorELNS0_4arch9wavefront6targetE1EEEvSM_
                                        ; -- End function
	.section	.AMDGPU.csdata,"",@progbits
; Kernel info:
; codeLenInByte = 0
; NumSgprs: 6
; NumVgprs: 0
; NumAgprs: 0
; TotalNumVgprs: 0
; ScratchSize: 0
; MemoryBound: 0
; FloatMode: 240
; IeeeMode: 1
; LDSByteSize: 0 bytes/workgroup (compile time only)
; SGPRBlocks: 0
; VGPRBlocks: 0
; NumSGPRsForWavesPerEU: 6
; NumVGPRsForWavesPerEU: 1
; AccumOffset: 4
; Occupancy: 8
; WaveLimiterHint : 0
; COMPUTE_PGM_RSRC2:SCRATCH_EN: 0
; COMPUTE_PGM_RSRC2:USER_SGPR: 2
; COMPUTE_PGM_RSRC2:TRAP_HANDLER: 0
; COMPUTE_PGM_RSRC2:TGID_X_EN: 1
; COMPUTE_PGM_RSRC2:TGID_Y_EN: 0
; COMPUTE_PGM_RSRC2:TGID_Z_EN: 0
; COMPUTE_PGM_RSRC2:TIDIG_COMP_CNT: 0
; COMPUTE_PGM_RSRC3_GFX90A:ACCUM_OFFSET: 0
; COMPUTE_PGM_RSRC3_GFX90A:TG_SPLIT: 0
	.section	.text._ZN7rocprim17ROCPRIM_400000_NS6detail17trampoline_kernelINS0_14default_configENS1_37merge_sort_block_sort_config_selectorIlNS0_10empty_typeEEEZNS1_21merge_sort_block_sortIS3_PlS8_PS5_S9_ZN2at6native12_GLOBAL__N_124unique_dim_cuda_templateIiEESt5tupleIJNSA_6TensorESF_SF_EERKSF_lbbbEUlllE_EE10hipError_tT0_T1_T2_T3_mRjT4_P12ihipStream_tbNS1_7vsmem_tEEUlT_E_NS1_11comp_targetILNS1_3genE8ELNS1_11target_archE1030ELNS1_3gpuE2ELNS1_3repE0EEENS1_30default_config_static_selectorELNS0_4arch9wavefront6targetE1EEEvSM_,"axG",@progbits,_ZN7rocprim17ROCPRIM_400000_NS6detail17trampoline_kernelINS0_14default_configENS1_37merge_sort_block_sort_config_selectorIlNS0_10empty_typeEEEZNS1_21merge_sort_block_sortIS3_PlS8_PS5_S9_ZN2at6native12_GLOBAL__N_124unique_dim_cuda_templateIiEESt5tupleIJNSA_6TensorESF_SF_EERKSF_lbbbEUlllE_EE10hipError_tT0_T1_T2_T3_mRjT4_P12ihipStream_tbNS1_7vsmem_tEEUlT_E_NS1_11comp_targetILNS1_3genE8ELNS1_11target_archE1030ELNS1_3gpuE2ELNS1_3repE0EEENS1_30default_config_static_selectorELNS0_4arch9wavefront6targetE1EEEvSM_,comdat
	.globl	_ZN7rocprim17ROCPRIM_400000_NS6detail17trampoline_kernelINS0_14default_configENS1_37merge_sort_block_sort_config_selectorIlNS0_10empty_typeEEEZNS1_21merge_sort_block_sortIS3_PlS8_PS5_S9_ZN2at6native12_GLOBAL__N_124unique_dim_cuda_templateIiEESt5tupleIJNSA_6TensorESF_SF_EERKSF_lbbbEUlllE_EE10hipError_tT0_T1_T2_T3_mRjT4_P12ihipStream_tbNS1_7vsmem_tEEUlT_E_NS1_11comp_targetILNS1_3genE8ELNS1_11target_archE1030ELNS1_3gpuE2ELNS1_3repE0EEENS1_30default_config_static_selectorELNS0_4arch9wavefront6targetE1EEEvSM_ ; -- Begin function _ZN7rocprim17ROCPRIM_400000_NS6detail17trampoline_kernelINS0_14default_configENS1_37merge_sort_block_sort_config_selectorIlNS0_10empty_typeEEEZNS1_21merge_sort_block_sortIS3_PlS8_PS5_S9_ZN2at6native12_GLOBAL__N_124unique_dim_cuda_templateIiEESt5tupleIJNSA_6TensorESF_SF_EERKSF_lbbbEUlllE_EE10hipError_tT0_T1_T2_T3_mRjT4_P12ihipStream_tbNS1_7vsmem_tEEUlT_E_NS1_11comp_targetILNS1_3genE8ELNS1_11target_archE1030ELNS1_3gpuE2ELNS1_3repE0EEENS1_30default_config_static_selectorELNS0_4arch9wavefront6targetE1EEEvSM_
	.p2align	8
	.type	_ZN7rocprim17ROCPRIM_400000_NS6detail17trampoline_kernelINS0_14default_configENS1_37merge_sort_block_sort_config_selectorIlNS0_10empty_typeEEEZNS1_21merge_sort_block_sortIS3_PlS8_PS5_S9_ZN2at6native12_GLOBAL__N_124unique_dim_cuda_templateIiEESt5tupleIJNSA_6TensorESF_SF_EERKSF_lbbbEUlllE_EE10hipError_tT0_T1_T2_T3_mRjT4_P12ihipStream_tbNS1_7vsmem_tEEUlT_E_NS1_11comp_targetILNS1_3genE8ELNS1_11target_archE1030ELNS1_3gpuE2ELNS1_3repE0EEENS1_30default_config_static_selectorELNS0_4arch9wavefront6targetE1EEEvSM_,@function
_ZN7rocprim17ROCPRIM_400000_NS6detail17trampoline_kernelINS0_14default_configENS1_37merge_sort_block_sort_config_selectorIlNS0_10empty_typeEEEZNS1_21merge_sort_block_sortIS3_PlS8_PS5_S9_ZN2at6native12_GLOBAL__N_124unique_dim_cuda_templateIiEESt5tupleIJNSA_6TensorESF_SF_EERKSF_lbbbEUlllE_EE10hipError_tT0_T1_T2_T3_mRjT4_P12ihipStream_tbNS1_7vsmem_tEEUlT_E_NS1_11comp_targetILNS1_3genE8ELNS1_11target_archE1030ELNS1_3gpuE2ELNS1_3repE0EEENS1_30default_config_static_selectorELNS0_4arch9wavefront6targetE1EEEvSM_: ; @_ZN7rocprim17ROCPRIM_400000_NS6detail17trampoline_kernelINS0_14default_configENS1_37merge_sort_block_sort_config_selectorIlNS0_10empty_typeEEEZNS1_21merge_sort_block_sortIS3_PlS8_PS5_S9_ZN2at6native12_GLOBAL__N_124unique_dim_cuda_templateIiEESt5tupleIJNSA_6TensorESF_SF_EERKSF_lbbbEUlllE_EE10hipError_tT0_T1_T2_T3_mRjT4_P12ihipStream_tbNS1_7vsmem_tEEUlT_E_NS1_11comp_targetILNS1_3genE8ELNS1_11target_archE1030ELNS1_3gpuE2ELNS1_3repE0EEENS1_30default_config_static_selectorELNS0_4arch9wavefront6targetE1EEEvSM_
; %bb.0:
	.section	.rodata,"a",@progbits
	.p2align	6, 0x0
	.amdhsa_kernel _ZN7rocprim17ROCPRIM_400000_NS6detail17trampoline_kernelINS0_14default_configENS1_37merge_sort_block_sort_config_selectorIlNS0_10empty_typeEEEZNS1_21merge_sort_block_sortIS3_PlS8_PS5_S9_ZN2at6native12_GLOBAL__N_124unique_dim_cuda_templateIiEESt5tupleIJNSA_6TensorESF_SF_EERKSF_lbbbEUlllE_EE10hipError_tT0_T1_T2_T3_mRjT4_P12ihipStream_tbNS1_7vsmem_tEEUlT_E_NS1_11comp_targetILNS1_3genE8ELNS1_11target_archE1030ELNS1_3gpuE2ELNS1_3repE0EEENS1_30default_config_static_selectorELNS0_4arch9wavefront6targetE1EEEvSM_
		.amdhsa_group_segment_fixed_size 0
		.amdhsa_private_segment_fixed_size 0
		.amdhsa_kernarg_size 72
		.amdhsa_user_sgpr_count 2
		.amdhsa_user_sgpr_dispatch_ptr 0
		.amdhsa_user_sgpr_queue_ptr 0
		.amdhsa_user_sgpr_kernarg_segment_ptr 1
		.amdhsa_user_sgpr_dispatch_id 0
		.amdhsa_user_sgpr_kernarg_preload_length 0
		.amdhsa_user_sgpr_kernarg_preload_offset 0
		.amdhsa_user_sgpr_private_segment_size 0
		.amdhsa_uses_dynamic_stack 0
		.amdhsa_enable_private_segment 0
		.amdhsa_system_sgpr_workgroup_id_x 1
		.amdhsa_system_sgpr_workgroup_id_y 0
		.amdhsa_system_sgpr_workgroup_id_z 0
		.amdhsa_system_sgpr_workgroup_info 0
		.amdhsa_system_vgpr_workitem_id 0
		.amdhsa_next_free_vgpr 1
		.amdhsa_next_free_sgpr 0
		.amdhsa_accum_offset 4
		.amdhsa_reserve_vcc 0
		.amdhsa_float_round_mode_32 0
		.amdhsa_float_round_mode_16_64 0
		.amdhsa_float_denorm_mode_32 3
		.amdhsa_float_denorm_mode_16_64 3
		.amdhsa_dx10_clamp 1
		.amdhsa_ieee_mode 1
		.amdhsa_fp16_overflow 0
		.amdhsa_tg_split 0
		.amdhsa_exception_fp_ieee_invalid_op 0
		.amdhsa_exception_fp_denorm_src 0
		.amdhsa_exception_fp_ieee_div_zero 0
		.amdhsa_exception_fp_ieee_overflow 0
		.amdhsa_exception_fp_ieee_underflow 0
		.amdhsa_exception_fp_ieee_inexact 0
		.amdhsa_exception_int_div_zero 0
	.end_amdhsa_kernel
	.section	.text._ZN7rocprim17ROCPRIM_400000_NS6detail17trampoline_kernelINS0_14default_configENS1_37merge_sort_block_sort_config_selectorIlNS0_10empty_typeEEEZNS1_21merge_sort_block_sortIS3_PlS8_PS5_S9_ZN2at6native12_GLOBAL__N_124unique_dim_cuda_templateIiEESt5tupleIJNSA_6TensorESF_SF_EERKSF_lbbbEUlllE_EE10hipError_tT0_T1_T2_T3_mRjT4_P12ihipStream_tbNS1_7vsmem_tEEUlT_E_NS1_11comp_targetILNS1_3genE8ELNS1_11target_archE1030ELNS1_3gpuE2ELNS1_3repE0EEENS1_30default_config_static_selectorELNS0_4arch9wavefront6targetE1EEEvSM_,"axG",@progbits,_ZN7rocprim17ROCPRIM_400000_NS6detail17trampoline_kernelINS0_14default_configENS1_37merge_sort_block_sort_config_selectorIlNS0_10empty_typeEEEZNS1_21merge_sort_block_sortIS3_PlS8_PS5_S9_ZN2at6native12_GLOBAL__N_124unique_dim_cuda_templateIiEESt5tupleIJNSA_6TensorESF_SF_EERKSF_lbbbEUlllE_EE10hipError_tT0_T1_T2_T3_mRjT4_P12ihipStream_tbNS1_7vsmem_tEEUlT_E_NS1_11comp_targetILNS1_3genE8ELNS1_11target_archE1030ELNS1_3gpuE2ELNS1_3repE0EEENS1_30default_config_static_selectorELNS0_4arch9wavefront6targetE1EEEvSM_,comdat
.Lfunc_end394:
	.size	_ZN7rocprim17ROCPRIM_400000_NS6detail17trampoline_kernelINS0_14default_configENS1_37merge_sort_block_sort_config_selectorIlNS0_10empty_typeEEEZNS1_21merge_sort_block_sortIS3_PlS8_PS5_S9_ZN2at6native12_GLOBAL__N_124unique_dim_cuda_templateIiEESt5tupleIJNSA_6TensorESF_SF_EERKSF_lbbbEUlllE_EE10hipError_tT0_T1_T2_T3_mRjT4_P12ihipStream_tbNS1_7vsmem_tEEUlT_E_NS1_11comp_targetILNS1_3genE8ELNS1_11target_archE1030ELNS1_3gpuE2ELNS1_3repE0EEENS1_30default_config_static_selectorELNS0_4arch9wavefront6targetE1EEEvSM_, .Lfunc_end394-_ZN7rocprim17ROCPRIM_400000_NS6detail17trampoline_kernelINS0_14default_configENS1_37merge_sort_block_sort_config_selectorIlNS0_10empty_typeEEEZNS1_21merge_sort_block_sortIS3_PlS8_PS5_S9_ZN2at6native12_GLOBAL__N_124unique_dim_cuda_templateIiEESt5tupleIJNSA_6TensorESF_SF_EERKSF_lbbbEUlllE_EE10hipError_tT0_T1_T2_T3_mRjT4_P12ihipStream_tbNS1_7vsmem_tEEUlT_E_NS1_11comp_targetILNS1_3genE8ELNS1_11target_archE1030ELNS1_3gpuE2ELNS1_3repE0EEENS1_30default_config_static_selectorELNS0_4arch9wavefront6targetE1EEEvSM_
                                        ; -- End function
	.section	.AMDGPU.csdata,"",@progbits
; Kernel info:
; codeLenInByte = 0
; NumSgprs: 6
; NumVgprs: 0
; NumAgprs: 0
; TotalNumVgprs: 0
; ScratchSize: 0
; MemoryBound: 0
; FloatMode: 240
; IeeeMode: 1
; LDSByteSize: 0 bytes/workgroup (compile time only)
; SGPRBlocks: 0
; VGPRBlocks: 0
; NumSGPRsForWavesPerEU: 6
; NumVGPRsForWavesPerEU: 1
; AccumOffset: 4
; Occupancy: 8
; WaveLimiterHint : 0
; COMPUTE_PGM_RSRC2:SCRATCH_EN: 0
; COMPUTE_PGM_RSRC2:USER_SGPR: 2
; COMPUTE_PGM_RSRC2:TRAP_HANDLER: 0
; COMPUTE_PGM_RSRC2:TGID_X_EN: 1
; COMPUTE_PGM_RSRC2:TGID_Y_EN: 0
; COMPUTE_PGM_RSRC2:TGID_Z_EN: 0
; COMPUTE_PGM_RSRC2:TIDIG_COMP_CNT: 0
; COMPUTE_PGM_RSRC3_GFX90A:ACCUM_OFFSET: 0
; COMPUTE_PGM_RSRC3_GFX90A:TG_SPLIT: 0
	.section	.text._ZN7rocprim17ROCPRIM_400000_NS6detail17trampoline_kernelINS0_14default_configENS1_38merge_sort_block_merge_config_selectorIlNS0_10empty_typeEEEZZNS1_27merge_sort_block_merge_implIS3_PlPS5_mZN2at6native12_GLOBAL__N_124unique_dim_cuda_templateIiEESt5tupleIJNSA_6TensorESF_SF_EERKSF_lbbbEUlllE_EE10hipError_tT0_T1_T2_jT3_P12ihipStream_tbPNSt15iterator_traitsISL_E10value_typeEPNSR_ISM_E10value_typeEPSN_NS1_7vsmem_tEENKUlT_SL_SM_SN_E_clIS8_S8_S9_S9_EESK_S10_SL_SM_SN_EUlS10_E_NS1_11comp_targetILNS1_3genE0ELNS1_11target_archE4294967295ELNS1_3gpuE0ELNS1_3repE0EEENS1_48merge_mergepath_partition_config_static_selectorELNS0_4arch9wavefront6targetE1EEEvSM_,"axG",@progbits,_ZN7rocprim17ROCPRIM_400000_NS6detail17trampoline_kernelINS0_14default_configENS1_38merge_sort_block_merge_config_selectorIlNS0_10empty_typeEEEZZNS1_27merge_sort_block_merge_implIS3_PlPS5_mZN2at6native12_GLOBAL__N_124unique_dim_cuda_templateIiEESt5tupleIJNSA_6TensorESF_SF_EERKSF_lbbbEUlllE_EE10hipError_tT0_T1_T2_jT3_P12ihipStream_tbPNSt15iterator_traitsISL_E10value_typeEPNSR_ISM_E10value_typeEPSN_NS1_7vsmem_tEENKUlT_SL_SM_SN_E_clIS8_S8_S9_S9_EESK_S10_SL_SM_SN_EUlS10_E_NS1_11comp_targetILNS1_3genE0ELNS1_11target_archE4294967295ELNS1_3gpuE0ELNS1_3repE0EEENS1_48merge_mergepath_partition_config_static_selectorELNS0_4arch9wavefront6targetE1EEEvSM_,comdat
	.globl	_ZN7rocprim17ROCPRIM_400000_NS6detail17trampoline_kernelINS0_14default_configENS1_38merge_sort_block_merge_config_selectorIlNS0_10empty_typeEEEZZNS1_27merge_sort_block_merge_implIS3_PlPS5_mZN2at6native12_GLOBAL__N_124unique_dim_cuda_templateIiEESt5tupleIJNSA_6TensorESF_SF_EERKSF_lbbbEUlllE_EE10hipError_tT0_T1_T2_jT3_P12ihipStream_tbPNSt15iterator_traitsISL_E10value_typeEPNSR_ISM_E10value_typeEPSN_NS1_7vsmem_tEENKUlT_SL_SM_SN_E_clIS8_S8_S9_S9_EESK_S10_SL_SM_SN_EUlS10_E_NS1_11comp_targetILNS1_3genE0ELNS1_11target_archE4294967295ELNS1_3gpuE0ELNS1_3repE0EEENS1_48merge_mergepath_partition_config_static_selectorELNS0_4arch9wavefront6targetE1EEEvSM_ ; -- Begin function _ZN7rocprim17ROCPRIM_400000_NS6detail17trampoline_kernelINS0_14default_configENS1_38merge_sort_block_merge_config_selectorIlNS0_10empty_typeEEEZZNS1_27merge_sort_block_merge_implIS3_PlPS5_mZN2at6native12_GLOBAL__N_124unique_dim_cuda_templateIiEESt5tupleIJNSA_6TensorESF_SF_EERKSF_lbbbEUlllE_EE10hipError_tT0_T1_T2_jT3_P12ihipStream_tbPNSt15iterator_traitsISL_E10value_typeEPNSR_ISM_E10value_typeEPSN_NS1_7vsmem_tEENKUlT_SL_SM_SN_E_clIS8_S8_S9_S9_EESK_S10_SL_SM_SN_EUlS10_E_NS1_11comp_targetILNS1_3genE0ELNS1_11target_archE4294967295ELNS1_3gpuE0ELNS1_3repE0EEENS1_48merge_mergepath_partition_config_static_selectorELNS0_4arch9wavefront6targetE1EEEvSM_
	.p2align	8
	.type	_ZN7rocprim17ROCPRIM_400000_NS6detail17trampoline_kernelINS0_14default_configENS1_38merge_sort_block_merge_config_selectorIlNS0_10empty_typeEEEZZNS1_27merge_sort_block_merge_implIS3_PlPS5_mZN2at6native12_GLOBAL__N_124unique_dim_cuda_templateIiEESt5tupleIJNSA_6TensorESF_SF_EERKSF_lbbbEUlllE_EE10hipError_tT0_T1_T2_jT3_P12ihipStream_tbPNSt15iterator_traitsISL_E10value_typeEPNSR_ISM_E10value_typeEPSN_NS1_7vsmem_tEENKUlT_SL_SM_SN_E_clIS8_S8_S9_S9_EESK_S10_SL_SM_SN_EUlS10_E_NS1_11comp_targetILNS1_3genE0ELNS1_11target_archE4294967295ELNS1_3gpuE0ELNS1_3repE0EEENS1_48merge_mergepath_partition_config_static_selectorELNS0_4arch9wavefront6targetE1EEEvSM_,@function
_ZN7rocprim17ROCPRIM_400000_NS6detail17trampoline_kernelINS0_14default_configENS1_38merge_sort_block_merge_config_selectorIlNS0_10empty_typeEEEZZNS1_27merge_sort_block_merge_implIS3_PlPS5_mZN2at6native12_GLOBAL__N_124unique_dim_cuda_templateIiEESt5tupleIJNSA_6TensorESF_SF_EERKSF_lbbbEUlllE_EE10hipError_tT0_T1_T2_jT3_P12ihipStream_tbPNSt15iterator_traitsISL_E10value_typeEPNSR_ISM_E10value_typeEPSN_NS1_7vsmem_tEENKUlT_SL_SM_SN_E_clIS8_S8_S9_S9_EESK_S10_SL_SM_SN_EUlS10_E_NS1_11comp_targetILNS1_3genE0ELNS1_11target_archE4294967295ELNS1_3gpuE0ELNS1_3repE0EEENS1_48merge_mergepath_partition_config_static_selectorELNS0_4arch9wavefront6targetE1EEEvSM_: ; @_ZN7rocprim17ROCPRIM_400000_NS6detail17trampoline_kernelINS0_14default_configENS1_38merge_sort_block_merge_config_selectorIlNS0_10empty_typeEEEZZNS1_27merge_sort_block_merge_implIS3_PlPS5_mZN2at6native12_GLOBAL__N_124unique_dim_cuda_templateIiEESt5tupleIJNSA_6TensorESF_SF_EERKSF_lbbbEUlllE_EE10hipError_tT0_T1_T2_jT3_P12ihipStream_tbPNSt15iterator_traitsISL_E10value_typeEPNSR_ISM_E10value_typeEPSN_NS1_7vsmem_tEENKUlT_SL_SM_SN_E_clIS8_S8_S9_S9_EESK_S10_SL_SM_SN_EUlS10_E_NS1_11comp_targetILNS1_3genE0ELNS1_11target_archE4294967295ELNS1_3gpuE0ELNS1_3repE0EEENS1_48merge_mergepath_partition_config_static_selectorELNS0_4arch9wavefront6targetE1EEEvSM_
; %bb.0:
	.section	.rodata,"a",@progbits
	.p2align	6, 0x0
	.amdhsa_kernel _ZN7rocprim17ROCPRIM_400000_NS6detail17trampoline_kernelINS0_14default_configENS1_38merge_sort_block_merge_config_selectorIlNS0_10empty_typeEEEZZNS1_27merge_sort_block_merge_implIS3_PlPS5_mZN2at6native12_GLOBAL__N_124unique_dim_cuda_templateIiEESt5tupleIJNSA_6TensorESF_SF_EERKSF_lbbbEUlllE_EE10hipError_tT0_T1_T2_jT3_P12ihipStream_tbPNSt15iterator_traitsISL_E10value_typeEPNSR_ISM_E10value_typeEPSN_NS1_7vsmem_tEENKUlT_SL_SM_SN_E_clIS8_S8_S9_S9_EESK_S10_SL_SM_SN_EUlS10_E_NS1_11comp_targetILNS1_3genE0ELNS1_11target_archE4294967295ELNS1_3gpuE0ELNS1_3repE0EEENS1_48merge_mergepath_partition_config_static_selectorELNS0_4arch9wavefront6targetE1EEEvSM_
		.amdhsa_group_segment_fixed_size 0
		.amdhsa_private_segment_fixed_size 0
		.amdhsa_kernarg_size 56
		.amdhsa_user_sgpr_count 2
		.amdhsa_user_sgpr_dispatch_ptr 0
		.amdhsa_user_sgpr_queue_ptr 0
		.amdhsa_user_sgpr_kernarg_segment_ptr 1
		.amdhsa_user_sgpr_dispatch_id 0
		.amdhsa_user_sgpr_kernarg_preload_length 0
		.amdhsa_user_sgpr_kernarg_preload_offset 0
		.amdhsa_user_sgpr_private_segment_size 0
		.amdhsa_uses_dynamic_stack 0
		.amdhsa_enable_private_segment 0
		.amdhsa_system_sgpr_workgroup_id_x 1
		.amdhsa_system_sgpr_workgroup_id_y 0
		.amdhsa_system_sgpr_workgroup_id_z 0
		.amdhsa_system_sgpr_workgroup_info 0
		.amdhsa_system_vgpr_workitem_id 0
		.amdhsa_next_free_vgpr 1
		.amdhsa_next_free_sgpr 0
		.amdhsa_accum_offset 4
		.amdhsa_reserve_vcc 0
		.amdhsa_float_round_mode_32 0
		.amdhsa_float_round_mode_16_64 0
		.amdhsa_float_denorm_mode_32 3
		.amdhsa_float_denorm_mode_16_64 3
		.amdhsa_dx10_clamp 1
		.amdhsa_ieee_mode 1
		.amdhsa_fp16_overflow 0
		.amdhsa_tg_split 0
		.amdhsa_exception_fp_ieee_invalid_op 0
		.amdhsa_exception_fp_denorm_src 0
		.amdhsa_exception_fp_ieee_div_zero 0
		.amdhsa_exception_fp_ieee_overflow 0
		.amdhsa_exception_fp_ieee_underflow 0
		.amdhsa_exception_fp_ieee_inexact 0
		.amdhsa_exception_int_div_zero 0
	.end_amdhsa_kernel
	.section	.text._ZN7rocprim17ROCPRIM_400000_NS6detail17trampoline_kernelINS0_14default_configENS1_38merge_sort_block_merge_config_selectorIlNS0_10empty_typeEEEZZNS1_27merge_sort_block_merge_implIS3_PlPS5_mZN2at6native12_GLOBAL__N_124unique_dim_cuda_templateIiEESt5tupleIJNSA_6TensorESF_SF_EERKSF_lbbbEUlllE_EE10hipError_tT0_T1_T2_jT3_P12ihipStream_tbPNSt15iterator_traitsISL_E10value_typeEPNSR_ISM_E10value_typeEPSN_NS1_7vsmem_tEENKUlT_SL_SM_SN_E_clIS8_S8_S9_S9_EESK_S10_SL_SM_SN_EUlS10_E_NS1_11comp_targetILNS1_3genE0ELNS1_11target_archE4294967295ELNS1_3gpuE0ELNS1_3repE0EEENS1_48merge_mergepath_partition_config_static_selectorELNS0_4arch9wavefront6targetE1EEEvSM_,"axG",@progbits,_ZN7rocprim17ROCPRIM_400000_NS6detail17trampoline_kernelINS0_14default_configENS1_38merge_sort_block_merge_config_selectorIlNS0_10empty_typeEEEZZNS1_27merge_sort_block_merge_implIS3_PlPS5_mZN2at6native12_GLOBAL__N_124unique_dim_cuda_templateIiEESt5tupleIJNSA_6TensorESF_SF_EERKSF_lbbbEUlllE_EE10hipError_tT0_T1_T2_jT3_P12ihipStream_tbPNSt15iterator_traitsISL_E10value_typeEPNSR_ISM_E10value_typeEPSN_NS1_7vsmem_tEENKUlT_SL_SM_SN_E_clIS8_S8_S9_S9_EESK_S10_SL_SM_SN_EUlS10_E_NS1_11comp_targetILNS1_3genE0ELNS1_11target_archE4294967295ELNS1_3gpuE0ELNS1_3repE0EEENS1_48merge_mergepath_partition_config_static_selectorELNS0_4arch9wavefront6targetE1EEEvSM_,comdat
.Lfunc_end395:
	.size	_ZN7rocprim17ROCPRIM_400000_NS6detail17trampoline_kernelINS0_14default_configENS1_38merge_sort_block_merge_config_selectorIlNS0_10empty_typeEEEZZNS1_27merge_sort_block_merge_implIS3_PlPS5_mZN2at6native12_GLOBAL__N_124unique_dim_cuda_templateIiEESt5tupleIJNSA_6TensorESF_SF_EERKSF_lbbbEUlllE_EE10hipError_tT0_T1_T2_jT3_P12ihipStream_tbPNSt15iterator_traitsISL_E10value_typeEPNSR_ISM_E10value_typeEPSN_NS1_7vsmem_tEENKUlT_SL_SM_SN_E_clIS8_S8_S9_S9_EESK_S10_SL_SM_SN_EUlS10_E_NS1_11comp_targetILNS1_3genE0ELNS1_11target_archE4294967295ELNS1_3gpuE0ELNS1_3repE0EEENS1_48merge_mergepath_partition_config_static_selectorELNS0_4arch9wavefront6targetE1EEEvSM_, .Lfunc_end395-_ZN7rocprim17ROCPRIM_400000_NS6detail17trampoline_kernelINS0_14default_configENS1_38merge_sort_block_merge_config_selectorIlNS0_10empty_typeEEEZZNS1_27merge_sort_block_merge_implIS3_PlPS5_mZN2at6native12_GLOBAL__N_124unique_dim_cuda_templateIiEESt5tupleIJNSA_6TensorESF_SF_EERKSF_lbbbEUlllE_EE10hipError_tT0_T1_T2_jT3_P12ihipStream_tbPNSt15iterator_traitsISL_E10value_typeEPNSR_ISM_E10value_typeEPSN_NS1_7vsmem_tEENKUlT_SL_SM_SN_E_clIS8_S8_S9_S9_EESK_S10_SL_SM_SN_EUlS10_E_NS1_11comp_targetILNS1_3genE0ELNS1_11target_archE4294967295ELNS1_3gpuE0ELNS1_3repE0EEENS1_48merge_mergepath_partition_config_static_selectorELNS0_4arch9wavefront6targetE1EEEvSM_
                                        ; -- End function
	.section	.AMDGPU.csdata,"",@progbits
; Kernel info:
; codeLenInByte = 0
; NumSgprs: 6
; NumVgprs: 0
; NumAgprs: 0
; TotalNumVgprs: 0
; ScratchSize: 0
; MemoryBound: 0
; FloatMode: 240
; IeeeMode: 1
; LDSByteSize: 0 bytes/workgroup (compile time only)
; SGPRBlocks: 0
; VGPRBlocks: 0
; NumSGPRsForWavesPerEU: 6
; NumVGPRsForWavesPerEU: 1
; AccumOffset: 4
; Occupancy: 8
; WaveLimiterHint : 0
; COMPUTE_PGM_RSRC2:SCRATCH_EN: 0
; COMPUTE_PGM_RSRC2:USER_SGPR: 2
; COMPUTE_PGM_RSRC2:TRAP_HANDLER: 0
; COMPUTE_PGM_RSRC2:TGID_X_EN: 1
; COMPUTE_PGM_RSRC2:TGID_Y_EN: 0
; COMPUTE_PGM_RSRC2:TGID_Z_EN: 0
; COMPUTE_PGM_RSRC2:TIDIG_COMP_CNT: 0
; COMPUTE_PGM_RSRC3_GFX90A:ACCUM_OFFSET: 0
; COMPUTE_PGM_RSRC3_GFX90A:TG_SPLIT: 0
	.section	.text._ZN7rocprim17ROCPRIM_400000_NS6detail17trampoline_kernelINS0_14default_configENS1_38merge_sort_block_merge_config_selectorIlNS0_10empty_typeEEEZZNS1_27merge_sort_block_merge_implIS3_PlPS5_mZN2at6native12_GLOBAL__N_124unique_dim_cuda_templateIiEESt5tupleIJNSA_6TensorESF_SF_EERKSF_lbbbEUlllE_EE10hipError_tT0_T1_T2_jT3_P12ihipStream_tbPNSt15iterator_traitsISL_E10value_typeEPNSR_ISM_E10value_typeEPSN_NS1_7vsmem_tEENKUlT_SL_SM_SN_E_clIS8_S8_S9_S9_EESK_S10_SL_SM_SN_EUlS10_E_NS1_11comp_targetILNS1_3genE10ELNS1_11target_archE1201ELNS1_3gpuE5ELNS1_3repE0EEENS1_48merge_mergepath_partition_config_static_selectorELNS0_4arch9wavefront6targetE1EEEvSM_,"axG",@progbits,_ZN7rocprim17ROCPRIM_400000_NS6detail17trampoline_kernelINS0_14default_configENS1_38merge_sort_block_merge_config_selectorIlNS0_10empty_typeEEEZZNS1_27merge_sort_block_merge_implIS3_PlPS5_mZN2at6native12_GLOBAL__N_124unique_dim_cuda_templateIiEESt5tupleIJNSA_6TensorESF_SF_EERKSF_lbbbEUlllE_EE10hipError_tT0_T1_T2_jT3_P12ihipStream_tbPNSt15iterator_traitsISL_E10value_typeEPNSR_ISM_E10value_typeEPSN_NS1_7vsmem_tEENKUlT_SL_SM_SN_E_clIS8_S8_S9_S9_EESK_S10_SL_SM_SN_EUlS10_E_NS1_11comp_targetILNS1_3genE10ELNS1_11target_archE1201ELNS1_3gpuE5ELNS1_3repE0EEENS1_48merge_mergepath_partition_config_static_selectorELNS0_4arch9wavefront6targetE1EEEvSM_,comdat
	.globl	_ZN7rocprim17ROCPRIM_400000_NS6detail17trampoline_kernelINS0_14default_configENS1_38merge_sort_block_merge_config_selectorIlNS0_10empty_typeEEEZZNS1_27merge_sort_block_merge_implIS3_PlPS5_mZN2at6native12_GLOBAL__N_124unique_dim_cuda_templateIiEESt5tupleIJNSA_6TensorESF_SF_EERKSF_lbbbEUlllE_EE10hipError_tT0_T1_T2_jT3_P12ihipStream_tbPNSt15iterator_traitsISL_E10value_typeEPNSR_ISM_E10value_typeEPSN_NS1_7vsmem_tEENKUlT_SL_SM_SN_E_clIS8_S8_S9_S9_EESK_S10_SL_SM_SN_EUlS10_E_NS1_11comp_targetILNS1_3genE10ELNS1_11target_archE1201ELNS1_3gpuE5ELNS1_3repE0EEENS1_48merge_mergepath_partition_config_static_selectorELNS0_4arch9wavefront6targetE1EEEvSM_ ; -- Begin function _ZN7rocprim17ROCPRIM_400000_NS6detail17trampoline_kernelINS0_14default_configENS1_38merge_sort_block_merge_config_selectorIlNS0_10empty_typeEEEZZNS1_27merge_sort_block_merge_implIS3_PlPS5_mZN2at6native12_GLOBAL__N_124unique_dim_cuda_templateIiEESt5tupleIJNSA_6TensorESF_SF_EERKSF_lbbbEUlllE_EE10hipError_tT0_T1_T2_jT3_P12ihipStream_tbPNSt15iterator_traitsISL_E10value_typeEPNSR_ISM_E10value_typeEPSN_NS1_7vsmem_tEENKUlT_SL_SM_SN_E_clIS8_S8_S9_S9_EESK_S10_SL_SM_SN_EUlS10_E_NS1_11comp_targetILNS1_3genE10ELNS1_11target_archE1201ELNS1_3gpuE5ELNS1_3repE0EEENS1_48merge_mergepath_partition_config_static_selectorELNS0_4arch9wavefront6targetE1EEEvSM_
	.p2align	8
	.type	_ZN7rocprim17ROCPRIM_400000_NS6detail17trampoline_kernelINS0_14default_configENS1_38merge_sort_block_merge_config_selectorIlNS0_10empty_typeEEEZZNS1_27merge_sort_block_merge_implIS3_PlPS5_mZN2at6native12_GLOBAL__N_124unique_dim_cuda_templateIiEESt5tupleIJNSA_6TensorESF_SF_EERKSF_lbbbEUlllE_EE10hipError_tT0_T1_T2_jT3_P12ihipStream_tbPNSt15iterator_traitsISL_E10value_typeEPNSR_ISM_E10value_typeEPSN_NS1_7vsmem_tEENKUlT_SL_SM_SN_E_clIS8_S8_S9_S9_EESK_S10_SL_SM_SN_EUlS10_E_NS1_11comp_targetILNS1_3genE10ELNS1_11target_archE1201ELNS1_3gpuE5ELNS1_3repE0EEENS1_48merge_mergepath_partition_config_static_selectorELNS0_4arch9wavefront6targetE1EEEvSM_,@function
_ZN7rocprim17ROCPRIM_400000_NS6detail17trampoline_kernelINS0_14default_configENS1_38merge_sort_block_merge_config_selectorIlNS0_10empty_typeEEEZZNS1_27merge_sort_block_merge_implIS3_PlPS5_mZN2at6native12_GLOBAL__N_124unique_dim_cuda_templateIiEESt5tupleIJNSA_6TensorESF_SF_EERKSF_lbbbEUlllE_EE10hipError_tT0_T1_T2_jT3_P12ihipStream_tbPNSt15iterator_traitsISL_E10value_typeEPNSR_ISM_E10value_typeEPSN_NS1_7vsmem_tEENKUlT_SL_SM_SN_E_clIS8_S8_S9_S9_EESK_S10_SL_SM_SN_EUlS10_E_NS1_11comp_targetILNS1_3genE10ELNS1_11target_archE1201ELNS1_3gpuE5ELNS1_3repE0EEENS1_48merge_mergepath_partition_config_static_selectorELNS0_4arch9wavefront6targetE1EEEvSM_: ; @_ZN7rocprim17ROCPRIM_400000_NS6detail17trampoline_kernelINS0_14default_configENS1_38merge_sort_block_merge_config_selectorIlNS0_10empty_typeEEEZZNS1_27merge_sort_block_merge_implIS3_PlPS5_mZN2at6native12_GLOBAL__N_124unique_dim_cuda_templateIiEESt5tupleIJNSA_6TensorESF_SF_EERKSF_lbbbEUlllE_EE10hipError_tT0_T1_T2_jT3_P12ihipStream_tbPNSt15iterator_traitsISL_E10value_typeEPNSR_ISM_E10value_typeEPSN_NS1_7vsmem_tEENKUlT_SL_SM_SN_E_clIS8_S8_S9_S9_EESK_S10_SL_SM_SN_EUlS10_E_NS1_11comp_targetILNS1_3genE10ELNS1_11target_archE1201ELNS1_3gpuE5ELNS1_3repE0EEENS1_48merge_mergepath_partition_config_static_selectorELNS0_4arch9wavefront6targetE1EEEvSM_
; %bb.0:
	.section	.rodata,"a",@progbits
	.p2align	6, 0x0
	.amdhsa_kernel _ZN7rocprim17ROCPRIM_400000_NS6detail17trampoline_kernelINS0_14default_configENS1_38merge_sort_block_merge_config_selectorIlNS0_10empty_typeEEEZZNS1_27merge_sort_block_merge_implIS3_PlPS5_mZN2at6native12_GLOBAL__N_124unique_dim_cuda_templateIiEESt5tupleIJNSA_6TensorESF_SF_EERKSF_lbbbEUlllE_EE10hipError_tT0_T1_T2_jT3_P12ihipStream_tbPNSt15iterator_traitsISL_E10value_typeEPNSR_ISM_E10value_typeEPSN_NS1_7vsmem_tEENKUlT_SL_SM_SN_E_clIS8_S8_S9_S9_EESK_S10_SL_SM_SN_EUlS10_E_NS1_11comp_targetILNS1_3genE10ELNS1_11target_archE1201ELNS1_3gpuE5ELNS1_3repE0EEENS1_48merge_mergepath_partition_config_static_selectorELNS0_4arch9wavefront6targetE1EEEvSM_
		.amdhsa_group_segment_fixed_size 0
		.amdhsa_private_segment_fixed_size 0
		.amdhsa_kernarg_size 56
		.amdhsa_user_sgpr_count 2
		.amdhsa_user_sgpr_dispatch_ptr 0
		.amdhsa_user_sgpr_queue_ptr 0
		.amdhsa_user_sgpr_kernarg_segment_ptr 1
		.amdhsa_user_sgpr_dispatch_id 0
		.amdhsa_user_sgpr_kernarg_preload_length 0
		.amdhsa_user_sgpr_kernarg_preload_offset 0
		.amdhsa_user_sgpr_private_segment_size 0
		.amdhsa_uses_dynamic_stack 0
		.amdhsa_enable_private_segment 0
		.amdhsa_system_sgpr_workgroup_id_x 1
		.amdhsa_system_sgpr_workgroup_id_y 0
		.amdhsa_system_sgpr_workgroup_id_z 0
		.amdhsa_system_sgpr_workgroup_info 0
		.amdhsa_system_vgpr_workitem_id 0
		.amdhsa_next_free_vgpr 1
		.amdhsa_next_free_sgpr 0
		.amdhsa_accum_offset 4
		.amdhsa_reserve_vcc 0
		.amdhsa_float_round_mode_32 0
		.amdhsa_float_round_mode_16_64 0
		.amdhsa_float_denorm_mode_32 3
		.amdhsa_float_denorm_mode_16_64 3
		.amdhsa_dx10_clamp 1
		.amdhsa_ieee_mode 1
		.amdhsa_fp16_overflow 0
		.amdhsa_tg_split 0
		.amdhsa_exception_fp_ieee_invalid_op 0
		.amdhsa_exception_fp_denorm_src 0
		.amdhsa_exception_fp_ieee_div_zero 0
		.amdhsa_exception_fp_ieee_overflow 0
		.amdhsa_exception_fp_ieee_underflow 0
		.amdhsa_exception_fp_ieee_inexact 0
		.amdhsa_exception_int_div_zero 0
	.end_amdhsa_kernel
	.section	.text._ZN7rocprim17ROCPRIM_400000_NS6detail17trampoline_kernelINS0_14default_configENS1_38merge_sort_block_merge_config_selectorIlNS0_10empty_typeEEEZZNS1_27merge_sort_block_merge_implIS3_PlPS5_mZN2at6native12_GLOBAL__N_124unique_dim_cuda_templateIiEESt5tupleIJNSA_6TensorESF_SF_EERKSF_lbbbEUlllE_EE10hipError_tT0_T1_T2_jT3_P12ihipStream_tbPNSt15iterator_traitsISL_E10value_typeEPNSR_ISM_E10value_typeEPSN_NS1_7vsmem_tEENKUlT_SL_SM_SN_E_clIS8_S8_S9_S9_EESK_S10_SL_SM_SN_EUlS10_E_NS1_11comp_targetILNS1_3genE10ELNS1_11target_archE1201ELNS1_3gpuE5ELNS1_3repE0EEENS1_48merge_mergepath_partition_config_static_selectorELNS0_4arch9wavefront6targetE1EEEvSM_,"axG",@progbits,_ZN7rocprim17ROCPRIM_400000_NS6detail17trampoline_kernelINS0_14default_configENS1_38merge_sort_block_merge_config_selectorIlNS0_10empty_typeEEEZZNS1_27merge_sort_block_merge_implIS3_PlPS5_mZN2at6native12_GLOBAL__N_124unique_dim_cuda_templateIiEESt5tupleIJNSA_6TensorESF_SF_EERKSF_lbbbEUlllE_EE10hipError_tT0_T1_T2_jT3_P12ihipStream_tbPNSt15iterator_traitsISL_E10value_typeEPNSR_ISM_E10value_typeEPSN_NS1_7vsmem_tEENKUlT_SL_SM_SN_E_clIS8_S8_S9_S9_EESK_S10_SL_SM_SN_EUlS10_E_NS1_11comp_targetILNS1_3genE10ELNS1_11target_archE1201ELNS1_3gpuE5ELNS1_3repE0EEENS1_48merge_mergepath_partition_config_static_selectorELNS0_4arch9wavefront6targetE1EEEvSM_,comdat
.Lfunc_end396:
	.size	_ZN7rocprim17ROCPRIM_400000_NS6detail17trampoline_kernelINS0_14default_configENS1_38merge_sort_block_merge_config_selectorIlNS0_10empty_typeEEEZZNS1_27merge_sort_block_merge_implIS3_PlPS5_mZN2at6native12_GLOBAL__N_124unique_dim_cuda_templateIiEESt5tupleIJNSA_6TensorESF_SF_EERKSF_lbbbEUlllE_EE10hipError_tT0_T1_T2_jT3_P12ihipStream_tbPNSt15iterator_traitsISL_E10value_typeEPNSR_ISM_E10value_typeEPSN_NS1_7vsmem_tEENKUlT_SL_SM_SN_E_clIS8_S8_S9_S9_EESK_S10_SL_SM_SN_EUlS10_E_NS1_11comp_targetILNS1_3genE10ELNS1_11target_archE1201ELNS1_3gpuE5ELNS1_3repE0EEENS1_48merge_mergepath_partition_config_static_selectorELNS0_4arch9wavefront6targetE1EEEvSM_, .Lfunc_end396-_ZN7rocprim17ROCPRIM_400000_NS6detail17trampoline_kernelINS0_14default_configENS1_38merge_sort_block_merge_config_selectorIlNS0_10empty_typeEEEZZNS1_27merge_sort_block_merge_implIS3_PlPS5_mZN2at6native12_GLOBAL__N_124unique_dim_cuda_templateIiEESt5tupleIJNSA_6TensorESF_SF_EERKSF_lbbbEUlllE_EE10hipError_tT0_T1_T2_jT3_P12ihipStream_tbPNSt15iterator_traitsISL_E10value_typeEPNSR_ISM_E10value_typeEPSN_NS1_7vsmem_tEENKUlT_SL_SM_SN_E_clIS8_S8_S9_S9_EESK_S10_SL_SM_SN_EUlS10_E_NS1_11comp_targetILNS1_3genE10ELNS1_11target_archE1201ELNS1_3gpuE5ELNS1_3repE0EEENS1_48merge_mergepath_partition_config_static_selectorELNS0_4arch9wavefront6targetE1EEEvSM_
                                        ; -- End function
	.section	.AMDGPU.csdata,"",@progbits
; Kernel info:
; codeLenInByte = 0
; NumSgprs: 6
; NumVgprs: 0
; NumAgprs: 0
; TotalNumVgprs: 0
; ScratchSize: 0
; MemoryBound: 0
; FloatMode: 240
; IeeeMode: 1
; LDSByteSize: 0 bytes/workgroup (compile time only)
; SGPRBlocks: 0
; VGPRBlocks: 0
; NumSGPRsForWavesPerEU: 6
; NumVGPRsForWavesPerEU: 1
; AccumOffset: 4
; Occupancy: 8
; WaveLimiterHint : 0
; COMPUTE_PGM_RSRC2:SCRATCH_EN: 0
; COMPUTE_PGM_RSRC2:USER_SGPR: 2
; COMPUTE_PGM_RSRC2:TRAP_HANDLER: 0
; COMPUTE_PGM_RSRC2:TGID_X_EN: 1
; COMPUTE_PGM_RSRC2:TGID_Y_EN: 0
; COMPUTE_PGM_RSRC2:TGID_Z_EN: 0
; COMPUTE_PGM_RSRC2:TIDIG_COMP_CNT: 0
; COMPUTE_PGM_RSRC3_GFX90A:ACCUM_OFFSET: 0
; COMPUTE_PGM_RSRC3_GFX90A:TG_SPLIT: 0
	.section	.text._ZN7rocprim17ROCPRIM_400000_NS6detail17trampoline_kernelINS0_14default_configENS1_38merge_sort_block_merge_config_selectorIlNS0_10empty_typeEEEZZNS1_27merge_sort_block_merge_implIS3_PlPS5_mZN2at6native12_GLOBAL__N_124unique_dim_cuda_templateIiEESt5tupleIJNSA_6TensorESF_SF_EERKSF_lbbbEUlllE_EE10hipError_tT0_T1_T2_jT3_P12ihipStream_tbPNSt15iterator_traitsISL_E10value_typeEPNSR_ISM_E10value_typeEPSN_NS1_7vsmem_tEENKUlT_SL_SM_SN_E_clIS8_S8_S9_S9_EESK_S10_SL_SM_SN_EUlS10_E_NS1_11comp_targetILNS1_3genE5ELNS1_11target_archE942ELNS1_3gpuE9ELNS1_3repE0EEENS1_48merge_mergepath_partition_config_static_selectorELNS0_4arch9wavefront6targetE1EEEvSM_,"axG",@progbits,_ZN7rocprim17ROCPRIM_400000_NS6detail17trampoline_kernelINS0_14default_configENS1_38merge_sort_block_merge_config_selectorIlNS0_10empty_typeEEEZZNS1_27merge_sort_block_merge_implIS3_PlPS5_mZN2at6native12_GLOBAL__N_124unique_dim_cuda_templateIiEESt5tupleIJNSA_6TensorESF_SF_EERKSF_lbbbEUlllE_EE10hipError_tT0_T1_T2_jT3_P12ihipStream_tbPNSt15iterator_traitsISL_E10value_typeEPNSR_ISM_E10value_typeEPSN_NS1_7vsmem_tEENKUlT_SL_SM_SN_E_clIS8_S8_S9_S9_EESK_S10_SL_SM_SN_EUlS10_E_NS1_11comp_targetILNS1_3genE5ELNS1_11target_archE942ELNS1_3gpuE9ELNS1_3repE0EEENS1_48merge_mergepath_partition_config_static_selectorELNS0_4arch9wavefront6targetE1EEEvSM_,comdat
	.globl	_ZN7rocprim17ROCPRIM_400000_NS6detail17trampoline_kernelINS0_14default_configENS1_38merge_sort_block_merge_config_selectorIlNS0_10empty_typeEEEZZNS1_27merge_sort_block_merge_implIS3_PlPS5_mZN2at6native12_GLOBAL__N_124unique_dim_cuda_templateIiEESt5tupleIJNSA_6TensorESF_SF_EERKSF_lbbbEUlllE_EE10hipError_tT0_T1_T2_jT3_P12ihipStream_tbPNSt15iterator_traitsISL_E10value_typeEPNSR_ISM_E10value_typeEPSN_NS1_7vsmem_tEENKUlT_SL_SM_SN_E_clIS8_S8_S9_S9_EESK_S10_SL_SM_SN_EUlS10_E_NS1_11comp_targetILNS1_3genE5ELNS1_11target_archE942ELNS1_3gpuE9ELNS1_3repE0EEENS1_48merge_mergepath_partition_config_static_selectorELNS0_4arch9wavefront6targetE1EEEvSM_ ; -- Begin function _ZN7rocprim17ROCPRIM_400000_NS6detail17trampoline_kernelINS0_14default_configENS1_38merge_sort_block_merge_config_selectorIlNS0_10empty_typeEEEZZNS1_27merge_sort_block_merge_implIS3_PlPS5_mZN2at6native12_GLOBAL__N_124unique_dim_cuda_templateIiEESt5tupleIJNSA_6TensorESF_SF_EERKSF_lbbbEUlllE_EE10hipError_tT0_T1_T2_jT3_P12ihipStream_tbPNSt15iterator_traitsISL_E10value_typeEPNSR_ISM_E10value_typeEPSN_NS1_7vsmem_tEENKUlT_SL_SM_SN_E_clIS8_S8_S9_S9_EESK_S10_SL_SM_SN_EUlS10_E_NS1_11comp_targetILNS1_3genE5ELNS1_11target_archE942ELNS1_3gpuE9ELNS1_3repE0EEENS1_48merge_mergepath_partition_config_static_selectorELNS0_4arch9wavefront6targetE1EEEvSM_
	.p2align	8
	.type	_ZN7rocprim17ROCPRIM_400000_NS6detail17trampoline_kernelINS0_14default_configENS1_38merge_sort_block_merge_config_selectorIlNS0_10empty_typeEEEZZNS1_27merge_sort_block_merge_implIS3_PlPS5_mZN2at6native12_GLOBAL__N_124unique_dim_cuda_templateIiEESt5tupleIJNSA_6TensorESF_SF_EERKSF_lbbbEUlllE_EE10hipError_tT0_T1_T2_jT3_P12ihipStream_tbPNSt15iterator_traitsISL_E10value_typeEPNSR_ISM_E10value_typeEPSN_NS1_7vsmem_tEENKUlT_SL_SM_SN_E_clIS8_S8_S9_S9_EESK_S10_SL_SM_SN_EUlS10_E_NS1_11comp_targetILNS1_3genE5ELNS1_11target_archE942ELNS1_3gpuE9ELNS1_3repE0EEENS1_48merge_mergepath_partition_config_static_selectorELNS0_4arch9wavefront6targetE1EEEvSM_,@function
_ZN7rocprim17ROCPRIM_400000_NS6detail17trampoline_kernelINS0_14default_configENS1_38merge_sort_block_merge_config_selectorIlNS0_10empty_typeEEEZZNS1_27merge_sort_block_merge_implIS3_PlPS5_mZN2at6native12_GLOBAL__N_124unique_dim_cuda_templateIiEESt5tupleIJNSA_6TensorESF_SF_EERKSF_lbbbEUlllE_EE10hipError_tT0_T1_T2_jT3_P12ihipStream_tbPNSt15iterator_traitsISL_E10value_typeEPNSR_ISM_E10value_typeEPSN_NS1_7vsmem_tEENKUlT_SL_SM_SN_E_clIS8_S8_S9_S9_EESK_S10_SL_SM_SN_EUlS10_E_NS1_11comp_targetILNS1_3genE5ELNS1_11target_archE942ELNS1_3gpuE9ELNS1_3repE0EEENS1_48merge_mergepath_partition_config_static_selectorELNS0_4arch9wavefront6targetE1EEEvSM_: ; @_ZN7rocprim17ROCPRIM_400000_NS6detail17trampoline_kernelINS0_14default_configENS1_38merge_sort_block_merge_config_selectorIlNS0_10empty_typeEEEZZNS1_27merge_sort_block_merge_implIS3_PlPS5_mZN2at6native12_GLOBAL__N_124unique_dim_cuda_templateIiEESt5tupleIJNSA_6TensorESF_SF_EERKSF_lbbbEUlllE_EE10hipError_tT0_T1_T2_jT3_P12ihipStream_tbPNSt15iterator_traitsISL_E10value_typeEPNSR_ISM_E10value_typeEPSN_NS1_7vsmem_tEENKUlT_SL_SM_SN_E_clIS8_S8_S9_S9_EESK_S10_SL_SM_SN_EUlS10_E_NS1_11comp_targetILNS1_3genE5ELNS1_11target_archE942ELNS1_3gpuE9ELNS1_3repE0EEENS1_48merge_mergepath_partition_config_static_selectorELNS0_4arch9wavefront6targetE1EEEvSM_
; %bb.0:
	s_load_dword s3, s[0:1], 0x0
	v_lshl_or_b32 v0, s2, 7, v0
	s_waitcnt lgkmcnt(0)
	v_cmp_gt_u32_e32 vcc, s3, v0
	s_and_saveexec_b64 s[2:3], vcc
	s_cbranch_execz .LBB397_12
; %bb.1:
	s_load_dwordx4 s[12:15], s[0:1], 0x8
	s_load_dwordx8 s[4:11], s[0:1], 0x18
	v_mov_b32_e32 v5, 0
	v_mov_b32_e32 v7, v5
	s_waitcnt lgkmcnt(0)
	v_mov_b32_e32 v1, s12
	v_alignbit_b32 v1, s13, v1, 9
	v_and_b32_e32 v1, -2, v1
	v_add_u32_e32 v2, -1, v1
	v_sub_u32_e32 v1, 0, v1
	v_and_b32_e32 v4, v0, v1
	v_lshlrev_b64 v[8:9], 10, v[4:5]
	v_mov_b32_e32 v1, s15
	v_cmp_lt_u64_e32 vcc, s[14:15], v[8:9]
	v_mov_b32_e32 v4, s14
	v_and_b32_e32 v6, v2, v0
	v_cndmask_b32_e32 v3, v9, v1, vcc
	v_cndmask_b32_e32 v2, v8, v4, vcc
	v_lshl_add_u64 v[8:9], v[8:9], 0, s[12:13]
	v_cmp_lt_u64_e32 vcc, s[14:15], v[8:9]
	s_nop 1
	v_cndmask_b32_e32 v11, v9, v1, vcc
	v_cndmask_b32_e32 v10, v8, v4, vcc
	v_lshl_add_u64 v[8:9], v[10:11], 0, s[12:13]
	v_cmp_lt_u64_e32 vcc, s[14:15], v[8:9]
	s_nop 1
	v_cndmask_b32_e32 v14, v8, v4, vcc
	v_cndmask_b32_e32 v1, v9, v1, vcc
	v_sub_co_u32_e32 v8, vcc, v14, v2
	v_lshlrev_b64 v[4:5], 10, v[6:7]
	s_nop 0
	v_subb_co_u32_e32 v9, vcc, v1, v3, vcc
	v_cmp_lt_u64_e32 vcc, v[8:9], v[4:5]
	s_nop 1
	v_cndmask_b32_e32 v13, v5, v9, vcc
	v_cndmask_b32_e32 v12, v4, v8, vcc
	v_sub_co_u32_e32 v6, vcc, v10, v2
	s_nop 1
	v_subb_co_u32_e32 v7, vcc, v11, v3, vcc
	v_sub_co_u32_e32 v4, vcc, v10, v14
	s_nop 1
	v_subb_co_u32_e32 v5, vcc, v11, v1, vcc
	v_lshl_add_u64 v[4:5], v[12:13], 0, v[4:5]
	v_cmp_gt_u64_e32 vcc, v[4:5], v[12:13]
	s_nop 1
	v_cndmask_b32_e64 v5, v5, 0, vcc
	v_cndmask_b32_e64 v4, v4, 0, vcc
	v_cmp_lt_u64_e32 vcc, v[12:13], v[6:7]
	s_nop 1
	v_cndmask_b32_e32 v7, v7, v13, vcc
	v_cndmask_b32_e32 v6, v6, v12, vcc
	v_cmp_lt_u64_e32 vcc, v[4:5], v[6:7]
	s_and_saveexec_b64 s[12:13], vcc
	s_cbranch_execz .LBB397_11
; %bb.2:
	v_cmp_gt_i64_e64 s[0:1], s[6:7], 0
	v_lshl_add_u64 v[10:11], v[10:11], 3, s[4:5]
	v_lshl_add_u64 v[8:9], v[2:3], 3, s[4:5]
	v_cndmask_b32_e64 v1, 0, 1, s[0:1]
	v_lshl_add_u64 v[10:11], v[12:13], 3, v[10:11]
	s_mov_b64 s[14:15], 0
	s_lshl_b64 s[16:17], s[6:7], 2
	v_cmp_ne_u32_e64 s[0:1], 1, v1
	s_branch .LBB397_5
.LBB397_3:                              ;   in Loop: Header=BB397_5 Depth=1
	s_or_b64 exec, exec, s[20:21]
.LBB397_4:                              ;   in Loop: Header=BB397_5 Depth=1
	v_lshl_add_u64 v[14:15], v[12:13], 0, 1
	v_cndmask_b32_e64 v7, v7, v13, s[18:19]
	v_cndmask_b32_e64 v6, v6, v12, s[18:19]
	;; [unrolled: 1-line block ×4, first 2 shown]
	v_cmp_ge_u64_e32 vcc, v[4:5], v[6:7]
	s_or_b64 s[14:15], vcc, s[14:15]
	s_andn2_b64 exec, exec, s[14:15]
	s_cbranch_execz .LBB397_10
.LBB397_5:                              ; =>This Loop Header: Depth=1
                                        ;     Child Loop BB397_8 Depth 2
	v_lshl_add_u64 v[12:13], v[6:7], 0, v[4:5]
	v_lshrrev_b64 v[12:13], 1, v[12:13]
	s_and_b64 vcc, exec, s[0:1]
	s_mov_b64 s[18:19], 0
	s_cbranch_vccnz .LBB397_4
; %bb.6:                                ;   in Loop: Header=BB397_5 Depth=1
	v_not_b32_e32 v15, v13
	v_not_b32_e32 v14, v12
	v_lshl_add_u64 v[14:15], v[14:15], 3, v[10:11]
	v_lshl_add_u64 v[16:17], v[12:13], 3, v[8:9]
	global_load_dwordx2 v[14:15], v[14:15], off
	v_mov_b64_e32 v[18:19], s[8:9]
	global_load_dwordx2 v[16:17], v[16:17], off
	s_mov_b64 s[20:21], 0
	s_mov_b64 s[26:27], s[6:7]
                                        ; implicit-def: $sgpr18_sgpr19
                                        ; implicit-def: $sgpr22_sgpr23
                                        ; implicit-def: $sgpr24_sgpr25
                                        ; implicit-def: $sgpr2_sgpr3
                                        ; implicit-def: $sgpr28_sgpr29
	s_waitcnt vmcnt(1)
	v_mul_lo_u32 v1, s16, v15
	v_mul_lo_u32 v20, s17, v14
	v_mad_u64_u32 v[14:15], s[4:5], s16, v14, v[18:19]
	s_waitcnt vmcnt(0)
	v_mul_lo_u32 v21, s16, v17
	v_mul_lo_u32 v22, s17, v16
	v_mad_u64_u32 v[16:17], s[4:5], s16, v16, v[18:19]
	v_add3_u32 v15, v20, v15, v1
	v_add3_u32 v17, v22, v17, v21
	s_branch .LBB397_8
.LBB397_7:                              ;   in Loop: Header=BB397_8 Depth=2
	s_or_b64 exec, exec, s[30:31]
	s_and_b64 s[4:5], exec, s[22:23]
	s_or_b64 s[20:21], s[4:5], s[20:21]
	s_andn2_b64 s[4:5], s[28:29], exec
	s_and_b64 s[28:29], s[24:25], exec
	s_or_b64 s[28:29], s[4:5], s[28:29]
	s_andn2_b64 s[4:5], s[18:19], exec
	s_and_b64 s[18:19], s[2:3], exec
	s_or_b64 s[18:19], s[4:5], s[18:19]
	s_andn2_b64 exec, exec, s[20:21]
	s_cbranch_execz .LBB397_3
.LBB397_8:                              ;   Parent Loop BB397_5 Depth=1
                                        ; =>  This Inner Loop Header: Depth=2
	global_load_dword v1, v[14:15], off
	global_load_dword v18, v[16:17], off
	s_andn2_b64 s[30:31], s[2:3], exec
	s_andn2_b64 s[24:25], s[24:25], exec
	s_or_b64 s[22:23], s[22:23], exec
	s_waitcnt vmcnt(0)
	v_cmp_le_i32_e64 s[2:3], v1, v18
	v_cmp_lt_i32_e32 vcc, v1, v18
	s_and_b64 s[2:3], s[2:3], s[28:29]
	s_or_b64 s[34:35], vcc, s[2:3]
	s_and_b64 s[2:3], s[34:35], exec
	v_cmp_eq_u32_e64 s[4:5], v1, v18
	s_or_b64 s[2:3], s[30:31], s[2:3]
	s_and_saveexec_b64 s[30:31], s[4:5]
	s_cbranch_execz .LBB397_7
; %bb.9:                                ;   in Loop: Header=BB397_8 Depth=2
	s_add_u32 s26, s26, -1
	s_addc_u32 s27, s27, -1
	s_cmp_eq_u64 s[26:27], 0
	s_cselect_b64 s[4:5], -1, 0
	s_andn2_b64 s[24:25], s[24:25], exec
	s_and_b64 s[28:29], s[34:35], exec
	s_andn2_b64 s[22:23], s[22:23], exec
	s_and_b64 s[4:5], s[4:5], exec
	v_lshl_add_u64 v[14:15], v[14:15], 0, 4
	v_lshl_add_u64 v[16:17], v[16:17], 0, 4
	s_andn2_b64 s[2:3], s[2:3], exec
	s_or_b64 s[24:25], s[24:25], s[28:29]
	s_or_b64 s[22:23], s[22:23], s[4:5]
                                        ; implicit-def: $sgpr28_sgpr29
	s_branch .LBB397_7
.LBB397_10:
	s_or_b64 exec, exec, s[14:15]
.LBB397_11:
	s_or_b64 exec, exec, s[12:13]
	v_mov_b32_e32 v6, s10
	v_mov_b32_e32 v7, s11
	;; [unrolled: 1-line block ×3, first 2 shown]
	v_lshl_add_u64 v[2:3], v[4:5], 0, v[2:3]
	v_lshl_add_u64 v[0:1], v[0:1], 3, v[6:7]
	global_store_dwordx2 v[0:1], v[2:3], off
.LBB397_12:
	s_endpgm
	.section	.rodata,"a",@progbits
	.p2align	6, 0x0
	.amdhsa_kernel _ZN7rocprim17ROCPRIM_400000_NS6detail17trampoline_kernelINS0_14default_configENS1_38merge_sort_block_merge_config_selectorIlNS0_10empty_typeEEEZZNS1_27merge_sort_block_merge_implIS3_PlPS5_mZN2at6native12_GLOBAL__N_124unique_dim_cuda_templateIiEESt5tupleIJNSA_6TensorESF_SF_EERKSF_lbbbEUlllE_EE10hipError_tT0_T1_T2_jT3_P12ihipStream_tbPNSt15iterator_traitsISL_E10value_typeEPNSR_ISM_E10value_typeEPSN_NS1_7vsmem_tEENKUlT_SL_SM_SN_E_clIS8_S8_S9_S9_EESK_S10_SL_SM_SN_EUlS10_E_NS1_11comp_targetILNS1_3genE5ELNS1_11target_archE942ELNS1_3gpuE9ELNS1_3repE0EEENS1_48merge_mergepath_partition_config_static_selectorELNS0_4arch9wavefront6targetE1EEEvSM_
		.amdhsa_group_segment_fixed_size 0
		.amdhsa_private_segment_fixed_size 0
		.amdhsa_kernarg_size 56
		.amdhsa_user_sgpr_count 2
		.amdhsa_user_sgpr_dispatch_ptr 0
		.amdhsa_user_sgpr_queue_ptr 0
		.amdhsa_user_sgpr_kernarg_segment_ptr 1
		.amdhsa_user_sgpr_dispatch_id 0
		.amdhsa_user_sgpr_kernarg_preload_length 0
		.amdhsa_user_sgpr_kernarg_preload_offset 0
		.amdhsa_user_sgpr_private_segment_size 0
		.amdhsa_uses_dynamic_stack 0
		.amdhsa_enable_private_segment 0
		.amdhsa_system_sgpr_workgroup_id_x 1
		.amdhsa_system_sgpr_workgroup_id_y 0
		.amdhsa_system_sgpr_workgroup_id_z 0
		.amdhsa_system_sgpr_workgroup_info 0
		.amdhsa_system_vgpr_workitem_id 0
		.amdhsa_next_free_vgpr 23
		.amdhsa_next_free_sgpr 36
		.amdhsa_accum_offset 24
		.amdhsa_reserve_vcc 1
		.amdhsa_float_round_mode_32 0
		.amdhsa_float_round_mode_16_64 0
		.amdhsa_float_denorm_mode_32 3
		.amdhsa_float_denorm_mode_16_64 3
		.amdhsa_dx10_clamp 1
		.amdhsa_ieee_mode 1
		.amdhsa_fp16_overflow 0
		.amdhsa_tg_split 0
		.amdhsa_exception_fp_ieee_invalid_op 0
		.amdhsa_exception_fp_denorm_src 0
		.amdhsa_exception_fp_ieee_div_zero 0
		.amdhsa_exception_fp_ieee_overflow 0
		.amdhsa_exception_fp_ieee_underflow 0
		.amdhsa_exception_fp_ieee_inexact 0
		.amdhsa_exception_int_div_zero 0
	.end_amdhsa_kernel
	.section	.text._ZN7rocprim17ROCPRIM_400000_NS6detail17trampoline_kernelINS0_14default_configENS1_38merge_sort_block_merge_config_selectorIlNS0_10empty_typeEEEZZNS1_27merge_sort_block_merge_implIS3_PlPS5_mZN2at6native12_GLOBAL__N_124unique_dim_cuda_templateIiEESt5tupleIJNSA_6TensorESF_SF_EERKSF_lbbbEUlllE_EE10hipError_tT0_T1_T2_jT3_P12ihipStream_tbPNSt15iterator_traitsISL_E10value_typeEPNSR_ISM_E10value_typeEPSN_NS1_7vsmem_tEENKUlT_SL_SM_SN_E_clIS8_S8_S9_S9_EESK_S10_SL_SM_SN_EUlS10_E_NS1_11comp_targetILNS1_3genE5ELNS1_11target_archE942ELNS1_3gpuE9ELNS1_3repE0EEENS1_48merge_mergepath_partition_config_static_selectorELNS0_4arch9wavefront6targetE1EEEvSM_,"axG",@progbits,_ZN7rocprim17ROCPRIM_400000_NS6detail17trampoline_kernelINS0_14default_configENS1_38merge_sort_block_merge_config_selectorIlNS0_10empty_typeEEEZZNS1_27merge_sort_block_merge_implIS3_PlPS5_mZN2at6native12_GLOBAL__N_124unique_dim_cuda_templateIiEESt5tupleIJNSA_6TensorESF_SF_EERKSF_lbbbEUlllE_EE10hipError_tT0_T1_T2_jT3_P12ihipStream_tbPNSt15iterator_traitsISL_E10value_typeEPNSR_ISM_E10value_typeEPSN_NS1_7vsmem_tEENKUlT_SL_SM_SN_E_clIS8_S8_S9_S9_EESK_S10_SL_SM_SN_EUlS10_E_NS1_11comp_targetILNS1_3genE5ELNS1_11target_archE942ELNS1_3gpuE9ELNS1_3repE0EEENS1_48merge_mergepath_partition_config_static_selectorELNS0_4arch9wavefront6targetE1EEEvSM_,comdat
.Lfunc_end397:
	.size	_ZN7rocprim17ROCPRIM_400000_NS6detail17trampoline_kernelINS0_14default_configENS1_38merge_sort_block_merge_config_selectorIlNS0_10empty_typeEEEZZNS1_27merge_sort_block_merge_implIS3_PlPS5_mZN2at6native12_GLOBAL__N_124unique_dim_cuda_templateIiEESt5tupleIJNSA_6TensorESF_SF_EERKSF_lbbbEUlllE_EE10hipError_tT0_T1_T2_jT3_P12ihipStream_tbPNSt15iterator_traitsISL_E10value_typeEPNSR_ISM_E10value_typeEPSN_NS1_7vsmem_tEENKUlT_SL_SM_SN_E_clIS8_S8_S9_S9_EESK_S10_SL_SM_SN_EUlS10_E_NS1_11comp_targetILNS1_3genE5ELNS1_11target_archE942ELNS1_3gpuE9ELNS1_3repE0EEENS1_48merge_mergepath_partition_config_static_selectorELNS0_4arch9wavefront6targetE1EEEvSM_, .Lfunc_end397-_ZN7rocprim17ROCPRIM_400000_NS6detail17trampoline_kernelINS0_14default_configENS1_38merge_sort_block_merge_config_selectorIlNS0_10empty_typeEEEZZNS1_27merge_sort_block_merge_implIS3_PlPS5_mZN2at6native12_GLOBAL__N_124unique_dim_cuda_templateIiEESt5tupleIJNSA_6TensorESF_SF_EERKSF_lbbbEUlllE_EE10hipError_tT0_T1_T2_jT3_P12ihipStream_tbPNSt15iterator_traitsISL_E10value_typeEPNSR_ISM_E10value_typeEPSN_NS1_7vsmem_tEENKUlT_SL_SM_SN_E_clIS8_S8_S9_S9_EESK_S10_SL_SM_SN_EUlS10_E_NS1_11comp_targetILNS1_3genE5ELNS1_11target_archE942ELNS1_3gpuE9ELNS1_3repE0EEENS1_48merge_mergepath_partition_config_static_selectorELNS0_4arch9wavefront6targetE1EEEvSM_
                                        ; -- End function
	.section	.AMDGPU.csdata,"",@progbits
; Kernel info:
; codeLenInByte = 796
; NumSgprs: 42
; NumVgprs: 23
; NumAgprs: 0
; TotalNumVgprs: 23
; ScratchSize: 0
; MemoryBound: 0
; FloatMode: 240
; IeeeMode: 1
; LDSByteSize: 0 bytes/workgroup (compile time only)
; SGPRBlocks: 5
; VGPRBlocks: 2
; NumSGPRsForWavesPerEU: 42
; NumVGPRsForWavesPerEU: 23
; AccumOffset: 24
; Occupancy: 8
; WaveLimiterHint : 0
; COMPUTE_PGM_RSRC2:SCRATCH_EN: 0
; COMPUTE_PGM_RSRC2:USER_SGPR: 2
; COMPUTE_PGM_RSRC2:TRAP_HANDLER: 0
; COMPUTE_PGM_RSRC2:TGID_X_EN: 1
; COMPUTE_PGM_RSRC2:TGID_Y_EN: 0
; COMPUTE_PGM_RSRC2:TGID_Z_EN: 0
; COMPUTE_PGM_RSRC2:TIDIG_COMP_CNT: 0
; COMPUTE_PGM_RSRC3_GFX90A:ACCUM_OFFSET: 5
; COMPUTE_PGM_RSRC3_GFX90A:TG_SPLIT: 0
	.section	.text._ZN7rocprim17ROCPRIM_400000_NS6detail17trampoline_kernelINS0_14default_configENS1_38merge_sort_block_merge_config_selectorIlNS0_10empty_typeEEEZZNS1_27merge_sort_block_merge_implIS3_PlPS5_mZN2at6native12_GLOBAL__N_124unique_dim_cuda_templateIiEESt5tupleIJNSA_6TensorESF_SF_EERKSF_lbbbEUlllE_EE10hipError_tT0_T1_T2_jT3_P12ihipStream_tbPNSt15iterator_traitsISL_E10value_typeEPNSR_ISM_E10value_typeEPSN_NS1_7vsmem_tEENKUlT_SL_SM_SN_E_clIS8_S8_S9_S9_EESK_S10_SL_SM_SN_EUlS10_E_NS1_11comp_targetILNS1_3genE4ELNS1_11target_archE910ELNS1_3gpuE8ELNS1_3repE0EEENS1_48merge_mergepath_partition_config_static_selectorELNS0_4arch9wavefront6targetE1EEEvSM_,"axG",@progbits,_ZN7rocprim17ROCPRIM_400000_NS6detail17trampoline_kernelINS0_14default_configENS1_38merge_sort_block_merge_config_selectorIlNS0_10empty_typeEEEZZNS1_27merge_sort_block_merge_implIS3_PlPS5_mZN2at6native12_GLOBAL__N_124unique_dim_cuda_templateIiEESt5tupleIJNSA_6TensorESF_SF_EERKSF_lbbbEUlllE_EE10hipError_tT0_T1_T2_jT3_P12ihipStream_tbPNSt15iterator_traitsISL_E10value_typeEPNSR_ISM_E10value_typeEPSN_NS1_7vsmem_tEENKUlT_SL_SM_SN_E_clIS8_S8_S9_S9_EESK_S10_SL_SM_SN_EUlS10_E_NS1_11comp_targetILNS1_3genE4ELNS1_11target_archE910ELNS1_3gpuE8ELNS1_3repE0EEENS1_48merge_mergepath_partition_config_static_selectorELNS0_4arch9wavefront6targetE1EEEvSM_,comdat
	.globl	_ZN7rocprim17ROCPRIM_400000_NS6detail17trampoline_kernelINS0_14default_configENS1_38merge_sort_block_merge_config_selectorIlNS0_10empty_typeEEEZZNS1_27merge_sort_block_merge_implIS3_PlPS5_mZN2at6native12_GLOBAL__N_124unique_dim_cuda_templateIiEESt5tupleIJNSA_6TensorESF_SF_EERKSF_lbbbEUlllE_EE10hipError_tT0_T1_T2_jT3_P12ihipStream_tbPNSt15iterator_traitsISL_E10value_typeEPNSR_ISM_E10value_typeEPSN_NS1_7vsmem_tEENKUlT_SL_SM_SN_E_clIS8_S8_S9_S9_EESK_S10_SL_SM_SN_EUlS10_E_NS1_11comp_targetILNS1_3genE4ELNS1_11target_archE910ELNS1_3gpuE8ELNS1_3repE0EEENS1_48merge_mergepath_partition_config_static_selectorELNS0_4arch9wavefront6targetE1EEEvSM_ ; -- Begin function _ZN7rocprim17ROCPRIM_400000_NS6detail17trampoline_kernelINS0_14default_configENS1_38merge_sort_block_merge_config_selectorIlNS0_10empty_typeEEEZZNS1_27merge_sort_block_merge_implIS3_PlPS5_mZN2at6native12_GLOBAL__N_124unique_dim_cuda_templateIiEESt5tupleIJNSA_6TensorESF_SF_EERKSF_lbbbEUlllE_EE10hipError_tT0_T1_T2_jT3_P12ihipStream_tbPNSt15iterator_traitsISL_E10value_typeEPNSR_ISM_E10value_typeEPSN_NS1_7vsmem_tEENKUlT_SL_SM_SN_E_clIS8_S8_S9_S9_EESK_S10_SL_SM_SN_EUlS10_E_NS1_11comp_targetILNS1_3genE4ELNS1_11target_archE910ELNS1_3gpuE8ELNS1_3repE0EEENS1_48merge_mergepath_partition_config_static_selectorELNS0_4arch9wavefront6targetE1EEEvSM_
	.p2align	8
	.type	_ZN7rocprim17ROCPRIM_400000_NS6detail17trampoline_kernelINS0_14default_configENS1_38merge_sort_block_merge_config_selectorIlNS0_10empty_typeEEEZZNS1_27merge_sort_block_merge_implIS3_PlPS5_mZN2at6native12_GLOBAL__N_124unique_dim_cuda_templateIiEESt5tupleIJNSA_6TensorESF_SF_EERKSF_lbbbEUlllE_EE10hipError_tT0_T1_T2_jT3_P12ihipStream_tbPNSt15iterator_traitsISL_E10value_typeEPNSR_ISM_E10value_typeEPSN_NS1_7vsmem_tEENKUlT_SL_SM_SN_E_clIS8_S8_S9_S9_EESK_S10_SL_SM_SN_EUlS10_E_NS1_11comp_targetILNS1_3genE4ELNS1_11target_archE910ELNS1_3gpuE8ELNS1_3repE0EEENS1_48merge_mergepath_partition_config_static_selectorELNS0_4arch9wavefront6targetE1EEEvSM_,@function
_ZN7rocprim17ROCPRIM_400000_NS6detail17trampoline_kernelINS0_14default_configENS1_38merge_sort_block_merge_config_selectorIlNS0_10empty_typeEEEZZNS1_27merge_sort_block_merge_implIS3_PlPS5_mZN2at6native12_GLOBAL__N_124unique_dim_cuda_templateIiEESt5tupleIJNSA_6TensorESF_SF_EERKSF_lbbbEUlllE_EE10hipError_tT0_T1_T2_jT3_P12ihipStream_tbPNSt15iterator_traitsISL_E10value_typeEPNSR_ISM_E10value_typeEPSN_NS1_7vsmem_tEENKUlT_SL_SM_SN_E_clIS8_S8_S9_S9_EESK_S10_SL_SM_SN_EUlS10_E_NS1_11comp_targetILNS1_3genE4ELNS1_11target_archE910ELNS1_3gpuE8ELNS1_3repE0EEENS1_48merge_mergepath_partition_config_static_selectorELNS0_4arch9wavefront6targetE1EEEvSM_: ; @_ZN7rocprim17ROCPRIM_400000_NS6detail17trampoline_kernelINS0_14default_configENS1_38merge_sort_block_merge_config_selectorIlNS0_10empty_typeEEEZZNS1_27merge_sort_block_merge_implIS3_PlPS5_mZN2at6native12_GLOBAL__N_124unique_dim_cuda_templateIiEESt5tupleIJNSA_6TensorESF_SF_EERKSF_lbbbEUlllE_EE10hipError_tT0_T1_T2_jT3_P12ihipStream_tbPNSt15iterator_traitsISL_E10value_typeEPNSR_ISM_E10value_typeEPSN_NS1_7vsmem_tEENKUlT_SL_SM_SN_E_clIS8_S8_S9_S9_EESK_S10_SL_SM_SN_EUlS10_E_NS1_11comp_targetILNS1_3genE4ELNS1_11target_archE910ELNS1_3gpuE8ELNS1_3repE0EEENS1_48merge_mergepath_partition_config_static_selectorELNS0_4arch9wavefront6targetE1EEEvSM_
; %bb.0:
	.section	.rodata,"a",@progbits
	.p2align	6, 0x0
	.amdhsa_kernel _ZN7rocprim17ROCPRIM_400000_NS6detail17trampoline_kernelINS0_14default_configENS1_38merge_sort_block_merge_config_selectorIlNS0_10empty_typeEEEZZNS1_27merge_sort_block_merge_implIS3_PlPS5_mZN2at6native12_GLOBAL__N_124unique_dim_cuda_templateIiEESt5tupleIJNSA_6TensorESF_SF_EERKSF_lbbbEUlllE_EE10hipError_tT0_T1_T2_jT3_P12ihipStream_tbPNSt15iterator_traitsISL_E10value_typeEPNSR_ISM_E10value_typeEPSN_NS1_7vsmem_tEENKUlT_SL_SM_SN_E_clIS8_S8_S9_S9_EESK_S10_SL_SM_SN_EUlS10_E_NS1_11comp_targetILNS1_3genE4ELNS1_11target_archE910ELNS1_3gpuE8ELNS1_3repE0EEENS1_48merge_mergepath_partition_config_static_selectorELNS0_4arch9wavefront6targetE1EEEvSM_
		.amdhsa_group_segment_fixed_size 0
		.amdhsa_private_segment_fixed_size 0
		.amdhsa_kernarg_size 56
		.amdhsa_user_sgpr_count 2
		.amdhsa_user_sgpr_dispatch_ptr 0
		.amdhsa_user_sgpr_queue_ptr 0
		.amdhsa_user_sgpr_kernarg_segment_ptr 1
		.amdhsa_user_sgpr_dispatch_id 0
		.amdhsa_user_sgpr_kernarg_preload_length 0
		.amdhsa_user_sgpr_kernarg_preload_offset 0
		.amdhsa_user_sgpr_private_segment_size 0
		.amdhsa_uses_dynamic_stack 0
		.amdhsa_enable_private_segment 0
		.amdhsa_system_sgpr_workgroup_id_x 1
		.amdhsa_system_sgpr_workgroup_id_y 0
		.amdhsa_system_sgpr_workgroup_id_z 0
		.amdhsa_system_sgpr_workgroup_info 0
		.amdhsa_system_vgpr_workitem_id 0
		.amdhsa_next_free_vgpr 1
		.amdhsa_next_free_sgpr 0
		.amdhsa_accum_offset 4
		.amdhsa_reserve_vcc 0
		.amdhsa_float_round_mode_32 0
		.amdhsa_float_round_mode_16_64 0
		.amdhsa_float_denorm_mode_32 3
		.amdhsa_float_denorm_mode_16_64 3
		.amdhsa_dx10_clamp 1
		.amdhsa_ieee_mode 1
		.amdhsa_fp16_overflow 0
		.amdhsa_tg_split 0
		.amdhsa_exception_fp_ieee_invalid_op 0
		.amdhsa_exception_fp_denorm_src 0
		.amdhsa_exception_fp_ieee_div_zero 0
		.amdhsa_exception_fp_ieee_overflow 0
		.amdhsa_exception_fp_ieee_underflow 0
		.amdhsa_exception_fp_ieee_inexact 0
		.amdhsa_exception_int_div_zero 0
	.end_amdhsa_kernel
	.section	.text._ZN7rocprim17ROCPRIM_400000_NS6detail17trampoline_kernelINS0_14default_configENS1_38merge_sort_block_merge_config_selectorIlNS0_10empty_typeEEEZZNS1_27merge_sort_block_merge_implIS3_PlPS5_mZN2at6native12_GLOBAL__N_124unique_dim_cuda_templateIiEESt5tupleIJNSA_6TensorESF_SF_EERKSF_lbbbEUlllE_EE10hipError_tT0_T1_T2_jT3_P12ihipStream_tbPNSt15iterator_traitsISL_E10value_typeEPNSR_ISM_E10value_typeEPSN_NS1_7vsmem_tEENKUlT_SL_SM_SN_E_clIS8_S8_S9_S9_EESK_S10_SL_SM_SN_EUlS10_E_NS1_11comp_targetILNS1_3genE4ELNS1_11target_archE910ELNS1_3gpuE8ELNS1_3repE0EEENS1_48merge_mergepath_partition_config_static_selectorELNS0_4arch9wavefront6targetE1EEEvSM_,"axG",@progbits,_ZN7rocprim17ROCPRIM_400000_NS6detail17trampoline_kernelINS0_14default_configENS1_38merge_sort_block_merge_config_selectorIlNS0_10empty_typeEEEZZNS1_27merge_sort_block_merge_implIS3_PlPS5_mZN2at6native12_GLOBAL__N_124unique_dim_cuda_templateIiEESt5tupleIJNSA_6TensorESF_SF_EERKSF_lbbbEUlllE_EE10hipError_tT0_T1_T2_jT3_P12ihipStream_tbPNSt15iterator_traitsISL_E10value_typeEPNSR_ISM_E10value_typeEPSN_NS1_7vsmem_tEENKUlT_SL_SM_SN_E_clIS8_S8_S9_S9_EESK_S10_SL_SM_SN_EUlS10_E_NS1_11comp_targetILNS1_3genE4ELNS1_11target_archE910ELNS1_3gpuE8ELNS1_3repE0EEENS1_48merge_mergepath_partition_config_static_selectorELNS0_4arch9wavefront6targetE1EEEvSM_,comdat
.Lfunc_end398:
	.size	_ZN7rocprim17ROCPRIM_400000_NS6detail17trampoline_kernelINS0_14default_configENS1_38merge_sort_block_merge_config_selectorIlNS0_10empty_typeEEEZZNS1_27merge_sort_block_merge_implIS3_PlPS5_mZN2at6native12_GLOBAL__N_124unique_dim_cuda_templateIiEESt5tupleIJNSA_6TensorESF_SF_EERKSF_lbbbEUlllE_EE10hipError_tT0_T1_T2_jT3_P12ihipStream_tbPNSt15iterator_traitsISL_E10value_typeEPNSR_ISM_E10value_typeEPSN_NS1_7vsmem_tEENKUlT_SL_SM_SN_E_clIS8_S8_S9_S9_EESK_S10_SL_SM_SN_EUlS10_E_NS1_11comp_targetILNS1_3genE4ELNS1_11target_archE910ELNS1_3gpuE8ELNS1_3repE0EEENS1_48merge_mergepath_partition_config_static_selectorELNS0_4arch9wavefront6targetE1EEEvSM_, .Lfunc_end398-_ZN7rocprim17ROCPRIM_400000_NS6detail17trampoline_kernelINS0_14default_configENS1_38merge_sort_block_merge_config_selectorIlNS0_10empty_typeEEEZZNS1_27merge_sort_block_merge_implIS3_PlPS5_mZN2at6native12_GLOBAL__N_124unique_dim_cuda_templateIiEESt5tupleIJNSA_6TensorESF_SF_EERKSF_lbbbEUlllE_EE10hipError_tT0_T1_T2_jT3_P12ihipStream_tbPNSt15iterator_traitsISL_E10value_typeEPNSR_ISM_E10value_typeEPSN_NS1_7vsmem_tEENKUlT_SL_SM_SN_E_clIS8_S8_S9_S9_EESK_S10_SL_SM_SN_EUlS10_E_NS1_11comp_targetILNS1_3genE4ELNS1_11target_archE910ELNS1_3gpuE8ELNS1_3repE0EEENS1_48merge_mergepath_partition_config_static_selectorELNS0_4arch9wavefront6targetE1EEEvSM_
                                        ; -- End function
	.section	.AMDGPU.csdata,"",@progbits
; Kernel info:
; codeLenInByte = 0
; NumSgprs: 6
; NumVgprs: 0
; NumAgprs: 0
; TotalNumVgprs: 0
; ScratchSize: 0
; MemoryBound: 0
; FloatMode: 240
; IeeeMode: 1
; LDSByteSize: 0 bytes/workgroup (compile time only)
; SGPRBlocks: 0
; VGPRBlocks: 0
; NumSGPRsForWavesPerEU: 6
; NumVGPRsForWavesPerEU: 1
; AccumOffset: 4
; Occupancy: 8
; WaveLimiterHint : 0
; COMPUTE_PGM_RSRC2:SCRATCH_EN: 0
; COMPUTE_PGM_RSRC2:USER_SGPR: 2
; COMPUTE_PGM_RSRC2:TRAP_HANDLER: 0
; COMPUTE_PGM_RSRC2:TGID_X_EN: 1
; COMPUTE_PGM_RSRC2:TGID_Y_EN: 0
; COMPUTE_PGM_RSRC2:TGID_Z_EN: 0
; COMPUTE_PGM_RSRC2:TIDIG_COMP_CNT: 0
; COMPUTE_PGM_RSRC3_GFX90A:ACCUM_OFFSET: 0
; COMPUTE_PGM_RSRC3_GFX90A:TG_SPLIT: 0
	.section	.text._ZN7rocprim17ROCPRIM_400000_NS6detail17trampoline_kernelINS0_14default_configENS1_38merge_sort_block_merge_config_selectorIlNS0_10empty_typeEEEZZNS1_27merge_sort_block_merge_implIS3_PlPS5_mZN2at6native12_GLOBAL__N_124unique_dim_cuda_templateIiEESt5tupleIJNSA_6TensorESF_SF_EERKSF_lbbbEUlllE_EE10hipError_tT0_T1_T2_jT3_P12ihipStream_tbPNSt15iterator_traitsISL_E10value_typeEPNSR_ISM_E10value_typeEPSN_NS1_7vsmem_tEENKUlT_SL_SM_SN_E_clIS8_S8_S9_S9_EESK_S10_SL_SM_SN_EUlS10_E_NS1_11comp_targetILNS1_3genE3ELNS1_11target_archE908ELNS1_3gpuE7ELNS1_3repE0EEENS1_48merge_mergepath_partition_config_static_selectorELNS0_4arch9wavefront6targetE1EEEvSM_,"axG",@progbits,_ZN7rocprim17ROCPRIM_400000_NS6detail17trampoline_kernelINS0_14default_configENS1_38merge_sort_block_merge_config_selectorIlNS0_10empty_typeEEEZZNS1_27merge_sort_block_merge_implIS3_PlPS5_mZN2at6native12_GLOBAL__N_124unique_dim_cuda_templateIiEESt5tupleIJNSA_6TensorESF_SF_EERKSF_lbbbEUlllE_EE10hipError_tT0_T1_T2_jT3_P12ihipStream_tbPNSt15iterator_traitsISL_E10value_typeEPNSR_ISM_E10value_typeEPSN_NS1_7vsmem_tEENKUlT_SL_SM_SN_E_clIS8_S8_S9_S9_EESK_S10_SL_SM_SN_EUlS10_E_NS1_11comp_targetILNS1_3genE3ELNS1_11target_archE908ELNS1_3gpuE7ELNS1_3repE0EEENS1_48merge_mergepath_partition_config_static_selectorELNS0_4arch9wavefront6targetE1EEEvSM_,comdat
	.globl	_ZN7rocprim17ROCPRIM_400000_NS6detail17trampoline_kernelINS0_14default_configENS1_38merge_sort_block_merge_config_selectorIlNS0_10empty_typeEEEZZNS1_27merge_sort_block_merge_implIS3_PlPS5_mZN2at6native12_GLOBAL__N_124unique_dim_cuda_templateIiEESt5tupleIJNSA_6TensorESF_SF_EERKSF_lbbbEUlllE_EE10hipError_tT0_T1_T2_jT3_P12ihipStream_tbPNSt15iterator_traitsISL_E10value_typeEPNSR_ISM_E10value_typeEPSN_NS1_7vsmem_tEENKUlT_SL_SM_SN_E_clIS8_S8_S9_S9_EESK_S10_SL_SM_SN_EUlS10_E_NS1_11comp_targetILNS1_3genE3ELNS1_11target_archE908ELNS1_3gpuE7ELNS1_3repE0EEENS1_48merge_mergepath_partition_config_static_selectorELNS0_4arch9wavefront6targetE1EEEvSM_ ; -- Begin function _ZN7rocprim17ROCPRIM_400000_NS6detail17trampoline_kernelINS0_14default_configENS1_38merge_sort_block_merge_config_selectorIlNS0_10empty_typeEEEZZNS1_27merge_sort_block_merge_implIS3_PlPS5_mZN2at6native12_GLOBAL__N_124unique_dim_cuda_templateIiEESt5tupleIJNSA_6TensorESF_SF_EERKSF_lbbbEUlllE_EE10hipError_tT0_T1_T2_jT3_P12ihipStream_tbPNSt15iterator_traitsISL_E10value_typeEPNSR_ISM_E10value_typeEPSN_NS1_7vsmem_tEENKUlT_SL_SM_SN_E_clIS8_S8_S9_S9_EESK_S10_SL_SM_SN_EUlS10_E_NS1_11comp_targetILNS1_3genE3ELNS1_11target_archE908ELNS1_3gpuE7ELNS1_3repE0EEENS1_48merge_mergepath_partition_config_static_selectorELNS0_4arch9wavefront6targetE1EEEvSM_
	.p2align	8
	.type	_ZN7rocprim17ROCPRIM_400000_NS6detail17trampoline_kernelINS0_14default_configENS1_38merge_sort_block_merge_config_selectorIlNS0_10empty_typeEEEZZNS1_27merge_sort_block_merge_implIS3_PlPS5_mZN2at6native12_GLOBAL__N_124unique_dim_cuda_templateIiEESt5tupleIJNSA_6TensorESF_SF_EERKSF_lbbbEUlllE_EE10hipError_tT0_T1_T2_jT3_P12ihipStream_tbPNSt15iterator_traitsISL_E10value_typeEPNSR_ISM_E10value_typeEPSN_NS1_7vsmem_tEENKUlT_SL_SM_SN_E_clIS8_S8_S9_S9_EESK_S10_SL_SM_SN_EUlS10_E_NS1_11comp_targetILNS1_3genE3ELNS1_11target_archE908ELNS1_3gpuE7ELNS1_3repE0EEENS1_48merge_mergepath_partition_config_static_selectorELNS0_4arch9wavefront6targetE1EEEvSM_,@function
_ZN7rocprim17ROCPRIM_400000_NS6detail17trampoline_kernelINS0_14default_configENS1_38merge_sort_block_merge_config_selectorIlNS0_10empty_typeEEEZZNS1_27merge_sort_block_merge_implIS3_PlPS5_mZN2at6native12_GLOBAL__N_124unique_dim_cuda_templateIiEESt5tupleIJNSA_6TensorESF_SF_EERKSF_lbbbEUlllE_EE10hipError_tT0_T1_T2_jT3_P12ihipStream_tbPNSt15iterator_traitsISL_E10value_typeEPNSR_ISM_E10value_typeEPSN_NS1_7vsmem_tEENKUlT_SL_SM_SN_E_clIS8_S8_S9_S9_EESK_S10_SL_SM_SN_EUlS10_E_NS1_11comp_targetILNS1_3genE3ELNS1_11target_archE908ELNS1_3gpuE7ELNS1_3repE0EEENS1_48merge_mergepath_partition_config_static_selectorELNS0_4arch9wavefront6targetE1EEEvSM_: ; @_ZN7rocprim17ROCPRIM_400000_NS6detail17trampoline_kernelINS0_14default_configENS1_38merge_sort_block_merge_config_selectorIlNS0_10empty_typeEEEZZNS1_27merge_sort_block_merge_implIS3_PlPS5_mZN2at6native12_GLOBAL__N_124unique_dim_cuda_templateIiEESt5tupleIJNSA_6TensorESF_SF_EERKSF_lbbbEUlllE_EE10hipError_tT0_T1_T2_jT3_P12ihipStream_tbPNSt15iterator_traitsISL_E10value_typeEPNSR_ISM_E10value_typeEPSN_NS1_7vsmem_tEENKUlT_SL_SM_SN_E_clIS8_S8_S9_S9_EESK_S10_SL_SM_SN_EUlS10_E_NS1_11comp_targetILNS1_3genE3ELNS1_11target_archE908ELNS1_3gpuE7ELNS1_3repE0EEENS1_48merge_mergepath_partition_config_static_selectorELNS0_4arch9wavefront6targetE1EEEvSM_
; %bb.0:
	.section	.rodata,"a",@progbits
	.p2align	6, 0x0
	.amdhsa_kernel _ZN7rocprim17ROCPRIM_400000_NS6detail17trampoline_kernelINS0_14default_configENS1_38merge_sort_block_merge_config_selectorIlNS0_10empty_typeEEEZZNS1_27merge_sort_block_merge_implIS3_PlPS5_mZN2at6native12_GLOBAL__N_124unique_dim_cuda_templateIiEESt5tupleIJNSA_6TensorESF_SF_EERKSF_lbbbEUlllE_EE10hipError_tT0_T1_T2_jT3_P12ihipStream_tbPNSt15iterator_traitsISL_E10value_typeEPNSR_ISM_E10value_typeEPSN_NS1_7vsmem_tEENKUlT_SL_SM_SN_E_clIS8_S8_S9_S9_EESK_S10_SL_SM_SN_EUlS10_E_NS1_11comp_targetILNS1_3genE3ELNS1_11target_archE908ELNS1_3gpuE7ELNS1_3repE0EEENS1_48merge_mergepath_partition_config_static_selectorELNS0_4arch9wavefront6targetE1EEEvSM_
		.amdhsa_group_segment_fixed_size 0
		.amdhsa_private_segment_fixed_size 0
		.amdhsa_kernarg_size 56
		.amdhsa_user_sgpr_count 2
		.amdhsa_user_sgpr_dispatch_ptr 0
		.amdhsa_user_sgpr_queue_ptr 0
		.amdhsa_user_sgpr_kernarg_segment_ptr 1
		.amdhsa_user_sgpr_dispatch_id 0
		.amdhsa_user_sgpr_kernarg_preload_length 0
		.amdhsa_user_sgpr_kernarg_preload_offset 0
		.amdhsa_user_sgpr_private_segment_size 0
		.amdhsa_uses_dynamic_stack 0
		.amdhsa_enable_private_segment 0
		.amdhsa_system_sgpr_workgroup_id_x 1
		.amdhsa_system_sgpr_workgroup_id_y 0
		.amdhsa_system_sgpr_workgroup_id_z 0
		.amdhsa_system_sgpr_workgroup_info 0
		.amdhsa_system_vgpr_workitem_id 0
		.amdhsa_next_free_vgpr 1
		.amdhsa_next_free_sgpr 0
		.amdhsa_accum_offset 4
		.amdhsa_reserve_vcc 0
		.amdhsa_float_round_mode_32 0
		.amdhsa_float_round_mode_16_64 0
		.amdhsa_float_denorm_mode_32 3
		.amdhsa_float_denorm_mode_16_64 3
		.amdhsa_dx10_clamp 1
		.amdhsa_ieee_mode 1
		.amdhsa_fp16_overflow 0
		.amdhsa_tg_split 0
		.amdhsa_exception_fp_ieee_invalid_op 0
		.amdhsa_exception_fp_denorm_src 0
		.amdhsa_exception_fp_ieee_div_zero 0
		.amdhsa_exception_fp_ieee_overflow 0
		.amdhsa_exception_fp_ieee_underflow 0
		.amdhsa_exception_fp_ieee_inexact 0
		.amdhsa_exception_int_div_zero 0
	.end_amdhsa_kernel
	.section	.text._ZN7rocprim17ROCPRIM_400000_NS6detail17trampoline_kernelINS0_14default_configENS1_38merge_sort_block_merge_config_selectorIlNS0_10empty_typeEEEZZNS1_27merge_sort_block_merge_implIS3_PlPS5_mZN2at6native12_GLOBAL__N_124unique_dim_cuda_templateIiEESt5tupleIJNSA_6TensorESF_SF_EERKSF_lbbbEUlllE_EE10hipError_tT0_T1_T2_jT3_P12ihipStream_tbPNSt15iterator_traitsISL_E10value_typeEPNSR_ISM_E10value_typeEPSN_NS1_7vsmem_tEENKUlT_SL_SM_SN_E_clIS8_S8_S9_S9_EESK_S10_SL_SM_SN_EUlS10_E_NS1_11comp_targetILNS1_3genE3ELNS1_11target_archE908ELNS1_3gpuE7ELNS1_3repE0EEENS1_48merge_mergepath_partition_config_static_selectorELNS0_4arch9wavefront6targetE1EEEvSM_,"axG",@progbits,_ZN7rocprim17ROCPRIM_400000_NS6detail17trampoline_kernelINS0_14default_configENS1_38merge_sort_block_merge_config_selectorIlNS0_10empty_typeEEEZZNS1_27merge_sort_block_merge_implIS3_PlPS5_mZN2at6native12_GLOBAL__N_124unique_dim_cuda_templateIiEESt5tupleIJNSA_6TensorESF_SF_EERKSF_lbbbEUlllE_EE10hipError_tT0_T1_T2_jT3_P12ihipStream_tbPNSt15iterator_traitsISL_E10value_typeEPNSR_ISM_E10value_typeEPSN_NS1_7vsmem_tEENKUlT_SL_SM_SN_E_clIS8_S8_S9_S9_EESK_S10_SL_SM_SN_EUlS10_E_NS1_11comp_targetILNS1_3genE3ELNS1_11target_archE908ELNS1_3gpuE7ELNS1_3repE0EEENS1_48merge_mergepath_partition_config_static_selectorELNS0_4arch9wavefront6targetE1EEEvSM_,comdat
.Lfunc_end399:
	.size	_ZN7rocprim17ROCPRIM_400000_NS6detail17trampoline_kernelINS0_14default_configENS1_38merge_sort_block_merge_config_selectorIlNS0_10empty_typeEEEZZNS1_27merge_sort_block_merge_implIS3_PlPS5_mZN2at6native12_GLOBAL__N_124unique_dim_cuda_templateIiEESt5tupleIJNSA_6TensorESF_SF_EERKSF_lbbbEUlllE_EE10hipError_tT0_T1_T2_jT3_P12ihipStream_tbPNSt15iterator_traitsISL_E10value_typeEPNSR_ISM_E10value_typeEPSN_NS1_7vsmem_tEENKUlT_SL_SM_SN_E_clIS8_S8_S9_S9_EESK_S10_SL_SM_SN_EUlS10_E_NS1_11comp_targetILNS1_3genE3ELNS1_11target_archE908ELNS1_3gpuE7ELNS1_3repE0EEENS1_48merge_mergepath_partition_config_static_selectorELNS0_4arch9wavefront6targetE1EEEvSM_, .Lfunc_end399-_ZN7rocprim17ROCPRIM_400000_NS6detail17trampoline_kernelINS0_14default_configENS1_38merge_sort_block_merge_config_selectorIlNS0_10empty_typeEEEZZNS1_27merge_sort_block_merge_implIS3_PlPS5_mZN2at6native12_GLOBAL__N_124unique_dim_cuda_templateIiEESt5tupleIJNSA_6TensorESF_SF_EERKSF_lbbbEUlllE_EE10hipError_tT0_T1_T2_jT3_P12ihipStream_tbPNSt15iterator_traitsISL_E10value_typeEPNSR_ISM_E10value_typeEPSN_NS1_7vsmem_tEENKUlT_SL_SM_SN_E_clIS8_S8_S9_S9_EESK_S10_SL_SM_SN_EUlS10_E_NS1_11comp_targetILNS1_3genE3ELNS1_11target_archE908ELNS1_3gpuE7ELNS1_3repE0EEENS1_48merge_mergepath_partition_config_static_selectorELNS0_4arch9wavefront6targetE1EEEvSM_
                                        ; -- End function
	.section	.AMDGPU.csdata,"",@progbits
; Kernel info:
; codeLenInByte = 0
; NumSgprs: 6
; NumVgprs: 0
; NumAgprs: 0
; TotalNumVgprs: 0
; ScratchSize: 0
; MemoryBound: 0
; FloatMode: 240
; IeeeMode: 1
; LDSByteSize: 0 bytes/workgroup (compile time only)
; SGPRBlocks: 0
; VGPRBlocks: 0
; NumSGPRsForWavesPerEU: 6
; NumVGPRsForWavesPerEU: 1
; AccumOffset: 4
; Occupancy: 8
; WaveLimiterHint : 0
; COMPUTE_PGM_RSRC2:SCRATCH_EN: 0
; COMPUTE_PGM_RSRC2:USER_SGPR: 2
; COMPUTE_PGM_RSRC2:TRAP_HANDLER: 0
; COMPUTE_PGM_RSRC2:TGID_X_EN: 1
; COMPUTE_PGM_RSRC2:TGID_Y_EN: 0
; COMPUTE_PGM_RSRC2:TGID_Z_EN: 0
; COMPUTE_PGM_RSRC2:TIDIG_COMP_CNT: 0
; COMPUTE_PGM_RSRC3_GFX90A:ACCUM_OFFSET: 0
; COMPUTE_PGM_RSRC3_GFX90A:TG_SPLIT: 0
	.section	.text._ZN7rocprim17ROCPRIM_400000_NS6detail17trampoline_kernelINS0_14default_configENS1_38merge_sort_block_merge_config_selectorIlNS0_10empty_typeEEEZZNS1_27merge_sort_block_merge_implIS3_PlPS5_mZN2at6native12_GLOBAL__N_124unique_dim_cuda_templateIiEESt5tupleIJNSA_6TensorESF_SF_EERKSF_lbbbEUlllE_EE10hipError_tT0_T1_T2_jT3_P12ihipStream_tbPNSt15iterator_traitsISL_E10value_typeEPNSR_ISM_E10value_typeEPSN_NS1_7vsmem_tEENKUlT_SL_SM_SN_E_clIS8_S8_S9_S9_EESK_S10_SL_SM_SN_EUlS10_E_NS1_11comp_targetILNS1_3genE2ELNS1_11target_archE906ELNS1_3gpuE6ELNS1_3repE0EEENS1_48merge_mergepath_partition_config_static_selectorELNS0_4arch9wavefront6targetE1EEEvSM_,"axG",@progbits,_ZN7rocprim17ROCPRIM_400000_NS6detail17trampoline_kernelINS0_14default_configENS1_38merge_sort_block_merge_config_selectorIlNS0_10empty_typeEEEZZNS1_27merge_sort_block_merge_implIS3_PlPS5_mZN2at6native12_GLOBAL__N_124unique_dim_cuda_templateIiEESt5tupleIJNSA_6TensorESF_SF_EERKSF_lbbbEUlllE_EE10hipError_tT0_T1_T2_jT3_P12ihipStream_tbPNSt15iterator_traitsISL_E10value_typeEPNSR_ISM_E10value_typeEPSN_NS1_7vsmem_tEENKUlT_SL_SM_SN_E_clIS8_S8_S9_S9_EESK_S10_SL_SM_SN_EUlS10_E_NS1_11comp_targetILNS1_3genE2ELNS1_11target_archE906ELNS1_3gpuE6ELNS1_3repE0EEENS1_48merge_mergepath_partition_config_static_selectorELNS0_4arch9wavefront6targetE1EEEvSM_,comdat
	.globl	_ZN7rocprim17ROCPRIM_400000_NS6detail17trampoline_kernelINS0_14default_configENS1_38merge_sort_block_merge_config_selectorIlNS0_10empty_typeEEEZZNS1_27merge_sort_block_merge_implIS3_PlPS5_mZN2at6native12_GLOBAL__N_124unique_dim_cuda_templateIiEESt5tupleIJNSA_6TensorESF_SF_EERKSF_lbbbEUlllE_EE10hipError_tT0_T1_T2_jT3_P12ihipStream_tbPNSt15iterator_traitsISL_E10value_typeEPNSR_ISM_E10value_typeEPSN_NS1_7vsmem_tEENKUlT_SL_SM_SN_E_clIS8_S8_S9_S9_EESK_S10_SL_SM_SN_EUlS10_E_NS1_11comp_targetILNS1_3genE2ELNS1_11target_archE906ELNS1_3gpuE6ELNS1_3repE0EEENS1_48merge_mergepath_partition_config_static_selectorELNS0_4arch9wavefront6targetE1EEEvSM_ ; -- Begin function _ZN7rocprim17ROCPRIM_400000_NS6detail17trampoline_kernelINS0_14default_configENS1_38merge_sort_block_merge_config_selectorIlNS0_10empty_typeEEEZZNS1_27merge_sort_block_merge_implIS3_PlPS5_mZN2at6native12_GLOBAL__N_124unique_dim_cuda_templateIiEESt5tupleIJNSA_6TensorESF_SF_EERKSF_lbbbEUlllE_EE10hipError_tT0_T1_T2_jT3_P12ihipStream_tbPNSt15iterator_traitsISL_E10value_typeEPNSR_ISM_E10value_typeEPSN_NS1_7vsmem_tEENKUlT_SL_SM_SN_E_clIS8_S8_S9_S9_EESK_S10_SL_SM_SN_EUlS10_E_NS1_11comp_targetILNS1_3genE2ELNS1_11target_archE906ELNS1_3gpuE6ELNS1_3repE0EEENS1_48merge_mergepath_partition_config_static_selectorELNS0_4arch9wavefront6targetE1EEEvSM_
	.p2align	8
	.type	_ZN7rocprim17ROCPRIM_400000_NS6detail17trampoline_kernelINS0_14default_configENS1_38merge_sort_block_merge_config_selectorIlNS0_10empty_typeEEEZZNS1_27merge_sort_block_merge_implIS3_PlPS5_mZN2at6native12_GLOBAL__N_124unique_dim_cuda_templateIiEESt5tupleIJNSA_6TensorESF_SF_EERKSF_lbbbEUlllE_EE10hipError_tT0_T1_T2_jT3_P12ihipStream_tbPNSt15iterator_traitsISL_E10value_typeEPNSR_ISM_E10value_typeEPSN_NS1_7vsmem_tEENKUlT_SL_SM_SN_E_clIS8_S8_S9_S9_EESK_S10_SL_SM_SN_EUlS10_E_NS1_11comp_targetILNS1_3genE2ELNS1_11target_archE906ELNS1_3gpuE6ELNS1_3repE0EEENS1_48merge_mergepath_partition_config_static_selectorELNS0_4arch9wavefront6targetE1EEEvSM_,@function
_ZN7rocprim17ROCPRIM_400000_NS6detail17trampoline_kernelINS0_14default_configENS1_38merge_sort_block_merge_config_selectorIlNS0_10empty_typeEEEZZNS1_27merge_sort_block_merge_implIS3_PlPS5_mZN2at6native12_GLOBAL__N_124unique_dim_cuda_templateIiEESt5tupleIJNSA_6TensorESF_SF_EERKSF_lbbbEUlllE_EE10hipError_tT0_T1_T2_jT3_P12ihipStream_tbPNSt15iterator_traitsISL_E10value_typeEPNSR_ISM_E10value_typeEPSN_NS1_7vsmem_tEENKUlT_SL_SM_SN_E_clIS8_S8_S9_S9_EESK_S10_SL_SM_SN_EUlS10_E_NS1_11comp_targetILNS1_3genE2ELNS1_11target_archE906ELNS1_3gpuE6ELNS1_3repE0EEENS1_48merge_mergepath_partition_config_static_selectorELNS0_4arch9wavefront6targetE1EEEvSM_: ; @_ZN7rocprim17ROCPRIM_400000_NS6detail17trampoline_kernelINS0_14default_configENS1_38merge_sort_block_merge_config_selectorIlNS0_10empty_typeEEEZZNS1_27merge_sort_block_merge_implIS3_PlPS5_mZN2at6native12_GLOBAL__N_124unique_dim_cuda_templateIiEESt5tupleIJNSA_6TensorESF_SF_EERKSF_lbbbEUlllE_EE10hipError_tT0_T1_T2_jT3_P12ihipStream_tbPNSt15iterator_traitsISL_E10value_typeEPNSR_ISM_E10value_typeEPSN_NS1_7vsmem_tEENKUlT_SL_SM_SN_E_clIS8_S8_S9_S9_EESK_S10_SL_SM_SN_EUlS10_E_NS1_11comp_targetILNS1_3genE2ELNS1_11target_archE906ELNS1_3gpuE6ELNS1_3repE0EEENS1_48merge_mergepath_partition_config_static_selectorELNS0_4arch9wavefront6targetE1EEEvSM_
; %bb.0:
	.section	.rodata,"a",@progbits
	.p2align	6, 0x0
	.amdhsa_kernel _ZN7rocprim17ROCPRIM_400000_NS6detail17trampoline_kernelINS0_14default_configENS1_38merge_sort_block_merge_config_selectorIlNS0_10empty_typeEEEZZNS1_27merge_sort_block_merge_implIS3_PlPS5_mZN2at6native12_GLOBAL__N_124unique_dim_cuda_templateIiEESt5tupleIJNSA_6TensorESF_SF_EERKSF_lbbbEUlllE_EE10hipError_tT0_T1_T2_jT3_P12ihipStream_tbPNSt15iterator_traitsISL_E10value_typeEPNSR_ISM_E10value_typeEPSN_NS1_7vsmem_tEENKUlT_SL_SM_SN_E_clIS8_S8_S9_S9_EESK_S10_SL_SM_SN_EUlS10_E_NS1_11comp_targetILNS1_3genE2ELNS1_11target_archE906ELNS1_3gpuE6ELNS1_3repE0EEENS1_48merge_mergepath_partition_config_static_selectorELNS0_4arch9wavefront6targetE1EEEvSM_
		.amdhsa_group_segment_fixed_size 0
		.amdhsa_private_segment_fixed_size 0
		.amdhsa_kernarg_size 56
		.amdhsa_user_sgpr_count 2
		.amdhsa_user_sgpr_dispatch_ptr 0
		.amdhsa_user_sgpr_queue_ptr 0
		.amdhsa_user_sgpr_kernarg_segment_ptr 1
		.amdhsa_user_sgpr_dispatch_id 0
		.amdhsa_user_sgpr_kernarg_preload_length 0
		.amdhsa_user_sgpr_kernarg_preload_offset 0
		.amdhsa_user_sgpr_private_segment_size 0
		.amdhsa_uses_dynamic_stack 0
		.amdhsa_enable_private_segment 0
		.amdhsa_system_sgpr_workgroup_id_x 1
		.amdhsa_system_sgpr_workgroup_id_y 0
		.amdhsa_system_sgpr_workgroup_id_z 0
		.amdhsa_system_sgpr_workgroup_info 0
		.amdhsa_system_vgpr_workitem_id 0
		.amdhsa_next_free_vgpr 1
		.amdhsa_next_free_sgpr 0
		.amdhsa_accum_offset 4
		.amdhsa_reserve_vcc 0
		.amdhsa_float_round_mode_32 0
		.amdhsa_float_round_mode_16_64 0
		.amdhsa_float_denorm_mode_32 3
		.amdhsa_float_denorm_mode_16_64 3
		.amdhsa_dx10_clamp 1
		.amdhsa_ieee_mode 1
		.amdhsa_fp16_overflow 0
		.amdhsa_tg_split 0
		.amdhsa_exception_fp_ieee_invalid_op 0
		.amdhsa_exception_fp_denorm_src 0
		.amdhsa_exception_fp_ieee_div_zero 0
		.amdhsa_exception_fp_ieee_overflow 0
		.amdhsa_exception_fp_ieee_underflow 0
		.amdhsa_exception_fp_ieee_inexact 0
		.amdhsa_exception_int_div_zero 0
	.end_amdhsa_kernel
	.section	.text._ZN7rocprim17ROCPRIM_400000_NS6detail17trampoline_kernelINS0_14default_configENS1_38merge_sort_block_merge_config_selectorIlNS0_10empty_typeEEEZZNS1_27merge_sort_block_merge_implIS3_PlPS5_mZN2at6native12_GLOBAL__N_124unique_dim_cuda_templateIiEESt5tupleIJNSA_6TensorESF_SF_EERKSF_lbbbEUlllE_EE10hipError_tT0_T1_T2_jT3_P12ihipStream_tbPNSt15iterator_traitsISL_E10value_typeEPNSR_ISM_E10value_typeEPSN_NS1_7vsmem_tEENKUlT_SL_SM_SN_E_clIS8_S8_S9_S9_EESK_S10_SL_SM_SN_EUlS10_E_NS1_11comp_targetILNS1_3genE2ELNS1_11target_archE906ELNS1_3gpuE6ELNS1_3repE0EEENS1_48merge_mergepath_partition_config_static_selectorELNS0_4arch9wavefront6targetE1EEEvSM_,"axG",@progbits,_ZN7rocprim17ROCPRIM_400000_NS6detail17trampoline_kernelINS0_14default_configENS1_38merge_sort_block_merge_config_selectorIlNS0_10empty_typeEEEZZNS1_27merge_sort_block_merge_implIS3_PlPS5_mZN2at6native12_GLOBAL__N_124unique_dim_cuda_templateIiEESt5tupleIJNSA_6TensorESF_SF_EERKSF_lbbbEUlllE_EE10hipError_tT0_T1_T2_jT3_P12ihipStream_tbPNSt15iterator_traitsISL_E10value_typeEPNSR_ISM_E10value_typeEPSN_NS1_7vsmem_tEENKUlT_SL_SM_SN_E_clIS8_S8_S9_S9_EESK_S10_SL_SM_SN_EUlS10_E_NS1_11comp_targetILNS1_3genE2ELNS1_11target_archE906ELNS1_3gpuE6ELNS1_3repE0EEENS1_48merge_mergepath_partition_config_static_selectorELNS0_4arch9wavefront6targetE1EEEvSM_,comdat
.Lfunc_end400:
	.size	_ZN7rocprim17ROCPRIM_400000_NS6detail17trampoline_kernelINS0_14default_configENS1_38merge_sort_block_merge_config_selectorIlNS0_10empty_typeEEEZZNS1_27merge_sort_block_merge_implIS3_PlPS5_mZN2at6native12_GLOBAL__N_124unique_dim_cuda_templateIiEESt5tupleIJNSA_6TensorESF_SF_EERKSF_lbbbEUlllE_EE10hipError_tT0_T1_T2_jT3_P12ihipStream_tbPNSt15iterator_traitsISL_E10value_typeEPNSR_ISM_E10value_typeEPSN_NS1_7vsmem_tEENKUlT_SL_SM_SN_E_clIS8_S8_S9_S9_EESK_S10_SL_SM_SN_EUlS10_E_NS1_11comp_targetILNS1_3genE2ELNS1_11target_archE906ELNS1_3gpuE6ELNS1_3repE0EEENS1_48merge_mergepath_partition_config_static_selectorELNS0_4arch9wavefront6targetE1EEEvSM_, .Lfunc_end400-_ZN7rocprim17ROCPRIM_400000_NS6detail17trampoline_kernelINS0_14default_configENS1_38merge_sort_block_merge_config_selectorIlNS0_10empty_typeEEEZZNS1_27merge_sort_block_merge_implIS3_PlPS5_mZN2at6native12_GLOBAL__N_124unique_dim_cuda_templateIiEESt5tupleIJNSA_6TensorESF_SF_EERKSF_lbbbEUlllE_EE10hipError_tT0_T1_T2_jT3_P12ihipStream_tbPNSt15iterator_traitsISL_E10value_typeEPNSR_ISM_E10value_typeEPSN_NS1_7vsmem_tEENKUlT_SL_SM_SN_E_clIS8_S8_S9_S9_EESK_S10_SL_SM_SN_EUlS10_E_NS1_11comp_targetILNS1_3genE2ELNS1_11target_archE906ELNS1_3gpuE6ELNS1_3repE0EEENS1_48merge_mergepath_partition_config_static_selectorELNS0_4arch9wavefront6targetE1EEEvSM_
                                        ; -- End function
	.section	.AMDGPU.csdata,"",@progbits
; Kernel info:
; codeLenInByte = 0
; NumSgprs: 6
; NumVgprs: 0
; NumAgprs: 0
; TotalNumVgprs: 0
; ScratchSize: 0
; MemoryBound: 0
; FloatMode: 240
; IeeeMode: 1
; LDSByteSize: 0 bytes/workgroup (compile time only)
; SGPRBlocks: 0
; VGPRBlocks: 0
; NumSGPRsForWavesPerEU: 6
; NumVGPRsForWavesPerEU: 1
; AccumOffset: 4
; Occupancy: 8
; WaveLimiterHint : 0
; COMPUTE_PGM_RSRC2:SCRATCH_EN: 0
; COMPUTE_PGM_RSRC2:USER_SGPR: 2
; COMPUTE_PGM_RSRC2:TRAP_HANDLER: 0
; COMPUTE_PGM_RSRC2:TGID_X_EN: 1
; COMPUTE_PGM_RSRC2:TGID_Y_EN: 0
; COMPUTE_PGM_RSRC2:TGID_Z_EN: 0
; COMPUTE_PGM_RSRC2:TIDIG_COMP_CNT: 0
; COMPUTE_PGM_RSRC3_GFX90A:ACCUM_OFFSET: 0
; COMPUTE_PGM_RSRC3_GFX90A:TG_SPLIT: 0
	.section	.text._ZN7rocprim17ROCPRIM_400000_NS6detail17trampoline_kernelINS0_14default_configENS1_38merge_sort_block_merge_config_selectorIlNS0_10empty_typeEEEZZNS1_27merge_sort_block_merge_implIS3_PlPS5_mZN2at6native12_GLOBAL__N_124unique_dim_cuda_templateIiEESt5tupleIJNSA_6TensorESF_SF_EERKSF_lbbbEUlllE_EE10hipError_tT0_T1_T2_jT3_P12ihipStream_tbPNSt15iterator_traitsISL_E10value_typeEPNSR_ISM_E10value_typeEPSN_NS1_7vsmem_tEENKUlT_SL_SM_SN_E_clIS8_S8_S9_S9_EESK_S10_SL_SM_SN_EUlS10_E_NS1_11comp_targetILNS1_3genE9ELNS1_11target_archE1100ELNS1_3gpuE3ELNS1_3repE0EEENS1_48merge_mergepath_partition_config_static_selectorELNS0_4arch9wavefront6targetE1EEEvSM_,"axG",@progbits,_ZN7rocprim17ROCPRIM_400000_NS6detail17trampoline_kernelINS0_14default_configENS1_38merge_sort_block_merge_config_selectorIlNS0_10empty_typeEEEZZNS1_27merge_sort_block_merge_implIS3_PlPS5_mZN2at6native12_GLOBAL__N_124unique_dim_cuda_templateIiEESt5tupleIJNSA_6TensorESF_SF_EERKSF_lbbbEUlllE_EE10hipError_tT0_T1_T2_jT3_P12ihipStream_tbPNSt15iterator_traitsISL_E10value_typeEPNSR_ISM_E10value_typeEPSN_NS1_7vsmem_tEENKUlT_SL_SM_SN_E_clIS8_S8_S9_S9_EESK_S10_SL_SM_SN_EUlS10_E_NS1_11comp_targetILNS1_3genE9ELNS1_11target_archE1100ELNS1_3gpuE3ELNS1_3repE0EEENS1_48merge_mergepath_partition_config_static_selectorELNS0_4arch9wavefront6targetE1EEEvSM_,comdat
	.globl	_ZN7rocprim17ROCPRIM_400000_NS6detail17trampoline_kernelINS0_14default_configENS1_38merge_sort_block_merge_config_selectorIlNS0_10empty_typeEEEZZNS1_27merge_sort_block_merge_implIS3_PlPS5_mZN2at6native12_GLOBAL__N_124unique_dim_cuda_templateIiEESt5tupleIJNSA_6TensorESF_SF_EERKSF_lbbbEUlllE_EE10hipError_tT0_T1_T2_jT3_P12ihipStream_tbPNSt15iterator_traitsISL_E10value_typeEPNSR_ISM_E10value_typeEPSN_NS1_7vsmem_tEENKUlT_SL_SM_SN_E_clIS8_S8_S9_S9_EESK_S10_SL_SM_SN_EUlS10_E_NS1_11comp_targetILNS1_3genE9ELNS1_11target_archE1100ELNS1_3gpuE3ELNS1_3repE0EEENS1_48merge_mergepath_partition_config_static_selectorELNS0_4arch9wavefront6targetE1EEEvSM_ ; -- Begin function _ZN7rocprim17ROCPRIM_400000_NS6detail17trampoline_kernelINS0_14default_configENS1_38merge_sort_block_merge_config_selectorIlNS0_10empty_typeEEEZZNS1_27merge_sort_block_merge_implIS3_PlPS5_mZN2at6native12_GLOBAL__N_124unique_dim_cuda_templateIiEESt5tupleIJNSA_6TensorESF_SF_EERKSF_lbbbEUlllE_EE10hipError_tT0_T1_T2_jT3_P12ihipStream_tbPNSt15iterator_traitsISL_E10value_typeEPNSR_ISM_E10value_typeEPSN_NS1_7vsmem_tEENKUlT_SL_SM_SN_E_clIS8_S8_S9_S9_EESK_S10_SL_SM_SN_EUlS10_E_NS1_11comp_targetILNS1_3genE9ELNS1_11target_archE1100ELNS1_3gpuE3ELNS1_3repE0EEENS1_48merge_mergepath_partition_config_static_selectorELNS0_4arch9wavefront6targetE1EEEvSM_
	.p2align	8
	.type	_ZN7rocprim17ROCPRIM_400000_NS6detail17trampoline_kernelINS0_14default_configENS1_38merge_sort_block_merge_config_selectorIlNS0_10empty_typeEEEZZNS1_27merge_sort_block_merge_implIS3_PlPS5_mZN2at6native12_GLOBAL__N_124unique_dim_cuda_templateIiEESt5tupleIJNSA_6TensorESF_SF_EERKSF_lbbbEUlllE_EE10hipError_tT0_T1_T2_jT3_P12ihipStream_tbPNSt15iterator_traitsISL_E10value_typeEPNSR_ISM_E10value_typeEPSN_NS1_7vsmem_tEENKUlT_SL_SM_SN_E_clIS8_S8_S9_S9_EESK_S10_SL_SM_SN_EUlS10_E_NS1_11comp_targetILNS1_3genE9ELNS1_11target_archE1100ELNS1_3gpuE3ELNS1_3repE0EEENS1_48merge_mergepath_partition_config_static_selectorELNS0_4arch9wavefront6targetE1EEEvSM_,@function
_ZN7rocprim17ROCPRIM_400000_NS6detail17trampoline_kernelINS0_14default_configENS1_38merge_sort_block_merge_config_selectorIlNS0_10empty_typeEEEZZNS1_27merge_sort_block_merge_implIS3_PlPS5_mZN2at6native12_GLOBAL__N_124unique_dim_cuda_templateIiEESt5tupleIJNSA_6TensorESF_SF_EERKSF_lbbbEUlllE_EE10hipError_tT0_T1_T2_jT3_P12ihipStream_tbPNSt15iterator_traitsISL_E10value_typeEPNSR_ISM_E10value_typeEPSN_NS1_7vsmem_tEENKUlT_SL_SM_SN_E_clIS8_S8_S9_S9_EESK_S10_SL_SM_SN_EUlS10_E_NS1_11comp_targetILNS1_3genE9ELNS1_11target_archE1100ELNS1_3gpuE3ELNS1_3repE0EEENS1_48merge_mergepath_partition_config_static_selectorELNS0_4arch9wavefront6targetE1EEEvSM_: ; @_ZN7rocprim17ROCPRIM_400000_NS6detail17trampoline_kernelINS0_14default_configENS1_38merge_sort_block_merge_config_selectorIlNS0_10empty_typeEEEZZNS1_27merge_sort_block_merge_implIS3_PlPS5_mZN2at6native12_GLOBAL__N_124unique_dim_cuda_templateIiEESt5tupleIJNSA_6TensorESF_SF_EERKSF_lbbbEUlllE_EE10hipError_tT0_T1_T2_jT3_P12ihipStream_tbPNSt15iterator_traitsISL_E10value_typeEPNSR_ISM_E10value_typeEPSN_NS1_7vsmem_tEENKUlT_SL_SM_SN_E_clIS8_S8_S9_S9_EESK_S10_SL_SM_SN_EUlS10_E_NS1_11comp_targetILNS1_3genE9ELNS1_11target_archE1100ELNS1_3gpuE3ELNS1_3repE0EEENS1_48merge_mergepath_partition_config_static_selectorELNS0_4arch9wavefront6targetE1EEEvSM_
; %bb.0:
	.section	.rodata,"a",@progbits
	.p2align	6, 0x0
	.amdhsa_kernel _ZN7rocprim17ROCPRIM_400000_NS6detail17trampoline_kernelINS0_14default_configENS1_38merge_sort_block_merge_config_selectorIlNS0_10empty_typeEEEZZNS1_27merge_sort_block_merge_implIS3_PlPS5_mZN2at6native12_GLOBAL__N_124unique_dim_cuda_templateIiEESt5tupleIJNSA_6TensorESF_SF_EERKSF_lbbbEUlllE_EE10hipError_tT0_T1_T2_jT3_P12ihipStream_tbPNSt15iterator_traitsISL_E10value_typeEPNSR_ISM_E10value_typeEPSN_NS1_7vsmem_tEENKUlT_SL_SM_SN_E_clIS8_S8_S9_S9_EESK_S10_SL_SM_SN_EUlS10_E_NS1_11comp_targetILNS1_3genE9ELNS1_11target_archE1100ELNS1_3gpuE3ELNS1_3repE0EEENS1_48merge_mergepath_partition_config_static_selectorELNS0_4arch9wavefront6targetE1EEEvSM_
		.amdhsa_group_segment_fixed_size 0
		.amdhsa_private_segment_fixed_size 0
		.amdhsa_kernarg_size 56
		.amdhsa_user_sgpr_count 2
		.amdhsa_user_sgpr_dispatch_ptr 0
		.amdhsa_user_sgpr_queue_ptr 0
		.amdhsa_user_sgpr_kernarg_segment_ptr 1
		.amdhsa_user_sgpr_dispatch_id 0
		.amdhsa_user_sgpr_kernarg_preload_length 0
		.amdhsa_user_sgpr_kernarg_preload_offset 0
		.amdhsa_user_sgpr_private_segment_size 0
		.amdhsa_uses_dynamic_stack 0
		.amdhsa_enable_private_segment 0
		.amdhsa_system_sgpr_workgroup_id_x 1
		.amdhsa_system_sgpr_workgroup_id_y 0
		.amdhsa_system_sgpr_workgroup_id_z 0
		.amdhsa_system_sgpr_workgroup_info 0
		.amdhsa_system_vgpr_workitem_id 0
		.amdhsa_next_free_vgpr 1
		.amdhsa_next_free_sgpr 0
		.amdhsa_accum_offset 4
		.amdhsa_reserve_vcc 0
		.amdhsa_float_round_mode_32 0
		.amdhsa_float_round_mode_16_64 0
		.amdhsa_float_denorm_mode_32 3
		.amdhsa_float_denorm_mode_16_64 3
		.amdhsa_dx10_clamp 1
		.amdhsa_ieee_mode 1
		.amdhsa_fp16_overflow 0
		.amdhsa_tg_split 0
		.amdhsa_exception_fp_ieee_invalid_op 0
		.amdhsa_exception_fp_denorm_src 0
		.amdhsa_exception_fp_ieee_div_zero 0
		.amdhsa_exception_fp_ieee_overflow 0
		.amdhsa_exception_fp_ieee_underflow 0
		.amdhsa_exception_fp_ieee_inexact 0
		.amdhsa_exception_int_div_zero 0
	.end_amdhsa_kernel
	.section	.text._ZN7rocprim17ROCPRIM_400000_NS6detail17trampoline_kernelINS0_14default_configENS1_38merge_sort_block_merge_config_selectorIlNS0_10empty_typeEEEZZNS1_27merge_sort_block_merge_implIS3_PlPS5_mZN2at6native12_GLOBAL__N_124unique_dim_cuda_templateIiEESt5tupleIJNSA_6TensorESF_SF_EERKSF_lbbbEUlllE_EE10hipError_tT0_T1_T2_jT3_P12ihipStream_tbPNSt15iterator_traitsISL_E10value_typeEPNSR_ISM_E10value_typeEPSN_NS1_7vsmem_tEENKUlT_SL_SM_SN_E_clIS8_S8_S9_S9_EESK_S10_SL_SM_SN_EUlS10_E_NS1_11comp_targetILNS1_3genE9ELNS1_11target_archE1100ELNS1_3gpuE3ELNS1_3repE0EEENS1_48merge_mergepath_partition_config_static_selectorELNS0_4arch9wavefront6targetE1EEEvSM_,"axG",@progbits,_ZN7rocprim17ROCPRIM_400000_NS6detail17trampoline_kernelINS0_14default_configENS1_38merge_sort_block_merge_config_selectorIlNS0_10empty_typeEEEZZNS1_27merge_sort_block_merge_implIS3_PlPS5_mZN2at6native12_GLOBAL__N_124unique_dim_cuda_templateIiEESt5tupleIJNSA_6TensorESF_SF_EERKSF_lbbbEUlllE_EE10hipError_tT0_T1_T2_jT3_P12ihipStream_tbPNSt15iterator_traitsISL_E10value_typeEPNSR_ISM_E10value_typeEPSN_NS1_7vsmem_tEENKUlT_SL_SM_SN_E_clIS8_S8_S9_S9_EESK_S10_SL_SM_SN_EUlS10_E_NS1_11comp_targetILNS1_3genE9ELNS1_11target_archE1100ELNS1_3gpuE3ELNS1_3repE0EEENS1_48merge_mergepath_partition_config_static_selectorELNS0_4arch9wavefront6targetE1EEEvSM_,comdat
.Lfunc_end401:
	.size	_ZN7rocprim17ROCPRIM_400000_NS6detail17trampoline_kernelINS0_14default_configENS1_38merge_sort_block_merge_config_selectorIlNS0_10empty_typeEEEZZNS1_27merge_sort_block_merge_implIS3_PlPS5_mZN2at6native12_GLOBAL__N_124unique_dim_cuda_templateIiEESt5tupleIJNSA_6TensorESF_SF_EERKSF_lbbbEUlllE_EE10hipError_tT0_T1_T2_jT3_P12ihipStream_tbPNSt15iterator_traitsISL_E10value_typeEPNSR_ISM_E10value_typeEPSN_NS1_7vsmem_tEENKUlT_SL_SM_SN_E_clIS8_S8_S9_S9_EESK_S10_SL_SM_SN_EUlS10_E_NS1_11comp_targetILNS1_3genE9ELNS1_11target_archE1100ELNS1_3gpuE3ELNS1_3repE0EEENS1_48merge_mergepath_partition_config_static_selectorELNS0_4arch9wavefront6targetE1EEEvSM_, .Lfunc_end401-_ZN7rocprim17ROCPRIM_400000_NS6detail17trampoline_kernelINS0_14default_configENS1_38merge_sort_block_merge_config_selectorIlNS0_10empty_typeEEEZZNS1_27merge_sort_block_merge_implIS3_PlPS5_mZN2at6native12_GLOBAL__N_124unique_dim_cuda_templateIiEESt5tupleIJNSA_6TensorESF_SF_EERKSF_lbbbEUlllE_EE10hipError_tT0_T1_T2_jT3_P12ihipStream_tbPNSt15iterator_traitsISL_E10value_typeEPNSR_ISM_E10value_typeEPSN_NS1_7vsmem_tEENKUlT_SL_SM_SN_E_clIS8_S8_S9_S9_EESK_S10_SL_SM_SN_EUlS10_E_NS1_11comp_targetILNS1_3genE9ELNS1_11target_archE1100ELNS1_3gpuE3ELNS1_3repE0EEENS1_48merge_mergepath_partition_config_static_selectorELNS0_4arch9wavefront6targetE1EEEvSM_
                                        ; -- End function
	.section	.AMDGPU.csdata,"",@progbits
; Kernel info:
; codeLenInByte = 0
; NumSgprs: 6
; NumVgprs: 0
; NumAgprs: 0
; TotalNumVgprs: 0
; ScratchSize: 0
; MemoryBound: 0
; FloatMode: 240
; IeeeMode: 1
; LDSByteSize: 0 bytes/workgroup (compile time only)
; SGPRBlocks: 0
; VGPRBlocks: 0
; NumSGPRsForWavesPerEU: 6
; NumVGPRsForWavesPerEU: 1
; AccumOffset: 4
; Occupancy: 8
; WaveLimiterHint : 0
; COMPUTE_PGM_RSRC2:SCRATCH_EN: 0
; COMPUTE_PGM_RSRC2:USER_SGPR: 2
; COMPUTE_PGM_RSRC2:TRAP_HANDLER: 0
; COMPUTE_PGM_RSRC2:TGID_X_EN: 1
; COMPUTE_PGM_RSRC2:TGID_Y_EN: 0
; COMPUTE_PGM_RSRC2:TGID_Z_EN: 0
; COMPUTE_PGM_RSRC2:TIDIG_COMP_CNT: 0
; COMPUTE_PGM_RSRC3_GFX90A:ACCUM_OFFSET: 0
; COMPUTE_PGM_RSRC3_GFX90A:TG_SPLIT: 0
	.section	.text._ZN7rocprim17ROCPRIM_400000_NS6detail17trampoline_kernelINS0_14default_configENS1_38merge_sort_block_merge_config_selectorIlNS0_10empty_typeEEEZZNS1_27merge_sort_block_merge_implIS3_PlPS5_mZN2at6native12_GLOBAL__N_124unique_dim_cuda_templateIiEESt5tupleIJNSA_6TensorESF_SF_EERKSF_lbbbEUlllE_EE10hipError_tT0_T1_T2_jT3_P12ihipStream_tbPNSt15iterator_traitsISL_E10value_typeEPNSR_ISM_E10value_typeEPSN_NS1_7vsmem_tEENKUlT_SL_SM_SN_E_clIS8_S8_S9_S9_EESK_S10_SL_SM_SN_EUlS10_E_NS1_11comp_targetILNS1_3genE8ELNS1_11target_archE1030ELNS1_3gpuE2ELNS1_3repE0EEENS1_48merge_mergepath_partition_config_static_selectorELNS0_4arch9wavefront6targetE1EEEvSM_,"axG",@progbits,_ZN7rocprim17ROCPRIM_400000_NS6detail17trampoline_kernelINS0_14default_configENS1_38merge_sort_block_merge_config_selectorIlNS0_10empty_typeEEEZZNS1_27merge_sort_block_merge_implIS3_PlPS5_mZN2at6native12_GLOBAL__N_124unique_dim_cuda_templateIiEESt5tupleIJNSA_6TensorESF_SF_EERKSF_lbbbEUlllE_EE10hipError_tT0_T1_T2_jT3_P12ihipStream_tbPNSt15iterator_traitsISL_E10value_typeEPNSR_ISM_E10value_typeEPSN_NS1_7vsmem_tEENKUlT_SL_SM_SN_E_clIS8_S8_S9_S9_EESK_S10_SL_SM_SN_EUlS10_E_NS1_11comp_targetILNS1_3genE8ELNS1_11target_archE1030ELNS1_3gpuE2ELNS1_3repE0EEENS1_48merge_mergepath_partition_config_static_selectorELNS0_4arch9wavefront6targetE1EEEvSM_,comdat
	.globl	_ZN7rocprim17ROCPRIM_400000_NS6detail17trampoline_kernelINS0_14default_configENS1_38merge_sort_block_merge_config_selectorIlNS0_10empty_typeEEEZZNS1_27merge_sort_block_merge_implIS3_PlPS5_mZN2at6native12_GLOBAL__N_124unique_dim_cuda_templateIiEESt5tupleIJNSA_6TensorESF_SF_EERKSF_lbbbEUlllE_EE10hipError_tT0_T1_T2_jT3_P12ihipStream_tbPNSt15iterator_traitsISL_E10value_typeEPNSR_ISM_E10value_typeEPSN_NS1_7vsmem_tEENKUlT_SL_SM_SN_E_clIS8_S8_S9_S9_EESK_S10_SL_SM_SN_EUlS10_E_NS1_11comp_targetILNS1_3genE8ELNS1_11target_archE1030ELNS1_3gpuE2ELNS1_3repE0EEENS1_48merge_mergepath_partition_config_static_selectorELNS0_4arch9wavefront6targetE1EEEvSM_ ; -- Begin function _ZN7rocprim17ROCPRIM_400000_NS6detail17trampoline_kernelINS0_14default_configENS1_38merge_sort_block_merge_config_selectorIlNS0_10empty_typeEEEZZNS1_27merge_sort_block_merge_implIS3_PlPS5_mZN2at6native12_GLOBAL__N_124unique_dim_cuda_templateIiEESt5tupleIJNSA_6TensorESF_SF_EERKSF_lbbbEUlllE_EE10hipError_tT0_T1_T2_jT3_P12ihipStream_tbPNSt15iterator_traitsISL_E10value_typeEPNSR_ISM_E10value_typeEPSN_NS1_7vsmem_tEENKUlT_SL_SM_SN_E_clIS8_S8_S9_S9_EESK_S10_SL_SM_SN_EUlS10_E_NS1_11comp_targetILNS1_3genE8ELNS1_11target_archE1030ELNS1_3gpuE2ELNS1_3repE0EEENS1_48merge_mergepath_partition_config_static_selectorELNS0_4arch9wavefront6targetE1EEEvSM_
	.p2align	8
	.type	_ZN7rocprim17ROCPRIM_400000_NS6detail17trampoline_kernelINS0_14default_configENS1_38merge_sort_block_merge_config_selectorIlNS0_10empty_typeEEEZZNS1_27merge_sort_block_merge_implIS3_PlPS5_mZN2at6native12_GLOBAL__N_124unique_dim_cuda_templateIiEESt5tupleIJNSA_6TensorESF_SF_EERKSF_lbbbEUlllE_EE10hipError_tT0_T1_T2_jT3_P12ihipStream_tbPNSt15iterator_traitsISL_E10value_typeEPNSR_ISM_E10value_typeEPSN_NS1_7vsmem_tEENKUlT_SL_SM_SN_E_clIS8_S8_S9_S9_EESK_S10_SL_SM_SN_EUlS10_E_NS1_11comp_targetILNS1_3genE8ELNS1_11target_archE1030ELNS1_3gpuE2ELNS1_3repE0EEENS1_48merge_mergepath_partition_config_static_selectorELNS0_4arch9wavefront6targetE1EEEvSM_,@function
_ZN7rocprim17ROCPRIM_400000_NS6detail17trampoline_kernelINS0_14default_configENS1_38merge_sort_block_merge_config_selectorIlNS0_10empty_typeEEEZZNS1_27merge_sort_block_merge_implIS3_PlPS5_mZN2at6native12_GLOBAL__N_124unique_dim_cuda_templateIiEESt5tupleIJNSA_6TensorESF_SF_EERKSF_lbbbEUlllE_EE10hipError_tT0_T1_T2_jT3_P12ihipStream_tbPNSt15iterator_traitsISL_E10value_typeEPNSR_ISM_E10value_typeEPSN_NS1_7vsmem_tEENKUlT_SL_SM_SN_E_clIS8_S8_S9_S9_EESK_S10_SL_SM_SN_EUlS10_E_NS1_11comp_targetILNS1_3genE8ELNS1_11target_archE1030ELNS1_3gpuE2ELNS1_3repE0EEENS1_48merge_mergepath_partition_config_static_selectorELNS0_4arch9wavefront6targetE1EEEvSM_: ; @_ZN7rocprim17ROCPRIM_400000_NS6detail17trampoline_kernelINS0_14default_configENS1_38merge_sort_block_merge_config_selectorIlNS0_10empty_typeEEEZZNS1_27merge_sort_block_merge_implIS3_PlPS5_mZN2at6native12_GLOBAL__N_124unique_dim_cuda_templateIiEESt5tupleIJNSA_6TensorESF_SF_EERKSF_lbbbEUlllE_EE10hipError_tT0_T1_T2_jT3_P12ihipStream_tbPNSt15iterator_traitsISL_E10value_typeEPNSR_ISM_E10value_typeEPSN_NS1_7vsmem_tEENKUlT_SL_SM_SN_E_clIS8_S8_S9_S9_EESK_S10_SL_SM_SN_EUlS10_E_NS1_11comp_targetILNS1_3genE8ELNS1_11target_archE1030ELNS1_3gpuE2ELNS1_3repE0EEENS1_48merge_mergepath_partition_config_static_selectorELNS0_4arch9wavefront6targetE1EEEvSM_
; %bb.0:
	.section	.rodata,"a",@progbits
	.p2align	6, 0x0
	.amdhsa_kernel _ZN7rocprim17ROCPRIM_400000_NS6detail17trampoline_kernelINS0_14default_configENS1_38merge_sort_block_merge_config_selectorIlNS0_10empty_typeEEEZZNS1_27merge_sort_block_merge_implIS3_PlPS5_mZN2at6native12_GLOBAL__N_124unique_dim_cuda_templateIiEESt5tupleIJNSA_6TensorESF_SF_EERKSF_lbbbEUlllE_EE10hipError_tT0_T1_T2_jT3_P12ihipStream_tbPNSt15iterator_traitsISL_E10value_typeEPNSR_ISM_E10value_typeEPSN_NS1_7vsmem_tEENKUlT_SL_SM_SN_E_clIS8_S8_S9_S9_EESK_S10_SL_SM_SN_EUlS10_E_NS1_11comp_targetILNS1_3genE8ELNS1_11target_archE1030ELNS1_3gpuE2ELNS1_3repE0EEENS1_48merge_mergepath_partition_config_static_selectorELNS0_4arch9wavefront6targetE1EEEvSM_
		.amdhsa_group_segment_fixed_size 0
		.amdhsa_private_segment_fixed_size 0
		.amdhsa_kernarg_size 56
		.amdhsa_user_sgpr_count 2
		.amdhsa_user_sgpr_dispatch_ptr 0
		.amdhsa_user_sgpr_queue_ptr 0
		.amdhsa_user_sgpr_kernarg_segment_ptr 1
		.amdhsa_user_sgpr_dispatch_id 0
		.amdhsa_user_sgpr_kernarg_preload_length 0
		.amdhsa_user_sgpr_kernarg_preload_offset 0
		.amdhsa_user_sgpr_private_segment_size 0
		.amdhsa_uses_dynamic_stack 0
		.amdhsa_enable_private_segment 0
		.amdhsa_system_sgpr_workgroup_id_x 1
		.amdhsa_system_sgpr_workgroup_id_y 0
		.amdhsa_system_sgpr_workgroup_id_z 0
		.amdhsa_system_sgpr_workgroup_info 0
		.amdhsa_system_vgpr_workitem_id 0
		.amdhsa_next_free_vgpr 1
		.amdhsa_next_free_sgpr 0
		.amdhsa_accum_offset 4
		.amdhsa_reserve_vcc 0
		.amdhsa_float_round_mode_32 0
		.amdhsa_float_round_mode_16_64 0
		.amdhsa_float_denorm_mode_32 3
		.amdhsa_float_denorm_mode_16_64 3
		.amdhsa_dx10_clamp 1
		.amdhsa_ieee_mode 1
		.amdhsa_fp16_overflow 0
		.amdhsa_tg_split 0
		.amdhsa_exception_fp_ieee_invalid_op 0
		.amdhsa_exception_fp_denorm_src 0
		.amdhsa_exception_fp_ieee_div_zero 0
		.amdhsa_exception_fp_ieee_overflow 0
		.amdhsa_exception_fp_ieee_underflow 0
		.amdhsa_exception_fp_ieee_inexact 0
		.amdhsa_exception_int_div_zero 0
	.end_amdhsa_kernel
	.section	.text._ZN7rocprim17ROCPRIM_400000_NS6detail17trampoline_kernelINS0_14default_configENS1_38merge_sort_block_merge_config_selectorIlNS0_10empty_typeEEEZZNS1_27merge_sort_block_merge_implIS3_PlPS5_mZN2at6native12_GLOBAL__N_124unique_dim_cuda_templateIiEESt5tupleIJNSA_6TensorESF_SF_EERKSF_lbbbEUlllE_EE10hipError_tT0_T1_T2_jT3_P12ihipStream_tbPNSt15iterator_traitsISL_E10value_typeEPNSR_ISM_E10value_typeEPSN_NS1_7vsmem_tEENKUlT_SL_SM_SN_E_clIS8_S8_S9_S9_EESK_S10_SL_SM_SN_EUlS10_E_NS1_11comp_targetILNS1_3genE8ELNS1_11target_archE1030ELNS1_3gpuE2ELNS1_3repE0EEENS1_48merge_mergepath_partition_config_static_selectorELNS0_4arch9wavefront6targetE1EEEvSM_,"axG",@progbits,_ZN7rocprim17ROCPRIM_400000_NS6detail17trampoline_kernelINS0_14default_configENS1_38merge_sort_block_merge_config_selectorIlNS0_10empty_typeEEEZZNS1_27merge_sort_block_merge_implIS3_PlPS5_mZN2at6native12_GLOBAL__N_124unique_dim_cuda_templateIiEESt5tupleIJNSA_6TensorESF_SF_EERKSF_lbbbEUlllE_EE10hipError_tT0_T1_T2_jT3_P12ihipStream_tbPNSt15iterator_traitsISL_E10value_typeEPNSR_ISM_E10value_typeEPSN_NS1_7vsmem_tEENKUlT_SL_SM_SN_E_clIS8_S8_S9_S9_EESK_S10_SL_SM_SN_EUlS10_E_NS1_11comp_targetILNS1_3genE8ELNS1_11target_archE1030ELNS1_3gpuE2ELNS1_3repE0EEENS1_48merge_mergepath_partition_config_static_selectorELNS0_4arch9wavefront6targetE1EEEvSM_,comdat
.Lfunc_end402:
	.size	_ZN7rocprim17ROCPRIM_400000_NS6detail17trampoline_kernelINS0_14default_configENS1_38merge_sort_block_merge_config_selectorIlNS0_10empty_typeEEEZZNS1_27merge_sort_block_merge_implIS3_PlPS5_mZN2at6native12_GLOBAL__N_124unique_dim_cuda_templateIiEESt5tupleIJNSA_6TensorESF_SF_EERKSF_lbbbEUlllE_EE10hipError_tT0_T1_T2_jT3_P12ihipStream_tbPNSt15iterator_traitsISL_E10value_typeEPNSR_ISM_E10value_typeEPSN_NS1_7vsmem_tEENKUlT_SL_SM_SN_E_clIS8_S8_S9_S9_EESK_S10_SL_SM_SN_EUlS10_E_NS1_11comp_targetILNS1_3genE8ELNS1_11target_archE1030ELNS1_3gpuE2ELNS1_3repE0EEENS1_48merge_mergepath_partition_config_static_selectorELNS0_4arch9wavefront6targetE1EEEvSM_, .Lfunc_end402-_ZN7rocprim17ROCPRIM_400000_NS6detail17trampoline_kernelINS0_14default_configENS1_38merge_sort_block_merge_config_selectorIlNS0_10empty_typeEEEZZNS1_27merge_sort_block_merge_implIS3_PlPS5_mZN2at6native12_GLOBAL__N_124unique_dim_cuda_templateIiEESt5tupleIJNSA_6TensorESF_SF_EERKSF_lbbbEUlllE_EE10hipError_tT0_T1_T2_jT3_P12ihipStream_tbPNSt15iterator_traitsISL_E10value_typeEPNSR_ISM_E10value_typeEPSN_NS1_7vsmem_tEENKUlT_SL_SM_SN_E_clIS8_S8_S9_S9_EESK_S10_SL_SM_SN_EUlS10_E_NS1_11comp_targetILNS1_3genE8ELNS1_11target_archE1030ELNS1_3gpuE2ELNS1_3repE0EEENS1_48merge_mergepath_partition_config_static_selectorELNS0_4arch9wavefront6targetE1EEEvSM_
                                        ; -- End function
	.section	.AMDGPU.csdata,"",@progbits
; Kernel info:
; codeLenInByte = 0
; NumSgprs: 6
; NumVgprs: 0
; NumAgprs: 0
; TotalNumVgprs: 0
; ScratchSize: 0
; MemoryBound: 0
; FloatMode: 240
; IeeeMode: 1
; LDSByteSize: 0 bytes/workgroup (compile time only)
; SGPRBlocks: 0
; VGPRBlocks: 0
; NumSGPRsForWavesPerEU: 6
; NumVGPRsForWavesPerEU: 1
; AccumOffset: 4
; Occupancy: 8
; WaveLimiterHint : 0
; COMPUTE_PGM_RSRC2:SCRATCH_EN: 0
; COMPUTE_PGM_RSRC2:USER_SGPR: 2
; COMPUTE_PGM_RSRC2:TRAP_HANDLER: 0
; COMPUTE_PGM_RSRC2:TGID_X_EN: 1
; COMPUTE_PGM_RSRC2:TGID_Y_EN: 0
; COMPUTE_PGM_RSRC2:TGID_Z_EN: 0
; COMPUTE_PGM_RSRC2:TIDIG_COMP_CNT: 0
; COMPUTE_PGM_RSRC3_GFX90A:ACCUM_OFFSET: 0
; COMPUTE_PGM_RSRC3_GFX90A:TG_SPLIT: 0
	.section	.text._ZN7rocprim17ROCPRIM_400000_NS6detail17trampoline_kernelINS0_14default_configENS1_38merge_sort_block_merge_config_selectorIlNS0_10empty_typeEEEZZNS1_27merge_sort_block_merge_implIS3_PlPS5_mZN2at6native12_GLOBAL__N_124unique_dim_cuda_templateIiEESt5tupleIJNSA_6TensorESF_SF_EERKSF_lbbbEUlllE_EE10hipError_tT0_T1_T2_jT3_P12ihipStream_tbPNSt15iterator_traitsISL_E10value_typeEPNSR_ISM_E10value_typeEPSN_NS1_7vsmem_tEENKUlT_SL_SM_SN_E_clIS8_S8_S9_S9_EESK_S10_SL_SM_SN_EUlS10_E0_NS1_11comp_targetILNS1_3genE0ELNS1_11target_archE4294967295ELNS1_3gpuE0ELNS1_3repE0EEENS1_38merge_mergepath_config_static_selectorELNS0_4arch9wavefront6targetE1EEEvSM_,"axG",@progbits,_ZN7rocprim17ROCPRIM_400000_NS6detail17trampoline_kernelINS0_14default_configENS1_38merge_sort_block_merge_config_selectorIlNS0_10empty_typeEEEZZNS1_27merge_sort_block_merge_implIS3_PlPS5_mZN2at6native12_GLOBAL__N_124unique_dim_cuda_templateIiEESt5tupleIJNSA_6TensorESF_SF_EERKSF_lbbbEUlllE_EE10hipError_tT0_T1_T2_jT3_P12ihipStream_tbPNSt15iterator_traitsISL_E10value_typeEPNSR_ISM_E10value_typeEPSN_NS1_7vsmem_tEENKUlT_SL_SM_SN_E_clIS8_S8_S9_S9_EESK_S10_SL_SM_SN_EUlS10_E0_NS1_11comp_targetILNS1_3genE0ELNS1_11target_archE4294967295ELNS1_3gpuE0ELNS1_3repE0EEENS1_38merge_mergepath_config_static_selectorELNS0_4arch9wavefront6targetE1EEEvSM_,comdat
	.globl	_ZN7rocprim17ROCPRIM_400000_NS6detail17trampoline_kernelINS0_14default_configENS1_38merge_sort_block_merge_config_selectorIlNS0_10empty_typeEEEZZNS1_27merge_sort_block_merge_implIS3_PlPS5_mZN2at6native12_GLOBAL__N_124unique_dim_cuda_templateIiEESt5tupleIJNSA_6TensorESF_SF_EERKSF_lbbbEUlllE_EE10hipError_tT0_T1_T2_jT3_P12ihipStream_tbPNSt15iterator_traitsISL_E10value_typeEPNSR_ISM_E10value_typeEPSN_NS1_7vsmem_tEENKUlT_SL_SM_SN_E_clIS8_S8_S9_S9_EESK_S10_SL_SM_SN_EUlS10_E0_NS1_11comp_targetILNS1_3genE0ELNS1_11target_archE4294967295ELNS1_3gpuE0ELNS1_3repE0EEENS1_38merge_mergepath_config_static_selectorELNS0_4arch9wavefront6targetE1EEEvSM_ ; -- Begin function _ZN7rocprim17ROCPRIM_400000_NS6detail17trampoline_kernelINS0_14default_configENS1_38merge_sort_block_merge_config_selectorIlNS0_10empty_typeEEEZZNS1_27merge_sort_block_merge_implIS3_PlPS5_mZN2at6native12_GLOBAL__N_124unique_dim_cuda_templateIiEESt5tupleIJNSA_6TensorESF_SF_EERKSF_lbbbEUlllE_EE10hipError_tT0_T1_T2_jT3_P12ihipStream_tbPNSt15iterator_traitsISL_E10value_typeEPNSR_ISM_E10value_typeEPSN_NS1_7vsmem_tEENKUlT_SL_SM_SN_E_clIS8_S8_S9_S9_EESK_S10_SL_SM_SN_EUlS10_E0_NS1_11comp_targetILNS1_3genE0ELNS1_11target_archE4294967295ELNS1_3gpuE0ELNS1_3repE0EEENS1_38merge_mergepath_config_static_selectorELNS0_4arch9wavefront6targetE1EEEvSM_
	.p2align	8
	.type	_ZN7rocprim17ROCPRIM_400000_NS6detail17trampoline_kernelINS0_14default_configENS1_38merge_sort_block_merge_config_selectorIlNS0_10empty_typeEEEZZNS1_27merge_sort_block_merge_implIS3_PlPS5_mZN2at6native12_GLOBAL__N_124unique_dim_cuda_templateIiEESt5tupleIJNSA_6TensorESF_SF_EERKSF_lbbbEUlllE_EE10hipError_tT0_T1_T2_jT3_P12ihipStream_tbPNSt15iterator_traitsISL_E10value_typeEPNSR_ISM_E10value_typeEPSN_NS1_7vsmem_tEENKUlT_SL_SM_SN_E_clIS8_S8_S9_S9_EESK_S10_SL_SM_SN_EUlS10_E0_NS1_11comp_targetILNS1_3genE0ELNS1_11target_archE4294967295ELNS1_3gpuE0ELNS1_3repE0EEENS1_38merge_mergepath_config_static_selectorELNS0_4arch9wavefront6targetE1EEEvSM_,@function
_ZN7rocprim17ROCPRIM_400000_NS6detail17trampoline_kernelINS0_14default_configENS1_38merge_sort_block_merge_config_selectorIlNS0_10empty_typeEEEZZNS1_27merge_sort_block_merge_implIS3_PlPS5_mZN2at6native12_GLOBAL__N_124unique_dim_cuda_templateIiEESt5tupleIJNSA_6TensorESF_SF_EERKSF_lbbbEUlllE_EE10hipError_tT0_T1_T2_jT3_P12ihipStream_tbPNSt15iterator_traitsISL_E10value_typeEPNSR_ISM_E10value_typeEPSN_NS1_7vsmem_tEENKUlT_SL_SM_SN_E_clIS8_S8_S9_S9_EESK_S10_SL_SM_SN_EUlS10_E0_NS1_11comp_targetILNS1_3genE0ELNS1_11target_archE4294967295ELNS1_3gpuE0ELNS1_3repE0EEENS1_38merge_mergepath_config_static_selectorELNS0_4arch9wavefront6targetE1EEEvSM_: ; @_ZN7rocprim17ROCPRIM_400000_NS6detail17trampoline_kernelINS0_14default_configENS1_38merge_sort_block_merge_config_selectorIlNS0_10empty_typeEEEZZNS1_27merge_sort_block_merge_implIS3_PlPS5_mZN2at6native12_GLOBAL__N_124unique_dim_cuda_templateIiEESt5tupleIJNSA_6TensorESF_SF_EERKSF_lbbbEUlllE_EE10hipError_tT0_T1_T2_jT3_P12ihipStream_tbPNSt15iterator_traitsISL_E10value_typeEPNSR_ISM_E10value_typeEPSN_NS1_7vsmem_tEENKUlT_SL_SM_SN_E_clIS8_S8_S9_S9_EESK_S10_SL_SM_SN_EUlS10_E0_NS1_11comp_targetILNS1_3genE0ELNS1_11target_archE4294967295ELNS1_3gpuE0ELNS1_3repE0EEENS1_38merge_mergepath_config_static_selectorELNS0_4arch9wavefront6targetE1EEEvSM_
; %bb.0:
	.section	.rodata,"a",@progbits
	.p2align	6, 0x0
	.amdhsa_kernel _ZN7rocprim17ROCPRIM_400000_NS6detail17trampoline_kernelINS0_14default_configENS1_38merge_sort_block_merge_config_selectorIlNS0_10empty_typeEEEZZNS1_27merge_sort_block_merge_implIS3_PlPS5_mZN2at6native12_GLOBAL__N_124unique_dim_cuda_templateIiEESt5tupleIJNSA_6TensorESF_SF_EERKSF_lbbbEUlllE_EE10hipError_tT0_T1_T2_jT3_P12ihipStream_tbPNSt15iterator_traitsISL_E10value_typeEPNSR_ISM_E10value_typeEPSN_NS1_7vsmem_tEENKUlT_SL_SM_SN_E_clIS8_S8_S9_S9_EESK_S10_SL_SM_SN_EUlS10_E0_NS1_11comp_targetILNS1_3genE0ELNS1_11target_archE4294967295ELNS1_3gpuE0ELNS1_3repE0EEENS1_38merge_mergepath_config_static_selectorELNS0_4arch9wavefront6targetE1EEEvSM_
		.amdhsa_group_segment_fixed_size 0
		.amdhsa_private_segment_fixed_size 0
		.amdhsa_kernarg_size 88
		.amdhsa_user_sgpr_count 2
		.amdhsa_user_sgpr_dispatch_ptr 0
		.amdhsa_user_sgpr_queue_ptr 0
		.amdhsa_user_sgpr_kernarg_segment_ptr 1
		.amdhsa_user_sgpr_dispatch_id 0
		.amdhsa_user_sgpr_kernarg_preload_length 0
		.amdhsa_user_sgpr_kernarg_preload_offset 0
		.amdhsa_user_sgpr_private_segment_size 0
		.amdhsa_uses_dynamic_stack 0
		.amdhsa_enable_private_segment 0
		.amdhsa_system_sgpr_workgroup_id_x 1
		.amdhsa_system_sgpr_workgroup_id_y 0
		.amdhsa_system_sgpr_workgroup_id_z 0
		.amdhsa_system_sgpr_workgroup_info 0
		.amdhsa_system_vgpr_workitem_id 0
		.amdhsa_next_free_vgpr 1
		.amdhsa_next_free_sgpr 0
		.amdhsa_accum_offset 4
		.amdhsa_reserve_vcc 0
		.amdhsa_float_round_mode_32 0
		.amdhsa_float_round_mode_16_64 0
		.amdhsa_float_denorm_mode_32 3
		.amdhsa_float_denorm_mode_16_64 3
		.amdhsa_dx10_clamp 1
		.amdhsa_ieee_mode 1
		.amdhsa_fp16_overflow 0
		.amdhsa_tg_split 0
		.amdhsa_exception_fp_ieee_invalid_op 0
		.amdhsa_exception_fp_denorm_src 0
		.amdhsa_exception_fp_ieee_div_zero 0
		.amdhsa_exception_fp_ieee_overflow 0
		.amdhsa_exception_fp_ieee_underflow 0
		.amdhsa_exception_fp_ieee_inexact 0
		.amdhsa_exception_int_div_zero 0
	.end_amdhsa_kernel
	.section	.text._ZN7rocprim17ROCPRIM_400000_NS6detail17trampoline_kernelINS0_14default_configENS1_38merge_sort_block_merge_config_selectorIlNS0_10empty_typeEEEZZNS1_27merge_sort_block_merge_implIS3_PlPS5_mZN2at6native12_GLOBAL__N_124unique_dim_cuda_templateIiEESt5tupleIJNSA_6TensorESF_SF_EERKSF_lbbbEUlllE_EE10hipError_tT0_T1_T2_jT3_P12ihipStream_tbPNSt15iterator_traitsISL_E10value_typeEPNSR_ISM_E10value_typeEPSN_NS1_7vsmem_tEENKUlT_SL_SM_SN_E_clIS8_S8_S9_S9_EESK_S10_SL_SM_SN_EUlS10_E0_NS1_11comp_targetILNS1_3genE0ELNS1_11target_archE4294967295ELNS1_3gpuE0ELNS1_3repE0EEENS1_38merge_mergepath_config_static_selectorELNS0_4arch9wavefront6targetE1EEEvSM_,"axG",@progbits,_ZN7rocprim17ROCPRIM_400000_NS6detail17trampoline_kernelINS0_14default_configENS1_38merge_sort_block_merge_config_selectorIlNS0_10empty_typeEEEZZNS1_27merge_sort_block_merge_implIS3_PlPS5_mZN2at6native12_GLOBAL__N_124unique_dim_cuda_templateIiEESt5tupleIJNSA_6TensorESF_SF_EERKSF_lbbbEUlllE_EE10hipError_tT0_T1_T2_jT3_P12ihipStream_tbPNSt15iterator_traitsISL_E10value_typeEPNSR_ISM_E10value_typeEPSN_NS1_7vsmem_tEENKUlT_SL_SM_SN_E_clIS8_S8_S9_S9_EESK_S10_SL_SM_SN_EUlS10_E0_NS1_11comp_targetILNS1_3genE0ELNS1_11target_archE4294967295ELNS1_3gpuE0ELNS1_3repE0EEENS1_38merge_mergepath_config_static_selectorELNS0_4arch9wavefront6targetE1EEEvSM_,comdat
.Lfunc_end403:
	.size	_ZN7rocprim17ROCPRIM_400000_NS6detail17trampoline_kernelINS0_14default_configENS1_38merge_sort_block_merge_config_selectorIlNS0_10empty_typeEEEZZNS1_27merge_sort_block_merge_implIS3_PlPS5_mZN2at6native12_GLOBAL__N_124unique_dim_cuda_templateIiEESt5tupleIJNSA_6TensorESF_SF_EERKSF_lbbbEUlllE_EE10hipError_tT0_T1_T2_jT3_P12ihipStream_tbPNSt15iterator_traitsISL_E10value_typeEPNSR_ISM_E10value_typeEPSN_NS1_7vsmem_tEENKUlT_SL_SM_SN_E_clIS8_S8_S9_S9_EESK_S10_SL_SM_SN_EUlS10_E0_NS1_11comp_targetILNS1_3genE0ELNS1_11target_archE4294967295ELNS1_3gpuE0ELNS1_3repE0EEENS1_38merge_mergepath_config_static_selectorELNS0_4arch9wavefront6targetE1EEEvSM_, .Lfunc_end403-_ZN7rocprim17ROCPRIM_400000_NS6detail17trampoline_kernelINS0_14default_configENS1_38merge_sort_block_merge_config_selectorIlNS0_10empty_typeEEEZZNS1_27merge_sort_block_merge_implIS3_PlPS5_mZN2at6native12_GLOBAL__N_124unique_dim_cuda_templateIiEESt5tupleIJNSA_6TensorESF_SF_EERKSF_lbbbEUlllE_EE10hipError_tT0_T1_T2_jT3_P12ihipStream_tbPNSt15iterator_traitsISL_E10value_typeEPNSR_ISM_E10value_typeEPSN_NS1_7vsmem_tEENKUlT_SL_SM_SN_E_clIS8_S8_S9_S9_EESK_S10_SL_SM_SN_EUlS10_E0_NS1_11comp_targetILNS1_3genE0ELNS1_11target_archE4294967295ELNS1_3gpuE0ELNS1_3repE0EEENS1_38merge_mergepath_config_static_selectorELNS0_4arch9wavefront6targetE1EEEvSM_
                                        ; -- End function
	.section	.AMDGPU.csdata,"",@progbits
; Kernel info:
; codeLenInByte = 0
; NumSgprs: 6
; NumVgprs: 0
; NumAgprs: 0
; TotalNumVgprs: 0
; ScratchSize: 0
; MemoryBound: 0
; FloatMode: 240
; IeeeMode: 1
; LDSByteSize: 0 bytes/workgroup (compile time only)
; SGPRBlocks: 0
; VGPRBlocks: 0
; NumSGPRsForWavesPerEU: 6
; NumVGPRsForWavesPerEU: 1
; AccumOffset: 4
; Occupancy: 8
; WaveLimiterHint : 0
; COMPUTE_PGM_RSRC2:SCRATCH_EN: 0
; COMPUTE_PGM_RSRC2:USER_SGPR: 2
; COMPUTE_PGM_RSRC2:TRAP_HANDLER: 0
; COMPUTE_PGM_RSRC2:TGID_X_EN: 1
; COMPUTE_PGM_RSRC2:TGID_Y_EN: 0
; COMPUTE_PGM_RSRC2:TGID_Z_EN: 0
; COMPUTE_PGM_RSRC2:TIDIG_COMP_CNT: 0
; COMPUTE_PGM_RSRC3_GFX90A:ACCUM_OFFSET: 0
; COMPUTE_PGM_RSRC3_GFX90A:TG_SPLIT: 0
	.section	.text._ZN7rocprim17ROCPRIM_400000_NS6detail17trampoline_kernelINS0_14default_configENS1_38merge_sort_block_merge_config_selectorIlNS0_10empty_typeEEEZZNS1_27merge_sort_block_merge_implIS3_PlPS5_mZN2at6native12_GLOBAL__N_124unique_dim_cuda_templateIiEESt5tupleIJNSA_6TensorESF_SF_EERKSF_lbbbEUlllE_EE10hipError_tT0_T1_T2_jT3_P12ihipStream_tbPNSt15iterator_traitsISL_E10value_typeEPNSR_ISM_E10value_typeEPSN_NS1_7vsmem_tEENKUlT_SL_SM_SN_E_clIS8_S8_S9_S9_EESK_S10_SL_SM_SN_EUlS10_E0_NS1_11comp_targetILNS1_3genE10ELNS1_11target_archE1201ELNS1_3gpuE5ELNS1_3repE0EEENS1_38merge_mergepath_config_static_selectorELNS0_4arch9wavefront6targetE1EEEvSM_,"axG",@progbits,_ZN7rocprim17ROCPRIM_400000_NS6detail17trampoline_kernelINS0_14default_configENS1_38merge_sort_block_merge_config_selectorIlNS0_10empty_typeEEEZZNS1_27merge_sort_block_merge_implIS3_PlPS5_mZN2at6native12_GLOBAL__N_124unique_dim_cuda_templateIiEESt5tupleIJNSA_6TensorESF_SF_EERKSF_lbbbEUlllE_EE10hipError_tT0_T1_T2_jT3_P12ihipStream_tbPNSt15iterator_traitsISL_E10value_typeEPNSR_ISM_E10value_typeEPSN_NS1_7vsmem_tEENKUlT_SL_SM_SN_E_clIS8_S8_S9_S9_EESK_S10_SL_SM_SN_EUlS10_E0_NS1_11comp_targetILNS1_3genE10ELNS1_11target_archE1201ELNS1_3gpuE5ELNS1_3repE0EEENS1_38merge_mergepath_config_static_selectorELNS0_4arch9wavefront6targetE1EEEvSM_,comdat
	.globl	_ZN7rocprim17ROCPRIM_400000_NS6detail17trampoline_kernelINS0_14default_configENS1_38merge_sort_block_merge_config_selectorIlNS0_10empty_typeEEEZZNS1_27merge_sort_block_merge_implIS3_PlPS5_mZN2at6native12_GLOBAL__N_124unique_dim_cuda_templateIiEESt5tupleIJNSA_6TensorESF_SF_EERKSF_lbbbEUlllE_EE10hipError_tT0_T1_T2_jT3_P12ihipStream_tbPNSt15iterator_traitsISL_E10value_typeEPNSR_ISM_E10value_typeEPSN_NS1_7vsmem_tEENKUlT_SL_SM_SN_E_clIS8_S8_S9_S9_EESK_S10_SL_SM_SN_EUlS10_E0_NS1_11comp_targetILNS1_3genE10ELNS1_11target_archE1201ELNS1_3gpuE5ELNS1_3repE0EEENS1_38merge_mergepath_config_static_selectorELNS0_4arch9wavefront6targetE1EEEvSM_ ; -- Begin function _ZN7rocprim17ROCPRIM_400000_NS6detail17trampoline_kernelINS0_14default_configENS1_38merge_sort_block_merge_config_selectorIlNS0_10empty_typeEEEZZNS1_27merge_sort_block_merge_implIS3_PlPS5_mZN2at6native12_GLOBAL__N_124unique_dim_cuda_templateIiEESt5tupleIJNSA_6TensorESF_SF_EERKSF_lbbbEUlllE_EE10hipError_tT0_T1_T2_jT3_P12ihipStream_tbPNSt15iterator_traitsISL_E10value_typeEPNSR_ISM_E10value_typeEPSN_NS1_7vsmem_tEENKUlT_SL_SM_SN_E_clIS8_S8_S9_S9_EESK_S10_SL_SM_SN_EUlS10_E0_NS1_11comp_targetILNS1_3genE10ELNS1_11target_archE1201ELNS1_3gpuE5ELNS1_3repE0EEENS1_38merge_mergepath_config_static_selectorELNS0_4arch9wavefront6targetE1EEEvSM_
	.p2align	8
	.type	_ZN7rocprim17ROCPRIM_400000_NS6detail17trampoline_kernelINS0_14default_configENS1_38merge_sort_block_merge_config_selectorIlNS0_10empty_typeEEEZZNS1_27merge_sort_block_merge_implIS3_PlPS5_mZN2at6native12_GLOBAL__N_124unique_dim_cuda_templateIiEESt5tupleIJNSA_6TensorESF_SF_EERKSF_lbbbEUlllE_EE10hipError_tT0_T1_T2_jT3_P12ihipStream_tbPNSt15iterator_traitsISL_E10value_typeEPNSR_ISM_E10value_typeEPSN_NS1_7vsmem_tEENKUlT_SL_SM_SN_E_clIS8_S8_S9_S9_EESK_S10_SL_SM_SN_EUlS10_E0_NS1_11comp_targetILNS1_3genE10ELNS1_11target_archE1201ELNS1_3gpuE5ELNS1_3repE0EEENS1_38merge_mergepath_config_static_selectorELNS0_4arch9wavefront6targetE1EEEvSM_,@function
_ZN7rocprim17ROCPRIM_400000_NS6detail17trampoline_kernelINS0_14default_configENS1_38merge_sort_block_merge_config_selectorIlNS0_10empty_typeEEEZZNS1_27merge_sort_block_merge_implIS3_PlPS5_mZN2at6native12_GLOBAL__N_124unique_dim_cuda_templateIiEESt5tupleIJNSA_6TensorESF_SF_EERKSF_lbbbEUlllE_EE10hipError_tT0_T1_T2_jT3_P12ihipStream_tbPNSt15iterator_traitsISL_E10value_typeEPNSR_ISM_E10value_typeEPSN_NS1_7vsmem_tEENKUlT_SL_SM_SN_E_clIS8_S8_S9_S9_EESK_S10_SL_SM_SN_EUlS10_E0_NS1_11comp_targetILNS1_3genE10ELNS1_11target_archE1201ELNS1_3gpuE5ELNS1_3repE0EEENS1_38merge_mergepath_config_static_selectorELNS0_4arch9wavefront6targetE1EEEvSM_: ; @_ZN7rocprim17ROCPRIM_400000_NS6detail17trampoline_kernelINS0_14default_configENS1_38merge_sort_block_merge_config_selectorIlNS0_10empty_typeEEEZZNS1_27merge_sort_block_merge_implIS3_PlPS5_mZN2at6native12_GLOBAL__N_124unique_dim_cuda_templateIiEESt5tupleIJNSA_6TensorESF_SF_EERKSF_lbbbEUlllE_EE10hipError_tT0_T1_T2_jT3_P12ihipStream_tbPNSt15iterator_traitsISL_E10value_typeEPNSR_ISM_E10value_typeEPSN_NS1_7vsmem_tEENKUlT_SL_SM_SN_E_clIS8_S8_S9_S9_EESK_S10_SL_SM_SN_EUlS10_E0_NS1_11comp_targetILNS1_3genE10ELNS1_11target_archE1201ELNS1_3gpuE5ELNS1_3repE0EEENS1_38merge_mergepath_config_static_selectorELNS0_4arch9wavefront6targetE1EEEvSM_
; %bb.0:
	.section	.rodata,"a",@progbits
	.p2align	6, 0x0
	.amdhsa_kernel _ZN7rocprim17ROCPRIM_400000_NS6detail17trampoline_kernelINS0_14default_configENS1_38merge_sort_block_merge_config_selectorIlNS0_10empty_typeEEEZZNS1_27merge_sort_block_merge_implIS3_PlPS5_mZN2at6native12_GLOBAL__N_124unique_dim_cuda_templateIiEESt5tupleIJNSA_6TensorESF_SF_EERKSF_lbbbEUlllE_EE10hipError_tT0_T1_T2_jT3_P12ihipStream_tbPNSt15iterator_traitsISL_E10value_typeEPNSR_ISM_E10value_typeEPSN_NS1_7vsmem_tEENKUlT_SL_SM_SN_E_clIS8_S8_S9_S9_EESK_S10_SL_SM_SN_EUlS10_E0_NS1_11comp_targetILNS1_3genE10ELNS1_11target_archE1201ELNS1_3gpuE5ELNS1_3repE0EEENS1_38merge_mergepath_config_static_selectorELNS0_4arch9wavefront6targetE1EEEvSM_
		.amdhsa_group_segment_fixed_size 0
		.amdhsa_private_segment_fixed_size 0
		.amdhsa_kernarg_size 88
		.amdhsa_user_sgpr_count 2
		.amdhsa_user_sgpr_dispatch_ptr 0
		.amdhsa_user_sgpr_queue_ptr 0
		.amdhsa_user_sgpr_kernarg_segment_ptr 1
		.amdhsa_user_sgpr_dispatch_id 0
		.amdhsa_user_sgpr_kernarg_preload_length 0
		.amdhsa_user_sgpr_kernarg_preload_offset 0
		.amdhsa_user_sgpr_private_segment_size 0
		.amdhsa_uses_dynamic_stack 0
		.amdhsa_enable_private_segment 0
		.amdhsa_system_sgpr_workgroup_id_x 1
		.amdhsa_system_sgpr_workgroup_id_y 0
		.amdhsa_system_sgpr_workgroup_id_z 0
		.amdhsa_system_sgpr_workgroup_info 0
		.amdhsa_system_vgpr_workitem_id 0
		.amdhsa_next_free_vgpr 1
		.amdhsa_next_free_sgpr 0
		.amdhsa_accum_offset 4
		.amdhsa_reserve_vcc 0
		.amdhsa_float_round_mode_32 0
		.amdhsa_float_round_mode_16_64 0
		.amdhsa_float_denorm_mode_32 3
		.amdhsa_float_denorm_mode_16_64 3
		.amdhsa_dx10_clamp 1
		.amdhsa_ieee_mode 1
		.amdhsa_fp16_overflow 0
		.amdhsa_tg_split 0
		.amdhsa_exception_fp_ieee_invalid_op 0
		.amdhsa_exception_fp_denorm_src 0
		.amdhsa_exception_fp_ieee_div_zero 0
		.amdhsa_exception_fp_ieee_overflow 0
		.amdhsa_exception_fp_ieee_underflow 0
		.amdhsa_exception_fp_ieee_inexact 0
		.amdhsa_exception_int_div_zero 0
	.end_amdhsa_kernel
	.section	.text._ZN7rocprim17ROCPRIM_400000_NS6detail17trampoline_kernelINS0_14default_configENS1_38merge_sort_block_merge_config_selectorIlNS0_10empty_typeEEEZZNS1_27merge_sort_block_merge_implIS3_PlPS5_mZN2at6native12_GLOBAL__N_124unique_dim_cuda_templateIiEESt5tupleIJNSA_6TensorESF_SF_EERKSF_lbbbEUlllE_EE10hipError_tT0_T1_T2_jT3_P12ihipStream_tbPNSt15iterator_traitsISL_E10value_typeEPNSR_ISM_E10value_typeEPSN_NS1_7vsmem_tEENKUlT_SL_SM_SN_E_clIS8_S8_S9_S9_EESK_S10_SL_SM_SN_EUlS10_E0_NS1_11comp_targetILNS1_3genE10ELNS1_11target_archE1201ELNS1_3gpuE5ELNS1_3repE0EEENS1_38merge_mergepath_config_static_selectorELNS0_4arch9wavefront6targetE1EEEvSM_,"axG",@progbits,_ZN7rocprim17ROCPRIM_400000_NS6detail17trampoline_kernelINS0_14default_configENS1_38merge_sort_block_merge_config_selectorIlNS0_10empty_typeEEEZZNS1_27merge_sort_block_merge_implIS3_PlPS5_mZN2at6native12_GLOBAL__N_124unique_dim_cuda_templateIiEESt5tupleIJNSA_6TensorESF_SF_EERKSF_lbbbEUlllE_EE10hipError_tT0_T1_T2_jT3_P12ihipStream_tbPNSt15iterator_traitsISL_E10value_typeEPNSR_ISM_E10value_typeEPSN_NS1_7vsmem_tEENKUlT_SL_SM_SN_E_clIS8_S8_S9_S9_EESK_S10_SL_SM_SN_EUlS10_E0_NS1_11comp_targetILNS1_3genE10ELNS1_11target_archE1201ELNS1_3gpuE5ELNS1_3repE0EEENS1_38merge_mergepath_config_static_selectorELNS0_4arch9wavefront6targetE1EEEvSM_,comdat
.Lfunc_end404:
	.size	_ZN7rocprim17ROCPRIM_400000_NS6detail17trampoline_kernelINS0_14default_configENS1_38merge_sort_block_merge_config_selectorIlNS0_10empty_typeEEEZZNS1_27merge_sort_block_merge_implIS3_PlPS5_mZN2at6native12_GLOBAL__N_124unique_dim_cuda_templateIiEESt5tupleIJNSA_6TensorESF_SF_EERKSF_lbbbEUlllE_EE10hipError_tT0_T1_T2_jT3_P12ihipStream_tbPNSt15iterator_traitsISL_E10value_typeEPNSR_ISM_E10value_typeEPSN_NS1_7vsmem_tEENKUlT_SL_SM_SN_E_clIS8_S8_S9_S9_EESK_S10_SL_SM_SN_EUlS10_E0_NS1_11comp_targetILNS1_3genE10ELNS1_11target_archE1201ELNS1_3gpuE5ELNS1_3repE0EEENS1_38merge_mergepath_config_static_selectorELNS0_4arch9wavefront6targetE1EEEvSM_, .Lfunc_end404-_ZN7rocprim17ROCPRIM_400000_NS6detail17trampoline_kernelINS0_14default_configENS1_38merge_sort_block_merge_config_selectorIlNS0_10empty_typeEEEZZNS1_27merge_sort_block_merge_implIS3_PlPS5_mZN2at6native12_GLOBAL__N_124unique_dim_cuda_templateIiEESt5tupleIJNSA_6TensorESF_SF_EERKSF_lbbbEUlllE_EE10hipError_tT0_T1_T2_jT3_P12ihipStream_tbPNSt15iterator_traitsISL_E10value_typeEPNSR_ISM_E10value_typeEPSN_NS1_7vsmem_tEENKUlT_SL_SM_SN_E_clIS8_S8_S9_S9_EESK_S10_SL_SM_SN_EUlS10_E0_NS1_11comp_targetILNS1_3genE10ELNS1_11target_archE1201ELNS1_3gpuE5ELNS1_3repE0EEENS1_38merge_mergepath_config_static_selectorELNS0_4arch9wavefront6targetE1EEEvSM_
                                        ; -- End function
	.section	.AMDGPU.csdata,"",@progbits
; Kernel info:
; codeLenInByte = 0
; NumSgprs: 6
; NumVgprs: 0
; NumAgprs: 0
; TotalNumVgprs: 0
; ScratchSize: 0
; MemoryBound: 0
; FloatMode: 240
; IeeeMode: 1
; LDSByteSize: 0 bytes/workgroup (compile time only)
; SGPRBlocks: 0
; VGPRBlocks: 0
; NumSGPRsForWavesPerEU: 6
; NumVGPRsForWavesPerEU: 1
; AccumOffset: 4
; Occupancy: 8
; WaveLimiterHint : 0
; COMPUTE_PGM_RSRC2:SCRATCH_EN: 0
; COMPUTE_PGM_RSRC2:USER_SGPR: 2
; COMPUTE_PGM_RSRC2:TRAP_HANDLER: 0
; COMPUTE_PGM_RSRC2:TGID_X_EN: 1
; COMPUTE_PGM_RSRC2:TGID_Y_EN: 0
; COMPUTE_PGM_RSRC2:TGID_Z_EN: 0
; COMPUTE_PGM_RSRC2:TIDIG_COMP_CNT: 0
; COMPUTE_PGM_RSRC3_GFX90A:ACCUM_OFFSET: 0
; COMPUTE_PGM_RSRC3_GFX90A:TG_SPLIT: 0
	.section	.text._ZN7rocprim17ROCPRIM_400000_NS6detail17trampoline_kernelINS0_14default_configENS1_38merge_sort_block_merge_config_selectorIlNS0_10empty_typeEEEZZNS1_27merge_sort_block_merge_implIS3_PlPS5_mZN2at6native12_GLOBAL__N_124unique_dim_cuda_templateIiEESt5tupleIJNSA_6TensorESF_SF_EERKSF_lbbbEUlllE_EE10hipError_tT0_T1_T2_jT3_P12ihipStream_tbPNSt15iterator_traitsISL_E10value_typeEPNSR_ISM_E10value_typeEPSN_NS1_7vsmem_tEENKUlT_SL_SM_SN_E_clIS8_S8_S9_S9_EESK_S10_SL_SM_SN_EUlS10_E0_NS1_11comp_targetILNS1_3genE5ELNS1_11target_archE942ELNS1_3gpuE9ELNS1_3repE0EEENS1_38merge_mergepath_config_static_selectorELNS0_4arch9wavefront6targetE1EEEvSM_,"axG",@progbits,_ZN7rocprim17ROCPRIM_400000_NS6detail17trampoline_kernelINS0_14default_configENS1_38merge_sort_block_merge_config_selectorIlNS0_10empty_typeEEEZZNS1_27merge_sort_block_merge_implIS3_PlPS5_mZN2at6native12_GLOBAL__N_124unique_dim_cuda_templateIiEESt5tupleIJNSA_6TensorESF_SF_EERKSF_lbbbEUlllE_EE10hipError_tT0_T1_T2_jT3_P12ihipStream_tbPNSt15iterator_traitsISL_E10value_typeEPNSR_ISM_E10value_typeEPSN_NS1_7vsmem_tEENKUlT_SL_SM_SN_E_clIS8_S8_S9_S9_EESK_S10_SL_SM_SN_EUlS10_E0_NS1_11comp_targetILNS1_3genE5ELNS1_11target_archE942ELNS1_3gpuE9ELNS1_3repE0EEENS1_38merge_mergepath_config_static_selectorELNS0_4arch9wavefront6targetE1EEEvSM_,comdat
	.globl	_ZN7rocprim17ROCPRIM_400000_NS6detail17trampoline_kernelINS0_14default_configENS1_38merge_sort_block_merge_config_selectorIlNS0_10empty_typeEEEZZNS1_27merge_sort_block_merge_implIS3_PlPS5_mZN2at6native12_GLOBAL__N_124unique_dim_cuda_templateIiEESt5tupleIJNSA_6TensorESF_SF_EERKSF_lbbbEUlllE_EE10hipError_tT0_T1_T2_jT3_P12ihipStream_tbPNSt15iterator_traitsISL_E10value_typeEPNSR_ISM_E10value_typeEPSN_NS1_7vsmem_tEENKUlT_SL_SM_SN_E_clIS8_S8_S9_S9_EESK_S10_SL_SM_SN_EUlS10_E0_NS1_11comp_targetILNS1_3genE5ELNS1_11target_archE942ELNS1_3gpuE9ELNS1_3repE0EEENS1_38merge_mergepath_config_static_selectorELNS0_4arch9wavefront6targetE1EEEvSM_ ; -- Begin function _ZN7rocprim17ROCPRIM_400000_NS6detail17trampoline_kernelINS0_14default_configENS1_38merge_sort_block_merge_config_selectorIlNS0_10empty_typeEEEZZNS1_27merge_sort_block_merge_implIS3_PlPS5_mZN2at6native12_GLOBAL__N_124unique_dim_cuda_templateIiEESt5tupleIJNSA_6TensorESF_SF_EERKSF_lbbbEUlllE_EE10hipError_tT0_T1_T2_jT3_P12ihipStream_tbPNSt15iterator_traitsISL_E10value_typeEPNSR_ISM_E10value_typeEPSN_NS1_7vsmem_tEENKUlT_SL_SM_SN_E_clIS8_S8_S9_S9_EESK_S10_SL_SM_SN_EUlS10_E0_NS1_11comp_targetILNS1_3genE5ELNS1_11target_archE942ELNS1_3gpuE9ELNS1_3repE0EEENS1_38merge_mergepath_config_static_selectorELNS0_4arch9wavefront6targetE1EEEvSM_
	.p2align	8
	.type	_ZN7rocprim17ROCPRIM_400000_NS6detail17trampoline_kernelINS0_14default_configENS1_38merge_sort_block_merge_config_selectorIlNS0_10empty_typeEEEZZNS1_27merge_sort_block_merge_implIS3_PlPS5_mZN2at6native12_GLOBAL__N_124unique_dim_cuda_templateIiEESt5tupleIJNSA_6TensorESF_SF_EERKSF_lbbbEUlllE_EE10hipError_tT0_T1_T2_jT3_P12ihipStream_tbPNSt15iterator_traitsISL_E10value_typeEPNSR_ISM_E10value_typeEPSN_NS1_7vsmem_tEENKUlT_SL_SM_SN_E_clIS8_S8_S9_S9_EESK_S10_SL_SM_SN_EUlS10_E0_NS1_11comp_targetILNS1_3genE5ELNS1_11target_archE942ELNS1_3gpuE9ELNS1_3repE0EEENS1_38merge_mergepath_config_static_selectorELNS0_4arch9wavefront6targetE1EEEvSM_,@function
_ZN7rocprim17ROCPRIM_400000_NS6detail17trampoline_kernelINS0_14default_configENS1_38merge_sort_block_merge_config_selectorIlNS0_10empty_typeEEEZZNS1_27merge_sort_block_merge_implIS3_PlPS5_mZN2at6native12_GLOBAL__N_124unique_dim_cuda_templateIiEESt5tupleIJNSA_6TensorESF_SF_EERKSF_lbbbEUlllE_EE10hipError_tT0_T1_T2_jT3_P12ihipStream_tbPNSt15iterator_traitsISL_E10value_typeEPNSR_ISM_E10value_typeEPSN_NS1_7vsmem_tEENKUlT_SL_SM_SN_E_clIS8_S8_S9_S9_EESK_S10_SL_SM_SN_EUlS10_E0_NS1_11comp_targetILNS1_3genE5ELNS1_11target_archE942ELNS1_3gpuE9ELNS1_3repE0EEENS1_38merge_mergepath_config_static_selectorELNS0_4arch9wavefront6targetE1EEEvSM_: ; @_ZN7rocprim17ROCPRIM_400000_NS6detail17trampoline_kernelINS0_14default_configENS1_38merge_sort_block_merge_config_selectorIlNS0_10empty_typeEEEZZNS1_27merge_sort_block_merge_implIS3_PlPS5_mZN2at6native12_GLOBAL__N_124unique_dim_cuda_templateIiEESt5tupleIJNSA_6TensorESF_SF_EERKSF_lbbbEUlllE_EE10hipError_tT0_T1_T2_jT3_P12ihipStream_tbPNSt15iterator_traitsISL_E10value_typeEPNSR_ISM_E10value_typeEPSN_NS1_7vsmem_tEENKUlT_SL_SM_SN_E_clIS8_S8_S9_S9_EESK_S10_SL_SM_SN_EUlS10_E0_NS1_11comp_targetILNS1_3genE5ELNS1_11target_archE942ELNS1_3gpuE9ELNS1_3repE0EEENS1_38merge_mergepath_config_static_selectorELNS0_4arch9wavefront6targetE1EEEvSM_
; %bb.0:
	s_load_dwordx2 s[24:25], s[0:1], 0x58
	s_load_dword s5, s[0:1], 0x38
	s_add_u32 s22, s0, 0x58
	s_addc_u32 s23, s1, 0
	s_waitcnt lgkmcnt(0)
	s_mul_i32 s4, s25, s4
	s_add_i32 s3, s4, s3
	s_mul_i32 s3, s3, s24
	s_add_i32 s20, s3, s2
	s_cmp_ge_u32 s20, s5
	s_cbranch_scc1 .LBB405_138
; %bb.1:
	s_load_dwordx2 s[4:5], s[0:1], 0x50
	s_load_dwordx4 s[12:15], s[0:1], 0x8
	s_load_dwordx4 s[8:11], s[0:1], 0x28
	s_mov_b32 s21, 0
	s_lshl_b64 s[6:7], s[20:21], 3
	s_waitcnt lgkmcnt(0)
	s_add_u32 s4, s4, s6
	s_addc_u32 s5, s5, s7
	v_mov_b32_e32 v1, s10
	v_alignbit_b32 v1, s11, v1, 9
	v_and_b32_e32 v1, -2, v1
	v_sub_u32_e32 v1, 0, v1
	s_load_dwordx4 s[16:19], s[4:5], 0x0
	v_and_b32_e32 v2, s20, v1
	v_mov_b32_e32 v3, 0
	v_lshlrev_b64 v[6:7], 10, v[2:3]
	s_lshl_b64 s[6:7], s[20:21], 10
	v_mov_b32_e32 v5, s7
	v_sub_co_u32_e32 v4, vcc, s6, v6
	v_lshlrev_b64 v[2:3], 11, v[2:3]
	s_nop 0
	v_subb_co_u32_e32 v5, vcc, v5, v7, vcc
	v_lshl_add_u64 v[8:9], v[2:3], 0, s[10:11]
	v_lshl_add_u64 v[2:3], v[8:9], 0, v[4:5]
	s_waitcnt lgkmcnt(0)
	v_mov_b32_e32 v5, s19
	v_subrev_co_u32_e32 v4, vcc, s18, v2
	s_mov_b64 s[4:5], 0x400
	s_nop 0
	v_subb_co_u32_e32 v5, vcc, v3, v5, vcc
	v_or_b32_e32 v1, s20, v1
	v_lshl_add_u64 v[10:11], v[4:5], 0, s[4:5]
	v_cmp_ne_u32_e32 vcc, -1, v1
	v_cmp_lt_u64_e64 s[4:5], s[8:9], v[10:11]
	s_cbranch_vccz .LBB405_3
; %bb.2:
	v_mov_b32_e32 v1, s8
	v_mov_b64_e32 v[4:5], s[18:19]
	v_cndmask_b32_e64 v6, v10, v1, s[4:5]
	s_branch .LBB405_4
.LBB405_3:
	v_sub_co_u32_e32 v6, vcc, v8, v6
	v_mov_b32_e32 v1, s8
	s_nop 0
	v_subb_co_u32_e32 v7, vcc, v9, v7, vcc
	v_cmp_lt_u64_e32 vcc, s[8:9], v[6:7]
	s_nop 1
	v_cndmask_b32_e32 v4, v6, v1, vcc
	v_lshl_add_u64 v[6:7], v[6:7], 0, s[10:11]
	v_cmp_lt_u64_e32 vcc, s[8:9], v[6:7]
	s_nop 1
	v_cndmask_b32_e32 v6, v6, v1, vcc
.LBB405_4:
	s_lshr_b64 s[18:19], s[8:9], 10
	s_cmp_lg_u64 s[18:19], s[20:21]
	s_cselect_b64 s[10:11], -1, 0
	s_lshl_b64 s[4:5], s[16:17], 3
	s_add_u32 s4, s12, s4
	s_addc_u32 s5, s13, s5
	s_cmp_lt_u32 s2, s24
	v_mov_b32_e32 v19, 0
	s_cselect_b32 s2, 12, 18
	global_load_dword v5, v19, s[22:23] offset:14
	s_add_u32 s2, s22, s2
	s_addc_u32 s3, s23, 0
	global_load_ushort v7, v19, s[2:3]
	v_mov_b32_e32 v8, s17
	v_subrev_co_u32_e32 v2, vcc, s16, v2
	v_mov_b32_e32 v9, s9
	s_nop 0
	v_subb_co_u32_e32 v3, vcc, v3, v8, vcc
	v_mov_b32_e32 v10, s8
	v_cmp_lt_u64_e32 vcc, s[8:9], v[2:3]
	v_subrev_u32_e32 v1, s16, v4
	s_cmp_eq_u64 s[18:19], s[20:21]
	v_cndmask_b32_e32 v3, v3, v9, vcc
	v_cndmask_b32_e32 v2, v2, v10, vcc
	v_sub_u32_e32 v25, v6, v2
	v_lshlrev_b64 v[2:3], 3, v[2:3]
	v_lshl_add_u64 v[20:21], s[12:13], 0, v[2:3]
	v_lshlrev_b32_e32 v18, 3, v0
	s_waitcnt vmcnt(1)
	v_lshrrev_b32_e32 v2, 16, v5
	v_and_b32_e32 v3, 0xffff, v5
	v_mul_lo_u32 v2, v3, v2
	s_waitcnt vmcnt(0)
	v_mul_lo_u32 v26, v2, v7
	s_cbranch_scc1 .LBB405_6
; %bb.5:
	v_sub_u32_e32 v4, v0, v1
	v_mov_b32_e32 v5, v19
	v_add_u32_e32 v6, v26, v0
	v_lshl_add_u64 v[2:3], s[4:5], 0, v[18:19]
	v_lshl_add_u64 v[4:5], v[4:5], 3, v[20:21]
	v_cmp_lt_u32_e32 vcc, v0, v1
	v_mov_b32_e32 v7, v19
	v_sub_u32_e32 v8, v6, v1
	v_mov_b32_e32 v9, v19
	v_cndmask_b32_e32 v3, v5, v3, vcc
	v_cndmask_b32_e32 v2, v4, v2, vcc
	v_lshl_add_u64 v[4:5], v[6:7], 3, s[4:5]
	v_lshl_add_u64 v[8:9], v[8:9], 3, v[20:21]
	v_cmp_lt_u32_e32 vcc, v6, v1
	v_mov_b32_e32 v11, v19
	v_mov_b32_e32 v13, v19
	v_cndmask_b32_e32 v4, v8, v4, vcc
	v_add_u32_e32 v8, v6, v26
	v_cndmask_b32_e32 v5, v9, v5, vcc
	v_mov_b32_e32 v9, v19
	v_sub_u32_e32 v10, v8, v1
	v_lshl_add_u64 v[6:7], v[8:9], 3, s[4:5]
	v_lshl_add_u64 v[10:11], v[10:11], 3, v[20:21]
	v_cmp_lt_u32_e32 vcc, v8, v1
	v_mov_b32_e32 v15, v19
	v_mov_b32_e32 v17, v19
	v_cndmask_b32_e32 v6, v10, v6, vcc
	v_add_u32_e32 v10, v8, v26
	v_cndmask_b32_e32 v7, v11, v7, vcc
	v_mov_b32_e32 v11, v19
	v_sub_u32_e32 v12, v10, v1
	v_lshl_add_u64 v[8:9], v[10:11], 3, s[4:5]
	v_lshl_add_u64 v[12:13], v[12:13], 3, v[20:21]
	v_cmp_lt_u32_e32 vcc, v10, v1
	v_mov_b32_e32 v23, v19
	v_mov_b32_e32 v29, v19
	v_cndmask_b32_e32 v8, v12, v8, vcc
	v_add_u32_e32 v12, v10, v26
	v_cndmask_b32_e32 v9, v13, v9, vcc
	v_mov_b32_e32 v13, v19
	v_sub_u32_e32 v14, v12, v1
	v_lshl_add_u64 v[10:11], v[12:13], 3, s[4:5]
	v_lshl_add_u64 v[14:15], v[14:15], 3, v[20:21]
	v_cmp_lt_u32_e32 vcc, v12, v1
	global_load_dwordx2 v[2:3], v[2:3], off
	v_add_u32_e32 v24, v1, v25
	v_cndmask_b32_e32 v10, v14, v10, vcc
	v_add_u32_e32 v14, v12, v26
	v_cndmask_b32_e32 v11, v15, v11, vcc
	v_mov_b32_e32 v15, v19
	v_sub_u32_e32 v16, v14, v1
	v_lshl_add_u64 v[12:13], v[14:15], 3, s[4:5]
	v_lshl_add_u64 v[16:17], v[16:17], 3, v[20:21]
	v_cmp_lt_u32_e32 vcc, v14, v1
	global_load_dwordx2 v[4:5], v[4:5], off
	s_nop 0
	v_cndmask_b32_e32 v13, v17, v13, vcc
	v_cndmask_b32_e32 v12, v16, v12, vcc
	v_add_u32_e32 v16, v14, v26
	v_mov_b32_e32 v17, v19
	v_lshl_add_u64 v[14:15], v[16:17], 3, s[4:5]
	v_sub_u32_e32 v22, v16, v1
	v_cmp_lt_u32_e32 vcc, v16, v1
	v_add_u32_e32 v16, v16, v26
	v_lshl_add_u64 v[22:23], v[22:23], 3, v[20:21]
	v_sub_u32_e32 v28, v16, v1
	v_cndmask_b32_e32 v15, v23, v15, vcc
	v_cndmask_b32_e32 v14, v22, v14, vcc
	v_lshl_add_u64 v[22:23], v[16:17], 3, s[4:5]
	v_lshl_add_u64 v[28:29], v[28:29], 3, v[20:21]
	v_cmp_lt_u32_e32 vcc, v16, v1
	global_load_dwordx2 v[6:7], v[6:7], off
	s_nop 0
	v_cndmask_b32_e32 v17, v29, v23, vcc
	v_cndmask_b32_e32 v16, v28, v22, vcc
	global_load_dwordx2 v[8:9], v[8:9], off
	s_nop 0
	global_load_dwordx2 v[10:11], v[10:11], off
	s_nop 0
	;; [unrolled: 2-line block ×4, first 2 shown]
	global_load_dwordx2 v[16:17], v[16:17], off
	s_cbranch_execz .LBB405_7
	s_branch .LBB405_24
.LBB405_6:
                                        ; implicit-def: $vgpr2_vgpr3_vgpr4_vgpr5_vgpr6_vgpr7_vgpr8_vgpr9_vgpr10_vgpr11_vgpr12_vgpr13_vgpr14_vgpr15_vgpr16_vgpr17
                                        ; implicit-def: $vgpr24
.LBB405_7:
	v_add_u32_e32 v24, v1, v25
	v_cmp_lt_u32_e32 vcc, v0, v24
                                        ; implicit-def: $vgpr2_vgpr3_vgpr4_vgpr5_vgpr6_vgpr7_vgpr8_vgpr9_vgpr10_vgpr11_vgpr12_vgpr13_vgpr14_vgpr15_vgpr16_vgpr17
	s_and_saveexec_b64 s[2:3], vcc
	s_cbranch_execz .LBB405_9
; %bb.8:
	v_mov_b32_e32 v19, 0
	s_waitcnt vmcnt(6)
	v_sub_u32_e32 v4, v0, v1
	v_mov_b32_e32 v5, v19
	v_lshl_add_u64 v[2:3], s[4:5], 0, v[18:19]
	v_lshl_add_u64 v[4:5], v[4:5], 3, v[20:21]
	v_cmp_lt_u32_e32 vcc, v0, v1
	s_nop 1
	v_cndmask_b32_e32 v3, v5, v3, vcc
	v_cndmask_b32_e32 v2, v4, v2, vcc
	global_load_dwordx2 v[2:3], v[2:3], off
.LBB405_9:
	s_or_b64 exec, exec, s[2:3]
	v_add_u32_e32 v22, v26, v0
	v_cmp_lt_u32_e32 vcc, v22, v24
	s_and_saveexec_b64 s[2:3], vcc
	s_cbranch_execz .LBB405_11
; %bb.10:
	v_mov_b32_e32 v23, 0
	v_sub_u32_e32 v28, v22, v1
	v_mov_b32_e32 v29, v23
	s_waitcnt vmcnt(6)
	v_lshl_add_u64 v[4:5], v[22:23], 3, s[4:5]
	v_lshl_add_u64 v[28:29], v[28:29], 3, v[20:21]
	v_cmp_lt_u32_e32 vcc, v22, v1
	s_nop 1
	v_cndmask_b32_e32 v5, v29, v5, vcc
	v_cndmask_b32_e32 v4, v28, v4, vcc
	global_load_dwordx2 v[4:5], v[4:5], off
.LBB405_11:
	s_or_b64 exec, exec, s[2:3]
	v_add_u32_e32 v22, v22, v26
	v_cmp_lt_u32_e32 vcc, v22, v24
	s_and_saveexec_b64 s[2:3], vcc
	s_cbranch_execz .LBB405_13
; %bb.12:
	v_mov_b32_e32 v23, 0
	v_sub_u32_e32 v28, v22, v1
	v_mov_b32_e32 v29, v23
	s_waitcnt vmcnt(5)
	v_lshl_add_u64 v[6:7], v[22:23], 3, s[4:5]
	v_lshl_add_u64 v[28:29], v[28:29], 3, v[20:21]
	v_cmp_lt_u32_e32 vcc, v22, v1
	s_nop 1
	v_cndmask_b32_e32 v7, v29, v7, vcc
	v_cndmask_b32_e32 v6, v28, v6, vcc
	global_load_dwordx2 v[6:7], v[6:7], off
.LBB405_13:
	;; [unrolled: 18-line block ×6, first 2 shown]
	s_or_b64 exec, exec, s[2:3]
	v_add_u32_e32 v22, v22, v26
	v_cmp_lt_u32_e32 vcc, v22, v24
	s_and_saveexec_b64 s[2:3], vcc
	s_cbranch_execz .LBB405_23
; %bb.22:
	v_mov_b32_e32 v23, 0
	s_waitcnt vmcnt(0)
	v_lshl_add_u64 v[16:17], v[22:23], 3, s[4:5]
	v_cmp_lt_u32_e32 vcc, v22, v1
	v_sub_u32_e32 v22, v22, v1
	v_lshl_add_u64 v[20:21], v[22:23], 3, v[20:21]
	v_cndmask_b32_e32 v17, v21, v17, vcc
	v_cndmask_b32_e32 v16, v20, v16, vcc
	global_load_dwordx2 v[16:17], v[16:17], off
.LBB405_23:
	s_or_b64 exec, exec, s[2:3]
.LBB405_24:
	s_load_dwordx4 s[16:19], s[0:1], 0x40
	v_min_u32_e32 v19, v24, v18
	v_sub_u32_e64 v25, v19, v25 clamp
	v_min_u32_e32 v26, v19, v1
	v_cmp_lt_u32_e32 vcc, v25, v26
	s_waitcnt vmcnt(0)
	ds_write2st64_b64 v18, v[2:3], v[4:5] offset1:2
	ds_write2st64_b64 v18, v[6:7], v[8:9] offset0:4 offset1:6
	ds_write2st64_b64 v18, v[10:11], v[12:13] offset0:8 offset1:10
	;; [unrolled: 1-line block ×3, first 2 shown]
	s_waitcnt lgkmcnt(0)
	s_barrier
	s_and_saveexec_b64 s[12:13], vcc
	s_cbranch_execz .LBB405_34
; %bb.25:
	v_lshlrev_b32_e32 v20, 3, v19
	v_cmp_gt_i64_e64 s[0:1], s[16:17], 0
	v_lshl_add_u32 v27, v1, 3, v20
	s_mov_b64 s[20:21], 0
	v_cndmask_b32_e64 v20, 0, 1, s[0:1]
	s_lshl_b64 s[22:23], s[16:17], 2
	v_cmp_ne_u32_e64 s[0:1], 1, v20
	s_branch .LBB405_28
.LBB405_26:                             ;   in Loop: Header=BB405_28 Depth=1
	s_or_b64 exec, exec, s[26:27]
.LBB405_27:                             ;   in Loop: Header=BB405_28 Depth=1
	v_add_u32_e32 v20, 1, v28
	v_cndmask_b32_e64 v26, v26, v28, s[24:25]
	v_cndmask_b32_e64 v25, v20, v25, s[24:25]
	v_cmp_ge_u32_e32 vcc, v25, v26
	s_or_b64 s[20:21], vcc, s[20:21]
	s_andn2_b64 exec, exec, s[20:21]
	s_cbranch_execz .LBB405_33
.LBB405_28:                             ; =>This Loop Header: Depth=1
                                        ;     Child Loop BB405_31 Depth 2
	v_add_u32_e32 v20, v26, v25
	v_lshrrev_b32_e32 v28, 1, v20
	s_and_b64 vcc, exec, s[0:1]
	s_mov_b64 s[24:25], 0
	s_cbranch_vccnz .LBB405_27
; %bb.29:                               ;   in Loop: Header=BB405_28 Depth=1
	v_not_b32_e32 v20, v28
	v_lshl_add_u32 v20, v20, 3, v27
	ds_read_b64 v[20:21], v20
	v_lshlrev_b32_e32 v29, 3, v28
	ds_read_b64 v[30:31], v29
	v_mov_b64_e32 v[22:23], s[18:19]
	s_mov_b64 s[26:27], 0
	s_waitcnt lgkmcnt(1)
	v_mul_lo_u32 v29, s22, v21
	v_mul_lo_u32 v32, s23, v20
	v_mad_u64_u32 v[20:21], s[2:3], s22, v20, v[22:23]
	v_add3_u32 v21, v32, v21, v29
	s_waitcnt lgkmcnt(0)
	v_mul_lo_u32 v29, s22, v31
	v_mul_lo_u32 v31, s23, v30
	v_mad_u64_u32 v[22:23], s[2:3], s22, v30, v[22:23]
	v_add3_u32 v23, v31, v23, v29
	s_mov_b64 s[34:35], s[16:17]
                                        ; implicit-def: $sgpr24_sgpr25
                                        ; implicit-def: $sgpr28_sgpr29
                                        ; implicit-def: $sgpr30_sgpr31
                                        ; implicit-def: $sgpr2_sgpr3
                                        ; implicit-def: $sgpr36_sgpr37
	s_branch .LBB405_31
.LBB405_30:                             ;   in Loop: Header=BB405_31 Depth=2
	s_or_b64 exec, exec, s[38:39]
	s_and_b64 s[4:5], exec, s[28:29]
	s_or_b64 s[26:27], s[4:5], s[26:27]
	s_andn2_b64 s[4:5], s[36:37], exec
	s_and_b64 s[36:37], s[30:31], exec
	s_or_b64 s[36:37], s[4:5], s[36:37]
	s_andn2_b64 s[4:5], s[24:25], exec
	s_and_b64 s[24:25], s[2:3], exec
	s_or_b64 s[24:25], s[4:5], s[24:25]
	s_andn2_b64 exec, exec, s[26:27]
	s_cbranch_execz .LBB405_26
.LBB405_31:                             ;   Parent Loop BB405_28 Depth=1
                                        ; =>  This Inner Loop Header: Depth=2
	global_load_dword v29, v[20:21], off
	global_load_dword v30, v[22:23], off
	s_andn2_b64 s[38:39], s[2:3], exec
	s_andn2_b64 s[30:31], s[30:31], exec
	s_or_b64 s[28:29], s[28:29], exec
	s_waitcnt vmcnt(0)
	v_cmp_le_i32_e64 s[2:3], v29, v30
	v_cmp_lt_i32_e32 vcc, v29, v30
	s_and_b64 s[2:3], s[2:3], s[36:37]
	s_or_b64 s[40:41], vcc, s[2:3]
	s_and_b64 s[2:3], s[40:41], exec
	v_cmp_eq_u32_e64 s[4:5], v29, v30
	s_or_b64 s[2:3], s[38:39], s[2:3]
	s_and_saveexec_b64 s[38:39], s[4:5]
	s_cbranch_execz .LBB405_30
; %bb.32:                               ;   in Loop: Header=BB405_31 Depth=2
	s_add_u32 s34, s34, -1
	s_addc_u32 s35, s35, -1
	s_cmp_eq_u64 s[34:35], 0
	s_cselect_b64 s[4:5], -1, 0
	s_andn2_b64 s[30:31], s[30:31], exec
	s_and_b64 s[36:37], s[40:41], exec
	s_andn2_b64 s[28:29], s[28:29], exec
	s_and_b64 s[4:5], s[4:5], exec
	v_lshl_add_u64 v[20:21], v[20:21], 0, 4
	v_lshl_add_u64 v[22:23], v[22:23], 0, 4
	s_andn2_b64 s[2:3], s[2:3], exec
	s_or_b64 s[30:31], s[30:31], s[36:37]
	s_or_b64 s[28:29], s[28:29], s[4:5]
                                        ; implicit-def: $sgpr36_sgpr37
	s_branch .LBB405_30
.LBB405_33:
	s_or_b64 exec, exec, s[20:21]
.LBB405_34:
	s_or_b64 exec, exec, s[12:13]
	v_sub_u32_e32 v19, v19, v25
	v_add_u32_e32 v21, v19, v1
	v_cmp_le_u32_e32 vcc, v25, v1
	v_cmp_le_u32_e64 s[0:1], v21, v24
	s_or_b64 s[0:1], vcc, s[0:1]
	s_and_saveexec_b64 s[4:5], s[0:1]
	s_cbranch_execz .LBB405_124
; %bb.35:
	v_cmp_ge_u32_e32 vcc, v25, v1
	v_cmp_lt_u32_e64 s[0:1], v25, v1
                                        ; implicit-def: $vgpr2_vgpr3
	s_and_saveexec_b64 s[2:3], s[0:1]
	s_cbranch_execz .LBB405_37
; %bb.36:
	v_lshlrev_b32_e32 v2, 3, v25
	ds_read_b64 v[2:3], v2
.LBB405_37:
	s_or_b64 exec, exec, s[2:3]
	v_cmp_ge_u32_e64 s[20:21], v21, v24
	v_cmp_lt_u32_e64 s[0:1], v21, v24
                                        ; implicit-def: $vgpr14_vgpr15
	s_and_saveexec_b64 s[2:3], s[0:1]
	s_cbranch_execz .LBB405_39
; %bb.38:
	v_lshlrev_b32_e32 v4, 3, v21
	ds_read_b64 v[14:15], v4
.LBB405_39:
	s_or_b64 exec, exec, s[2:3]
	s_or_b64 s[0:1], vcc, s[20:21]
	s_mov_b64 s[24:25], 0
	v_cmp_gt_i64_e64 s[12:13], s[16:17], 0
	s_xor_b64 s[0:1], s[0:1], -1
	s_and_saveexec_b64 s[22:23], s[0:1]
	s_cbranch_execz .LBB405_47
; %bb.40:
	s_andn2_b64 vcc, exec, s[12:13]
	s_cbranch_vccnz .LBB405_46
; %bb.41:
	s_waitcnt lgkmcnt(0)
	v_mul_lo_u32 v6, v15, s16
	v_mul_lo_u32 v7, v14, s17
	v_mad_u64_u32 v[4:5], s[0:1], v14, s16, 0
	v_add3_u32 v5, v5, v7, v6
	v_mul_lo_u32 v8, v3, s16
	v_mul_lo_u32 v9, v2, s17
	v_mad_u64_u32 v[6:7], s[0:1], v2, s16, 0
	v_add3_u32 v7, v7, v9, v8
	v_lshl_add_u64 v[4:5], v[4:5], 2, s[18:19]
	v_lshl_add_u64 v[6:7], v[6:7], 2, s[18:19]
	s_mov_b64 s[26:27], 0
	s_mov_b64 s[34:35], s[16:17]
                                        ; implicit-def: $sgpr24_sgpr25
                                        ; implicit-def: $sgpr28_sgpr29
                                        ; implicit-def: $sgpr30_sgpr31
                                        ; implicit-def: $sgpr0_sgpr1
                                        ; implicit-def: $sgpr36_sgpr37
	s_branch .LBB405_43
.LBB405_42:                             ;   in Loop: Header=BB405_43 Depth=1
	s_or_b64 exec, exec, s[38:39]
	s_and_b64 s[2:3], exec, s[28:29]
	s_or_b64 s[26:27], s[2:3], s[26:27]
	s_andn2_b64 s[2:3], s[36:37], exec
	s_and_b64 s[36:37], s[30:31], exec
	s_or_b64 s[36:37], s[2:3], s[36:37]
	s_andn2_b64 s[2:3], s[24:25], exec
	s_and_b64 s[24:25], s[0:1], exec
	s_or_b64 s[24:25], s[2:3], s[24:25]
	s_andn2_b64 exec, exec, s[26:27]
	s_cbranch_execz .LBB405_45
.LBB405_43:                             ; =>This Inner Loop Header: Depth=1
	global_load_dword v8, v[4:5], off
	global_load_dword v9, v[6:7], off
	s_andn2_b64 s[38:39], s[0:1], exec
	s_andn2_b64 s[30:31], s[30:31], exec
	s_or_b64 s[28:29], s[28:29], exec
	s_waitcnt vmcnt(0)
	v_cmp_le_i32_e64 s[0:1], v8, v9
	v_cmp_lt_i32_e32 vcc, v8, v9
	s_and_b64 s[0:1], s[0:1], s[36:37]
	s_or_b64 s[40:41], vcc, s[0:1]
	s_and_b64 s[0:1], s[40:41], exec
	v_cmp_eq_u32_e64 s[2:3], v8, v9
	s_or_b64 s[0:1], s[38:39], s[0:1]
	s_and_saveexec_b64 s[38:39], s[2:3]
	s_cbranch_execz .LBB405_42
; %bb.44:                               ;   in Loop: Header=BB405_43 Depth=1
	s_add_u32 s34, s34, -1
	s_addc_u32 s35, s35, -1
	s_cmp_eq_u64 s[34:35], 0
	s_cselect_b64 s[2:3], -1, 0
	s_andn2_b64 s[30:31], s[30:31], exec
	s_and_b64 s[36:37], s[40:41], exec
	s_andn2_b64 s[28:29], s[28:29], exec
	s_and_b64 s[2:3], s[2:3], exec
	v_lshl_add_u64 v[4:5], v[4:5], 0, 4
	v_lshl_add_u64 v[6:7], v[6:7], 0, 4
	s_andn2_b64 s[0:1], s[0:1], exec
	s_or_b64 s[30:31], s[30:31], s[36:37]
	s_or_b64 s[28:29], s[28:29], s[2:3]
                                        ; implicit-def: $sgpr36_sgpr37
	s_branch .LBB405_42
.LBB405_45:
	s_or_b64 exec, exec, s[26:27]
.LBB405_46:
	s_xor_b64 s[0:1], s[24:25], -1
	s_andn2_b64 s[2:3], s[20:21], exec
	s_and_b64 s[0:1], s[0:1], exec
	s_or_b64 s[20:21], s[2:3], s[0:1]
.LBB405_47:
	s_or_b64 exec, exec, s[22:23]
	v_cndmask_b32_e64 v4, v21, v25, s[20:21]
	v_cndmask_b32_e64 v5, v24, v1, s[20:21]
	v_add_u32_e32 v6, 1, v4
	v_add_u32_e32 v4, -1, v5
	v_min_u32_e32 v4, v6, v4
	v_lshlrev_b32_e32 v4, 3, v4
	ds_read_b64 v[4:5], v4
	v_cndmask_b32_e64 v8, v6, v21, s[20:21]
	v_cndmask_b32_e64 v9, v25, v6, s[20:21]
	v_cmp_lt_u32_e32 vcc, v8, v24
	s_mov_b64 s[24:25], -1
	s_waitcnt lgkmcnt(0)
	v_cndmask_b32_e64 v16, v5, v15, s[20:21]
	v_cndmask_b32_e64 v17, v4, v14, s[20:21]
	;; [unrolled: 1-line block ×4, first 2 shown]
	s_mov_b64 s[22:23], -1
	s_and_saveexec_b64 s[26:27], vcc
	s_cbranch_execz .LBB405_58
; %bb.48:
	v_cmp_lt_u32_e32 vcc, v9, v1
	s_mov_b64 s[0:1], 0
	s_and_saveexec_b64 s[22:23], vcc
	s_cbranch_execz .LBB405_57
; %bb.49:
	s_andn2_b64 vcc, exec, s[12:13]
	s_cbranch_vccnz .LBB405_55
; %bb.50:
	v_mul_lo_u32 v6, v16, s16
	v_mul_lo_u32 v7, v17, s17
	v_mad_u64_u32 v[4:5], s[0:1], v17, s16, 0
	v_add3_u32 v5, v5, v7, v6
	v_mul_lo_u32 v10, v19, s16
	v_mul_lo_u32 v11, v20, s17
	v_mad_u64_u32 v[6:7], s[0:1], v20, s16, 0
	v_add3_u32 v7, v7, v11, v10
	v_lshl_add_u64 v[4:5], v[4:5], 2, s[18:19]
	v_lshl_add_u64 v[6:7], v[6:7], 2, s[18:19]
	s_mov_b64 s[30:31], 0
	s_mov_b64 s[38:39], s[16:17]
                                        ; implicit-def: $sgpr28_sgpr29
                                        ; implicit-def: $sgpr34_sgpr35
                                        ; implicit-def: $sgpr36_sgpr37
                                        ; implicit-def: $sgpr0_sgpr1
                                        ; implicit-def: $sgpr40_sgpr41
	s_branch .LBB405_52
.LBB405_51:                             ;   in Loop: Header=BB405_52 Depth=1
	s_or_b64 exec, exec, s[42:43]
	s_and_b64 s[2:3], exec, s[34:35]
	s_or_b64 s[30:31], s[2:3], s[30:31]
	s_andn2_b64 s[2:3], s[40:41], exec
	s_and_b64 s[40:41], s[36:37], exec
	s_or_b64 s[40:41], s[2:3], s[40:41]
	s_andn2_b64 s[2:3], s[28:29], exec
	s_and_b64 s[28:29], s[0:1], exec
	s_or_b64 s[28:29], s[2:3], s[28:29]
	s_andn2_b64 exec, exec, s[30:31]
	s_cbranch_execz .LBB405_54
.LBB405_52:                             ; =>This Inner Loop Header: Depth=1
	global_load_dword v10, v[4:5], off
	global_load_dword v11, v[6:7], off
	s_andn2_b64 s[42:43], s[0:1], exec
	s_andn2_b64 s[36:37], s[36:37], exec
	s_or_b64 s[34:35], s[34:35], exec
	s_waitcnt vmcnt(0)
	v_cmp_le_i32_e64 s[0:1], v10, v11
	v_cmp_lt_i32_e32 vcc, v10, v11
	s_and_b64 s[0:1], s[0:1], s[40:41]
	s_or_b64 s[44:45], vcc, s[0:1]
	s_and_b64 s[0:1], s[44:45], exec
	v_cmp_eq_u32_e64 s[2:3], v10, v11
	s_or_b64 s[0:1], s[42:43], s[0:1]
	s_and_saveexec_b64 s[42:43], s[2:3]
	s_cbranch_execz .LBB405_51
; %bb.53:                               ;   in Loop: Header=BB405_52 Depth=1
	s_add_u32 s38, s38, -1
	s_addc_u32 s39, s39, -1
	s_cmp_eq_u64 s[38:39], 0
	s_cselect_b64 s[2:3], -1, 0
	s_andn2_b64 s[36:37], s[36:37], exec
	s_and_b64 s[40:41], s[44:45], exec
	s_andn2_b64 s[34:35], s[34:35], exec
	s_and_b64 s[2:3], s[2:3], exec
	v_lshl_add_u64 v[4:5], v[4:5], 0, 4
	v_lshl_add_u64 v[6:7], v[6:7], 0, 4
	s_andn2_b64 s[0:1], s[0:1], exec
	s_or_b64 s[36:37], s[36:37], s[40:41]
	s_or_b64 s[34:35], s[34:35], s[2:3]
                                        ; implicit-def: $sgpr40_sgpr41
	s_branch .LBB405_51
.LBB405_54:
	s_or_b64 exec, exec, s[30:31]
	s_branch .LBB405_56
.LBB405_55:
	s_mov_b64 s[28:29], 0
.LBB405_56:
	s_xor_b64 s[0:1], s[28:29], -1
	s_and_b64 s[0:1], s[0:1], exec
.LBB405_57:
	s_or_b64 exec, exec, s[22:23]
	s_orn2_b64 s[22:23], s[0:1], exec
.LBB405_58:
	s_or_b64 exec, exec, s[26:27]
	v_cndmask_b32_e64 v4, v8, v9, s[22:23]
	v_cndmask_b32_e64 v5, v24, v1, s[22:23]
	v_add_u32_e32 v6, 1, v4
	v_add_u32_e32 v4, -1, v5
	v_min_u32_e32 v4, v6, v4
	v_lshlrev_b32_e32 v4, 3, v4
	ds_read_b64 v[4:5], v4
	v_cndmask_b32_e64 v10, v6, v8, s[22:23]
	v_cndmask_b32_e64 v11, v9, v6, s[22:23]
	v_cmp_lt_u32_e32 vcc, v10, v24
	s_waitcnt lgkmcnt(0)
	v_cndmask_b32_e64 v21, v5, v16, s[22:23]
	v_cndmask_b32_e64 v22, v4, v17, s[22:23]
	;; [unrolled: 1-line block ×4, first 2 shown]
	s_and_saveexec_b64 s[26:27], vcc
	s_cbranch_execz .LBB405_69
; %bb.59:
	v_cmp_lt_u32_e32 vcc, v11, v1
	s_mov_b64 s[0:1], 0
	s_and_saveexec_b64 s[24:25], vcc
	s_cbranch_execz .LBB405_68
; %bb.60:
	s_andn2_b64 vcc, exec, s[12:13]
	s_cbranch_vccnz .LBB405_66
; %bb.61:
	v_mul_lo_u32 v6, v21, s16
	v_mul_lo_u32 v7, v22, s17
	v_mad_u64_u32 v[4:5], s[0:1], v22, s16, 0
	v_add3_u32 v5, v5, v7, v6
	v_mul_lo_u32 v8, v23, s16
	v_mul_lo_u32 v9, v25, s17
	v_mad_u64_u32 v[6:7], s[0:1], v25, s16, 0
	v_add3_u32 v7, v7, v9, v8
	v_lshl_add_u64 v[4:5], v[4:5], 2, s[18:19]
	v_lshl_add_u64 v[6:7], v[6:7], 2, s[18:19]
	s_mov_b64 s[30:31], 0
	s_mov_b64 s[38:39], s[16:17]
                                        ; implicit-def: $sgpr28_sgpr29
                                        ; implicit-def: $sgpr34_sgpr35
                                        ; implicit-def: $sgpr36_sgpr37
                                        ; implicit-def: $sgpr0_sgpr1
                                        ; implicit-def: $sgpr40_sgpr41
	s_branch .LBB405_63
.LBB405_62:                             ;   in Loop: Header=BB405_63 Depth=1
	s_or_b64 exec, exec, s[42:43]
	s_and_b64 s[2:3], exec, s[34:35]
	s_or_b64 s[30:31], s[2:3], s[30:31]
	s_andn2_b64 s[2:3], s[40:41], exec
	s_and_b64 s[40:41], s[36:37], exec
	s_or_b64 s[40:41], s[2:3], s[40:41]
	s_andn2_b64 s[2:3], s[28:29], exec
	s_and_b64 s[28:29], s[0:1], exec
	s_or_b64 s[28:29], s[2:3], s[28:29]
	s_andn2_b64 exec, exec, s[30:31]
	s_cbranch_execz .LBB405_65
.LBB405_63:                             ; =>This Inner Loop Header: Depth=1
	global_load_dword v8, v[4:5], off
	global_load_dword v9, v[6:7], off
	s_andn2_b64 s[42:43], s[0:1], exec
	s_andn2_b64 s[36:37], s[36:37], exec
	s_or_b64 s[34:35], s[34:35], exec
	s_waitcnt vmcnt(0)
	v_cmp_le_i32_e64 s[0:1], v8, v9
	v_cmp_lt_i32_e32 vcc, v8, v9
	s_and_b64 s[0:1], s[0:1], s[40:41]
	s_or_b64 s[44:45], vcc, s[0:1]
	s_and_b64 s[0:1], s[44:45], exec
	v_cmp_eq_u32_e64 s[2:3], v8, v9
	s_or_b64 s[0:1], s[42:43], s[0:1]
	s_and_saveexec_b64 s[42:43], s[2:3]
	s_cbranch_execz .LBB405_62
; %bb.64:                               ;   in Loop: Header=BB405_63 Depth=1
	s_add_u32 s38, s38, -1
	s_addc_u32 s39, s39, -1
	s_cmp_eq_u64 s[38:39], 0
	s_cselect_b64 s[2:3], -1, 0
	s_andn2_b64 s[36:37], s[36:37], exec
	s_and_b64 s[40:41], s[44:45], exec
	s_andn2_b64 s[34:35], s[34:35], exec
	s_and_b64 s[2:3], s[2:3], exec
	v_lshl_add_u64 v[4:5], v[4:5], 0, 4
	v_lshl_add_u64 v[6:7], v[6:7], 0, 4
	s_andn2_b64 s[0:1], s[0:1], exec
	s_or_b64 s[36:37], s[36:37], s[40:41]
	s_or_b64 s[34:35], s[34:35], s[2:3]
                                        ; implicit-def: $sgpr40_sgpr41
	s_branch .LBB405_62
.LBB405_65:
	s_or_b64 exec, exec, s[30:31]
	s_branch .LBB405_67
.LBB405_66:
	s_mov_b64 s[28:29], 0
.LBB405_67:
	s_xor_b64 s[0:1], s[28:29], -1
	s_and_b64 s[0:1], s[0:1], exec
.LBB405_68:
	s_or_b64 exec, exec, s[24:25]
	s_orn2_b64 s[24:25], s[0:1], exec
.LBB405_69:
	s_or_b64 exec, exec, s[26:27]
	v_cndmask_b32_e64 v4, v10, v11, s[24:25]
	v_cndmask_b32_e64 v5, v24, v1, s[24:25]
	v_add_u32_e32 v6, 1, v4
	v_add_u32_e32 v4, -1, v5
	v_min_u32_e32 v4, v6, v4
	v_lshlrev_b32_e32 v4, 3, v4
	ds_read_b64 v[4:5], v4
	v_cndmask_b32_e64 v12, v6, v10, s[24:25]
	v_cndmask_b32_e64 v13, v11, v6, s[24:25]
	v_cmp_lt_u32_e32 vcc, v12, v24
	s_mov_b64 s[28:29], -1
	s_waitcnt lgkmcnt(0)
	v_cndmask_b32_e64 v8, v5, v21, s[24:25]
	v_cndmask_b32_e64 v26, v4, v22, s[24:25]
	v_cndmask_b32_e64 v9, v23, v5, s[24:25]
	v_cndmask_b32_e64 v27, v25, v4, s[24:25]
	s_mov_b64 s[26:27], -1
	s_and_saveexec_b64 s[30:31], vcc
	s_cbranch_execz .LBB405_80
; %bb.70:
	v_cmp_lt_u32_e32 vcc, v13, v1
	s_mov_b64 s[0:1], 0
	s_and_saveexec_b64 s[26:27], vcc
	s_cbranch_execz .LBB405_79
; %bb.71:
	s_andn2_b64 vcc, exec, s[12:13]
	s_cbranch_vccnz .LBB405_77
; %bb.72:
	v_mul_lo_u32 v6, v8, s16
	v_mul_lo_u32 v7, v26, s17
	v_mad_u64_u32 v[4:5], s[0:1], v26, s16, 0
	v_add3_u32 v5, v5, v7, v6
	v_mul_lo_u32 v10, v9, s16
	v_mul_lo_u32 v11, v27, s17
	v_mad_u64_u32 v[6:7], s[0:1], v27, s16, 0
	v_add3_u32 v7, v7, v11, v10
	v_lshl_add_u64 v[4:5], v[4:5], 2, s[18:19]
	v_lshl_add_u64 v[6:7], v[6:7], 2, s[18:19]
	s_mov_b64 s[34:35], 0
	s_mov_b64 s[42:43], s[16:17]
                                        ; implicit-def: $sgpr36_sgpr37
                                        ; implicit-def: $sgpr38_sgpr39
                                        ; implicit-def: $sgpr0_sgpr1
                                        ; implicit-def: $sgpr40_sgpr41
                                        ; implicit-def: $sgpr44_sgpr45
	s_branch .LBB405_74
.LBB405_73:                             ;   in Loop: Header=BB405_74 Depth=1
	s_or_b64 exec, exec, s[46:47]
	s_and_b64 s[2:3], exec, s[38:39]
	s_or_b64 s[34:35], s[2:3], s[34:35]
	s_andn2_b64 s[2:3], s[44:45], exec
	s_and_b64 s[44:45], s[40:41], exec
	s_or_b64 s[44:45], s[2:3], s[44:45]
	s_andn2_b64 s[2:3], s[36:37], exec
	s_and_b64 s[36:37], s[0:1], exec
	s_or_b64 s[36:37], s[2:3], s[36:37]
	s_andn2_b64 exec, exec, s[34:35]
	s_cbranch_execz .LBB405_76
.LBB405_74:                             ; =>This Inner Loop Header: Depth=1
	global_load_dword v10, v[4:5], off
	global_load_dword v11, v[6:7], off
	s_andn2_b64 s[46:47], s[0:1], exec
	s_andn2_b64 s[40:41], s[40:41], exec
	s_or_b64 s[38:39], s[38:39], exec
	s_waitcnt vmcnt(0)
	v_cmp_le_i32_e64 s[0:1], v10, v11
	v_cmp_lt_i32_e32 vcc, v10, v11
	s_and_b64 s[0:1], s[0:1], s[44:45]
	s_or_b64 s[48:49], vcc, s[0:1]
	s_and_b64 s[0:1], s[48:49], exec
	v_cmp_eq_u32_e64 s[2:3], v10, v11
	s_or_b64 s[0:1], s[46:47], s[0:1]
	s_and_saveexec_b64 s[46:47], s[2:3]
	s_cbranch_execz .LBB405_73
; %bb.75:                               ;   in Loop: Header=BB405_74 Depth=1
	s_add_u32 s42, s42, -1
	s_addc_u32 s43, s43, -1
	s_cmp_eq_u64 s[42:43], 0
	s_cselect_b64 s[2:3], -1, 0
	s_andn2_b64 s[40:41], s[40:41], exec
	s_and_b64 s[44:45], s[48:49], exec
	s_andn2_b64 s[38:39], s[38:39], exec
	s_and_b64 s[2:3], s[2:3], exec
	v_lshl_add_u64 v[4:5], v[4:5], 0, 4
	v_lshl_add_u64 v[6:7], v[6:7], 0, 4
	s_or_b64 s[40:41], s[40:41], s[44:45]
	s_andn2_b64 s[0:1], s[0:1], exec
	s_or_b64 s[38:39], s[38:39], s[2:3]
                                        ; implicit-def: $sgpr44_sgpr45
	s_branch .LBB405_73
.LBB405_76:
	s_or_b64 exec, exec, s[34:35]
	s_xor_b64 s[0:1], s[36:37], -1
	s_branch .LBB405_78
.LBB405_77:
	s_mov_b64 s[0:1], -1
.LBB405_78:
	s_and_b64 s[0:1], s[0:1], exec
.LBB405_79:
	s_or_b64 exec, exec, s[26:27]
	s_orn2_b64 s[26:27], s[0:1], exec
.LBB405_80:
	s_or_b64 exec, exec, s[30:31]
	v_cndmask_b32_e64 v4, v12, v13, s[26:27]
	v_cndmask_b32_e64 v5, v24, v1, s[26:27]
	v_add_u32_e32 v6, 1, v4
	v_add_u32_e32 v4, -1, v5
	v_min_u32_e32 v4, v6, v4
	v_lshlrev_b32_e32 v4, 3, v4
	ds_read_b64 v[4:5], v4
	v_cndmask_b32_e64 v32, v6, v12, s[26:27]
	v_cndmask_b32_e64 v33, v13, v6, s[26:27]
	v_cmp_lt_u32_e32 vcc, v32, v24
	s_waitcnt lgkmcnt(0)
	v_cndmask_b32_e64 v10, v5, v8, s[26:27]
	v_cndmask_b32_e64 v28, v4, v26, s[26:27]
	;; [unrolled: 1-line block ×4, first 2 shown]
	s_and_saveexec_b64 s[30:31], vcc
	s_cbranch_execz .LBB405_91
; %bb.81:
	v_cmp_lt_u32_e32 vcc, v33, v1
	s_mov_b64 s[0:1], 0
	s_and_saveexec_b64 s[28:29], vcc
	s_cbranch_execz .LBB405_90
; %bb.82:
	s_andn2_b64 vcc, exec, s[12:13]
	s_cbranch_vccnz .LBB405_88
; %bb.83:
	v_mul_lo_u32 v6, v10, s16
	v_mul_lo_u32 v7, v28, s17
	v_mad_u64_u32 v[4:5], s[0:1], v28, s16, 0
	v_add3_u32 v5, v5, v7, v6
	v_mul_lo_u32 v12, v11, s16
	v_mul_lo_u32 v13, v29, s17
	v_mad_u64_u32 v[6:7], s[0:1], v29, s16, 0
	v_add3_u32 v7, v7, v13, v12
	v_lshl_add_u64 v[4:5], v[4:5], 2, s[18:19]
	v_lshl_add_u64 v[6:7], v[6:7], 2, s[18:19]
	s_mov_b64 s[34:35], 0
	s_mov_b64 s[42:43], s[16:17]
                                        ; implicit-def: $sgpr36_sgpr37
                                        ; implicit-def: $sgpr38_sgpr39
                                        ; implicit-def: $sgpr0_sgpr1
                                        ; implicit-def: $sgpr40_sgpr41
                                        ; implicit-def: $sgpr44_sgpr45
	s_branch .LBB405_85
.LBB405_84:                             ;   in Loop: Header=BB405_85 Depth=1
	s_or_b64 exec, exec, s[46:47]
	s_and_b64 s[2:3], exec, s[38:39]
	s_or_b64 s[34:35], s[2:3], s[34:35]
	s_andn2_b64 s[2:3], s[44:45], exec
	s_and_b64 s[44:45], s[40:41], exec
	s_or_b64 s[44:45], s[2:3], s[44:45]
	s_andn2_b64 s[2:3], s[36:37], exec
	s_and_b64 s[36:37], s[0:1], exec
	s_or_b64 s[36:37], s[2:3], s[36:37]
	s_andn2_b64 exec, exec, s[34:35]
	s_cbranch_execz .LBB405_87
.LBB405_85:                             ; =>This Inner Loop Header: Depth=1
	global_load_dword v12, v[4:5], off
	global_load_dword v13, v[6:7], off
	s_andn2_b64 s[46:47], s[0:1], exec
	s_andn2_b64 s[40:41], s[40:41], exec
	s_or_b64 s[38:39], s[38:39], exec
	s_waitcnt vmcnt(0)
	v_cmp_le_i32_e64 s[0:1], v12, v13
	v_cmp_lt_i32_e32 vcc, v12, v13
	s_and_b64 s[0:1], s[0:1], s[44:45]
	s_or_b64 s[48:49], vcc, s[0:1]
	s_and_b64 s[0:1], s[48:49], exec
	v_cmp_eq_u32_e64 s[2:3], v12, v13
	s_or_b64 s[0:1], s[46:47], s[0:1]
	s_and_saveexec_b64 s[46:47], s[2:3]
	s_cbranch_execz .LBB405_84
; %bb.86:                               ;   in Loop: Header=BB405_85 Depth=1
	s_add_u32 s42, s42, -1
	s_addc_u32 s43, s43, -1
	s_cmp_eq_u64 s[42:43], 0
	s_cselect_b64 s[2:3], -1, 0
	s_andn2_b64 s[40:41], s[40:41], exec
	s_and_b64 s[44:45], s[48:49], exec
	s_andn2_b64 s[38:39], s[38:39], exec
	s_and_b64 s[2:3], s[2:3], exec
	v_lshl_add_u64 v[4:5], v[4:5], 0, 4
	v_lshl_add_u64 v[6:7], v[6:7], 0, 4
	s_or_b64 s[40:41], s[40:41], s[44:45]
	s_andn2_b64 s[0:1], s[0:1], exec
	s_or_b64 s[38:39], s[38:39], s[2:3]
                                        ; implicit-def: $sgpr44_sgpr45
	s_branch .LBB405_84
.LBB405_87:
	s_or_b64 exec, exec, s[34:35]
	s_xor_b64 s[0:1], s[36:37], -1
	s_branch .LBB405_89
.LBB405_88:
	s_mov_b64 s[0:1], -1
.LBB405_89:
	s_and_b64 s[0:1], s[0:1], exec
.LBB405_90:
	s_or_b64 exec, exec, s[28:29]
	s_orn2_b64 s[28:29], s[0:1], exec
.LBB405_91:
	s_or_b64 exec, exec, s[30:31]
	v_cndmask_b32_e64 v4, v32, v33, s[28:29]
	v_cndmask_b32_e64 v5, v24, v1, s[28:29]
	v_add_u32_e32 v6, 1, v4
	v_add_u32_e32 v4, -1, v5
	v_min_u32_e32 v4, v6, v4
	v_lshlrev_b32_e32 v4, 3, v4
	ds_read_b64 v[4:5], v4
	v_cndmask_b32_e64 v34, v6, v32, s[28:29]
	v_cndmask_b32_e64 v38, v33, v6, s[28:29]
	v_cmp_lt_u32_e32 vcc, v34, v24
	s_mov_b64 s[30:31], -1
	s_waitcnt lgkmcnt(0)
	v_cndmask_b32_e64 v12, v5, v10, s[28:29]
	v_cndmask_b32_e64 v30, v4, v28, s[28:29]
	;; [unrolled: 1-line block ×4, first 2 shown]
	s_mov_b64 s[34:35], -1
	s_and_saveexec_b64 s[36:37], vcc
	s_cbranch_execz .LBB405_102
; %bb.92:
	v_cmp_lt_u32_e32 vcc, v38, v1
	s_mov_b64 s[0:1], 0
	s_and_saveexec_b64 s[34:35], vcc
	s_cbranch_execz .LBB405_101
; %bb.93:
	s_andn2_b64 vcc, exec, s[12:13]
	s_cbranch_vccnz .LBB405_99
; %bb.94:
	v_mul_lo_u32 v6, v12, s16
	v_mul_lo_u32 v7, v30, s17
	v_mad_u64_u32 v[4:5], s[0:1], v30, s16, 0
	v_add3_u32 v5, v5, v7, v6
	v_mul_lo_u32 v32, v13, s16
	v_mul_lo_u32 v33, v31, s17
	v_mad_u64_u32 v[6:7], s[0:1], v31, s16, 0
	v_add3_u32 v7, v7, v33, v32
	v_lshl_add_u64 v[4:5], v[4:5], 2, s[18:19]
	v_lshl_add_u64 v[6:7], v[6:7], 2, s[18:19]
	s_mov_b64 s[38:39], 0
	s_mov_b64 s[46:47], s[16:17]
                                        ; implicit-def: $sgpr40_sgpr41
                                        ; implicit-def: $sgpr42_sgpr43
                                        ; implicit-def: $sgpr0_sgpr1
                                        ; implicit-def: $sgpr44_sgpr45
                                        ; implicit-def: $sgpr48_sgpr49
	s_branch .LBB405_96
.LBB405_95:                             ;   in Loop: Header=BB405_96 Depth=1
	s_or_b64 exec, exec, s[50:51]
	s_and_b64 s[2:3], exec, s[42:43]
	s_or_b64 s[38:39], s[2:3], s[38:39]
	s_andn2_b64 s[2:3], s[48:49], exec
	s_and_b64 s[48:49], s[44:45], exec
	s_or_b64 s[48:49], s[2:3], s[48:49]
	s_andn2_b64 s[2:3], s[40:41], exec
	s_and_b64 s[40:41], s[0:1], exec
	s_or_b64 s[40:41], s[2:3], s[40:41]
	s_andn2_b64 exec, exec, s[38:39]
	s_cbranch_execz .LBB405_98
.LBB405_96:                             ; =>This Inner Loop Header: Depth=1
	global_load_dword v32, v[4:5], off
	global_load_dword v33, v[6:7], off
	s_andn2_b64 s[50:51], s[0:1], exec
	s_andn2_b64 s[44:45], s[44:45], exec
	s_or_b64 s[42:43], s[42:43], exec
	s_waitcnt vmcnt(0)
	v_cmp_le_i32_e64 s[0:1], v32, v33
	v_cmp_lt_i32_e32 vcc, v32, v33
	s_and_b64 s[0:1], s[0:1], s[48:49]
	s_or_b64 s[52:53], vcc, s[0:1]
	s_and_b64 s[0:1], s[52:53], exec
	v_cmp_eq_u32_e64 s[2:3], v32, v33
	s_or_b64 s[0:1], s[50:51], s[0:1]
	s_and_saveexec_b64 s[50:51], s[2:3]
	s_cbranch_execz .LBB405_95
; %bb.97:                               ;   in Loop: Header=BB405_96 Depth=1
	s_add_u32 s46, s46, -1
	s_addc_u32 s47, s47, -1
	s_cmp_eq_u64 s[46:47], 0
	s_cselect_b64 s[2:3], -1, 0
	s_andn2_b64 s[44:45], s[44:45], exec
	s_and_b64 s[48:49], s[52:53], exec
	s_andn2_b64 s[42:43], s[42:43], exec
	s_and_b64 s[2:3], s[2:3], exec
	v_lshl_add_u64 v[4:5], v[4:5], 0, 4
	v_lshl_add_u64 v[6:7], v[6:7], 0, 4
	s_or_b64 s[44:45], s[44:45], s[48:49]
	s_andn2_b64 s[0:1], s[0:1], exec
	s_or_b64 s[42:43], s[42:43], s[2:3]
                                        ; implicit-def: $sgpr48_sgpr49
	s_branch .LBB405_95
.LBB405_98:
	s_or_b64 exec, exec, s[38:39]
	s_xor_b64 s[0:1], s[40:41], -1
	s_branch .LBB405_100
.LBB405_99:
	s_mov_b64 s[0:1], -1
.LBB405_100:
	s_and_b64 s[0:1], s[0:1], exec
.LBB405_101:
	s_or_b64 exec, exec, s[34:35]
	s_orn2_b64 s[34:35], s[0:1], exec
.LBB405_102:
	s_or_b64 exec, exec, s[36:37]
	v_cndmask_b32_e64 v4, v34, v38, s[34:35]
	v_cndmask_b32_e64 v5, v24, v1, s[34:35]
	v_add_u32_e32 v6, 1, v4
	v_add_u32_e32 v4, -1, v5
	v_min_u32_e32 v4, v6, v4
	v_lshlrev_b32_e32 v4, 3, v4
	ds_read_b64 v[4:5], v4
	v_cndmask_b32_e64 v35, v6, v34, s[34:35]
	v_cndmask_b32_e64 v34, v38, v6, s[34:35]
	v_cmp_lt_u32_e32 vcc, v35, v24
	s_waitcnt lgkmcnt(0)
	v_cndmask_b32_e64 v32, v5, v12, s[34:35]
	v_cndmask_b32_e64 v33, v4, v30, s[34:35]
	;; [unrolled: 1-line block ×4, first 2 shown]
	s_and_saveexec_b64 s[36:37], vcc
	s_cbranch_execz .LBB405_113
; %bb.103:
	v_cmp_lt_u32_e32 vcc, v34, v1
	s_mov_b64 s[0:1], 0
	s_and_saveexec_b64 s[30:31], vcc
	s_cbranch_execz .LBB405_112
; %bb.104:
	s_andn2_b64 vcc, exec, s[12:13]
	s_cbranch_vccnz .LBB405_110
; %bb.105:
	v_mul_lo_u32 v6, v32, s16
	v_mul_lo_u32 v7, v33, s17
	v_mad_u64_u32 v[4:5], s[0:1], v33, s16, 0
	v_add3_u32 v5, v5, v7, v6
	v_mul_lo_u32 v38, v36, s16
	v_mul_lo_u32 v39, v37, s17
	v_mad_u64_u32 v[6:7], s[0:1], v37, s16, 0
	v_add3_u32 v7, v7, v39, v38
	v_lshl_add_u64 v[4:5], v[4:5], 2, s[18:19]
	v_lshl_add_u64 v[6:7], v[6:7], 2, s[18:19]
	s_mov_b64 s[38:39], 0
	s_mov_b64 s[46:47], s[16:17]
                                        ; implicit-def: $sgpr40_sgpr41
                                        ; implicit-def: $sgpr42_sgpr43
                                        ; implicit-def: $sgpr0_sgpr1
                                        ; implicit-def: $sgpr44_sgpr45
                                        ; implicit-def: $sgpr48_sgpr49
	s_branch .LBB405_107
.LBB405_106:                            ;   in Loop: Header=BB405_107 Depth=1
	s_or_b64 exec, exec, s[50:51]
	s_and_b64 s[2:3], exec, s[42:43]
	s_or_b64 s[38:39], s[2:3], s[38:39]
	s_andn2_b64 s[2:3], s[48:49], exec
	s_and_b64 s[48:49], s[44:45], exec
	s_or_b64 s[48:49], s[2:3], s[48:49]
	s_andn2_b64 s[2:3], s[40:41], exec
	s_and_b64 s[40:41], s[0:1], exec
	s_or_b64 s[40:41], s[2:3], s[40:41]
	s_andn2_b64 exec, exec, s[38:39]
	s_cbranch_execz .LBB405_109
.LBB405_107:                            ; =>This Inner Loop Header: Depth=1
	global_load_dword v38, v[4:5], off
	global_load_dword v39, v[6:7], off
	s_andn2_b64 s[50:51], s[0:1], exec
	s_andn2_b64 s[44:45], s[44:45], exec
	s_or_b64 s[42:43], s[42:43], exec
	s_waitcnt vmcnt(0)
	v_cmp_le_i32_e64 s[0:1], v38, v39
	v_cmp_lt_i32_e32 vcc, v38, v39
	s_and_b64 s[0:1], s[0:1], s[48:49]
	s_or_b64 s[52:53], vcc, s[0:1]
	s_and_b64 s[0:1], s[52:53], exec
	v_cmp_eq_u32_e64 s[2:3], v38, v39
	s_or_b64 s[0:1], s[50:51], s[0:1]
	s_and_saveexec_b64 s[50:51], s[2:3]
	s_cbranch_execz .LBB405_106
; %bb.108:                              ;   in Loop: Header=BB405_107 Depth=1
	s_add_u32 s46, s46, -1
	s_addc_u32 s47, s47, -1
	s_cmp_eq_u64 s[46:47], 0
	s_cselect_b64 s[2:3], -1, 0
	s_andn2_b64 s[44:45], s[44:45], exec
	s_and_b64 s[48:49], s[52:53], exec
	s_andn2_b64 s[42:43], s[42:43], exec
	s_and_b64 s[2:3], s[2:3], exec
	v_lshl_add_u64 v[4:5], v[4:5], 0, 4
	v_lshl_add_u64 v[6:7], v[6:7], 0, 4
	s_or_b64 s[44:45], s[44:45], s[48:49]
	s_andn2_b64 s[0:1], s[0:1], exec
	s_or_b64 s[42:43], s[42:43], s[2:3]
                                        ; implicit-def: $sgpr48_sgpr49
	s_branch .LBB405_106
.LBB405_109:
	s_or_b64 exec, exec, s[38:39]
	s_xor_b64 s[0:1], s[40:41], -1
	s_branch .LBB405_111
.LBB405_110:
	s_mov_b64 s[0:1], -1
.LBB405_111:
	s_and_b64 s[0:1], s[0:1], exec
.LBB405_112:
	s_or_b64 exec, exec, s[30:31]
	s_orn2_b64 s[30:31], s[0:1], exec
.LBB405_113:
	s_or_b64 exec, exec, s[36:37]
	v_cndmask_b32_e64 v5, v16, v19, s[22:23]
	v_cndmask_b32_e64 v4, v17, v20, s[22:23]
	;; [unrolled: 1-line block ×4, first 2 shown]
	v_add_u32_e32 v19, 1, v16
	v_add_u32_e32 v16, -1, v17
	v_min_u32_e32 v16, v19, v16
	v_lshlrev_b32_e32 v16, 3, v16
	v_cndmask_b32_e64 v7, v21, v23, s[24:25]
	ds_read_b64 v[20:21], v16
	v_cndmask_b32_e64 v6, v22, v25, s[24:25]
	v_cndmask_b32_e64 v22, v19, v35, s[30:31]
	;; [unrolled: 1-line block ×12, first 2 shown]
	s_waitcnt lgkmcnt(0)
	v_cndmask_b32_e64 v17, v36, v21, s[30:31]
	v_cndmask_b32_e64 v16, v37, v20, s[30:31]
	v_cmp_lt_u32_e32 vcc, v22, v24
	s_and_saveexec_b64 s[20:21], vcc
	s_cbranch_execz .LBB405_123
; %bb.114:
	v_cndmask_b32_e64 v19, v34, v19, s[30:31]
	v_cndmask_b32_e64 v21, v21, v32, s[30:31]
	;; [unrolled: 1-line block ×3, first 2 shown]
	v_cmp_lt_u32_e32 vcc, v19, v1
	s_and_saveexec_b64 s[22:23], vcc
	s_cbranch_execz .LBB405_122
; %bb.115:
	s_andn2_b64 vcc, exec, s[12:13]
	s_cbranch_vccnz .LBB405_121
; %bb.116:
	v_mul_lo_u32 v1, v21, s16
	v_mul_lo_u32 v19, v20, s17
	v_mad_u64_u32 v[22:23], s[0:1], v20, s16, 0
	v_add3_u32 v23, v23, v19, v1
	v_mul_lo_u32 v1, v17, s16
	v_mul_lo_u32 v19, v16, s17
	v_mad_u64_u32 v[24:25], s[0:1], v16, s16, 0
	v_add3_u32 v25, v25, v19, v1
	v_lshl_add_u64 v[22:23], v[22:23], 2, s[18:19]
	v_lshl_add_u64 v[24:25], v[24:25], 2, s[18:19]
	s_mov_b64 s[12:13], 0
                                        ; implicit-def: $sgpr18_sgpr19
                                        ; implicit-def: $sgpr24_sgpr25
                                        ; implicit-def: $sgpr0_sgpr1
                                        ; implicit-def: $sgpr26_sgpr27
                                        ; implicit-def: $sgpr28_sgpr29
	s_branch .LBB405_118
.LBB405_117:                            ;   in Loop: Header=BB405_118 Depth=1
	s_or_b64 exec, exec, s[30:31]
	s_and_b64 s[2:3], exec, s[24:25]
	s_or_b64 s[12:13], s[2:3], s[12:13]
	s_andn2_b64 s[2:3], s[28:29], exec
	s_and_b64 s[28:29], s[26:27], exec
	s_or_b64 s[28:29], s[2:3], s[28:29]
	s_andn2_b64 s[2:3], s[18:19], exec
	s_and_b64 s[18:19], s[0:1], exec
	s_or_b64 s[18:19], s[2:3], s[18:19]
	s_andn2_b64 exec, exec, s[12:13]
	s_cbranch_execz .LBB405_120
.LBB405_118:                            ; =>This Inner Loop Header: Depth=1
	global_load_dword v1, v[22:23], off
	global_load_dword v19, v[24:25], off
	s_andn2_b64 s[30:31], s[0:1], exec
	s_andn2_b64 s[26:27], s[26:27], exec
	s_or_b64 s[24:25], s[24:25], exec
	s_waitcnt vmcnt(0)
	v_cmp_le_i32_e64 s[0:1], v1, v19
	v_cmp_lt_i32_e32 vcc, v1, v19
	s_and_b64 s[0:1], s[0:1], s[28:29]
	s_or_b64 s[34:35], vcc, s[0:1]
	s_and_b64 s[0:1], s[34:35], exec
	v_cmp_eq_u32_e64 s[2:3], v1, v19
	s_or_b64 s[0:1], s[30:31], s[0:1]
	s_and_saveexec_b64 s[30:31], s[2:3]
	s_cbranch_execz .LBB405_117
; %bb.119:                              ;   in Loop: Header=BB405_118 Depth=1
	s_add_u32 s16, s16, -1
	s_addc_u32 s17, s17, -1
	s_cmp_eq_u64 s[16:17], 0
	s_cselect_b64 s[2:3], -1, 0
	s_andn2_b64 s[26:27], s[26:27], exec
	s_and_b64 s[28:29], s[34:35], exec
	s_andn2_b64 s[24:25], s[24:25], exec
	s_and_b64 s[2:3], s[2:3], exec
	v_lshl_add_u64 v[22:23], v[22:23], 0, 4
	v_lshl_add_u64 v[24:25], v[24:25], 0, 4
	s_or_b64 s[26:27], s[26:27], s[28:29]
	s_andn2_b64 s[0:1], s[0:1], exec
	s_or_b64 s[24:25], s[24:25], s[2:3]
                                        ; implicit-def: $sgpr28_sgpr29
	s_branch .LBB405_117
.LBB405_120:
	s_or_b64 exec, exec, s[12:13]
	v_cndmask_b32_e64 v17, v17, v21, s[18:19]
	v_cndmask_b32_e64 v16, v16, v20, s[18:19]
.LBB405_121:
	v_mov_b64_e32 v[20:21], v[16:17]
.LBB405_122:
	s_or_b64 exec, exec, s[22:23]
	v_mov_b64_e32 v[16:17], v[20:21]
.LBB405_123:
	s_or_b64 exec, exec, s[20:21]
.LBB405_124:
	s_or_b64 exec, exec, s[4:5]
	v_lshrrev_b32_e32 v1, 2, v0
	v_lshlrev_b32_e32 v19, 3, v18
	v_lshl_add_u32 v19, v1, 3, v19
	v_and_b32_e32 v1, 24, v1
	v_or_b32_e32 v25, 0x80, v0
	v_add_u32_e32 v26, v18, v1
	v_lshrrev_b32_e32 v1, 2, v25
	v_and_b32_e32 v1, 56, v1
	v_or_b32_e32 v24, 0x100, v0
	s_barrier
	s_barrier
	ds_write2_b64 v19, v[2:3], v[4:5] offset1:1
	ds_write2_b64 v19, v[6:7], v[8:9] offset0:2 offset1:3
	ds_write2_b64 v19, v[10:11], v[12:13] offset0:4 offset1:5
	;; [unrolled: 1-line block ×3, first 2 shown]
	v_add_u32_e32 v6, v18, v1
	v_lshrrev_b32_e32 v1, 2, v24
	v_and_b32_e32 v1, 0x58, v1
	v_or_b32_e32 v23, 0x180, v0
	v_add_u32_e32 v7, v18, v1
	v_lshrrev_b32_e32 v1, 2, v23
	v_and_b32_e32 v1, 0x78, v1
	v_or_b32_e32 v22, 0x200, v0
	;; [unrolled: 4-line block ×4, first 2 shown]
	v_add_u32_e32 v27, v18, v1
	v_lshrrev_b32_e32 v1, 2, v20
	v_and_b32_e32 v1, 0xd8, v1
	s_lshl_b64 s[0:1], s[6:7], 3
	v_add_u32_e32 v28, v18, v1
	v_or_b32_e32 v1, 0x380, v0
	s_add_u32 s0, s14, s0
	v_lshrrev_b32_e32 v2, 2, v1
	s_addc_u32 s1, s15, s1
	v_and_b32_e32 v2, 0xf8, v2
	v_mov_b32_e32 v19, 0
	v_add_u32_e32 v29, v18, v2
	v_lshl_add_u64 v[2:3], s[0:1], 0, v[18:19]
	s_and_b64 vcc, exec, s[10:11]
	s_waitcnt lgkmcnt(0)
	s_cbranch_vccz .LBB405_126
; %bb.125:
	s_barrier
	ds_read_b64 v[10:11], v26
	ds_read_b64 v[12:13], v6 offset:1024
	ds_read_b64 v[14:15], v7 offset:2048
	;; [unrolled: 1-line block ×7, first 2 shown]
	s_waitcnt lgkmcnt(7)
	global_store_dwordx2 v[2:3], v[10:11], off
	s_waitcnt lgkmcnt(6)
	global_store_dwordx2 v[2:3], v[12:13], off offset:1024
	s_waitcnt lgkmcnt(5)
	global_store_dwordx2 v[2:3], v[14:15], off offset:2048
	;; [unrolled: 2-line block ×3, first 2 shown]
	v_add_co_u32_e32 v10, vcc, 0x1000, v2
	s_nop 1
	v_addc_co_u32_e32 v11, vcc, 0, v3, vcc
	s_waitcnt lgkmcnt(3)
	global_store_dwordx2 v[10:11], v[18:19], off
	s_waitcnt lgkmcnt(2)
	global_store_dwordx2 v[10:11], v[30:31], off offset:1024
	s_waitcnt lgkmcnt(1)
	global_store_dwordx2 v[10:11], v[32:33], off offset:2048
	s_mov_b64 s[0:1], -1
	s_cbranch_execz .LBB405_127
	s_branch .LBB405_136
.LBB405_126:
	s_mov_b64 s[0:1], 0
                                        ; implicit-def: $vgpr4_vgpr5
.LBB405_127:
	s_barrier
	s_waitcnt lgkmcnt(0)
	ds_read_b64 v[16:17], v6 offset:1024
	ds_read_b64 v[14:15], v7 offset:2048
	;; [unrolled: 1-line block ×7, first 2 shown]
	s_sub_i32 s2, s8, s6
	v_cmp_gt_u32_e32 vcc, s2, v0
	s_and_saveexec_b64 s[0:1], vcc
	s_cbranch_execnz .LBB405_139
; %bb.128:
	s_or_b64 exec, exec, s[0:1]
	v_cmp_gt_u32_e32 vcc, s2, v25
	s_and_saveexec_b64 s[0:1], vcc
	s_cbranch_execnz .LBB405_140
.LBB405_129:
	s_or_b64 exec, exec, s[0:1]
	v_cmp_gt_u32_e32 vcc, s2, v24
	s_and_saveexec_b64 s[0:1], vcc
	s_cbranch_execnz .LBB405_141
.LBB405_130:
	s_or_b64 exec, exec, s[0:1]
	v_cmp_gt_u32_e32 vcc, s2, v23
	s_and_saveexec_b64 s[0:1], vcc
	s_cbranch_execnz .LBB405_142
.LBB405_131:
	s_or_b64 exec, exec, s[0:1]
	v_cmp_gt_u32_e32 vcc, s2, v22
	s_and_saveexec_b64 s[0:1], vcc
	s_cbranch_execnz .LBB405_143
.LBB405_132:
	s_or_b64 exec, exec, s[0:1]
	v_cmp_gt_u32_e32 vcc, s2, v21
	s_and_saveexec_b64 s[0:1], vcc
	s_cbranch_execnz .LBB405_144
.LBB405_133:
	s_or_b64 exec, exec, s[0:1]
	v_cmp_gt_u32_e32 vcc, s2, v20
	s_and_saveexec_b64 s[0:1], vcc
	s_cbranch_execz .LBB405_135
.LBB405_134:
	s_waitcnt lgkmcnt(2)
	v_add_co_u32_e32 v8, vcc, 0x1000, v2
	s_nop 1
	v_addc_co_u32_e32 v9, vcc, 0, v3, vcc
	s_waitcnt lgkmcnt(1)
	global_store_dwordx2 v[8:9], v[6:7], off offset:2048
.LBB405_135:
	s_or_b64 exec, exec, s[0:1]
	v_cmp_gt_u32_e64 s[0:1], s2, v1
.LBB405_136:
	s_and_saveexec_b64 s[2:3], s[0:1]
	s_cbranch_execz .LBB405_138
; %bb.137:
	v_add_co_u32_e32 v0, vcc, 0x1000, v2
	s_nop 1
	v_addc_co_u32_e32 v1, vcc, 0, v3, vcc
	s_waitcnt lgkmcnt(0)
	global_store_dwordx2 v[0:1], v[4:5], off offset:3072
.LBB405_138:
	s_endpgm
.LBB405_139:
	ds_read_b64 v[18:19], v26
	s_waitcnt lgkmcnt(0)
	global_store_dwordx2 v[2:3], v[18:19], off
	s_or_b64 exec, exec, s[0:1]
	v_cmp_gt_u32_e32 vcc, s2, v25
	s_and_saveexec_b64 s[0:1], vcc
	s_cbranch_execz .LBB405_129
.LBB405_140:
	s_waitcnt lgkmcnt(6)
	global_store_dwordx2 v[2:3], v[16:17], off offset:1024
	s_or_b64 exec, exec, s[0:1]
	v_cmp_gt_u32_e32 vcc, s2, v24
	s_and_saveexec_b64 s[0:1], vcc
	s_cbranch_execz .LBB405_130
.LBB405_141:
	s_waitcnt lgkmcnt(5)
	global_store_dwordx2 v[2:3], v[14:15], off offset:2048
	s_or_b64 exec, exec, s[0:1]
	v_cmp_gt_u32_e32 vcc, s2, v23
	s_and_saveexec_b64 s[0:1], vcc
	s_cbranch_execz .LBB405_131
.LBB405_142:
	s_waitcnt lgkmcnt(4)
	global_store_dwordx2 v[2:3], v[12:13], off offset:3072
	s_or_b64 exec, exec, s[0:1]
	v_cmp_gt_u32_e32 vcc, s2, v22
	s_and_saveexec_b64 s[0:1], vcc
	s_cbranch_execz .LBB405_132
.LBB405_143:
	s_waitcnt lgkmcnt(4)
	v_add_co_u32_e32 v12, vcc, 0x1000, v2
	s_nop 1
	v_addc_co_u32_e32 v13, vcc, 0, v3, vcc
	s_waitcnt lgkmcnt(3)
	global_store_dwordx2 v[12:13], v[10:11], off
	s_or_b64 exec, exec, s[0:1]
	v_cmp_gt_u32_e32 vcc, s2, v21
	s_and_saveexec_b64 s[0:1], vcc
	s_cbranch_execz .LBB405_133
.LBB405_144:
	s_waitcnt lgkmcnt(3)
	v_add_co_u32_e32 v10, vcc, 0x1000, v2
	s_nop 1
	v_addc_co_u32_e32 v11, vcc, 0, v3, vcc
	s_waitcnt lgkmcnt(2)
	global_store_dwordx2 v[10:11], v[8:9], off offset:1024
	s_or_b64 exec, exec, s[0:1]
	v_cmp_gt_u32_e32 vcc, s2, v20
	s_and_saveexec_b64 s[0:1], vcc
	s_cbranch_execnz .LBB405_134
	s_branch .LBB405_135
	.section	.rodata,"a",@progbits
	.p2align	6, 0x0
	.amdhsa_kernel _ZN7rocprim17ROCPRIM_400000_NS6detail17trampoline_kernelINS0_14default_configENS1_38merge_sort_block_merge_config_selectorIlNS0_10empty_typeEEEZZNS1_27merge_sort_block_merge_implIS3_PlPS5_mZN2at6native12_GLOBAL__N_124unique_dim_cuda_templateIiEESt5tupleIJNSA_6TensorESF_SF_EERKSF_lbbbEUlllE_EE10hipError_tT0_T1_T2_jT3_P12ihipStream_tbPNSt15iterator_traitsISL_E10value_typeEPNSR_ISM_E10value_typeEPSN_NS1_7vsmem_tEENKUlT_SL_SM_SN_E_clIS8_S8_S9_S9_EESK_S10_SL_SM_SN_EUlS10_E0_NS1_11comp_targetILNS1_3genE5ELNS1_11target_archE942ELNS1_3gpuE9ELNS1_3repE0EEENS1_38merge_mergepath_config_static_selectorELNS0_4arch9wavefront6targetE1EEEvSM_
		.amdhsa_group_segment_fixed_size 8448
		.amdhsa_private_segment_fixed_size 0
		.amdhsa_kernarg_size 344
		.amdhsa_user_sgpr_count 2
		.amdhsa_user_sgpr_dispatch_ptr 0
		.amdhsa_user_sgpr_queue_ptr 0
		.amdhsa_user_sgpr_kernarg_segment_ptr 1
		.amdhsa_user_sgpr_dispatch_id 0
		.amdhsa_user_sgpr_kernarg_preload_length 0
		.amdhsa_user_sgpr_kernarg_preload_offset 0
		.amdhsa_user_sgpr_private_segment_size 0
		.amdhsa_uses_dynamic_stack 0
		.amdhsa_enable_private_segment 0
		.amdhsa_system_sgpr_workgroup_id_x 1
		.amdhsa_system_sgpr_workgroup_id_y 1
		.amdhsa_system_sgpr_workgroup_id_z 1
		.amdhsa_system_sgpr_workgroup_info 0
		.amdhsa_system_vgpr_workitem_id 0
		.amdhsa_next_free_vgpr 40
		.amdhsa_next_free_sgpr 54
		.amdhsa_accum_offset 40
		.amdhsa_reserve_vcc 1
		.amdhsa_float_round_mode_32 0
		.amdhsa_float_round_mode_16_64 0
		.amdhsa_float_denorm_mode_32 3
		.amdhsa_float_denorm_mode_16_64 3
		.amdhsa_dx10_clamp 1
		.amdhsa_ieee_mode 1
		.amdhsa_fp16_overflow 0
		.amdhsa_tg_split 0
		.amdhsa_exception_fp_ieee_invalid_op 0
		.amdhsa_exception_fp_denorm_src 0
		.amdhsa_exception_fp_ieee_div_zero 0
		.amdhsa_exception_fp_ieee_overflow 0
		.amdhsa_exception_fp_ieee_underflow 0
		.amdhsa_exception_fp_ieee_inexact 0
		.amdhsa_exception_int_div_zero 0
	.end_amdhsa_kernel
	.section	.text._ZN7rocprim17ROCPRIM_400000_NS6detail17trampoline_kernelINS0_14default_configENS1_38merge_sort_block_merge_config_selectorIlNS0_10empty_typeEEEZZNS1_27merge_sort_block_merge_implIS3_PlPS5_mZN2at6native12_GLOBAL__N_124unique_dim_cuda_templateIiEESt5tupleIJNSA_6TensorESF_SF_EERKSF_lbbbEUlllE_EE10hipError_tT0_T1_T2_jT3_P12ihipStream_tbPNSt15iterator_traitsISL_E10value_typeEPNSR_ISM_E10value_typeEPSN_NS1_7vsmem_tEENKUlT_SL_SM_SN_E_clIS8_S8_S9_S9_EESK_S10_SL_SM_SN_EUlS10_E0_NS1_11comp_targetILNS1_3genE5ELNS1_11target_archE942ELNS1_3gpuE9ELNS1_3repE0EEENS1_38merge_mergepath_config_static_selectorELNS0_4arch9wavefront6targetE1EEEvSM_,"axG",@progbits,_ZN7rocprim17ROCPRIM_400000_NS6detail17trampoline_kernelINS0_14default_configENS1_38merge_sort_block_merge_config_selectorIlNS0_10empty_typeEEEZZNS1_27merge_sort_block_merge_implIS3_PlPS5_mZN2at6native12_GLOBAL__N_124unique_dim_cuda_templateIiEESt5tupleIJNSA_6TensorESF_SF_EERKSF_lbbbEUlllE_EE10hipError_tT0_T1_T2_jT3_P12ihipStream_tbPNSt15iterator_traitsISL_E10value_typeEPNSR_ISM_E10value_typeEPSN_NS1_7vsmem_tEENKUlT_SL_SM_SN_E_clIS8_S8_S9_S9_EESK_S10_SL_SM_SN_EUlS10_E0_NS1_11comp_targetILNS1_3genE5ELNS1_11target_archE942ELNS1_3gpuE9ELNS1_3repE0EEENS1_38merge_mergepath_config_static_selectorELNS0_4arch9wavefront6targetE1EEEvSM_,comdat
.Lfunc_end405:
	.size	_ZN7rocprim17ROCPRIM_400000_NS6detail17trampoline_kernelINS0_14default_configENS1_38merge_sort_block_merge_config_selectorIlNS0_10empty_typeEEEZZNS1_27merge_sort_block_merge_implIS3_PlPS5_mZN2at6native12_GLOBAL__N_124unique_dim_cuda_templateIiEESt5tupleIJNSA_6TensorESF_SF_EERKSF_lbbbEUlllE_EE10hipError_tT0_T1_T2_jT3_P12ihipStream_tbPNSt15iterator_traitsISL_E10value_typeEPNSR_ISM_E10value_typeEPSN_NS1_7vsmem_tEENKUlT_SL_SM_SN_E_clIS8_S8_S9_S9_EESK_S10_SL_SM_SN_EUlS10_E0_NS1_11comp_targetILNS1_3genE5ELNS1_11target_archE942ELNS1_3gpuE9ELNS1_3repE0EEENS1_38merge_mergepath_config_static_selectorELNS0_4arch9wavefront6targetE1EEEvSM_, .Lfunc_end405-_ZN7rocprim17ROCPRIM_400000_NS6detail17trampoline_kernelINS0_14default_configENS1_38merge_sort_block_merge_config_selectorIlNS0_10empty_typeEEEZZNS1_27merge_sort_block_merge_implIS3_PlPS5_mZN2at6native12_GLOBAL__N_124unique_dim_cuda_templateIiEESt5tupleIJNSA_6TensorESF_SF_EERKSF_lbbbEUlllE_EE10hipError_tT0_T1_T2_jT3_P12ihipStream_tbPNSt15iterator_traitsISL_E10value_typeEPNSR_ISM_E10value_typeEPSN_NS1_7vsmem_tEENKUlT_SL_SM_SN_E_clIS8_S8_S9_S9_EESK_S10_SL_SM_SN_EUlS10_E0_NS1_11comp_targetILNS1_3genE5ELNS1_11target_archE942ELNS1_3gpuE9ELNS1_3repE0EEENS1_38merge_mergepath_config_static_selectorELNS0_4arch9wavefront6targetE1EEEvSM_
                                        ; -- End function
	.section	.AMDGPU.csdata,"",@progbits
; Kernel info:
; codeLenInByte = 6584
; NumSgprs: 60
; NumVgprs: 40
; NumAgprs: 0
; TotalNumVgprs: 40
; ScratchSize: 0
; MemoryBound: 0
; FloatMode: 240
; IeeeMode: 1
; LDSByteSize: 8448 bytes/workgroup (compile time only)
; SGPRBlocks: 7
; VGPRBlocks: 4
; NumSGPRsForWavesPerEU: 60
; NumVGPRsForWavesPerEU: 40
; AccumOffset: 40
; Occupancy: 4
; WaveLimiterHint : 1
; COMPUTE_PGM_RSRC2:SCRATCH_EN: 0
; COMPUTE_PGM_RSRC2:USER_SGPR: 2
; COMPUTE_PGM_RSRC2:TRAP_HANDLER: 0
; COMPUTE_PGM_RSRC2:TGID_X_EN: 1
; COMPUTE_PGM_RSRC2:TGID_Y_EN: 1
; COMPUTE_PGM_RSRC2:TGID_Z_EN: 1
; COMPUTE_PGM_RSRC2:TIDIG_COMP_CNT: 0
; COMPUTE_PGM_RSRC3_GFX90A:ACCUM_OFFSET: 9
; COMPUTE_PGM_RSRC3_GFX90A:TG_SPLIT: 0
	.section	.text._ZN7rocprim17ROCPRIM_400000_NS6detail17trampoline_kernelINS0_14default_configENS1_38merge_sort_block_merge_config_selectorIlNS0_10empty_typeEEEZZNS1_27merge_sort_block_merge_implIS3_PlPS5_mZN2at6native12_GLOBAL__N_124unique_dim_cuda_templateIiEESt5tupleIJNSA_6TensorESF_SF_EERKSF_lbbbEUlllE_EE10hipError_tT0_T1_T2_jT3_P12ihipStream_tbPNSt15iterator_traitsISL_E10value_typeEPNSR_ISM_E10value_typeEPSN_NS1_7vsmem_tEENKUlT_SL_SM_SN_E_clIS8_S8_S9_S9_EESK_S10_SL_SM_SN_EUlS10_E0_NS1_11comp_targetILNS1_3genE4ELNS1_11target_archE910ELNS1_3gpuE8ELNS1_3repE0EEENS1_38merge_mergepath_config_static_selectorELNS0_4arch9wavefront6targetE1EEEvSM_,"axG",@progbits,_ZN7rocprim17ROCPRIM_400000_NS6detail17trampoline_kernelINS0_14default_configENS1_38merge_sort_block_merge_config_selectorIlNS0_10empty_typeEEEZZNS1_27merge_sort_block_merge_implIS3_PlPS5_mZN2at6native12_GLOBAL__N_124unique_dim_cuda_templateIiEESt5tupleIJNSA_6TensorESF_SF_EERKSF_lbbbEUlllE_EE10hipError_tT0_T1_T2_jT3_P12ihipStream_tbPNSt15iterator_traitsISL_E10value_typeEPNSR_ISM_E10value_typeEPSN_NS1_7vsmem_tEENKUlT_SL_SM_SN_E_clIS8_S8_S9_S9_EESK_S10_SL_SM_SN_EUlS10_E0_NS1_11comp_targetILNS1_3genE4ELNS1_11target_archE910ELNS1_3gpuE8ELNS1_3repE0EEENS1_38merge_mergepath_config_static_selectorELNS0_4arch9wavefront6targetE1EEEvSM_,comdat
	.globl	_ZN7rocprim17ROCPRIM_400000_NS6detail17trampoline_kernelINS0_14default_configENS1_38merge_sort_block_merge_config_selectorIlNS0_10empty_typeEEEZZNS1_27merge_sort_block_merge_implIS3_PlPS5_mZN2at6native12_GLOBAL__N_124unique_dim_cuda_templateIiEESt5tupleIJNSA_6TensorESF_SF_EERKSF_lbbbEUlllE_EE10hipError_tT0_T1_T2_jT3_P12ihipStream_tbPNSt15iterator_traitsISL_E10value_typeEPNSR_ISM_E10value_typeEPSN_NS1_7vsmem_tEENKUlT_SL_SM_SN_E_clIS8_S8_S9_S9_EESK_S10_SL_SM_SN_EUlS10_E0_NS1_11comp_targetILNS1_3genE4ELNS1_11target_archE910ELNS1_3gpuE8ELNS1_3repE0EEENS1_38merge_mergepath_config_static_selectorELNS0_4arch9wavefront6targetE1EEEvSM_ ; -- Begin function _ZN7rocprim17ROCPRIM_400000_NS6detail17trampoline_kernelINS0_14default_configENS1_38merge_sort_block_merge_config_selectorIlNS0_10empty_typeEEEZZNS1_27merge_sort_block_merge_implIS3_PlPS5_mZN2at6native12_GLOBAL__N_124unique_dim_cuda_templateIiEESt5tupleIJNSA_6TensorESF_SF_EERKSF_lbbbEUlllE_EE10hipError_tT0_T1_T2_jT3_P12ihipStream_tbPNSt15iterator_traitsISL_E10value_typeEPNSR_ISM_E10value_typeEPSN_NS1_7vsmem_tEENKUlT_SL_SM_SN_E_clIS8_S8_S9_S9_EESK_S10_SL_SM_SN_EUlS10_E0_NS1_11comp_targetILNS1_3genE4ELNS1_11target_archE910ELNS1_3gpuE8ELNS1_3repE0EEENS1_38merge_mergepath_config_static_selectorELNS0_4arch9wavefront6targetE1EEEvSM_
	.p2align	8
	.type	_ZN7rocprim17ROCPRIM_400000_NS6detail17trampoline_kernelINS0_14default_configENS1_38merge_sort_block_merge_config_selectorIlNS0_10empty_typeEEEZZNS1_27merge_sort_block_merge_implIS3_PlPS5_mZN2at6native12_GLOBAL__N_124unique_dim_cuda_templateIiEESt5tupleIJNSA_6TensorESF_SF_EERKSF_lbbbEUlllE_EE10hipError_tT0_T1_T2_jT3_P12ihipStream_tbPNSt15iterator_traitsISL_E10value_typeEPNSR_ISM_E10value_typeEPSN_NS1_7vsmem_tEENKUlT_SL_SM_SN_E_clIS8_S8_S9_S9_EESK_S10_SL_SM_SN_EUlS10_E0_NS1_11comp_targetILNS1_3genE4ELNS1_11target_archE910ELNS1_3gpuE8ELNS1_3repE0EEENS1_38merge_mergepath_config_static_selectorELNS0_4arch9wavefront6targetE1EEEvSM_,@function
_ZN7rocprim17ROCPRIM_400000_NS6detail17trampoline_kernelINS0_14default_configENS1_38merge_sort_block_merge_config_selectorIlNS0_10empty_typeEEEZZNS1_27merge_sort_block_merge_implIS3_PlPS5_mZN2at6native12_GLOBAL__N_124unique_dim_cuda_templateIiEESt5tupleIJNSA_6TensorESF_SF_EERKSF_lbbbEUlllE_EE10hipError_tT0_T1_T2_jT3_P12ihipStream_tbPNSt15iterator_traitsISL_E10value_typeEPNSR_ISM_E10value_typeEPSN_NS1_7vsmem_tEENKUlT_SL_SM_SN_E_clIS8_S8_S9_S9_EESK_S10_SL_SM_SN_EUlS10_E0_NS1_11comp_targetILNS1_3genE4ELNS1_11target_archE910ELNS1_3gpuE8ELNS1_3repE0EEENS1_38merge_mergepath_config_static_selectorELNS0_4arch9wavefront6targetE1EEEvSM_: ; @_ZN7rocprim17ROCPRIM_400000_NS6detail17trampoline_kernelINS0_14default_configENS1_38merge_sort_block_merge_config_selectorIlNS0_10empty_typeEEEZZNS1_27merge_sort_block_merge_implIS3_PlPS5_mZN2at6native12_GLOBAL__N_124unique_dim_cuda_templateIiEESt5tupleIJNSA_6TensorESF_SF_EERKSF_lbbbEUlllE_EE10hipError_tT0_T1_T2_jT3_P12ihipStream_tbPNSt15iterator_traitsISL_E10value_typeEPNSR_ISM_E10value_typeEPSN_NS1_7vsmem_tEENKUlT_SL_SM_SN_E_clIS8_S8_S9_S9_EESK_S10_SL_SM_SN_EUlS10_E0_NS1_11comp_targetILNS1_3genE4ELNS1_11target_archE910ELNS1_3gpuE8ELNS1_3repE0EEENS1_38merge_mergepath_config_static_selectorELNS0_4arch9wavefront6targetE1EEEvSM_
; %bb.0:
	.section	.rodata,"a",@progbits
	.p2align	6, 0x0
	.amdhsa_kernel _ZN7rocprim17ROCPRIM_400000_NS6detail17trampoline_kernelINS0_14default_configENS1_38merge_sort_block_merge_config_selectorIlNS0_10empty_typeEEEZZNS1_27merge_sort_block_merge_implIS3_PlPS5_mZN2at6native12_GLOBAL__N_124unique_dim_cuda_templateIiEESt5tupleIJNSA_6TensorESF_SF_EERKSF_lbbbEUlllE_EE10hipError_tT0_T1_T2_jT3_P12ihipStream_tbPNSt15iterator_traitsISL_E10value_typeEPNSR_ISM_E10value_typeEPSN_NS1_7vsmem_tEENKUlT_SL_SM_SN_E_clIS8_S8_S9_S9_EESK_S10_SL_SM_SN_EUlS10_E0_NS1_11comp_targetILNS1_3genE4ELNS1_11target_archE910ELNS1_3gpuE8ELNS1_3repE0EEENS1_38merge_mergepath_config_static_selectorELNS0_4arch9wavefront6targetE1EEEvSM_
		.amdhsa_group_segment_fixed_size 0
		.amdhsa_private_segment_fixed_size 0
		.amdhsa_kernarg_size 88
		.amdhsa_user_sgpr_count 2
		.amdhsa_user_sgpr_dispatch_ptr 0
		.amdhsa_user_sgpr_queue_ptr 0
		.amdhsa_user_sgpr_kernarg_segment_ptr 1
		.amdhsa_user_sgpr_dispatch_id 0
		.amdhsa_user_sgpr_kernarg_preload_length 0
		.amdhsa_user_sgpr_kernarg_preload_offset 0
		.amdhsa_user_sgpr_private_segment_size 0
		.amdhsa_uses_dynamic_stack 0
		.amdhsa_enable_private_segment 0
		.amdhsa_system_sgpr_workgroup_id_x 1
		.amdhsa_system_sgpr_workgroup_id_y 0
		.amdhsa_system_sgpr_workgroup_id_z 0
		.amdhsa_system_sgpr_workgroup_info 0
		.amdhsa_system_vgpr_workitem_id 0
		.amdhsa_next_free_vgpr 1
		.amdhsa_next_free_sgpr 0
		.amdhsa_accum_offset 4
		.amdhsa_reserve_vcc 0
		.amdhsa_float_round_mode_32 0
		.amdhsa_float_round_mode_16_64 0
		.amdhsa_float_denorm_mode_32 3
		.amdhsa_float_denorm_mode_16_64 3
		.amdhsa_dx10_clamp 1
		.amdhsa_ieee_mode 1
		.amdhsa_fp16_overflow 0
		.amdhsa_tg_split 0
		.amdhsa_exception_fp_ieee_invalid_op 0
		.amdhsa_exception_fp_denorm_src 0
		.amdhsa_exception_fp_ieee_div_zero 0
		.amdhsa_exception_fp_ieee_overflow 0
		.amdhsa_exception_fp_ieee_underflow 0
		.amdhsa_exception_fp_ieee_inexact 0
		.amdhsa_exception_int_div_zero 0
	.end_amdhsa_kernel
	.section	.text._ZN7rocprim17ROCPRIM_400000_NS6detail17trampoline_kernelINS0_14default_configENS1_38merge_sort_block_merge_config_selectorIlNS0_10empty_typeEEEZZNS1_27merge_sort_block_merge_implIS3_PlPS5_mZN2at6native12_GLOBAL__N_124unique_dim_cuda_templateIiEESt5tupleIJNSA_6TensorESF_SF_EERKSF_lbbbEUlllE_EE10hipError_tT0_T1_T2_jT3_P12ihipStream_tbPNSt15iterator_traitsISL_E10value_typeEPNSR_ISM_E10value_typeEPSN_NS1_7vsmem_tEENKUlT_SL_SM_SN_E_clIS8_S8_S9_S9_EESK_S10_SL_SM_SN_EUlS10_E0_NS1_11comp_targetILNS1_3genE4ELNS1_11target_archE910ELNS1_3gpuE8ELNS1_3repE0EEENS1_38merge_mergepath_config_static_selectorELNS0_4arch9wavefront6targetE1EEEvSM_,"axG",@progbits,_ZN7rocprim17ROCPRIM_400000_NS6detail17trampoline_kernelINS0_14default_configENS1_38merge_sort_block_merge_config_selectorIlNS0_10empty_typeEEEZZNS1_27merge_sort_block_merge_implIS3_PlPS5_mZN2at6native12_GLOBAL__N_124unique_dim_cuda_templateIiEESt5tupleIJNSA_6TensorESF_SF_EERKSF_lbbbEUlllE_EE10hipError_tT0_T1_T2_jT3_P12ihipStream_tbPNSt15iterator_traitsISL_E10value_typeEPNSR_ISM_E10value_typeEPSN_NS1_7vsmem_tEENKUlT_SL_SM_SN_E_clIS8_S8_S9_S9_EESK_S10_SL_SM_SN_EUlS10_E0_NS1_11comp_targetILNS1_3genE4ELNS1_11target_archE910ELNS1_3gpuE8ELNS1_3repE0EEENS1_38merge_mergepath_config_static_selectorELNS0_4arch9wavefront6targetE1EEEvSM_,comdat
.Lfunc_end406:
	.size	_ZN7rocprim17ROCPRIM_400000_NS6detail17trampoline_kernelINS0_14default_configENS1_38merge_sort_block_merge_config_selectorIlNS0_10empty_typeEEEZZNS1_27merge_sort_block_merge_implIS3_PlPS5_mZN2at6native12_GLOBAL__N_124unique_dim_cuda_templateIiEESt5tupleIJNSA_6TensorESF_SF_EERKSF_lbbbEUlllE_EE10hipError_tT0_T1_T2_jT3_P12ihipStream_tbPNSt15iterator_traitsISL_E10value_typeEPNSR_ISM_E10value_typeEPSN_NS1_7vsmem_tEENKUlT_SL_SM_SN_E_clIS8_S8_S9_S9_EESK_S10_SL_SM_SN_EUlS10_E0_NS1_11comp_targetILNS1_3genE4ELNS1_11target_archE910ELNS1_3gpuE8ELNS1_3repE0EEENS1_38merge_mergepath_config_static_selectorELNS0_4arch9wavefront6targetE1EEEvSM_, .Lfunc_end406-_ZN7rocprim17ROCPRIM_400000_NS6detail17trampoline_kernelINS0_14default_configENS1_38merge_sort_block_merge_config_selectorIlNS0_10empty_typeEEEZZNS1_27merge_sort_block_merge_implIS3_PlPS5_mZN2at6native12_GLOBAL__N_124unique_dim_cuda_templateIiEESt5tupleIJNSA_6TensorESF_SF_EERKSF_lbbbEUlllE_EE10hipError_tT0_T1_T2_jT3_P12ihipStream_tbPNSt15iterator_traitsISL_E10value_typeEPNSR_ISM_E10value_typeEPSN_NS1_7vsmem_tEENKUlT_SL_SM_SN_E_clIS8_S8_S9_S9_EESK_S10_SL_SM_SN_EUlS10_E0_NS1_11comp_targetILNS1_3genE4ELNS1_11target_archE910ELNS1_3gpuE8ELNS1_3repE0EEENS1_38merge_mergepath_config_static_selectorELNS0_4arch9wavefront6targetE1EEEvSM_
                                        ; -- End function
	.section	.AMDGPU.csdata,"",@progbits
; Kernel info:
; codeLenInByte = 0
; NumSgprs: 6
; NumVgprs: 0
; NumAgprs: 0
; TotalNumVgprs: 0
; ScratchSize: 0
; MemoryBound: 0
; FloatMode: 240
; IeeeMode: 1
; LDSByteSize: 0 bytes/workgroup (compile time only)
; SGPRBlocks: 0
; VGPRBlocks: 0
; NumSGPRsForWavesPerEU: 6
; NumVGPRsForWavesPerEU: 1
; AccumOffset: 4
; Occupancy: 8
; WaveLimiterHint : 0
; COMPUTE_PGM_RSRC2:SCRATCH_EN: 0
; COMPUTE_PGM_RSRC2:USER_SGPR: 2
; COMPUTE_PGM_RSRC2:TRAP_HANDLER: 0
; COMPUTE_PGM_RSRC2:TGID_X_EN: 1
; COMPUTE_PGM_RSRC2:TGID_Y_EN: 0
; COMPUTE_PGM_RSRC2:TGID_Z_EN: 0
; COMPUTE_PGM_RSRC2:TIDIG_COMP_CNT: 0
; COMPUTE_PGM_RSRC3_GFX90A:ACCUM_OFFSET: 0
; COMPUTE_PGM_RSRC3_GFX90A:TG_SPLIT: 0
	.section	.text._ZN7rocprim17ROCPRIM_400000_NS6detail17trampoline_kernelINS0_14default_configENS1_38merge_sort_block_merge_config_selectorIlNS0_10empty_typeEEEZZNS1_27merge_sort_block_merge_implIS3_PlPS5_mZN2at6native12_GLOBAL__N_124unique_dim_cuda_templateIiEESt5tupleIJNSA_6TensorESF_SF_EERKSF_lbbbEUlllE_EE10hipError_tT0_T1_T2_jT3_P12ihipStream_tbPNSt15iterator_traitsISL_E10value_typeEPNSR_ISM_E10value_typeEPSN_NS1_7vsmem_tEENKUlT_SL_SM_SN_E_clIS8_S8_S9_S9_EESK_S10_SL_SM_SN_EUlS10_E0_NS1_11comp_targetILNS1_3genE3ELNS1_11target_archE908ELNS1_3gpuE7ELNS1_3repE0EEENS1_38merge_mergepath_config_static_selectorELNS0_4arch9wavefront6targetE1EEEvSM_,"axG",@progbits,_ZN7rocprim17ROCPRIM_400000_NS6detail17trampoline_kernelINS0_14default_configENS1_38merge_sort_block_merge_config_selectorIlNS0_10empty_typeEEEZZNS1_27merge_sort_block_merge_implIS3_PlPS5_mZN2at6native12_GLOBAL__N_124unique_dim_cuda_templateIiEESt5tupleIJNSA_6TensorESF_SF_EERKSF_lbbbEUlllE_EE10hipError_tT0_T1_T2_jT3_P12ihipStream_tbPNSt15iterator_traitsISL_E10value_typeEPNSR_ISM_E10value_typeEPSN_NS1_7vsmem_tEENKUlT_SL_SM_SN_E_clIS8_S8_S9_S9_EESK_S10_SL_SM_SN_EUlS10_E0_NS1_11comp_targetILNS1_3genE3ELNS1_11target_archE908ELNS1_3gpuE7ELNS1_3repE0EEENS1_38merge_mergepath_config_static_selectorELNS0_4arch9wavefront6targetE1EEEvSM_,comdat
	.globl	_ZN7rocprim17ROCPRIM_400000_NS6detail17trampoline_kernelINS0_14default_configENS1_38merge_sort_block_merge_config_selectorIlNS0_10empty_typeEEEZZNS1_27merge_sort_block_merge_implIS3_PlPS5_mZN2at6native12_GLOBAL__N_124unique_dim_cuda_templateIiEESt5tupleIJNSA_6TensorESF_SF_EERKSF_lbbbEUlllE_EE10hipError_tT0_T1_T2_jT3_P12ihipStream_tbPNSt15iterator_traitsISL_E10value_typeEPNSR_ISM_E10value_typeEPSN_NS1_7vsmem_tEENKUlT_SL_SM_SN_E_clIS8_S8_S9_S9_EESK_S10_SL_SM_SN_EUlS10_E0_NS1_11comp_targetILNS1_3genE3ELNS1_11target_archE908ELNS1_3gpuE7ELNS1_3repE0EEENS1_38merge_mergepath_config_static_selectorELNS0_4arch9wavefront6targetE1EEEvSM_ ; -- Begin function _ZN7rocprim17ROCPRIM_400000_NS6detail17trampoline_kernelINS0_14default_configENS1_38merge_sort_block_merge_config_selectorIlNS0_10empty_typeEEEZZNS1_27merge_sort_block_merge_implIS3_PlPS5_mZN2at6native12_GLOBAL__N_124unique_dim_cuda_templateIiEESt5tupleIJNSA_6TensorESF_SF_EERKSF_lbbbEUlllE_EE10hipError_tT0_T1_T2_jT3_P12ihipStream_tbPNSt15iterator_traitsISL_E10value_typeEPNSR_ISM_E10value_typeEPSN_NS1_7vsmem_tEENKUlT_SL_SM_SN_E_clIS8_S8_S9_S9_EESK_S10_SL_SM_SN_EUlS10_E0_NS1_11comp_targetILNS1_3genE3ELNS1_11target_archE908ELNS1_3gpuE7ELNS1_3repE0EEENS1_38merge_mergepath_config_static_selectorELNS0_4arch9wavefront6targetE1EEEvSM_
	.p2align	8
	.type	_ZN7rocprim17ROCPRIM_400000_NS6detail17trampoline_kernelINS0_14default_configENS1_38merge_sort_block_merge_config_selectorIlNS0_10empty_typeEEEZZNS1_27merge_sort_block_merge_implIS3_PlPS5_mZN2at6native12_GLOBAL__N_124unique_dim_cuda_templateIiEESt5tupleIJNSA_6TensorESF_SF_EERKSF_lbbbEUlllE_EE10hipError_tT0_T1_T2_jT3_P12ihipStream_tbPNSt15iterator_traitsISL_E10value_typeEPNSR_ISM_E10value_typeEPSN_NS1_7vsmem_tEENKUlT_SL_SM_SN_E_clIS8_S8_S9_S9_EESK_S10_SL_SM_SN_EUlS10_E0_NS1_11comp_targetILNS1_3genE3ELNS1_11target_archE908ELNS1_3gpuE7ELNS1_3repE0EEENS1_38merge_mergepath_config_static_selectorELNS0_4arch9wavefront6targetE1EEEvSM_,@function
_ZN7rocprim17ROCPRIM_400000_NS6detail17trampoline_kernelINS0_14default_configENS1_38merge_sort_block_merge_config_selectorIlNS0_10empty_typeEEEZZNS1_27merge_sort_block_merge_implIS3_PlPS5_mZN2at6native12_GLOBAL__N_124unique_dim_cuda_templateIiEESt5tupleIJNSA_6TensorESF_SF_EERKSF_lbbbEUlllE_EE10hipError_tT0_T1_T2_jT3_P12ihipStream_tbPNSt15iterator_traitsISL_E10value_typeEPNSR_ISM_E10value_typeEPSN_NS1_7vsmem_tEENKUlT_SL_SM_SN_E_clIS8_S8_S9_S9_EESK_S10_SL_SM_SN_EUlS10_E0_NS1_11comp_targetILNS1_3genE3ELNS1_11target_archE908ELNS1_3gpuE7ELNS1_3repE0EEENS1_38merge_mergepath_config_static_selectorELNS0_4arch9wavefront6targetE1EEEvSM_: ; @_ZN7rocprim17ROCPRIM_400000_NS6detail17trampoline_kernelINS0_14default_configENS1_38merge_sort_block_merge_config_selectorIlNS0_10empty_typeEEEZZNS1_27merge_sort_block_merge_implIS3_PlPS5_mZN2at6native12_GLOBAL__N_124unique_dim_cuda_templateIiEESt5tupleIJNSA_6TensorESF_SF_EERKSF_lbbbEUlllE_EE10hipError_tT0_T1_T2_jT3_P12ihipStream_tbPNSt15iterator_traitsISL_E10value_typeEPNSR_ISM_E10value_typeEPSN_NS1_7vsmem_tEENKUlT_SL_SM_SN_E_clIS8_S8_S9_S9_EESK_S10_SL_SM_SN_EUlS10_E0_NS1_11comp_targetILNS1_3genE3ELNS1_11target_archE908ELNS1_3gpuE7ELNS1_3repE0EEENS1_38merge_mergepath_config_static_selectorELNS0_4arch9wavefront6targetE1EEEvSM_
; %bb.0:
	.section	.rodata,"a",@progbits
	.p2align	6, 0x0
	.amdhsa_kernel _ZN7rocprim17ROCPRIM_400000_NS6detail17trampoline_kernelINS0_14default_configENS1_38merge_sort_block_merge_config_selectorIlNS0_10empty_typeEEEZZNS1_27merge_sort_block_merge_implIS3_PlPS5_mZN2at6native12_GLOBAL__N_124unique_dim_cuda_templateIiEESt5tupleIJNSA_6TensorESF_SF_EERKSF_lbbbEUlllE_EE10hipError_tT0_T1_T2_jT3_P12ihipStream_tbPNSt15iterator_traitsISL_E10value_typeEPNSR_ISM_E10value_typeEPSN_NS1_7vsmem_tEENKUlT_SL_SM_SN_E_clIS8_S8_S9_S9_EESK_S10_SL_SM_SN_EUlS10_E0_NS1_11comp_targetILNS1_3genE3ELNS1_11target_archE908ELNS1_3gpuE7ELNS1_3repE0EEENS1_38merge_mergepath_config_static_selectorELNS0_4arch9wavefront6targetE1EEEvSM_
		.amdhsa_group_segment_fixed_size 0
		.amdhsa_private_segment_fixed_size 0
		.amdhsa_kernarg_size 88
		.amdhsa_user_sgpr_count 2
		.amdhsa_user_sgpr_dispatch_ptr 0
		.amdhsa_user_sgpr_queue_ptr 0
		.amdhsa_user_sgpr_kernarg_segment_ptr 1
		.amdhsa_user_sgpr_dispatch_id 0
		.amdhsa_user_sgpr_kernarg_preload_length 0
		.amdhsa_user_sgpr_kernarg_preload_offset 0
		.amdhsa_user_sgpr_private_segment_size 0
		.amdhsa_uses_dynamic_stack 0
		.amdhsa_enable_private_segment 0
		.amdhsa_system_sgpr_workgroup_id_x 1
		.amdhsa_system_sgpr_workgroup_id_y 0
		.amdhsa_system_sgpr_workgroup_id_z 0
		.amdhsa_system_sgpr_workgroup_info 0
		.amdhsa_system_vgpr_workitem_id 0
		.amdhsa_next_free_vgpr 1
		.amdhsa_next_free_sgpr 0
		.amdhsa_accum_offset 4
		.amdhsa_reserve_vcc 0
		.amdhsa_float_round_mode_32 0
		.amdhsa_float_round_mode_16_64 0
		.amdhsa_float_denorm_mode_32 3
		.amdhsa_float_denorm_mode_16_64 3
		.amdhsa_dx10_clamp 1
		.amdhsa_ieee_mode 1
		.amdhsa_fp16_overflow 0
		.amdhsa_tg_split 0
		.amdhsa_exception_fp_ieee_invalid_op 0
		.amdhsa_exception_fp_denorm_src 0
		.amdhsa_exception_fp_ieee_div_zero 0
		.amdhsa_exception_fp_ieee_overflow 0
		.amdhsa_exception_fp_ieee_underflow 0
		.amdhsa_exception_fp_ieee_inexact 0
		.amdhsa_exception_int_div_zero 0
	.end_amdhsa_kernel
	.section	.text._ZN7rocprim17ROCPRIM_400000_NS6detail17trampoline_kernelINS0_14default_configENS1_38merge_sort_block_merge_config_selectorIlNS0_10empty_typeEEEZZNS1_27merge_sort_block_merge_implIS3_PlPS5_mZN2at6native12_GLOBAL__N_124unique_dim_cuda_templateIiEESt5tupleIJNSA_6TensorESF_SF_EERKSF_lbbbEUlllE_EE10hipError_tT0_T1_T2_jT3_P12ihipStream_tbPNSt15iterator_traitsISL_E10value_typeEPNSR_ISM_E10value_typeEPSN_NS1_7vsmem_tEENKUlT_SL_SM_SN_E_clIS8_S8_S9_S9_EESK_S10_SL_SM_SN_EUlS10_E0_NS1_11comp_targetILNS1_3genE3ELNS1_11target_archE908ELNS1_3gpuE7ELNS1_3repE0EEENS1_38merge_mergepath_config_static_selectorELNS0_4arch9wavefront6targetE1EEEvSM_,"axG",@progbits,_ZN7rocprim17ROCPRIM_400000_NS6detail17trampoline_kernelINS0_14default_configENS1_38merge_sort_block_merge_config_selectorIlNS0_10empty_typeEEEZZNS1_27merge_sort_block_merge_implIS3_PlPS5_mZN2at6native12_GLOBAL__N_124unique_dim_cuda_templateIiEESt5tupleIJNSA_6TensorESF_SF_EERKSF_lbbbEUlllE_EE10hipError_tT0_T1_T2_jT3_P12ihipStream_tbPNSt15iterator_traitsISL_E10value_typeEPNSR_ISM_E10value_typeEPSN_NS1_7vsmem_tEENKUlT_SL_SM_SN_E_clIS8_S8_S9_S9_EESK_S10_SL_SM_SN_EUlS10_E0_NS1_11comp_targetILNS1_3genE3ELNS1_11target_archE908ELNS1_3gpuE7ELNS1_3repE0EEENS1_38merge_mergepath_config_static_selectorELNS0_4arch9wavefront6targetE1EEEvSM_,comdat
.Lfunc_end407:
	.size	_ZN7rocprim17ROCPRIM_400000_NS6detail17trampoline_kernelINS0_14default_configENS1_38merge_sort_block_merge_config_selectorIlNS0_10empty_typeEEEZZNS1_27merge_sort_block_merge_implIS3_PlPS5_mZN2at6native12_GLOBAL__N_124unique_dim_cuda_templateIiEESt5tupleIJNSA_6TensorESF_SF_EERKSF_lbbbEUlllE_EE10hipError_tT0_T1_T2_jT3_P12ihipStream_tbPNSt15iterator_traitsISL_E10value_typeEPNSR_ISM_E10value_typeEPSN_NS1_7vsmem_tEENKUlT_SL_SM_SN_E_clIS8_S8_S9_S9_EESK_S10_SL_SM_SN_EUlS10_E0_NS1_11comp_targetILNS1_3genE3ELNS1_11target_archE908ELNS1_3gpuE7ELNS1_3repE0EEENS1_38merge_mergepath_config_static_selectorELNS0_4arch9wavefront6targetE1EEEvSM_, .Lfunc_end407-_ZN7rocprim17ROCPRIM_400000_NS6detail17trampoline_kernelINS0_14default_configENS1_38merge_sort_block_merge_config_selectorIlNS0_10empty_typeEEEZZNS1_27merge_sort_block_merge_implIS3_PlPS5_mZN2at6native12_GLOBAL__N_124unique_dim_cuda_templateIiEESt5tupleIJNSA_6TensorESF_SF_EERKSF_lbbbEUlllE_EE10hipError_tT0_T1_T2_jT3_P12ihipStream_tbPNSt15iterator_traitsISL_E10value_typeEPNSR_ISM_E10value_typeEPSN_NS1_7vsmem_tEENKUlT_SL_SM_SN_E_clIS8_S8_S9_S9_EESK_S10_SL_SM_SN_EUlS10_E0_NS1_11comp_targetILNS1_3genE3ELNS1_11target_archE908ELNS1_3gpuE7ELNS1_3repE0EEENS1_38merge_mergepath_config_static_selectorELNS0_4arch9wavefront6targetE1EEEvSM_
                                        ; -- End function
	.section	.AMDGPU.csdata,"",@progbits
; Kernel info:
; codeLenInByte = 0
; NumSgprs: 6
; NumVgprs: 0
; NumAgprs: 0
; TotalNumVgprs: 0
; ScratchSize: 0
; MemoryBound: 0
; FloatMode: 240
; IeeeMode: 1
; LDSByteSize: 0 bytes/workgroup (compile time only)
; SGPRBlocks: 0
; VGPRBlocks: 0
; NumSGPRsForWavesPerEU: 6
; NumVGPRsForWavesPerEU: 1
; AccumOffset: 4
; Occupancy: 8
; WaveLimiterHint : 0
; COMPUTE_PGM_RSRC2:SCRATCH_EN: 0
; COMPUTE_PGM_RSRC2:USER_SGPR: 2
; COMPUTE_PGM_RSRC2:TRAP_HANDLER: 0
; COMPUTE_PGM_RSRC2:TGID_X_EN: 1
; COMPUTE_PGM_RSRC2:TGID_Y_EN: 0
; COMPUTE_PGM_RSRC2:TGID_Z_EN: 0
; COMPUTE_PGM_RSRC2:TIDIG_COMP_CNT: 0
; COMPUTE_PGM_RSRC3_GFX90A:ACCUM_OFFSET: 0
; COMPUTE_PGM_RSRC3_GFX90A:TG_SPLIT: 0
	.section	.text._ZN7rocprim17ROCPRIM_400000_NS6detail17trampoline_kernelINS0_14default_configENS1_38merge_sort_block_merge_config_selectorIlNS0_10empty_typeEEEZZNS1_27merge_sort_block_merge_implIS3_PlPS5_mZN2at6native12_GLOBAL__N_124unique_dim_cuda_templateIiEESt5tupleIJNSA_6TensorESF_SF_EERKSF_lbbbEUlllE_EE10hipError_tT0_T1_T2_jT3_P12ihipStream_tbPNSt15iterator_traitsISL_E10value_typeEPNSR_ISM_E10value_typeEPSN_NS1_7vsmem_tEENKUlT_SL_SM_SN_E_clIS8_S8_S9_S9_EESK_S10_SL_SM_SN_EUlS10_E0_NS1_11comp_targetILNS1_3genE2ELNS1_11target_archE906ELNS1_3gpuE6ELNS1_3repE0EEENS1_38merge_mergepath_config_static_selectorELNS0_4arch9wavefront6targetE1EEEvSM_,"axG",@progbits,_ZN7rocprim17ROCPRIM_400000_NS6detail17trampoline_kernelINS0_14default_configENS1_38merge_sort_block_merge_config_selectorIlNS0_10empty_typeEEEZZNS1_27merge_sort_block_merge_implIS3_PlPS5_mZN2at6native12_GLOBAL__N_124unique_dim_cuda_templateIiEESt5tupleIJNSA_6TensorESF_SF_EERKSF_lbbbEUlllE_EE10hipError_tT0_T1_T2_jT3_P12ihipStream_tbPNSt15iterator_traitsISL_E10value_typeEPNSR_ISM_E10value_typeEPSN_NS1_7vsmem_tEENKUlT_SL_SM_SN_E_clIS8_S8_S9_S9_EESK_S10_SL_SM_SN_EUlS10_E0_NS1_11comp_targetILNS1_3genE2ELNS1_11target_archE906ELNS1_3gpuE6ELNS1_3repE0EEENS1_38merge_mergepath_config_static_selectorELNS0_4arch9wavefront6targetE1EEEvSM_,comdat
	.globl	_ZN7rocprim17ROCPRIM_400000_NS6detail17trampoline_kernelINS0_14default_configENS1_38merge_sort_block_merge_config_selectorIlNS0_10empty_typeEEEZZNS1_27merge_sort_block_merge_implIS3_PlPS5_mZN2at6native12_GLOBAL__N_124unique_dim_cuda_templateIiEESt5tupleIJNSA_6TensorESF_SF_EERKSF_lbbbEUlllE_EE10hipError_tT0_T1_T2_jT3_P12ihipStream_tbPNSt15iterator_traitsISL_E10value_typeEPNSR_ISM_E10value_typeEPSN_NS1_7vsmem_tEENKUlT_SL_SM_SN_E_clIS8_S8_S9_S9_EESK_S10_SL_SM_SN_EUlS10_E0_NS1_11comp_targetILNS1_3genE2ELNS1_11target_archE906ELNS1_3gpuE6ELNS1_3repE0EEENS1_38merge_mergepath_config_static_selectorELNS0_4arch9wavefront6targetE1EEEvSM_ ; -- Begin function _ZN7rocprim17ROCPRIM_400000_NS6detail17trampoline_kernelINS0_14default_configENS1_38merge_sort_block_merge_config_selectorIlNS0_10empty_typeEEEZZNS1_27merge_sort_block_merge_implIS3_PlPS5_mZN2at6native12_GLOBAL__N_124unique_dim_cuda_templateIiEESt5tupleIJNSA_6TensorESF_SF_EERKSF_lbbbEUlllE_EE10hipError_tT0_T1_T2_jT3_P12ihipStream_tbPNSt15iterator_traitsISL_E10value_typeEPNSR_ISM_E10value_typeEPSN_NS1_7vsmem_tEENKUlT_SL_SM_SN_E_clIS8_S8_S9_S9_EESK_S10_SL_SM_SN_EUlS10_E0_NS1_11comp_targetILNS1_3genE2ELNS1_11target_archE906ELNS1_3gpuE6ELNS1_3repE0EEENS1_38merge_mergepath_config_static_selectorELNS0_4arch9wavefront6targetE1EEEvSM_
	.p2align	8
	.type	_ZN7rocprim17ROCPRIM_400000_NS6detail17trampoline_kernelINS0_14default_configENS1_38merge_sort_block_merge_config_selectorIlNS0_10empty_typeEEEZZNS1_27merge_sort_block_merge_implIS3_PlPS5_mZN2at6native12_GLOBAL__N_124unique_dim_cuda_templateIiEESt5tupleIJNSA_6TensorESF_SF_EERKSF_lbbbEUlllE_EE10hipError_tT0_T1_T2_jT3_P12ihipStream_tbPNSt15iterator_traitsISL_E10value_typeEPNSR_ISM_E10value_typeEPSN_NS1_7vsmem_tEENKUlT_SL_SM_SN_E_clIS8_S8_S9_S9_EESK_S10_SL_SM_SN_EUlS10_E0_NS1_11comp_targetILNS1_3genE2ELNS1_11target_archE906ELNS1_3gpuE6ELNS1_3repE0EEENS1_38merge_mergepath_config_static_selectorELNS0_4arch9wavefront6targetE1EEEvSM_,@function
_ZN7rocprim17ROCPRIM_400000_NS6detail17trampoline_kernelINS0_14default_configENS1_38merge_sort_block_merge_config_selectorIlNS0_10empty_typeEEEZZNS1_27merge_sort_block_merge_implIS3_PlPS5_mZN2at6native12_GLOBAL__N_124unique_dim_cuda_templateIiEESt5tupleIJNSA_6TensorESF_SF_EERKSF_lbbbEUlllE_EE10hipError_tT0_T1_T2_jT3_P12ihipStream_tbPNSt15iterator_traitsISL_E10value_typeEPNSR_ISM_E10value_typeEPSN_NS1_7vsmem_tEENKUlT_SL_SM_SN_E_clIS8_S8_S9_S9_EESK_S10_SL_SM_SN_EUlS10_E0_NS1_11comp_targetILNS1_3genE2ELNS1_11target_archE906ELNS1_3gpuE6ELNS1_3repE0EEENS1_38merge_mergepath_config_static_selectorELNS0_4arch9wavefront6targetE1EEEvSM_: ; @_ZN7rocprim17ROCPRIM_400000_NS6detail17trampoline_kernelINS0_14default_configENS1_38merge_sort_block_merge_config_selectorIlNS0_10empty_typeEEEZZNS1_27merge_sort_block_merge_implIS3_PlPS5_mZN2at6native12_GLOBAL__N_124unique_dim_cuda_templateIiEESt5tupleIJNSA_6TensorESF_SF_EERKSF_lbbbEUlllE_EE10hipError_tT0_T1_T2_jT3_P12ihipStream_tbPNSt15iterator_traitsISL_E10value_typeEPNSR_ISM_E10value_typeEPSN_NS1_7vsmem_tEENKUlT_SL_SM_SN_E_clIS8_S8_S9_S9_EESK_S10_SL_SM_SN_EUlS10_E0_NS1_11comp_targetILNS1_3genE2ELNS1_11target_archE906ELNS1_3gpuE6ELNS1_3repE0EEENS1_38merge_mergepath_config_static_selectorELNS0_4arch9wavefront6targetE1EEEvSM_
; %bb.0:
	.section	.rodata,"a",@progbits
	.p2align	6, 0x0
	.amdhsa_kernel _ZN7rocprim17ROCPRIM_400000_NS6detail17trampoline_kernelINS0_14default_configENS1_38merge_sort_block_merge_config_selectorIlNS0_10empty_typeEEEZZNS1_27merge_sort_block_merge_implIS3_PlPS5_mZN2at6native12_GLOBAL__N_124unique_dim_cuda_templateIiEESt5tupleIJNSA_6TensorESF_SF_EERKSF_lbbbEUlllE_EE10hipError_tT0_T1_T2_jT3_P12ihipStream_tbPNSt15iterator_traitsISL_E10value_typeEPNSR_ISM_E10value_typeEPSN_NS1_7vsmem_tEENKUlT_SL_SM_SN_E_clIS8_S8_S9_S9_EESK_S10_SL_SM_SN_EUlS10_E0_NS1_11comp_targetILNS1_3genE2ELNS1_11target_archE906ELNS1_3gpuE6ELNS1_3repE0EEENS1_38merge_mergepath_config_static_selectorELNS0_4arch9wavefront6targetE1EEEvSM_
		.amdhsa_group_segment_fixed_size 0
		.amdhsa_private_segment_fixed_size 0
		.amdhsa_kernarg_size 88
		.amdhsa_user_sgpr_count 2
		.amdhsa_user_sgpr_dispatch_ptr 0
		.amdhsa_user_sgpr_queue_ptr 0
		.amdhsa_user_sgpr_kernarg_segment_ptr 1
		.amdhsa_user_sgpr_dispatch_id 0
		.amdhsa_user_sgpr_kernarg_preload_length 0
		.amdhsa_user_sgpr_kernarg_preload_offset 0
		.amdhsa_user_sgpr_private_segment_size 0
		.amdhsa_uses_dynamic_stack 0
		.amdhsa_enable_private_segment 0
		.amdhsa_system_sgpr_workgroup_id_x 1
		.amdhsa_system_sgpr_workgroup_id_y 0
		.amdhsa_system_sgpr_workgroup_id_z 0
		.amdhsa_system_sgpr_workgroup_info 0
		.amdhsa_system_vgpr_workitem_id 0
		.amdhsa_next_free_vgpr 1
		.amdhsa_next_free_sgpr 0
		.amdhsa_accum_offset 4
		.amdhsa_reserve_vcc 0
		.amdhsa_float_round_mode_32 0
		.amdhsa_float_round_mode_16_64 0
		.amdhsa_float_denorm_mode_32 3
		.amdhsa_float_denorm_mode_16_64 3
		.amdhsa_dx10_clamp 1
		.amdhsa_ieee_mode 1
		.amdhsa_fp16_overflow 0
		.amdhsa_tg_split 0
		.amdhsa_exception_fp_ieee_invalid_op 0
		.amdhsa_exception_fp_denorm_src 0
		.amdhsa_exception_fp_ieee_div_zero 0
		.amdhsa_exception_fp_ieee_overflow 0
		.amdhsa_exception_fp_ieee_underflow 0
		.amdhsa_exception_fp_ieee_inexact 0
		.amdhsa_exception_int_div_zero 0
	.end_amdhsa_kernel
	.section	.text._ZN7rocprim17ROCPRIM_400000_NS6detail17trampoline_kernelINS0_14default_configENS1_38merge_sort_block_merge_config_selectorIlNS0_10empty_typeEEEZZNS1_27merge_sort_block_merge_implIS3_PlPS5_mZN2at6native12_GLOBAL__N_124unique_dim_cuda_templateIiEESt5tupleIJNSA_6TensorESF_SF_EERKSF_lbbbEUlllE_EE10hipError_tT0_T1_T2_jT3_P12ihipStream_tbPNSt15iterator_traitsISL_E10value_typeEPNSR_ISM_E10value_typeEPSN_NS1_7vsmem_tEENKUlT_SL_SM_SN_E_clIS8_S8_S9_S9_EESK_S10_SL_SM_SN_EUlS10_E0_NS1_11comp_targetILNS1_3genE2ELNS1_11target_archE906ELNS1_3gpuE6ELNS1_3repE0EEENS1_38merge_mergepath_config_static_selectorELNS0_4arch9wavefront6targetE1EEEvSM_,"axG",@progbits,_ZN7rocprim17ROCPRIM_400000_NS6detail17trampoline_kernelINS0_14default_configENS1_38merge_sort_block_merge_config_selectorIlNS0_10empty_typeEEEZZNS1_27merge_sort_block_merge_implIS3_PlPS5_mZN2at6native12_GLOBAL__N_124unique_dim_cuda_templateIiEESt5tupleIJNSA_6TensorESF_SF_EERKSF_lbbbEUlllE_EE10hipError_tT0_T1_T2_jT3_P12ihipStream_tbPNSt15iterator_traitsISL_E10value_typeEPNSR_ISM_E10value_typeEPSN_NS1_7vsmem_tEENKUlT_SL_SM_SN_E_clIS8_S8_S9_S9_EESK_S10_SL_SM_SN_EUlS10_E0_NS1_11comp_targetILNS1_3genE2ELNS1_11target_archE906ELNS1_3gpuE6ELNS1_3repE0EEENS1_38merge_mergepath_config_static_selectorELNS0_4arch9wavefront6targetE1EEEvSM_,comdat
.Lfunc_end408:
	.size	_ZN7rocprim17ROCPRIM_400000_NS6detail17trampoline_kernelINS0_14default_configENS1_38merge_sort_block_merge_config_selectorIlNS0_10empty_typeEEEZZNS1_27merge_sort_block_merge_implIS3_PlPS5_mZN2at6native12_GLOBAL__N_124unique_dim_cuda_templateIiEESt5tupleIJNSA_6TensorESF_SF_EERKSF_lbbbEUlllE_EE10hipError_tT0_T1_T2_jT3_P12ihipStream_tbPNSt15iterator_traitsISL_E10value_typeEPNSR_ISM_E10value_typeEPSN_NS1_7vsmem_tEENKUlT_SL_SM_SN_E_clIS8_S8_S9_S9_EESK_S10_SL_SM_SN_EUlS10_E0_NS1_11comp_targetILNS1_3genE2ELNS1_11target_archE906ELNS1_3gpuE6ELNS1_3repE0EEENS1_38merge_mergepath_config_static_selectorELNS0_4arch9wavefront6targetE1EEEvSM_, .Lfunc_end408-_ZN7rocprim17ROCPRIM_400000_NS6detail17trampoline_kernelINS0_14default_configENS1_38merge_sort_block_merge_config_selectorIlNS0_10empty_typeEEEZZNS1_27merge_sort_block_merge_implIS3_PlPS5_mZN2at6native12_GLOBAL__N_124unique_dim_cuda_templateIiEESt5tupleIJNSA_6TensorESF_SF_EERKSF_lbbbEUlllE_EE10hipError_tT0_T1_T2_jT3_P12ihipStream_tbPNSt15iterator_traitsISL_E10value_typeEPNSR_ISM_E10value_typeEPSN_NS1_7vsmem_tEENKUlT_SL_SM_SN_E_clIS8_S8_S9_S9_EESK_S10_SL_SM_SN_EUlS10_E0_NS1_11comp_targetILNS1_3genE2ELNS1_11target_archE906ELNS1_3gpuE6ELNS1_3repE0EEENS1_38merge_mergepath_config_static_selectorELNS0_4arch9wavefront6targetE1EEEvSM_
                                        ; -- End function
	.section	.AMDGPU.csdata,"",@progbits
; Kernel info:
; codeLenInByte = 0
; NumSgprs: 6
; NumVgprs: 0
; NumAgprs: 0
; TotalNumVgprs: 0
; ScratchSize: 0
; MemoryBound: 0
; FloatMode: 240
; IeeeMode: 1
; LDSByteSize: 0 bytes/workgroup (compile time only)
; SGPRBlocks: 0
; VGPRBlocks: 0
; NumSGPRsForWavesPerEU: 6
; NumVGPRsForWavesPerEU: 1
; AccumOffset: 4
; Occupancy: 8
; WaveLimiterHint : 0
; COMPUTE_PGM_RSRC2:SCRATCH_EN: 0
; COMPUTE_PGM_RSRC2:USER_SGPR: 2
; COMPUTE_PGM_RSRC2:TRAP_HANDLER: 0
; COMPUTE_PGM_RSRC2:TGID_X_EN: 1
; COMPUTE_PGM_RSRC2:TGID_Y_EN: 0
; COMPUTE_PGM_RSRC2:TGID_Z_EN: 0
; COMPUTE_PGM_RSRC2:TIDIG_COMP_CNT: 0
; COMPUTE_PGM_RSRC3_GFX90A:ACCUM_OFFSET: 0
; COMPUTE_PGM_RSRC3_GFX90A:TG_SPLIT: 0
	.section	.text._ZN7rocprim17ROCPRIM_400000_NS6detail17trampoline_kernelINS0_14default_configENS1_38merge_sort_block_merge_config_selectorIlNS0_10empty_typeEEEZZNS1_27merge_sort_block_merge_implIS3_PlPS5_mZN2at6native12_GLOBAL__N_124unique_dim_cuda_templateIiEESt5tupleIJNSA_6TensorESF_SF_EERKSF_lbbbEUlllE_EE10hipError_tT0_T1_T2_jT3_P12ihipStream_tbPNSt15iterator_traitsISL_E10value_typeEPNSR_ISM_E10value_typeEPSN_NS1_7vsmem_tEENKUlT_SL_SM_SN_E_clIS8_S8_S9_S9_EESK_S10_SL_SM_SN_EUlS10_E0_NS1_11comp_targetILNS1_3genE9ELNS1_11target_archE1100ELNS1_3gpuE3ELNS1_3repE0EEENS1_38merge_mergepath_config_static_selectorELNS0_4arch9wavefront6targetE1EEEvSM_,"axG",@progbits,_ZN7rocprim17ROCPRIM_400000_NS6detail17trampoline_kernelINS0_14default_configENS1_38merge_sort_block_merge_config_selectorIlNS0_10empty_typeEEEZZNS1_27merge_sort_block_merge_implIS3_PlPS5_mZN2at6native12_GLOBAL__N_124unique_dim_cuda_templateIiEESt5tupleIJNSA_6TensorESF_SF_EERKSF_lbbbEUlllE_EE10hipError_tT0_T1_T2_jT3_P12ihipStream_tbPNSt15iterator_traitsISL_E10value_typeEPNSR_ISM_E10value_typeEPSN_NS1_7vsmem_tEENKUlT_SL_SM_SN_E_clIS8_S8_S9_S9_EESK_S10_SL_SM_SN_EUlS10_E0_NS1_11comp_targetILNS1_3genE9ELNS1_11target_archE1100ELNS1_3gpuE3ELNS1_3repE0EEENS1_38merge_mergepath_config_static_selectorELNS0_4arch9wavefront6targetE1EEEvSM_,comdat
	.globl	_ZN7rocprim17ROCPRIM_400000_NS6detail17trampoline_kernelINS0_14default_configENS1_38merge_sort_block_merge_config_selectorIlNS0_10empty_typeEEEZZNS1_27merge_sort_block_merge_implIS3_PlPS5_mZN2at6native12_GLOBAL__N_124unique_dim_cuda_templateIiEESt5tupleIJNSA_6TensorESF_SF_EERKSF_lbbbEUlllE_EE10hipError_tT0_T1_T2_jT3_P12ihipStream_tbPNSt15iterator_traitsISL_E10value_typeEPNSR_ISM_E10value_typeEPSN_NS1_7vsmem_tEENKUlT_SL_SM_SN_E_clIS8_S8_S9_S9_EESK_S10_SL_SM_SN_EUlS10_E0_NS1_11comp_targetILNS1_3genE9ELNS1_11target_archE1100ELNS1_3gpuE3ELNS1_3repE0EEENS1_38merge_mergepath_config_static_selectorELNS0_4arch9wavefront6targetE1EEEvSM_ ; -- Begin function _ZN7rocprim17ROCPRIM_400000_NS6detail17trampoline_kernelINS0_14default_configENS1_38merge_sort_block_merge_config_selectorIlNS0_10empty_typeEEEZZNS1_27merge_sort_block_merge_implIS3_PlPS5_mZN2at6native12_GLOBAL__N_124unique_dim_cuda_templateIiEESt5tupleIJNSA_6TensorESF_SF_EERKSF_lbbbEUlllE_EE10hipError_tT0_T1_T2_jT3_P12ihipStream_tbPNSt15iterator_traitsISL_E10value_typeEPNSR_ISM_E10value_typeEPSN_NS1_7vsmem_tEENKUlT_SL_SM_SN_E_clIS8_S8_S9_S9_EESK_S10_SL_SM_SN_EUlS10_E0_NS1_11comp_targetILNS1_3genE9ELNS1_11target_archE1100ELNS1_3gpuE3ELNS1_3repE0EEENS1_38merge_mergepath_config_static_selectorELNS0_4arch9wavefront6targetE1EEEvSM_
	.p2align	8
	.type	_ZN7rocprim17ROCPRIM_400000_NS6detail17trampoline_kernelINS0_14default_configENS1_38merge_sort_block_merge_config_selectorIlNS0_10empty_typeEEEZZNS1_27merge_sort_block_merge_implIS3_PlPS5_mZN2at6native12_GLOBAL__N_124unique_dim_cuda_templateIiEESt5tupleIJNSA_6TensorESF_SF_EERKSF_lbbbEUlllE_EE10hipError_tT0_T1_T2_jT3_P12ihipStream_tbPNSt15iterator_traitsISL_E10value_typeEPNSR_ISM_E10value_typeEPSN_NS1_7vsmem_tEENKUlT_SL_SM_SN_E_clIS8_S8_S9_S9_EESK_S10_SL_SM_SN_EUlS10_E0_NS1_11comp_targetILNS1_3genE9ELNS1_11target_archE1100ELNS1_3gpuE3ELNS1_3repE0EEENS1_38merge_mergepath_config_static_selectorELNS0_4arch9wavefront6targetE1EEEvSM_,@function
_ZN7rocprim17ROCPRIM_400000_NS6detail17trampoline_kernelINS0_14default_configENS1_38merge_sort_block_merge_config_selectorIlNS0_10empty_typeEEEZZNS1_27merge_sort_block_merge_implIS3_PlPS5_mZN2at6native12_GLOBAL__N_124unique_dim_cuda_templateIiEESt5tupleIJNSA_6TensorESF_SF_EERKSF_lbbbEUlllE_EE10hipError_tT0_T1_T2_jT3_P12ihipStream_tbPNSt15iterator_traitsISL_E10value_typeEPNSR_ISM_E10value_typeEPSN_NS1_7vsmem_tEENKUlT_SL_SM_SN_E_clIS8_S8_S9_S9_EESK_S10_SL_SM_SN_EUlS10_E0_NS1_11comp_targetILNS1_3genE9ELNS1_11target_archE1100ELNS1_3gpuE3ELNS1_3repE0EEENS1_38merge_mergepath_config_static_selectorELNS0_4arch9wavefront6targetE1EEEvSM_: ; @_ZN7rocprim17ROCPRIM_400000_NS6detail17trampoline_kernelINS0_14default_configENS1_38merge_sort_block_merge_config_selectorIlNS0_10empty_typeEEEZZNS1_27merge_sort_block_merge_implIS3_PlPS5_mZN2at6native12_GLOBAL__N_124unique_dim_cuda_templateIiEESt5tupleIJNSA_6TensorESF_SF_EERKSF_lbbbEUlllE_EE10hipError_tT0_T1_T2_jT3_P12ihipStream_tbPNSt15iterator_traitsISL_E10value_typeEPNSR_ISM_E10value_typeEPSN_NS1_7vsmem_tEENKUlT_SL_SM_SN_E_clIS8_S8_S9_S9_EESK_S10_SL_SM_SN_EUlS10_E0_NS1_11comp_targetILNS1_3genE9ELNS1_11target_archE1100ELNS1_3gpuE3ELNS1_3repE0EEENS1_38merge_mergepath_config_static_selectorELNS0_4arch9wavefront6targetE1EEEvSM_
; %bb.0:
	.section	.rodata,"a",@progbits
	.p2align	6, 0x0
	.amdhsa_kernel _ZN7rocprim17ROCPRIM_400000_NS6detail17trampoline_kernelINS0_14default_configENS1_38merge_sort_block_merge_config_selectorIlNS0_10empty_typeEEEZZNS1_27merge_sort_block_merge_implIS3_PlPS5_mZN2at6native12_GLOBAL__N_124unique_dim_cuda_templateIiEESt5tupleIJNSA_6TensorESF_SF_EERKSF_lbbbEUlllE_EE10hipError_tT0_T1_T2_jT3_P12ihipStream_tbPNSt15iterator_traitsISL_E10value_typeEPNSR_ISM_E10value_typeEPSN_NS1_7vsmem_tEENKUlT_SL_SM_SN_E_clIS8_S8_S9_S9_EESK_S10_SL_SM_SN_EUlS10_E0_NS1_11comp_targetILNS1_3genE9ELNS1_11target_archE1100ELNS1_3gpuE3ELNS1_3repE0EEENS1_38merge_mergepath_config_static_selectorELNS0_4arch9wavefront6targetE1EEEvSM_
		.amdhsa_group_segment_fixed_size 0
		.amdhsa_private_segment_fixed_size 0
		.amdhsa_kernarg_size 88
		.amdhsa_user_sgpr_count 2
		.amdhsa_user_sgpr_dispatch_ptr 0
		.amdhsa_user_sgpr_queue_ptr 0
		.amdhsa_user_sgpr_kernarg_segment_ptr 1
		.amdhsa_user_sgpr_dispatch_id 0
		.amdhsa_user_sgpr_kernarg_preload_length 0
		.amdhsa_user_sgpr_kernarg_preload_offset 0
		.amdhsa_user_sgpr_private_segment_size 0
		.amdhsa_uses_dynamic_stack 0
		.amdhsa_enable_private_segment 0
		.amdhsa_system_sgpr_workgroup_id_x 1
		.amdhsa_system_sgpr_workgroup_id_y 0
		.amdhsa_system_sgpr_workgroup_id_z 0
		.amdhsa_system_sgpr_workgroup_info 0
		.amdhsa_system_vgpr_workitem_id 0
		.amdhsa_next_free_vgpr 1
		.amdhsa_next_free_sgpr 0
		.amdhsa_accum_offset 4
		.amdhsa_reserve_vcc 0
		.amdhsa_float_round_mode_32 0
		.amdhsa_float_round_mode_16_64 0
		.amdhsa_float_denorm_mode_32 3
		.amdhsa_float_denorm_mode_16_64 3
		.amdhsa_dx10_clamp 1
		.amdhsa_ieee_mode 1
		.amdhsa_fp16_overflow 0
		.amdhsa_tg_split 0
		.amdhsa_exception_fp_ieee_invalid_op 0
		.amdhsa_exception_fp_denorm_src 0
		.amdhsa_exception_fp_ieee_div_zero 0
		.amdhsa_exception_fp_ieee_overflow 0
		.amdhsa_exception_fp_ieee_underflow 0
		.amdhsa_exception_fp_ieee_inexact 0
		.amdhsa_exception_int_div_zero 0
	.end_amdhsa_kernel
	.section	.text._ZN7rocprim17ROCPRIM_400000_NS6detail17trampoline_kernelINS0_14default_configENS1_38merge_sort_block_merge_config_selectorIlNS0_10empty_typeEEEZZNS1_27merge_sort_block_merge_implIS3_PlPS5_mZN2at6native12_GLOBAL__N_124unique_dim_cuda_templateIiEESt5tupleIJNSA_6TensorESF_SF_EERKSF_lbbbEUlllE_EE10hipError_tT0_T1_T2_jT3_P12ihipStream_tbPNSt15iterator_traitsISL_E10value_typeEPNSR_ISM_E10value_typeEPSN_NS1_7vsmem_tEENKUlT_SL_SM_SN_E_clIS8_S8_S9_S9_EESK_S10_SL_SM_SN_EUlS10_E0_NS1_11comp_targetILNS1_3genE9ELNS1_11target_archE1100ELNS1_3gpuE3ELNS1_3repE0EEENS1_38merge_mergepath_config_static_selectorELNS0_4arch9wavefront6targetE1EEEvSM_,"axG",@progbits,_ZN7rocprim17ROCPRIM_400000_NS6detail17trampoline_kernelINS0_14default_configENS1_38merge_sort_block_merge_config_selectorIlNS0_10empty_typeEEEZZNS1_27merge_sort_block_merge_implIS3_PlPS5_mZN2at6native12_GLOBAL__N_124unique_dim_cuda_templateIiEESt5tupleIJNSA_6TensorESF_SF_EERKSF_lbbbEUlllE_EE10hipError_tT0_T1_T2_jT3_P12ihipStream_tbPNSt15iterator_traitsISL_E10value_typeEPNSR_ISM_E10value_typeEPSN_NS1_7vsmem_tEENKUlT_SL_SM_SN_E_clIS8_S8_S9_S9_EESK_S10_SL_SM_SN_EUlS10_E0_NS1_11comp_targetILNS1_3genE9ELNS1_11target_archE1100ELNS1_3gpuE3ELNS1_3repE0EEENS1_38merge_mergepath_config_static_selectorELNS0_4arch9wavefront6targetE1EEEvSM_,comdat
.Lfunc_end409:
	.size	_ZN7rocprim17ROCPRIM_400000_NS6detail17trampoline_kernelINS0_14default_configENS1_38merge_sort_block_merge_config_selectorIlNS0_10empty_typeEEEZZNS1_27merge_sort_block_merge_implIS3_PlPS5_mZN2at6native12_GLOBAL__N_124unique_dim_cuda_templateIiEESt5tupleIJNSA_6TensorESF_SF_EERKSF_lbbbEUlllE_EE10hipError_tT0_T1_T2_jT3_P12ihipStream_tbPNSt15iterator_traitsISL_E10value_typeEPNSR_ISM_E10value_typeEPSN_NS1_7vsmem_tEENKUlT_SL_SM_SN_E_clIS8_S8_S9_S9_EESK_S10_SL_SM_SN_EUlS10_E0_NS1_11comp_targetILNS1_3genE9ELNS1_11target_archE1100ELNS1_3gpuE3ELNS1_3repE0EEENS1_38merge_mergepath_config_static_selectorELNS0_4arch9wavefront6targetE1EEEvSM_, .Lfunc_end409-_ZN7rocprim17ROCPRIM_400000_NS6detail17trampoline_kernelINS0_14default_configENS1_38merge_sort_block_merge_config_selectorIlNS0_10empty_typeEEEZZNS1_27merge_sort_block_merge_implIS3_PlPS5_mZN2at6native12_GLOBAL__N_124unique_dim_cuda_templateIiEESt5tupleIJNSA_6TensorESF_SF_EERKSF_lbbbEUlllE_EE10hipError_tT0_T1_T2_jT3_P12ihipStream_tbPNSt15iterator_traitsISL_E10value_typeEPNSR_ISM_E10value_typeEPSN_NS1_7vsmem_tEENKUlT_SL_SM_SN_E_clIS8_S8_S9_S9_EESK_S10_SL_SM_SN_EUlS10_E0_NS1_11comp_targetILNS1_3genE9ELNS1_11target_archE1100ELNS1_3gpuE3ELNS1_3repE0EEENS1_38merge_mergepath_config_static_selectorELNS0_4arch9wavefront6targetE1EEEvSM_
                                        ; -- End function
	.section	.AMDGPU.csdata,"",@progbits
; Kernel info:
; codeLenInByte = 0
; NumSgprs: 6
; NumVgprs: 0
; NumAgprs: 0
; TotalNumVgprs: 0
; ScratchSize: 0
; MemoryBound: 0
; FloatMode: 240
; IeeeMode: 1
; LDSByteSize: 0 bytes/workgroup (compile time only)
; SGPRBlocks: 0
; VGPRBlocks: 0
; NumSGPRsForWavesPerEU: 6
; NumVGPRsForWavesPerEU: 1
; AccumOffset: 4
; Occupancy: 8
; WaveLimiterHint : 0
; COMPUTE_PGM_RSRC2:SCRATCH_EN: 0
; COMPUTE_PGM_RSRC2:USER_SGPR: 2
; COMPUTE_PGM_RSRC2:TRAP_HANDLER: 0
; COMPUTE_PGM_RSRC2:TGID_X_EN: 1
; COMPUTE_PGM_RSRC2:TGID_Y_EN: 0
; COMPUTE_PGM_RSRC2:TGID_Z_EN: 0
; COMPUTE_PGM_RSRC2:TIDIG_COMP_CNT: 0
; COMPUTE_PGM_RSRC3_GFX90A:ACCUM_OFFSET: 0
; COMPUTE_PGM_RSRC3_GFX90A:TG_SPLIT: 0
	.section	.text._ZN7rocprim17ROCPRIM_400000_NS6detail17trampoline_kernelINS0_14default_configENS1_38merge_sort_block_merge_config_selectorIlNS0_10empty_typeEEEZZNS1_27merge_sort_block_merge_implIS3_PlPS5_mZN2at6native12_GLOBAL__N_124unique_dim_cuda_templateIiEESt5tupleIJNSA_6TensorESF_SF_EERKSF_lbbbEUlllE_EE10hipError_tT0_T1_T2_jT3_P12ihipStream_tbPNSt15iterator_traitsISL_E10value_typeEPNSR_ISM_E10value_typeEPSN_NS1_7vsmem_tEENKUlT_SL_SM_SN_E_clIS8_S8_S9_S9_EESK_S10_SL_SM_SN_EUlS10_E0_NS1_11comp_targetILNS1_3genE8ELNS1_11target_archE1030ELNS1_3gpuE2ELNS1_3repE0EEENS1_38merge_mergepath_config_static_selectorELNS0_4arch9wavefront6targetE1EEEvSM_,"axG",@progbits,_ZN7rocprim17ROCPRIM_400000_NS6detail17trampoline_kernelINS0_14default_configENS1_38merge_sort_block_merge_config_selectorIlNS0_10empty_typeEEEZZNS1_27merge_sort_block_merge_implIS3_PlPS5_mZN2at6native12_GLOBAL__N_124unique_dim_cuda_templateIiEESt5tupleIJNSA_6TensorESF_SF_EERKSF_lbbbEUlllE_EE10hipError_tT0_T1_T2_jT3_P12ihipStream_tbPNSt15iterator_traitsISL_E10value_typeEPNSR_ISM_E10value_typeEPSN_NS1_7vsmem_tEENKUlT_SL_SM_SN_E_clIS8_S8_S9_S9_EESK_S10_SL_SM_SN_EUlS10_E0_NS1_11comp_targetILNS1_3genE8ELNS1_11target_archE1030ELNS1_3gpuE2ELNS1_3repE0EEENS1_38merge_mergepath_config_static_selectorELNS0_4arch9wavefront6targetE1EEEvSM_,comdat
	.globl	_ZN7rocprim17ROCPRIM_400000_NS6detail17trampoline_kernelINS0_14default_configENS1_38merge_sort_block_merge_config_selectorIlNS0_10empty_typeEEEZZNS1_27merge_sort_block_merge_implIS3_PlPS5_mZN2at6native12_GLOBAL__N_124unique_dim_cuda_templateIiEESt5tupleIJNSA_6TensorESF_SF_EERKSF_lbbbEUlllE_EE10hipError_tT0_T1_T2_jT3_P12ihipStream_tbPNSt15iterator_traitsISL_E10value_typeEPNSR_ISM_E10value_typeEPSN_NS1_7vsmem_tEENKUlT_SL_SM_SN_E_clIS8_S8_S9_S9_EESK_S10_SL_SM_SN_EUlS10_E0_NS1_11comp_targetILNS1_3genE8ELNS1_11target_archE1030ELNS1_3gpuE2ELNS1_3repE0EEENS1_38merge_mergepath_config_static_selectorELNS0_4arch9wavefront6targetE1EEEvSM_ ; -- Begin function _ZN7rocprim17ROCPRIM_400000_NS6detail17trampoline_kernelINS0_14default_configENS1_38merge_sort_block_merge_config_selectorIlNS0_10empty_typeEEEZZNS1_27merge_sort_block_merge_implIS3_PlPS5_mZN2at6native12_GLOBAL__N_124unique_dim_cuda_templateIiEESt5tupleIJNSA_6TensorESF_SF_EERKSF_lbbbEUlllE_EE10hipError_tT0_T1_T2_jT3_P12ihipStream_tbPNSt15iterator_traitsISL_E10value_typeEPNSR_ISM_E10value_typeEPSN_NS1_7vsmem_tEENKUlT_SL_SM_SN_E_clIS8_S8_S9_S9_EESK_S10_SL_SM_SN_EUlS10_E0_NS1_11comp_targetILNS1_3genE8ELNS1_11target_archE1030ELNS1_3gpuE2ELNS1_3repE0EEENS1_38merge_mergepath_config_static_selectorELNS0_4arch9wavefront6targetE1EEEvSM_
	.p2align	8
	.type	_ZN7rocprim17ROCPRIM_400000_NS6detail17trampoline_kernelINS0_14default_configENS1_38merge_sort_block_merge_config_selectorIlNS0_10empty_typeEEEZZNS1_27merge_sort_block_merge_implIS3_PlPS5_mZN2at6native12_GLOBAL__N_124unique_dim_cuda_templateIiEESt5tupleIJNSA_6TensorESF_SF_EERKSF_lbbbEUlllE_EE10hipError_tT0_T1_T2_jT3_P12ihipStream_tbPNSt15iterator_traitsISL_E10value_typeEPNSR_ISM_E10value_typeEPSN_NS1_7vsmem_tEENKUlT_SL_SM_SN_E_clIS8_S8_S9_S9_EESK_S10_SL_SM_SN_EUlS10_E0_NS1_11comp_targetILNS1_3genE8ELNS1_11target_archE1030ELNS1_3gpuE2ELNS1_3repE0EEENS1_38merge_mergepath_config_static_selectorELNS0_4arch9wavefront6targetE1EEEvSM_,@function
_ZN7rocprim17ROCPRIM_400000_NS6detail17trampoline_kernelINS0_14default_configENS1_38merge_sort_block_merge_config_selectorIlNS0_10empty_typeEEEZZNS1_27merge_sort_block_merge_implIS3_PlPS5_mZN2at6native12_GLOBAL__N_124unique_dim_cuda_templateIiEESt5tupleIJNSA_6TensorESF_SF_EERKSF_lbbbEUlllE_EE10hipError_tT0_T1_T2_jT3_P12ihipStream_tbPNSt15iterator_traitsISL_E10value_typeEPNSR_ISM_E10value_typeEPSN_NS1_7vsmem_tEENKUlT_SL_SM_SN_E_clIS8_S8_S9_S9_EESK_S10_SL_SM_SN_EUlS10_E0_NS1_11comp_targetILNS1_3genE8ELNS1_11target_archE1030ELNS1_3gpuE2ELNS1_3repE0EEENS1_38merge_mergepath_config_static_selectorELNS0_4arch9wavefront6targetE1EEEvSM_: ; @_ZN7rocprim17ROCPRIM_400000_NS6detail17trampoline_kernelINS0_14default_configENS1_38merge_sort_block_merge_config_selectorIlNS0_10empty_typeEEEZZNS1_27merge_sort_block_merge_implIS3_PlPS5_mZN2at6native12_GLOBAL__N_124unique_dim_cuda_templateIiEESt5tupleIJNSA_6TensorESF_SF_EERKSF_lbbbEUlllE_EE10hipError_tT0_T1_T2_jT3_P12ihipStream_tbPNSt15iterator_traitsISL_E10value_typeEPNSR_ISM_E10value_typeEPSN_NS1_7vsmem_tEENKUlT_SL_SM_SN_E_clIS8_S8_S9_S9_EESK_S10_SL_SM_SN_EUlS10_E0_NS1_11comp_targetILNS1_3genE8ELNS1_11target_archE1030ELNS1_3gpuE2ELNS1_3repE0EEENS1_38merge_mergepath_config_static_selectorELNS0_4arch9wavefront6targetE1EEEvSM_
; %bb.0:
	.section	.rodata,"a",@progbits
	.p2align	6, 0x0
	.amdhsa_kernel _ZN7rocprim17ROCPRIM_400000_NS6detail17trampoline_kernelINS0_14default_configENS1_38merge_sort_block_merge_config_selectorIlNS0_10empty_typeEEEZZNS1_27merge_sort_block_merge_implIS3_PlPS5_mZN2at6native12_GLOBAL__N_124unique_dim_cuda_templateIiEESt5tupleIJNSA_6TensorESF_SF_EERKSF_lbbbEUlllE_EE10hipError_tT0_T1_T2_jT3_P12ihipStream_tbPNSt15iterator_traitsISL_E10value_typeEPNSR_ISM_E10value_typeEPSN_NS1_7vsmem_tEENKUlT_SL_SM_SN_E_clIS8_S8_S9_S9_EESK_S10_SL_SM_SN_EUlS10_E0_NS1_11comp_targetILNS1_3genE8ELNS1_11target_archE1030ELNS1_3gpuE2ELNS1_3repE0EEENS1_38merge_mergepath_config_static_selectorELNS0_4arch9wavefront6targetE1EEEvSM_
		.amdhsa_group_segment_fixed_size 0
		.amdhsa_private_segment_fixed_size 0
		.amdhsa_kernarg_size 88
		.amdhsa_user_sgpr_count 2
		.amdhsa_user_sgpr_dispatch_ptr 0
		.amdhsa_user_sgpr_queue_ptr 0
		.amdhsa_user_sgpr_kernarg_segment_ptr 1
		.amdhsa_user_sgpr_dispatch_id 0
		.amdhsa_user_sgpr_kernarg_preload_length 0
		.amdhsa_user_sgpr_kernarg_preload_offset 0
		.amdhsa_user_sgpr_private_segment_size 0
		.amdhsa_uses_dynamic_stack 0
		.amdhsa_enable_private_segment 0
		.amdhsa_system_sgpr_workgroup_id_x 1
		.amdhsa_system_sgpr_workgroup_id_y 0
		.amdhsa_system_sgpr_workgroup_id_z 0
		.amdhsa_system_sgpr_workgroup_info 0
		.amdhsa_system_vgpr_workitem_id 0
		.amdhsa_next_free_vgpr 1
		.amdhsa_next_free_sgpr 0
		.amdhsa_accum_offset 4
		.amdhsa_reserve_vcc 0
		.amdhsa_float_round_mode_32 0
		.amdhsa_float_round_mode_16_64 0
		.amdhsa_float_denorm_mode_32 3
		.amdhsa_float_denorm_mode_16_64 3
		.amdhsa_dx10_clamp 1
		.amdhsa_ieee_mode 1
		.amdhsa_fp16_overflow 0
		.amdhsa_tg_split 0
		.amdhsa_exception_fp_ieee_invalid_op 0
		.amdhsa_exception_fp_denorm_src 0
		.amdhsa_exception_fp_ieee_div_zero 0
		.amdhsa_exception_fp_ieee_overflow 0
		.amdhsa_exception_fp_ieee_underflow 0
		.amdhsa_exception_fp_ieee_inexact 0
		.amdhsa_exception_int_div_zero 0
	.end_amdhsa_kernel
	.section	.text._ZN7rocprim17ROCPRIM_400000_NS6detail17trampoline_kernelINS0_14default_configENS1_38merge_sort_block_merge_config_selectorIlNS0_10empty_typeEEEZZNS1_27merge_sort_block_merge_implIS3_PlPS5_mZN2at6native12_GLOBAL__N_124unique_dim_cuda_templateIiEESt5tupleIJNSA_6TensorESF_SF_EERKSF_lbbbEUlllE_EE10hipError_tT0_T1_T2_jT3_P12ihipStream_tbPNSt15iterator_traitsISL_E10value_typeEPNSR_ISM_E10value_typeEPSN_NS1_7vsmem_tEENKUlT_SL_SM_SN_E_clIS8_S8_S9_S9_EESK_S10_SL_SM_SN_EUlS10_E0_NS1_11comp_targetILNS1_3genE8ELNS1_11target_archE1030ELNS1_3gpuE2ELNS1_3repE0EEENS1_38merge_mergepath_config_static_selectorELNS0_4arch9wavefront6targetE1EEEvSM_,"axG",@progbits,_ZN7rocprim17ROCPRIM_400000_NS6detail17trampoline_kernelINS0_14default_configENS1_38merge_sort_block_merge_config_selectorIlNS0_10empty_typeEEEZZNS1_27merge_sort_block_merge_implIS3_PlPS5_mZN2at6native12_GLOBAL__N_124unique_dim_cuda_templateIiEESt5tupleIJNSA_6TensorESF_SF_EERKSF_lbbbEUlllE_EE10hipError_tT0_T1_T2_jT3_P12ihipStream_tbPNSt15iterator_traitsISL_E10value_typeEPNSR_ISM_E10value_typeEPSN_NS1_7vsmem_tEENKUlT_SL_SM_SN_E_clIS8_S8_S9_S9_EESK_S10_SL_SM_SN_EUlS10_E0_NS1_11comp_targetILNS1_3genE8ELNS1_11target_archE1030ELNS1_3gpuE2ELNS1_3repE0EEENS1_38merge_mergepath_config_static_selectorELNS0_4arch9wavefront6targetE1EEEvSM_,comdat
.Lfunc_end410:
	.size	_ZN7rocprim17ROCPRIM_400000_NS6detail17trampoline_kernelINS0_14default_configENS1_38merge_sort_block_merge_config_selectorIlNS0_10empty_typeEEEZZNS1_27merge_sort_block_merge_implIS3_PlPS5_mZN2at6native12_GLOBAL__N_124unique_dim_cuda_templateIiEESt5tupleIJNSA_6TensorESF_SF_EERKSF_lbbbEUlllE_EE10hipError_tT0_T1_T2_jT3_P12ihipStream_tbPNSt15iterator_traitsISL_E10value_typeEPNSR_ISM_E10value_typeEPSN_NS1_7vsmem_tEENKUlT_SL_SM_SN_E_clIS8_S8_S9_S9_EESK_S10_SL_SM_SN_EUlS10_E0_NS1_11comp_targetILNS1_3genE8ELNS1_11target_archE1030ELNS1_3gpuE2ELNS1_3repE0EEENS1_38merge_mergepath_config_static_selectorELNS0_4arch9wavefront6targetE1EEEvSM_, .Lfunc_end410-_ZN7rocprim17ROCPRIM_400000_NS6detail17trampoline_kernelINS0_14default_configENS1_38merge_sort_block_merge_config_selectorIlNS0_10empty_typeEEEZZNS1_27merge_sort_block_merge_implIS3_PlPS5_mZN2at6native12_GLOBAL__N_124unique_dim_cuda_templateIiEESt5tupleIJNSA_6TensorESF_SF_EERKSF_lbbbEUlllE_EE10hipError_tT0_T1_T2_jT3_P12ihipStream_tbPNSt15iterator_traitsISL_E10value_typeEPNSR_ISM_E10value_typeEPSN_NS1_7vsmem_tEENKUlT_SL_SM_SN_E_clIS8_S8_S9_S9_EESK_S10_SL_SM_SN_EUlS10_E0_NS1_11comp_targetILNS1_3genE8ELNS1_11target_archE1030ELNS1_3gpuE2ELNS1_3repE0EEENS1_38merge_mergepath_config_static_selectorELNS0_4arch9wavefront6targetE1EEEvSM_
                                        ; -- End function
	.section	.AMDGPU.csdata,"",@progbits
; Kernel info:
; codeLenInByte = 0
; NumSgprs: 6
; NumVgprs: 0
; NumAgprs: 0
; TotalNumVgprs: 0
; ScratchSize: 0
; MemoryBound: 0
; FloatMode: 240
; IeeeMode: 1
; LDSByteSize: 0 bytes/workgroup (compile time only)
; SGPRBlocks: 0
; VGPRBlocks: 0
; NumSGPRsForWavesPerEU: 6
; NumVGPRsForWavesPerEU: 1
; AccumOffset: 4
; Occupancy: 8
; WaveLimiterHint : 0
; COMPUTE_PGM_RSRC2:SCRATCH_EN: 0
; COMPUTE_PGM_RSRC2:USER_SGPR: 2
; COMPUTE_PGM_RSRC2:TRAP_HANDLER: 0
; COMPUTE_PGM_RSRC2:TGID_X_EN: 1
; COMPUTE_PGM_RSRC2:TGID_Y_EN: 0
; COMPUTE_PGM_RSRC2:TGID_Z_EN: 0
; COMPUTE_PGM_RSRC2:TIDIG_COMP_CNT: 0
; COMPUTE_PGM_RSRC3_GFX90A:ACCUM_OFFSET: 0
; COMPUTE_PGM_RSRC3_GFX90A:TG_SPLIT: 0
	.section	.text._ZN7rocprim17ROCPRIM_400000_NS6detail17trampoline_kernelINS0_14default_configENS1_38merge_sort_block_merge_config_selectorIlNS0_10empty_typeEEEZZNS1_27merge_sort_block_merge_implIS3_PlPS5_mZN2at6native12_GLOBAL__N_124unique_dim_cuda_templateIiEESt5tupleIJNSA_6TensorESF_SF_EERKSF_lbbbEUlllE_EE10hipError_tT0_T1_T2_jT3_P12ihipStream_tbPNSt15iterator_traitsISL_E10value_typeEPNSR_ISM_E10value_typeEPSN_NS1_7vsmem_tEENKUlT_SL_SM_SN_E_clIS8_S8_S9_S9_EESK_S10_SL_SM_SN_EUlS10_E1_NS1_11comp_targetILNS1_3genE0ELNS1_11target_archE4294967295ELNS1_3gpuE0ELNS1_3repE0EEENS1_36merge_oddeven_config_static_selectorELNS0_4arch9wavefront6targetE1EEEvSM_,"axG",@progbits,_ZN7rocprim17ROCPRIM_400000_NS6detail17trampoline_kernelINS0_14default_configENS1_38merge_sort_block_merge_config_selectorIlNS0_10empty_typeEEEZZNS1_27merge_sort_block_merge_implIS3_PlPS5_mZN2at6native12_GLOBAL__N_124unique_dim_cuda_templateIiEESt5tupleIJNSA_6TensorESF_SF_EERKSF_lbbbEUlllE_EE10hipError_tT0_T1_T2_jT3_P12ihipStream_tbPNSt15iterator_traitsISL_E10value_typeEPNSR_ISM_E10value_typeEPSN_NS1_7vsmem_tEENKUlT_SL_SM_SN_E_clIS8_S8_S9_S9_EESK_S10_SL_SM_SN_EUlS10_E1_NS1_11comp_targetILNS1_3genE0ELNS1_11target_archE4294967295ELNS1_3gpuE0ELNS1_3repE0EEENS1_36merge_oddeven_config_static_selectorELNS0_4arch9wavefront6targetE1EEEvSM_,comdat
	.globl	_ZN7rocprim17ROCPRIM_400000_NS6detail17trampoline_kernelINS0_14default_configENS1_38merge_sort_block_merge_config_selectorIlNS0_10empty_typeEEEZZNS1_27merge_sort_block_merge_implIS3_PlPS5_mZN2at6native12_GLOBAL__N_124unique_dim_cuda_templateIiEESt5tupleIJNSA_6TensorESF_SF_EERKSF_lbbbEUlllE_EE10hipError_tT0_T1_T2_jT3_P12ihipStream_tbPNSt15iterator_traitsISL_E10value_typeEPNSR_ISM_E10value_typeEPSN_NS1_7vsmem_tEENKUlT_SL_SM_SN_E_clIS8_S8_S9_S9_EESK_S10_SL_SM_SN_EUlS10_E1_NS1_11comp_targetILNS1_3genE0ELNS1_11target_archE4294967295ELNS1_3gpuE0ELNS1_3repE0EEENS1_36merge_oddeven_config_static_selectorELNS0_4arch9wavefront6targetE1EEEvSM_ ; -- Begin function _ZN7rocprim17ROCPRIM_400000_NS6detail17trampoline_kernelINS0_14default_configENS1_38merge_sort_block_merge_config_selectorIlNS0_10empty_typeEEEZZNS1_27merge_sort_block_merge_implIS3_PlPS5_mZN2at6native12_GLOBAL__N_124unique_dim_cuda_templateIiEESt5tupleIJNSA_6TensorESF_SF_EERKSF_lbbbEUlllE_EE10hipError_tT0_T1_T2_jT3_P12ihipStream_tbPNSt15iterator_traitsISL_E10value_typeEPNSR_ISM_E10value_typeEPSN_NS1_7vsmem_tEENKUlT_SL_SM_SN_E_clIS8_S8_S9_S9_EESK_S10_SL_SM_SN_EUlS10_E1_NS1_11comp_targetILNS1_3genE0ELNS1_11target_archE4294967295ELNS1_3gpuE0ELNS1_3repE0EEENS1_36merge_oddeven_config_static_selectorELNS0_4arch9wavefront6targetE1EEEvSM_
	.p2align	8
	.type	_ZN7rocprim17ROCPRIM_400000_NS6detail17trampoline_kernelINS0_14default_configENS1_38merge_sort_block_merge_config_selectorIlNS0_10empty_typeEEEZZNS1_27merge_sort_block_merge_implIS3_PlPS5_mZN2at6native12_GLOBAL__N_124unique_dim_cuda_templateIiEESt5tupleIJNSA_6TensorESF_SF_EERKSF_lbbbEUlllE_EE10hipError_tT0_T1_T2_jT3_P12ihipStream_tbPNSt15iterator_traitsISL_E10value_typeEPNSR_ISM_E10value_typeEPSN_NS1_7vsmem_tEENKUlT_SL_SM_SN_E_clIS8_S8_S9_S9_EESK_S10_SL_SM_SN_EUlS10_E1_NS1_11comp_targetILNS1_3genE0ELNS1_11target_archE4294967295ELNS1_3gpuE0ELNS1_3repE0EEENS1_36merge_oddeven_config_static_selectorELNS0_4arch9wavefront6targetE1EEEvSM_,@function
_ZN7rocprim17ROCPRIM_400000_NS6detail17trampoline_kernelINS0_14default_configENS1_38merge_sort_block_merge_config_selectorIlNS0_10empty_typeEEEZZNS1_27merge_sort_block_merge_implIS3_PlPS5_mZN2at6native12_GLOBAL__N_124unique_dim_cuda_templateIiEESt5tupleIJNSA_6TensorESF_SF_EERKSF_lbbbEUlllE_EE10hipError_tT0_T1_T2_jT3_P12ihipStream_tbPNSt15iterator_traitsISL_E10value_typeEPNSR_ISM_E10value_typeEPSN_NS1_7vsmem_tEENKUlT_SL_SM_SN_E_clIS8_S8_S9_S9_EESK_S10_SL_SM_SN_EUlS10_E1_NS1_11comp_targetILNS1_3genE0ELNS1_11target_archE4294967295ELNS1_3gpuE0ELNS1_3repE0EEENS1_36merge_oddeven_config_static_selectorELNS0_4arch9wavefront6targetE1EEEvSM_: ; @_ZN7rocprim17ROCPRIM_400000_NS6detail17trampoline_kernelINS0_14default_configENS1_38merge_sort_block_merge_config_selectorIlNS0_10empty_typeEEEZZNS1_27merge_sort_block_merge_implIS3_PlPS5_mZN2at6native12_GLOBAL__N_124unique_dim_cuda_templateIiEESt5tupleIJNSA_6TensorESF_SF_EERKSF_lbbbEUlllE_EE10hipError_tT0_T1_T2_jT3_P12ihipStream_tbPNSt15iterator_traitsISL_E10value_typeEPNSR_ISM_E10value_typeEPSN_NS1_7vsmem_tEENKUlT_SL_SM_SN_E_clIS8_S8_S9_S9_EESK_S10_SL_SM_SN_EUlS10_E1_NS1_11comp_targetILNS1_3genE0ELNS1_11target_archE4294967295ELNS1_3gpuE0ELNS1_3repE0EEENS1_36merge_oddeven_config_static_selectorELNS0_4arch9wavefront6targetE1EEEvSM_
; %bb.0:
	.section	.rodata,"a",@progbits
	.p2align	6, 0x0
	.amdhsa_kernel _ZN7rocprim17ROCPRIM_400000_NS6detail17trampoline_kernelINS0_14default_configENS1_38merge_sort_block_merge_config_selectorIlNS0_10empty_typeEEEZZNS1_27merge_sort_block_merge_implIS3_PlPS5_mZN2at6native12_GLOBAL__N_124unique_dim_cuda_templateIiEESt5tupleIJNSA_6TensorESF_SF_EERKSF_lbbbEUlllE_EE10hipError_tT0_T1_T2_jT3_P12ihipStream_tbPNSt15iterator_traitsISL_E10value_typeEPNSR_ISM_E10value_typeEPSN_NS1_7vsmem_tEENKUlT_SL_SM_SN_E_clIS8_S8_S9_S9_EESK_S10_SL_SM_SN_EUlS10_E1_NS1_11comp_targetILNS1_3genE0ELNS1_11target_archE4294967295ELNS1_3gpuE0ELNS1_3repE0EEENS1_36merge_oddeven_config_static_selectorELNS0_4arch9wavefront6targetE1EEEvSM_
		.amdhsa_group_segment_fixed_size 0
		.amdhsa_private_segment_fixed_size 0
		.amdhsa_kernarg_size 64
		.amdhsa_user_sgpr_count 2
		.amdhsa_user_sgpr_dispatch_ptr 0
		.amdhsa_user_sgpr_queue_ptr 0
		.amdhsa_user_sgpr_kernarg_segment_ptr 1
		.amdhsa_user_sgpr_dispatch_id 0
		.amdhsa_user_sgpr_kernarg_preload_length 0
		.amdhsa_user_sgpr_kernarg_preload_offset 0
		.amdhsa_user_sgpr_private_segment_size 0
		.amdhsa_uses_dynamic_stack 0
		.amdhsa_enable_private_segment 0
		.amdhsa_system_sgpr_workgroup_id_x 1
		.amdhsa_system_sgpr_workgroup_id_y 0
		.amdhsa_system_sgpr_workgroup_id_z 0
		.amdhsa_system_sgpr_workgroup_info 0
		.amdhsa_system_vgpr_workitem_id 0
		.amdhsa_next_free_vgpr 1
		.amdhsa_next_free_sgpr 0
		.amdhsa_accum_offset 4
		.amdhsa_reserve_vcc 0
		.amdhsa_float_round_mode_32 0
		.amdhsa_float_round_mode_16_64 0
		.amdhsa_float_denorm_mode_32 3
		.amdhsa_float_denorm_mode_16_64 3
		.amdhsa_dx10_clamp 1
		.amdhsa_ieee_mode 1
		.amdhsa_fp16_overflow 0
		.amdhsa_tg_split 0
		.amdhsa_exception_fp_ieee_invalid_op 0
		.amdhsa_exception_fp_denorm_src 0
		.amdhsa_exception_fp_ieee_div_zero 0
		.amdhsa_exception_fp_ieee_overflow 0
		.amdhsa_exception_fp_ieee_underflow 0
		.amdhsa_exception_fp_ieee_inexact 0
		.amdhsa_exception_int_div_zero 0
	.end_amdhsa_kernel
	.section	.text._ZN7rocprim17ROCPRIM_400000_NS6detail17trampoline_kernelINS0_14default_configENS1_38merge_sort_block_merge_config_selectorIlNS0_10empty_typeEEEZZNS1_27merge_sort_block_merge_implIS3_PlPS5_mZN2at6native12_GLOBAL__N_124unique_dim_cuda_templateIiEESt5tupleIJNSA_6TensorESF_SF_EERKSF_lbbbEUlllE_EE10hipError_tT0_T1_T2_jT3_P12ihipStream_tbPNSt15iterator_traitsISL_E10value_typeEPNSR_ISM_E10value_typeEPSN_NS1_7vsmem_tEENKUlT_SL_SM_SN_E_clIS8_S8_S9_S9_EESK_S10_SL_SM_SN_EUlS10_E1_NS1_11comp_targetILNS1_3genE0ELNS1_11target_archE4294967295ELNS1_3gpuE0ELNS1_3repE0EEENS1_36merge_oddeven_config_static_selectorELNS0_4arch9wavefront6targetE1EEEvSM_,"axG",@progbits,_ZN7rocprim17ROCPRIM_400000_NS6detail17trampoline_kernelINS0_14default_configENS1_38merge_sort_block_merge_config_selectorIlNS0_10empty_typeEEEZZNS1_27merge_sort_block_merge_implIS3_PlPS5_mZN2at6native12_GLOBAL__N_124unique_dim_cuda_templateIiEESt5tupleIJNSA_6TensorESF_SF_EERKSF_lbbbEUlllE_EE10hipError_tT0_T1_T2_jT3_P12ihipStream_tbPNSt15iterator_traitsISL_E10value_typeEPNSR_ISM_E10value_typeEPSN_NS1_7vsmem_tEENKUlT_SL_SM_SN_E_clIS8_S8_S9_S9_EESK_S10_SL_SM_SN_EUlS10_E1_NS1_11comp_targetILNS1_3genE0ELNS1_11target_archE4294967295ELNS1_3gpuE0ELNS1_3repE0EEENS1_36merge_oddeven_config_static_selectorELNS0_4arch9wavefront6targetE1EEEvSM_,comdat
.Lfunc_end411:
	.size	_ZN7rocprim17ROCPRIM_400000_NS6detail17trampoline_kernelINS0_14default_configENS1_38merge_sort_block_merge_config_selectorIlNS0_10empty_typeEEEZZNS1_27merge_sort_block_merge_implIS3_PlPS5_mZN2at6native12_GLOBAL__N_124unique_dim_cuda_templateIiEESt5tupleIJNSA_6TensorESF_SF_EERKSF_lbbbEUlllE_EE10hipError_tT0_T1_T2_jT3_P12ihipStream_tbPNSt15iterator_traitsISL_E10value_typeEPNSR_ISM_E10value_typeEPSN_NS1_7vsmem_tEENKUlT_SL_SM_SN_E_clIS8_S8_S9_S9_EESK_S10_SL_SM_SN_EUlS10_E1_NS1_11comp_targetILNS1_3genE0ELNS1_11target_archE4294967295ELNS1_3gpuE0ELNS1_3repE0EEENS1_36merge_oddeven_config_static_selectorELNS0_4arch9wavefront6targetE1EEEvSM_, .Lfunc_end411-_ZN7rocprim17ROCPRIM_400000_NS6detail17trampoline_kernelINS0_14default_configENS1_38merge_sort_block_merge_config_selectorIlNS0_10empty_typeEEEZZNS1_27merge_sort_block_merge_implIS3_PlPS5_mZN2at6native12_GLOBAL__N_124unique_dim_cuda_templateIiEESt5tupleIJNSA_6TensorESF_SF_EERKSF_lbbbEUlllE_EE10hipError_tT0_T1_T2_jT3_P12ihipStream_tbPNSt15iterator_traitsISL_E10value_typeEPNSR_ISM_E10value_typeEPSN_NS1_7vsmem_tEENKUlT_SL_SM_SN_E_clIS8_S8_S9_S9_EESK_S10_SL_SM_SN_EUlS10_E1_NS1_11comp_targetILNS1_3genE0ELNS1_11target_archE4294967295ELNS1_3gpuE0ELNS1_3repE0EEENS1_36merge_oddeven_config_static_selectorELNS0_4arch9wavefront6targetE1EEEvSM_
                                        ; -- End function
	.section	.AMDGPU.csdata,"",@progbits
; Kernel info:
; codeLenInByte = 0
; NumSgprs: 6
; NumVgprs: 0
; NumAgprs: 0
; TotalNumVgprs: 0
; ScratchSize: 0
; MemoryBound: 0
; FloatMode: 240
; IeeeMode: 1
; LDSByteSize: 0 bytes/workgroup (compile time only)
; SGPRBlocks: 0
; VGPRBlocks: 0
; NumSGPRsForWavesPerEU: 6
; NumVGPRsForWavesPerEU: 1
; AccumOffset: 4
; Occupancy: 8
; WaveLimiterHint : 0
; COMPUTE_PGM_RSRC2:SCRATCH_EN: 0
; COMPUTE_PGM_RSRC2:USER_SGPR: 2
; COMPUTE_PGM_RSRC2:TRAP_HANDLER: 0
; COMPUTE_PGM_RSRC2:TGID_X_EN: 1
; COMPUTE_PGM_RSRC2:TGID_Y_EN: 0
; COMPUTE_PGM_RSRC2:TGID_Z_EN: 0
; COMPUTE_PGM_RSRC2:TIDIG_COMP_CNT: 0
; COMPUTE_PGM_RSRC3_GFX90A:ACCUM_OFFSET: 0
; COMPUTE_PGM_RSRC3_GFX90A:TG_SPLIT: 0
	.section	.text._ZN7rocprim17ROCPRIM_400000_NS6detail17trampoline_kernelINS0_14default_configENS1_38merge_sort_block_merge_config_selectorIlNS0_10empty_typeEEEZZNS1_27merge_sort_block_merge_implIS3_PlPS5_mZN2at6native12_GLOBAL__N_124unique_dim_cuda_templateIiEESt5tupleIJNSA_6TensorESF_SF_EERKSF_lbbbEUlllE_EE10hipError_tT0_T1_T2_jT3_P12ihipStream_tbPNSt15iterator_traitsISL_E10value_typeEPNSR_ISM_E10value_typeEPSN_NS1_7vsmem_tEENKUlT_SL_SM_SN_E_clIS8_S8_S9_S9_EESK_S10_SL_SM_SN_EUlS10_E1_NS1_11comp_targetILNS1_3genE10ELNS1_11target_archE1201ELNS1_3gpuE5ELNS1_3repE0EEENS1_36merge_oddeven_config_static_selectorELNS0_4arch9wavefront6targetE1EEEvSM_,"axG",@progbits,_ZN7rocprim17ROCPRIM_400000_NS6detail17trampoline_kernelINS0_14default_configENS1_38merge_sort_block_merge_config_selectorIlNS0_10empty_typeEEEZZNS1_27merge_sort_block_merge_implIS3_PlPS5_mZN2at6native12_GLOBAL__N_124unique_dim_cuda_templateIiEESt5tupleIJNSA_6TensorESF_SF_EERKSF_lbbbEUlllE_EE10hipError_tT0_T1_T2_jT3_P12ihipStream_tbPNSt15iterator_traitsISL_E10value_typeEPNSR_ISM_E10value_typeEPSN_NS1_7vsmem_tEENKUlT_SL_SM_SN_E_clIS8_S8_S9_S9_EESK_S10_SL_SM_SN_EUlS10_E1_NS1_11comp_targetILNS1_3genE10ELNS1_11target_archE1201ELNS1_3gpuE5ELNS1_3repE0EEENS1_36merge_oddeven_config_static_selectorELNS0_4arch9wavefront6targetE1EEEvSM_,comdat
	.globl	_ZN7rocprim17ROCPRIM_400000_NS6detail17trampoline_kernelINS0_14default_configENS1_38merge_sort_block_merge_config_selectorIlNS0_10empty_typeEEEZZNS1_27merge_sort_block_merge_implIS3_PlPS5_mZN2at6native12_GLOBAL__N_124unique_dim_cuda_templateIiEESt5tupleIJNSA_6TensorESF_SF_EERKSF_lbbbEUlllE_EE10hipError_tT0_T1_T2_jT3_P12ihipStream_tbPNSt15iterator_traitsISL_E10value_typeEPNSR_ISM_E10value_typeEPSN_NS1_7vsmem_tEENKUlT_SL_SM_SN_E_clIS8_S8_S9_S9_EESK_S10_SL_SM_SN_EUlS10_E1_NS1_11comp_targetILNS1_3genE10ELNS1_11target_archE1201ELNS1_3gpuE5ELNS1_3repE0EEENS1_36merge_oddeven_config_static_selectorELNS0_4arch9wavefront6targetE1EEEvSM_ ; -- Begin function _ZN7rocprim17ROCPRIM_400000_NS6detail17trampoline_kernelINS0_14default_configENS1_38merge_sort_block_merge_config_selectorIlNS0_10empty_typeEEEZZNS1_27merge_sort_block_merge_implIS3_PlPS5_mZN2at6native12_GLOBAL__N_124unique_dim_cuda_templateIiEESt5tupleIJNSA_6TensorESF_SF_EERKSF_lbbbEUlllE_EE10hipError_tT0_T1_T2_jT3_P12ihipStream_tbPNSt15iterator_traitsISL_E10value_typeEPNSR_ISM_E10value_typeEPSN_NS1_7vsmem_tEENKUlT_SL_SM_SN_E_clIS8_S8_S9_S9_EESK_S10_SL_SM_SN_EUlS10_E1_NS1_11comp_targetILNS1_3genE10ELNS1_11target_archE1201ELNS1_3gpuE5ELNS1_3repE0EEENS1_36merge_oddeven_config_static_selectorELNS0_4arch9wavefront6targetE1EEEvSM_
	.p2align	8
	.type	_ZN7rocprim17ROCPRIM_400000_NS6detail17trampoline_kernelINS0_14default_configENS1_38merge_sort_block_merge_config_selectorIlNS0_10empty_typeEEEZZNS1_27merge_sort_block_merge_implIS3_PlPS5_mZN2at6native12_GLOBAL__N_124unique_dim_cuda_templateIiEESt5tupleIJNSA_6TensorESF_SF_EERKSF_lbbbEUlllE_EE10hipError_tT0_T1_T2_jT3_P12ihipStream_tbPNSt15iterator_traitsISL_E10value_typeEPNSR_ISM_E10value_typeEPSN_NS1_7vsmem_tEENKUlT_SL_SM_SN_E_clIS8_S8_S9_S9_EESK_S10_SL_SM_SN_EUlS10_E1_NS1_11comp_targetILNS1_3genE10ELNS1_11target_archE1201ELNS1_3gpuE5ELNS1_3repE0EEENS1_36merge_oddeven_config_static_selectorELNS0_4arch9wavefront6targetE1EEEvSM_,@function
_ZN7rocprim17ROCPRIM_400000_NS6detail17trampoline_kernelINS0_14default_configENS1_38merge_sort_block_merge_config_selectorIlNS0_10empty_typeEEEZZNS1_27merge_sort_block_merge_implIS3_PlPS5_mZN2at6native12_GLOBAL__N_124unique_dim_cuda_templateIiEESt5tupleIJNSA_6TensorESF_SF_EERKSF_lbbbEUlllE_EE10hipError_tT0_T1_T2_jT3_P12ihipStream_tbPNSt15iterator_traitsISL_E10value_typeEPNSR_ISM_E10value_typeEPSN_NS1_7vsmem_tEENKUlT_SL_SM_SN_E_clIS8_S8_S9_S9_EESK_S10_SL_SM_SN_EUlS10_E1_NS1_11comp_targetILNS1_3genE10ELNS1_11target_archE1201ELNS1_3gpuE5ELNS1_3repE0EEENS1_36merge_oddeven_config_static_selectorELNS0_4arch9wavefront6targetE1EEEvSM_: ; @_ZN7rocprim17ROCPRIM_400000_NS6detail17trampoline_kernelINS0_14default_configENS1_38merge_sort_block_merge_config_selectorIlNS0_10empty_typeEEEZZNS1_27merge_sort_block_merge_implIS3_PlPS5_mZN2at6native12_GLOBAL__N_124unique_dim_cuda_templateIiEESt5tupleIJNSA_6TensorESF_SF_EERKSF_lbbbEUlllE_EE10hipError_tT0_T1_T2_jT3_P12ihipStream_tbPNSt15iterator_traitsISL_E10value_typeEPNSR_ISM_E10value_typeEPSN_NS1_7vsmem_tEENKUlT_SL_SM_SN_E_clIS8_S8_S9_S9_EESK_S10_SL_SM_SN_EUlS10_E1_NS1_11comp_targetILNS1_3genE10ELNS1_11target_archE1201ELNS1_3gpuE5ELNS1_3repE0EEENS1_36merge_oddeven_config_static_selectorELNS0_4arch9wavefront6targetE1EEEvSM_
; %bb.0:
	.section	.rodata,"a",@progbits
	.p2align	6, 0x0
	.amdhsa_kernel _ZN7rocprim17ROCPRIM_400000_NS6detail17trampoline_kernelINS0_14default_configENS1_38merge_sort_block_merge_config_selectorIlNS0_10empty_typeEEEZZNS1_27merge_sort_block_merge_implIS3_PlPS5_mZN2at6native12_GLOBAL__N_124unique_dim_cuda_templateIiEESt5tupleIJNSA_6TensorESF_SF_EERKSF_lbbbEUlllE_EE10hipError_tT0_T1_T2_jT3_P12ihipStream_tbPNSt15iterator_traitsISL_E10value_typeEPNSR_ISM_E10value_typeEPSN_NS1_7vsmem_tEENKUlT_SL_SM_SN_E_clIS8_S8_S9_S9_EESK_S10_SL_SM_SN_EUlS10_E1_NS1_11comp_targetILNS1_3genE10ELNS1_11target_archE1201ELNS1_3gpuE5ELNS1_3repE0EEENS1_36merge_oddeven_config_static_selectorELNS0_4arch9wavefront6targetE1EEEvSM_
		.amdhsa_group_segment_fixed_size 0
		.amdhsa_private_segment_fixed_size 0
		.amdhsa_kernarg_size 64
		.amdhsa_user_sgpr_count 2
		.amdhsa_user_sgpr_dispatch_ptr 0
		.amdhsa_user_sgpr_queue_ptr 0
		.amdhsa_user_sgpr_kernarg_segment_ptr 1
		.amdhsa_user_sgpr_dispatch_id 0
		.amdhsa_user_sgpr_kernarg_preload_length 0
		.amdhsa_user_sgpr_kernarg_preload_offset 0
		.amdhsa_user_sgpr_private_segment_size 0
		.amdhsa_uses_dynamic_stack 0
		.amdhsa_enable_private_segment 0
		.amdhsa_system_sgpr_workgroup_id_x 1
		.amdhsa_system_sgpr_workgroup_id_y 0
		.amdhsa_system_sgpr_workgroup_id_z 0
		.amdhsa_system_sgpr_workgroup_info 0
		.amdhsa_system_vgpr_workitem_id 0
		.amdhsa_next_free_vgpr 1
		.amdhsa_next_free_sgpr 0
		.amdhsa_accum_offset 4
		.amdhsa_reserve_vcc 0
		.amdhsa_float_round_mode_32 0
		.amdhsa_float_round_mode_16_64 0
		.amdhsa_float_denorm_mode_32 3
		.amdhsa_float_denorm_mode_16_64 3
		.amdhsa_dx10_clamp 1
		.amdhsa_ieee_mode 1
		.amdhsa_fp16_overflow 0
		.amdhsa_tg_split 0
		.amdhsa_exception_fp_ieee_invalid_op 0
		.amdhsa_exception_fp_denorm_src 0
		.amdhsa_exception_fp_ieee_div_zero 0
		.amdhsa_exception_fp_ieee_overflow 0
		.amdhsa_exception_fp_ieee_underflow 0
		.amdhsa_exception_fp_ieee_inexact 0
		.amdhsa_exception_int_div_zero 0
	.end_amdhsa_kernel
	.section	.text._ZN7rocprim17ROCPRIM_400000_NS6detail17trampoline_kernelINS0_14default_configENS1_38merge_sort_block_merge_config_selectorIlNS0_10empty_typeEEEZZNS1_27merge_sort_block_merge_implIS3_PlPS5_mZN2at6native12_GLOBAL__N_124unique_dim_cuda_templateIiEESt5tupleIJNSA_6TensorESF_SF_EERKSF_lbbbEUlllE_EE10hipError_tT0_T1_T2_jT3_P12ihipStream_tbPNSt15iterator_traitsISL_E10value_typeEPNSR_ISM_E10value_typeEPSN_NS1_7vsmem_tEENKUlT_SL_SM_SN_E_clIS8_S8_S9_S9_EESK_S10_SL_SM_SN_EUlS10_E1_NS1_11comp_targetILNS1_3genE10ELNS1_11target_archE1201ELNS1_3gpuE5ELNS1_3repE0EEENS1_36merge_oddeven_config_static_selectorELNS0_4arch9wavefront6targetE1EEEvSM_,"axG",@progbits,_ZN7rocprim17ROCPRIM_400000_NS6detail17trampoline_kernelINS0_14default_configENS1_38merge_sort_block_merge_config_selectorIlNS0_10empty_typeEEEZZNS1_27merge_sort_block_merge_implIS3_PlPS5_mZN2at6native12_GLOBAL__N_124unique_dim_cuda_templateIiEESt5tupleIJNSA_6TensorESF_SF_EERKSF_lbbbEUlllE_EE10hipError_tT0_T1_T2_jT3_P12ihipStream_tbPNSt15iterator_traitsISL_E10value_typeEPNSR_ISM_E10value_typeEPSN_NS1_7vsmem_tEENKUlT_SL_SM_SN_E_clIS8_S8_S9_S9_EESK_S10_SL_SM_SN_EUlS10_E1_NS1_11comp_targetILNS1_3genE10ELNS1_11target_archE1201ELNS1_3gpuE5ELNS1_3repE0EEENS1_36merge_oddeven_config_static_selectorELNS0_4arch9wavefront6targetE1EEEvSM_,comdat
.Lfunc_end412:
	.size	_ZN7rocprim17ROCPRIM_400000_NS6detail17trampoline_kernelINS0_14default_configENS1_38merge_sort_block_merge_config_selectorIlNS0_10empty_typeEEEZZNS1_27merge_sort_block_merge_implIS3_PlPS5_mZN2at6native12_GLOBAL__N_124unique_dim_cuda_templateIiEESt5tupleIJNSA_6TensorESF_SF_EERKSF_lbbbEUlllE_EE10hipError_tT0_T1_T2_jT3_P12ihipStream_tbPNSt15iterator_traitsISL_E10value_typeEPNSR_ISM_E10value_typeEPSN_NS1_7vsmem_tEENKUlT_SL_SM_SN_E_clIS8_S8_S9_S9_EESK_S10_SL_SM_SN_EUlS10_E1_NS1_11comp_targetILNS1_3genE10ELNS1_11target_archE1201ELNS1_3gpuE5ELNS1_3repE0EEENS1_36merge_oddeven_config_static_selectorELNS0_4arch9wavefront6targetE1EEEvSM_, .Lfunc_end412-_ZN7rocprim17ROCPRIM_400000_NS6detail17trampoline_kernelINS0_14default_configENS1_38merge_sort_block_merge_config_selectorIlNS0_10empty_typeEEEZZNS1_27merge_sort_block_merge_implIS3_PlPS5_mZN2at6native12_GLOBAL__N_124unique_dim_cuda_templateIiEESt5tupleIJNSA_6TensorESF_SF_EERKSF_lbbbEUlllE_EE10hipError_tT0_T1_T2_jT3_P12ihipStream_tbPNSt15iterator_traitsISL_E10value_typeEPNSR_ISM_E10value_typeEPSN_NS1_7vsmem_tEENKUlT_SL_SM_SN_E_clIS8_S8_S9_S9_EESK_S10_SL_SM_SN_EUlS10_E1_NS1_11comp_targetILNS1_3genE10ELNS1_11target_archE1201ELNS1_3gpuE5ELNS1_3repE0EEENS1_36merge_oddeven_config_static_selectorELNS0_4arch9wavefront6targetE1EEEvSM_
                                        ; -- End function
	.section	.AMDGPU.csdata,"",@progbits
; Kernel info:
; codeLenInByte = 0
; NumSgprs: 6
; NumVgprs: 0
; NumAgprs: 0
; TotalNumVgprs: 0
; ScratchSize: 0
; MemoryBound: 0
; FloatMode: 240
; IeeeMode: 1
; LDSByteSize: 0 bytes/workgroup (compile time only)
; SGPRBlocks: 0
; VGPRBlocks: 0
; NumSGPRsForWavesPerEU: 6
; NumVGPRsForWavesPerEU: 1
; AccumOffset: 4
; Occupancy: 8
; WaveLimiterHint : 0
; COMPUTE_PGM_RSRC2:SCRATCH_EN: 0
; COMPUTE_PGM_RSRC2:USER_SGPR: 2
; COMPUTE_PGM_RSRC2:TRAP_HANDLER: 0
; COMPUTE_PGM_RSRC2:TGID_X_EN: 1
; COMPUTE_PGM_RSRC2:TGID_Y_EN: 0
; COMPUTE_PGM_RSRC2:TGID_Z_EN: 0
; COMPUTE_PGM_RSRC2:TIDIG_COMP_CNT: 0
; COMPUTE_PGM_RSRC3_GFX90A:ACCUM_OFFSET: 0
; COMPUTE_PGM_RSRC3_GFX90A:TG_SPLIT: 0
	.section	.text._ZN7rocprim17ROCPRIM_400000_NS6detail17trampoline_kernelINS0_14default_configENS1_38merge_sort_block_merge_config_selectorIlNS0_10empty_typeEEEZZNS1_27merge_sort_block_merge_implIS3_PlPS5_mZN2at6native12_GLOBAL__N_124unique_dim_cuda_templateIiEESt5tupleIJNSA_6TensorESF_SF_EERKSF_lbbbEUlllE_EE10hipError_tT0_T1_T2_jT3_P12ihipStream_tbPNSt15iterator_traitsISL_E10value_typeEPNSR_ISM_E10value_typeEPSN_NS1_7vsmem_tEENKUlT_SL_SM_SN_E_clIS8_S8_S9_S9_EESK_S10_SL_SM_SN_EUlS10_E1_NS1_11comp_targetILNS1_3genE5ELNS1_11target_archE942ELNS1_3gpuE9ELNS1_3repE0EEENS1_36merge_oddeven_config_static_selectorELNS0_4arch9wavefront6targetE1EEEvSM_,"axG",@progbits,_ZN7rocprim17ROCPRIM_400000_NS6detail17trampoline_kernelINS0_14default_configENS1_38merge_sort_block_merge_config_selectorIlNS0_10empty_typeEEEZZNS1_27merge_sort_block_merge_implIS3_PlPS5_mZN2at6native12_GLOBAL__N_124unique_dim_cuda_templateIiEESt5tupleIJNSA_6TensorESF_SF_EERKSF_lbbbEUlllE_EE10hipError_tT0_T1_T2_jT3_P12ihipStream_tbPNSt15iterator_traitsISL_E10value_typeEPNSR_ISM_E10value_typeEPSN_NS1_7vsmem_tEENKUlT_SL_SM_SN_E_clIS8_S8_S9_S9_EESK_S10_SL_SM_SN_EUlS10_E1_NS1_11comp_targetILNS1_3genE5ELNS1_11target_archE942ELNS1_3gpuE9ELNS1_3repE0EEENS1_36merge_oddeven_config_static_selectorELNS0_4arch9wavefront6targetE1EEEvSM_,comdat
	.globl	_ZN7rocprim17ROCPRIM_400000_NS6detail17trampoline_kernelINS0_14default_configENS1_38merge_sort_block_merge_config_selectorIlNS0_10empty_typeEEEZZNS1_27merge_sort_block_merge_implIS3_PlPS5_mZN2at6native12_GLOBAL__N_124unique_dim_cuda_templateIiEESt5tupleIJNSA_6TensorESF_SF_EERKSF_lbbbEUlllE_EE10hipError_tT0_T1_T2_jT3_P12ihipStream_tbPNSt15iterator_traitsISL_E10value_typeEPNSR_ISM_E10value_typeEPSN_NS1_7vsmem_tEENKUlT_SL_SM_SN_E_clIS8_S8_S9_S9_EESK_S10_SL_SM_SN_EUlS10_E1_NS1_11comp_targetILNS1_3genE5ELNS1_11target_archE942ELNS1_3gpuE9ELNS1_3repE0EEENS1_36merge_oddeven_config_static_selectorELNS0_4arch9wavefront6targetE1EEEvSM_ ; -- Begin function _ZN7rocprim17ROCPRIM_400000_NS6detail17trampoline_kernelINS0_14default_configENS1_38merge_sort_block_merge_config_selectorIlNS0_10empty_typeEEEZZNS1_27merge_sort_block_merge_implIS3_PlPS5_mZN2at6native12_GLOBAL__N_124unique_dim_cuda_templateIiEESt5tupleIJNSA_6TensorESF_SF_EERKSF_lbbbEUlllE_EE10hipError_tT0_T1_T2_jT3_P12ihipStream_tbPNSt15iterator_traitsISL_E10value_typeEPNSR_ISM_E10value_typeEPSN_NS1_7vsmem_tEENKUlT_SL_SM_SN_E_clIS8_S8_S9_S9_EESK_S10_SL_SM_SN_EUlS10_E1_NS1_11comp_targetILNS1_3genE5ELNS1_11target_archE942ELNS1_3gpuE9ELNS1_3repE0EEENS1_36merge_oddeven_config_static_selectorELNS0_4arch9wavefront6targetE1EEEvSM_
	.p2align	8
	.type	_ZN7rocprim17ROCPRIM_400000_NS6detail17trampoline_kernelINS0_14default_configENS1_38merge_sort_block_merge_config_selectorIlNS0_10empty_typeEEEZZNS1_27merge_sort_block_merge_implIS3_PlPS5_mZN2at6native12_GLOBAL__N_124unique_dim_cuda_templateIiEESt5tupleIJNSA_6TensorESF_SF_EERKSF_lbbbEUlllE_EE10hipError_tT0_T1_T2_jT3_P12ihipStream_tbPNSt15iterator_traitsISL_E10value_typeEPNSR_ISM_E10value_typeEPSN_NS1_7vsmem_tEENKUlT_SL_SM_SN_E_clIS8_S8_S9_S9_EESK_S10_SL_SM_SN_EUlS10_E1_NS1_11comp_targetILNS1_3genE5ELNS1_11target_archE942ELNS1_3gpuE9ELNS1_3repE0EEENS1_36merge_oddeven_config_static_selectorELNS0_4arch9wavefront6targetE1EEEvSM_,@function
_ZN7rocprim17ROCPRIM_400000_NS6detail17trampoline_kernelINS0_14default_configENS1_38merge_sort_block_merge_config_selectorIlNS0_10empty_typeEEEZZNS1_27merge_sort_block_merge_implIS3_PlPS5_mZN2at6native12_GLOBAL__N_124unique_dim_cuda_templateIiEESt5tupleIJNSA_6TensorESF_SF_EERKSF_lbbbEUlllE_EE10hipError_tT0_T1_T2_jT3_P12ihipStream_tbPNSt15iterator_traitsISL_E10value_typeEPNSR_ISM_E10value_typeEPSN_NS1_7vsmem_tEENKUlT_SL_SM_SN_E_clIS8_S8_S9_S9_EESK_S10_SL_SM_SN_EUlS10_E1_NS1_11comp_targetILNS1_3genE5ELNS1_11target_archE942ELNS1_3gpuE9ELNS1_3repE0EEENS1_36merge_oddeven_config_static_selectorELNS0_4arch9wavefront6targetE1EEEvSM_: ; @_ZN7rocprim17ROCPRIM_400000_NS6detail17trampoline_kernelINS0_14default_configENS1_38merge_sort_block_merge_config_selectorIlNS0_10empty_typeEEEZZNS1_27merge_sort_block_merge_implIS3_PlPS5_mZN2at6native12_GLOBAL__N_124unique_dim_cuda_templateIiEESt5tupleIJNSA_6TensorESF_SF_EERKSF_lbbbEUlllE_EE10hipError_tT0_T1_T2_jT3_P12ihipStream_tbPNSt15iterator_traitsISL_E10value_typeEPNSR_ISM_E10value_typeEPSN_NS1_7vsmem_tEENKUlT_SL_SM_SN_E_clIS8_S8_S9_S9_EESK_S10_SL_SM_SN_EUlS10_E1_NS1_11comp_targetILNS1_3genE5ELNS1_11target_archE942ELNS1_3gpuE9ELNS1_3repE0EEENS1_36merge_oddeven_config_static_selectorELNS0_4arch9wavefront6targetE1EEEvSM_
; %bb.0:
	s_load_dword s22, s[0:1], 0x20
	s_waitcnt lgkmcnt(0)
	s_lshr_b32 s3, s22, 8
	s_cmp_lg_u32 s2, s3
	s_cselect_b64 s[12:13], -1, 0
	s_cmp_eq_u32 s2, s3
	s_cselect_b64 s[6:7], -1, 0
	s_lshl_b32 s20, s2, 8
	s_sub_i32 s3, s22, s20
	v_cmp_gt_u32_e64 s[4:5], s3, v0
	s_or_b64 s[8:9], s[12:13], s[4:5]
	s_and_saveexec_b64 s[10:11], s[8:9]
	s_cbranch_execz .LBB413_54
; %bb.1:
	s_load_dwordx4 s[8:11], s[0:1], 0x0
	s_load_dword s23, s[0:1], 0x28
	s_mov_b32 s21, 0
	s_lshl_b64 s[14:15], s[20:21], 3
	v_lshlrev_b32_e32 v1, 3, v0
	s_waitcnt lgkmcnt(0)
	s_add_u32 s14, s8, s14
	s_addc_u32 s15, s9, s15
	global_load_dwordx2 v[2:3], v1, s[14:15]
	s_lshr_b32 s3, s23, 8
	s_sub_i32 s14, 0, s3
	s_and_b32 s2, s2, s14
	s_and_b32 s3, s2, s3
	s_cmp_lg_u32 s3, 0
	s_cselect_b64 s[16:17], -1, 0
	s_lshl_b32 s21, s2, 8
	s_sub_i32 s2, 0, s23
	s_cmp_eq_u32 s3, 0
	s_cselect_b32 s33, s23, s2
	s_add_i32 s33, s33, s21
	s_cmp_lt_u32 s33, s22
	s_cbranch_scc1 .LBB413_3
; %bb.2:
	v_add_u32_e32 v4, s20, v0
	v_cmp_gt_u32_e32 vcc, s22, v4
	s_or_b64 s[12:13], vcc, s[12:13]
	s_and_b64 s[18:19], s[12:13], exec
	s_cbranch_execz .LBB413_4
	s_branch .LBB413_52
.LBB413_3:
	s_mov_b64 s[18:19], 0
                                        ; implicit-def: $vgpr4
.LBB413_4:
	s_load_dwordx4 s[12:15], s[0:1], 0x30
	s_min_u32 s44, s33, s22
	s_add_i32 s0, s44, s23
	s_min_u32 s45, s0, s22
	s_min_u32 s0, s21, s44
	v_add_u32_e32 v0, s20, v0
	s_add_i32 s21, s21, s44
	v_subrev_u32_e32 v0, s21, v0
	v_add_u32_e32 v14, s0, v0
	s_and_b64 vcc, exec, s[6:7]
	s_cbranch_vccz .LBB413_26
; %bb.5:
                                        ; implicit-def: $vgpr4
	s_and_saveexec_b64 s[20:21], s[4:5]
	s_cbranch_execz .LBB413_29
; %bb.6:
	s_cmp_ge_u32 s33, s45
	v_mov_b32_e32 v15, s44
	s_cbranch_scc1 .LBB413_28
; %bb.7:
	s_waitcnt vmcnt(0) lgkmcnt(0)
	v_mul_lo_u32 v0, v3, s12
	v_mul_lo_u32 v1, v2, s13
	v_mad_u64_u32 v[4:5], s[0:1], v2, s12, 0
	v_cndmask_b32_e64 v6, 0, 1, s[16:17]
	v_cmp_gt_i64_e64 s[2:3], s[12:13], 0
	v_add3_u32 v5, v5, v1, v0
	v_cmp_ne_u32_e64 s[0:1], 1, v6
	v_cndmask_b32_e64 v6, 0, 1, s[2:3]
	s_mov_b64 s[22:23], 0
	v_mov_b64_e32 v[0:1], s[14:15]
	v_lshl_add_u64 v[4:5], v[4:5], 2, s[14:15]
	s_lshl_b64 s[24:25], s[12:13], 2
	v_mov_b32_e32 v16, s45
	v_mov_b32_e32 v15, s44
	v_mov_b32_e32 v7, 0
	v_cmp_ne_u32_e64 s[2:3], 1, v6
	s_branch .LBB413_10
.LBB413_8:                              ;   in Loop: Header=BB413_10 Depth=1
	s_or_b64 exec, exec, s[28:29]
.LBB413_9:                              ;   in Loop: Header=BB413_10 Depth=1
	s_waitcnt vmcnt(0)
	v_add_u32_e32 v8, 1, v6
	v_cndmask_b32_e64 v16, v6, v16, s[26:27]
	v_cndmask_b32_e64 v15, v15, v8, s[26:27]
	v_cmp_ge_u32_e32 vcc, v15, v16
	s_or_b64 s[22:23], vcc, s[22:23]
	s_andn2_b64 exec, exec, s[22:23]
	s_cbranch_execz .LBB413_27
.LBB413_10:                             ; =>This Loop Header: Depth=1
                                        ;     Child Loop BB413_14 Depth 2
                                        ;     Child Loop BB413_23 Depth 2
	v_add_u32_e32 v6, v15, v16
	v_lshrrev_b32_e32 v6, 1, v6
	v_lshl_add_u64 v[8:9], v[6:7], 3, s[8:9]
	global_load_dwordx2 v[8:9], v[8:9], off
	s_and_b64 vcc, exec, s[0:1]
	s_mov_b64 s[4:5], -1
                                        ; implicit-def: $sgpr26_sgpr27
	s_cbranch_vccnz .LBB413_19
; %bb.11:                               ;   in Loop: Header=BB413_10 Depth=1
	s_and_b64 vcc, exec, s[2:3]
	s_cbranch_vccnz .LBB413_17
; %bb.12:                               ;   in Loop: Header=BB413_10 Depth=1
	s_waitcnt vmcnt(0)
	v_mad_u64_u32 v[10:11], s[4:5], s24, v8, v[0:1]
	v_mul_lo_u32 v12, s24, v9
	v_mul_lo_u32 v13, s25, v8
	v_add3_u32 v11, v13, v11, v12
	s_mov_b64 s[28:29], 0
	s_mov_b64 s[36:37], s[12:13]
	v_mov_b64_e32 v[12:13], v[4:5]
                                        ; implicit-def: $sgpr26_sgpr27
                                        ; implicit-def: $sgpr30_sgpr31
                                        ; implicit-def: $sgpr34_sgpr35
                                        ; implicit-def: $sgpr4_sgpr5
                                        ; implicit-def: $sgpr38_sgpr39
	s_branch .LBB413_14
.LBB413_13:                             ;   in Loop: Header=BB413_14 Depth=2
	s_or_b64 exec, exec, s[40:41]
	s_and_b64 s[6:7], exec, s[30:31]
	s_or_b64 s[28:29], s[6:7], s[28:29]
	s_andn2_b64 s[6:7], s[38:39], exec
	s_and_b64 s[38:39], s[34:35], exec
	s_or_b64 s[38:39], s[6:7], s[38:39]
	s_andn2_b64 s[6:7], s[26:27], exec
	s_and_b64 s[26:27], s[4:5], exec
	s_or_b64 s[26:27], s[6:7], s[26:27]
	s_andn2_b64 exec, exec, s[28:29]
	s_cbranch_execz .LBB413_16
.LBB413_14:                             ;   Parent Loop BB413_10 Depth=1
                                        ; =>  This Inner Loop Header: Depth=2
	global_load_dword v17, v[12:13], off
	global_load_dword v18, v[10:11], off
	s_andn2_b64 s[40:41], s[4:5], exec
	s_andn2_b64 s[34:35], s[34:35], exec
	s_or_b64 s[30:31], s[30:31], exec
	s_waitcnt vmcnt(0)
	v_cmp_le_i32_e64 s[4:5], v17, v18
	v_cmp_lt_i32_e32 vcc, v17, v18
	s_and_b64 s[4:5], s[4:5], s[38:39]
	s_or_b64 s[42:43], vcc, s[4:5]
	s_and_b64 s[4:5], s[42:43], exec
	v_cmp_eq_u32_e64 s[6:7], v17, v18
	s_or_b64 s[4:5], s[40:41], s[4:5]
	s_and_saveexec_b64 s[40:41], s[6:7]
	s_cbranch_execz .LBB413_13
; %bb.15:                               ;   in Loop: Header=BB413_14 Depth=2
	s_add_u32 s36, s36, -1
	s_addc_u32 s37, s37, -1
	s_cmp_eq_u64 s[36:37], 0
	s_cselect_b64 s[6:7], -1, 0
	s_andn2_b64 s[34:35], s[34:35], exec
	s_and_b64 s[38:39], s[42:43], exec
	s_andn2_b64 s[30:31], s[30:31], exec
	s_and_b64 s[6:7], s[6:7], exec
	v_lshl_add_u64 v[12:13], v[12:13], 0, 4
	v_lshl_add_u64 v[10:11], v[10:11], 0, 4
	s_andn2_b64 s[4:5], s[4:5], exec
	s_or_b64 s[34:35], s[34:35], s[38:39]
	s_or_b64 s[30:31], s[30:31], s[6:7]
                                        ; implicit-def: $sgpr38_sgpr39
	s_branch .LBB413_13
.LBB413_16:                             ;   in Loop: Header=BB413_10 Depth=1
	s_or_b64 exec, exec, s[28:29]
	s_branch .LBB413_18
.LBB413_17:                             ;   in Loop: Header=BB413_10 Depth=1
	s_mov_b64 s[26:27], 0
.LBB413_18:                             ;   in Loop: Header=BB413_10 Depth=1
	s_xor_b64 s[26:27], s[26:27], -1
	s_mov_b64 s[4:5], 0
.LBB413_19:                             ;   in Loop: Header=BB413_10 Depth=1
	s_and_b64 vcc, exec, s[4:5]
	s_cbranch_vccz .LBB413_9
; %bb.20:                               ;   in Loop: Header=BB413_10 Depth=1
	s_and_b64 vcc, exec, s[2:3]
	s_cbranch_vccnz .LBB413_25
; %bb.21:                               ;   in Loop: Header=BB413_10 Depth=1
	s_waitcnt vmcnt(0)
	v_mad_u64_u32 v[10:11], s[4:5], s24, v8, v[0:1]
	v_mul_lo_u32 v9, s24, v9
	v_mul_lo_u32 v8, s25, v8
	v_add3_u32 v11, v8, v11, v9
	s_mov_b64 s[28:29], 0
	s_mov_b64 s[36:37], s[12:13]
	v_mov_b64_e32 v[8:9], v[4:5]
                                        ; implicit-def: $sgpr26_sgpr27
                                        ; implicit-def: $sgpr30_sgpr31
                                        ; implicit-def: $sgpr34_sgpr35
                                        ; implicit-def: $sgpr4_sgpr5
                                        ; implicit-def: $sgpr38_sgpr39
	s_branch .LBB413_23
.LBB413_22:                             ;   in Loop: Header=BB413_23 Depth=2
	s_or_b64 exec, exec, s[40:41]
	s_and_b64 s[6:7], exec, s[30:31]
	s_or_b64 s[28:29], s[6:7], s[28:29]
	s_andn2_b64 s[6:7], s[38:39], exec
	s_and_b64 s[38:39], s[34:35], exec
	s_or_b64 s[38:39], s[6:7], s[38:39]
	s_andn2_b64 s[6:7], s[26:27], exec
	s_and_b64 s[26:27], s[4:5], exec
	s_or_b64 s[26:27], s[6:7], s[26:27]
	s_andn2_b64 exec, exec, s[28:29]
	s_cbranch_execz .LBB413_8
.LBB413_23:                             ;   Parent Loop BB413_10 Depth=1
                                        ; =>  This Inner Loop Header: Depth=2
	global_load_dword v12, v[10:11], off
	global_load_dword v13, v[8:9], off
	s_andn2_b64 s[40:41], s[4:5], exec
	s_andn2_b64 s[34:35], s[34:35], exec
	s_or_b64 s[30:31], s[30:31], exec
	s_waitcnt vmcnt(0)
	v_cmp_le_i32_e64 s[4:5], v12, v13
	v_cmp_lt_i32_e32 vcc, v12, v13
	s_and_b64 s[4:5], s[4:5], s[38:39]
	s_or_b64 s[42:43], vcc, s[4:5]
	s_and_b64 s[4:5], s[42:43], exec
	v_cmp_eq_u32_e64 s[6:7], v12, v13
	s_or_b64 s[4:5], s[40:41], s[4:5]
	s_and_saveexec_b64 s[40:41], s[6:7]
	s_cbranch_execz .LBB413_22
; %bb.24:                               ;   in Loop: Header=BB413_23 Depth=2
	s_add_u32 s36, s36, -1
	s_addc_u32 s37, s37, -1
	s_cmp_eq_u64 s[36:37], 0
	s_cselect_b64 s[6:7], -1, 0
	s_andn2_b64 s[34:35], s[34:35], exec
	s_and_b64 s[38:39], s[42:43], exec
	s_andn2_b64 s[30:31], s[30:31], exec
	s_and_b64 s[6:7], s[6:7], exec
	v_lshl_add_u64 v[10:11], v[10:11], 0, 4
	v_lshl_add_u64 v[8:9], v[8:9], 0, 4
	s_andn2_b64 s[4:5], s[4:5], exec
	s_or_b64 s[34:35], s[34:35], s[38:39]
	s_or_b64 s[30:31], s[30:31], s[6:7]
                                        ; implicit-def: $sgpr38_sgpr39
	s_branch .LBB413_22
.LBB413_25:                             ;   in Loop: Header=BB413_10 Depth=1
	s_mov_b64 s[26:27], 0
	s_branch .LBB413_9
.LBB413_26:
                                        ; implicit-def: $vgpr4
	s_cbranch_execnz .LBB413_30
	s_branch .LBB413_52
.LBB413_27:
	s_or_b64 exec, exec, s[22:23]
.LBB413_28:
	v_add_u32_e32 v4, v15, v14
	s_or_b64 s[18:19], s[18:19], exec
.LBB413_29:
	s_or_b64 exec, exec, s[20:21]
	s_branch .LBB413_52
.LBB413_30:
	s_cmp_ge_u32 s33, s45
	v_mov_b32_e32 v15, s44
	s_cbranch_scc1 .LBB413_51
; %bb.31:
	s_waitcnt vmcnt(0) lgkmcnt(0)
	v_mul_lo_u32 v0, v3, s12
	v_mul_lo_u32 v1, v2, s13
	v_mad_u64_u32 v[4:5], s[0:1], v2, s12, 0
	v_cndmask_b32_e64 v6, 0, 1, s[16:17]
	v_cmp_gt_i64_e64 s[2:3], s[12:13], 0
	v_add3_u32 v5, v5, v1, v0
	v_cmp_ne_u32_e64 s[0:1], 1, v6
	v_cndmask_b32_e64 v6, 0, 1, s[2:3]
	s_mov_b64 s[18:19], 0
	v_mov_b64_e32 v[0:1], s[14:15]
	v_lshl_add_u64 v[4:5], v[4:5], 2, s[14:15]
	s_lshl_b64 s[14:15], s[12:13], 2
	v_mov_b32_e32 v16, s45
	v_mov_b32_e32 v15, s44
	v_mov_b32_e32 v7, 0
	v_cmp_ne_u32_e64 s[2:3], 1, v6
	s_branch .LBB413_34
.LBB413_32:                             ;   in Loop: Header=BB413_34 Depth=1
	s_or_b64 exec, exec, s[20:21]
.LBB413_33:                             ;   in Loop: Header=BB413_34 Depth=1
	s_waitcnt vmcnt(0)
	v_add_u32_e32 v8, 1, v6
	v_cndmask_b32_e64 v16, v6, v16, s[16:17]
	v_cndmask_b32_e64 v15, v15, v8, s[16:17]
	v_cmp_ge_u32_e32 vcc, v15, v16
	s_or_b64 s[18:19], vcc, s[18:19]
	s_andn2_b64 exec, exec, s[18:19]
	s_cbranch_execz .LBB413_50
.LBB413_34:                             ; =>This Loop Header: Depth=1
                                        ;     Child Loop BB413_38 Depth 2
                                        ;     Child Loop BB413_47 Depth 2
	v_add_u32_e32 v6, v15, v16
	v_lshrrev_b32_e32 v6, 1, v6
	v_lshl_add_u64 v[8:9], v[6:7], 3, s[8:9]
	global_load_dwordx2 v[8:9], v[8:9], off
	s_and_b64 vcc, exec, s[0:1]
	s_mov_b64 s[4:5], -1
                                        ; implicit-def: $sgpr16_sgpr17
	s_cbranch_vccnz .LBB413_43
; %bb.35:                               ;   in Loop: Header=BB413_34 Depth=1
	s_and_b64 vcc, exec, s[2:3]
	s_cbranch_vccnz .LBB413_41
; %bb.36:                               ;   in Loop: Header=BB413_34 Depth=1
	s_waitcnt vmcnt(0)
	v_mad_u64_u32 v[10:11], s[4:5], s14, v8, v[0:1]
	v_mul_lo_u32 v12, s14, v9
	v_mul_lo_u32 v13, s15, v8
	v_add3_u32 v11, v13, v11, v12
	s_mov_b64 s[20:21], 0
	s_mov_b64 s[26:27], s[12:13]
	v_mov_b64_e32 v[12:13], v[4:5]
                                        ; implicit-def: $sgpr16_sgpr17
                                        ; implicit-def: $sgpr22_sgpr23
                                        ; implicit-def: $sgpr24_sgpr25
                                        ; implicit-def: $sgpr4_sgpr5
                                        ; implicit-def: $sgpr28_sgpr29
	s_branch .LBB413_38
.LBB413_37:                             ;   in Loop: Header=BB413_38 Depth=2
	s_or_b64 exec, exec, s[30:31]
	s_and_b64 s[6:7], exec, s[22:23]
	s_or_b64 s[20:21], s[6:7], s[20:21]
	s_andn2_b64 s[6:7], s[28:29], exec
	s_and_b64 s[28:29], s[24:25], exec
	s_or_b64 s[28:29], s[6:7], s[28:29]
	s_andn2_b64 s[6:7], s[16:17], exec
	s_and_b64 s[16:17], s[4:5], exec
	s_or_b64 s[16:17], s[6:7], s[16:17]
	s_andn2_b64 exec, exec, s[20:21]
	s_cbranch_execz .LBB413_40
.LBB413_38:                             ;   Parent Loop BB413_34 Depth=1
                                        ; =>  This Inner Loop Header: Depth=2
	global_load_dword v17, v[12:13], off
	global_load_dword v18, v[10:11], off
	s_andn2_b64 s[30:31], s[4:5], exec
	s_andn2_b64 s[24:25], s[24:25], exec
	s_or_b64 s[22:23], s[22:23], exec
	s_waitcnt vmcnt(0)
	v_cmp_le_i32_e64 s[4:5], v17, v18
	v_cmp_lt_i32_e32 vcc, v17, v18
	s_and_b64 s[4:5], s[4:5], s[28:29]
	s_or_b64 s[34:35], vcc, s[4:5]
	s_and_b64 s[4:5], s[34:35], exec
	v_cmp_eq_u32_e64 s[6:7], v17, v18
	s_or_b64 s[4:5], s[30:31], s[4:5]
	s_and_saveexec_b64 s[30:31], s[6:7]
	s_cbranch_execz .LBB413_37
; %bb.39:                               ;   in Loop: Header=BB413_38 Depth=2
	s_add_u32 s26, s26, -1
	s_addc_u32 s27, s27, -1
	s_cmp_eq_u64 s[26:27], 0
	s_cselect_b64 s[6:7], -1, 0
	s_andn2_b64 s[24:25], s[24:25], exec
	s_and_b64 s[28:29], s[34:35], exec
	s_andn2_b64 s[22:23], s[22:23], exec
	s_and_b64 s[6:7], s[6:7], exec
	v_lshl_add_u64 v[12:13], v[12:13], 0, 4
	v_lshl_add_u64 v[10:11], v[10:11], 0, 4
	s_andn2_b64 s[4:5], s[4:5], exec
	s_or_b64 s[24:25], s[24:25], s[28:29]
	s_or_b64 s[22:23], s[22:23], s[6:7]
                                        ; implicit-def: $sgpr28_sgpr29
	s_branch .LBB413_37
.LBB413_40:                             ;   in Loop: Header=BB413_34 Depth=1
	s_or_b64 exec, exec, s[20:21]
	s_branch .LBB413_42
.LBB413_41:                             ;   in Loop: Header=BB413_34 Depth=1
	s_mov_b64 s[16:17], 0
.LBB413_42:                             ;   in Loop: Header=BB413_34 Depth=1
	s_xor_b64 s[16:17], s[16:17], -1
	s_mov_b64 s[4:5], 0
.LBB413_43:                             ;   in Loop: Header=BB413_34 Depth=1
	s_and_b64 vcc, exec, s[4:5]
	s_cbranch_vccz .LBB413_33
; %bb.44:                               ;   in Loop: Header=BB413_34 Depth=1
	s_and_b64 vcc, exec, s[2:3]
	s_cbranch_vccnz .LBB413_49
; %bb.45:                               ;   in Loop: Header=BB413_34 Depth=1
	s_waitcnt vmcnt(0)
	v_mad_u64_u32 v[10:11], s[4:5], s14, v8, v[0:1]
	v_mul_lo_u32 v9, s14, v9
	v_mul_lo_u32 v8, s15, v8
	v_add3_u32 v11, v8, v11, v9
	s_mov_b64 s[20:21], 0
	s_mov_b64 s[26:27], s[12:13]
	v_mov_b64_e32 v[8:9], v[4:5]
                                        ; implicit-def: $sgpr16_sgpr17
                                        ; implicit-def: $sgpr22_sgpr23
                                        ; implicit-def: $sgpr24_sgpr25
                                        ; implicit-def: $sgpr4_sgpr5
                                        ; implicit-def: $sgpr28_sgpr29
	s_branch .LBB413_47
.LBB413_46:                             ;   in Loop: Header=BB413_47 Depth=2
	s_or_b64 exec, exec, s[30:31]
	s_and_b64 s[6:7], exec, s[22:23]
	s_or_b64 s[20:21], s[6:7], s[20:21]
	s_andn2_b64 s[6:7], s[28:29], exec
	s_and_b64 s[28:29], s[24:25], exec
	s_or_b64 s[28:29], s[6:7], s[28:29]
	s_andn2_b64 s[6:7], s[16:17], exec
	s_and_b64 s[16:17], s[4:5], exec
	s_or_b64 s[16:17], s[6:7], s[16:17]
	s_andn2_b64 exec, exec, s[20:21]
	s_cbranch_execz .LBB413_32
.LBB413_47:                             ;   Parent Loop BB413_34 Depth=1
                                        ; =>  This Inner Loop Header: Depth=2
	global_load_dword v12, v[10:11], off
	global_load_dword v13, v[8:9], off
	s_andn2_b64 s[30:31], s[4:5], exec
	s_andn2_b64 s[24:25], s[24:25], exec
	s_or_b64 s[22:23], s[22:23], exec
	s_waitcnt vmcnt(0)
	v_cmp_le_i32_e64 s[4:5], v12, v13
	v_cmp_lt_i32_e32 vcc, v12, v13
	s_and_b64 s[4:5], s[4:5], s[28:29]
	s_or_b64 s[34:35], vcc, s[4:5]
	s_and_b64 s[4:5], s[34:35], exec
	v_cmp_eq_u32_e64 s[6:7], v12, v13
	s_or_b64 s[4:5], s[30:31], s[4:5]
	s_and_saveexec_b64 s[30:31], s[6:7]
	s_cbranch_execz .LBB413_46
; %bb.48:                               ;   in Loop: Header=BB413_47 Depth=2
	s_add_u32 s26, s26, -1
	s_addc_u32 s27, s27, -1
	s_cmp_eq_u64 s[26:27], 0
	s_cselect_b64 s[6:7], -1, 0
	s_andn2_b64 s[24:25], s[24:25], exec
	s_and_b64 s[28:29], s[34:35], exec
	s_andn2_b64 s[22:23], s[22:23], exec
	s_and_b64 s[6:7], s[6:7], exec
	v_lshl_add_u64 v[10:11], v[10:11], 0, 4
	v_lshl_add_u64 v[8:9], v[8:9], 0, 4
	s_andn2_b64 s[4:5], s[4:5], exec
	s_or_b64 s[24:25], s[24:25], s[28:29]
	s_or_b64 s[22:23], s[22:23], s[6:7]
                                        ; implicit-def: $sgpr28_sgpr29
	s_branch .LBB413_46
.LBB413_49:                             ;   in Loop: Header=BB413_34 Depth=1
	s_mov_b64 s[16:17], 0
	s_branch .LBB413_33
.LBB413_50:
	s_or_b64 exec, exec, s[18:19]
.LBB413_51:
	v_add_u32_e32 v4, v15, v14
	s_mov_b64 s[18:19], -1
.LBB413_52:
	s_and_b64 exec, exec, s[18:19]
	s_cbranch_execz .LBB413_54
; %bb.53:
	v_mov_b32_e32 v0, s10
	v_mov_b32_e32 v1, s11
	;; [unrolled: 1-line block ×3, first 2 shown]
	v_lshl_add_u64 v[0:1], v[4:5], 3, v[0:1]
	s_waitcnt vmcnt(0)
	global_store_dwordx2 v[0:1], v[2:3], off
.LBB413_54:
	s_endpgm
	.section	.rodata,"a",@progbits
	.p2align	6, 0x0
	.amdhsa_kernel _ZN7rocprim17ROCPRIM_400000_NS6detail17trampoline_kernelINS0_14default_configENS1_38merge_sort_block_merge_config_selectorIlNS0_10empty_typeEEEZZNS1_27merge_sort_block_merge_implIS3_PlPS5_mZN2at6native12_GLOBAL__N_124unique_dim_cuda_templateIiEESt5tupleIJNSA_6TensorESF_SF_EERKSF_lbbbEUlllE_EE10hipError_tT0_T1_T2_jT3_P12ihipStream_tbPNSt15iterator_traitsISL_E10value_typeEPNSR_ISM_E10value_typeEPSN_NS1_7vsmem_tEENKUlT_SL_SM_SN_E_clIS8_S8_S9_S9_EESK_S10_SL_SM_SN_EUlS10_E1_NS1_11comp_targetILNS1_3genE5ELNS1_11target_archE942ELNS1_3gpuE9ELNS1_3repE0EEENS1_36merge_oddeven_config_static_selectorELNS0_4arch9wavefront6targetE1EEEvSM_
		.amdhsa_group_segment_fixed_size 0
		.amdhsa_private_segment_fixed_size 0
		.amdhsa_kernarg_size 64
		.amdhsa_user_sgpr_count 2
		.amdhsa_user_sgpr_dispatch_ptr 0
		.amdhsa_user_sgpr_queue_ptr 0
		.amdhsa_user_sgpr_kernarg_segment_ptr 1
		.amdhsa_user_sgpr_dispatch_id 0
		.amdhsa_user_sgpr_kernarg_preload_length 0
		.amdhsa_user_sgpr_kernarg_preload_offset 0
		.amdhsa_user_sgpr_private_segment_size 0
		.amdhsa_uses_dynamic_stack 0
		.amdhsa_enable_private_segment 0
		.amdhsa_system_sgpr_workgroup_id_x 1
		.amdhsa_system_sgpr_workgroup_id_y 0
		.amdhsa_system_sgpr_workgroup_id_z 0
		.amdhsa_system_sgpr_workgroup_info 0
		.amdhsa_system_vgpr_workitem_id 0
		.amdhsa_next_free_vgpr 19
		.amdhsa_next_free_sgpr 46
		.amdhsa_accum_offset 20
		.amdhsa_reserve_vcc 1
		.amdhsa_float_round_mode_32 0
		.amdhsa_float_round_mode_16_64 0
		.amdhsa_float_denorm_mode_32 3
		.amdhsa_float_denorm_mode_16_64 3
		.amdhsa_dx10_clamp 1
		.amdhsa_ieee_mode 1
		.amdhsa_fp16_overflow 0
		.amdhsa_tg_split 0
		.amdhsa_exception_fp_ieee_invalid_op 0
		.amdhsa_exception_fp_denorm_src 0
		.amdhsa_exception_fp_ieee_div_zero 0
		.amdhsa_exception_fp_ieee_overflow 0
		.amdhsa_exception_fp_ieee_underflow 0
		.amdhsa_exception_fp_ieee_inexact 0
		.amdhsa_exception_int_div_zero 0
	.end_amdhsa_kernel
	.section	.text._ZN7rocprim17ROCPRIM_400000_NS6detail17trampoline_kernelINS0_14default_configENS1_38merge_sort_block_merge_config_selectorIlNS0_10empty_typeEEEZZNS1_27merge_sort_block_merge_implIS3_PlPS5_mZN2at6native12_GLOBAL__N_124unique_dim_cuda_templateIiEESt5tupleIJNSA_6TensorESF_SF_EERKSF_lbbbEUlllE_EE10hipError_tT0_T1_T2_jT3_P12ihipStream_tbPNSt15iterator_traitsISL_E10value_typeEPNSR_ISM_E10value_typeEPSN_NS1_7vsmem_tEENKUlT_SL_SM_SN_E_clIS8_S8_S9_S9_EESK_S10_SL_SM_SN_EUlS10_E1_NS1_11comp_targetILNS1_3genE5ELNS1_11target_archE942ELNS1_3gpuE9ELNS1_3repE0EEENS1_36merge_oddeven_config_static_selectorELNS0_4arch9wavefront6targetE1EEEvSM_,"axG",@progbits,_ZN7rocprim17ROCPRIM_400000_NS6detail17trampoline_kernelINS0_14default_configENS1_38merge_sort_block_merge_config_selectorIlNS0_10empty_typeEEEZZNS1_27merge_sort_block_merge_implIS3_PlPS5_mZN2at6native12_GLOBAL__N_124unique_dim_cuda_templateIiEESt5tupleIJNSA_6TensorESF_SF_EERKSF_lbbbEUlllE_EE10hipError_tT0_T1_T2_jT3_P12ihipStream_tbPNSt15iterator_traitsISL_E10value_typeEPNSR_ISM_E10value_typeEPSN_NS1_7vsmem_tEENKUlT_SL_SM_SN_E_clIS8_S8_S9_S9_EESK_S10_SL_SM_SN_EUlS10_E1_NS1_11comp_targetILNS1_3genE5ELNS1_11target_archE942ELNS1_3gpuE9ELNS1_3repE0EEENS1_36merge_oddeven_config_static_selectorELNS0_4arch9wavefront6targetE1EEEvSM_,comdat
.Lfunc_end413:
	.size	_ZN7rocprim17ROCPRIM_400000_NS6detail17trampoline_kernelINS0_14default_configENS1_38merge_sort_block_merge_config_selectorIlNS0_10empty_typeEEEZZNS1_27merge_sort_block_merge_implIS3_PlPS5_mZN2at6native12_GLOBAL__N_124unique_dim_cuda_templateIiEESt5tupleIJNSA_6TensorESF_SF_EERKSF_lbbbEUlllE_EE10hipError_tT0_T1_T2_jT3_P12ihipStream_tbPNSt15iterator_traitsISL_E10value_typeEPNSR_ISM_E10value_typeEPSN_NS1_7vsmem_tEENKUlT_SL_SM_SN_E_clIS8_S8_S9_S9_EESK_S10_SL_SM_SN_EUlS10_E1_NS1_11comp_targetILNS1_3genE5ELNS1_11target_archE942ELNS1_3gpuE9ELNS1_3repE0EEENS1_36merge_oddeven_config_static_selectorELNS0_4arch9wavefront6targetE1EEEvSM_, .Lfunc_end413-_ZN7rocprim17ROCPRIM_400000_NS6detail17trampoline_kernelINS0_14default_configENS1_38merge_sort_block_merge_config_selectorIlNS0_10empty_typeEEEZZNS1_27merge_sort_block_merge_implIS3_PlPS5_mZN2at6native12_GLOBAL__N_124unique_dim_cuda_templateIiEESt5tupleIJNSA_6TensorESF_SF_EERKSF_lbbbEUlllE_EE10hipError_tT0_T1_T2_jT3_P12ihipStream_tbPNSt15iterator_traitsISL_E10value_typeEPNSR_ISM_E10value_typeEPSN_NS1_7vsmem_tEENKUlT_SL_SM_SN_E_clIS8_S8_S9_S9_EESK_S10_SL_SM_SN_EUlS10_E1_NS1_11comp_targetILNS1_3genE5ELNS1_11target_archE942ELNS1_3gpuE9ELNS1_3repE0EEENS1_36merge_oddeven_config_static_selectorELNS0_4arch9wavefront6targetE1EEEvSM_
                                        ; -- End function
	.section	.AMDGPU.csdata,"",@progbits
; Kernel info:
; codeLenInByte = 1784
; NumSgprs: 52
; NumVgprs: 19
; NumAgprs: 0
; TotalNumVgprs: 19
; ScratchSize: 0
; MemoryBound: 0
; FloatMode: 240
; IeeeMode: 1
; LDSByteSize: 0 bytes/workgroup (compile time only)
; SGPRBlocks: 6
; VGPRBlocks: 2
; NumSGPRsForWavesPerEU: 52
; NumVGPRsForWavesPerEU: 19
; AccumOffset: 20
; Occupancy: 8
; WaveLimiterHint : 0
; COMPUTE_PGM_RSRC2:SCRATCH_EN: 0
; COMPUTE_PGM_RSRC2:USER_SGPR: 2
; COMPUTE_PGM_RSRC2:TRAP_HANDLER: 0
; COMPUTE_PGM_RSRC2:TGID_X_EN: 1
; COMPUTE_PGM_RSRC2:TGID_Y_EN: 0
; COMPUTE_PGM_RSRC2:TGID_Z_EN: 0
; COMPUTE_PGM_RSRC2:TIDIG_COMP_CNT: 0
; COMPUTE_PGM_RSRC3_GFX90A:ACCUM_OFFSET: 4
; COMPUTE_PGM_RSRC3_GFX90A:TG_SPLIT: 0
	.section	.text._ZN7rocprim17ROCPRIM_400000_NS6detail17trampoline_kernelINS0_14default_configENS1_38merge_sort_block_merge_config_selectorIlNS0_10empty_typeEEEZZNS1_27merge_sort_block_merge_implIS3_PlPS5_mZN2at6native12_GLOBAL__N_124unique_dim_cuda_templateIiEESt5tupleIJNSA_6TensorESF_SF_EERKSF_lbbbEUlllE_EE10hipError_tT0_T1_T2_jT3_P12ihipStream_tbPNSt15iterator_traitsISL_E10value_typeEPNSR_ISM_E10value_typeEPSN_NS1_7vsmem_tEENKUlT_SL_SM_SN_E_clIS8_S8_S9_S9_EESK_S10_SL_SM_SN_EUlS10_E1_NS1_11comp_targetILNS1_3genE4ELNS1_11target_archE910ELNS1_3gpuE8ELNS1_3repE0EEENS1_36merge_oddeven_config_static_selectorELNS0_4arch9wavefront6targetE1EEEvSM_,"axG",@progbits,_ZN7rocprim17ROCPRIM_400000_NS6detail17trampoline_kernelINS0_14default_configENS1_38merge_sort_block_merge_config_selectorIlNS0_10empty_typeEEEZZNS1_27merge_sort_block_merge_implIS3_PlPS5_mZN2at6native12_GLOBAL__N_124unique_dim_cuda_templateIiEESt5tupleIJNSA_6TensorESF_SF_EERKSF_lbbbEUlllE_EE10hipError_tT0_T1_T2_jT3_P12ihipStream_tbPNSt15iterator_traitsISL_E10value_typeEPNSR_ISM_E10value_typeEPSN_NS1_7vsmem_tEENKUlT_SL_SM_SN_E_clIS8_S8_S9_S9_EESK_S10_SL_SM_SN_EUlS10_E1_NS1_11comp_targetILNS1_3genE4ELNS1_11target_archE910ELNS1_3gpuE8ELNS1_3repE0EEENS1_36merge_oddeven_config_static_selectorELNS0_4arch9wavefront6targetE1EEEvSM_,comdat
	.globl	_ZN7rocprim17ROCPRIM_400000_NS6detail17trampoline_kernelINS0_14default_configENS1_38merge_sort_block_merge_config_selectorIlNS0_10empty_typeEEEZZNS1_27merge_sort_block_merge_implIS3_PlPS5_mZN2at6native12_GLOBAL__N_124unique_dim_cuda_templateIiEESt5tupleIJNSA_6TensorESF_SF_EERKSF_lbbbEUlllE_EE10hipError_tT0_T1_T2_jT3_P12ihipStream_tbPNSt15iterator_traitsISL_E10value_typeEPNSR_ISM_E10value_typeEPSN_NS1_7vsmem_tEENKUlT_SL_SM_SN_E_clIS8_S8_S9_S9_EESK_S10_SL_SM_SN_EUlS10_E1_NS1_11comp_targetILNS1_3genE4ELNS1_11target_archE910ELNS1_3gpuE8ELNS1_3repE0EEENS1_36merge_oddeven_config_static_selectorELNS0_4arch9wavefront6targetE1EEEvSM_ ; -- Begin function _ZN7rocprim17ROCPRIM_400000_NS6detail17trampoline_kernelINS0_14default_configENS1_38merge_sort_block_merge_config_selectorIlNS0_10empty_typeEEEZZNS1_27merge_sort_block_merge_implIS3_PlPS5_mZN2at6native12_GLOBAL__N_124unique_dim_cuda_templateIiEESt5tupleIJNSA_6TensorESF_SF_EERKSF_lbbbEUlllE_EE10hipError_tT0_T1_T2_jT3_P12ihipStream_tbPNSt15iterator_traitsISL_E10value_typeEPNSR_ISM_E10value_typeEPSN_NS1_7vsmem_tEENKUlT_SL_SM_SN_E_clIS8_S8_S9_S9_EESK_S10_SL_SM_SN_EUlS10_E1_NS1_11comp_targetILNS1_3genE4ELNS1_11target_archE910ELNS1_3gpuE8ELNS1_3repE0EEENS1_36merge_oddeven_config_static_selectorELNS0_4arch9wavefront6targetE1EEEvSM_
	.p2align	8
	.type	_ZN7rocprim17ROCPRIM_400000_NS6detail17trampoline_kernelINS0_14default_configENS1_38merge_sort_block_merge_config_selectorIlNS0_10empty_typeEEEZZNS1_27merge_sort_block_merge_implIS3_PlPS5_mZN2at6native12_GLOBAL__N_124unique_dim_cuda_templateIiEESt5tupleIJNSA_6TensorESF_SF_EERKSF_lbbbEUlllE_EE10hipError_tT0_T1_T2_jT3_P12ihipStream_tbPNSt15iterator_traitsISL_E10value_typeEPNSR_ISM_E10value_typeEPSN_NS1_7vsmem_tEENKUlT_SL_SM_SN_E_clIS8_S8_S9_S9_EESK_S10_SL_SM_SN_EUlS10_E1_NS1_11comp_targetILNS1_3genE4ELNS1_11target_archE910ELNS1_3gpuE8ELNS1_3repE0EEENS1_36merge_oddeven_config_static_selectorELNS0_4arch9wavefront6targetE1EEEvSM_,@function
_ZN7rocprim17ROCPRIM_400000_NS6detail17trampoline_kernelINS0_14default_configENS1_38merge_sort_block_merge_config_selectorIlNS0_10empty_typeEEEZZNS1_27merge_sort_block_merge_implIS3_PlPS5_mZN2at6native12_GLOBAL__N_124unique_dim_cuda_templateIiEESt5tupleIJNSA_6TensorESF_SF_EERKSF_lbbbEUlllE_EE10hipError_tT0_T1_T2_jT3_P12ihipStream_tbPNSt15iterator_traitsISL_E10value_typeEPNSR_ISM_E10value_typeEPSN_NS1_7vsmem_tEENKUlT_SL_SM_SN_E_clIS8_S8_S9_S9_EESK_S10_SL_SM_SN_EUlS10_E1_NS1_11comp_targetILNS1_3genE4ELNS1_11target_archE910ELNS1_3gpuE8ELNS1_3repE0EEENS1_36merge_oddeven_config_static_selectorELNS0_4arch9wavefront6targetE1EEEvSM_: ; @_ZN7rocprim17ROCPRIM_400000_NS6detail17trampoline_kernelINS0_14default_configENS1_38merge_sort_block_merge_config_selectorIlNS0_10empty_typeEEEZZNS1_27merge_sort_block_merge_implIS3_PlPS5_mZN2at6native12_GLOBAL__N_124unique_dim_cuda_templateIiEESt5tupleIJNSA_6TensorESF_SF_EERKSF_lbbbEUlllE_EE10hipError_tT0_T1_T2_jT3_P12ihipStream_tbPNSt15iterator_traitsISL_E10value_typeEPNSR_ISM_E10value_typeEPSN_NS1_7vsmem_tEENKUlT_SL_SM_SN_E_clIS8_S8_S9_S9_EESK_S10_SL_SM_SN_EUlS10_E1_NS1_11comp_targetILNS1_3genE4ELNS1_11target_archE910ELNS1_3gpuE8ELNS1_3repE0EEENS1_36merge_oddeven_config_static_selectorELNS0_4arch9wavefront6targetE1EEEvSM_
; %bb.0:
	.section	.rodata,"a",@progbits
	.p2align	6, 0x0
	.amdhsa_kernel _ZN7rocprim17ROCPRIM_400000_NS6detail17trampoline_kernelINS0_14default_configENS1_38merge_sort_block_merge_config_selectorIlNS0_10empty_typeEEEZZNS1_27merge_sort_block_merge_implIS3_PlPS5_mZN2at6native12_GLOBAL__N_124unique_dim_cuda_templateIiEESt5tupleIJNSA_6TensorESF_SF_EERKSF_lbbbEUlllE_EE10hipError_tT0_T1_T2_jT3_P12ihipStream_tbPNSt15iterator_traitsISL_E10value_typeEPNSR_ISM_E10value_typeEPSN_NS1_7vsmem_tEENKUlT_SL_SM_SN_E_clIS8_S8_S9_S9_EESK_S10_SL_SM_SN_EUlS10_E1_NS1_11comp_targetILNS1_3genE4ELNS1_11target_archE910ELNS1_3gpuE8ELNS1_3repE0EEENS1_36merge_oddeven_config_static_selectorELNS0_4arch9wavefront6targetE1EEEvSM_
		.amdhsa_group_segment_fixed_size 0
		.amdhsa_private_segment_fixed_size 0
		.amdhsa_kernarg_size 64
		.amdhsa_user_sgpr_count 2
		.amdhsa_user_sgpr_dispatch_ptr 0
		.amdhsa_user_sgpr_queue_ptr 0
		.amdhsa_user_sgpr_kernarg_segment_ptr 1
		.amdhsa_user_sgpr_dispatch_id 0
		.amdhsa_user_sgpr_kernarg_preload_length 0
		.amdhsa_user_sgpr_kernarg_preload_offset 0
		.amdhsa_user_sgpr_private_segment_size 0
		.amdhsa_uses_dynamic_stack 0
		.amdhsa_enable_private_segment 0
		.amdhsa_system_sgpr_workgroup_id_x 1
		.amdhsa_system_sgpr_workgroup_id_y 0
		.amdhsa_system_sgpr_workgroup_id_z 0
		.amdhsa_system_sgpr_workgroup_info 0
		.amdhsa_system_vgpr_workitem_id 0
		.amdhsa_next_free_vgpr 1
		.amdhsa_next_free_sgpr 0
		.amdhsa_accum_offset 4
		.amdhsa_reserve_vcc 0
		.amdhsa_float_round_mode_32 0
		.amdhsa_float_round_mode_16_64 0
		.amdhsa_float_denorm_mode_32 3
		.amdhsa_float_denorm_mode_16_64 3
		.amdhsa_dx10_clamp 1
		.amdhsa_ieee_mode 1
		.amdhsa_fp16_overflow 0
		.amdhsa_tg_split 0
		.amdhsa_exception_fp_ieee_invalid_op 0
		.amdhsa_exception_fp_denorm_src 0
		.amdhsa_exception_fp_ieee_div_zero 0
		.amdhsa_exception_fp_ieee_overflow 0
		.amdhsa_exception_fp_ieee_underflow 0
		.amdhsa_exception_fp_ieee_inexact 0
		.amdhsa_exception_int_div_zero 0
	.end_amdhsa_kernel
	.section	.text._ZN7rocprim17ROCPRIM_400000_NS6detail17trampoline_kernelINS0_14default_configENS1_38merge_sort_block_merge_config_selectorIlNS0_10empty_typeEEEZZNS1_27merge_sort_block_merge_implIS3_PlPS5_mZN2at6native12_GLOBAL__N_124unique_dim_cuda_templateIiEESt5tupleIJNSA_6TensorESF_SF_EERKSF_lbbbEUlllE_EE10hipError_tT0_T1_T2_jT3_P12ihipStream_tbPNSt15iterator_traitsISL_E10value_typeEPNSR_ISM_E10value_typeEPSN_NS1_7vsmem_tEENKUlT_SL_SM_SN_E_clIS8_S8_S9_S9_EESK_S10_SL_SM_SN_EUlS10_E1_NS1_11comp_targetILNS1_3genE4ELNS1_11target_archE910ELNS1_3gpuE8ELNS1_3repE0EEENS1_36merge_oddeven_config_static_selectorELNS0_4arch9wavefront6targetE1EEEvSM_,"axG",@progbits,_ZN7rocprim17ROCPRIM_400000_NS6detail17trampoline_kernelINS0_14default_configENS1_38merge_sort_block_merge_config_selectorIlNS0_10empty_typeEEEZZNS1_27merge_sort_block_merge_implIS3_PlPS5_mZN2at6native12_GLOBAL__N_124unique_dim_cuda_templateIiEESt5tupleIJNSA_6TensorESF_SF_EERKSF_lbbbEUlllE_EE10hipError_tT0_T1_T2_jT3_P12ihipStream_tbPNSt15iterator_traitsISL_E10value_typeEPNSR_ISM_E10value_typeEPSN_NS1_7vsmem_tEENKUlT_SL_SM_SN_E_clIS8_S8_S9_S9_EESK_S10_SL_SM_SN_EUlS10_E1_NS1_11comp_targetILNS1_3genE4ELNS1_11target_archE910ELNS1_3gpuE8ELNS1_3repE0EEENS1_36merge_oddeven_config_static_selectorELNS0_4arch9wavefront6targetE1EEEvSM_,comdat
.Lfunc_end414:
	.size	_ZN7rocprim17ROCPRIM_400000_NS6detail17trampoline_kernelINS0_14default_configENS1_38merge_sort_block_merge_config_selectorIlNS0_10empty_typeEEEZZNS1_27merge_sort_block_merge_implIS3_PlPS5_mZN2at6native12_GLOBAL__N_124unique_dim_cuda_templateIiEESt5tupleIJNSA_6TensorESF_SF_EERKSF_lbbbEUlllE_EE10hipError_tT0_T1_T2_jT3_P12ihipStream_tbPNSt15iterator_traitsISL_E10value_typeEPNSR_ISM_E10value_typeEPSN_NS1_7vsmem_tEENKUlT_SL_SM_SN_E_clIS8_S8_S9_S9_EESK_S10_SL_SM_SN_EUlS10_E1_NS1_11comp_targetILNS1_3genE4ELNS1_11target_archE910ELNS1_3gpuE8ELNS1_3repE0EEENS1_36merge_oddeven_config_static_selectorELNS0_4arch9wavefront6targetE1EEEvSM_, .Lfunc_end414-_ZN7rocprim17ROCPRIM_400000_NS6detail17trampoline_kernelINS0_14default_configENS1_38merge_sort_block_merge_config_selectorIlNS0_10empty_typeEEEZZNS1_27merge_sort_block_merge_implIS3_PlPS5_mZN2at6native12_GLOBAL__N_124unique_dim_cuda_templateIiEESt5tupleIJNSA_6TensorESF_SF_EERKSF_lbbbEUlllE_EE10hipError_tT0_T1_T2_jT3_P12ihipStream_tbPNSt15iterator_traitsISL_E10value_typeEPNSR_ISM_E10value_typeEPSN_NS1_7vsmem_tEENKUlT_SL_SM_SN_E_clIS8_S8_S9_S9_EESK_S10_SL_SM_SN_EUlS10_E1_NS1_11comp_targetILNS1_3genE4ELNS1_11target_archE910ELNS1_3gpuE8ELNS1_3repE0EEENS1_36merge_oddeven_config_static_selectorELNS0_4arch9wavefront6targetE1EEEvSM_
                                        ; -- End function
	.section	.AMDGPU.csdata,"",@progbits
; Kernel info:
; codeLenInByte = 0
; NumSgprs: 6
; NumVgprs: 0
; NumAgprs: 0
; TotalNumVgprs: 0
; ScratchSize: 0
; MemoryBound: 0
; FloatMode: 240
; IeeeMode: 1
; LDSByteSize: 0 bytes/workgroup (compile time only)
; SGPRBlocks: 0
; VGPRBlocks: 0
; NumSGPRsForWavesPerEU: 6
; NumVGPRsForWavesPerEU: 1
; AccumOffset: 4
; Occupancy: 8
; WaveLimiterHint : 0
; COMPUTE_PGM_RSRC2:SCRATCH_EN: 0
; COMPUTE_PGM_RSRC2:USER_SGPR: 2
; COMPUTE_PGM_RSRC2:TRAP_HANDLER: 0
; COMPUTE_PGM_RSRC2:TGID_X_EN: 1
; COMPUTE_PGM_RSRC2:TGID_Y_EN: 0
; COMPUTE_PGM_RSRC2:TGID_Z_EN: 0
; COMPUTE_PGM_RSRC2:TIDIG_COMP_CNT: 0
; COMPUTE_PGM_RSRC3_GFX90A:ACCUM_OFFSET: 0
; COMPUTE_PGM_RSRC3_GFX90A:TG_SPLIT: 0
	.section	.text._ZN7rocprim17ROCPRIM_400000_NS6detail17trampoline_kernelINS0_14default_configENS1_38merge_sort_block_merge_config_selectorIlNS0_10empty_typeEEEZZNS1_27merge_sort_block_merge_implIS3_PlPS5_mZN2at6native12_GLOBAL__N_124unique_dim_cuda_templateIiEESt5tupleIJNSA_6TensorESF_SF_EERKSF_lbbbEUlllE_EE10hipError_tT0_T1_T2_jT3_P12ihipStream_tbPNSt15iterator_traitsISL_E10value_typeEPNSR_ISM_E10value_typeEPSN_NS1_7vsmem_tEENKUlT_SL_SM_SN_E_clIS8_S8_S9_S9_EESK_S10_SL_SM_SN_EUlS10_E1_NS1_11comp_targetILNS1_3genE3ELNS1_11target_archE908ELNS1_3gpuE7ELNS1_3repE0EEENS1_36merge_oddeven_config_static_selectorELNS0_4arch9wavefront6targetE1EEEvSM_,"axG",@progbits,_ZN7rocprim17ROCPRIM_400000_NS6detail17trampoline_kernelINS0_14default_configENS1_38merge_sort_block_merge_config_selectorIlNS0_10empty_typeEEEZZNS1_27merge_sort_block_merge_implIS3_PlPS5_mZN2at6native12_GLOBAL__N_124unique_dim_cuda_templateIiEESt5tupleIJNSA_6TensorESF_SF_EERKSF_lbbbEUlllE_EE10hipError_tT0_T1_T2_jT3_P12ihipStream_tbPNSt15iterator_traitsISL_E10value_typeEPNSR_ISM_E10value_typeEPSN_NS1_7vsmem_tEENKUlT_SL_SM_SN_E_clIS8_S8_S9_S9_EESK_S10_SL_SM_SN_EUlS10_E1_NS1_11comp_targetILNS1_3genE3ELNS1_11target_archE908ELNS1_3gpuE7ELNS1_3repE0EEENS1_36merge_oddeven_config_static_selectorELNS0_4arch9wavefront6targetE1EEEvSM_,comdat
	.globl	_ZN7rocprim17ROCPRIM_400000_NS6detail17trampoline_kernelINS0_14default_configENS1_38merge_sort_block_merge_config_selectorIlNS0_10empty_typeEEEZZNS1_27merge_sort_block_merge_implIS3_PlPS5_mZN2at6native12_GLOBAL__N_124unique_dim_cuda_templateIiEESt5tupleIJNSA_6TensorESF_SF_EERKSF_lbbbEUlllE_EE10hipError_tT0_T1_T2_jT3_P12ihipStream_tbPNSt15iterator_traitsISL_E10value_typeEPNSR_ISM_E10value_typeEPSN_NS1_7vsmem_tEENKUlT_SL_SM_SN_E_clIS8_S8_S9_S9_EESK_S10_SL_SM_SN_EUlS10_E1_NS1_11comp_targetILNS1_3genE3ELNS1_11target_archE908ELNS1_3gpuE7ELNS1_3repE0EEENS1_36merge_oddeven_config_static_selectorELNS0_4arch9wavefront6targetE1EEEvSM_ ; -- Begin function _ZN7rocprim17ROCPRIM_400000_NS6detail17trampoline_kernelINS0_14default_configENS1_38merge_sort_block_merge_config_selectorIlNS0_10empty_typeEEEZZNS1_27merge_sort_block_merge_implIS3_PlPS5_mZN2at6native12_GLOBAL__N_124unique_dim_cuda_templateIiEESt5tupleIJNSA_6TensorESF_SF_EERKSF_lbbbEUlllE_EE10hipError_tT0_T1_T2_jT3_P12ihipStream_tbPNSt15iterator_traitsISL_E10value_typeEPNSR_ISM_E10value_typeEPSN_NS1_7vsmem_tEENKUlT_SL_SM_SN_E_clIS8_S8_S9_S9_EESK_S10_SL_SM_SN_EUlS10_E1_NS1_11comp_targetILNS1_3genE3ELNS1_11target_archE908ELNS1_3gpuE7ELNS1_3repE0EEENS1_36merge_oddeven_config_static_selectorELNS0_4arch9wavefront6targetE1EEEvSM_
	.p2align	8
	.type	_ZN7rocprim17ROCPRIM_400000_NS6detail17trampoline_kernelINS0_14default_configENS1_38merge_sort_block_merge_config_selectorIlNS0_10empty_typeEEEZZNS1_27merge_sort_block_merge_implIS3_PlPS5_mZN2at6native12_GLOBAL__N_124unique_dim_cuda_templateIiEESt5tupleIJNSA_6TensorESF_SF_EERKSF_lbbbEUlllE_EE10hipError_tT0_T1_T2_jT3_P12ihipStream_tbPNSt15iterator_traitsISL_E10value_typeEPNSR_ISM_E10value_typeEPSN_NS1_7vsmem_tEENKUlT_SL_SM_SN_E_clIS8_S8_S9_S9_EESK_S10_SL_SM_SN_EUlS10_E1_NS1_11comp_targetILNS1_3genE3ELNS1_11target_archE908ELNS1_3gpuE7ELNS1_3repE0EEENS1_36merge_oddeven_config_static_selectorELNS0_4arch9wavefront6targetE1EEEvSM_,@function
_ZN7rocprim17ROCPRIM_400000_NS6detail17trampoline_kernelINS0_14default_configENS1_38merge_sort_block_merge_config_selectorIlNS0_10empty_typeEEEZZNS1_27merge_sort_block_merge_implIS3_PlPS5_mZN2at6native12_GLOBAL__N_124unique_dim_cuda_templateIiEESt5tupleIJNSA_6TensorESF_SF_EERKSF_lbbbEUlllE_EE10hipError_tT0_T1_T2_jT3_P12ihipStream_tbPNSt15iterator_traitsISL_E10value_typeEPNSR_ISM_E10value_typeEPSN_NS1_7vsmem_tEENKUlT_SL_SM_SN_E_clIS8_S8_S9_S9_EESK_S10_SL_SM_SN_EUlS10_E1_NS1_11comp_targetILNS1_3genE3ELNS1_11target_archE908ELNS1_3gpuE7ELNS1_3repE0EEENS1_36merge_oddeven_config_static_selectorELNS0_4arch9wavefront6targetE1EEEvSM_: ; @_ZN7rocprim17ROCPRIM_400000_NS6detail17trampoline_kernelINS0_14default_configENS1_38merge_sort_block_merge_config_selectorIlNS0_10empty_typeEEEZZNS1_27merge_sort_block_merge_implIS3_PlPS5_mZN2at6native12_GLOBAL__N_124unique_dim_cuda_templateIiEESt5tupleIJNSA_6TensorESF_SF_EERKSF_lbbbEUlllE_EE10hipError_tT0_T1_T2_jT3_P12ihipStream_tbPNSt15iterator_traitsISL_E10value_typeEPNSR_ISM_E10value_typeEPSN_NS1_7vsmem_tEENKUlT_SL_SM_SN_E_clIS8_S8_S9_S9_EESK_S10_SL_SM_SN_EUlS10_E1_NS1_11comp_targetILNS1_3genE3ELNS1_11target_archE908ELNS1_3gpuE7ELNS1_3repE0EEENS1_36merge_oddeven_config_static_selectorELNS0_4arch9wavefront6targetE1EEEvSM_
; %bb.0:
	.section	.rodata,"a",@progbits
	.p2align	6, 0x0
	.amdhsa_kernel _ZN7rocprim17ROCPRIM_400000_NS6detail17trampoline_kernelINS0_14default_configENS1_38merge_sort_block_merge_config_selectorIlNS0_10empty_typeEEEZZNS1_27merge_sort_block_merge_implIS3_PlPS5_mZN2at6native12_GLOBAL__N_124unique_dim_cuda_templateIiEESt5tupleIJNSA_6TensorESF_SF_EERKSF_lbbbEUlllE_EE10hipError_tT0_T1_T2_jT3_P12ihipStream_tbPNSt15iterator_traitsISL_E10value_typeEPNSR_ISM_E10value_typeEPSN_NS1_7vsmem_tEENKUlT_SL_SM_SN_E_clIS8_S8_S9_S9_EESK_S10_SL_SM_SN_EUlS10_E1_NS1_11comp_targetILNS1_3genE3ELNS1_11target_archE908ELNS1_3gpuE7ELNS1_3repE0EEENS1_36merge_oddeven_config_static_selectorELNS0_4arch9wavefront6targetE1EEEvSM_
		.amdhsa_group_segment_fixed_size 0
		.amdhsa_private_segment_fixed_size 0
		.amdhsa_kernarg_size 64
		.amdhsa_user_sgpr_count 2
		.amdhsa_user_sgpr_dispatch_ptr 0
		.amdhsa_user_sgpr_queue_ptr 0
		.amdhsa_user_sgpr_kernarg_segment_ptr 1
		.amdhsa_user_sgpr_dispatch_id 0
		.amdhsa_user_sgpr_kernarg_preload_length 0
		.amdhsa_user_sgpr_kernarg_preload_offset 0
		.amdhsa_user_sgpr_private_segment_size 0
		.amdhsa_uses_dynamic_stack 0
		.amdhsa_enable_private_segment 0
		.amdhsa_system_sgpr_workgroup_id_x 1
		.amdhsa_system_sgpr_workgroup_id_y 0
		.amdhsa_system_sgpr_workgroup_id_z 0
		.amdhsa_system_sgpr_workgroup_info 0
		.amdhsa_system_vgpr_workitem_id 0
		.amdhsa_next_free_vgpr 1
		.amdhsa_next_free_sgpr 0
		.amdhsa_accum_offset 4
		.amdhsa_reserve_vcc 0
		.amdhsa_float_round_mode_32 0
		.amdhsa_float_round_mode_16_64 0
		.amdhsa_float_denorm_mode_32 3
		.amdhsa_float_denorm_mode_16_64 3
		.amdhsa_dx10_clamp 1
		.amdhsa_ieee_mode 1
		.amdhsa_fp16_overflow 0
		.amdhsa_tg_split 0
		.amdhsa_exception_fp_ieee_invalid_op 0
		.amdhsa_exception_fp_denorm_src 0
		.amdhsa_exception_fp_ieee_div_zero 0
		.amdhsa_exception_fp_ieee_overflow 0
		.amdhsa_exception_fp_ieee_underflow 0
		.amdhsa_exception_fp_ieee_inexact 0
		.amdhsa_exception_int_div_zero 0
	.end_amdhsa_kernel
	.section	.text._ZN7rocprim17ROCPRIM_400000_NS6detail17trampoline_kernelINS0_14default_configENS1_38merge_sort_block_merge_config_selectorIlNS0_10empty_typeEEEZZNS1_27merge_sort_block_merge_implIS3_PlPS5_mZN2at6native12_GLOBAL__N_124unique_dim_cuda_templateIiEESt5tupleIJNSA_6TensorESF_SF_EERKSF_lbbbEUlllE_EE10hipError_tT0_T1_T2_jT3_P12ihipStream_tbPNSt15iterator_traitsISL_E10value_typeEPNSR_ISM_E10value_typeEPSN_NS1_7vsmem_tEENKUlT_SL_SM_SN_E_clIS8_S8_S9_S9_EESK_S10_SL_SM_SN_EUlS10_E1_NS1_11comp_targetILNS1_3genE3ELNS1_11target_archE908ELNS1_3gpuE7ELNS1_3repE0EEENS1_36merge_oddeven_config_static_selectorELNS0_4arch9wavefront6targetE1EEEvSM_,"axG",@progbits,_ZN7rocprim17ROCPRIM_400000_NS6detail17trampoline_kernelINS0_14default_configENS1_38merge_sort_block_merge_config_selectorIlNS0_10empty_typeEEEZZNS1_27merge_sort_block_merge_implIS3_PlPS5_mZN2at6native12_GLOBAL__N_124unique_dim_cuda_templateIiEESt5tupleIJNSA_6TensorESF_SF_EERKSF_lbbbEUlllE_EE10hipError_tT0_T1_T2_jT3_P12ihipStream_tbPNSt15iterator_traitsISL_E10value_typeEPNSR_ISM_E10value_typeEPSN_NS1_7vsmem_tEENKUlT_SL_SM_SN_E_clIS8_S8_S9_S9_EESK_S10_SL_SM_SN_EUlS10_E1_NS1_11comp_targetILNS1_3genE3ELNS1_11target_archE908ELNS1_3gpuE7ELNS1_3repE0EEENS1_36merge_oddeven_config_static_selectorELNS0_4arch9wavefront6targetE1EEEvSM_,comdat
.Lfunc_end415:
	.size	_ZN7rocprim17ROCPRIM_400000_NS6detail17trampoline_kernelINS0_14default_configENS1_38merge_sort_block_merge_config_selectorIlNS0_10empty_typeEEEZZNS1_27merge_sort_block_merge_implIS3_PlPS5_mZN2at6native12_GLOBAL__N_124unique_dim_cuda_templateIiEESt5tupleIJNSA_6TensorESF_SF_EERKSF_lbbbEUlllE_EE10hipError_tT0_T1_T2_jT3_P12ihipStream_tbPNSt15iterator_traitsISL_E10value_typeEPNSR_ISM_E10value_typeEPSN_NS1_7vsmem_tEENKUlT_SL_SM_SN_E_clIS8_S8_S9_S9_EESK_S10_SL_SM_SN_EUlS10_E1_NS1_11comp_targetILNS1_3genE3ELNS1_11target_archE908ELNS1_3gpuE7ELNS1_3repE0EEENS1_36merge_oddeven_config_static_selectorELNS0_4arch9wavefront6targetE1EEEvSM_, .Lfunc_end415-_ZN7rocprim17ROCPRIM_400000_NS6detail17trampoline_kernelINS0_14default_configENS1_38merge_sort_block_merge_config_selectorIlNS0_10empty_typeEEEZZNS1_27merge_sort_block_merge_implIS3_PlPS5_mZN2at6native12_GLOBAL__N_124unique_dim_cuda_templateIiEESt5tupleIJNSA_6TensorESF_SF_EERKSF_lbbbEUlllE_EE10hipError_tT0_T1_T2_jT3_P12ihipStream_tbPNSt15iterator_traitsISL_E10value_typeEPNSR_ISM_E10value_typeEPSN_NS1_7vsmem_tEENKUlT_SL_SM_SN_E_clIS8_S8_S9_S9_EESK_S10_SL_SM_SN_EUlS10_E1_NS1_11comp_targetILNS1_3genE3ELNS1_11target_archE908ELNS1_3gpuE7ELNS1_3repE0EEENS1_36merge_oddeven_config_static_selectorELNS0_4arch9wavefront6targetE1EEEvSM_
                                        ; -- End function
	.section	.AMDGPU.csdata,"",@progbits
; Kernel info:
; codeLenInByte = 0
; NumSgprs: 6
; NumVgprs: 0
; NumAgprs: 0
; TotalNumVgprs: 0
; ScratchSize: 0
; MemoryBound: 0
; FloatMode: 240
; IeeeMode: 1
; LDSByteSize: 0 bytes/workgroup (compile time only)
; SGPRBlocks: 0
; VGPRBlocks: 0
; NumSGPRsForWavesPerEU: 6
; NumVGPRsForWavesPerEU: 1
; AccumOffset: 4
; Occupancy: 8
; WaveLimiterHint : 0
; COMPUTE_PGM_RSRC2:SCRATCH_EN: 0
; COMPUTE_PGM_RSRC2:USER_SGPR: 2
; COMPUTE_PGM_RSRC2:TRAP_HANDLER: 0
; COMPUTE_PGM_RSRC2:TGID_X_EN: 1
; COMPUTE_PGM_RSRC2:TGID_Y_EN: 0
; COMPUTE_PGM_RSRC2:TGID_Z_EN: 0
; COMPUTE_PGM_RSRC2:TIDIG_COMP_CNT: 0
; COMPUTE_PGM_RSRC3_GFX90A:ACCUM_OFFSET: 0
; COMPUTE_PGM_RSRC3_GFX90A:TG_SPLIT: 0
	.section	.text._ZN7rocprim17ROCPRIM_400000_NS6detail17trampoline_kernelINS0_14default_configENS1_38merge_sort_block_merge_config_selectorIlNS0_10empty_typeEEEZZNS1_27merge_sort_block_merge_implIS3_PlPS5_mZN2at6native12_GLOBAL__N_124unique_dim_cuda_templateIiEESt5tupleIJNSA_6TensorESF_SF_EERKSF_lbbbEUlllE_EE10hipError_tT0_T1_T2_jT3_P12ihipStream_tbPNSt15iterator_traitsISL_E10value_typeEPNSR_ISM_E10value_typeEPSN_NS1_7vsmem_tEENKUlT_SL_SM_SN_E_clIS8_S8_S9_S9_EESK_S10_SL_SM_SN_EUlS10_E1_NS1_11comp_targetILNS1_3genE2ELNS1_11target_archE906ELNS1_3gpuE6ELNS1_3repE0EEENS1_36merge_oddeven_config_static_selectorELNS0_4arch9wavefront6targetE1EEEvSM_,"axG",@progbits,_ZN7rocprim17ROCPRIM_400000_NS6detail17trampoline_kernelINS0_14default_configENS1_38merge_sort_block_merge_config_selectorIlNS0_10empty_typeEEEZZNS1_27merge_sort_block_merge_implIS3_PlPS5_mZN2at6native12_GLOBAL__N_124unique_dim_cuda_templateIiEESt5tupleIJNSA_6TensorESF_SF_EERKSF_lbbbEUlllE_EE10hipError_tT0_T1_T2_jT3_P12ihipStream_tbPNSt15iterator_traitsISL_E10value_typeEPNSR_ISM_E10value_typeEPSN_NS1_7vsmem_tEENKUlT_SL_SM_SN_E_clIS8_S8_S9_S9_EESK_S10_SL_SM_SN_EUlS10_E1_NS1_11comp_targetILNS1_3genE2ELNS1_11target_archE906ELNS1_3gpuE6ELNS1_3repE0EEENS1_36merge_oddeven_config_static_selectorELNS0_4arch9wavefront6targetE1EEEvSM_,comdat
	.globl	_ZN7rocprim17ROCPRIM_400000_NS6detail17trampoline_kernelINS0_14default_configENS1_38merge_sort_block_merge_config_selectorIlNS0_10empty_typeEEEZZNS1_27merge_sort_block_merge_implIS3_PlPS5_mZN2at6native12_GLOBAL__N_124unique_dim_cuda_templateIiEESt5tupleIJNSA_6TensorESF_SF_EERKSF_lbbbEUlllE_EE10hipError_tT0_T1_T2_jT3_P12ihipStream_tbPNSt15iterator_traitsISL_E10value_typeEPNSR_ISM_E10value_typeEPSN_NS1_7vsmem_tEENKUlT_SL_SM_SN_E_clIS8_S8_S9_S9_EESK_S10_SL_SM_SN_EUlS10_E1_NS1_11comp_targetILNS1_3genE2ELNS1_11target_archE906ELNS1_3gpuE6ELNS1_3repE0EEENS1_36merge_oddeven_config_static_selectorELNS0_4arch9wavefront6targetE1EEEvSM_ ; -- Begin function _ZN7rocprim17ROCPRIM_400000_NS6detail17trampoline_kernelINS0_14default_configENS1_38merge_sort_block_merge_config_selectorIlNS0_10empty_typeEEEZZNS1_27merge_sort_block_merge_implIS3_PlPS5_mZN2at6native12_GLOBAL__N_124unique_dim_cuda_templateIiEESt5tupleIJNSA_6TensorESF_SF_EERKSF_lbbbEUlllE_EE10hipError_tT0_T1_T2_jT3_P12ihipStream_tbPNSt15iterator_traitsISL_E10value_typeEPNSR_ISM_E10value_typeEPSN_NS1_7vsmem_tEENKUlT_SL_SM_SN_E_clIS8_S8_S9_S9_EESK_S10_SL_SM_SN_EUlS10_E1_NS1_11comp_targetILNS1_3genE2ELNS1_11target_archE906ELNS1_3gpuE6ELNS1_3repE0EEENS1_36merge_oddeven_config_static_selectorELNS0_4arch9wavefront6targetE1EEEvSM_
	.p2align	8
	.type	_ZN7rocprim17ROCPRIM_400000_NS6detail17trampoline_kernelINS0_14default_configENS1_38merge_sort_block_merge_config_selectorIlNS0_10empty_typeEEEZZNS1_27merge_sort_block_merge_implIS3_PlPS5_mZN2at6native12_GLOBAL__N_124unique_dim_cuda_templateIiEESt5tupleIJNSA_6TensorESF_SF_EERKSF_lbbbEUlllE_EE10hipError_tT0_T1_T2_jT3_P12ihipStream_tbPNSt15iterator_traitsISL_E10value_typeEPNSR_ISM_E10value_typeEPSN_NS1_7vsmem_tEENKUlT_SL_SM_SN_E_clIS8_S8_S9_S9_EESK_S10_SL_SM_SN_EUlS10_E1_NS1_11comp_targetILNS1_3genE2ELNS1_11target_archE906ELNS1_3gpuE6ELNS1_3repE0EEENS1_36merge_oddeven_config_static_selectorELNS0_4arch9wavefront6targetE1EEEvSM_,@function
_ZN7rocprim17ROCPRIM_400000_NS6detail17trampoline_kernelINS0_14default_configENS1_38merge_sort_block_merge_config_selectorIlNS0_10empty_typeEEEZZNS1_27merge_sort_block_merge_implIS3_PlPS5_mZN2at6native12_GLOBAL__N_124unique_dim_cuda_templateIiEESt5tupleIJNSA_6TensorESF_SF_EERKSF_lbbbEUlllE_EE10hipError_tT0_T1_T2_jT3_P12ihipStream_tbPNSt15iterator_traitsISL_E10value_typeEPNSR_ISM_E10value_typeEPSN_NS1_7vsmem_tEENKUlT_SL_SM_SN_E_clIS8_S8_S9_S9_EESK_S10_SL_SM_SN_EUlS10_E1_NS1_11comp_targetILNS1_3genE2ELNS1_11target_archE906ELNS1_3gpuE6ELNS1_3repE0EEENS1_36merge_oddeven_config_static_selectorELNS0_4arch9wavefront6targetE1EEEvSM_: ; @_ZN7rocprim17ROCPRIM_400000_NS6detail17trampoline_kernelINS0_14default_configENS1_38merge_sort_block_merge_config_selectorIlNS0_10empty_typeEEEZZNS1_27merge_sort_block_merge_implIS3_PlPS5_mZN2at6native12_GLOBAL__N_124unique_dim_cuda_templateIiEESt5tupleIJNSA_6TensorESF_SF_EERKSF_lbbbEUlllE_EE10hipError_tT0_T1_T2_jT3_P12ihipStream_tbPNSt15iterator_traitsISL_E10value_typeEPNSR_ISM_E10value_typeEPSN_NS1_7vsmem_tEENKUlT_SL_SM_SN_E_clIS8_S8_S9_S9_EESK_S10_SL_SM_SN_EUlS10_E1_NS1_11comp_targetILNS1_3genE2ELNS1_11target_archE906ELNS1_3gpuE6ELNS1_3repE0EEENS1_36merge_oddeven_config_static_selectorELNS0_4arch9wavefront6targetE1EEEvSM_
; %bb.0:
	.section	.rodata,"a",@progbits
	.p2align	6, 0x0
	.amdhsa_kernel _ZN7rocprim17ROCPRIM_400000_NS6detail17trampoline_kernelINS0_14default_configENS1_38merge_sort_block_merge_config_selectorIlNS0_10empty_typeEEEZZNS1_27merge_sort_block_merge_implIS3_PlPS5_mZN2at6native12_GLOBAL__N_124unique_dim_cuda_templateIiEESt5tupleIJNSA_6TensorESF_SF_EERKSF_lbbbEUlllE_EE10hipError_tT0_T1_T2_jT3_P12ihipStream_tbPNSt15iterator_traitsISL_E10value_typeEPNSR_ISM_E10value_typeEPSN_NS1_7vsmem_tEENKUlT_SL_SM_SN_E_clIS8_S8_S9_S9_EESK_S10_SL_SM_SN_EUlS10_E1_NS1_11comp_targetILNS1_3genE2ELNS1_11target_archE906ELNS1_3gpuE6ELNS1_3repE0EEENS1_36merge_oddeven_config_static_selectorELNS0_4arch9wavefront6targetE1EEEvSM_
		.amdhsa_group_segment_fixed_size 0
		.amdhsa_private_segment_fixed_size 0
		.amdhsa_kernarg_size 64
		.amdhsa_user_sgpr_count 2
		.amdhsa_user_sgpr_dispatch_ptr 0
		.amdhsa_user_sgpr_queue_ptr 0
		.amdhsa_user_sgpr_kernarg_segment_ptr 1
		.amdhsa_user_sgpr_dispatch_id 0
		.amdhsa_user_sgpr_kernarg_preload_length 0
		.amdhsa_user_sgpr_kernarg_preload_offset 0
		.amdhsa_user_sgpr_private_segment_size 0
		.amdhsa_uses_dynamic_stack 0
		.amdhsa_enable_private_segment 0
		.amdhsa_system_sgpr_workgroup_id_x 1
		.amdhsa_system_sgpr_workgroup_id_y 0
		.amdhsa_system_sgpr_workgroup_id_z 0
		.amdhsa_system_sgpr_workgroup_info 0
		.amdhsa_system_vgpr_workitem_id 0
		.amdhsa_next_free_vgpr 1
		.amdhsa_next_free_sgpr 0
		.amdhsa_accum_offset 4
		.amdhsa_reserve_vcc 0
		.amdhsa_float_round_mode_32 0
		.amdhsa_float_round_mode_16_64 0
		.amdhsa_float_denorm_mode_32 3
		.amdhsa_float_denorm_mode_16_64 3
		.amdhsa_dx10_clamp 1
		.amdhsa_ieee_mode 1
		.amdhsa_fp16_overflow 0
		.amdhsa_tg_split 0
		.amdhsa_exception_fp_ieee_invalid_op 0
		.amdhsa_exception_fp_denorm_src 0
		.amdhsa_exception_fp_ieee_div_zero 0
		.amdhsa_exception_fp_ieee_overflow 0
		.amdhsa_exception_fp_ieee_underflow 0
		.amdhsa_exception_fp_ieee_inexact 0
		.amdhsa_exception_int_div_zero 0
	.end_amdhsa_kernel
	.section	.text._ZN7rocprim17ROCPRIM_400000_NS6detail17trampoline_kernelINS0_14default_configENS1_38merge_sort_block_merge_config_selectorIlNS0_10empty_typeEEEZZNS1_27merge_sort_block_merge_implIS3_PlPS5_mZN2at6native12_GLOBAL__N_124unique_dim_cuda_templateIiEESt5tupleIJNSA_6TensorESF_SF_EERKSF_lbbbEUlllE_EE10hipError_tT0_T1_T2_jT3_P12ihipStream_tbPNSt15iterator_traitsISL_E10value_typeEPNSR_ISM_E10value_typeEPSN_NS1_7vsmem_tEENKUlT_SL_SM_SN_E_clIS8_S8_S9_S9_EESK_S10_SL_SM_SN_EUlS10_E1_NS1_11comp_targetILNS1_3genE2ELNS1_11target_archE906ELNS1_3gpuE6ELNS1_3repE0EEENS1_36merge_oddeven_config_static_selectorELNS0_4arch9wavefront6targetE1EEEvSM_,"axG",@progbits,_ZN7rocprim17ROCPRIM_400000_NS6detail17trampoline_kernelINS0_14default_configENS1_38merge_sort_block_merge_config_selectorIlNS0_10empty_typeEEEZZNS1_27merge_sort_block_merge_implIS3_PlPS5_mZN2at6native12_GLOBAL__N_124unique_dim_cuda_templateIiEESt5tupleIJNSA_6TensorESF_SF_EERKSF_lbbbEUlllE_EE10hipError_tT0_T1_T2_jT3_P12ihipStream_tbPNSt15iterator_traitsISL_E10value_typeEPNSR_ISM_E10value_typeEPSN_NS1_7vsmem_tEENKUlT_SL_SM_SN_E_clIS8_S8_S9_S9_EESK_S10_SL_SM_SN_EUlS10_E1_NS1_11comp_targetILNS1_3genE2ELNS1_11target_archE906ELNS1_3gpuE6ELNS1_3repE0EEENS1_36merge_oddeven_config_static_selectorELNS0_4arch9wavefront6targetE1EEEvSM_,comdat
.Lfunc_end416:
	.size	_ZN7rocprim17ROCPRIM_400000_NS6detail17trampoline_kernelINS0_14default_configENS1_38merge_sort_block_merge_config_selectorIlNS0_10empty_typeEEEZZNS1_27merge_sort_block_merge_implIS3_PlPS5_mZN2at6native12_GLOBAL__N_124unique_dim_cuda_templateIiEESt5tupleIJNSA_6TensorESF_SF_EERKSF_lbbbEUlllE_EE10hipError_tT0_T1_T2_jT3_P12ihipStream_tbPNSt15iterator_traitsISL_E10value_typeEPNSR_ISM_E10value_typeEPSN_NS1_7vsmem_tEENKUlT_SL_SM_SN_E_clIS8_S8_S9_S9_EESK_S10_SL_SM_SN_EUlS10_E1_NS1_11comp_targetILNS1_3genE2ELNS1_11target_archE906ELNS1_3gpuE6ELNS1_3repE0EEENS1_36merge_oddeven_config_static_selectorELNS0_4arch9wavefront6targetE1EEEvSM_, .Lfunc_end416-_ZN7rocprim17ROCPRIM_400000_NS6detail17trampoline_kernelINS0_14default_configENS1_38merge_sort_block_merge_config_selectorIlNS0_10empty_typeEEEZZNS1_27merge_sort_block_merge_implIS3_PlPS5_mZN2at6native12_GLOBAL__N_124unique_dim_cuda_templateIiEESt5tupleIJNSA_6TensorESF_SF_EERKSF_lbbbEUlllE_EE10hipError_tT0_T1_T2_jT3_P12ihipStream_tbPNSt15iterator_traitsISL_E10value_typeEPNSR_ISM_E10value_typeEPSN_NS1_7vsmem_tEENKUlT_SL_SM_SN_E_clIS8_S8_S9_S9_EESK_S10_SL_SM_SN_EUlS10_E1_NS1_11comp_targetILNS1_3genE2ELNS1_11target_archE906ELNS1_3gpuE6ELNS1_3repE0EEENS1_36merge_oddeven_config_static_selectorELNS0_4arch9wavefront6targetE1EEEvSM_
                                        ; -- End function
	.section	.AMDGPU.csdata,"",@progbits
; Kernel info:
; codeLenInByte = 0
; NumSgprs: 6
; NumVgprs: 0
; NumAgprs: 0
; TotalNumVgprs: 0
; ScratchSize: 0
; MemoryBound: 0
; FloatMode: 240
; IeeeMode: 1
; LDSByteSize: 0 bytes/workgroup (compile time only)
; SGPRBlocks: 0
; VGPRBlocks: 0
; NumSGPRsForWavesPerEU: 6
; NumVGPRsForWavesPerEU: 1
; AccumOffset: 4
; Occupancy: 8
; WaveLimiterHint : 0
; COMPUTE_PGM_RSRC2:SCRATCH_EN: 0
; COMPUTE_PGM_RSRC2:USER_SGPR: 2
; COMPUTE_PGM_RSRC2:TRAP_HANDLER: 0
; COMPUTE_PGM_RSRC2:TGID_X_EN: 1
; COMPUTE_PGM_RSRC2:TGID_Y_EN: 0
; COMPUTE_PGM_RSRC2:TGID_Z_EN: 0
; COMPUTE_PGM_RSRC2:TIDIG_COMP_CNT: 0
; COMPUTE_PGM_RSRC3_GFX90A:ACCUM_OFFSET: 0
; COMPUTE_PGM_RSRC3_GFX90A:TG_SPLIT: 0
	.section	.text._ZN7rocprim17ROCPRIM_400000_NS6detail17trampoline_kernelINS0_14default_configENS1_38merge_sort_block_merge_config_selectorIlNS0_10empty_typeEEEZZNS1_27merge_sort_block_merge_implIS3_PlPS5_mZN2at6native12_GLOBAL__N_124unique_dim_cuda_templateIiEESt5tupleIJNSA_6TensorESF_SF_EERKSF_lbbbEUlllE_EE10hipError_tT0_T1_T2_jT3_P12ihipStream_tbPNSt15iterator_traitsISL_E10value_typeEPNSR_ISM_E10value_typeEPSN_NS1_7vsmem_tEENKUlT_SL_SM_SN_E_clIS8_S8_S9_S9_EESK_S10_SL_SM_SN_EUlS10_E1_NS1_11comp_targetILNS1_3genE9ELNS1_11target_archE1100ELNS1_3gpuE3ELNS1_3repE0EEENS1_36merge_oddeven_config_static_selectorELNS0_4arch9wavefront6targetE1EEEvSM_,"axG",@progbits,_ZN7rocprim17ROCPRIM_400000_NS6detail17trampoline_kernelINS0_14default_configENS1_38merge_sort_block_merge_config_selectorIlNS0_10empty_typeEEEZZNS1_27merge_sort_block_merge_implIS3_PlPS5_mZN2at6native12_GLOBAL__N_124unique_dim_cuda_templateIiEESt5tupleIJNSA_6TensorESF_SF_EERKSF_lbbbEUlllE_EE10hipError_tT0_T1_T2_jT3_P12ihipStream_tbPNSt15iterator_traitsISL_E10value_typeEPNSR_ISM_E10value_typeEPSN_NS1_7vsmem_tEENKUlT_SL_SM_SN_E_clIS8_S8_S9_S9_EESK_S10_SL_SM_SN_EUlS10_E1_NS1_11comp_targetILNS1_3genE9ELNS1_11target_archE1100ELNS1_3gpuE3ELNS1_3repE0EEENS1_36merge_oddeven_config_static_selectorELNS0_4arch9wavefront6targetE1EEEvSM_,comdat
	.globl	_ZN7rocprim17ROCPRIM_400000_NS6detail17trampoline_kernelINS0_14default_configENS1_38merge_sort_block_merge_config_selectorIlNS0_10empty_typeEEEZZNS1_27merge_sort_block_merge_implIS3_PlPS5_mZN2at6native12_GLOBAL__N_124unique_dim_cuda_templateIiEESt5tupleIJNSA_6TensorESF_SF_EERKSF_lbbbEUlllE_EE10hipError_tT0_T1_T2_jT3_P12ihipStream_tbPNSt15iterator_traitsISL_E10value_typeEPNSR_ISM_E10value_typeEPSN_NS1_7vsmem_tEENKUlT_SL_SM_SN_E_clIS8_S8_S9_S9_EESK_S10_SL_SM_SN_EUlS10_E1_NS1_11comp_targetILNS1_3genE9ELNS1_11target_archE1100ELNS1_3gpuE3ELNS1_3repE0EEENS1_36merge_oddeven_config_static_selectorELNS0_4arch9wavefront6targetE1EEEvSM_ ; -- Begin function _ZN7rocprim17ROCPRIM_400000_NS6detail17trampoline_kernelINS0_14default_configENS1_38merge_sort_block_merge_config_selectorIlNS0_10empty_typeEEEZZNS1_27merge_sort_block_merge_implIS3_PlPS5_mZN2at6native12_GLOBAL__N_124unique_dim_cuda_templateIiEESt5tupleIJNSA_6TensorESF_SF_EERKSF_lbbbEUlllE_EE10hipError_tT0_T1_T2_jT3_P12ihipStream_tbPNSt15iterator_traitsISL_E10value_typeEPNSR_ISM_E10value_typeEPSN_NS1_7vsmem_tEENKUlT_SL_SM_SN_E_clIS8_S8_S9_S9_EESK_S10_SL_SM_SN_EUlS10_E1_NS1_11comp_targetILNS1_3genE9ELNS1_11target_archE1100ELNS1_3gpuE3ELNS1_3repE0EEENS1_36merge_oddeven_config_static_selectorELNS0_4arch9wavefront6targetE1EEEvSM_
	.p2align	8
	.type	_ZN7rocprim17ROCPRIM_400000_NS6detail17trampoline_kernelINS0_14default_configENS1_38merge_sort_block_merge_config_selectorIlNS0_10empty_typeEEEZZNS1_27merge_sort_block_merge_implIS3_PlPS5_mZN2at6native12_GLOBAL__N_124unique_dim_cuda_templateIiEESt5tupleIJNSA_6TensorESF_SF_EERKSF_lbbbEUlllE_EE10hipError_tT0_T1_T2_jT3_P12ihipStream_tbPNSt15iterator_traitsISL_E10value_typeEPNSR_ISM_E10value_typeEPSN_NS1_7vsmem_tEENKUlT_SL_SM_SN_E_clIS8_S8_S9_S9_EESK_S10_SL_SM_SN_EUlS10_E1_NS1_11comp_targetILNS1_3genE9ELNS1_11target_archE1100ELNS1_3gpuE3ELNS1_3repE0EEENS1_36merge_oddeven_config_static_selectorELNS0_4arch9wavefront6targetE1EEEvSM_,@function
_ZN7rocprim17ROCPRIM_400000_NS6detail17trampoline_kernelINS0_14default_configENS1_38merge_sort_block_merge_config_selectorIlNS0_10empty_typeEEEZZNS1_27merge_sort_block_merge_implIS3_PlPS5_mZN2at6native12_GLOBAL__N_124unique_dim_cuda_templateIiEESt5tupleIJNSA_6TensorESF_SF_EERKSF_lbbbEUlllE_EE10hipError_tT0_T1_T2_jT3_P12ihipStream_tbPNSt15iterator_traitsISL_E10value_typeEPNSR_ISM_E10value_typeEPSN_NS1_7vsmem_tEENKUlT_SL_SM_SN_E_clIS8_S8_S9_S9_EESK_S10_SL_SM_SN_EUlS10_E1_NS1_11comp_targetILNS1_3genE9ELNS1_11target_archE1100ELNS1_3gpuE3ELNS1_3repE0EEENS1_36merge_oddeven_config_static_selectorELNS0_4arch9wavefront6targetE1EEEvSM_: ; @_ZN7rocprim17ROCPRIM_400000_NS6detail17trampoline_kernelINS0_14default_configENS1_38merge_sort_block_merge_config_selectorIlNS0_10empty_typeEEEZZNS1_27merge_sort_block_merge_implIS3_PlPS5_mZN2at6native12_GLOBAL__N_124unique_dim_cuda_templateIiEESt5tupleIJNSA_6TensorESF_SF_EERKSF_lbbbEUlllE_EE10hipError_tT0_T1_T2_jT3_P12ihipStream_tbPNSt15iterator_traitsISL_E10value_typeEPNSR_ISM_E10value_typeEPSN_NS1_7vsmem_tEENKUlT_SL_SM_SN_E_clIS8_S8_S9_S9_EESK_S10_SL_SM_SN_EUlS10_E1_NS1_11comp_targetILNS1_3genE9ELNS1_11target_archE1100ELNS1_3gpuE3ELNS1_3repE0EEENS1_36merge_oddeven_config_static_selectorELNS0_4arch9wavefront6targetE1EEEvSM_
; %bb.0:
	.section	.rodata,"a",@progbits
	.p2align	6, 0x0
	.amdhsa_kernel _ZN7rocprim17ROCPRIM_400000_NS6detail17trampoline_kernelINS0_14default_configENS1_38merge_sort_block_merge_config_selectorIlNS0_10empty_typeEEEZZNS1_27merge_sort_block_merge_implIS3_PlPS5_mZN2at6native12_GLOBAL__N_124unique_dim_cuda_templateIiEESt5tupleIJNSA_6TensorESF_SF_EERKSF_lbbbEUlllE_EE10hipError_tT0_T1_T2_jT3_P12ihipStream_tbPNSt15iterator_traitsISL_E10value_typeEPNSR_ISM_E10value_typeEPSN_NS1_7vsmem_tEENKUlT_SL_SM_SN_E_clIS8_S8_S9_S9_EESK_S10_SL_SM_SN_EUlS10_E1_NS1_11comp_targetILNS1_3genE9ELNS1_11target_archE1100ELNS1_3gpuE3ELNS1_3repE0EEENS1_36merge_oddeven_config_static_selectorELNS0_4arch9wavefront6targetE1EEEvSM_
		.amdhsa_group_segment_fixed_size 0
		.amdhsa_private_segment_fixed_size 0
		.amdhsa_kernarg_size 64
		.amdhsa_user_sgpr_count 2
		.amdhsa_user_sgpr_dispatch_ptr 0
		.amdhsa_user_sgpr_queue_ptr 0
		.amdhsa_user_sgpr_kernarg_segment_ptr 1
		.amdhsa_user_sgpr_dispatch_id 0
		.amdhsa_user_sgpr_kernarg_preload_length 0
		.amdhsa_user_sgpr_kernarg_preload_offset 0
		.amdhsa_user_sgpr_private_segment_size 0
		.amdhsa_uses_dynamic_stack 0
		.amdhsa_enable_private_segment 0
		.amdhsa_system_sgpr_workgroup_id_x 1
		.amdhsa_system_sgpr_workgroup_id_y 0
		.amdhsa_system_sgpr_workgroup_id_z 0
		.amdhsa_system_sgpr_workgroup_info 0
		.amdhsa_system_vgpr_workitem_id 0
		.amdhsa_next_free_vgpr 1
		.amdhsa_next_free_sgpr 0
		.amdhsa_accum_offset 4
		.amdhsa_reserve_vcc 0
		.amdhsa_float_round_mode_32 0
		.amdhsa_float_round_mode_16_64 0
		.amdhsa_float_denorm_mode_32 3
		.amdhsa_float_denorm_mode_16_64 3
		.amdhsa_dx10_clamp 1
		.amdhsa_ieee_mode 1
		.amdhsa_fp16_overflow 0
		.amdhsa_tg_split 0
		.amdhsa_exception_fp_ieee_invalid_op 0
		.amdhsa_exception_fp_denorm_src 0
		.amdhsa_exception_fp_ieee_div_zero 0
		.amdhsa_exception_fp_ieee_overflow 0
		.amdhsa_exception_fp_ieee_underflow 0
		.amdhsa_exception_fp_ieee_inexact 0
		.amdhsa_exception_int_div_zero 0
	.end_amdhsa_kernel
	.section	.text._ZN7rocprim17ROCPRIM_400000_NS6detail17trampoline_kernelINS0_14default_configENS1_38merge_sort_block_merge_config_selectorIlNS0_10empty_typeEEEZZNS1_27merge_sort_block_merge_implIS3_PlPS5_mZN2at6native12_GLOBAL__N_124unique_dim_cuda_templateIiEESt5tupleIJNSA_6TensorESF_SF_EERKSF_lbbbEUlllE_EE10hipError_tT0_T1_T2_jT3_P12ihipStream_tbPNSt15iterator_traitsISL_E10value_typeEPNSR_ISM_E10value_typeEPSN_NS1_7vsmem_tEENKUlT_SL_SM_SN_E_clIS8_S8_S9_S9_EESK_S10_SL_SM_SN_EUlS10_E1_NS1_11comp_targetILNS1_3genE9ELNS1_11target_archE1100ELNS1_3gpuE3ELNS1_3repE0EEENS1_36merge_oddeven_config_static_selectorELNS0_4arch9wavefront6targetE1EEEvSM_,"axG",@progbits,_ZN7rocprim17ROCPRIM_400000_NS6detail17trampoline_kernelINS0_14default_configENS1_38merge_sort_block_merge_config_selectorIlNS0_10empty_typeEEEZZNS1_27merge_sort_block_merge_implIS3_PlPS5_mZN2at6native12_GLOBAL__N_124unique_dim_cuda_templateIiEESt5tupleIJNSA_6TensorESF_SF_EERKSF_lbbbEUlllE_EE10hipError_tT0_T1_T2_jT3_P12ihipStream_tbPNSt15iterator_traitsISL_E10value_typeEPNSR_ISM_E10value_typeEPSN_NS1_7vsmem_tEENKUlT_SL_SM_SN_E_clIS8_S8_S9_S9_EESK_S10_SL_SM_SN_EUlS10_E1_NS1_11comp_targetILNS1_3genE9ELNS1_11target_archE1100ELNS1_3gpuE3ELNS1_3repE0EEENS1_36merge_oddeven_config_static_selectorELNS0_4arch9wavefront6targetE1EEEvSM_,comdat
.Lfunc_end417:
	.size	_ZN7rocprim17ROCPRIM_400000_NS6detail17trampoline_kernelINS0_14default_configENS1_38merge_sort_block_merge_config_selectorIlNS0_10empty_typeEEEZZNS1_27merge_sort_block_merge_implIS3_PlPS5_mZN2at6native12_GLOBAL__N_124unique_dim_cuda_templateIiEESt5tupleIJNSA_6TensorESF_SF_EERKSF_lbbbEUlllE_EE10hipError_tT0_T1_T2_jT3_P12ihipStream_tbPNSt15iterator_traitsISL_E10value_typeEPNSR_ISM_E10value_typeEPSN_NS1_7vsmem_tEENKUlT_SL_SM_SN_E_clIS8_S8_S9_S9_EESK_S10_SL_SM_SN_EUlS10_E1_NS1_11comp_targetILNS1_3genE9ELNS1_11target_archE1100ELNS1_3gpuE3ELNS1_3repE0EEENS1_36merge_oddeven_config_static_selectorELNS0_4arch9wavefront6targetE1EEEvSM_, .Lfunc_end417-_ZN7rocprim17ROCPRIM_400000_NS6detail17trampoline_kernelINS0_14default_configENS1_38merge_sort_block_merge_config_selectorIlNS0_10empty_typeEEEZZNS1_27merge_sort_block_merge_implIS3_PlPS5_mZN2at6native12_GLOBAL__N_124unique_dim_cuda_templateIiEESt5tupleIJNSA_6TensorESF_SF_EERKSF_lbbbEUlllE_EE10hipError_tT0_T1_T2_jT3_P12ihipStream_tbPNSt15iterator_traitsISL_E10value_typeEPNSR_ISM_E10value_typeEPSN_NS1_7vsmem_tEENKUlT_SL_SM_SN_E_clIS8_S8_S9_S9_EESK_S10_SL_SM_SN_EUlS10_E1_NS1_11comp_targetILNS1_3genE9ELNS1_11target_archE1100ELNS1_3gpuE3ELNS1_3repE0EEENS1_36merge_oddeven_config_static_selectorELNS0_4arch9wavefront6targetE1EEEvSM_
                                        ; -- End function
	.section	.AMDGPU.csdata,"",@progbits
; Kernel info:
; codeLenInByte = 0
; NumSgprs: 6
; NumVgprs: 0
; NumAgprs: 0
; TotalNumVgprs: 0
; ScratchSize: 0
; MemoryBound: 0
; FloatMode: 240
; IeeeMode: 1
; LDSByteSize: 0 bytes/workgroup (compile time only)
; SGPRBlocks: 0
; VGPRBlocks: 0
; NumSGPRsForWavesPerEU: 6
; NumVGPRsForWavesPerEU: 1
; AccumOffset: 4
; Occupancy: 8
; WaveLimiterHint : 0
; COMPUTE_PGM_RSRC2:SCRATCH_EN: 0
; COMPUTE_PGM_RSRC2:USER_SGPR: 2
; COMPUTE_PGM_RSRC2:TRAP_HANDLER: 0
; COMPUTE_PGM_RSRC2:TGID_X_EN: 1
; COMPUTE_PGM_RSRC2:TGID_Y_EN: 0
; COMPUTE_PGM_RSRC2:TGID_Z_EN: 0
; COMPUTE_PGM_RSRC2:TIDIG_COMP_CNT: 0
; COMPUTE_PGM_RSRC3_GFX90A:ACCUM_OFFSET: 0
; COMPUTE_PGM_RSRC3_GFX90A:TG_SPLIT: 0
	.section	.text._ZN7rocprim17ROCPRIM_400000_NS6detail17trampoline_kernelINS0_14default_configENS1_38merge_sort_block_merge_config_selectorIlNS0_10empty_typeEEEZZNS1_27merge_sort_block_merge_implIS3_PlPS5_mZN2at6native12_GLOBAL__N_124unique_dim_cuda_templateIiEESt5tupleIJNSA_6TensorESF_SF_EERKSF_lbbbEUlllE_EE10hipError_tT0_T1_T2_jT3_P12ihipStream_tbPNSt15iterator_traitsISL_E10value_typeEPNSR_ISM_E10value_typeEPSN_NS1_7vsmem_tEENKUlT_SL_SM_SN_E_clIS8_S8_S9_S9_EESK_S10_SL_SM_SN_EUlS10_E1_NS1_11comp_targetILNS1_3genE8ELNS1_11target_archE1030ELNS1_3gpuE2ELNS1_3repE0EEENS1_36merge_oddeven_config_static_selectorELNS0_4arch9wavefront6targetE1EEEvSM_,"axG",@progbits,_ZN7rocprim17ROCPRIM_400000_NS6detail17trampoline_kernelINS0_14default_configENS1_38merge_sort_block_merge_config_selectorIlNS0_10empty_typeEEEZZNS1_27merge_sort_block_merge_implIS3_PlPS5_mZN2at6native12_GLOBAL__N_124unique_dim_cuda_templateIiEESt5tupleIJNSA_6TensorESF_SF_EERKSF_lbbbEUlllE_EE10hipError_tT0_T1_T2_jT3_P12ihipStream_tbPNSt15iterator_traitsISL_E10value_typeEPNSR_ISM_E10value_typeEPSN_NS1_7vsmem_tEENKUlT_SL_SM_SN_E_clIS8_S8_S9_S9_EESK_S10_SL_SM_SN_EUlS10_E1_NS1_11comp_targetILNS1_3genE8ELNS1_11target_archE1030ELNS1_3gpuE2ELNS1_3repE0EEENS1_36merge_oddeven_config_static_selectorELNS0_4arch9wavefront6targetE1EEEvSM_,comdat
	.globl	_ZN7rocprim17ROCPRIM_400000_NS6detail17trampoline_kernelINS0_14default_configENS1_38merge_sort_block_merge_config_selectorIlNS0_10empty_typeEEEZZNS1_27merge_sort_block_merge_implIS3_PlPS5_mZN2at6native12_GLOBAL__N_124unique_dim_cuda_templateIiEESt5tupleIJNSA_6TensorESF_SF_EERKSF_lbbbEUlllE_EE10hipError_tT0_T1_T2_jT3_P12ihipStream_tbPNSt15iterator_traitsISL_E10value_typeEPNSR_ISM_E10value_typeEPSN_NS1_7vsmem_tEENKUlT_SL_SM_SN_E_clIS8_S8_S9_S9_EESK_S10_SL_SM_SN_EUlS10_E1_NS1_11comp_targetILNS1_3genE8ELNS1_11target_archE1030ELNS1_3gpuE2ELNS1_3repE0EEENS1_36merge_oddeven_config_static_selectorELNS0_4arch9wavefront6targetE1EEEvSM_ ; -- Begin function _ZN7rocprim17ROCPRIM_400000_NS6detail17trampoline_kernelINS0_14default_configENS1_38merge_sort_block_merge_config_selectorIlNS0_10empty_typeEEEZZNS1_27merge_sort_block_merge_implIS3_PlPS5_mZN2at6native12_GLOBAL__N_124unique_dim_cuda_templateIiEESt5tupleIJNSA_6TensorESF_SF_EERKSF_lbbbEUlllE_EE10hipError_tT0_T1_T2_jT3_P12ihipStream_tbPNSt15iterator_traitsISL_E10value_typeEPNSR_ISM_E10value_typeEPSN_NS1_7vsmem_tEENKUlT_SL_SM_SN_E_clIS8_S8_S9_S9_EESK_S10_SL_SM_SN_EUlS10_E1_NS1_11comp_targetILNS1_3genE8ELNS1_11target_archE1030ELNS1_3gpuE2ELNS1_3repE0EEENS1_36merge_oddeven_config_static_selectorELNS0_4arch9wavefront6targetE1EEEvSM_
	.p2align	8
	.type	_ZN7rocprim17ROCPRIM_400000_NS6detail17trampoline_kernelINS0_14default_configENS1_38merge_sort_block_merge_config_selectorIlNS0_10empty_typeEEEZZNS1_27merge_sort_block_merge_implIS3_PlPS5_mZN2at6native12_GLOBAL__N_124unique_dim_cuda_templateIiEESt5tupleIJNSA_6TensorESF_SF_EERKSF_lbbbEUlllE_EE10hipError_tT0_T1_T2_jT3_P12ihipStream_tbPNSt15iterator_traitsISL_E10value_typeEPNSR_ISM_E10value_typeEPSN_NS1_7vsmem_tEENKUlT_SL_SM_SN_E_clIS8_S8_S9_S9_EESK_S10_SL_SM_SN_EUlS10_E1_NS1_11comp_targetILNS1_3genE8ELNS1_11target_archE1030ELNS1_3gpuE2ELNS1_3repE0EEENS1_36merge_oddeven_config_static_selectorELNS0_4arch9wavefront6targetE1EEEvSM_,@function
_ZN7rocprim17ROCPRIM_400000_NS6detail17trampoline_kernelINS0_14default_configENS1_38merge_sort_block_merge_config_selectorIlNS0_10empty_typeEEEZZNS1_27merge_sort_block_merge_implIS3_PlPS5_mZN2at6native12_GLOBAL__N_124unique_dim_cuda_templateIiEESt5tupleIJNSA_6TensorESF_SF_EERKSF_lbbbEUlllE_EE10hipError_tT0_T1_T2_jT3_P12ihipStream_tbPNSt15iterator_traitsISL_E10value_typeEPNSR_ISM_E10value_typeEPSN_NS1_7vsmem_tEENKUlT_SL_SM_SN_E_clIS8_S8_S9_S9_EESK_S10_SL_SM_SN_EUlS10_E1_NS1_11comp_targetILNS1_3genE8ELNS1_11target_archE1030ELNS1_3gpuE2ELNS1_3repE0EEENS1_36merge_oddeven_config_static_selectorELNS0_4arch9wavefront6targetE1EEEvSM_: ; @_ZN7rocprim17ROCPRIM_400000_NS6detail17trampoline_kernelINS0_14default_configENS1_38merge_sort_block_merge_config_selectorIlNS0_10empty_typeEEEZZNS1_27merge_sort_block_merge_implIS3_PlPS5_mZN2at6native12_GLOBAL__N_124unique_dim_cuda_templateIiEESt5tupleIJNSA_6TensorESF_SF_EERKSF_lbbbEUlllE_EE10hipError_tT0_T1_T2_jT3_P12ihipStream_tbPNSt15iterator_traitsISL_E10value_typeEPNSR_ISM_E10value_typeEPSN_NS1_7vsmem_tEENKUlT_SL_SM_SN_E_clIS8_S8_S9_S9_EESK_S10_SL_SM_SN_EUlS10_E1_NS1_11comp_targetILNS1_3genE8ELNS1_11target_archE1030ELNS1_3gpuE2ELNS1_3repE0EEENS1_36merge_oddeven_config_static_selectorELNS0_4arch9wavefront6targetE1EEEvSM_
; %bb.0:
	.section	.rodata,"a",@progbits
	.p2align	6, 0x0
	.amdhsa_kernel _ZN7rocprim17ROCPRIM_400000_NS6detail17trampoline_kernelINS0_14default_configENS1_38merge_sort_block_merge_config_selectorIlNS0_10empty_typeEEEZZNS1_27merge_sort_block_merge_implIS3_PlPS5_mZN2at6native12_GLOBAL__N_124unique_dim_cuda_templateIiEESt5tupleIJNSA_6TensorESF_SF_EERKSF_lbbbEUlllE_EE10hipError_tT0_T1_T2_jT3_P12ihipStream_tbPNSt15iterator_traitsISL_E10value_typeEPNSR_ISM_E10value_typeEPSN_NS1_7vsmem_tEENKUlT_SL_SM_SN_E_clIS8_S8_S9_S9_EESK_S10_SL_SM_SN_EUlS10_E1_NS1_11comp_targetILNS1_3genE8ELNS1_11target_archE1030ELNS1_3gpuE2ELNS1_3repE0EEENS1_36merge_oddeven_config_static_selectorELNS0_4arch9wavefront6targetE1EEEvSM_
		.amdhsa_group_segment_fixed_size 0
		.amdhsa_private_segment_fixed_size 0
		.amdhsa_kernarg_size 64
		.amdhsa_user_sgpr_count 2
		.amdhsa_user_sgpr_dispatch_ptr 0
		.amdhsa_user_sgpr_queue_ptr 0
		.amdhsa_user_sgpr_kernarg_segment_ptr 1
		.amdhsa_user_sgpr_dispatch_id 0
		.amdhsa_user_sgpr_kernarg_preload_length 0
		.amdhsa_user_sgpr_kernarg_preload_offset 0
		.amdhsa_user_sgpr_private_segment_size 0
		.amdhsa_uses_dynamic_stack 0
		.amdhsa_enable_private_segment 0
		.amdhsa_system_sgpr_workgroup_id_x 1
		.amdhsa_system_sgpr_workgroup_id_y 0
		.amdhsa_system_sgpr_workgroup_id_z 0
		.amdhsa_system_sgpr_workgroup_info 0
		.amdhsa_system_vgpr_workitem_id 0
		.amdhsa_next_free_vgpr 1
		.amdhsa_next_free_sgpr 0
		.amdhsa_accum_offset 4
		.amdhsa_reserve_vcc 0
		.amdhsa_float_round_mode_32 0
		.amdhsa_float_round_mode_16_64 0
		.amdhsa_float_denorm_mode_32 3
		.amdhsa_float_denorm_mode_16_64 3
		.amdhsa_dx10_clamp 1
		.amdhsa_ieee_mode 1
		.amdhsa_fp16_overflow 0
		.amdhsa_tg_split 0
		.amdhsa_exception_fp_ieee_invalid_op 0
		.amdhsa_exception_fp_denorm_src 0
		.amdhsa_exception_fp_ieee_div_zero 0
		.amdhsa_exception_fp_ieee_overflow 0
		.amdhsa_exception_fp_ieee_underflow 0
		.amdhsa_exception_fp_ieee_inexact 0
		.amdhsa_exception_int_div_zero 0
	.end_amdhsa_kernel
	.section	.text._ZN7rocprim17ROCPRIM_400000_NS6detail17trampoline_kernelINS0_14default_configENS1_38merge_sort_block_merge_config_selectorIlNS0_10empty_typeEEEZZNS1_27merge_sort_block_merge_implIS3_PlPS5_mZN2at6native12_GLOBAL__N_124unique_dim_cuda_templateIiEESt5tupleIJNSA_6TensorESF_SF_EERKSF_lbbbEUlllE_EE10hipError_tT0_T1_T2_jT3_P12ihipStream_tbPNSt15iterator_traitsISL_E10value_typeEPNSR_ISM_E10value_typeEPSN_NS1_7vsmem_tEENKUlT_SL_SM_SN_E_clIS8_S8_S9_S9_EESK_S10_SL_SM_SN_EUlS10_E1_NS1_11comp_targetILNS1_3genE8ELNS1_11target_archE1030ELNS1_3gpuE2ELNS1_3repE0EEENS1_36merge_oddeven_config_static_selectorELNS0_4arch9wavefront6targetE1EEEvSM_,"axG",@progbits,_ZN7rocprim17ROCPRIM_400000_NS6detail17trampoline_kernelINS0_14default_configENS1_38merge_sort_block_merge_config_selectorIlNS0_10empty_typeEEEZZNS1_27merge_sort_block_merge_implIS3_PlPS5_mZN2at6native12_GLOBAL__N_124unique_dim_cuda_templateIiEESt5tupleIJNSA_6TensorESF_SF_EERKSF_lbbbEUlllE_EE10hipError_tT0_T1_T2_jT3_P12ihipStream_tbPNSt15iterator_traitsISL_E10value_typeEPNSR_ISM_E10value_typeEPSN_NS1_7vsmem_tEENKUlT_SL_SM_SN_E_clIS8_S8_S9_S9_EESK_S10_SL_SM_SN_EUlS10_E1_NS1_11comp_targetILNS1_3genE8ELNS1_11target_archE1030ELNS1_3gpuE2ELNS1_3repE0EEENS1_36merge_oddeven_config_static_selectorELNS0_4arch9wavefront6targetE1EEEvSM_,comdat
.Lfunc_end418:
	.size	_ZN7rocprim17ROCPRIM_400000_NS6detail17trampoline_kernelINS0_14default_configENS1_38merge_sort_block_merge_config_selectorIlNS0_10empty_typeEEEZZNS1_27merge_sort_block_merge_implIS3_PlPS5_mZN2at6native12_GLOBAL__N_124unique_dim_cuda_templateIiEESt5tupleIJNSA_6TensorESF_SF_EERKSF_lbbbEUlllE_EE10hipError_tT0_T1_T2_jT3_P12ihipStream_tbPNSt15iterator_traitsISL_E10value_typeEPNSR_ISM_E10value_typeEPSN_NS1_7vsmem_tEENKUlT_SL_SM_SN_E_clIS8_S8_S9_S9_EESK_S10_SL_SM_SN_EUlS10_E1_NS1_11comp_targetILNS1_3genE8ELNS1_11target_archE1030ELNS1_3gpuE2ELNS1_3repE0EEENS1_36merge_oddeven_config_static_selectorELNS0_4arch9wavefront6targetE1EEEvSM_, .Lfunc_end418-_ZN7rocprim17ROCPRIM_400000_NS6detail17trampoline_kernelINS0_14default_configENS1_38merge_sort_block_merge_config_selectorIlNS0_10empty_typeEEEZZNS1_27merge_sort_block_merge_implIS3_PlPS5_mZN2at6native12_GLOBAL__N_124unique_dim_cuda_templateIiEESt5tupleIJNSA_6TensorESF_SF_EERKSF_lbbbEUlllE_EE10hipError_tT0_T1_T2_jT3_P12ihipStream_tbPNSt15iterator_traitsISL_E10value_typeEPNSR_ISM_E10value_typeEPSN_NS1_7vsmem_tEENKUlT_SL_SM_SN_E_clIS8_S8_S9_S9_EESK_S10_SL_SM_SN_EUlS10_E1_NS1_11comp_targetILNS1_3genE8ELNS1_11target_archE1030ELNS1_3gpuE2ELNS1_3repE0EEENS1_36merge_oddeven_config_static_selectorELNS0_4arch9wavefront6targetE1EEEvSM_
                                        ; -- End function
	.section	.AMDGPU.csdata,"",@progbits
; Kernel info:
; codeLenInByte = 0
; NumSgprs: 6
; NumVgprs: 0
; NumAgprs: 0
; TotalNumVgprs: 0
; ScratchSize: 0
; MemoryBound: 0
; FloatMode: 240
; IeeeMode: 1
; LDSByteSize: 0 bytes/workgroup (compile time only)
; SGPRBlocks: 0
; VGPRBlocks: 0
; NumSGPRsForWavesPerEU: 6
; NumVGPRsForWavesPerEU: 1
; AccumOffset: 4
; Occupancy: 8
; WaveLimiterHint : 0
; COMPUTE_PGM_RSRC2:SCRATCH_EN: 0
; COMPUTE_PGM_RSRC2:USER_SGPR: 2
; COMPUTE_PGM_RSRC2:TRAP_HANDLER: 0
; COMPUTE_PGM_RSRC2:TGID_X_EN: 1
; COMPUTE_PGM_RSRC2:TGID_Y_EN: 0
; COMPUTE_PGM_RSRC2:TGID_Z_EN: 0
; COMPUTE_PGM_RSRC2:TIDIG_COMP_CNT: 0
; COMPUTE_PGM_RSRC3_GFX90A:ACCUM_OFFSET: 0
; COMPUTE_PGM_RSRC3_GFX90A:TG_SPLIT: 0
	.section	.text._ZN7rocprim17ROCPRIM_400000_NS6detail17trampoline_kernelINS0_14default_configENS1_35adjacent_difference_config_selectorILb0ElEEZNS1_24adjacent_difference_implIS3_Lb0ELb0EPlS7_ZN2at6native12_GLOBAL__N_124unique_dim_cuda_templateIiEESt5tupleIJNS8_6TensorESD_SD_EERKSD_lbbbEUlllE1_EE10hipError_tPvRmT2_T3_mT4_P12ihipStream_tbEUlT_E_NS1_11comp_targetILNS1_3genE0ELNS1_11target_archE4294967295ELNS1_3gpuE0ELNS1_3repE0EEENS1_30default_config_static_selectorELNS0_4arch9wavefront6targetE1EEEvT1_,"axG",@progbits,_ZN7rocprim17ROCPRIM_400000_NS6detail17trampoline_kernelINS0_14default_configENS1_35adjacent_difference_config_selectorILb0ElEEZNS1_24adjacent_difference_implIS3_Lb0ELb0EPlS7_ZN2at6native12_GLOBAL__N_124unique_dim_cuda_templateIiEESt5tupleIJNS8_6TensorESD_SD_EERKSD_lbbbEUlllE1_EE10hipError_tPvRmT2_T3_mT4_P12ihipStream_tbEUlT_E_NS1_11comp_targetILNS1_3genE0ELNS1_11target_archE4294967295ELNS1_3gpuE0ELNS1_3repE0EEENS1_30default_config_static_selectorELNS0_4arch9wavefront6targetE1EEEvT1_,comdat
	.globl	_ZN7rocprim17ROCPRIM_400000_NS6detail17trampoline_kernelINS0_14default_configENS1_35adjacent_difference_config_selectorILb0ElEEZNS1_24adjacent_difference_implIS3_Lb0ELb0EPlS7_ZN2at6native12_GLOBAL__N_124unique_dim_cuda_templateIiEESt5tupleIJNS8_6TensorESD_SD_EERKSD_lbbbEUlllE1_EE10hipError_tPvRmT2_T3_mT4_P12ihipStream_tbEUlT_E_NS1_11comp_targetILNS1_3genE0ELNS1_11target_archE4294967295ELNS1_3gpuE0ELNS1_3repE0EEENS1_30default_config_static_selectorELNS0_4arch9wavefront6targetE1EEEvT1_ ; -- Begin function _ZN7rocprim17ROCPRIM_400000_NS6detail17trampoline_kernelINS0_14default_configENS1_35adjacent_difference_config_selectorILb0ElEEZNS1_24adjacent_difference_implIS3_Lb0ELb0EPlS7_ZN2at6native12_GLOBAL__N_124unique_dim_cuda_templateIiEESt5tupleIJNS8_6TensorESD_SD_EERKSD_lbbbEUlllE1_EE10hipError_tPvRmT2_T3_mT4_P12ihipStream_tbEUlT_E_NS1_11comp_targetILNS1_3genE0ELNS1_11target_archE4294967295ELNS1_3gpuE0ELNS1_3repE0EEENS1_30default_config_static_selectorELNS0_4arch9wavefront6targetE1EEEvT1_
	.p2align	8
	.type	_ZN7rocprim17ROCPRIM_400000_NS6detail17trampoline_kernelINS0_14default_configENS1_35adjacent_difference_config_selectorILb0ElEEZNS1_24adjacent_difference_implIS3_Lb0ELb0EPlS7_ZN2at6native12_GLOBAL__N_124unique_dim_cuda_templateIiEESt5tupleIJNS8_6TensorESD_SD_EERKSD_lbbbEUlllE1_EE10hipError_tPvRmT2_T3_mT4_P12ihipStream_tbEUlT_E_NS1_11comp_targetILNS1_3genE0ELNS1_11target_archE4294967295ELNS1_3gpuE0ELNS1_3repE0EEENS1_30default_config_static_selectorELNS0_4arch9wavefront6targetE1EEEvT1_,@function
_ZN7rocprim17ROCPRIM_400000_NS6detail17trampoline_kernelINS0_14default_configENS1_35adjacent_difference_config_selectorILb0ElEEZNS1_24adjacent_difference_implIS3_Lb0ELb0EPlS7_ZN2at6native12_GLOBAL__N_124unique_dim_cuda_templateIiEESt5tupleIJNS8_6TensorESD_SD_EERKSD_lbbbEUlllE1_EE10hipError_tPvRmT2_T3_mT4_P12ihipStream_tbEUlT_E_NS1_11comp_targetILNS1_3genE0ELNS1_11target_archE4294967295ELNS1_3gpuE0ELNS1_3repE0EEENS1_30default_config_static_selectorELNS0_4arch9wavefront6targetE1EEEvT1_: ; @_ZN7rocprim17ROCPRIM_400000_NS6detail17trampoline_kernelINS0_14default_configENS1_35adjacent_difference_config_selectorILb0ElEEZNS1_24adjacent_difference_implIS3_Lb0ELb0EPlS7_ZN2at6native12_GLOBAL__N_124unique_dim_cuda_templateIiEESt5tupleIJNS8_6TensorESD_SD_EERKSD_lbbbEUlllE1_EE10hipError_tPvRmT2_T3_mT4_P12ihipStream_tbEUlT_E_NS1_11comp_targetILNS1_3genE0ELNS1_11target_archE4294967295ELNS1_3gpuE0ELNS1_3repE0EEENS1_30default_config_static_selectorELNS0_4arch9wavefront6targetE1EEEvT1_
; %bb.0:
	.section	.rodata,"a",@progbits
	.p2align	6, 0x0
	.amdhsa_kernel _ZN7rocprim17ROCPRIM_400000_NS6detail17trampoline_kernelINS0_14default_configENS1_35adjacent_difference_config_selectorILb0ElEEZNS1_24adjacent_difference_implIS3_Lb0ELb0EPlS7_ZN2at6native12_GLOBAL__N_124unique_dim_cuda_templateIiEESt5tupleIJNS8_6TensorESD_SD_EERKSD_lbbbEUlllE1_EE10hipError_tPvRmT2_T3_mT4_P12ihipStream_tbEUlT_E_NS1_11comp_targetILNS1_3genE0ELNS1_11target_archE4294967295ELNS1_3gpuE0ELNS1_3repE0EEENS1_30default_config_static_selectorELNS0_4arch9wavefront6targetE1EEEvT1_
		.amdhsa_group_segment_fixed_size 0
		.amdhsa_private_segment_fixed_size 0
		.amdhsa_kernarg_size 64
		.amdhsa_user_sgpr_count 2
		.amdhsa_user_sgpr_dispatch_ptr 0
		.amdhsa_user_sgpr_queue_ptr 0
		.amdhsa_user_sgpr_kernarg_segment_ptr 1
		.amdhsa_user_sgpr_dispatch_id 0
		.amdhsa_user_sgpr_kernarg_preload_length 0
		.amdhsa_user_sgpr_kernarg_preload_offset 0
		.amdhsa_user_sgpr_private_segment_size 0
		.amdhsa_uses_dynamic_stack 0
		.amdhsa_enable_private_segment 0
		.amdhsa_system_sgpr_workgroup_id_x 1
		.amdhsa_system_sgpr_workgroup_id_y 0
		.amdhsa_system_sgpr_workgroup_id_z 0
		.amdhsa_system_sgpr_workgroup_info 0
		.amdhsa_system_vgpr_workitem_id 0
		.amdhsa_next_free_vgpr 1
		.amdhsa_next_free_sgpr 0
		.amdhsa_accum_offset 4
		.amdhsa_reserve_vcc 0
		.amdhsa_float_round_mode_32 0
		.amdhsa_float_round_mode_16_64 0
		.amdhsa_float_denorm_mode_32 3
		.amdhsa_float_denorm_mode_16_64 3
		.amdhsa_dx10_clamp 1
		.amdhsa_ieee_mode 1
		.amdhsa_fp16_overflow 0
		.amdhsa_tg_split 0
		.amdhsa_exception_fp_ieee_invalid_op 0
		.amdhsa_exception_fp_denorm_src 0
		.amdhsa_exception_fp_ieee_div_zero 0
		.amdhsa_exception_fp_ieee_overflow 0
		.amdhsa_exception_fp_ieee_underflow 0
		.amdhsa_exception_fp_ieee_inexact 0
		.amdhsa_exception_int_div_zero 0
	.end_amdhsa_kernel
	.section	.text._ZN7rocprim17ROCPRIM_400000_NS6detail17trampoline_kernelINS0_14default_configENS1_35adjacent_difference_config_selectorILb0ElEEZNS1_24adjacent_difference_implIS3_Lb0ELb0EPlS7_ZN2at6native12_GLOBAL__N_124unique_dim_cuda_templateIiEESt5tupleIJNS8_6TensorESD_SD_EERKSD_lbbbEUlllE1_EE10hipError_tPvRmT2_T3_mT4_P12ihipStream_tbEUlT_E_NS1_11comp_targetILNS1_3genE0ELNS1_11target_archE4294967295ELNS1_3gpuE0ELNS1_3repE0EEENS1_30default_config_static_selectorELNS0_4arch9wavefront6targetE1EEEvT1_,"axG",@progbits,_ZN7rocprim17ROCPRIM_400000_NS6detail17trampoline_kernelINS0_14default_configENS1_35adjacent_difference_config_selectorILb0ElEEZNS1_24adjacent_difference_implIS3_Lb0ELb0EPlS7_ZN2at6native12_GLOBAL__N_124unique_dim_cuda_templateIiEESt5tupleIJNS8_6TensorESD_SD_EERKSD_lbbbEUlllE1_EE10hipError_tPvRmT2_T3_mT4_P12ihipStream_tbEUlT_E_NS1_11comp_targetILNS1_3genE0ELNS1_11target_archE4294967295ELNS1_3gpuE0ELNS1_3repE0EEENS1_30default_config_static_selectorELNS0_4arch9wavefront6targetE1EEEvT1_,comdat
.Lfunc_end419:
	.size	_ZN7rocprim17ROCPRIM_400000_NS6detail17trampoline_kernelINS0_14default_configENS1_35adjacent_difference_config_selectorILb0ElEEZNS1_24adjacent_difference_implIS3_Lb0ELb0EPlS7_ZN2at6native12_GLOBAL__N_124unique_dim_cuda_templateIiEESt5tupleIJNS8_6TensorESD_SD_EERKSD_lbbbEUlllE1_EE10hipError_tPvRmT2_T3_mT4_P12ihipStream_tbEUlT_E_NS1_11comp_targetILNS1_3genE0ELNS1_11target_archE4294967295ELNS1_3gpuE0ELNS1_3repE0EEENS1_30default_config_static_selectorELNS0_4arch9wavefront6targetE1EEEvT1_, .Lfunc_end419-_ZN7rocprim17ROCPRIM_400000_NS6detail17trampoline_kernelINS0_14default_configENS1_35adjacent_difference_config_selectorILb0ElEEZNS1_24adjacent_difference_implIS3_Lb0ELb0EPlS7_ZN2at6native12_GLOBAL__N_124unique_dim_cuda_templateIiEESt5tupleIJNS8_6TensorESD_SD_EERKSD_lbbbEUlllE1_EE10hipError_tPvRmT2_T3_mT4_P12ihipStream_tbEUlT_E_NS1_11comp_targetILNS1_3genE0ELNS1_11target_archE4294967295ELNS1_3gpuE0ELNS1_3repE0EEENS1_30default_config_static_selectorELNS0_4arch9wavefront6targetE1EEEvT1_
                                        ; -- End function
	.section	.AMDGPU.csdata,"",@progbits
; Kernel info:
; codeLenInByte = 0
; NumSgprs: 6
; NumVgprs: 0
; NumAgprs: 0
; TotalNumVgprs: 0
; ScratchSize: 0
; MemoryBound: 0
; FloatMode: 240
; IeeeMode: 1
; LDSByteSize: 0 bytes/workgroup (compile time only)
; SGPRBlocks: 0
; VGPRBlocks: 0
; NumSGPRsForWavesPerEU: 6
; NumVGPRsForWavesPerEU: 1
; AccumOffset: 4
; Occupancy: 8
; WaveLimiterHint : 0
; COMPUTE_PGM_RSRC2:SCRATCH_EN: 0
; COMPUTE_PGM_RSRC2:USER_SGPR: 2
; COMPUTE_PGM_RSRC2:TRAP_HANDLER: 0
; COMPUTE_PGM_RSRC2:TGID_X_EN: 1
; COMPUTE_PGM_RSRC2:TGID_Y_EN: 0
; COMPUTE_PGM_RSRC2:TGID_Z_EN: 0
; COMPUTE_PGM_RSRC2:TIDIG_COMP_CNT: 0
; COMPUTE_PGM_RSRC3_GFX90A:ACCUM_OFFSET: 0
; COMPUTE_PGM_RSRC3_GFX90A:TG_SPLIT: 0
	.section	.text._ZN7rocprim17ROCPRIM_400000_NS6detail17trampoline_kernelINS0_14default_configENS1_35adjacent_difference_config_selectorILb0ElEEZNS1_24adjacent_difference_implIS3_Lb0ELb0EPlS7_ZN2at6native12_GLOBAL__N_124unique_dim_cuda_templateIiEESt5tupleIJNS8_6TensorESD_SD_EERKSD_lbbbEUlllE1_EE10hipError_tPvRmT2_T3_mT4_P12ihipStream_tbEUlT_E_NS1_11comp_targetILNS1_3genE10ELNS1_11target_archE1201ELNS1_3gpuE5ELNS1_3repE0EEENS1_30default_config_static_selectorELNS0_4arch9wavefront6targetE1EEEvT1_,"axG",@progbits,_ZN7rocprim17ROCPRIM_400000_NS6detail17trampoline_kernelINS0_14default_configENS1_35adjacent_difference_config_selectorILb0ElEEZNS1_24adjacent_difference_implIS3_Lb0ELb0EPlS7_ZN2at6native12_GLOBAL__N_124unique_dim_cuda_templateIiEESt5tupleIJNS8_6TensorESD_SD_EERKSD_lbbbEUlllE1_EE10hipError_tPvRmT2_T3_mT4_P12ihipStream_tbEUlT_E_NS1_11comp_targetILNS1_3genE10ELNS1_11target_archE1201ELNS1_3gpuE5ELNS1_3repE0EEENS1_30default_config_static_selectorELNS0_4arch9wavefront6targetE1EEEvT1_,comdat
	.globl	_ZN7rocprim17ROCPRIM_400000_NS6detail17trampoline_kernelINS0_14default_configENS1_35adjacent_difference_config_selectorILb0ElEEZNS1_24adjacent_difference_implIS3_Lb0ELb0EPlS7_ZN2at6native12_GLOBAL__N_124unique_dim_cuda_templateIiEESt5tupleIJNS8_6TensorESD_SD_EERKSD_lbbbEUlllE1_EE10hipError_tPvRmT2_T3_mT4_P12ihipStream_tbEUlT_E_NS1_11comp_targetILNS1_3genE10ELNS1_11target_archE1201ELNS1_3gpuE5ELNS1_3repE0EEENS1_30default_config_static_selectorELNS0_4arch9wavefront6targetE1EEEvT1_ ; -- Begin function _ZN7rocprim17ROCPRIM_400000_NS6detail17trampoline_kernelINS0_14default_configENS1_35adjacent_difference_config_selectorILb0ElEEZNS1_24adjacent_difference_implIS3_Lb0ELb0EPlS7_ZN2at6native12_GLOBAL__N_124unique_dim_cuda_templateIiEESt5tupleIJNS8_6TensorESD_SD_EERKSD_lbbbEUlllE1_EE10hipError_tPvRmT2_T3_mT4_P12ihipStream_tbEUlT_E_NS1_11comp_targetILNS1_3genE10ELNS1_11target_archE1201ELNS1_3gpuE5ELNS1_3repE0EEENS1_30default_config_static_selectorELNS0_4arch9wavefront6targetE1EEEvT1_
	.p2align	8
	.type	_ZN7rocprim17ROCPRIM_400000_NS6detail17trampoline_kernelINS0_14default_configENS1_35adjacent_difference_config_selectorILb0ElEEZNS1_24adjacent_difference_implIS3_Lb0ELb0EPlS7_ZN2at6native12_GLOBAL__N_124unique_dim_cuda_templateIiEESt5tupleIJNS8_6TensorESD_SD_EERKSD_lbbbEUlllE1_EE10hipError_tPvRmT2_T3_mT4_P12ihipStream_tbEUlT_E_NS1_11comp_targetILNS1_3genE10ELNS1_11target_archE1201ELNS1_3gpuE5ELNS1_3repE0EEENS1_30default_config_static_selectorELNS0_4arch9wavefront6targetE1EEEvT1_,@function
_ZN7rocprim17ROCPRIM_400000_NS6detail17trampoline_kernelINS0_14default_configENS1_35adjacent_difference_config_selectorILb0ElEEZNS1_24adjacent_difference_implIS3_Lb0ELb0EPlS7_ZN2at6native12_GLOBAL__N_124unique_dim_cuda_templateIiEESt5tupleIJNS8_6TensorESD_SD_EERKSD_lbbbEUlllE1_EE10hipError_tPvRmT2_T3_mT4_P12ihipStream_tbEUlT_E_NS1_11comp_targetILNS1_3genE10ELNS1_11target_archE1201ELNS1_3gpuE5ELNS1_3repE0EEENS1_30default_config_static_selectorELNS0_4arch9wavefront6targetE1EEEvT1_: ; @_ZN7rocprim17ROCPRIM_400000_NS6detail17trampoline_kernelINS0_14default_configENS1_35adjacent_difference_config_selectorILb0ElEEZNS1_24adjacent_difference_implIS3_Lb0ELb0EPlS7_ZN2at6native12_GLOBAL__N_124unique_dim_cuda_templateIiEESt5tupleIJNS8_6TensorESD_SD_EERKSD_lbbbEUlllE1_EE10hipError_tPvRmT2_T3_mT4_P12ihipStream_tbEUlT_E_NS1_11comp_targetILNS1_3genE10ELNS1_11target_archE1201ELNS1_3gpuE5ELNS1_3repE0EEENS1_30default_config_static_selectorELNS0_4arch9wavefront6targetE1EEEvT1_
; %bb.0:
	.section	.rodata,"a",@progbits
	.p2align	6, 0x0
	.amdhsa_kernel _ZN7rocprim17ROCPRIM_400000_NS6detail17trampoline_kernelINS0_14default_configENS1_35adjacent_difference_config_selectorILb0ElEEZNS1_24adjacent_difference_implIS3_Lb0ELb0EPlS7_ZN2at6native12_GLOBAL__N_124unique_dim_cuda_templateIiEESt5tupleIJNS8_6TensorESD_SD_EERKSD_lbbbEUlllE1_EE10hipError_tPvRmT2_T3_mT4_P12ihipStream_tbEUlT_E_NS1_11comp_targetILNS1_3genE10ELNS1_11target_archE1201ELNS1_3gpuE5ELNS1_3repE0EEENS1_30default_config_static_selectorELNS0_4arch9wavefront6targetE1EEEvT1_
		.amdhsa_group_segment_fixed_size 0
		.amdhsa_private_segment_fixed_size 0
		.amdhsa_kernarg_size 64
		.amdhsa_user_sgpr_count 2
		.amdhsa_user_sgpr_dispatch_ptr 0
		.amdhsa_user_sgpr_queue_ptr 0
		.amdhsa_user_sgpr_kernarg_segment_ptr 1
		.amdhsa_user_sgpr_dispatch_id 0
		.amdhsa_user_sgpr_kernarg_preload_length 0
		.amdhsa_user_sgpr_kernarg_preload_offset 0
		.amdhsa_user_sgpr_private_segment_size 0
		.amdhsa_uses_dynamic_stack 0
		.amdhsa_enable_private_segment 0
		.amdhsa_system_sgpr_workgroup_id_x 1
		.amdhsa_system_sgpr_workgroup_id_y 0
		.amdhsa_system_sgpr_workgroup_id_z 0
		.amdhsa_system_sgpr_workgroup_info 0
		.amdhsa_system_vgpr_workitem_id 0
		.amdhsa_next_free_vgpr 1
		.amdhsa_next_free_sgpr 0
		.amdhsa_accum_offset 4
		.amdhsa_reserve_vcc 0
		.amdhsa_float_round_mode_32 0
		.amdhsa_float_round_mode_16_64 0
		.amdhsa_float_denorm_mode_32 3
		.amdhsa_float_denorm_mode_16_64 3
		.amdhsa_dx10_clamp 1
		.amdhsa_ieee_mode 1
		.amdhsa_fp16_overflow 0
		.amdhsa_tg_split 0
		.amdhsa_exception_fp_ieee_invalid_op 0
		.amdhsa_exception_fp_denorm_src 0
		.amdhsa_exception_fp_ieee_div_zero 0
		.amdhsa_exception_fp_ieee_overflow 0
		.amdhsa_exception_fp_ieee_underflow 0
		.amdhsa_exception_fp_ieee_inexact 0
		.amdhsa_exception_int_div_zero 0
	.end_amdhsa_kernel
	.section	.text._ZN7rocprim17ROCPRIM_400000_NS6detail17trampoline_kernelINS0_14default_configENS1_35adjacent_difference_config_selectorILb0ElEEZNS1_24adjacent_difference_implIS3_Lb0ELb0EPlS7_ZN2at6native12_GLOBAL__N_124unique_dim_cuda_templateIiEESt5tupleIJNS8_6TensorESD_SD_EERKSD_lbbbEUlllE1_EE10hipError_tPvRmT2_T3_mT4_P12ihipStream_tbEUlT_E_NS1_11comp_targetILNS1_3genE10ELNS1_11target_archE1201ELNS1_3gpuE5ELNS1_3repE0EEENS1_30default_config_static_selectorELNS0_4arch9wavefront6targetE1EEEvT1_,"axG",@progbits,_ZN7rocprim17ROCPRIM_400000_NS6detail17trampoline_kernelINS0_14default_configENS1_35adjacent_difference_config_selectorILb0ElEEZNS1_24adjacent_difference_implIS3_Lb0ELb0EPlS7_ZN2at6native12_GLOBAL__N_124unique_dim_cuda_templateIiEESt5tupleIJNS8_6TensorESD_SD_EERKSD_lbbbEUlllE1_EE10hipError_tPvRmT2_T3_mT4_P12ihipStream_tbEUlT_E_NS1_11comp_targetILNS1_3genE10ELNS1_11target_archE1201ELNS1_3gpuE5ELNS1_3repE0EEENS1_30default_config_static_selectorELNS0_4arch9wavefront6targetE1EEEvT1_,comdat
.Lfunc_end420:
	.size	_ZN7rocprim17ROCPRIM_400000_NS6detail17trampoline_kernelINS0_14default_configENS1_35adjacent_difference_config_selectorILb0ElEEZNS1_24adjacent_difference_implIS3_Lb0ELb0EPlS7_ZN2at6native12_GLOBAL__N_124unique_dim_cuda_templateIiEESt5tupleIJNS8_6TensorESD_SD_EERKSD_lbbbEUlllE1_EE10hipError_tPvRmT2_T3_mT4_P12ihipStream_tbEUlT_E_NS1_11comp_targetILNS1_3genE10ELNS1_11target_archE1201ELNS1_3gpuE5ELNS1_3repE0EEENS1_30default_config_static_selectorELNS0_4arch9wavefront6targetE1EEEvT1_, .Lfunc_end420-_ZN7rocprim17ROCPRIM_400000_NS6detail17trampoline_kernelINS0_14default_configENS1_35adjacent_difference_config_selectorILb0ElEEZNS1_24adjacent_difference_implIS3_Lb0ELb0EPlS7_ZN2at6native12_GLOBAL__N_124unique_dim_cuda_templateIiEESt5tupleIJNS8_6TensorESD_SD_EERKSD_lbbbEUlllE1_EE10hipError_tPvRmT2_T3_mT4_P12ihipStream_tbEUlT_E_NS1_11comp_targetILNS1_3genE10ELNS1_11target_archE1201ELNS1_3gpuE5ELNS1_3repE0EEENS1_30default_config_static_selectorELNS0_4arch9wavefront6targetE1EEEvT1_
                                        ; -- End function
	.section	.AMDGPU.csdata,"",@progbits
; Kernel info:
; codeLenInByte = 0
; NumSgprs: 6
; NumVgprs: 0
; NumAgprs: 0
; TotalNumVgprs: 0
; ScratchSize: 0
; MemoryBound: 0
; FloatMode: 240
; IeeeMode: 1
; LDSByteSize: 0 bytes/workgroup (compile time only)
; SGPRBlocks: 0
; VGPRBlocks: 0
; NumSGPRsForWavesPerEU: 6
; NumVGPRsForWavesPerEU: 1
; AccumOffset: 4
; Occupancy: 8
; WaveLimiterHint : 0
; COMPUTE_PGM_RSRC2:SCRATCH_EN: 0
; COMPUTE_PGM_RSRC2:USER_SGPR: 2
; COMPUTE_PGM_RSRC2:TRAP_HANDLER: 0
; COMPUTE_PGM_RSRC2:TGID_X_EN: 1
; COMPUTE_PGM_RSRC2:TGID_Y_EN: 0
; COMPUTE_PGM_RSRC2:TGID_Z_EN: 0
; COMPUTE_PGM_RSRC2:TIDIG_COMP_CNT: 0
; COMPUTE_PGM_RSRC3_GFX90A:ACCUM_OFFSET: 0
; COMPUTE_PGM_RSRC3_GFX90A:TG_SPLIT: 0
	.section	.text._ZN7rocprim17ROCPRIM_400000_NS6detail17trampoline_kernelINS0_14default_configENS1_35adjacent_difference_config_selectorILb0ElEEZNS1_24adjacent_difference_implIS3_Lb0ELb0EPlS7_ZN2at6native12_GLOBAL__N_124unique_dim_cuda_templateIiEESt5tupleIJNS8_6TensorESD_SD_EERKSD_lbbbEUlllE1_EE10hipError_tPvRmT2_T3_mT4_P12ihipStream_tbEUlT_E_NS1_11comp_targetILNS1_3genE5ELNS1_11target_archE942ELNS1_3gpuE9ELNS1_3repE0EEENS1_30default_config_static_selectorELNS0_4arch9wavefront6targetE1EEEvT1_,"axG",@progbits,_ZN7rocprim17ROCPRIM_400000_NS6detail17trampoline_kernelINS0_14default_configENS1_35adjacent_difference_config_selectorILb0ElEEZNS1_24adjacent_difference_implIS3_Lb0ELb0EPlS7_ZN2at6native12_GLOBAL__N_124unique_dim_cuda_templateIiEESt5tupleIJNS8_6TensorESD_SD_EERKSD_lbbbEUlllE1_EE10hipError_tPvRmT2_T3_mT4_P12ihipStream_tbEUlT_E_NS1_11comp_targetILNS1_3genE5ELNS1_11target_archE942ELNS1_3gpuE9ELNS1_3repE0EEENS1_30default_config_static_selectorELNS0_4arch9wavefront6targetE1EEEvT1_,comdat
	.globl	_ZN7rocprim17ROCPRIM_400000_NS6detail17trampoline_kernelINS0_14default_configENS1_35adjacent_difference_config_selectorILb0ElEEZNS1_24adjacent_difference_implIS3_Lb0ELb0EPlS7_ZN2at6native12_GLOBAL__N_124unique_dim_cuda_templateIiEESt5tupleIJNS8_6TensorESD_SD_EERKSD_lbbbEUlllE1_EE10hipError_tPvRmT2_T3_mT4_P12ihipStream_tbEUlT_E_NS1_11comp_targetILNS1_3genE5ELNS1_11target_archE942ELNS1_3gpuE9ELNS1_3repE0EEENS1_30default_config_static_selectorELNS0_4arch9wavefront6targetE1EEEvT1_ ; -- Begin function _ZN7rocprim17ROCPRIM_400000_NS6detail17trampoline_kernelINS0_14default_configENS1_35adjacent_difference_config_selectorILb0ElEEZNS1_24adjacent_difference_implIS3_Lb0ELb0EPlS7_ZN2at6native12_GLOBAL__N_124unique_dim_cuda_templateIiEESt5tupleIJNS8_6TensorESD_SD_EERKSD_lbbbEUlllE1_EE10hipError_tPvRmT2_T3_mT4_P12ihipStream_tbEUlT_E_NS1_11comp_targetILNS1_3genE5ELNS1_11target_archE942ELNS1_3gpuE9ELNS1_3repE0EEENS1_30default_config_static_selectorELNS0_4arch9wavefront6targetE1EEEvT1_
	.p2align	8
	.type	_ZN7rocprim17ROCPRIM_400000_NS6detail17trampoline_kernelINS0_14default_configENS1_35adjacent_difference_config_selectorILb0ElEEZNS1_24adjacent_difference_implIS3_Lb0ELb0EPlS7_ZN2at6native12_GLOBAL__N_124unique_dim_cuda_templateIiEESt5tupleIJNS8_6TensorESD_SD_EERKSD_lbbbEUlllE1_EE10hipError_tPvRmT2_T3_mT4_P12ihipStream_tbEUlT_E_NS1_11comp_targetILNS1_3genE5ELNS1_11target_archE942ELNS1_3gpuE9ELNS1_3repE0EEENS1_30default_config_static_selectorELNS0_4arch9wavefront6targetE1EEEvT1_,@function
_ZN7rocprim17ROCPRIM_400000_NS6detail17trampoline_kernelINS0_14default_configENS1_35adjacent_difference_config_selectorILb0ElEEZNS1_24adjacent_difference_implIS3_Lb0ELb0EPlS7_ZN2at6native12_GLOBAL__N_124unique_dim_cuda_templateIiEESt5tupleIJNS8_6TensorESD_SD_EERKSD_lbbbEUlllE1_EE10hipError_tPvRmT2_T3_mT4_P12ihipStream_tbEUlT_E_NS1_11comp_targetILNS1_3genE5ELNS1_11target_archE942ELNS1_3gpuE9ELNS1_3repE0EEENS1_30default_config_static_selectorELNS0_4arch9wavefront6targetE1EEEvT1_: ; @_ZN7rocprim17ROCPRIM_400000_NS6detail17trampoline_kernelINS0_14default_configENS1_35adjacent_difference_config_selectorILb0ElEEZNS1_24adjacent_difference_implIS3_Lb0ELb0EPlS7_ZN2at6native12_GLOBAL__N_124unique_dim_cuda_templateIiEESt5tupleIJNS8_6TensorESD_SD_EERKSD_lbbbEUlllE1_EE10hipError_tPvRmT2_T3_mT4_P12ihipStream_tbEUlT_E_NS1_11comp_targetILNS1_3genE5ELNS1_11target_archE942ELNS1_3gpuE9ELNS1_3repE0EEENS1_30default_config_static_selectorELNS0_4arch9wavefront6targetE1EEEvT1_
; %bb.0:
	s_load_dwordx8 s[4:11], s[0:1], 0x0
	s_load_dwordx4 s[12:15], s[0:1], 0x20
	s_load_dwordx2 s[18:19], s[0:1], 0x38
	s_mov_b32 s1, 0xcec4e8e0
	v_bfrev_b32_e32 v1, 1
	s_waitcnt lgkmcnt(0)
	s_lshl_b64 s[16:17], s[6:7], 3
	s_add_u32 s24, s4, s16
	s_addc_u32 s25, s5, s17
	s_add_u32 s1, 0x150, s1
	s_addc_u32 s3, 0, 0
	v_add_co_u32_e32 v1, vcc, s1, v1
	s_cmp_lg_u64 vcc, 0
	v_readfirstlane_b32 s4, v1
	s_addc_u32 s1, s3, 0x4ec4eb
	s_mul_hi_u32 s5, s4, 0xfffffcc0
	s_mul_i32 s3, s1, 0xfffffcc0
	s_sub_i32 s5, s5, s4
	s_add_i32 s5, s5, s3
	s_mul_i32 s21, s4, 0xfffffcc0
	s_mul_hi_u32 s3, s4, s5
	s_mul_i32 s20, s4, s5
	s_mul_hi_u32 s4, s4, s21
	s_add_u32 s4, s4, s20
	s_addc_u32 s3, 0, s3
	s_mul_hi_u32 s22, s1, s21
	s_mul_i32 s21, s1, s21
	s_add_u32 s4, s4, s21
	s_mul_hi_u32 s20, s1, s5
	s_addc_u32 s3, s3, s22
	s_addc_u32 s4, s20, 0
	s_mul_i32 s5, s1, s5
	s_add_u32 s3, s3, s5
	s_addc_u32 s4, 0, s4
	v_add_co_u32_e32 v1, vcc, s3, v1
	s_cmp_lg_u64 vcc, 0
	s_addc_u32 s1, s1, s4
	v_readfirstlane_b32 s5, v1
	s_mul_i32 s4, s10, s1
	s_mul_hi_u32 s20, s10, s5
	s_mul_hi_u32 s3, s10, s1
	s_add_u32 s4, s20, s4
	s_addc_u32 s3, 0, s3
	s_mul_hi_u32 s21, s11, s5
	s_mul_i32 s5, s11, s5
	s_add_u32 s4, s4, s5
	s_mul_hi_u32 s20, s11, s1
	s_addc_u32 s3, s3, s21
	s_addc_u32 s4, s20, 0
	s_mul_i32 s1, s11, s1
	s_add_u32 s1, s3, s1
	s_addc_u32 s3, 0, s4
	s_add_u32 s4, s1, 1
	s_addc_u32 s5, s3, 0
	s_add_u32 s20, s1, 2
	s_mul_i32 s22, s3, 0x340
	s_mul_hi_u32 s23, s1, 0x340
	s_addc_u32 s21, s3, 0
	s_add_i32 s23, s23, s22
	s_mul_i32 s22, s1, 0x340
	v_mov_b32_e32 v1, s22
	v_sub_co_u32_e32 v1, vcc, s10, v1
	s_movk_i32 s0, 0x340
	s_cmp_lg_u64 vcc, 0
	s_subb_u32 s22, s11, s23
	v_subrev_co_u32_e32 v2, vcc, s0, v1
	s_cmp_lg_u64 vcc, 0
	s_subb_u32 s0, s22, 0
	v_readfirstlane_b32 s23, v2
	s_cmpk_gt_u32 s23, 0x33f
	s_cselect_b32 s23, -1, 0
	s_cmp_eq_u32 s0, 0
	s_cselect_b32 s0, s23, -1
	s_cmp_lg_u32 s0, 0
	s_cselect_b32 s0, s20, s4
	s_cselect_b32 s4, s21, s5
	v_readfirstlane_b32 s5, v1
	s_cmpk_gt_u32 s5, 0x33f
	s_cselect_b32 s5, -1, 0
	s_cmp_eq_u32 s22, 0
	s_cselect_b32 s5, s5, -1
	s_cmp_lg_u32 s5, 0
	s_cselect_b32 s3, s4, s3
	s_cselect_b32 s4, s0, s1
	s_mul_i32 s0, s3, 0x340
	s_mul_hi_u32 s1, s4, 0x340
	s_add_i32 s1, s1, s0
	s_mul_i32 s0, s4, 0x340
	s_sub_u32 s0, s10, s0
	s_subb_u32 s1, s11, s1
	s_cmp_lg_u64 s[0:1], 0
	s_cselect_b64 s[0:1], -1, 0
	v_cndmask_b32_e64 v1, 0, 1, s[0:1]
	s_mul_i32 s6, s2, 0x340
	v_readfirstlane_b32 s0, v1
	s_add_u32 s4, s4, s0
	s_addc_u32 s5, s3, 0
	s_add_u32 s22, s18, s2
	s_addc_u32 s23, s19, 0
	s_add_u32 s2, s4, -1
	s_addc_u32 s3, s5, -1
	v_mov_b64_e32 v[2:3], s[2:3]
	v_cmp_ge_u64_e64 s[0:1], s[22:23], v[2:3]
	s_mov_b32 s7, 0
	s_mov_b64 s[18:19], -1
	s_and_b64 vcc, exec, s[0:1]
	s_mul_i32 s11, s2, 0xfffffcc0
	s_cbranch_vccz .LBB421_28
; %bb.1:
	s_add_i32 s26, s11, s10
	s_lshl_b64 s[18:19], s[6:7], 3
	s_add_u32 s18, s24, s18
	s_addc_u32 s19, s25, s19
	v_cmp_gt_u32_e32 vcc, s26, v0
                                        ; implicit-def: $vgpr2_vgpr3_vgpr4_vgpr5_vgpr6_vgpr7_vgpr8_vgpr9_vgpr10_vgpr11_vgpr12_vgpr13_vgpr14_vgpr15_vgpr16_vgpr17_vgpr18_vgpr19_vgpr20_vgpr21_vgpr22_vgpr23_vgpr24_vgpr25_vgpr26_vgpr27_vgpr28_vgpr29_vgpr30_vgpr31_vgpr32_vgpr33
	s_and_saveexec_b64 s[20:21], vcc
	s_cbranch_execz .LBB421_3
; %bb.2:
	v_lshlrev_b32_e32 v1, 3, v0
	global_load_dwordx2 v[2:3], v1, s[18:19]
.LBB421_3:
	s_or_b64 exec, exec, s[20:21]
	v_or_b32_e32 v1, 64, v0
	v_cmp_gt_u32_e32 vcc, s26, v1
	s_and_saveexec_b64 s[20:21], vcc
	s_cbranch_execz .LBB421_5
; %bb.4:
	v_lshlrev_b32_e32 v1, 3, v0
	global_load_dwordx2 v[4:5], v1, s[18:19] offset:512
.LBB421_5:
	s_or_b64 exec, exec, s[20:21]
	v_or_b32_e32 v1, 0x80, v0
	v_cmp_gt_u32_e32 vcc, s26, v1
	s_and_saveexec_b64 s[20:21], vcc
	s_cbranch_execz .LBB421_7
; %bb.6:
	v_lshlrev_b32_e32 v1, 3, v0
	global_load_dwordx2 v[6:7], v1, s[18:19] offset:1024
.LBB421_7:
	;; [unrolled: 9-line block ×7, first 2 shown]
	s_or_b64 exec, exec, s[20:21]
	v_or_b32_e32 v1, 0x200, v0
	v_cmp_gt_u32_e32 vcc, s26, v1
	s_and_saveexec_b64 s[20:21], vcc
	s_cbranch_execz .LBB421_19
; %bb.18:
	v_lshlrev_b32_e32 v1, 3, v1
	global_load_dwordx2 v[18:19], v1, s[18:19]
.LBB421_19:
	s_or_b64 exec, exec, s[20:21]
	v_or_b32_e32 v1, 0x240, v0
	v_cmp_gt_u32_e32 vcc, s26, v1
	s_and_saveexec_b64 s[20:21], vcc
	s_cbranch_execz .LBB421_21
; %bb.20:
	v_lshlrev_b32_e32 v1, 3, v1
	global_load_dwordx2 v[20:21], v1, s[18:19]
.LBB421_21:
	s_or_b64 exec, exec, s[20:21]
	v_or_b32_e32 v1, 0x280, v0
	v_cmp_gt_u32_e32 vcc, s26, v1
	s_and_saveexec_b64 s[20:21], vcc
	s_cbranch_execz .LBB421_23
; %bb.22:
	v_lshlrev_b32_e32 v1, 3, v1
	global_load_dwordx2 v[22:23], v1, s[18:19]
.LBB421_23:
	s_or_b64 exec, exec, s[20:21]
	v_or_b32_e32 v1, 0x2c0, v0
	v_cmp_gt_u32_e32 vcc, s26, v1
	s_and_saveexec_b64 s[20:21], vcc
	s_cbranch_execz .LBB421_25
; %bb.24:
	v_lshlrev_b32_e32 v1, 3, v1
	global_load_dwordx2 v[24:25], v1, s[18:19]
.LBB421_25:
	s_or_b64 exec, exec, s[20:21]
	v_or_b32_e32 v1, 0x300, v0
	v_cmp_gt_u32_e32 vcc, s26, v1
	s_and_saveexec_b64 s[20:21], vcc
	s_cbranch_execz .LBB421_27
; %bb.26:
	v_lshlrev_b32_e32 v1, 3, v1
	global_load_dwordx2 v[26:27], v1, s[18:19]
.LBB421_27:
	s_or_b64 exec, exec, s[20:21]
	v_lshlrev_b32_e32 v1, 3, v0
	s_mov_b64 s[18:19], 0
	s_waitcnt vmcnt(0)
	ds_write2st64_b64 v1, v[2:3], v[4:5] offset1:1
	ds_write2st64_b64 v1, v[6:7], v[8:9] offset0:2 offset1:3
	ds_write2st64_b64 v1, v[10:11], v[12:13] offset0:4 offset1:5
	;; [unrolled: 1-line block ×5, first 2 shown]
	ds_write_b64 v1, v[26:27] offset:6144
	s_waitcnt lgkmcnt(0)
	; wave barrier
.LBB421_28:
	s_and_b64 vcc, exec, s[18:19]
	v_lshlrev_b32_e32 v48, 3, v0
	s_cbranch_vccz .LBB421_30
; %bb.29:
	s_lshl_b64 s[18:19], s[6:7], 3
	s_add_u32 s18, s24, s18
	s_addc_u32 s19, s25, s19
	v_mov_b32_e32 v49, 0
	v_lshl_add_u64 v[2:3], s[18:19], 0, v[48:49]
	s_movk_i32 s7, 0x1000
	v_add_co_u32_e32 v2, vcc, s7, v2
	global_load_dwordx2 v[4:5], v48, s[18:19]
	global_load_dwordx2 v[6:7], v48, s[18:19] offset:512
	global_load_dwordx2 v[8:9], v48, s[18:19] offset:1024
	;; [unrolled: 1-line block ×7, first 2 shown]
	v_addc_co_u32_e32 v3, vcc, 0, v3, vcc
	global_load_dwordx2 v[20:21], v[2:3], off
	global_load_dwordx2 v[22:23], v[2:3], off offset:512
	global_load_dwordx2 v[24:25], v[2:3], off offset:1024
	;; [unrolled: 1-line block ×4, first 2 shown]
	s_waitcnt vmcnt(11)
	ds_write2st64_b64 v48, v[4:5], v[6:7] offset1:1
	s_waitcnt vmcnt(9)
	ds_write2st64_b64 v48, v[8:9], v[10:11] offset0:2 offset1:3
	s_waitcnt vmcnt(7)
	ds_write2st64_b64 v48, v[12:13], v[14:15] offset0:4 offset1:5
	s_waitcnt vmcnt(5)
	ds_write2st64_b64 v48, v[16:17], v[18:19] offset0:6 offset1:7
	s_waitcnt vmcnt(3)
	ds_write2st64_b64 v48, v[20:21], v[22:23] offset0:8 offset1:9
	s_waitcnt vmcnt(1)
	ds_write2st64_b64 v48, v[24:25], v[26:27] offset0:10 offset1:11
	s_waitcnt vmcnt(0)
	ds_write_b64 v48, v[28:29] offset:6144
	s_waitcnt lgkmcnt(0)
	; wave barrier
.LBB421_30:
	v_mul_u32_u24_e32 v1, 13, v0
	v_lshlrev_b32_e32 v1, 3, v1
	s_waitcnt lgkmcnt(0)
	ds_read2_b64 v[2:5], v1 offset1:1
	ds_read2_b64 v[6:9], v1 offset0:2 offset1:3
	ds_read2_b64 v[10:13], v1 offset0:4 offset1:5
	ds_read2_b64 v[14:17], v1 offset0:6 offset1:7
	ds_read2_b64 v[18:21], v1 offset0:8 offset1:9
	ds_read2_b64 v[22:25], v1 offset0:10 offset1:11
	ds_read_b64 v[44:45], v1 offset:96
	s_cmp_eq_u64 s[22:23], 0
	s_mov_b64 s[18:19], 0
	s_waitcnt lgkmcnt(0)
	; wave barrier
	s_waitcnt lgkmcnt(0)
	s_cbranch_scc1 .LBB421_39
; %bb.31:
	s_mov_b32 s7, 0
	s_lshl_b64 s[20:21], s[6:7], 3
	s_add_u32 s7, s24, s20
	s_addc_u32 s21, s25, s21
	s_add_u32 s20, s7, -8
	s_addc_u32 s21, s21, -1
	s_load_dwordx2 s[20:21], s[20:21], 0x0
	s_cmp_lg_u64 s[22:23], s[2:3]
	s_cbranch_scc0 .LBB421_40
; %bb.32:
	v_mul_lo_u32 v1, v25, s12
	v_mul_lo_u32 v28, v24, s13
	v_mad_u64_u32 v[26:27], s[24:25], v24, s12, 0
	v_mov_b64_e32 v[46:47], 0
	v_cmp_lt_i64_e64 s[2:3], s[12:13], 1
	v_add3_u32 v27, v27, v28, v1
	v_cmp_gt_i64_e64 s[18:19], s[12:13], 0
	s_and_b64 vcc, exec, s[2:3]
	v_lshl_add_u64 v[26:27], v[26:27], 2, s[14:15]
	v_mov_b64_e32 v[50:51], v[46:47]
	ds_write_b64 v48, v[44:45]
	s_cbranch_vccnz .LBB421_44
; %bb.33:
	v_mul_lo_u32 v1, v45, s12
	v_mul_lo_u32 v30, v44, s13
	v_mad_u64_u32 v[28:29], s[2:3], v44, s12, 0
	v_add3_u32 v29, v29, v30, v1
	v_lshl_add_u64 v[30:31], v[28:29], 2, s[14:15]
	global_load_dword v1, v[30:31], off
	global_load_dword v28, v[26:27], off
	v_mov_b64_e32 v[50:51], 1
	s_waitcnt vmcnt(0)
	v_cmp_eq_u32_e32 vcc, v1, v28
	s_and_saveexec_b64 s[2:3], vcc
	s_cbranch_execz .LBB421_43
; %bb.34:
	s_add_u32 s24, s12, -1
	v_lshl_add_u64 v[28:29], v[26:27], 0, 4
	v_lshl_add_u64 v[30:31], v[30:31], 0, 4
	s_addc_u32 s25, s13, -1
	s_mov_b64 s[26:27], 0
	s_mov_b64 s[30:31], 0
                                        ; implicit-def: $sgpr28_sgpr29
	s_branch .LBB421_37
.LBB421_35:                             ;   in Loop: Header=BB421_37 Depth=1
	global_load_dword v1, v[30:31], off
	global_load_dword v32, v[28:29], off
	s_add_u32 s30, s30, 1
	s_addc_u32 s31, s31, 0
	s_andn2_b64 s[28:29], s[28:29], exec
	v_lshl_add_u64 v[28:29], v[28:29], 0, 4
	v_lshl_add_u64 v[30:31], v[30:31], 0, 4
	s_waitcnt vmcnt(0)
	v_cmp_ne_u32_e32 vcc, v1, v32
	s_and_b64 s[34:35], vcc, exec
	s_or_b64 s[28:29], s[28:29], s[34:35]
.LBB421_36:                             ;   in Loop: Header=BB421_37 Depth=1
	s_and_b64 s[34:35], exec, s[28:29]
	s_or_b64 s[26:27], s[34:35], s[26:27]
	v_mov_b64_e32 v[32:33], s[30:31]
	s_andn2_b64 exec, exec, s[26:27]
	s_cbranch_execz .LBB421_42
.LBB421_37:                             ; =>This Inner Loop Header: Depth=1
	s_or_b64 s[28:29], s[28:29], exec
	s_cmp_eq_u64 s[24:25], s[30:31]
	s_cbranch_scc0 .LBB421_35
; %bb.38:                               ;   in Loop: Header=BB421_37 Depth=1
                                        ; implicit-def: $vgpr28_vgpr29
                                        ; implicit-def: $vgpr30_vgpr31
	s_mov_b64 s[30:31], s[12:13]
	s_branch .LBB421_36
.LBB421_39:
                                        ; implicit-def: $vgpr26_vgpr27_vgpr28_vgpr29
                                        ; implicit-def: $sgpr24_sgpr25
                                        ; implicit-def: $vgpr50_vgpr51
                                        ; implicit-def: $vgpr52_vgpr53
                                        ; implicit-def: $vgpr46_vgpr47
                                        ; implicit-def: $vgpr70_vgpr71
                                        ; implicit-def: $vgpr68_vgpr69
                                        ; implicit-def: $vgpr66_vgpr67
                                        ; implicit-def: $vgpr64_vgpr65
                                        ; implicit-def: $vgpr62_vgpr63
                                        ; implicit-def: $vgpr60_vgpr61
                                        ; implicit-def: $vgpr58_vgpr59
                                        ; implicit-def: $vgpr56_vgpr57
                                        ; implicit-def: $vgpr54_vgpr55
                                        ; implicit-def: $vgpr72_vgpr73
                                        ; implicit-def: $vgpr82_vgpr83
                                        ; implicit-def: $vgpr74_vgpr75
                                        ; implicit-def: $vgpr76_vgpr77
                                        ; implicit-def: $vgpr78_vgpr79
                                        ; implicit-def: $vgpr80_vgpr81
                                        ; implicit-def: $vgpr28_vgpr29_vgpr30_vgpr31
                                        ; implicit-def: $vgpr32_vgpr33_vgpr34_vgpr35
                                        ; implicit-def: $vgpr36_vgpr37_vgpr38_vgpr39
                                        ; implicit-def: $vgpr40_vgpr41_vgpr42_vgpr43
	s_cbranch_execnz .LBB421_303
	s_branch .LBB421_572
.LBB421_40:
                                        ; implicit-def: $sgpr24_sgpr25
                                        ; implicit-def: $vgpr50_vgpr51
                                        ; implicit-def: $vgpr52_vgpr53
                                        ; implicit-def: $vgpr46_vgpr47
                                        ; implicit-def: $vgpr70_vgpr71
                                        ; implicit-def: $vgpr68_vgpr69
                                        ; implicit-def: $vgpr66_vgpr67
                                        ; implicit-def: $vgpr64_vgpr65
                                        ; implicit-def: $vgpr62_vgpr63
                                        ; implicit-def: $vgpr60_vgpr61
                                        ; implicit-def: $vgpr58_vgpr59
                                        ; implicit-def: $vgpr56_vgpr57
                                        ; implicit-def: $vgpr54_vgpr55
	s_cbranch_execnz .LBB421_156
.LBB421_41:
                                        ; implicit-def: $vgpr26_vgpr27_vgpr28_vgpr29
                                        ; implicit-def: $vgpr72_vgpr73
                                        ; implicit-def: $vgpr82_vgpr83
                                        ; implicit-def: $vgpr74_vgpr75
                                        ; implicit-def: $vgpr76_vgpr77
                                        ; implicit-def: $vgpr78_vgpr79
                                        ; implicit-def: $vgpr80_vgpr81
                                        ; implicit-def: $vgpr32_vgpr33_vgpr34_vgpr35
                                        ; implicit-def: $vgpr36_vgpr37_vgpr38_vgpr39
                                        ; implicit-def: $vgpr40_vgpr41_vgpr42_vgpr43
                                        ; implicit-def: $vgpr28_vgpr29_vgpr30_vgpr31
	s_branch .LBB421_572
.LBB421_42:
	s_or_b64 exec, exec, s[26:27]
	v_cmp_gt_i64_e32 vcc, s[12:13], v[32:33]
	s_mov_b32 s7, 0
	v_mov_b32_e32 v51, s7
	v_cndmask_b32_e64 v50, 0, 1, vcc
.LBB421_43:
	s_or_b64 exec, exec, s[2:3]
.LBB421_44:
	v_mul_lo_u32 v1, v23, s12
	v_mul_lo_u32 v30, v22, s13
	v_mad_u64_u32 v[28:29], s[2:3], v22, s12, 0
	v_add3_u32 v29, v29, v30, v1
	v_cndmask_b32_e64 v1, 0, 1, s[18:19]
	v_cmp_ne_u32_e64 s[2:3], 1, v1
	s_andn2_b64 vcc, exec, s[18:19]
	v_lshl_add_u64 v[28:29], v[28:29], 2, s[14:15]
	v_mov_b64_e32 v[52:53], v[46:47]
	s_cbranch_vccnz .LBB421_53
; %bb.45:
	global_load_dword v1, v[26:27], off
	global_load_dword v30, v[28:29], off
	v_mov_b64_e32 v[52:53], 1
	s_waitcnt vmcnt(0)
	v_cmp_eq_u32_e32 vcc, v1, v30
	s_and_saveexec_b64 s[18:19], vcc
	s_cbranch_execz .LBB421_52
; %bb.46:
	s_add_u32 s24, s12, -1
	v_lshl_add_u64 v[30:31], v[28:29], 0, 4
	v_lshl_add_u64 v[26:27], v[26:27], 0, 4
	s_addc_u32 s25, s13, -1
	s_mov_b64 s[26:27], 0
	s_mov_b64 s[30:31], 0
                                        ; implicit-def: $sgpr28_sgpr29
	s_branch .LBB421_49
.LBB421_47:                             ;   in Loop: Header=BB421_49 Depth=1
	global_load_dword v1, v[26:27], off
	global_load_dword v32, v[30:31], off
	s_add_u32 s30, s30, 1
	s_addc_u32 s31, s31, 0
	s_andn2_b64 s[28:29], s[28:29], exec
	v_lshl_add_u64 v[30:31], v[30:31], 0, 4
	v_lshl_add_u64 v[26:27], v[26:27], 0, 4
	s_waitcnt vmcnt(0)
	v_cmp_ne_u32_e32 vcc, v1, v32
	s_and_b64 s[34:35], vcc, exec
	s_or_b64 s[28:29], s[28:29], s[34:35]
.LBB421_48:                             ;   in Loop: Header=BB421_49 Depth=1
	s_and_b64 s[34:35], exec, s[28:29]
	s_or_b64 s[26:27], s[34:35], s[26:27]
	v_mov_b64_e32 v[32:33], s[30:31]
	s_andn2_b64 exec, exec, s[26:27]
	s_cbranch_execz .LBB421_51
.LBB421_49:                             ; =>This Inner Loop Header: Depth=1
	s_or_b64 s[28:29], s[28:29], exec
	s_cmp_eq_u64 s[24:25], s[30:31]
	s_cbranch_scc0 .LBB421_47
; %bb.50:                               ;   in Loop: Header=BB421_49 Depth=1
                                        ; implicit-def: $vgpr30_vgpr31
                                        ; implicit-def: $vgpr26_vgpr27
	s_mov_b64 s[30:31], s[12:13]
	s_branch .LBB421_48
.LBB421_51:
	s_or_b64 exec, exec, s[26:27]
	v_cmp_gt_i64_e32 vcc, s[12:13], v[32:33]
	s_mov_b32 s7, 0
	v_mov_b32_e32 v53, s7
	v_cndmask_b32_e64 v52, 0, 1, vcc
.LBB421_52:
	s_or_b64 exec, exec, s[18:19]
.LBB421_53:
	v_mul_lo_u32 v1, v21, s12
	v_mul_lo_u32 v30, v20, s13
	v_mad_u64_u32 v[26:27], s[18:19], v20, s12, 0
	v_add3_u32 v27, v27, v30, v1
	s_and_b64 vcc, exec, s[2:3]
	v_lshl_add_u64 v[26:27], v[26:27], 2, s[14:15]
	s_cbranch_vccnz .LBB421_62
; %bb.54:
	global_load_dword v1, v[28:29], off
	global_load_dword v30, v[26:27], off
	v_mov_b64_e32 v[46:47], 1
	s_waitcnt vmcnt(0)
	v_cmp_eq_u32_e32 vcc, v1, v30
	s_and_saveexec_b64 s[18:19], vcc
	s_cbranch_execz .LBB421_61
; %bb.55:
	s_add_u32 s24, s12, -1
	v_lshl_add_u64 v[30:31], v[26:27], 0, 4
	v_lshl_add_u64 v[28:29], v[28:29], 0, 4
	s_addc_u32 s25, s13, -1
	s_mov_b64 s[26:27], 0
	s_mov_b64 s[30:31], 0
                                        ; implicit-def: $sgpr28_sgpr29
	s_branch .LBB421_58
.LBB421_56:                             ;   in Loop: Header=BB421_58 Depth=1
	global_load_dword v1, v[28:29], off
	global_load_dword v32, v[30:31], off
	s_add_u32 s30, s30, 1
	s_addc_u32 s31, s31, 0
	s_andn2_b64 s[28:29], s[28:29], exec
	v_lshl_add_u64 v[30:31], v[30:31], 0, 4
	v_lshl_add_u64 v[28:29], v[28:29], 0, 4
	s_waitcnt vmcnt(0)
	v_cmp_ne_u32_e32 vcc, v1, v32
	s_and_b64 s[34:35], vcc, exec
	s_or_b64 s[28:29], s[28:29], s[34:35]
.LBB421_57:                             ;   in Loop: Header=BB421_58 Depth=1
	s_and_b64 s[34:35], exec, s[28:29]
	s_or_b64 s[26:27], s[34:35], s[26:27]
	v_mov_b64_e32 v[32:33], s[30:31]
	s_andn2_b64 exec, exec, s[26:27]
	s_cbranch_execz .LBB421_60
.LBB421_58:                             ; =>This Inner Loop Header: Depth=1
	s_or_b64 s[28:29], s[28:29], exec
	s_cmp_eq_u64 s[24:25], s[30:31]
	s_cbranch_scc0 .LBB421_56
; %bb.59:                               ;   in Loop: Header=BB421_58 Depth=1
                                        ; implicit-def: $vgpr30_vgpr31
                                        ; implicit-def: $vgpr28_vgpr29
	s_mov_b64 s[30:31], s[12:13]
	s_branch .LBB421_57
.LBB421_60:
	s_or_b64 exec, exec, s[26:27]
	v_cmp_gt_i64_e32 vcc, s[12:13], v[32:33]
	s_mov_b32 s7, 0
	v_mov_b32_e32 v47, s7
	v_cndmask_b32_e64 v46, 0, 1, vcc
.LBB421_61:
	s_or_b64 exec, exec, s[18:19]
.LBB421_62:
	v_mul_lo_u32 v1, v19, s12
	v_mul_lo_u32 v30, v18, s13
	v_mad_u64_u32 v[28:29], s[18:19], v18, s12, 0
	v_add3_u32 v29, v29, v30, v1
	v_mov_b64_e32 v[56:57], 0
	s_and_b64 vcc, exec, s[2:3]
	v_lshl_add_u64 v[28:29], v[28:29], 2, s[14:15]
	v_mov_b64_e32 v[54:55], v[56:57]
	s_cbranch_vccnz .LBB421_71
; %bb.63:
	global_load_dword v1, v[26:27], off
	global_load_dword v30, v[28:29], off
	v_mov_b64_e32 v[54:55], 1
	s_waitcnt vmcnt(0)
	v_cmp_eq_u32_e32 vcc, v1, v30
	s_and_saveexec_b64 s[18:19], vcc
	s_cbranch_execz .LBB421_70
; %bb.64:
	s_add_u32 s24, s12, -1
	v_lshl_add_u64 v[30:31], v[28:29], 0, 4
	v_lshl_add_u64 v[26:27], v[26:27], 0, 4
	s_addc_u32 s25, s13, -1
	s_mov_b64 s[26:27], 0
	s_mov_b64 s[30:31], 0
                                        ; implicit-def: $sgpr28_sgpr29
	s_branch .LBB421_67
.LBB421_65:                             ;   in Loop: Header=BB421_67 Depth=1
	global_load_dword v1, v[26:27], off
	global_load_dword v32, v[30:31], off
	s_add_u32 s30, s30, 1
	s_addc_u32 s31, s31, 0
	s_andn2_b64 s[28:29], s[28:29], exec
	v_lshl_add_u64 v[30:31], v[30:31], 0, 4
	v_lshl_add_u64 v[26:27], v[26:27], 0, 4
	s_waitcnt vmcnt(0)
	v_cmp_ne_u32_e32 vcc, v1, v32
	s_and_b64 s[34:35], vcc, exec
	s_or_b64 s[28:29], s[28:29], s[34:35]
.LBB421_66:                             ;   in Loop: Header=BB421_67 Depth=1
	s_and_b64 s[34:35], exec, s[28:29]
	s_or_b64 s[26:27], s[34:35], s[26:27]
	v_mov_b64_e32 v[32:33], s[30:31]
	s_andn2_b64 exec, exec, s[26:27]
	s_cbranch_execz .LBB421_69
.LBB421_67:                             ; =>This Inner Loop Header: Depth=1
	s_or_b64 s[28:29], s[28:29], exec
	s_cmp_eq_u64 s[24:25], s[30:31]
	s_cbranch_scc0 .LBB421_65
; %bb.68:                               ;   in Loop: Header=BB421_67 Depth=1
                                        ; implicit-def: $vgpr30_vgpr31
                                        ; implicit-def: $vgpr26_vgpr27
	s_mov_b64 s[30:31], s[12:13]
	s_branch .LBB421_66
.LBB421_69:
	s_or_b64 exec, exec, s[26:27]
	v_cmp_gt_i64_e32 vcc, s[12:13], v[32:33]
	s_mov_b32 s7, 0
	v_mov_b32_e32 v55, s7
	v_cndmask_b32_e64 v54, 0, 1, vcc
.LBB421_70:
	s_or_b64 exec, exec, s[18:19]
.LBB421_71:
	v_mul_lo_u32 v1, v17, s12
	v_mul_lo_u32 v30, v16, s13
	v_mad_u64_u32 v[26:27], s[18:19], v16, s12, 0
	v_add3_u32 v27, v27, v30, v1
	s_and_b64 vcc, exec, s[2:3]
	v_lshl_add_u64 v[26:27], v[26:27], 2, s[14:15]
	s_cbranch_vccnz .LBB421_80
; %bb.72:
	global_load_dword v1, v[28:29], off
	global_load_dword v30, v[26:27], off
	v_mov_b64_e32 v[56:57], 1
	s_waitcnt vmcnt(0)
	v_cmp_eq_u32_e32 vcc, v1, v30
	s_and_saveexec_b64 s[18:19], vcc
	s_cbranch_execz .LBB421_79
; %bb.73:
	s_add_u32 s24, s12, -1
	v_lshl_add_u64 v[30:31], v[26:27], 0, 4
	v_lshl_add_u64 v[28:29], v[28:29], 0, 4
	s_addc_u32 s25, s13, -1
	s_mov_b64 s[26:27], 0
	s_mov_b64 s[30:31], 0
                                        ; implicit-def: $sgpr28_sgpr29
	s_branch .LBB421_76
.LBB421_74:                             ;   in Loop: Header=BB421_76 Depth=1
	global_load_dword v1, v[28:29], off
	global_load_dword v32, v[30:31], off
	s_add_u32 s30, s30, 1
	s_addc_u32 s31, s31, 0
	s_andn2_b64 s[28:29], s[28:29], exec
	v_lshl_add_u64 v[30:31], v[30:31], 0, 4
	v_lshl_add_u64 v[28:29], v[28:29], 0, 4
	s_waitcnt vmcnt(0)
	v_cmp_ne_u32_e32 vcc, v1, v32
	s_and_b64 s[34:35], vcc, exec
	s_or_b64 s[28:29], s[28:29], s[34:35]
.LBB421_75:                             ;   in Loop: Header=BB421_76 Depth=1
	s_and_b64 s[34:35], exec, s[28:29]
	s_or_b64 s[26:27], s[34:35], s[26:27]
	v_mov_b64_e32 v[32:33], s[30:31]
	s_andn2_b64 exec, exec, s[26:27]
	s_cbranch_execz .LBB421_78
.LBB421_76:                             ; =>This Inner Loop Header: Depth=1
	s_or_b64 s[28:29], s[28:29], exec
	s_cmp_eq_u64 s[24:25], s[30:31]
	s_cbranch_scc0 .LBB421_74
; %bb.77:                               ;   in Loop: Header=BB421_76 Depth=1
                                        ; implicit-def: $vgpr30_vgpr31
                                        ; implicit-def: $vgpr28_vgpr29
	s_mov_b64 s[30:31], s[12:13]
	s_branch .LBB421_75
.LBB421_78:
	s_or_b64 exec, exec, s[26:27]
	v_cmp_gt_i64_e32 vcc, s[12:13], v[32:33]
	s_mov_b32 s7, 0
	v_mov_b32_e32 v57, s7
	v_cndmask_b32_e64 v56, 0, 1, vcc
.LBB421_79:
	s_or_b64 exec, exec, s[18:19]
.LBB421_80:
	v_mul_lo_u32 v1, v15, s12
	v_mul_lo_u32 v30, v14, s13
	v_mad_u64_u32 v[28:29], s[18:19], v14, s12, 0
	v_add3_u32 v29, v29, v30, v1
	v_mov_b64_e32 v[60:61], 0
	s_and_b64 vcc, exec, s[2:3]
	v_lshl_add_u64 v[28:29], v[28:29], 2, s[14:15]
	v_mov_b64_e32 v[58:59], v[60:61]
	s_cbranch_vccnz .LBB421_89
; %bb.81:
	global_load_dword v1, v[26:27], off
	global_load_dword v30, v[28:29], off
	v_mov_b64_e32 v[58:59], 1
	s_waitcnt vmcnt(0)
	v_cmp_eq_u32_e32 vcc, v1, v30
	s_and_saveexec_b64 s[18:19], vcc
	s_cbranch_execz .LBB421_88
; %bb.82:
	s_add_u32 s24, s12, -1
	v_lshl_add_u64 v[30:31], v[28:29], 0, 4
	v_lshl_add_u64 v[26:27], v[26:27], 0, 4
	s_addc_u32 s25, s13, -1
	s_mov_b64 s[26:27], 0
	s_mov_b64 s[30:31], 0
                                        ; implicit-def: $sgpr28_sgpr29
	s_branch .LBB421_85
.LBB421_83:                             ;   in Loop: Header=BB421_85 Depth=1
	global_load_dword v1, v[26:27], off
	global_load_dword v32, v[30:31], off
	s_add_u32 s30, s30, 1
	s_addc_u32 s31, s31, 0
	s_andn2_b64 s[28:29], s[28:29], exec
	v_lshl_add_u64 v[30:31], v[30:31], 0, 4
	v_lshl_add_u64 v[26:27], v[26:27], 0, 4
	s_waitcnt vmcnt(0)
	v_cmp_ne_u32_e32 vcc, v1, v32
	s_and_b64 s[34:35], vcc, exec
	s_or_b64 s[28:29], s[28:29], s[34:35]
.LBB421_84:                             ;   in Loop: Header=BB421_85 Depth=1
	s_and_b64 s[34:35], exec, s[28:29]
	s_or_b64 s[26:27], s[34:35], s[26:27]
	v_mov_b64_e32 v[32:33], s[30:31]
	s_andn2_b64 exec, exec, s[26:27]
	s_cbranch_execz .LBB421_87
.LBB421_85:                             ; =>This Inner Loop Header: Depth=1
	s_or_b64 s[28:29], s[28:29], exec
	s_cmp_eq_u64 s[24:25], s[30:31]
	s_cbranch_scc0 .LBB421_83
; %bb.86:                               ;   in Loop: Header=BB421_85 Depth=1
                                        ; implicit-def: $vgpr30_vgpr31
                                        ; implicit-def: $vgpr26_vgpr27
	s_mov_b64 s[30:31], s[12:13]
	s_branch .LBB421_84
.LBB421_87:
	s_or_b64 exec, exec, s[26:27]
	v_cmp_gt_i64_e32 vcc, s[12:13], v[32:33]
	s_mov_b32 s7, 0
	v_mov_b32_e32 v59, s7
	v_cndmask_b32_e64 v58, 0, 1, vcc
.LBB421_88:
	s_or_b64 exec, exec, s[18:19]
.LBB421_89:
	v_mul_lo_u32 v1, v13, s12
	v_mul_lo_u32 v30, v12, s13
	v_mad_u64_u32 v[26:27], s[18:19], v12, s12, 0
	v_add3_u32 v27, v27, v30, v1
	s_and_b64 vcc, exec, s[2:3]
	v_lshl_add_u64 v[26:27], v[26:27], 2, s[14:15]
	s_cbranch_vccnz .LBB421_98
; %bb.90:
	global_load_dword v1, v[28:29], off
	global_load_dword v30, v[26:27], off
	v_mov_b64_e32 v[60:61], 1
	s_waitcnt vmcnt(0)
	v_cmp_eq_u32_e32 vcc, v1, v30
	s_and_saveexec_b64 s[18:19], vcc
	s_cbranch_execz .LBB421_97
; %bb.91:
	s_add_u32 s24, s12, -1
	v_lshl_add_u64 v[30:31], v[26:27], 0, 4
	v_lshl_add_u64 v[28:29], v[28:29], 0, 4
	s_addc_u32 s25, s13, -1
	s_mov_b64 s[26:27], 0
	s_mov_b64 s[30:31], 0
                                        ; implicit-def: $sgpr28_sgpr29
	s_branch .LBB421_94
.LBB421_92:                             ;   in Loop: Header=BB421_94 Depth=1
	global_load_dword v1, v[28:29], off
	global_load_dword v32, v[30:31], off
	s_add_u32 s30, s30, 1
	s_addc_u32 s31, s31, 0
	s_andn2_b64 s[28:29], s[28:29], exec
	v_lshl_add_u64 v[30:31], v[30:31], 0, 4
	v_lshl_add_u64 v[28:29], v[28:29], 0, 4
	s_waitcnt vmcnt(0)
	v_cmp_ne_u32_e32 vcc, v1, v32
	s_and_b64 s[34:35], vcc, exec
	s_or_b64 s[28:29], s[28:29], s[34:35]
.LBB421_93:                             ;   in Loop: Header=BB421_94 Depth=1
	s_and_b64 s[34:35], exec, s[28:29]
	s_or_b64 s[26:27], s[34:35], s[26:27]
	v_mov_b64_e32 v[32:33], s[30:31]
	s_andn2_b64 exec, exec, s[26:27]
	s_cbranch_execz .LBB421_96
.LBB421_94:                             ; =>This Inner Loop Header: Depth=1
	s_or_b64 s[28:29], s[28:29], exec
	s_cmp_eq_u64 s[24:25], s[30:31]
	s_cbranch_scc0 .LBB421_92
; %bb.95:                               ;   in Loop: Header=BB421_94 Depth=1
                                        ; implicit-def: $vgpr30_vgpr31
                                        ; implicit-def: $vgpr28_vgpr29
	s_mov_b64 s[30:31], s[12:13]
	s_branch .LBB421_93
.LBB421_96:
	s_or_b64 exec, exec, s[26:27]
	v_cmp_gt_i64_e32 vcc, s[12:13], v[32:33]
	s_mov_b32 s7, 0
	v_mov_b32_e32 v61, s7
	v_cndmask_b32_e64 v60, 0, 1, vcc
.LBB421_97:
	s_or_b64 exec, exec, s[18:19]
.LBB421_98:
	v_mul_lo_u32 v1, v11, s12
	v_mul_lo_u32 v30, v10, s13
	v_mad_u64_u32 v[28:29], s[18:19], v10, s12, 0
	v_add3_u32 v29, v29, v30, v1
	v_mov_b64_e32 v[64:65], 0
	s_and_b64 vcc, exec, s[2:3]
	v_lshl_add_u64 v[28:29], v[28:29], 2, s[14:15]
	v_mov_b64_e32 v[62:63], v[64:65]
	s_cbranch_vccnz .LBB421_107
; %bb.99:
	global_load_dword v1, v[26:27], off
	global_load_dword v30, v[28:29], off
	v_mov_b64_e32 v[62:63], 1
	s_waitcnt vmcnt(0)
	v_cmp_eq_u32_e32 vcc, v1, v30
	s_and_saveexec_b64 s[18:19], vcc
	s_cbranch_execz .LBB421_106
; %bb.100:
	s_add_u32 s24, s12, -1
	v_lshl_add_u64 v[30:31], v[28:29], 0, 4
	v_lshl_add_u64 v[26:27], v[26:27], 0, 4
	s_addc_u32 s25, s13, -1
	s_mov_b64 s[26:27], 0
	s_mov_b64 s[30:31], 0
                                        ; implicit-def: $sgpr28_sgpr29
	s_branch .LBB421_103
.LBB421_101:                            ;   in Loop: Header=BB421_103 Depth=1
	global_load_dword v1, v[26:27], off
	global_load_dword v32, v[30:31], off
	s_add_u32 s30, s30, 1
	s_addc_u32 s31, s31, 0
	s_andn2_b64 s[28:29], s[28:29], exec
	v_lshl_add_u64 v[30:31], v[30:31], 0, 4
	v_lshl_add_u64 v[26:27], v[26:27], 0, 4
	s_waitcnt vmcnt(0)
	v_cmp_ne_u32_e32 vcc, v1, v32
	s_and_b64 s[34:35], vcc, exec
	s_or_b64 s[28:29], s[28:29], s[34:35]
.LBB421_102:                            ;   in Loop: Header=BB421_103 Depth=1
	s_and_b64 s[34:35], exec, s[28:29]
	s_or_b64 s[26:27], s[34:35], s[26:27]
	v_mov_b64_e32 v[32:33], s[30:31]
	s_andn2_b64 exec, exec, s[26:27]
	s_cbranch_execz .LBB421_105
.LBB421_103:                            ; =>This Inner Loop Header: Depth=1
	s_or_b64 s[28:29], s[28:29], exec
	s_cmp_eq_u64 s[24:25], s[30:31]
	s_cbranch_scc0 .LBB421_101
; %bb.104:                              ;   in Loop: Header=BB421_103 Depth=1
                                        ; implicit-def: $vgpr30_vgpr31
                                        ; implicit-def: $vgpr26_vgpr27
	s_mov_b64 s[30:31], s[12:13]
	s_branch .LBB421_102
.LBB421_105:
	s_or_b64 exec, exec, s[26:27]
	v_cmp_gt_i64_e32 vcc, s[12:13], v[32:33]
	s_mov_b32 s7, 0
	v_mov_b32_e32 v63, s7
	v_cndmask_b32_e64 v62, 0, 1, vcc
.LBB421_106:
	s_or_b64 exec, exec, s[18:19]
.LBB421_107:
	v_mul_lo_u32 v1, v9, s12
	v_mul_lo_u32 v30, v8, s13
	v_mad_u64_u32 v[26:27], s[18:19], v8, s12, 0
	v_add3_u32 v27, v27, v30, v1
	s_and_b64 vcc, exec, s[2:3]
	v_lshl_add_u64 v[26:27], v[26:27], 2, s[14:15]
	s_cbranch_vccnz .LBB421_116
; %bb.108:
	global_load_dword v1, v[28:29], off
	global_load_dword v30, v[26:27], off
	v_mov_b64_e32 v[64:65], 1
	s_waitcnt vmcnt(0)
	v_cmp_eq_u32_e32 vcc, v1, v30
	s_and_saveexec_b64 s[18:19], vcc
	s_cbranch_execz .LBB421_115
; %bb.109:
	s_add_u32 s24, s12, -1
	v_lshl_add_u64 v[30:31], v[26:27], 0, 4
	v_lshl_add_u64 v[28:29], v[28:29], 0, 4
	s_addc_u32 s25, s13, -1
	s_mov_b64 s[26:27], 0
	s_mov_b64 s[30:31], 0
                                        ; implicit-def: $sgpr28_sgpr29
	s_branch .LBB421_112
.LBB421_110:                            ;   in Loop: Header=BB421_112 Depth=1
	global_load_dword v1, v[28:29], off
	global_load_dword v32, v[30:31], off
	s_add_u32 s30, s30, 1
	s_addc_u32 s31, s31, 0
	s_andn2_b64 s[28:29], s[28:29], exec
	v_lshl_add_u64 v[30:31], v[30:31], 0, 4
	v_lshl_add_u64 v[28:29], v[28:29], 0, 4
	s_waitcnt vmcnt(0)
	v_cmp_ne_u32_e32 vcc, v1, v32
	s_and_b64 s[34:35], vcc, exec
	s_or_b64 s[28:29], s[28:29], s[34:35]
.LBB421_111:                            ;   in Loop: Header=BB421_112 Depth=1
	s_and_b64 s[34:35], exec, s[28:29]
	s_or_b64 s[26:27], s[34:35], s[26:27]
	v_mov_b64_e32 v[32:33], s[30:31]
	s_andn2_b64 exec, exec, s[26:27]
	s_cbranch_execz .LBB421_114
.LBB421_112:                            ; =>This Inner Loop Header: Depth=1
	s_or_b64 s[28:29], s[28:29], exec
	s_cmp_eq_u64 s[24:25], s[30:31]
	s_cbranch_scc0 .LBB421_110
; %bb.113:                              ;   in Loop: Header=BB421_112 Depth=1
                                        ; implicit-def: $vgpr30_vgpr31
                                        ; implicit-def: $vgpr28_vgpr29
	s_mov_b64 s[30:31], s[12:13]
	s_branch .LBB421_111
.LBB421_114:
	s_or_b64 exec, exec, s[26:27]
	v_cmp_gt_i64_e32 vcc, s[12:13], v[32:33]
	s_mov_b32 s7, 0
	v_mov_b32_e32 v65, s7
	v_cndmask_b32_e64 v64, 0, 1, vcc
.LBB421_115:
	s_or_b64 exec, exec, s[18:19]
.LBB421_116:
	v_mul_lo_u32 v1, v7, s12
	v_mul_lo_u32 v30, v6, s13
	v_mad_u64_u32 v[28:29], s[18:19], v6, s12, 0
	v_add3_u32 v29, v29, v30, v1
	v_mov_b64_e32 v[68:69], 0
	s_and_b64 vcc, exec, s[2:3]
	v_lshl_add_u64 v[28:29], v[28:29], 2, s[14:15]
	v_mov_b64_e32 v[66:67], v[68:69]
	s_cbranch_vccnz .LBB421_125
; %bb.117:
	global_load_dword v1, v[26:27], off
	global_load_dword v30, v[28:29], off
	v_mov_b64_e32 v[66:67], 1
	s_waitcnt vmcnt(0)
	v_cmp_eq_u32_e32 vcc, v1, v30
	s_and_saveexec_b64 s[18:19], vcc
	s_cbranch_execz .LBB421_124
; %bb.118:
	s_add_u32 s24, s12, -1
	v_lshl_add_u64 v[30:31], v[28:29], 0, 4
	v_lshl_add_u64 v[26:27], v[26:27], 0, 4
	s_addc_u32 s25, s13, -1
	s_mov_b64 s[26:27], 0
	s_mov_b64 s[30:31], 0
                                        ; implicit-def: $sgpr28_sgpr29
	s_branch .LBB421_121
.LBB421_119:                            ;   in Loop: Header=BB421_121 Depth=1
	global_load_dword v1, v[26:27], off
	global_load_dword v32, v[30:31], off
	s_add_u32 s30, s30, 1
	s_addc_u32 s31, s31, 0
	s_andn2_b64 s[28:29], s[28:29], exec
	v_lshl_add_u64 v[30:31], v[30:31], 0, 4
	v_lshl_add_u64 v[26:27], v[26:27], 0, 4
	s_waitcnt vmcnt(0)
	v_cmp_ne_u32_e32 vcc, v1, v32
	s_and_b64 s[34:35], vcc, exec
	s_or_b64 s[28:29], s[28:29], s[34:35]
.LBB421_120:                            ;   in Loop: Header=BB421_121 Depth=1
	s_and_b64 s[34:35], exec, s[28:29]
	s_or_b64 s[26:27], s[34:35], s[26:27]
	v_mov_b64_e32 v[32:33], s[30:31]
	s_andn2_b64 exec, exec, s[26:27]
	s_cbranch_execz .LBB421_123
.LBB421_121:                            ; =>This Inner Loop Header: Depth=1
	s_or_b64 s[28:29], s[28:29], exec
	s_cmp_eq_u64 s[24:25], s[30:31]
	s_cbranch_scc0 .LBB421_119
; %bb.122:                              ;   in Loop: Header=BB421_121 Depth=1
                                        ; implicit-def: $vgpr30_vgpr31
                                        ; implicit-def: $vgpr26_vgpr27
	s_mov_b64 s[30:31], s[12:13]
	s_branch .LBB421_120
.LBB421_123:
	s_or_b64 exec, exec, s[26:27]
	v_cmp_gt_i64_e32 vcc, s[12:13], v[32:33]
	s_mov_b32 s7, 0
	v_mov_b32_e32 v67, s7
	v_cndmask_b32_e64 v66, 0, 1, vcc
.LBB421_124:
	s_or_b64 exec, exec, s[18:19]
.LBB421_125:
	v_mul_lo_u32 v1, v5, s12
	v_mul_lo_u32 v30, v4, s13
	v_mad_u64_u32 v[26:27], s[18:19], v4, s12, 0
	v_add3_u32 v27, v27, v30, v1
	s_and_b64 vcc, exec, s[2:3]
	v_lshl_add_u64 v[26:27], v[26:27], 2, s[14:15]
	s_cbranch_vccnz .LBB421_134
; %bb.126:
	global_load_dword v1, v[28:29], off
	global_load_dword v30, v[26:27], off
	v_mov_b64_e32 v[68:69], 1
	s_waitcnt vmcnt(0)
	v_cmp_eq_u32_e32 vcc, v1, v30
	s_and_saveexec_b64 s[18:19], vcc
	s_cbranch_execz .LBB421_133
; %bb.127:
	s_add_u32 s24, s12, -1
	v_lshl_add_u64 v[30:31], v[26:27], 0, 4
	v_lshl_add_u64 v[28:29], v[28:29], 0, 4
	s_addc_u32 s25, s13, -1
	s_mov_b64 s[26:27], 0
	s_mov_b64 s[30:31], 0
                                        ; implicit-def: $sgpr28_sgpr29
	s_branch .LBB421_130
.LBB421_128:                            ;   in Loop: Header=BB421_130 Depth=1
	global_load_dword v1, v[28:29], off
	global_load_dword v32, v[30:31], off
	s_add_u32 s30, s30, 1
	s_addc_u32 s31, s31, 0
	s_andn2_b64 s[28:29], s[28:29], exec
	v_lshl_add_u64 v[30:31], v[30:31], 0, 4
	v_lshl_add_u64 v[28:29], v[28:29], 0, 4
	s_waitcnt vmcnt(0)
	v_cmp_ne_u32_e32 vcc, v1, v32
	s_and_b64 s[34:35], vcc, exec
	s_or_b64 s[28:29], s[28:29], s[34:35]
.LBB421_129:                            ;   in Loop: Header=BB421_130 Depth=1
	s_and_b64 s[34:35], exec, s[28:29]
	s_or_b64 s[26:27], s[34:35], s[26:27]
	v_mov_b64_e32 v[32:33], s[30:31]
	s_andn2_b64 exec, exec, s[26:27]
	s_cbranch_execz .LBB421_132
.LBB421_130:                            ; =>This Inner Loop Header: Depth=1
	s_or_b64 s[28:29], s[28:29], exec
	s_cmp_eq_u64 s[24:25], s[30:31]
	s_cbranch_scc0 .LBB421_128
; %bb.131:                              ;   in Loop: Header=BB421_130 Depth=1
                                        ; implicit-def: $vgpr30_vgpr31
                                        ; implicit-def: $vgpr28_vgpr29
	s_mov_b64 s[30:31], s[12:13]
	s_branch .LBB421_129
.LBB421_132:
	s_or_b64 exec, exec, s[26:27]
	v_cmp_gt_i64_e32 vcc, s[12:13], v[32:33]
	s_mov_b32 s7, 0
	v_mov_b32_e32 v69, s7
	v_cndmask_b32_e64 v68, 0, 1, vcc
.LBB421_133:
	s_or_b64 exec, exec, s[18:19]
.LBB421_134:
	s_and_b64 vcc, exec, s[2:3]
	s_cbranch_vccnz .LBB421_141
; %bb.135:
	v_mul_lo_u32 v1, v3, s12
	v_mul_lo_u32 v30, v2, s13
	v_mad_u64_u32 v[28:29], s[18:19], v2, s12, 0
	v_add3_u32 v29, v29, v30, v1
	v_lshl_add_u64 v[28:29], v[28:29], 2, s[14:15]
	global_load_dword v1, v[26:27], off
	global_load_dword v30, v[28:29], off
	v_mov_b64_e32 v[70:71], 1
	s_waitcnt vmcnt(0)
	v_cmp_eq_u32_e32 vcc, v1, v30
	s_and_saveexec_b64 s[18:19], vcc
	s_cbranch_execz .LBB421_143
; %bb.136:
	s_add_u32 s24, s12, -1
	v_lshl_add_u64 v[28:29], v[28:29], 0, 4
	v_lshl_add_u64 v[26:27], v[26:27], 0, 4
	s_addc_u32 s25, s13, -1
	s_mov_b64 s[26:27], 0
	s_mov_b64 s[30:31], 0
                                        ; implicit-def: $sgpr28_sgpr29
	s_branch .LBB421_139
.LBB421_137:                            ;   in Loop: Header=BB421_139 Depth=1
	global_load_dword v1, v[26:27], off
	global_load_dword v30, v[28:29], off
	s_add_u32 s30, s30, 1
	s_addc_u32 s31, s31, 0
	s_andn2_b64 s[28:29], s[28:29], exec
	v_lshl_add_u64 v[28:29], v[28:29], 0, 4
	v_lshl_add_u64 v[26:27], v[26:27], 0, 4
	s_waitcnt vmcnt(0)
	v_cmp_ne_u32_e32 vcc, v1, v30
	s_and_b64 s[34:35], vcc, exec
	s_or_b64 s[28:29], s[28:29], s[34:35]
.LBB421_138:                            ;   in Loop: Header=BB421_139 Depth=1
	s_and_b64 s[34:35], exec, s[28:29]
	s_or_b64 s[26:27], s[34:35], s[26:27]
	v_mov_b64_e32 v[30:31], s[30:31]
	s_andn2_b64 exec, exec, s[26:27]
	s_cbranch_execz .LBB421_142
.LBB421_139:                            ; =>This Inner Loop Header: Depth=1
	s_or_b64 s[28:29], s[28:29], exec
	s_cmp_eq_u64 s[24:25], s[30:31]
	s_cbranch_scc0 .LBB421_137
; %bb.140:                              ;   in Loop: Header=BB421_139 Depth=1
                                        ; implicit-def: $vgpr28_vgpr29
                                        ; implicit-def: $vgpr26_vgpr27
	s_mov_b64 s[30:31], s[12:13]
	s_branch .LBB421_138
.LBB421_141:
	v_mov_b64_e32 v[70:71], 0
	s_branch .LBB421_144
.LBB421_142:
	s_or_b64 exec, exec, s[26:27]
	v_cmp_gt_i64_e32 vcc, s[12:13], v[30:31]
	s_mov_b32 s7, 0
	v_mov_b32_e32 v71, s7
	v_cndmask_b32_e64 v70, 0, 1, vcc
.LBB421_143:
	s_or_b64 exec, exec, s[18:19]
.LBB421_144:
	v_cmp_ne_u32_e32 vcc, 0, v0
	s_waitcnt lgkmcnt(0)
	v_mov_b64_e32 v[26:27], s[20:21]
	s_waitcnt lgkmcnt(0)
	; wave barrier
	s_and_saveexec_b64 s[18:19], vcc
	s_cbranch_execz .LBB421_146
; %bb.145:
	v_add_u32_e32 v1, -8, v48
	ds_read_b64 v[26:27], v1
.LBB421_146:
	s_or_b64 exec, exec, s[18:19]
	s_mov_b64 s[26:27], 0
	s_and_b64 vcc, exec, s[2:3]
	s_mov_b64 s[24:25], 0
	s_cbranch_vccnz .LBB421_155
; %bb.147:
	v_mul_lo_u32 v1, v3, s12
	v_mul_lo_u32 v30, v2, s13
	v_mad_u64_u32 v[28:29], s[2:3], v2, s12, 0
	v_add3_u32 v29, v29, v30, v1
	s_waitcnt lgkmcnt(0)
	v_mul_lo_u32 v1, v27, s12
	v_mul_lo_u32 v30, v26, s13
	v_mad_u64_u32 v[26:27], s[2:3], v26, s12, 0
	v_add3_u32 v27, v27, v30, v1
	v_lshl_add_u64 v[28:29], v[28:29], 2, s[14:15]
	v_lshl_add_u64 v[26:27], v[26:27], 2, s[14:15]
	global_load_dword v1, v[28:29], off
	global_load_dword v30, v[26:27], off
	s_mov_b64 s[24:25], -1
	s_waitcnt vmcnt(0)
	v_cmp_eq_u32_e32 vcc, v1, v30
	s_and_saveexec_b64 s[2:3], vcc
	s_cbranch_execz .LBB421_154
; %bb.148:
	s_add_u32 s18, s12, -1
	v_lshl_add_u64 v[26:27], v[26:27], 0, 4
	v_lshl_add_u64 v[28:29], v[28:29], 0, 4
	s_addc_u32 s19, s13, -1
	s_mov_b64 s[24:25], 0
	s_mov_b64 s[30:31], 0
                                        ; implicit-def: $sgpr28_sgpr29
	s_branch .LBB421_151
.LBB421_149:                            ;   in Loop: Header=BB421_151 Depth=1
	global_load_dword v1, v[28:29], off
	global_load_dword v30, v[26:27], off
	s_add_u32 s30, s30, 1
	s_addc_u32 s31, s31, 0
	s_andn2_b64 s[28:29], s[28:29], exec
	v_lshl_add_u64 v[26:27], v[26:27], 0, 4
	v_lshl_add_u64 v[28:29], v[28:29], 0, 4
	s_waitcnt vmcnt(0)
	v_cmp_ne_u32_e32 vcc, v1, v30
	s_and_b64 s[34:35], vcc, exec
	s_or_b64 s[28:29], s[28:29], s[34:35]
.LBB421_150:                            ;   in Loop: Header=BB421_151 Depth=1
	s_and_b64 s[34:35], exec, s[28:29]
	s_or_b64 s[24:25], s[34:35], s[24:25]
	v_mov_b64_e32 v[30:31], s[30:31]
	s_andn2_b64 exec, exec, s[24:25]
	s_cbranch_execz .LBB421_153
.LBB421_151:                            ; =>This Inner Loop Header: Depth=1
	s_or_b64 s[28:29], s[28:29], exec
	s_cmp_eq_u64 s[18:19], s[30:31]
	s_cbranch_scc0 .LBB421_149
; %bb.152:                              ;   in Loop: Header=BB421_151 Depth=1
                                        ; implicit-def: $vgpr26_vgpr27
                                        ; implicit-def: $vgpr28_vgpr29
	s_mov_b64 s[30:31], s[12:13]
	s_branch .LBB421_150
.LBB421_153:
	s_or_b64 exec, exec, s[24:25]
	v_cmp_gt_i64_e32 vcc, s[12:13], v[30:31]
	s_orn2_b64 s[24:25], vcc, exec
.LBB421_154:
	s_or_b64 exec, exec, s[2:3]
.LBB421_155:
	s_mov_b64 s[18:19], -1
	s_and_b64 vcc, exec, s[26:27]
	s_cbranch_vccz .LBB421_41
.LBB421_156:
	s_mul_i32 s7, s22, 0xfffffcc0
	s_add_i32 s7, s7, s10
	s_waitcnt lgkmcnt(0)
	v_mad_u32_u24 v26, v0, 13, 12
	v_cmp_gt_i64_e64 s[2:3], s[12:13], 0
	v_cmp_gt_u32_e32 vcc, s7, v26
	v_mul_u32_u24_e32 v1, 13, v0
	v_cndmask_b32_e64 v26, 0, 1, s[2:3]
	v_cmp_ne_u32_e64 s[2:3], 1, v26
	v_mov_b64_e32 v[50:51], v[44:45]
	ds_write_b64 v48, v[44:45]
	s_and_saveexec_b64 s[22:23], vcc
	s_cbranch_execz .LBB421_167
; %bb.157:
	s_and_b64 vcc, exec, s[2:3]
	s_cbranch_vccnz .LBB421_164
; %bb.158:
	v_mul_lo_u32 v28, v45, s12
	v_mul_lo_u32 v29, v44, s13
	v_mad_u64_u32 v[26:27], s[24:25], v44, s12, 0
	v_add3_u32 v27, v27, v29, v28
	v_mul_lo_u32 v28, v25, s12
	v_mul_lo_u32 v29, v24, s13
	v_mad_u64_u32 v[30:31], s[24:25], v24, s12, 0
	v_add3_u32 v31, v31, v29, v28
	v_lshl_add_u64 v[28:29], v[26:27], 2, s[14:15]
	v_lshl_add_u64 v[26:27], v[30:31], 2, s[14:15]
	global_load_dword v30, v[28:29], off
	global_load_dword v31, v[26:27], off
	v_mov_b64_e32 v[50:51], 1
	s_waitcnt vmcnt(0)
	v_cmp_eq_u32_e32 vcc, v30, v31
	s_and_saveexec_b64 s[24:25], vcc
	s_cbranch_execz .LBB421_166
; %bb.159:
	s_add_u32 s26, s12, -1
	v_lshl_add_u64 v[26:27], v[26:27], 0, 4
	v_lshl_add_u64 v[28:29], v[28:29], 0, 4
	s_addc_u32 s27, s13, -1
	s_mov_b64 s[28:29], 0
	s_mov_b64 s[34:35], 0
                                        ; implicit-def: $sgpr30_sgpr31
	s_branch .LBB421_162
.LBB421_160:                            ;   in Loop: Header=BB421_162 Depth=1
	global_load_dword v30, v[28:29], off
	global_load_dword v31, v[26:27], off
	s_add_u32 s34, s34, 1
	s_addc_u32 s35, s35, 0
	s_andn2_b64 s[30:31], s[30:31], exec
	v_lshl_add_u64 v[26:27], v[26:27], 0, 4
	v_lshl_add_u64 v[28:29], v[28:29], 0, 4
	s_waitcnt vmcnt(0)
	v_cmp_ne_u32_e32 vcc, v30, v31
	s_and_b64 s[36:37], vcc, exec
	s_or_b64 s[30:31], s[30:31], s[36:37]
.LBB421_161:                            ;   in Loop: Header=BB421_162 Depth=1
	s_and_b64 s[36:37], exec, s[30:31]
	s_or_b64 s[28:29], s[36:37], s[28:29]
	v_mov_b64_e32 v[30:31], s[34:35]
	s_andn2_b64 exec, exec, s[28:29]
	s_cbranch_execz .LBB421_165
.LBB421_162:                            ; =>This Inner Loop Header: Depth=1
	s_or_b64 s[30:31], s[30:31], exec
	s_cmp_eq_u64 s[26:27], s[34:35]
	s_cbranch_scc0 .LBB421_160
; %bb.163:                              ;   in Loop: Header=BB421_162 Depth=1
                                        ; implicit-def: $vgpr26_vgpr27
                                        ; implicit-def: $vgpr28_vgpr29
	s_mov_b64 s[34:35], s[12:13]
	s_branch .LBB421_161
.LBB421_164:
	v_mov_b64_e32 v[50:51], 0
	s_branch .LBB421_167
.LBB421_165:
	s_or_b64 exec, exec, s[28:29]
	v_cmp_gt_i64_e32 vcc, s[12:13], v[30:31]
	s_mov_b32 s26, 0
	v_mov_b32_e32 v51, s26
	v_cndmask_b32_e64 v50, 0, 1, vcc
.LBB421_166:
	s_or_b64 exec, exec, s[24:25]
.LBB421_167:
	s_or_b64 exec, exec, s[22:23]
	v_add_u32_e32 v26, 11, v1
	v_cmp_gt_u32_e32 vcc, s7, v26
	v_mov_b64_e32 v[52:53], v[24:25]
	s_and_saveexec_b64 s[22:23], vcc
	s_cbranch_execz .LBB421_178
; %bb.168:
	s_and_b64 vcc, exec, s[2:3]
	s_cbranch_vccnz .LBB421_175
; %bb.169:
	v_mul_lo_u32 v28, v25, s12
	v_mul_lo_u32 v29, v24, s13
	v_mad_u64_u32 v[26:27], s[24:25], v24, s12, 0
	v_add3_u32 v27, v27, v29, v28
	v_mul_lo_u32 v28, v23, s12
	v_mul_lo_u32 v29, v22, s13
	v_mad_u64_u32 v[30:31], s[24:25], v22, s12, 0
	v_add3_u32 v31, v31, v29, v28
	v_lshl_add_u64 v[28:29], v[26:27], 2, s[14:15]
	v_lshl_add_u64 v[26:27], v[30:31], 2, s[14:15]
	global_load_dword v30, v[28:29], off
	global_load_dword v31, v[26:27], off
	v_mov_b64_e32 v[52:53], 1
	s_waitcnt vmcnt(0)
	v_cmp_eq_u32_e32 vcc, v30, v31
	s_and_saveexec_b64 s[24:25], vcc
	s_cbranch_execz .LBB421_177
; %bb.170:
	s_add_u32 s26, s12, -1
	v_lshl_add_u64 v[26:27], v[26:27], 0, 4
	v_lshl_add_u64 v[28:29], v[28:29], 0, 4
	s_addc_u32 s27, s13, -1
	s_mov_b64 s[28:29], 0
	s_mov_b64 s[34:35], 0
                                        ; implicit-def: $sgpr30_sgpr31
	s_branch .LBB421_173
.LBB421_171:                            ;   in Loop: Header=BB421_173 Depth=1
	global_load_dword v30, v[28:29], off
	global_load_dword v31, v[26:27], off
	s_add_u32 s34, s34, 1
	s_addc_u32 s35, s35, 0
	s_andn2_b64 s[30:31], s[30:31], exec
	v_lshl_add_u64 v[26:27], v[26:27], 0, 4
	v_lshl_add_u64 v[28:29], v[28:29], 0, 4
	s_waitcnt vmcnt(0)
	v_cmp_ne_u32_e32 vcc, v30, v31
	s_and_b64 s[36:37], vcc, exec
	s_or_b64 s[30:31], s[30:31], s[36:37]
.LBB421_172:                            ;   in Loop: Header=BB421_173 Depth=1
	s_and_b64 s[36:37], exec, s[30:31]
	s_or_b64 s[28:29], s[36:37], s[28:29]
	v_mov_b64_e32 v[30:31], s[34:35]
	s_andn2_b64 exec, exec, s[28:29]
	s_cbranch_execz .LBB421_176
.LBB421_173:                            ; =>This Inner Loop Header: Depth=1
	s_or_b64 s[30:31], s[30:31], exec
	s_cmp_eq_u64 s[26:27], s[34:35]
	s_cbranch_scc0 .LBB421_171
; %bb.174:                              ;   in Loop: Header=BB421_173 Depth=1
                                        ; implicit-def: $vgpr26_vgpr27
                                        ; implicit-def: $vgpr28_vgpr29
	s_mov_b64 s[34:35], s[12:13]
	s_branch .LBB421_172
.LBB421_175:
	v_mov_b64_e32 v[52:53], 0
	s_branch .LBB421_178
.LBB421_176:
	s_or_b64 exec, exec, s[28:29]
	v_cmp_gt_i64_e32 vcc, s[12:13], v[30:31]
	s_mov_b32 s26, 0
	v_mov_b32_e32 v53, s26
	v_cndmask_b32_e64 v52, 0, 1, vcc
.LBB421_177:
	s_or_b64 exec, exec, s[24:25]
.LBB421_178:
	s_or_b64 exec, exec, s[22:23]
	v_add_u32_e32 v26, 10, v1
	v_cmp_gt_u32_e32 vcc, s7, v26
	v_mov_b64_e32 v[46:47], v[22:23]
	s_and_saveexec_b64 s[22:23], vcc
	s_cbranch_execz .LBB421_189
; %bb.179:
	s_and_b64 vcc, exec, s[2:3]
	s_cbranch_vccnz .LBB421_186
; %bb.180:
	v_mul_lo_u32 v28, v23, s12
	v_mul_lo_u32 v29, v22, s13
	v_mad_u64_u32 v[26:27], s[24:25], v22, s12, 0
	v_add3_u32 v27, v27, v29, v28
	v_mul_lo_u32 v28, v21, s12
	v_mul_lo_u32 v29, v20, s13
	v_mad_u64_u32 v[30:31], s[24:25], v20, s12, 0
	v_add3_u32 v31, v31, v29, v28
	v_lshl_add_u64 v[28:29], v[26:27], 2, s[14:15]
	v_lshl_add_u64 v[26:27], v[30:31], 2, s[14:15]
	global_load_dword v30, v[28:29], off
	global_load_dword v31, v[26:27], off
	v_mov_b64_e32 v[46:47], 1
	s_waitcnt vmcnt(0)
	v_cmp_eq_u32_e32 vcc, v30, v31
	s_and_saveexec_b64 s[24:25], vcc
	s_cbranch_execz .LBB421_188
; %bb.181:
	s_add_u32 s26, s12, -1
	v_lshl_add_u64 v[26:27], v[26:27], 0, 4
	v_lshl_add_u64 v[28:29], v[28:29], 0, 4
	s_addc_u32 s27, s13, -1
	s_mov_b64 s[28:29], 0
	s_mov_b64 s[34:35], 0
                                        ; implicit-def: $sgpr30_sgpr31
	s_branch .LBB421_184
.LBB421_182:                            ;   in Loop: Header=BB421_184 Depth=1
	global_load_dword v30, v[28:29], off
	global_load_dword v31, v[26:27], off
	s_add_u32 s34, s34, 1
	s_addc_u32 s35, s35, 0
	s_andn2_b64 s[30:31], s[30:31], exec
	v_lshl_add_u64 v[26:27], v[26:27], 0, 4
	v_lshl_add_u64 v[28:29], v[28:29], 0, 4
	s_waitcnt vmcnt(0)
	v_cmp_ne_u32_e32 vcc, v30, v31
	s_and_b64 s[36:37], vcc, exec
	s_or_b64 s[30:31], s[30:31], s[36:37]
.LBB421_183:                            ;   in Loop: Header=BB421_184 Depth=1
	s_and_b64 s[36:37], exec, s[30:31]
	s_or_b64 s[28:29], s[36:37], s[28:29]
	v_mov_b64_e32 v[30:31], s[34:35]
	s_andn2_b64 exec, exec, s[28:29]
	s_cbranch_execz .LBB421_187
.LBB421_184:                            ; =>This Inner Loop Header: Depth=1
	s_or_b64 s[30:31], s[30:31], exec
	s_cmp_eq_u64 s[26:27], s[34:35]
	s_cbranch_scc0 .LBB421_182
; %bb.185:                              ;   in Loop: Header=BB421_184 Depth=1
                                        ; implicit-def: $vgpr26_vgpr27
                                        ; implicit-def: $vgpr28_vgpr29
	s_mov_b64 s[34:35], s[12:13]
	s_branch .LBB421_183
.LBB421_186:
	v_mov_b64_e32 v[46:47], 0
	s_branch .LBB421_189
.LBB421_187:
	s_or_b64 exec, exec, s[28:29]
	v_cmp_gt_i64_e32 vcc, s[12:13], v[30:31]
	s_mov_b32 s26, 0
	v_mov_b32_e32 v47, s26
	v_cndmask_b32_e64 v46, 0, 1, vcc
.LBB421_188:
	s_or_b64 exec, exec, s[24:25]
.LBB421_189:
	s_or_b64 exec, exec, s[22:23]
	v_add_u32_e32 v26, 9, v1
	v_cmp_gt_u32_e32 vcc, s7, v26
	v_mov_b64_e32 v[54:55], v[20:21]
	s_and_saveexec_b64 s[22:23], vcc
	s_cbranch_execz .LBB421_200
; %bb.190:
	s_and_b64 vcc, exec, s[2:3]
	s_cbranch_vccnz .LBB421_197
; %bb.191:
	v_mul_lo_u32 v28, v21, s12
	v_mul_lo_u32 v29, v20, s13
	v_mad_u64_u32 v[26:27], s[24:25], v20, s12, 0
	v_add3_u32 v27, v27, v29, v28
	v_mul_lo_u32 v28, v19, s12
	v_mul_lo_u32 v29, v18, s13
	v_mad_u64_u32 v[30:31], s[24:25], v18, s12, 0
	v_add3_u32 v31, v31, v29, v28
	v_lshl_add_u64 v[28:29], v[26:27], 2, s[14:15]
	v_lshl_add_u64 v[26:27], v[30:31], 2, s[14:15]
	global_load_dword v30, v[28:29], off
	global_load_dword v31, v[26:27], off
	v_mov_b64_e32 v[54:55], 1
	s_waitcnt vmcnt(0)
	v_cmp_eq_u32_e32 vcc, v30, v31
	s_and_saveexec_b64 s[24:25], vcc
	s_cbranch_execz .LBB421_199
; %bb.192:
	s_add_u32 s26, s12, -1
	v_lshl_add_u64 v[26:27], v[26:27], 0, 4
	v_lshl_add_u64 v[28:29], v[28:29], 0, 4
	s_addc_u32 s27, s13, -1
	s_mov_b64 s[28:29], 0
	s_mov_b64 s[34:35], 0
                                        ; implicit-def: $sgpr30_sgpr31
	s_branch .LBB421_195
.LBB421_193:                            ;   in Loop: Header=BB421_195 Depth=1
	global_load_dword v30, v[28:29], off
	global_load_dword v31, v[26:27], off
	s_add_u32 s34, s34, 1
	s_addc_u32 s35, s35, 0
	s_andn2_b64 s[30:31], s[30:31], exec
	v_lshl_add_u64 v[26:27], v[26:27], 0, 4
	v_lshl_add_u64 v[28:29], v[28:29], 0, 4
	s_waitcnt vmcnt(0)
	v_cmp_ne_u32_e32 vcc, v30, v31
	s_and_b64 s[36:37], vcc, exec
	s_or_b64 s[30:31], s[30:31], s[36:37]
.LBB421_194:                            ;   in Loop: Header=BB421_195 Depth=1
	s_and_b64 s[36:37], exec, s[30:31]
	s_or_b64 s[28:29], s[36:37], s[28:29]
	v_mov_b64_e32 v[30:31], s[34:35]
	s_andn2_b64 exec, exec, s[28:29]
	s_cbranch_execz .LBB421_198
.LBB421_195:                            ; =>This Inner Loop Header: Depth=1
	s_or_b64 s[30:31], s[30:31], exec
	s_cmp_eq_u64 s[26:27], s[34:35]
	s_cbranch_scc0 .LBB421_193
; %bb.196:                              ;   in Loop: Header=BB421_195 Depth=1
                                        ; implicit-def: $vgpr26_vgpr27
                                        ; implicit-def: $vgpr28_vgpr29
	s_mov_b64 s[34:35], s[12:13]
	s_branch .LBB421_194
.LBB421_197:
	v_mov_b64_e32 v[54:55], 0
	s_branch .LBB421_200
.LBB421_198:
	s_or_b64 exec, exec, s[28:29]
	v_cmp_gt_i64_e32 vcc, s[12:13], v[30:31]
	s_mov_b32 s26, 0
	v_mov_b32_e32 v55, s26
	v_cndmask_b32_e64 v54, 0, 1, vcc
.LBB421_199:
	s_or_b64 exec, exec, s[24:25]
.LBB421_200:
	s_or_b64 exec, exec, s[22:23]
	v_add_u32_e32 v26, 8, v1
	v_cmp_gt_u32_e32 vcc, s7, v26
	v_mov_b64_e32 v[56:57], v[18:19]
	s_and_saveexec_b64 s[22:23], vcc
	s_cbranch_execz .LBB421_211
; %bb.201:
	s_and_b64 vcc, exec, s[2:3]
	s_cbranch_vccnz .LBB421_208
; %bb.202:
	v_mul_lo_u32 v28, v19, s12
	v_mul_lo_u32 v29, v18, s13
	v_mad_u64_u32 v[26:27], s[24:25], v18, s12, 0
	v_add3_u32 v27, v27, v29, v28
	v_mul_lo_u32 v28, v17, s12
	v_mul_lo_u32 v29, v16, s13
	v_mad_u64_u32 v[30:31], s[24:25], v16, s12, 0
	v_add3_u32 v31, v31, v29, v28
	v_lshl_add_u64 v[28:29], v[26:27], 2, s[14:15]
	v_lshl_add_u64 v[26:27], v[30:31], 2, s[14:15]
	global_load_dword v30, v[28:29], off
	global_load_dword v31, v[26:27], off
	v_mov_b64_e32 v[56:57], 1
	s_waitcnt vmcnt(0)
	v_cmp_eq_u32_e32 vcc, v30, v31
	s_and_saveexec_b64 s[24:25], vcc
	s_cbranch_execz .LBB421_210
; %bb.203:
	s_add_u32 s26, s12, -1
	v_lshl_add_u64 v[26:27], v[26:27], 0, 4
	v_lshl_add_u64 v[28:29], v[28:29], 0, 4
	s_addc_u32 s27, s13, -1
	s_mov_b64 s[28:29], 0
	s_mov_b64 s[34:35], 0
                                        ; implicit-def: $sgpr30_sgpr31
	s_branch .LBB421_206
.LBB421_204:                            ;   in Loop: Header=BB421_206 Depth=1
	global_load_dword v30, v[28:29], off
	global_load_dword v31, v[26:27], off
	s_add_u32 s34, s34, 1
	s_addc_u32 s35, s35, 0
	s_andn2_b64 s[30:31], s[30:31], exec
	v_lshl_add_u64 v[26:27], v[26:27], 0, 4
	v_lshl_add_u64 v[28:29], v[28:29], 0, 4
	s_waitcnt vmcnt(0)
	v_cmp_ne_u32_e32 vcc, v30, v31
	s_and_b64 s[36:37], vcc, exec
	s_or_b64 s[30:31], s[30:31], s[36:37]
.LBB421_205:                            ;   in Loop: Header=BB421_206 Depth=1
	s_and_b64 s[36:37], exec, s[30:31]
	s_or_b64 s[28:29], s[36:37], s[28:29]
	v_mov_b64_e32 v[30:31], s[34:35]
	s_andn2_b64 exec, exec, s[28:29]
	s_cbranch_execz .LBB421_209
.LBB421_206:                            ; =>This Inner Loop Header: Depth=1
	s_or_b64 s[30:31], s[30:31], exec
	s_cmp_eq_u64 s[26:27], s[34:35]
	s_cbranch_scc0 .LBB421_204
; %bb.207:                              ;   in Loop: Header=BB421_206 Depth=1
                                        ; implicit-def: $vgpr26_vgpr27
                                        ; implicit-def: $vgpr28_vgpr29
	s_mov_b64 s[34:35], s[12:13]
	s_branch .LBB421_205
.LBB421_208:
	v_mov_b64_e32 v[56:57], 0
	s_branch .LBB421_211
.LBB421_209:
	s_or_b64 exec, exec, s[28:29]
	v_cmp_gt_i64_e32 vcc, s[12:13], v[30:31]
	s_mov_b32 s26, 0
	v_mov_b32_e32 v57, s26
	v_cndmask_b32_e64 v56, 0, 1, vcc
.LBB421_210:
	s_or_b64 exec, exec, s[24:25]
.LBB421_211:
	s_or_b64 exec, exec, s[22:23]
	v_add_u32_e32 v26, 7, v1
	v_cmp_gt_u32_e32 vcc, s7, v26
	v_mov_b64_e32 v[58:59], v[16:17]
	s_and_saveexec_b64 s[22:23], vcc
	s_cbranch_execz .LBB421_222
; %bb.212:
	s_and_b64 vcc, exec, s[2:3]
	s_cbranch_vccnz .LBB421_219
; %bb.213:
	v_mul_lo_u32 v28, v17, s12
	v_mul_lo_u32 v29, v16, s13
	v_mad_u64_u32 v[26:27], s[24:25], v16, s12, 0
	v_add3_u32 v27, v27, v29, v28
	v_mul_lo_u32 v28, v15, s12
	v_mul_lo_u32 v29, v14, s13
	v_mad_u64_u32 v[30:31], s[24:25], v14, s12, 0
	v_add3_u32 v31, v31, v29, v28
	v_lshl_add_u64 v[28:29], v[26:27], 2, s[14:15]
	v_lshl_add_u64 v[26:27], v[30:31], 2, s[14:15]
	global_load_dword v30, v[28:29], off
	global_load_dword v31, v[26:27], off
	v_mov_b64_e32 v[58:59], 1
	s_waitcnt vmcnt(0)
	v_cmp_eq_u32_e32 vcc, v30, v31
	s_and_saveexec_b64 s[24:25], vcc
	s_cbranch_execz .LBB421_221
; %bb.214:
	s_add_u32 s26, s12, -1
	v_lshl_add_u64 v[26:27], v[26:27], 0, 4
	v_lshl_add_u64 v[28:29], v[28:29], 0, 4
	s_addc_u32 s27, s13, -1
	s_mov_b64 s[28:29], 0
	s_mov_b64 s[34:35], 0
                                        ; implicit-def: $sgpr30_sgpr31
	s_branch .LBB421_217
.LBB421_215:                            ;   in Loop: Header=BB421_217 Depth=1
	global_load_dword v30, v[28:29], off
	global_load_dword v31, v[26:27], off
	s_add_u32 s34, s34, 1
	s_addc_u32 s35, s35, 0
	s_andn2_b64 s[30:31], s[30:31], exec
	v_lshl_add_u64 v[26:27], v[26:27], 0, 4
	v_lshl_add_u64 v[28:29], v[28:29], 0, 4
	s_waitcnt vmcnt(0)
	v_cmp_ne_u32_e32 vcc, v30, v31
	s_and_b64 s[36:37], vcc, exec
	s_or_b64 s[30:31], s[30:31], s[36:37]
.LBB421_216:                            ;   in Loop: Header=BB421_217 Depth=1
	s_and_b64 s[36:37], exec, s[30:31]
	s_or_b64 s[28:29], s[36:37], s[28:29]
	v_mov_b64_e32 v[30:31], s[34:35]
	s_andn2_b64 exec, exec, s[28:29]
	s_cbranch_execz .LBB421_220
.LBB421_217:                            ; =>This Inner Loop Header: Depth=1
	s_or_b64 s[30:31], s[30:31], exec
	s_cmp_eq_u64 s[26:27], s[34:35]
	s_cbranch_scc0 .LBB421_215
; %bb.218:                              ;   in Loop: Header=BB421_217 Depth=1
                                        ; implicit-def: $vgpr26_vgpr27
                                        ; implicit-def: $vgpr28_vgpr29
	s_mov_b64 s[34:35], s[12:13]
	s_branch .LBB421_216
.LBB421_219:
	v_mov_b64_e32 v[58:59], 0
	s_branch .LBB421_222
.LBB421_220:
	s_or_b64 exec, exec, s[28:29]
	v_cmp_gt_i64_e32 vcc, s[12:13], v[30:31]
	s_mov_b32 s26, 0
	v_mov_b32_e32 v59, s26
	v_cndmask_b32_e64 v58, 0, 1, vcc
.LBB421_221:
	s_or_b64 exec, exec, s[24:25]
.LBB421_222:
	s_or_b64 exec, exec, s[22:23]
	v_add_u32_e32 v26, 6, v1
	v_cmp_gt_u32_e32 vcc, s7, v26
	v_mov_b64_e32 v[60:61], v[14:15]
	s_and_saveexec_b64 s[22:23], vcc
	s_cbranch_execz .LBB421_233
; %bb.223:
	s_and_b64 vcc, exec, s[2:3]
	s_cbranch_vccnz .LBB421_230
; %bb.224:
	v_mul_lo_u32 v28, v15, s12
	v_mul_lo_u32 v29, v14, s13
	v_mad_u64_u32 v[26:27], s[24:25], v14, s12, 0
	v_add3_u32 v27, v27, v29, v28
	v_mul_lo_u32 v28, v13, s12
	v_mul_lo_u32 v29, v12, s13
	v_mad_u64_u32 v[30:31], s[24:25], v12, s12, 0
	v_add3_u32 v31, v31, v29, v28
	v_lshl_add_u64 v[28:29], v[26:27], 2, s[14:15]
	v_lshl_add_u64 v[26:27], v[30:31], 2, s[14:15]
	global_load_dword v30, v[28:29], off
	global_load_dword v31, v[26:27], off
	v_mov_b64_e32 v[60:61], 1
	s_waitcnt vmcnt(0)
	v_cmp_eq_u32_e32 vcc, v30, v31
	s_and_saveexec_b64 s[24:25], vcc
	s_cbranch_execz .LBB421_232
; %bb.225:
	s_add_u32 s26, s12, -1
	v_lshl_add_u64 v[26:27], v[26:27], 0, 4
	v_lshl_add_u64 v[28:29], v[28:29], 0, 4
	s_addc_u32 s27, s13, -1
	s_mov_b64 s[28:29], 0
	s_mov_b64 s[34:35], 0
                                        ; implicit-def: $sgpr30_sgpr31
	s_branch .LBB421_228
.LBB421_226:                            ;   in Loop: Header=BB421_228 Depth=1
	global_load_dword v30, v[28:29], off
	global_load_dword v31, v[26:27], off
	s_add_u32 s34, s34, 1
	s_addc_u32 s35, s35, 0
	s_andn2_b64 s[30:31], s[30:31], exec
	v_lshl_add_u64 v[26:27], v[26:27], 0, 4
	v_lshl_add_u64 v[28:29], v[28:29], 0, 4
	s_waitcnt vmcnt(0)
	v_cmp_ne_u32_e32 vcc, v30, v31
	s_and_b64 s[36:37], vcc, exec
	s_or_b64 s[30:31], s[30:31], s[36:37]
.LBB421_227:                            ;   in Loop: Header=BB421_228 Depth=1
	s_and_b64 s[36:37], exec, s[30:31]
	s_or_b64 s[28:29], s[36:37], s[28:29]
	v_mov_b64_e32 v[30:31], s[34:35]
	s_andn2_b64 exec, exec, s[28:29]
	s_cbranch_execz .LBB421_231
.LBB421_228:                            ; =>This Inner Loop Header: Depth=1
	s_or_b64 s[30:31], s[30:31], exec
	s_cmp_eq_u64 s[26:27], s[34:35]
	s_cbranch_scc0 .LBB421_226
; %bb.229:                              ;   in Loop: Header=BB421_228 Depth=1
                                        ; implicit-def: $vgpr26_vgpr27
                                        ; implicit-def: $vgpr28_vgpr29
	s_mov_b64 s[34:35], s[12:13]
	s_branch .LBB421_227
.LBB421_230:
	v_mov_b64_e32 v[60:61], 0
	s_branch .LBB421_233
.LBB421_231:
	s_or_b64 exec, exec, s[28:29]
	v_cmp_gt_i64_e32 vcc, s[12:13], v[30:31]
	s_mov_b32 s26, 0
	v_mov_b32_e32 v61, s26
	v_cndmask_b32_e64 v60, 0, 1, vcc
.LBB421_232:
	s_or_b64 exec, exec, s[24:25]
.LBB421_233:
	s_or_b64 exec, exec, s[22:23]
	v_add_u32_e32 v26, 5, v1
	v_cmp_gt_u32_e32 vcc, s7, v26
	v_mov_b64_e32 v[62:63], v[12:13]
	s_and_saveexec_b64 s[22:23], vcc
	s_cbranch_execz .LBB421_244
; %bb.234:
	s_and_b64 vcc, exec, s[2:3]
	s_cbranch_vccnz .LBB421_241
; %bb.235:
	v_mul_lo_u32 v28, v13, s12
	v_mul_lo_u32 v29, v12, s13
	v_mad_u64_u32 v[26:27], s[24:25], v12, s12, 0
	v_add3_u32 v27, v27, v29, v28
	v_mul_lo_u32 v28, v11, s12
	v_mul_lo_u32 v29, v10, s13
	v_mad_u64_u32 v[30:31], s[24:25], v10, s12, 0
	v_add3_u32 v31, v31, v29, v28
	v_lshl_add_u64 v[28:29], v[26:27], 2, s[14:15]
	v_lshl_add_u64 v[26:27], v[30:31], 2, s[14:15]
	global_load_dword v30, v[28:29], off
	global_load_dword v31, v[26:27], off
	v_mov_b64_e32 v[62:63], 1
	s_waitcnt vmcnt(0)
	v_cmp_eq_u32_e32 vcc, v30, v31
	s_and_saveexec_b64 s[24:25], vcc
	s_cbranch_execz .LBB421_243
; %bb.236:
	s_add_u32 s26, s12, -1
	v_lshl_add_u64 v[26:27], v[26:27], 0, 4
	v_lshl_add_u64 v[28:29], v[28:29], 0, 4
	s_addc_u32 s27, s13, -1
	s_mov_b64 s[28:29], 0
	s_mov_b64 s[34:35], 0
                                        ; implicit-def: $sgpr30_sgpr31
	s_branch .LBB421_239
.LBB421_237:                            ;   in Loop: Header=BB421_239 Depth=1
	global_load_dword v30, v[28:29], off
	global_load_dword v31, v[26:27], off
	s_add_u32 s34, s34, 1
	s_addc_u32 s35, s35, 0
	s_andn2_b64 s[30:31], s[30:31], exec
	v_lshl_add_u64 v[26:27], v[26:27], 0, 4
	v_lshl_add_u64 v[28:29], v[28:29], 0, 4
	s_waitcnt vmcnt(0)
	v_cmp_ne_u32_e32 vcc, v30, v31
	s_and_b64 s[36:37], vcc, exec
	s_or_b64 s[30:31], s[30:31], s[36:37]
.LBB421_238:                            ;   in Loop: Header=BB421_239 Depth=1
	s_and_b64 s[36:37], exec, s[30:31]
	s_or_b64 s[28:29], s[36:37], s[28:29]
	v_mov_b64_e32 v[30:31], s[34:35]
	s_andn2_b64 exec, exec, s[28:29]
	s_cbranch_execz .LBB421_242
.LBB421_239:                            ; =>This Inner Loop Header: Depth=1
	s_or_b64 s[30:31], s[30:31], exec
	s_cmp_eq_u64 s[26:27], s[34:35]
	s_cbranch_scc0 .LBB421_237
; %bb.240:                              ;   in Loop: Header=BB421_239 Depth=1
                                        ; implicit-def: $vgpr26_vgpr27
                                        ; implicit-def: $vgpr28_vgpr29
	s_mov_b64 s[34:35], s[12:13]
	s_branch .LBB421_238
.LBB421_241:
	v_mov_b64_e32 v[62:63], 0
	s_branch .LBB421_244
.LBB421_242:
	s_or_b64 exec, exec, s[28:29]
	v_cmp_gt_i64_e32 vcc, s[12:13], v[30:31]
	s_mov_b32 s26, 0
	v_mov_b32_e32 v63, s26
	v_cndmask_b32_e64 v62, 0, 1, vcc
.LBB421_243:
	s_or_b64 exec, exec, s[24:25]
.LBB421_244:
	s_or_b64 exec, exec, s[22:23]
	v_add_u32_e32 v26, 4, v1
	v_cmp_gt_u32_e32 vcc, s7, v26
	v_mov_b64_e32 v[64:65], v[10:11]
	s_and_saveexec_b64 s[22:23], vcc
	s_cbranch_execz .LBB421_255
; %bb.245:
	s_and_b64 vcc, exec, s[2:3]
	s_cbranch_vccnz .LBB421_252
; %bb.246:
	v_mul_lo_u32 v28, v11, s12
	v_mul_lo_u32 v29, v10, s13
	v_mad_u64_u32 v[26:27], s[24:25], v10, s12, 0
	v_add3_u32 v27, v27, v29, v28
	v_mul_lo_u32 v28, v9, s12
	v_mul_lo_u32 v29, v8, s13
	v_mad_u64_u32 v[30:31], s[24:25], v8, s12, 0
	v_add3_u32 v31, v31, v29, v28
	v_lshl_add_u64 v[28:29], v[26:27], 2, s[14:15]
	v_lshl_add_u64 v[26:27], v[30:31], 2, s[14:15]
	global_load_dword v30, v[28:29], off
	global_load_dword v31, v[26:27], off
	v_mov_b64_e32 v[64:65], 1
	s_waitcnt vmcnt(0)
	v_cmp_eq_u32_e32 vcc, v30, v31
	s_and_saveexec_b64 s[24:25], vcc
	s_cbranch_execz .LBB421_254
; %bb.247:
	s_add_u32 s26, s12, -1
	v_lshl_add_u64 v[26:27], v[26:27], 0, 4
	v_lshl_add_u64 v[28:29], v[28:29], 0, 4
	s_addc_u32 s27, s13, -1
	s_mov_b64 s[28:29], 0
	s_mov_b64 s[34:35], 0
                                        ; implicit-def: $sgpr30_sgpr31
	s_branch .LBB421_250
.LBB421_248:                            ;   in Loop: Header=BB421_250 Depth=1
	global_load_dword v30, v[28:29], off
	global_load_dword v31, v[26:27], off
	s_add_u32 s34, s34, 1
	s_addc_u32 s35, s35, 0
	s_andn2_b64 s[30:31], s[30:31], exec
	v_lshl_add_u64 v[26:27], v[26:27], 0, 4
	v_lshl_add_u64 v[28:29], v[28:29], 0, 4
	s_waitcnt vmcnt(0)
	v_cmp_ne_u32_e32 vcc, v30, v31
	s_and_b64 s[36:37], vcc, exec
	s_or_b64 s[30:31], s[30:31], s[36:37]
.LBB421_249:                            ;   in Loop: Header=BB421_250 Depth=1
	s_and_b64 s[36:37], exec, s[30:31]
	s_or_b64 s[28:29], s[36:37], s[28:29]
	v_mov_b64_e32 v[30:31], s[34:35]
	s_andn2_b64 exec, exec, s[28:29]
	s_cbranch_execz .LBB421_253
.LBB421_250:                            ; =>This Inner Loop Header: Depth=1
	s_or_b64 s[30:31], s[30:31], exec
	s_cmp_eq_u64 s[26:27], s[34:35]
	s_cbranch_scc0 .LBB421_248
; %bb.251:                              ;   in Loop: Header=BB421_250 Depth=1
                                        ; implicit-def: $vgpr26_vgpr27
                                        ; implicit-def: $vgpr28_vgpr29
	s_mov_b64 s[34:35], s[12:13]
	s_branch .LBB421_249
.LBB421_252:
	v_mov_b64_e32 v[64:65], 0
	s_branch .LBB421_255
.LBB421_253:
	s_or_b64 exec, exec, s[28:29]
	v_cmp_gt_i64_e32 vcc, s[12:13], v[30:31]
	s_mov_b32 s26, 0
	v_mov_b32_e32 v65, s26
	v_cndmask_b32_e64 v64, 0, 1, vcc
.LBB421_254:
	s_or_b64 exec, exec, s[24:25]
.LBB421_255:
	s_or_b64 exec, exec, s[22:23]
	v_add_u32_e32 v26, 3, v1
	v_cmp_gt_u32_e32 vcc, s7, v26
	v_mov_b64_e32 v[66:67], v[8:9]
	s_and_saveexec_b64 s[22:23], vcc
	s_cbranch_execz .LBB421_266
; %bb.256:
	s_and_b64 vcc, exec, s[2:3]
	s_cbranch_vccnz .LBB421_263
; %bb.257:
	v_mul_lo_u32 v28, v9, s12
	v_mul_lo_u32 v29, v8, s13
	v_mad_u64_u32 v[26:27], s[24:25], v8, s12, 0
	v_add3_u32 v27, v27, v29, v28
	v_mul_lo_u32 v28, v7, s12
	v_mul_lo_u32 v29, v6, s13
	v_mad_u64_u32 v[30:31], s[24:25], v6, s12, 0
	v_add3_u32 v31, v31, v29, v28
	v_lshl_add_u64 v[28:29], v[26:27], 2, s[14:15]
	v_lshl_add_u64 v[26:27], v[30:31], 2, s[14:15]
	global_load_dword v30, v[28:29], off
	global_load_dword v31, v[26:27], off
	v_mov_b64_e32 v[66:67], 1
	s_waitcnt vmcnt(0)
	v_cmp_eq_u32_e32 vcc, v30, v31
	s_and_saveexec_b64 s[24:25], vcc
	s_cbranch_execz .LBB421_265
; %bb.258:
	s_add_u32 s26, s12, -1
	v_lshl_add_u64 v[26:27], v[26:27], 0, 4
	v_lshl_add_u64 v[28:29], v[28:29], 0, 4
	s_addc_u32 s27, s13, -1
	s_mov_b64 s[28:29], 0
	s_mov_b64 s[34:35], 0
                                        ; implicit-def: $sgpr30_sgpr31
	s_branch .LBB421_261
.LBB421_259:                            ;   in Loop: Header=BB421_261 Depth=1
	global_load_dword v30, v[28:29], off
	global_load_dword v31, v[26:27], off
	s_add_u32 s34, s34, 1
	s_addc_u32 s35, s35, 0
	s_andn2_b64 s[30:31], s[30:31], exec
	v_lshl_add_u64 v[26:27], v[26:27], 0, 4
	v_lshl_add_u64 v[28:29], v[28:29], 0, 4
	s_waitcnt vmcnt(0)
	v_cmp_ne_u32_e32 vcc, v30, v31
	s_and_b64 s[36:37], vcc, exec
	s_or_b64 s[30:31], s[30:31], s[36:37]
.LBB421_260:                            ;   in Loop: Header=BB421_261 Depth=1
	s_and_b64 s[36:37], exec, s[30:31]
	s_or_b64 s[28:29], s[36:37], s[28:29]
	v_mov_b64_e32 v[30:31], s[34:35]
	s_andn2_b64 exec, exec, s[28:29]
	s_cbranch_execz .LBB421_264
.LBB421_261:                            ; =>This Inner Loop Header: Depth=1
	s_or_b64 s[30:31], s[30:31], exec
	s_cmp_eq_u64 s[26:27], s[34:35]
	s_cbranch_scc0 .LBB421_259
; %bb.262:                              ;   in Loop: Header=BB421_261 Depth=1
                                        ; implicit-def: $vgpr26_vgpr27
                                        ; implicit-def: $vgpr28_vgpr29
	s_mov_b64 s[34:35], s[12:13]
	s_branch .LBB421_260
.LBB421_263:
	v_mov_b64_e32 v[66:67], 0
	s_branch .LBB421_266
.LBB421_264:
	s_or_b64 exec, exec, s[28:29]
	v_cmp_gt_i64_e32 vcc, s[12:13], v[30:31]
	s_mov_b32 s26, 0
	v_mov_b32_e32 v67, s26
	v_cndmask_b32_e64 v66, 0, 1, vcc
.LBB421_265:
	s_or_b64 exec, exec, s[24:25]
.LBB421_266:
	s_or_b64 exec, exec, s[22:23]
	v_add_u32_e32 v26, 2, v1
	v_cmp_gt_u32_e32 vcc, s7, v26
	v_mov_b64_e32 v[68:69], v[6:7]
	s_and_saveexec_b64 s[22:23], vcc
	s_cbranch_execz .LBB421_277
; %bb.267:
	s_and_b64 vcc, exec, s[2:3]
	s_cbranch_vccnz .LBB421_274
; %bb.268:
	v_mul_lo_u32 v28, v7, s12
	v_mul_lo_u32 v29, v6, s13
	v_mad_u64_u32 v[26:27], s[24:25], v6, s12, 0
	v_add3_u32 v27, v27, v29, v28
	v_mul_lo_u32 v28, v5, s12
	v_mul_lo_u32 v29, v4, s13
	v_mad_u64_u32 v[30:31], s[24:25], v4, s12, 0
	v_add3_u32 v31, v31, v29, v28
	v_lshl_add_u64 v[28:29], v[26:27], 2, s[14:15]
	v_lshl_add_u64 v[26:27], v[30:31], 2, s[14:15]
	global_load_dword v30, v[28:29], off
	global_load_dword v31, v[26:27], off
	v_mov_b64_e32 v[68:69], 1
	s_waitcnt vmcnt(0)
	v_cmp_eq_u32_e32 vcc, v30, v31
	s_and_saveexec_b64 s[24:25], vcc
	s_cbranch_execz .LBB421_276
; %bb.269:
	s_add_u32 s26, s12, -1
	v_lshl_add_u64 v[26:27], v[26:27], 0, 4
	v_lshl_add_u64 v[28:29], v[28:29], 0, 4
	s_addc_u32 s27, s13, -1
	s_mov_b64 s[28:29], 0
	s_mov_b64 s[34:35], 0
                                        ; implicit-def: $sgpr30_sgpr31
	s_branch .LBB421_272
.LBB421_270:                            ;   in Loop: Header=BB421_272 Depth=1
	global_load_dword v30, v[28:29], off
	global_load_dword v31, v[26:27], off
	s_add_u32 s34, s34, 1
	s_addc_u32 s35, s35, 0
	s_andn2_b64 s[30:31], s[30:31], exec
	v_lshl_add_u64 v[26:27], v[26:27], 0, 4
	v_lshl_add_u64 v[28:29], v[28:29], 0, 4
	s_waitcnt vmcnt(0)
	v_cmp_ne_u32_e32 vcc, v30, v31
	s_and_b64 s[36:37], vcc, exec
	s_or_b64 s[30:31], s[30:31], s[36:37]
.LBB421_271:                            ;   in Loop: Header=BB421_272 Depth=1
	s_and_b64 s[36:37], exec, s[30:31]
	s_or_b64 s[28:29], s[36:37], s[28:29]
	v_mov_b64_e32 v[30:31], s[34:35]
	s_andn2_b64 exec, exec, s[28:29]
	s_cbranch_execz .LBB421_275
.LBB421_272:                            ; =>This Inner Loop Header: Depth=1
	s_or_b64 s[30:31], s[30:31], exec
	s_cmp_eq_u64 s[26:27], s[34:35]
	s_cbranch_scc0 .LBB421_270
; %bb.273:                              ;   in Loop: Header=BB421_272 Depth=1
                                        ; implicit-def: $vgpr26_vgpr27
                                        ; implicit-def: $vgpr28_vgpr29
	s_mov_b64 s[34:35], s[12:13]
	s_branch .LBB421_271
.LBB421_274:
	v_mov_b64_e32 v[68:69], 0
	s_branch .LBB421_277
.LBB421_275:
	s_or_b64 exec, exec, s[28:29]
	v_cmp_gt_i64_e32 vcc, s[12:13], v[30:31]
	s_mov_b32 s26, 0
	v_mov_b32_e32 v69, s26
	v_cndmask_b32_e64 v68, 0, 1, vcc
.LBB421_276:
	s_or_b64 exec, exec, s[24:25]
.LBB421_277:
	s_or_b64 exec, exec, s[22:23]
	v_add_u32_e32 v26, 1, v1
	v_cmp_gt_u32_e32 vcc, s7, v26
	v_mov_b64_e32 v[70:71], v[4:5]
	s_and_saveexec_b64 s[22:23], vcc
	s_cbranch_execz .LBB421_288
; %bb.278:
	s_and_b64 vcc, exec, s[2:3]
	s_cbranch_vccnz .LBB421_285
; %bb.279:
	v_mul_lo_u32 v28, v5, s12
	v_mul_lo_u32 v29, v4, s13
	v_mad_u64_u32 v[26:27], s[24:25], v4, s12, 0
	v_add3_u32 v27, v27, v29, v28
	v_mul_lo_u32 v28, v3, s12
	v_mul_lo_u32 v29, v2, s13
	v_mad_u64_u32 v[30:31], s[24:25], v2, s12, 0
	v_add3_u32 v31, v31, v29, v28
	v_lshl_add_u64 v[28:29], v[26:27], 2, s[14:15]
	v_lshl_add_u64 v[26:27], v[30:31], 2, s[14:15]
	global_load_dword v30, v[28:29], off
	global_load_dword v31, v[26:27], off
	v_mov_b64_e32 v[70:71], 1
	s_waitcnt vmcnt(0)
	v_cmp_eq_u32_e32 vcc, v30, v31
	s_and_saveexec_b64 s[24:25], vcc
	s_cbranch_execz .LBB421_287
; %bb.280:
	s_add_u32 s26, s12, -1
	v_lshl_add_u64 v[26:27], v[26:27], 0, 4
	v_lshl_add_u64 v[28:29], v[28:29], 0, 4
	s_addc_u32 s27, s13, -1
	s_mov_b64 s[28:29], 0
	s_mov_b64 s[34:35], 0
                                        ; implicit-def: $sgpr30_sgpr31
	s_branch .LBB421_283
.LBB421_281:                            ;   in Loop: Header=BB421_283 Depth=1
	global_load_dword v30, v[28:29], off
	global_load_dword v31, v[26:27], off
	s_add_u32 s34, s34, 1
	s_addc_u32 s35, s35, 0
	s_andn2_b64 s[30:31], s[30:31], exec
	v_lshl_add_u64 v[26:27], v[26:27], 0, 4
	v_lshl_add_u64 v[28:29], v[28:29], 0, 4
	s_waitcnt vmcnt(0)
	v_cmp_ne_u32_e32 vcc, v30, v31
	s_and_b64 s[36:37], vcc, exec
	s_or_b64 s[30:31], s[30:31], s[36:37]
.LBB421_282:                            ;   in Loop: Header=BB421_283 Depth=1
	s_and_b64 s[36:37], exec, s[30:31]
	s_or_b64 s[28:29], s[36:37], s[28:29]
	v_mov_b64_e32 v[30:31], s[34:35]
	s_andn2_b64 exec, exec, s[28:29]
	s_cbranch_execz .LBB421_286
.LBB421_283:                            ; =>This Inner Loop Header: Depth=1
	s_or_b64 s[30:31], s[30:31], exec
	s_cmp_eq_u64 s[26:27], s[34:35]
	s_cbranch_scc0 .LBB421_281
; %bb.284:                              ;   in Loop: Header=BB421_283 Depth=1
                                        ; implicit-def: $vgpr26_vgpr27
                                        ; implicit-def: $vgpr28_vgpr29
	s_mov_b64 s[34:35], s[12:13]
	s_branch .LBB421_282
.LBB421_285:
	v_mov_b64_e32 v[70:71], 0
	s_branch .LBB421_288
.LBB421_286:
	s_or_b64 exec, exec, s[28:29]
	v_cmp_gt_i64_e32 vcc, s[12:13], v[30:31]
	s_mov_b32 s26, 0
	v_mov_b32_e32 v71, s26
	v_cndmask_b32_e64 v70, 0, 1, vcc
.LBB421_287:
	s_or_b64 exec, exec, s[24:25]
.LBB421_288:
	s_or_b64 exec, exec, s[22:23]
	v_cmp_ne_u32_e32 vcc, 0, v0
	v_mov_b64_e32 v[26:27], s[20:21]
	s_waitcnt lgkmcnt(0)
	; wave barrier
	s_waitcnt lgkmcnt(0)
	s_and_saveexec_b64 s[20:21], vcc
	s_cbranch_execz .LBB421_290
; %bb.289:
	v_add_u32_e32 v26, -8, v48
	ds_read_b64 v[26:27], v26
.LBB421_290:
	s_or_b64 exec, exec, s[20:21]
	v_cmp_gt_u32_e32 vcc, s7, v1
                                        ; implicit-def: $sgpr24_sgpr25
	s_and_saveexec_b64 s[20:21], vcc
	s_cbranch_execz .LBB421_302
; %bb.291:
	s_and_b64 vcc, exec, s[2:3]
	s_cbranch_vccnz .LBB421_298
; %bb.292:
	v_mul_lo_u32 v1, v3, s12
	v_mul_lo_u32 v30, v2, s13
	v_mad_u64_u32 v[28:29], s[2:3], v2, s12, 0
	v_add3_u32 v29, v29, v30, v1
	s_waitcnt lgkmcnt(0)
	v_mul_lo_u32 v1, v27, s12
	v_mul_lo_u32 v30, v26, s13
	v_mad_u64_u32 v[26:27], s[2:3], v26, s12, 0
	v_add3_u32 v27, v27, v30, v1
	v_lshl_add_u64 v[28:29], v[28:29], 2, s[14:15]
	v_lshl_add_u64 v[26:27], v[26:27], 2, s[14:15]
	global_load_dword v1, v[28:29], off
	global_load_dword v30, v[26:27], off
	s_mov_b64 s[22:23], -1
	s_waitcnt vmcnt(0)
	v_cmp_eq_u32_e32 vcc, v1, v30
	s_and_saveexec_b64 s[2:3], vcc
	s_cbranch_execz .LBB421_300
; %bb.293:
	s_add_u32 s22, s12, -1
	v_lshl_add_u64 v[26:27], v[26:27], 0, 4
	v_lshl_add_u64 v[28:29], v[28:29], 0, 4
	s_addc_u32 s23, s13, -1
	s_mov_b64 s[24:25], 0
	s_mov_b64 s[28:29], 0
                                        ; implicit-def: $sgpr26_sgpr27
	s_branch .LBB421_296
.LBB421_294:                            ;   in Loop: Header=BB421_296 Depth=1
	global_load_dword v1, v[28:29], off
	global_load_dword v30, v[26:27], off
	s_add_u32 s28, s28, 1
	s_addc_u32 s29, s29, 0
	s_andn2_b64 s[26:27], s[26:27], exec
	v_lshl_add_u64 v[26:27], v[26:27], 0, 4
	v_lshl_add_u64 v[28:29], v[28:29], 0, 4
	s_waitcnt vmcnt(0)
	v_cmp_ne_u32_e32 vcc, v1, v30
	s_and_b64 s[30:31], vcc, exec
	s_or_b64 s[26:27], s[26:27], s[30:31]
.LBB421_295:                            ;   in Loop: Header=BB421_296 Depth=1
	s_and_b64 s[30:31], exec, s[26:27]
	s_or_b64 s[24:25], s[30:31], s[24:25]
	v_mov_b64_e32 v[30:31], s[28:29]
	s_andn2_b64 exec, exec, s[24:25]
	s_cbranch_execz .LBB421_299
.LBB421_296:                            ; =>This Inner Loop Header: Depth=1
	s_or_b64 s[26:27], s[26:27], exec
	s_cmp_eq_u64 s[22:23], s[28:29]
	s_cbranch_scc0 .LBB421_294
; %bb.297:                              ;   in Loop: Header=BB421_296 Depth=1
                                        ; implicit-def: $vgpr26_vgpr27
                                        ; implicit-def: $vgpr28_vgpr29
	s_mov_b64 s[28:29], s[12:13]
	s_branch .LBB421_295
.LBB421_298:
	s_mov_b64 s[22:23], 0
	s_branch .LBB421_301
.LBB421_299:
	s_or_b64 exec, exec, s[24:25]
	v_cmp_gt_i64_e32 vcc, s[12:13], v[30:31]
	s_orn2_b64 s[22:23], vcc, exec
.LBB421_300:
	s_or_b64 exec, exec, s[2:3]
.LBB421_301:
	s_and_b64 s[24:25], s[22:23], exec
	s_or_b64 s[18:19], s[18:19], exec
.LBB421_302:
	s_or_b64 exec, exec, s[20:21]
	v_mov_b64_e32 v[72:73], v[52:53]
	s_waitcnt lgkmcnt(0)
	v_mov_b64_e32 v[26:27], v[46:47]
	v_mov_b64_e32 v[82:83], v[70:71]
	;; [unrolled: 1-line block ×10, first 2 shown]
	s_branch .LBB421_572
.LBB421_303:
	s_cmp_lg_u64 s[4:5], 1
	s_cbranch_scc0 .LBB421_311
; %bb.304:
	v_mul_lo_u32 v1, v25, s12
	v_mul_lo_u32 v28, v24, s13
	s_waitcnt lgkmcnt(0)
	v_mad_u64_u32 v[26:27], s[20:21], v24, s12, 0
	v_mov_b64_e32 v[46:47], 0
	v_cmp_lt_i64_e64 s[2:3], s[12:13], 1
	v_add3_u32 v27, v27, v28, v1
	v_cmp_gt_i64_e64 s[4:5], s[12:13], 0
	s_and_b64 vcc, exec, s[2:3]
	v_lshl_add_u64 v[26:27], v[26:27], 2, s[14:15]
	v_mov_b64_e32 v[50:51], v[46:47]
	ds_write_b64 v48, v[44:45]
	s_cbranch_vccnz .LBB421_314
; %bb.305:
	v_mul_lo_u32 v1, v45, s12
	v_mul_lo_u32 v30, v44, s13
	v_mad_u64_u32 v[28:29], s[2:3], v44, s12, 0
	v_add3_u32 v29, v29, v30, v1
	v_lshl_add_u64 v[30:31], v[28:29], 2, s[14:15]
	global_load_dword v1, v[30:31], off
	global_load_dword v28, v[26:27], off
	v_mov_b64_e32 v[50:51], 1
	s_waitcnt vmcnt(0)
	v_cmp_eq_u32_e32 vcc, v1, v28
	s_and_saveexec_b64 s[2:3], vcc
	s_cbranch_execz .LBB421_313
; %bb.306:
	s_add_u32 s20, s12, -1
	v_lshl_add_u64 v[28:29], v[26:27], 0, 4
	v_lshl_add_u64 v[30:31], v[30:31], 0, 4
	s_addc_u32 s21, s13, -1
	s_mov_b64 s[22:23], 0
	s_mov_b64 s[26:27], 0
                                        ; implicit-def: $sgpr24_sgpr25
	s_branch .LBB421_309
.LBB421_307:                            ;   in Loop: Header=BB421_309 Depth=1
	global_load_dword v1, v[30:31], off
	global_load_dword v32, v[28:29], off
	s_add_u32 s26, s26, 1
	s_addc_u32 s27, s27, 0
	s_andn2_b64 s[24:25], s[24:25], exec
	v_lshl_add_u64 v[28:29], v[28:29], 0, 4
	v_lshl_add_u64 v[30:31], v[30:31], 0, 4
	s_waitcnt vmcnt(0)
	v_cmp_ne_u32_e32 vcc, v1, v32
	s_and_b64 s[28:29], vcc, exec
	s_or_b64 s[24:25], s[24:25], s[28:29]
.LBB421_308:                            ;   in Loop: Header=BB421_309 Depth=1
	s_and_b64 s[28:29], exec, s[24:25]
	s_or_b64 s[22:23], s[28:29], s[22:23]
	v_mov_b64_e32 v[32:33], s[26:27]
	s_andn2_b64 exec, exec, s[22:23]
	s_cbranch_execz .LBB421_312
.LBB421_309:                            ; =>This Inner Loop Header: Depth=1
	s_or_b64 s[24:25], s[24:25], exec
	s_cmp_eq_u64 s[20:21], s[26:27]
	s_cbranch_scc0 .LBB421_307
; %bb.310:                              ;   in Loop: Header=BB421_309 Depth=1
                                        ; implicit-def: $vgpr28_vgpr29
                                        ; implicit-def: $vgpr30_vgpr31
	s_mov_b64 s[26:27], s[12:13]
	s_branch .LBB421_308
.LBB421_311:
                                        ; implicit-def: $vgpr26_vgpr27_vgpr28_vgpr29
                                        ; implicit-def: $sgpr24_sgpr25
                                        ; implicit-def: $vgpr50_vgpr51
                                        ; implicit-def: $vgpr52_vgpr53
                                        ; implicit-def: $vgpr46_vgpr47
                                        ; implicit-def: $vgpr70_vgpr71
                                        ; implicit-def: $vgpr68_vgpr69
                                        ; implicit-def: $vgpr66_vgpr67
                                        ; implicit-def: $vgpr64_vgpr65
                                        ; implicit-def: $vgpr62_vgpr63
                                        ; implicit-def: $vgpr60_vgpr61
                                        ; implicit-def: $vgpr58_vgpr59
                                        ; implicit-def: $vgpr56_vgpr57
                                        ; implicit-def: $vgpr54_vgpr55
                                        ; implicit-def: $vgpr72_vgpr73
                                        ; implicit-def: $vgpr82_vgpr83
                                        ; implicit-def: $vgpr74_vgpr75
                                        ; implicit-def: $vgpr76_vgpr77
                                        ; implicit-def: $vgpr78_vgpr79
                                        ; implicit-def: $vgpr80_vgpr81
                                        ; implicit-def: $vgpr28_vgpr29_vgpr30_vgpr31
                                        ; implicit-def: $vgpr32_vgpr33_vgpr34_vgpr35
                                        ; implicit-def: $vgpr36_vgpr37_vgpr38_vgpr39
                                        ; implicit-def: $vgpr40_vgpr41_vgpr42_vgpr43
	s_cbranch_execnz .LBB421_427
	s_branch .LBB421_572
.LBB421_312:
	s_or_b64 exec, exec, s[22:23]
	v_cmp_gt_i64_e32 vcc, s[12:13], v[32:33]
	s_mov_b32 s7, 0
	v_mov_b32_e32 v51, s7
	v_cndmask_b32_e64 v50, 0, 1, vcc
.LBB421_313:
	s_or_b64 exec, exec, s[2:3]
.LBB421_314:
	v_mul_lo_u32 v1, v23, s12
	v_mul_lo_u32 v30, v22, s13
	v_mad_u64_u32 v[28:29], s[2:3], v22, s12, 0
	v_add3_u32 v29, v29, v30, v1
	v_cndmask_b32_e64 v1, 0, 1, s[4:5]
	v_cmp_ne_u32_e64 s[2:3], 1, v1
	s_andn2_b64 vcc, exec, s[4:5]
	v_lshl_add_u64 v[28:29], v[28:29], 2, s[14:15]
	v_mov_b64_e32 v[52:53], v[46:47]
	s_cbranch_vccnz .LBB421_323
; %bb.315:
	global_load_dword v1, v[26:27], off
	global_load_dword v30, v[28:29], off
	v_mov_b64_e32 v[52:53], 1
	s_waitcnt vmcnt(0)
	v_cmp_eq_u32_e32 vcc, v1, v30
	s_and_saveexec_b64 s[4:5], vcc
	s_cbranch_execz .LBB421_322
; %bb.316:
	s_add_u32 s20, s12, -1
	v_lshl_add_u64 v[30:31], v[28:29], 0, 4
	v_lshl_add_u64 v[26:27], v[26:27], 0, 4
	s_addc_u32 s21, s13, -1
	s_mov_b64 s[22:23], 0
	s_mov_b64 s[26:27], 0
                                        ; implicit-def: $sgpr24_sgpr25
	s_branch .LBB421_319
.LBB421_317:                            ;   in Loop: Header=BB421_319 Depth=1
	global_load_dword v1, v[26:27], off
	global_load_dword v32, v[30:31], off
	s_add_u32 s26, s26, 1
	s_addc_u32 s27, s27, 0
	s_andn2_b64 s[24:25], s[24:25], exec
	v_lshl_add_u64 v[30:31], v[30:31], 0, 4
	v_lshl_add_u64 v[26:27], v[26:27], 0, 4
	s_waitcnt vmcnt(0)
	v_cmp_ne_u32_e32 vcc, v1, v32
	s_and_b64 s[28:29], vcc, exec
	s_or_b64 s[24:25], s[24:25], s[28:29]
.LBB421_318:                            ;   in Loop: Header=BB421_319 Depth=1
	s_and_b64 s[28:29], exec, s[24:25]
	s_or_b64 s[22:23], s[28:29], s[22:23]
	v_mov_b64_e32 v[32:33], s[26:27]
	s_andn2_b64 exec, exec, s[22:23]
	s_cbranch_execz .LBB421_321
.LBB421_319:                            ; =>This Inner Loop Header: Depth=1
	s_or_b64 s[24:25], s[24:25], exec
	s_cmp_eq_u64 s[20:21], s[26:27]
	s_cbranch_scc0 .LBB421_317
; %bb.320:                              ;   in Loop: Header=BB421_319 Depth=1
                                        ; implicit-def: $vgpr30_vgpr31
                                        ; implicit-def: $vgpr26_vgpr27
	s_mov_b64 s[26:27], s[12:13]
	s_branch .LBB421_318
.LBB421_321:
	s_or_b64 exec, exec, s[22:23]
	v_cmp_gt_i64_e32 vcc, s[12:13], v[32:33]
	s_mov_b32 s7, 0
	v_mov_b32_e32 v53, s7
	v_cndmask_b32_e64 v52, 0, 1, vcc
.LBB421_322:
	s_or_b64 exec, exec, s[4:5]
.LBB421_323:
	v_mul_lo_u32 v1, v21, s12
	v_mul_lo_u32 v30, v20, s13
	v_mad_u64_u32 v[26:27], s[4:5], v20, s12, 0
	v_add3_u32 v27, v27, v30, v1
	s_and_b64 vcc, exec, s[2:3]
	v_lshl_add_u64 v[26:27], v[26:27], 2, s[14:15]
	s_cbranch_vccnz .LBB421_332
; %bb.324:
	global_load_dword v1, v[28:29], off
	global_load_dword v30, v[26:27], off
	v_mov_b64_e32 v[46:47], 1
	s_waitcnt vmcnt(0)
	v_cmp_eq_u32_e32 vcc, v1, v30
	s_and_saveexec_b64 s[4:5], vcc
	s_cbranch_execz .LBB421_331
; %bb.325:
	s_add_u32 s20, s12, -1
	v_lshl_add_u64 v[30:31], v[26:27], 0, 4
	v_lshl_add_u64 v[28:29], v[28:29], 0, 4
	s_addc_u32 s21, s13, -1
	s_mov_b64 s[22:23], 0
	s_mov_b64 s[26:27], 0
                                        ; implicit-def: $sgpr24_sgpr25
	s_branch .LBB421_328
.LBB421_326:                            ;   in Loop: Header=BB421_328 Depth=1
	global_load_dword v1, v[28:29], off
	global_load_dword v32, v[30:31], off
	s_add_u32 s26, s26, 1
	s_addc_u32 s27, s27, 0
	s_andn2_b64 s[24:25], s[24:25], exec
	v_lshl_add_u64 v[30:31], v[30:31], 0, 4
	v_lshl_add_u64 v[28:29], v[28:29], 0, 4
	s_waitcnt vmcnt(0)
	v_cmp_ne_u32_e32 vcc, v1, v32
	s_and_b64 s[28:29], vcc, exec
	s_or_b64 s[24:25], s[24:25], s[28:29]
.LBB421_327:                            ;   in Loop: Header=BB421_328 Depth=1
	s_and_b64 s[28:29], exec, s[24:25]
	s_or_b64 s[22:23], s[28:29], s[22:23]
	v_mov_b64_e32 v[32:33], s[26:27]
	s_andn2_b64 exec, exec, s[22:23]
	s_cbranch_execz .LBB421_330
.LBB421_328:                            ; =>This Inner Loop Header: Depth=1
	s_or_b64 s[24:25], s[24:25], exec
	s_cmp_eq_u64 s[20:21], s[26:27]
	s_cbranch_scc0 .LBB421_326
; %bb.329:                              ;   in Loop: Header=BB421_328 Depth=1
                                        ; implicit-def: $vgpr30_vgpr31
                                        ; implicit-def: $vgpr28_vgpr29
	s_mov_b64 s[26:27], s[12:13]
	s_branch .LBB421_327
.LBB421_330:
	s_or_b64 exec, exec, s[22:23]
	v_cmp_gt_i64_e32 vcc, s[12:13], v[32:33]
	s_mov_b32 s7, 0
	v_mov_b32_e32 v47, s7
	v_cndmask_b32_e64 v46, 0, 1, vcc
.LBB421_331:
	s_or_b64 exec, exec, s[4:5]
.LBB421_332:
	v_mul_lo_u32 v1, v19, s12
	v_mul_lo_u32 v30, v18, s13
	v_mad_u64_u32 v[28:29], s[4:5], v18, s12, 0
	v_add3_u32 v29, v29, v30, v1
	v_mov_b64_e32 v[56:57], 0
	s_and_b64 vcc, exec, s[2:3]
	v_lshl_add_u64 v[28:29], v[28:29], 2, s[14:15]
	v_mov_b64_e32 v[54:55], v[56:57]
	s_cbranch_vccnz .LBB421_341
; %bb.333:
	global_load_dword v1, v[26:27], off
	global_load_dword v30, v[28:29], off
	v_mov_b64_e32 v[54:55], 1
	s_waitcnt vmcnt(0)
	v_cmp_eq_u32_e32 vcc, v1, v30
	s_and_saveexec_b64 s[4:5], vcc
	s_cbranch_execz .LBB421_340
; %bb.334:
	s_add_u32 s20, s12, -1
	v_lshl_add_u64 v[30:31], v[28:29], 0, 4
	v_lshl_add_u64 v[26:27], v[26:27], 0, 4
	s_addc_u32 s21, s13, -1
	s_mov_b64 s[22:23], 0
	s_mov_b64 s[26:27], 0
                                        ; implicit-def: $sgpr24_sgpr25
	s_branch .LBB421_337
.LBB421_335:                            ;   in Loop: Header=BB421_337 Depth=1
	global_load_dword v1, v[26:27], off
	global_load_dword v32, v[30:31], off
	s_add_u32 s26, s26, 1
	s_addc_u32 s27, s27, 0
	s_andn2_b64 s[24:25], s[24:25], exec
	v_lshl_add_u64 v[30:31], v[30:31], 0, 4
	v_lshl_add_u64 v[26:27], v[26:27], 0, 4
	s_waitcnt vmcnt(0)
	v_cmp_ne_u32_e32 vcc, v1, v32
	s_and_b64 s[28:29], vcc, exec
	s_or_b64 s[24:25], s[24:25], s[28:29]
.LBB421_336:                            ;   in Loop: Header=BB421_337 Depth=1
	s_and_b64 s[28:29], exec, s[24:25]
	s_or_b64 s[22:23], s[28:29], s[22:23]
	v_mov_b64_e32 v[32:33], s[26:27]
	s_andn2_b64 exec, exec, s[22:23]
	s_cbranch_execz .LBB421_339
.LBB421_337:                            ; =>This Inner Loop Header: Depth=1
	s_or_b64 s[24:25], s[24:25], exec
	s_cmp_eq_u64 s[20:21], s[26:27]
	s_cbranch_scc0 .LBB421_335
; %bb.338:                              ;   in Loop: Header=BB421_337 Depth=1
                                        ; implicit-def: $vgpr30_vgpr31
                                        ; implicit-def: $vgpr26_vgpr27
	s_mov_b64 s[26:27], s[12:13]
	s_branch .LBB421_336
.LBB421_339:
	s_or_b64 exec, exec, s[22:23]
	v_cmp_gt_i64_e32 vcc, s[12:13], v[32:33]
	s_mov_b32 s7, 0
	v_mov_b32_e32 v55, s7
	v_cndmask_b32_e64 v54, 0, 1, vcc
.LBB421_340:
	s_or_b64 exec, exec, s[4:5]
.LBB421_341:
	v_mul_lo_u32 v1, v17, s12
	v_mul_lo_u32 v30, v16, s13
	v_mad_u64_u32 v[26:27], s[4:5], v16, s12, 0
	v_add3_u32 v27, v27, v30, v1
	s_and_b64 vcc, exec, s[2:3]
	v_lshl_add_u64 v[26:27], v[26:27], 2, s[14:15]
	s_cbranch_vccnz .LBB421_350
; %bb.342:
	global_load_dword v1, v[28:29], off
	global_load_dword v30, v[26:27], off
	v_mov_b64_e32 v[56:57], 1
	s_waitcnt vmcnt(0)
	v_cmp_eq_u32_e32 vcc, v1, v30
	s_and_saveexec_b64 s[4:5], vcc
	s_cbranch_execz .LBB421_349
; %bb.343:
	s_add_u32 s20, s12, -1
	v_lshl_add_u64 v[30:31], v[26:27], 0, 4
	v_lshl_add_u64 v[28:29], v[28:29], 0, 4
	s_addc_u32 s21, s13, -1
	s_mov_b64 s[22:23], 0
	s_mov_b64 s[26:27], 0
                                        ; implicit-def: $sgpr24_sgpr25
	s_branch .LBB421_346
.LBB421_344:                            ;   in Loop: Header=BB421_346 Depth=1
	global_load_dword v1, v[28:29], off
	global_load_dword v32, v[30:31], off
	s_add_u32 s26, s26, 1
	s_addc_u32 s27, s27, 0
	s_andn2_b64 s[24:25], s[24:25], exec
	v_lshl_add_u64 v[30:31], v[30:31], 0, 4
	v_lshl_add_u64 v[28:29], v[28:29], 0, 4
	s_waitcnt vmcnt(0)
	v_cmp_ne_u32_e32 vcc, v1, v32
	s_and_b64 s[28:29], vcc, exec
	s_or_b64 s[24:25], s[24:25], s[28:29]
.LBB421_345:                            ;   in Loop: Header=BB421_346 Depth=1
	s_and_b64 s[28:29], exec, s[24:25]
	s_or_b64 s[22:23], s[28:29], s[22:23]
	v_mov_b64_e32 v[32:33], s[26:27]
	s_andn2_b64 exec, exec, s[22:23]
	s_cbranch_execz .LBB421_348
.LBB421_346:                            ; =>This Inner Loop Header: Depth=1
	s_or_b64 s[24:25], s[24:25], exec
	s_cmp_eq_u64 s[20:21], s[26:27]
	s_cbranch_scc0 .LBB421_344
; %bb.347:                              ;   in Loop: Header=BB421_346 Depth=1
                                        ; implicit-def: $vgpr30_vgpr31
                                        ; implicit-def: $vgpr28_vgpr29
	s_mov_b64 s[26:27], s[12:13]
	s_branch .LBB421_345
.LBB421_348:
	s_or_b64 exec, exec, s[22:23]
	v_cmp_gt_i64_e32 vcc, s[12:13], v[32:33]
	s_mov_b32 s7, 0
	v_mov_b32_e32 v57, s7
	v_cndmask_b32_e64 v56, 0, 1, vcc
.LBB421_349:
	s_or_b64 exec, exec, s[4:5]
.LBB421_350:
	v_mul_lo_u32 v1, v15, s12
	v_mul_lo_u32 v30, v14, s13
	v_mad_u64_u32 v[28:29], s[4:5], v14, s12, 0
	v_add3_u32 v29, v29, v30, v1
	v_mov_b64_e32 v[60:61], 0
	s_and_b64 vcc, exec, s[2:3]
	v_lshl_add_u64 v[28:29], v[28:29], 2, s[14:15]
	v_mov_b64_e32 v[58:59], v[60:61]
	s_cbranch_vccnz .LBB421_359
; %bb.351:
	global_load_dword v1, v[26:27], off
	global_load_dword v30, v[28:29], off
	v_mov_b64_e32 v[58:59], 1
	s_waitcnt vmcnt(0)
	v_cmp_eq_u32_e32 vcc, v1, v30
	s_and_saveexec_b64 s[4:5], vcc
	s_cbranch_execz .LBB421_358
; %bb.352:
	s_add_u32 s20, s12, -1
	v_lshl_add_u64 v[30:31], v[28:29], 0, 4
	v_lshl_add_u64 v[26:27], v[26:27], 0, 4
	s_addc_u32 s21, s13, -1
	s_mov_b64 s[22:23], 0
	s_mov_b64 s[26:27], 0
                                        ; implicit-def: $sgpr24_sgpr25
	s_branch .LBB421_355
.LBB421_353:                            ;   in Loop: Header=BB421_355 Depth=1
	global_load_dword v1, v[26:27], off
	global_load_dword v32, v[30:31], off
	s_add_u32 s26, s26, 1
	s_addc_u32 s27, s27, 0
	s_andn2_b64 s[24:25], s[24:25], exec
	v_lshl_add_u64 v[30:31], v[30:31], 0, 4
	v_lshl_add_u64 v[26:27], v[26:27], 0, 4
	s_waitcnt vmcnt(0)
	v_cmp_ne_u32_e32 vcc, v1, v32
	s_and_b64 s[28:29], vcc, exec
	s_or_b64 s[24:25], s[24:25], s[28:29]
.LBB421_354:                            ;   in Loop: Header=BB421_355 Depth=1
	s_and_b64 s[28:29], exec, s[24:25]
	s_or_b64 s[22:23], s[28:29], s[22:23]
	v_mov_b64_e32 v[32:33], s[26:27]
	s_andn2_b64 exec, exec, s[22:23]
	s_cbranch_execz .LBB421_357
.LBB421_355:                            ; =>This Inner Loop Header: Depth=1
	s_or_b64 s[24:25], s[24:25], exec
	s_cmp_eq_u64 s[20:21], s[26:27]
	s_cbranch_scc0 .LBB421_353
; %bb.356:                              ;   in Loop: Header=BB421_355 Depth=1
                                        ; implicit-def: $vgpr30_vgpr31
                                        ; implicit-def: $vgpr26_vgpr27
	s_mov_b64 s[26:27], s[12:13]
	s_branch .LBB421_354
.LBB421_357:
	s_or_b64 exec, exec, s[22:23]
	v_cmp_gt_i64_e32 vcc, s[12:13], v[32:33]
	s_mov_b32 s7, 0
	v_mov_b32_e32 v59, s7
	v_cndmask_b32_e64 v58, 0, 1, vcc
.LBB421_358:
	s_or_b64 exec, exec, s[4:5]
.LBB421_359:
	v_mul_lo_u32 v1, v13, s12
	v_mul_lo_u32 v30, v12, s13
	v_mad_u64_u32 v[26:27], s[4:5], v12, s12, 0
	v_add3_u32 v27, v27, v30, v1
	s_and_b64 vcc, exec, s[2:3]
	v_lshl_add_u64 v[26:27], v[26:27], 2, s[14:15]
	s_cbranch_vccnz .LBB421_368
; %bb.360:
	global_load_dword v1, v[28:29], off
	global_load_dword v30, v[26:27], off
	v_mov_b64_e32 v[60:61], 1
	s_waitcnt vmcnt(0)
	v_cmp_eq_u32_e32 vcc, v1, v30
	s_and_saveexec_b64 s[4:5], vcc
	s_cbranch_execz .LBB421_367
; %bb.361:
	s_add_u32 s20, s12, -1
	v_lshl_add_u64 v[30:31], v[26:27], 0, 4
	v_lshl_add_u64 v[28:29], v[28:29], 0, 4
	s_addc_u32 s21, s13, -1
	s_mov_b64 s[22:23], 0
	s_mov_b64 s[26:27], 0
                                        ; implicit-def: $sgpr24_sgpr25
	s_branch .LBB421_364
.LBB421_362:                            ;   in Loop: Header=BB421_364 Depth=1
	global_load_dword v1, v[28:29], off
	global_load_dword v32, v[30:31], off
	s_add_u32 s26, s26, 1
	s_addc_u32 s27, s27, 0
	s_andn2_b64 s[24:25], s[24:25], exec
	v_lshl_add_u64 v[30:31], v[30:31], 0, 4
	v_lshl_add_u64 v[28:29], v[28:29], 0, 4
	s_waitcnt vmcnt(0)
	v_cmp_ne_u32_e32 vcc, v1, v32
	s_and_b64 s[28:29], vcc, exec
	s_or_b64 s[24:25], s[24:25], s[28:29]
.LBB421_363:                            ;   in Loop: Header=BB421_364 Depth=1
	s_and_b64 s[28:29], exec, s[24:25]
	s_or_b64 s[22:23], s[28:29], s[22:23]
	v_mov_b64_e32 v[32:33], s[26:27]
	s_andn2_b64 exec, exec, s[22:23]
	s_cbranch_execz .LBB421_366
.LBB421_364:                            ; =>This Inner Loop Header: Depth=1
	s_or_b64 s[24:25], s[24:25], exec
	s_cmp_eq_u64 s[20:21], s[26:27]
	s_cbranch_scc0 .LBB421_362
; %bb.365:                              ;   in Loop: Header=BB421_364 Depth=1
                                        ; implicit-def: $vgpr30_vgpr31
                                        ; implicit-def: $vgpr28_vgpr29
	s_mov_b64 s[26:27], s[12:13]
	s_branch .LBB421_363
.LBB421_366:
	s_or_b64 exec, exec, s[22:23]
	v_cmp_gt_i64_e32 vcc, s[12:13], v[32:33]
	s_mov_b32 s7, 0
	v_mov_b32_e32 v61, s7
	v_cndmask_b32_e64 v60, 0, 1, vcc
.LBB421_367:
	s_or_b64 exec, exec, s[4:5]
.LBB421_368:
	v_mul_lo_u32 v1, v11, s12
	v_mul_lo_u32 v30, v10, s13
	v_mad_u64_u32 v[28:29], s[4:5], v10, s12, 0
	v_add3_u32 v29, v29, v30, v1
	v_mov_b64_e32 v[64:65], 0
	s_and_b64 vcc, exec, s[2:3]
	v_lshl_add_u64 v[28:29], v[28:29], 2, s[14:15]
	v_mov_b64_e32 v[62:63], v[64:65]
	s_cbranch_vccnz .LBB421_377
; %bb.369:
	global_load_dword v1, v[26:27], off
	global_load_dword v30, v[28:29], off
	v_mov_b64_e32 v[62:63], 1
	s_waitcnt vmcnt(0)
	v_cmp_eq_u32_e32 vcc, v1, v30
	s_and_saveexec_b64 s[4:5], vcc
	s_cbranch_execz .LBB421_376
; %bb.370:
	s_add_u32 s20, s12, -1
	v_lshl_add_u64 v[30:31], v[28:29], 0, 4
	v_lshl_add_u64 v[26:27], v[26:27], 0, 4
	s_addc_u32 s21, s13, -1
	s_mov_b64 s[22:23], 0
	s_mov_b64 s[26:27], 0
                                        ; implicit-def: $sgpr24_sgpr25
	s_branch .LBB421_373
.LBB421_371:                            ;   in Loop: Header=BB421_373 Depth=1
	global_load_dword v1, v[26:27], off
	global_load_dword v32, v[30:31], off
	s_add_u32 s26, s26, 1
	s_addc_u32 s27, s27, 0
	s_andn2_b64 s[24:25], s[24:25], exec
	v_lshl_add_u64 v[30:31], v[30:31], 0, 4
	v_lshl_add_u64 v[26:27], v[26:27], 0, 4
	s_waitcnt vmcnt(0)
	v_cmp_ne_u32_e32 vcc, v1, v32
	s_and_b64 s[28:29], vcc, exec
	s_or_b64 s[24:25], s[24:25], s[28:29]
.LBB421_372:                            ;   in Loop: Header=BB421_373 Depth=1
	s_and_b64 s[28:29], exec, s[24:25]
	s_or_b64 s[22:23], s[28:29], s[22:23]
	v_mov_b64_e32 v[32:33], s[26:27]
	s_andn2_b64 exec, exec, s[22:23]
	s_cbranch_execz .LBB421_375
.LBB421_373:                            ; =>This Inner Loop Header: Depth=1
	s_or_b64 s[24:25], s[24:25], exec
	s_cmp_eq_u64 s[20:21], s[26:27]
	s_cbranch_scc0 .LBB421_371
; %bb.374:                              ;   in Loop: Header=BB421_373 Depth=1
                                        ; implicit-def: $vgpr30_vgpr31
                                        ; implicit-def: $vgpr26_vgpr27
	s_mov_b64 s[26:27], s[12:13]
	s_branch .LBB421_372
.LBB421_375:
	s_or_b64 exec, exec, s[22:23]
	v_cmp_gt_i64_e32 vcc, s[12:13], v[32:33]
	s_mov_b32 s7, 0
	v_mov_b32_e32 v63, s7
	v_cndmask_b32_e64 v62, 0, 1, vcc
.LBB421_376:
	s_or_b64 exec, exec, s[4:5]
.LBB421_377:
	v_mul_lo_u32 v1, v9, s12
	v_mul_lo_u32 v30, v8, s13
	v_mad_u64_u32 v[26:27], s[4:5], v8, s12, 0
	v_add3_u32 v27, v27, v30, v1
	s_and_b64 vcc, exec, s[2:3]
	v_lshl_add_u64 v[26:27], v[26:27], 2, s[14:15]
	s_cbranch_vccnz .LBB421_386
; %bb.378:
	global_load_dword v1, v[28:29], off
	global_load_dword v30, v[26:27], off
	v_mov_b64_e32 v[64:65], 1
	s_waitcnt vmcnt(0)
	v_cmp_eq_u32_e32 vcc, v1, v30
	s_and_saveexec_b64 s[4:5], vcc
	s_cbranch_execz .LBB421_385
; %bb.379:
	s_add_u32 s20, s12, -1
	v_lshl_add_u64 v[30:31], v[26:27], 0, 4
	v_lshl_add_u64 v[28:29], v[28:29], 0, 4
	s_addc_u32 s21, s13, -1
	s_mov_b64 s[22:23], 0
	s_mov_b64 s[26:27], 0
                                        ; implicit-def: $sgpr24_sgpr25
	s_branch .LBB421_382
.LBB421_380:                            ;   in Loop: Header=BB421_382 Depth=1
	global_load_dword v1, v[28:29], off
	global_load_dword v32, v[30:31], off
	s_add_u32 s26, s26, 1
	s_addc_u32 s27, s27, 0
	s_andn2_b64 s[24:25], s[24:25], exec
	v_lshl_add_u64 v[30:31], v[30:31], 0, 4
	v_lshl_add_u64 v[28:29], v[28:29], 0, 4
	s_waitcnt vmcnt(0)
	v_cmp_ne_u32_e32 vcc, v1, v32
	s_and_b64 s[28:29], vcc, exec
	s_or_b64 s[24:25], s[24:25], s[28:29]
.LBB421_381:                            ;   in Loop: Header=BB421_382 Depth=1
	s_and_b64 s[28:29], exec, s[24:25]
	s_or_b64 s[22:23], s[28:29], s[22:23]
	v_mov_b64_e32 v[32:33], s[26:27]
	s_andn2_b64 exec, exec, s[22:23]
	s_cbranch_execz .LBB421_384
.LBB421_382:                            ; =>This Inner Loop Header: Depth=1
	s_or_b64 s[24:25], s[24:25], exec
	s_cmp_eq_u64 s[20:21], s[26:27]
	s_cbranch_scc0 .LBB421_380
; %bb.383:                              ;   in Loop: Header=BB421_382 Depth=1
                                        ; implicit-def: $vgpr30_vgpr31
                                        ; implicit-def: $vgpr28_vgpr29
	s_mov_b64 s[26:27], s[12:13]
	s_branch .LBB421_381
.LBB421_384:
	s_or_b64 exec, exec, s[22:23]
	v_cmp_gt_i64_e32 vcc, s[12:13], v[32:33]
	s_mov_b32 s7, 0
	v_mov_b32_e32 v65, s7
	v_cndmask_b32_e64 v64, 0, 1, vcc
.LBB421_385:
	s_or_b64 exec, exec, s[4:5]
.LBB421_386:
	v_mul_lo_u32 v1, v7, s12
	v_mul_lo_u32 v30, v6, s13
	v_mad_u64_u32 v[28:29], s[4:5], v6, s12, 0
	v_add3_u32 v29, v29, v30, v1
	v_mov_b64_e32 v[68:69], 0
	s_and_b64 vcc, exec, s[2:3]
	v_lshl_add_u64 v[28:29], v[28:29], 2, s[14:15]
	v_mov_b64_e32 v[66:67], v[68:69]
	s_cbranch_vccnz .LBB421_395
; %bb.387:
	global_load_dword v1, v[26:27], off
	global_load_dword v30, v[28:29], off
	v_mov_b64_e32 v[66:67], 1
	s_waitcnt vmcnt(0)
	v_cmp_eq_u32_e32 vcc, v1, v30
	s_and_saveexec_b64 s[4:5], vcc
	s_cbranch_execz .LBB421_394
; %bb.388:
	s_add_u32 s20, s12, -1
	v_lshl_add_u64 v[30:31], v[28:29], 0, 4
	v_lshl_add_u64 v[26:27], v[26:27], 0, 4
	s_addc_u32 s21, s13, -1
	s_mov_b64 s[22:23], 0
	s_mov_b64 s[26:27], 0
                                        ; implicit-def: $sgpr24_sgpr25
	s_branch .LBB421_391
.LBB421_389:                            ;   in Loop: Header=BB421_391 Depth=1
	global_load_dword v1, v[26:27], off
	global_load_dword v32, v[30:31], off
	s_add_u32 s26, s26, 1
	s_addc_u32 s27, s27, 0
	s_andn2_b64 s[24:25], s[24:25], exec
	v_lshl_add_u64 v[30:31], v[30:31], 0, 4
	v_lshl_add_u64 v[26:27], v[26:27], 0, 4
	s_waitcnt vmcnt(0)
	v_cmp_ne_u32_e32 vcc, v1, v32
	s_and_b64 s[28:29], vcc, exec
	s_or_b64 s[24:25], s[24:25], s[28:29]
.LBB421_390:                            ;   in Loop: Header=BB421_391 Depth=1
	s_and_b64 s[28:29], exec, s[24:25]
	s_or_b64 s[22:23], s[28:29], s[22:23]
	v_mov_b64_e32 v[32:33], s[26:27]
	s_andn2_b64 exec, exec, s[22:23]
	s_cbranch_execz .LBB421_393
.LBB421_391:                            ; =>This Inner Loop Header: Depth=1
	s_or_b64 s[24:25], s[24:25], exec
	s_cmp_eq_u64 s[20:21], s[26:27]
	s_cbranch_scc0 .LBB421_389
; %bb.392:                              ;   in Loop: Header=BB421_391 Depth=1
                                        ; implicit-def: $vgpr30_vgpr31
                                        ; implicit-def: $vgpr26_vgpr27
	s_mov_b64 s[26:27], s[12:13]
	s_branch .LBB421_390
.LBB421_393:
	s_or_b64 exec, exec, s[22:23]
	v_cmp_gt_i64_e32 vcc, s[12:13], v[32:33]
	s_mov_b32 s7, 0
	v_mov_b32_e32 v67, s7
	v_cndmask_b32_e64 v66, 0, 1, vcc
.LBB421_394:
	s_or_b64 exec, exec, s[4:5]
.LBB421_395:
	v_mul_lo_u32 v1, v5, s12
	v_mul_lo_u32 v30, v4, s13
	v_mad_u64_u32 v[26:27], s[4:5], v4, s12, 0
	v_add3_u32 v27, v27, v30, v1
	s_and_b64 vcc, exec, s[2:3]
	v_lshl_add_u64 v[26:27], v[26:27], 2, s[14:15]
	s_cbranch_vccnz .LBB421_404
; %bb.396:
	global_load_dword v1, v[28:29], off
	global_load_dword v30, v[26:27], off
	v_mov_b64_e32 v[68:69], 1
	s_waitcnt vmcnt(0)
	v_cmp_eq_u32_e32 vcc, v1, v30
	s_and_saveexec_b64 s[4:5], vcc
	s_cbranch_execz .LBB421_403
; %bb.397:
	s_add_u32 s20, s12, -1
	v_lshl_add_u64 v[30:31], v[26:27], 0, 4
	v_lshl_add_u64 v[28:29], v[28:29], 0, 4
	s_addc_u32 s21, s13, -1
	s_mov_b64 s[22:23], 0
	s_mov_b64 s[26:27], 0
                                        ; implicit-def: $sgpr24_sgpr25
	s_branch .LBB421_400
.LBB421_398:                            ;   in Loop: Header=BB421_400 Depth=1
	global_load_dword v1, v[28:29], off
	global_load_dword v32, v[30:31], off
	s_add_u32 s26, s26, 1
	s_addc_u32 s27, s27, 0
	s_andn2_b64 s[24:25], s[24:25], exec
	v_lshl_add_u64 v[30:31], v[30:31], 0, 4
	v_lshl_add_u64 v[28:29], v[28:29], 0, 4
	s_waitcnt vmcnt(0)
	v_cmp_ne_u32_e32 vcc, v1, v32
	s_and_b64 s[28:29], vcc, exec
	s_or_b64 s[24:25], s[24:25], s[28:29]
.LBB421_399:                            ;   in Loop: Header=BB421_400 Depth=1
	s_and_b64 s[28:29], exec, s[24:25]
	s_or_b64 s[22:23], s[28:29], s[22:23]
	v_mov_b64_e32 v[32:33], s[26:27]
	s_andn2_b64 exec, exec, s[22:23]
	s_cbranch_execz .LBB421_402
.LBB421_400:                            ; =>This Inner Loop Header: Depth=1
	s_or_b64 s[24:25], s[24:25], exec
	s_cmp_eq_u64 s[20:21], s[26:27]
	s_cbranch_scc0 .LBB421_398
; %bb.401:                              ;   in Loop: Header=BB421_400 Depth=1
                                        ; implicit-def: $vgpr30_vgpr31
                                        ; implicit-def: $vgpr28_vgpr29
	s_mov_b64 s[26:27], s[12:13]
	s_branch .LBB421_399
.LBB421_402:
	s_or_b64 exec, exec, s[22:23]
	v_cmp_gt_i64_e32 vcc, s[12:13], v[32:33]
	s_mov_b32 s7, 0
	v_mov_b32_e32 v69, s7
	v_cndmask_b32_e64 v68, 0, 1, vcc
.LBB421_403:
	s_or_b64 exec, exec, s[4:5]
.LBB421_404:
	s_and_b64 vcc, exec, s[2:3]
	s_cbranch_vccnz .LBB421_411
; %bb.405:
	v_mul_lo_u32 v1, v3, s12
	v_mul_lo_u32 v30, v2, s13
	v_mad_u64_u32 v[28:29], s[4:5], v2, s12, 0
	v_add3_u32 v29, v29, v30, v1
	v_lshl_add_u64 v[28:29], v[28:29], 2, s[14:15]
	global_load_dword v1, v[26:27], off
	global_load_dword v30, v[28:29], off
	v_mov_b64_e32 v[70:71], 1
	s_waitcnt vmcnt(0)
	v_cmp_eq_u32_e32 vcc, v1, v30
	s_and_saveexec_b64 s[4:5], vcc
	s_cbranch_execz .LBB421_413
; %bb.406:
	s_add_u32 s20, s12, -1
	v_lshl_add_u64 v[28:29], v[28:29], 0, 4
	v_lshl_add_u64 v[26:27], v[26:27], 0, 4
	s_addc_u32 s21, s13, -1
	s_mov_b64 s[22:23], 0
	s_mov_b64 s[26:27], 0
                                        ; implicit-def: $sgpr24_sgpr25
	s_branch .LBB421_409
.LBB421_407:                            ;   in Loop: Header=BB421_409 Depth=1
	global_load_dword v1, v[26:27], off
	global_load_dword v30, v[28:29], off
	s_add_u32 s26, s26, 1
	s_addc_u32 s27, s27, 0
	s_andn2_b64 s[24:25], s[24:25], exec
	v_lshl_add_u64 v[28:29], v[28:29], 0, 4
	v_lshl_add_u64 v[26:27], v[26:27], 0, 4
	s_waitcnt vmcnt(0)
	v_cmp_ne_u32_e32 vcc, v1, v30
	s_and_b64 s[28:29], vcc, exec
	s_or_b64 s[24:25], s[24:25], s[28:29]
.LBB421_408:                            ;   in Loop: Header=BB421_409 Depth=1
	s_and_b64 s[28:29], exec, s[24:25]
	s_or_b64 s[22:23], s[28:29], s[22:23]
	v_mov_b64_e32 v[30:31], s[26:27]
	s_andn2_b64 exec, exec, s[22:23]
	s_cbranch_execz .LBB421_412
.LBB421_409:                            ; =>This Inner Loop Header: Depth=1
	s_or_b64 s[24:25], s[24:25], exec
	s_cmp_eq_u64 s[20:21], s[26:27]
	s_cbranch_scc0 .LBB421_407
; %bb.410:                              ;   in Loop: Header=BB421_409 Depth=1
                                        ; implicit-def: $vgpr28_vgpr29
                                        ; implicit-def: $vgpr26_vgpr27
	s_mov_b64 s[26:27], s[12:13]
	s_branch .LBB421_408
.LBB421_411:
	v_mov_b64_e32 v[70:71], 0
	s_branch .LBB421_414
.LBB421_412:
	s_or_b64 exec, exec, s[22:23]
	v_cmp_gt_i64_e32 vcc, s[12:13], v[30:31]
	s_mov_b32 s7, 0
	v_mov_b32_e32 v71, s7
	v_cndmask_b32_e64 v70, 0, 1, vcc
.LBB421_413:
	s_or_b64 exec, exec, s[4:5]
.LBB421_414:
	v_cmp_ne_u32_e32 vcc, 0, v0
	s_waitcnt lgkmcnt(0)
	; wave barrier
	s_waitcnt lgkmcnt(0)
                                        ; implicit-def: $sgpr24_sgpr25
	s_and_saveexec_b64 s[4:5], vcc
	s_cbranch_execz .LBB421_426
; %bb.415:
	s_and_b64 vcc, exec, s[2:3]
	s_cbranch_vccnz .LBB421_422
; %bb.416:
	v_add_u32_e32 v26, -8, v48
	ds_read_b64 v[26:27], v26
	v_mul_lo_u32 v1, v3, s12
	v_mul_lo_u32 v30, v2, s13
	v_mad_u64_u32 v[28:29], s[2:3], v2, s12, 0
	v_add3_u32 v29, v29, v30, v1
	s_waitcnt lgkmcnt(0)
	v_mul_lo_u32 v1, v27, s12
	v_mul_lo_u32 v30, v26, s13
	v_mad_u64_u32 v[26:27], s[2:3], v26, s12, 0
	v_add3_u32 v27, v27, v30, v1
	v_lshl_add_u64 v[28:29], v[28:29], 2, s[14:15]
	v_lshl_add_u64 v[26:27], v[26:27], 2, s[14:15]
	global_load_dword v1, v[28:29], off
	global_load_dword v30, v[26:27], off
	s_mov_b64 s[20:21], -1
	s_waitcnt vmcnt(0)
	v_cmp_eq_u32_e32 vcc, v1, v30
	s_and_saveexec_b64 s[2:3], vcc
	s_cbranch_execz .LBB421_424
; %bb.417:
	s_add_u32 s20, s12, -1
	v_lshl_add_u64 v[26:27], v[26:27], 0, 4
	v_lshl_add_u64 v[28:29], v[28:29], 0, 4
	s_addc_u32 s21, s13, -1
	s_mov_b64 s[22:23], 0
	s_mov_b64 s[26:27], 0
                                        ; implicit-def: $sgpr24_sgpr25
	s_branch .LBB421_420
.LBB421_418:                            ;   in Loop: Header=BB421_420 Depth=1
	global_load_dword v1, v[28:29], off
	global_load_dword v30, v[26:27], off
	s_add_u32 s26, s26, 1
	s_addc_u32 s27, s27, 0
	s_andn2_b64 s[24:25], s[24:25], exec
	v_lshl_add_u64 v[26:27], v[26:27], 0, 4
	v_lshl_add_u64 v[28:29], v[28:29], 0, 4
	s_waitcnt vmcnt(0)
	v_cmp_ne_u32_e32 vcc, v1, v30
	s_and_b64 s[28:29], vcc, exec
	s_or_b64 s[24:25], s[24:25], s[28:29]
.LBB421_419:                            ;   in Loop: Header=BB421_420 Depth=1
	s_and_b64 s[28:29], exec, s[24:25]
	s_or_b64 s[22:23], s[28:29], s[22:23]
	v_mov_b64_e32 v[30:31], s[26:27]
	s_andn2_b64 exec, exec, s[22:23]
	s_cbranch_execz .LBB421_423
.LBB421_420:                            ; =>This Inner Loop Header: Depth=1
	s_or_b64 s[24:25], s[24:25], exec
	s_cmp_eq_u64 s[20:21], s[26:27]
	s_cbranch_scc0 .LBB421_418
; %bb.421:                              ;   in Loop: Header=BB421_420 Depth=1
                                        ; implicit-def: $vgpr26_vgpr27
                                        ; implicit-def: $vgpr28_vgpr29
	s_mov_b64 s[26:27], s[12:13]
	s_branch .LBB421_419
.LBB421_422:
	s_mov_b64 s[20:21], 0
	s_branch .LBB421_425
.LBB421_423:
	s_or_b64 exec, exec, s[22:23]
	v_cmp_gt_i64_e32 vcc, s[12:13], v[30:31]
	s_orn2_b64 s[20:21], vcc, exec
.LBB421_424:
	s_or_b64 exec, exec, s[2:3]
.LBB421_425:
	s_and_b64 s[24:25], s[20:21], exec
	s_or_b64 s[18:19], s[18:19], exec
.LBB421_426:
	s_or_b64 exec, exec, s[4:5]
	v_mov_b64_e32 v[72:73], v[52:53]
	v_mov_b64_e32 v[26:27], v[46:47]
	;; [unrolled: 1-line block ×11, first 2 shown]
	s_branch .LBB421_572
.LBB421_427:
	s_waitcnt lgkmcnt(0)
	v_mad_u32_u24 v26, v0, 13, 12
	v_cmp_gt_i64_e64 s[2:3], s[12:13], 0
	v_cmp_gt_u32_e32 vcc, s10, v26
	v_mul_u32_u24_e32 v1, 13, v0
	v_cndmask_b32_e64 v26, 0, 1, s[2:3]
	v_cmp_ne_u32_e64 s[2:3], 1, v26
	ds_write_b64 v48, v[44:45]
	s_and_saveexec_b64 s[4:5], vcc
	s_cbranch_execz .LBB421_438
; %bb.428:
	s_and_b64 vcc, exec, s[2:3]
	s_cbranch_vccnz .LBB421_435
; %bb.429:
	v_mul_lo_u32 v28, v45, s12
	v_mul_lo_u32 v29, v44, s13
	v_mad_u64_u32 v[26:27], s[20:21], v44, s12, 0
	v_add3_u32 v27, v27, v29, v28
	v_mul_lo_u32 v28, v25, s12
	v_mul_lo_u32 v29, v24, s13
	v_mad_u64_u32 v[30:31], s[20:21], v24, s12, 0
	v_add3_u32 v31, v31, v29, v28
	v_lshl_add_u64 v[28:29], v[26:27], 2, s[14:15]
	v_lshl_add_u64 v[26:27], v[30:31], 2, s[14:15]
	global_load_dword v30, v[28:29], off
	global_load_dword v31, v[26:27], off
	v_mov_b64_e32 v[44:45], 1
	s_waitcnt vmcnt(0)
	v_cmp_eq_u32_e32 vcc, v30, v31
	s_and_saveexec_b64 s[20:21], vcc
	s_cbranch_execz .LBB421_437
; %bb.430:
	s_add_u32 s22, s12, -1
	v_lshl_add_u64 v[26:27], v[26:27], 0, 4
	v_lshl_add_u64 v[28:29], v[28:29], 0, 4
	s_addc_u32 s23, s13, -1
	s_mov_b64 s[24:25], 0
	s_mov_b64 s[28:29], 0
                                        ; implicit-def: $sgpr26_sgpr27
	s_branch .LBB421_433
.LBB421_431:                            ;   in Loop: Header=BB421_433 Depth=1
	global_load_dword v30, v[28:29], off
	global_load_dword v31, v[26:27], off
	s_add_u32 s28, s28, 1
	s_addc_u32 s29, s29, 0
	s_andn2_b64 s[26:27], s[26:27], exec
	v_lshl_add_u64 v[26:27], v[26:27], 0, 4
	v_lshl_add_u64 v[28:29], v[28:29], 0, 4
	s_waitcnt vmcnt(0)
	v_cmp_ne_u32_e32 vcc, v30, v31
	s_and_b64 s[30:31], vcc, exec
	s_or_b64 s[26:27], s[26:27], s[30:31]
.LBB421_432:                            ;   in Loop: Header=BB421_433 Depth=1
	s_and_b64 s[30:31], exec, s[26:27]
	s_or_b64 s[24:25], s[30:31], s[24:25]
	v_mov_b64_e32 v[30:31], s[28:29]
	s_andn2_b64 exec, exec, s[24:25]
	s_cbranch_execz .LBB421_436
.LBB421_433:                            ; =>This Inner Loop Header: Depth=1
	s_or_b64 s[26:27], s[26:27], exec
	s_cmp_eq_u64 s[22:23], s[28:29]
	s_cbranch_scc0 .LBB421_431
; %bb.434:                              ;   in Loop: Header=BB421_433 Depth=1
                                        ; implicit-def: $vgpr26_vgpr27
                                        ; implicit-def: $vgpr28_vgpr29
	s_mov_b64 s[28:29], s[12:13]
	s_branch .LBB421_432
.LBB421_435:
	v_mov_b64_e32 v[44:45], 0
	s_branch .LBB421_438
.LBB421_436:
	s_or_b64 exec, exec, s[24:25]
	v_cmp_gt_i64_e32 vcc, s[12:13], v[30:31]
	s_mov_b32 s7, 0
	v_mov_b32_e32 v45, s7
	v_cndmask_b32_e64 v44, 0, 1, vcc
.LBB421_437:
	s_or_b64 exec, exec, s[20:21]
.LBB421_438:
	s_or_b64 exec, exec, s[4:5]
	v_add_u32_e32 v26, 11, v1
	v_cmp_gt_u32_e32 vcc, s10, v26
	s_and_saveexec_b64 s[4:5], vcc
	s_cbranch_execz .LBB421_449
; %bb.439:
	s_and_b64 vcc, exec, s[2:3]
	s_cbranch_vccnz .LBB421_446
; %bb.440:
	v_mul_lo_u32 v26, v25, s12
	v_mul_lo_u32 v27, v24, s13
	v_mad_u64_u32 v[24:25], s[20:21], v24, s12, 0
	v_add3_u32 v25, v25, v27, v26
	v_mul_lo_u32 v26, v23, s12
	v_mul_lo_u32 v27, v22, s13
	v_mad_u64_u32 v[28:29], s[20:21], v22, s12, 0
	v_add3_u32 v29, v29, v27, v26
	v_lshl_add_u64 v[26:27], v[24:25], 2, s[14:15]
	v_lshl_add_u64 v[28:29], v[28:29], 2, s[14:15]
	global_load_dword v24, v[26:27], off
	global_load_dword v25, v[28:29], off
	s_waitcnt vmcnt(0)
	v_cmp_eq_u32_e32 vcc, v24, v25
	v_mov_b64_e32 v[24:25], 1
	s_and_saveexec_b64 s[20:21], vcc
	s_cbranch_execz .LBB421_448
; %bb.441:
	s_add_u32 s22, s12, -1
	v_lshl_add_u64 v[24:25], v[28:29], 0, 4
	v_lshl_add_u64 v[26:27], v[26:27], 0, 4
	s_addc_u32 s23, s13, -1
	s_mov_b64 s[24:25], 0
	s_mov_b64 s[28:29], 0
                                        ; implicit-def: $sgpr26_sgpr27
	s_branch .LBB421_444
.LBB421_442:                            ;   in Loop: Header=BB421_444 Depth=1
	global_load_dword v28, v[26:27], off
	global_load_dword v29, v[24:25], off
	s_add_u32 s28, s28, 1
	s_addc_u32 s29, s29, 0
	s_andn2_b64 s[26:27], s[26:27], exec
	v_lshl_add_u64 v[24:25], v[24:25], 0, 4
	v_lshl_add_u64 v[26:27], v[26:27], 0, 4
	s_waitcnt vmcnt(0)
	v_cmp_ne_u32_e32 vcc, v28, v29
	s_and_b64 s[30:31], vcc, exec
	s_or_b64 s[26:27], s[26:27], s[30:31]
.LBB421_443:                            ;   in Loop: Header=BB421_444 Depth=1
	s_and_b64 s[30:31], exec, s[26:27]
	s_or_b64 s[24:25], s[30:31], s[24:25]
	v_mov_b64_e32 v[28:29], s[28:29]
	s_andn2_b64 exec, exec, s[24:25]
	s_cbranch_execz .LBB421_447
.LBB421_444:                            ; =>This Inner Loop Header: Depth=1
	s_or_b64 s[26:27], s[26:27], exec
	s_cmp_eq_u64 s[22:23], s[28:29]
	s_cbranch_scc0 .LBB421_442
; %bb.445:                              ;   in Loop: Header=BB421_444 Depth=1
                                        ; implicit-def: $vgpr24_vgpr25
                                        ; implicit-def: $vgpr26_vgpr27
	s_mov_b64 s[28:29], s[12:13]
	s_branch .LBB421_443
.LBB421_446:
	v_mov_b64_e32 v[24:25], 0
	s_branch .LBB421_449
.LBB421_447:
	s_or_b64 exec, exec, s[24:25]
	v_cmp_gt_i64_e32 vcc, s[12:13], v[28:29]
	s_mov_b32 s7, 0
	v_mov_b32_e32 v25, s7
	v_cndmask_b32_e64 v24, 0, 1, vcc
.LBB421_448:
	s_or_b64 exec, exec, s[20:21]
.LBB421_449:
	s_or_b64 exec, exec, s[4:5]
	v_add_u32_e32 v26, 10, v1
	v_cmp_gt_u32_e32 vcc, s10, v26
	s_and_saveexec_b64 s[4:5], vcc
	s_cbranch_execz .LBB421_460
; %bb.450:
	s_and_b64 vcc, exec, s[2:3]
	s_cbranch_vccnz .LBB421_457
; %bb.451:
	v_mul_lo_u32 v26, v23, s12
	v_mul_lo_u32 v27, v22, s13
	v_mad_u64_u32 v[22:23], s[20:21], v22, s12, 0
	v_add3_u32 v23, v23, v27, v26
	v_mul_lo_u32 v26, v21, s12
	v_mul_lo_u32 v27, v20, s13
	v_mad_u64_u32 v[28:29], s[20:21], v20, s12, 0
	v_add3_u32 v29, v29, v27, v26
	v_lshl_add_u64 v[26:27], v[22:23], 2, s[14:15]
	v_lshl_add_u64 v[28:29], v[28:29], 2, s[14:15]
	global_load_dword v22, v[26:27], off
	global_load_dword v23, v[28:29], off
	s_waitcnt vmcnt(0)
	v_cmp_eq_u32_e32 vcc, v22, v23
	v_mov_b64_e32 v[22:23], 1
	s_and_saveexec_b64 s[20:21], vcc
	s_cbranch_execz .LBB421_459
; %bb.452:
	s_add_u32 s22, s12, -1
	v_lshl_add_u64 v[22:23], v[28:29], 0, 4
	v_lshl_add_u64 v[26:27], v[26:27], 0, 4
	s_addc_u32 s23, s13, -1
	s_mov_b64 s[24:25], 0
	s_mov_b64 s[28:29], 0
                                        ; implicit-def: $sgpr26_sgpr27
	s_branch .LBB421_455
.LBB421_453:                            ;   in Loop: Header=BB421_455 Depth=1
	global_load_dword v28, v[26:27], off
	global_load_dword v29, v[22:23], off
	s_add_u32 s28, s28, 1
	s_addc_u32 s29, s29, 0
	s_andn2_b64 s[26:27], s[26:27], exec
	v_lshl_add_u64 v[22:23], v[22:23], 0, 4
	v_lshl_add_u64 v[26:27], v[26:27], 0, 4
	s_waitcnt vmcnt(0)
	v_cmp_ne_u32_e32 vcc, v28, v29
	s_and_b64 s[30:31], vcc, exec
	s_or_b64 s[26:27], s[26:27], s[30:31]
.LBB421_454:                            ;   in Loop: Header=BB421_455 Depth=1
	s_and_b64 s[30:31], exec, s[26:27]
	s_or_b64 s[24:25], s[30:31], s[24:25]
	v_mov_b64_e32 v[28:29], s[28:29]
	s_andn2_b64 exec, exec, s[24:25]
	s_cbranch_execz .LBB421_458
.LBB421_455:                            ; =>This Inner Loop Header: Depth=1
	s_or_b64 s[26:27], s[26:27], exec
	s_cmp_eq_u64 s[22:23], s[28:29]
	s_cbranch_scc0 .LBB421_453
; %bb.456:                              ;   in Loop: Header=BB421_455 Depth=1
                                        ; implicit-def: $vgpr22_vgpr23
                                        ; implicit-def: $vgpr26_vgpr27
	s_mov_b64 s[28:29], s[12:13]
	s_branch .LBB421_454
.LBB421_457:
	v_mov_b64_e32 v[22:23], 0
	s_branch .LBB421_460
.LBB421_458:
	s_or_b64 exec, exec, s[24:25]
	v_cmp_gt_i64_e32 vcc, s[12:13], v[28:29]
	s_mov_b32 s7, 0
	v_mov_b32_e32 v23, s7
	v_cndmask_b32_e64 v22, 0, 1, vcc
.LBB421_459:
	s_or_b64 exec, exec, s[20:21]
.LBB421_460:
	s_or_b64 exec, exec, s[4:5]
	v_add_u32_e32 v26, 9, v1
	v_cmp_gt_u32_e32 vcc, s10, v26
	s_and_saveexec_b64 s[4:5], vcc
	s_cbranch_execz .LBB421_471
; %bb.461:
	s_and_b64 vcc, exec, s[2:3]
	s_cbranch_vccnz .LBB421_468
; %bb.462:
	v_mul_lo_u32 v26, v21, s12
	v_mul_lo_u32 v27, v20, s13
	v_mad_u64_u32 v[20:21], s[20:21], v20, s12, 0
	v_add3_u32 v21, v21, v27, v26
	v_mul_lo_u32 v26, v19, s12
	v_mul_lo_u32 v27, v18, s13
	v_mad_u64_u32 v[28:29], s[20:21], v18, s12, 0
	v_add3_u32 v29, v29, v27, v26
	v_lshl_add_u64 v[26:27], v[20:21], 2, s[14:15]
	v_lshl_add_u64 v[28:29], v[28:29], 2, s[14:15]
	global_load_dword v20, v[26:27], off
	global_load_dword v21, v[28:29], off
	s_waitcnt vmcnt(0)
	v_cmp_eq_u32_e32 vcc, v20, v21
	v_mov_b64_e32 v[20:21], 1
	s_and_saveexec_b64 s[20:21], vcc
	s_cbranch_execz .LBB421_470
; %bb.463:
	s_add_u32 s22, s12, -1
	v_lshl_add_u64 v[20:21], v[28:29], 0, 4
	v_lshl_add_u64 v[26:27], v[26:27], 0, 4
	s_addc_u32 s23, s13, -1
	s_mov_b64 s[24:25], 0
	s_mov_b64 s[28:29], 0
                                        ; implicit-def: $sgpr26_sgpr27
	s_branch .LBB421_466
.LBB421_464:                            ;   in Loop: Header=BB421_466 Depth=1
	global_load_dword v28, v[26:27], off
	global_load_dword v29, v[20:21], off
	s_add_u32 s28, s28, 1
	s_addc_u32 s29, s29, 0
	s_andn2_b64 s[26:27], s[26:27], exec
	v_lshl_add_u64 v[20:21], v[20:21], 0, 4
	v_lshl_add_u64 v[26:27], v[26:27], 0, 4
	s_waitcnt vmcnt(0)
	v_cmp_ne_u32_e32 vcc, v28, v29
	s_and_b64 s[30:31], vcc, exec
	s_or_b64 s[26:27], s[26:27], s[30:31]
.LBB421_465:                            ;   in Loop: Header=BB421_466 Depth=1
	s_and_b64 s[30:31], exec, s[26:27]
	s_or_b64 s[24:25], s[30:31], s[24:25]
	v_mov_b64_e32 v[28:29], s[28:29]
	s_andn2_b64 exec, exec, s[24:25]
	s_cbranch_execz .LBB421_469
.LBB421_466:                            ; =>This Inner Loop Header: Depth=1
	s_or_b64 s[26:27], s[26:27], exec
	s_cmp_eq_u64 s[22:23], s[28:29]
	s_cbranch_scc0 .LBB421_464
; %bb.467:                              ;   in Loop: Header=BB421_466 Depth=1
                                        ; implicit-def: $vgpr20_vgpr21
                                        ; implicit-def: $vgpr26_vgpr27
	s_mov_b64 s[28:29], s[12:13]
	s_branch .LBB421_465
.LBB421_468:
	v_mov_b64_e32 v[20:21], 0
	s_branch .LBB421_471
.LBB421_469:
	s_or_b64 exec, exec, s[24:25]
	v_cmp_gt_i64_e32 vcc, s[12:13], v[28:29]
	s_mov_b32 s7, 0
	v_mov_b32_e32 v21, s7
	v_cndmask_b32_e64 v20, 0, 1, vcc
.LBB421_470:
	s_or_b64 exec, exec, s[20:21]
.LBB421_471:
	s_or_b64 exec, exec, s[4:5]
	v_add_u32_e32 v26, 8, v1
	v_cmp_gt_u32_e32 vcc, s10, v26
	s_and_saveexec_b64 s[4:5], vcc
	s_cbranch_execz .LBB421_482
; %bb.472:
	s_and_b64 vcc, exec, s[2:3]
	s_cbranch_vccnz .LBB421_479
; %bb.473:
	v_mul_lo_u32 v26, v19, s12
	v_mul_lo_u32 v27, v18, s13
	v_mad_u64_u32 v[18:19], s[20:21], v18, s12, 0
	v_add3_u32 v19, v19, v27, v26
	v_mul_lo_u32 v26, v17, s12
	v_mul_lo_u32 v27, v16, s13
	v_mad_u64_u32 v[28:29], s[20:21], v16, s12, 0
	v_add3_u32 v29, v29, v27, v26
	v_lshl_add_u64 v[26:27], v[18:19], 2, s[14:15]
	v_lshl_add_u64 v[28:29], v[28:29], 2, s[14:15]
	global_load_dword v18, v[26:27], off
	global_load_dword v19, v[28:29], off
	s_waitcnt vmcnt(0)
	v_cmp_eq_u32_e32 vcc, v18, v19
	v_mov_b64_e32 v[18:19], 1
	s_and_saveexec_b64 s[20:21], vcc
	s_cbranch_execz .LBB421_481
; %bb.474:
	s_add_u32 s22, s12, -1
	v_lshl_add_u64 v[18:19], v[28:29], 0, 4
	v_lshl_add_u64 v[26:27], v[26:27], 0, 4
	s_addc_u32 s23, s13, -1
	s_mov_b64 s[24:25], 0
	s_mov_b64 s[28:29], 0
                                        ; implicit-def: $sgpr26_sgpr27
	s_branch .LBB421_477
.LBB421_475:                            ;   in Loop: Header=BB421_477 Depth=1
	global_load_dword v28, v[26:27], off
	global_load_dword v29, v[18:19], off
	s_add_u32 s28, s28, 1
	s_addc_u32 s29, s29, 0
	s_andn2_b64 s[26:27], s[26:27], exec
	v_lshl_add_u64 v[18:19], v[18:19], 0, 4
	v_lshl_add_u64 v[26:27], v[26:27], 0, 4
	s_waitcnt vmcnt(0)
	v_cmp_ne_u32_e32 vcc, v28, v29
	s_and_b64 s[30:31], vcc, exec
	s_or_b64 s[26:27], s[26:27], s[30:31]
.LBB421_476:                            ;   in Loop: Header=BB421_477 Depth=1
	s_and_b64 s[30:31], exec, s[26:27]
	s_or_b64 s[24:25], s[30:31], s[24:25]
	v_mov_b64_e32 v[28:29], s[28:29]
	s_andn2_b64 exec, exec, s[24:25]
	s_cbranch_execz .LBB421_480
.LBB421_477:                            ; =>This Inner Loop Header: Depth=1
	s_or_b64 s[26:27], s[26:27], exec
	s_cmp_eq_u64 s[22:23], s[28:29]
	s_cbranch_scc0 .LBB421_475
; %bb.478:                              ;   in Loop: Header=BB421_477 Depth=1
                                        ; implicit-def: $vgpr18_vgpr19
                                        ; implicit-def: $vgpr26_vgpr27
	s_mov_b64 s[28:29], s[12:13]
	s_branch .LBB421_476
.LBB421_479:
	v_mov_b64_e32 v[18:19], 0
	s_branch .LBB421_482
.LBB421_480:
	s_or_b64 exec, exec, s[24:25]
	v_cmp_gt_i64_e32 vcc, s[12:13], v[28:29]
	s_mov_b32 s7, 0
	v_mov_b32_e32 v19, s7
	v_cndmask_b32_e64 v18, 0, 1, vcc
.LBB421_481:
	s_or_b64 exec, exec, s[20:21]
.LBB421_482:
	s_or_b64 exec, exec, s[4:5]
	v_add_u32_e32 v26, 7, v1
	v_cmp_gt_u32_e32 vcc, s10, v26
	s_and_saveexec_b64 s[4:5], vcc
	s_cbranch_execz .LBB421_493
; %bb.483:
	s_and_b64 vcc, exec, s[2:3]
	s_cbranch_vccnz .LBB421_490
; %bb.484:
	v_mul_lo_u32 v26, v17, s12
	v_mul_lo_u32 v27, v16, s13
	v_mad_u64_u32 v[16:17], s[20:21], v16, s12, 0
	v_add3_u32 v17, v17, v27, v26
	v_mul_lo_u32 v26, v15, s12
	v_mul_lo_u32 v27, v14, s13
	v_mad_u64_u32 v[28:29], s[20:21], v14, s12, 0
	v_add3_u32 v29, v29, v27, v26
	v_lshl_add_u64 v[26:27], v[16:17], 2, s[14:15]
	v_lshl_add_u64 v[28:29], v[28:29], 2, s[14:15]
	global_load_dword v16, v[26:27], off
	global_load_dword v17, v[28:29], off
	s_waitcnt vmcnt(0)
	v_cmp_eq_u32_e32 vcc, v16, v17
	v_mov_b64_e32 v[16:17], 1
	s_and_saveexec_b64 s[20:21], vcc
	s_cbranch_execz .LBB421_492
; %bb.485:
	s_add_u32 s22, s12, -1
	v_lshl_add_u64 v[16:17], v[28:29], 0, 4
	v_lshl_add_u64 v[26:27], v[26:27], 0, 4
	s_addc_u32 s23, s13, -1
	s_mov_b64 s[24:25], 0
	s_mov_b64 s[28:29], 0
                                        ; implicit-def: $sgpr26_sgpr27
	s_branch .LBB421_488
.LBB421_486:                            ;   in Loop: Header=BB421_488 Depth=1
	global_load_dword v28, v[26:27], off
	global_load_dword v29, v[16:17], off
	s_add_u32 s28, s28, 1
	s_addc_u32 s29, s29, 0
	s_andn2_b64 s[26:27], s[26:27], exec
	v_lshl_add_u64 v[16:17], v[16:17], 0, 4
	v_lshl_add_u64 v[26:27], v[26:27], 0, 4
	s_waitcnt vmcnt(0)
	v_cmp_ne_u32_e32 vcc, v28, v29
	s_and_b64 s[30:31], vcc, exec
	s_or_b64 s[26:27], s[26:27], s[30:31]
.LBB421_487:                            ;   in Loop: Header=BB421_488 Depth=1
	s_and_b64 s[30:31], exec, s[26:27]
	s_or_b64 s[24:25], s[30:31], s[24:25]
	v_mov_b64_e32 v[28:29], s[28:29]
	s_andn2_b64 exec, exec, s[24:25]
	s_cbranch_execz .LBB421_491
.LBB421_488:                            ; =>This Inner Loop Header: Depth=1
	s_or_b64 s[26:27], s[26:27], exec
	s_cmp_eq_u64 s[22:23], s[28:29]
	s_cbranch_scc0 .LBB421_486
; %bb.489:                              ;   in Loop: Header=BB421_488 Depth=1
                                        ; implicit-def: $vgpr16_vgpr17
                                        ; implicit-def: $vgpr26_vgpr27
	s_mov_b64 s[28:29], s[12:13]
	s_branch .LBB421_487
.LBB421_490:
	v_mov_b64_e32 v[16:17], 0
	s_branch .LBB421_493
.LBB421_491:
	s_or_b64 exec, exec, s[24:25]
	v_cmp_gt_i64_e32 vcc, s[12:13], v[28:29]
	s_mov_b32 s7, 0
	v_mov_b32_e32 v17, s7
	v_cndmask_b32_e64 v16, 0, 1, vcc
.LBB421_492:
	s_or_b64 exec, exec, s[20:21]
.LBB421_493:
	s_or_b64 exec, exec, s[4:5]
	v_add_u32_e32 v26, 6, v1
	v_cmp_gt_u32_e32 vcc, s10, v26
	s_and_saveexec_b64 s[4:5], vcc
	s_cbranch_execz .LBB421_504
; %bb.494:
	s_and_b64 vcc, exec, s[2:3]
	s_cbranch_vccnz .LBB421_501
; %bb.495:
	v_mul_lo_u32 v26, v15, s12
	v_mul_lo_u32 v27, v14, s13
	v_mad_u64_u32 v[14:15], s[20:21], v14, s12, 0
	v_add3_u32 v15, v15, v27, v26
	v_mul_lo_u32 v26, v13, s12
	v_mul_lo_u32 v27, v12, s13
	v_mad_u64_u32 v[28:29], s[20:21], v12, s12, 0
	v_add3_u32 v29, v29, v27, v26
	v_lshl_add_u64 v[26:27], v[14:15], 2, s[14:15]
	v_lshl_add_u64 v[28:29], v[28:29], 2, s[14:15]
	global_load_dword v14, v[26:27], off
	global_load_dword v15, v[28:29], off
	s_waitcnt vmcnt(0)
	v_cmp_eq_u32_e32 vcc, v14, v15
	v_mov_b64_e32 v[14:15], 1
	s_and_saveexec_b64 s[20:21], vcc
	s_cbranch_execz .LBB421_503
; %bb.496:
	s_add_u32 s22, s12, -1
	v_lshl_add_u64 v[14:15], v[28:29], 0, 4
	v_lshl_add_u64 v[26:27], v[26:27], 0, 4
	s_addc_u32 s23, s13, -1
	s_mov_b64 s[24:25], 0
	s_mov_b64 s[28:29], 0
                                        ; implicit-def: $sgpr26_sgpr27
	s_branch .LBB421_499
.LBB421_497:                            ;   in Loop: Header=BB421_499 Depth=1
	global_load_dword v28, v[26:27], off
	global_load_dword v29, v[14:15], off
	s_add_u32 s28, s28, 1
	s_addc_u32 s29, s29, 0
	s_andn2_b64 s[26:27], s[26:27], exec
	v_lshl_add_u64 v[14:15], v[14:15], 0, 4
	v_lshl_add_u64 v[26:27], v[26:27], 0, 4
	s_waitcnt vmcnt(0)
	v_cmp_ne_u32_e32 vcc, v28, v29
	s_and_b64 s[30:31], vcc, exec
	s_or_b64 s[26:27], s[26:27], s[30:31]
.LBB421_498:                            ;   in Loop: Header=BB421_499 Depth=1
	s_and_b64 s[30:31], exec, s[26:27]
	s_or_b64 s[24:25], s[30:31], s[24:25]
	v_mov_b64_e32 v[28:29], s[28:29]
	s_andn2_b64 exec, exec, s[24:25]
	s_cbranch_execz .LBB421_502
.LBB421_499:                            ; =>This Inner Loop Header: Depth=1
	s_or_b64 s[26:27], s[26:27], exec
	s_cmp_eq_u64 s[22:23], s[28:29]
	s_cbranch_scc0 .LBB421_497
; %bb.500:                              ;   in Loop: Header=BB421_499 Depth=1
                                        ; implicit-def: $vgpr14_vgpr15
                                        ; implicit-def: $vgpr26_vgpr27
	s_mov_b64 s[28:29], s[12:13]
	s_branch .LBB421_498
.LBB421_501:
	v_mov_b64_e32 v[14:15], 0
	s_branch .LBB421_504
.LBB421_502:
	s_or_b64 exec, exec, s[24:25]
	v_cmp_gt_i64_e32 vcc, s[12:13], v[28:29]
	s_mov_b32 s7, 0
	v_mov_b32_e32 v15, s7
	v_cndmask_b32_e64 v14, 0, 1, vcc
.LBB421_503:
	s_or_b64 exec, exec, s[20:21]
.LBB421_504:
	s_or_b64 exec, exec, s[4:5]
	v_add_u32_e32 v26, 5, v1
	v_cmp_gt_u32_e32 vcc, s10, v26
	s_and_saveexec_b64 s[4:5], vcc
	s_cbranch_execz .LBB421_515
; %bb.505:
	s_and_b64 vcc, exec, s[2:3]
	s_cbranch_vccnz .LBB421_512
; %bb.506:
	v_mul_lo_u32 v26, v13, s12
	v_mul_lo_u32 v27, v12, s13
	v_mad_u64_u32 v[12:13], s[20:21], v12, s12, 0
	v_add3_u32 v13, v13, v27, v26
	v_mul_lo_u32 v26, v11, s12
	v_mul_lo_u32 v27, v10, s13
	v_mad_u64_u32 v[28:29], s[20:21], v10, s12, 0
	v_add3_u32 v29, v29, v27, v26
	v_lshl_add_u64 v[26:27], v[12:13], 2, s[14:15]
	v_lshl_add_u64 v[28:29], v[28:29], 2, s[14:15]
	global_load_dword v12, v[26:27], off
	global_load_dword v13, v[28:29], off
	s_waitcnt vmcnt(0)
	v_cmp_eq_u32_e32 vcc, v12, v13
	v_mov_b64_e32 v[12:13], 1
	s_and_saveexec_b64 s[20:21], vcc
	s_cbranch_execz .LBB421_514
; %bb.507:
	s_add_u32 s22, s12, -1
	v_lshl_add_u64 v[12:13], v[28:29], 0, 4
	v_lshl_add_u64 v[26:27], v[26:27], 0, 4
	s_addc_u32 s23, s13, -1
	s_mov_b64 s[24:25], 0
	s_mov_b64 s[28:29], 0
                                        ; implicit-def: $sgpr26_sgpr27
	s_branch .LBB421_510
.LBB421_508:                            ;   in Loop: Header=BB421_510 Depth=1
	global_load_dword v28, v[26:27], off
	global_load_dword v29, v[12:13], off
	s_add_u32 s28, s28, 1
	s_addc_u32 s29, s29, 0
	s_andn2_b64 s[26:27], s[26:27], exec
	v_lshl_add_u64 v[12:13], v[12:13], 0, 4
	v_lshl_add_u64 v[26:27], v[26:27], 0, 4
	s_waitcnt vmcnt(0)
	v_cmp_ne_u32_e32 vcc, v28, v29
	s_and_b64 s[30:31], vcc, exec
	s_or_b64 s[26:27], s[26:27], s[30:31]
.LBB421_509:                            ;   in Loop: Header=BB421_510 Depth=1
	s_and_b64 s[30:31], exec, s[26:27]
	s_or_b64 s[24:25], s[30:31], s[24:25]
	v_mov_b64_e32 v[28:29], s[28:29]
	s_andn2_b64 exec, exec, s[24:25]
	s_cbranch_execz .LBB421_513
.LBB421_510:                            ; =>This Inner Loop Header: Depth=1
	s_or_b64 s[26:27], s[26:27], exec
	s_cmp_eq_u64 s[22:23], s[28:29]
	s_cbranch_scc0 .LBB421_508
; %bb.511:                              ;   in Loop: Header=BB421_510 Depth=1
                                        ; implicit-def: $vgpr12_vgpr13
                                        ; implicit-def: $vgpr26_vgpr27
	s_mov_b64 s[28:29], s[12:13]
	s_branch .LBB421_509
.LBB421_512:
	v_mov_b64_e32 v[12:13], 0
	s_branch .LBB421_515
.LBB421_513:
	s_or_b64 exec, exec, s[24:25]
	v_cmp_gt_i64_e32 vcc, s[12:13], v[28:29]
	s_mov_b32 s7, 0
	v_mov_b32_e32 v13, s7
	v_cndmask_b32_e64 v12, 0, 1, vcc
.LBB421_514:
	s_or_b64 exec, exec, s[20:21]
.LBB421_515:
	s_or_b64 exec, exec, s[4:5]
	v_add_u32_e32 v26, 4, v1
	v_cmp_gt_u32_e32 vcc, s10, v26
	s_and_saveexec_b64 s[4:5], vcc
	s_cbranch_execz .LBB421_526
; %bb.516:
	s_and_b64 vcc, exec, s[2:3]
	s_cbranch_vccnz .LBB421_523
; %bb.517:
	v_mul_lo_u32 v26, v11, s12
	v_mul_lo_u32 v27, v10, s13
	v_mad_u64_u32 v[10:11], s[20:21], v10, s12, 0
	v_add3_u32 v11, v11, v27, v26
	v_mul_lo_u32 v26, v9, s12
	v_mul_lo_u32 v27, v8, s13
	v_mad_u64_u32 v[28:29], s[20:21], v8, s12, 0
	v_add3_u32 v29, v29, v27, v26
	v_lshl_add_u64 v[26:27], v[10:11], 2, s[14:15]
	v_lshl_add_u64 v[28:29], v[28:29], 2, s[14:15]
	global_load_dword v10, v[26:27], off
	global_load_dword v11, v[28:29], off
	s_waitcnt vmcnt(0)
	v_cmp_eq_u32_e32 vcc, v10, v11
	v_mov_b64_e32 v[10:11], 1
	s_and_saveexec_b64 s[20:21], vcc
	s_cbranch_execz .LBB421_525
; %bb.518:
	s_add_u32 s22, s12, -1
	v_lshl_add_u64 v[10:11], v[28:29], 0, 4
	v_lshl_add_u64 v[26:27], v[26:27], 0, 4
	s_addc_u32 s23, s13, -1
	s_mov_b64 s[24:25], 0
	s_mov_b64 s[28:29], 0
                                        ; implicit-def: $sgpr26_sgpr27
	s_branch .LBB421_521
.LBB421_519:                            ;   in Loop: Header=BB421_521 Depth=1
	global_load_dword v28, v[26:27], off
	global_load_dword v29, v[10:11], off
	s_add_u32 s28, s28, 1
	s_addc_u32 s29, s29, 0
	s_andn2_b64 s[26:27], s[26:27], exec
	v_lshl_add_u64 v[10:11], v[10:11], 0, 4
	v_lshl_add_u64 v[26:27], v[26:27], 0, 4
	s_waitcnt vmcnt(0)
	v_cmp_ne_u32_e32 vcc, v28, v29
	s_and_b64 s[30:31], vcc, exec
	s_or_b64 s[26:27], s[26:27], s[30:31]
.LBB421_520:                            ;   in Loop: Header=BB421_521 Depth=1
	s_and_b64 s[30:31], exec, s[26:27]
	s_or_b64 s[24:25], s[30:31], s[24:25]
	v_mov_b64_e32 v[28:29], s[28:29]
	s_andn2_b64 exec, exec, s[24:25]
	s_cbranch_execz .LBB421_524
.LBB421_521:                            ; =>This Inner Loop Header: Depth=1
	s_or_b64 s[26:27], s[26:27], exec
	s_cmp_eq_u64 s[22:23], s[28:29]
	s_cbranch_scc0 .LBB421_519
; %bb.522:                              ;   in Loop: Header=BB421_521 Depth=1
                                        ; implicit-def: $vgpr10_vgpr11
                                        ; implicit-def: $vgpr26_vgpr27
	s_mov_b64 s[28:29], s[12:13]
	s_branch .LBB421_520
.LBB421_523:
	v_mov_b64_e32 v[10:11], 0
	s_branch .LBB421_526
.LBB421_524:
	s_or_b64 exec, exec, s[24:25]
	v_cmp_gt_i64_e32 vcc, s[12:13], v[28:29]
	s_mov_b32 s7, 0
	v_mov_b32_e32 v11, s7
	v_cndmask_b32_e64 v10, 0, 1, vcc
.LBB421_525:
	s_or_b64 exec, exec, s[20:21]
.LBB421_526:
	s_or_b64 exec, exec, s[4:5]
	v_add_u32_e32 v26, 3, v1
	v_cmp_gt_u32_e32 vcc, s10, v26
	s_and_saveexec_b64 s[4:5], vcc
	s_cbranch_execz .LBB421_537
; %bb.527:
	s_and_b64 vcc, exec, s[2:3]
	s_cbranch_vccnz .LBB421_534
; %bb.528:
	v_mul_lo_u32 v26, v9, s12
	v_mul_lo_u32 v27, v8, s13
	v_mad_u64_u32 v[8:9], s[20:21], v8, s12, 0
	v_add3_u32 v9, v9, v27, v26
	v_mul_lo_u32 v26, v7, s12
	v_mul_lo_u32 v27, v6, s13
	v_mad_u64_u32 v[28:29], s[20:21], v6, s12, 0
	v_add3_u32 v29, v29, v27, v26
	v_lshl_add_u64 v[26:27], v[8:9], 2, s[14:15]
	v_lshl_add_u64 v[28:29], v[28:29], 2, s[14:15]
	global_load_dword v8, v[26:27], off
	global_load_dword v9, v[28:29], off
	s_waitcnt vmcnt(0)
	v_cmp_eq_u32_e32 vcc, v8, v9
	v_mov_b64_e32 v[8:9], 1
	s_and_saveexec_b64 s[20:21], vcc
	s_cbranch_execz .LBB421_536
; %bb.529:
	s_add_u32 s22, s12, -1
	v_lshl_add_u64 v[8:9], v[28:29], 0, 4
	v_lshl_add_u64 v[26:27], v[26:27], 0, 4
	s_addc_u32 s23, s13, -1
	s_mov_b64 s[24:25], 0
	s_mov_b64 s[28:29], 0
                                        ; implicit-def: $sgpr26_sgpr27
	s_branch .LBB421_532
.LBB421_530:                            ;   in Loop: Header=BB421_532 Depth=1
	global_load_dword v28, v[26:27], off
	global_load_dword v29, v[8:9], off
	s_add_u32 s28, s28, 1
	s_addc_u32 s29, s29, 0
	s_andn2_b64 s[26:27], s[26:27], exec
	v_lshl_add_u64 v[8:9], v[8:9], 0, 4
	v_lshl_add_u64 v[26:27], v[26:27], 0, 4
	s_waitcnt vmcnt(0)
	v_cmp_ne_u32_e32 vcc, v28, v29
	s_and_b64 s[30:31], vcc, exec
	s_or_b64 s[26:27], s[26:27], s[30:31]
.LBB421_531:                            ;   in Loop: Header=BB421_532 Depth=1
	s_and_b64 s[30:31], exec, s[26:27]
	s_or_b64 s[24:25], s[30:31], s[24:25]
	v_mov_b64_e32 v[28:29], s[28:29]
	s_andn2_b64 exec, exec, s[24:25]
	s_cbranch_execz .LBB421_535
.LBB421_532:                            ; =>This Inner Loop Header: Depth=1
	s_or_b64 s[26:27], s[26:27], exec
	s_cmp_eq_u64 s[22:23], s[28:29]
	s_cbranch_scc0 .LBB421_530
; %bb.533:                              ;   in Loop: Header=BB421_532 Depth=1
                                        ; implicit-def: $vgpr8_vgpr9
                                        ; implicit-def: $vgpr26_vgpr27
	s_mov_b64 s[28:29], s[12:13]
	s_branch .LBB421_531
.LBB421_534:
	v_mov_b64_e32 v[8:9], 0
	s_branch .LBB421_537
.LBB421_535:
	s_or_b64 exec, exec, s[24:25]
	v_cmp_gt_i64_e32 vcc, s[12:13], v[28:29]
	s_mov_b32 s7, 0
	v_mov_b32_e32 v9, s7
	v_cndmask_b32_e64 v8, 0, 1, vcc
.LBB421_536:
	s_or_b64 exec, exec, s[20:21]
.LBB421_537:
	s_or_b64 exec, exec, s[4:5]
	v_add_u32_e32 v26, 2, v1
	v_cmp_gt_u32_e32 vcc, s10, v26
	s_and_saveexec_b64 s[4:5], vcc
	s_cbranch_execz .LBB421_548
; %bb.538:
	s_and_b64 vcc, exec, s[2:3]
	s_cbranch_vccnz .LBB421_545
; %bb.539:
	v_mul_lo_u32 v26, v7, s12
	v_mul_lo_u32 v27, v6, s13
	v_mad_u64_u32 v[6:7], s[20:21], v6, s12, 0
	v_add3_u32 v7, v7, v27, v26
	v_mul_lo_u32 v26, v5, s12
	v_mul_lo_u32 v27, v4, s13
	v_mad_u64_u32 v[28:29], s[20:21], v4, s12, 0
	v_add3_u32 v29, v29, v27, v26
	v_lshl_add_u64 v[26:27], v[6:7], 2, s[14:15]
	v_lshl_add_u64 v[28:29], v[28:29], 2, s[14:15]
	global_load_dword v6, v[26:27], off
	global_load_dword v7, v[28:29], off
	s_waitcnt vmcnt(0)
	v_cmp_eq_u32_e32 vcc, v6, v7
	v_mov_b64_e32 v[6:7], 1
	s_and_saveexec_b64 s[20:21], vcc
	s_cbranch_execz .LBB421_547
; %bb.540:
	s_add_u32 s22, s12, -1
	v_lshl_add_u64 v[6:7], v[28:29], 0, 4
	v_lshl_add_u64 v[26:27], v[26:27], 0, 4
	s_addc_u32 s23, s13, -1
	s_mov_b64 s[24:25], 0
	s_mov_b64 s[28:29], 0
                                        ; implicit-def: $sgpr26_sgpr27
	s_branch .LBB421_543
.LBB421_541:                            ;   in Loop: Header=BB421_543 Depth=1
	global_load_dword v28, v[26:27], off
	global_load_dword v29, v[6:7], off
	s_add_u32 s28, s28, 1
	s_addc_u32 s29, s29, 0
	s_andn2_b64 s[26:27], s[26:27], exec
	v_lshl_add_u64 v[6:7], v[6:7], 0, 4
	v_lshl_add_u64 v[26:27], v[26:27], 0, 4
	s_waitcnt vmcnt(0)
	v_cmp_ne_u32_e32 vcc, v28, v29
	s_and_b64 s[30:31], vcc, exec
	s_or_b64 s[26:27], s[26:27], s[30:31]
.LBB421_542:                            ;   in Loop: Header=BB421_543 Depth=1
	s_and_b64 s[30:31], exec, s[26:27]
	s_or_b64 s[24:25], s[30:31], s[24:25]
	v_mov_b64_e32 v[28:29], s[28:29]
	s_andn2_b64 exec, exec, s[24:25]
	s_cbranch_execz .LBB421_546
.LBB421_543:                            ; =>This Inner Loop Header: Depth=1
	s_or_b64 s[26:27], s[26:27], exec
	s_cmp_eq_u64 s[22:23], s[28:29]
	s_cbranch_scc0 .LBB421_541
; %bb.544:                              ;   in Loop: Header=BB421_543 Depth=1
                                        ; implicit-def: $vgpr6_vgpr7
                                        ; implicit-def: $vgpr26_vgpr27
	s_mov_b64 s[28:29], s[12:13]
	s_branch .LBB421_542
.LBB421_545:
	v_mov_b64_e32 v[6:7], 0
	s_branch .LBB421_548
.LBB421_546:
	s_or_b64 exec, exec, s[24:25]
	v_cmp_gt_i64_e32 vcc, s[12:13], v[28:29]
	s_mov_b32 s7, 0
	v_mov_b32_e32 v7, s7
	v_cndmask_b32_e64 v6, 0, 1, vcc
.LBB421_547:
	s_or_b64 exec, exec, s[20:21]
.LBB421_548:
	s_or_b64 exec, exec, s[4:5]
	v_add_u32_e32 v26, 1, v1
	v_cmp_gt_u32_e32 vcc, s10, v26
	s_and_saveexec_b64 s[4:5], vcc
	s_cbranch_execz .LBB421_559
; %bb.549:
	s_and_b64 vcc, exec, s[2:3]
	s_cbranch_vccnz .LBB421_556
; %bb.550:
	v_mul_lo_u32 v26, v5, s12
	v_mul_lo_u32 v27, v4, s13
	v_mad_u64_u32 v[4:5], s[20:21], v4, s12, 0
	v_add3_u32 v5, v5, v27, v26
	v_mul_lo_u32 v26, v3, s12
	v_mul_lo_u32 v27, v2, s13
	v_mad_u64_u32 v[28:29], s[20:21], v2, s12, 0
	v_add3_u32 v29, v29, v27, v26
	v_lshl_add_u64 v[26:27], v[4:5], 2, s[14:15]
	v_lshl_add_u64 v[28:29], v[28:29], 2, s[14:15]
	global_load_dword v4, v[26:27], off
	global_load_dword v5, v[28:29], off
	s_waitcnt vmcnt(0)
	v_cmp_eq_u32_e32 vcc, v4, v5
	v_mov_b64_e32 v[4:5], 1
	s_and_saveexec_b64 s[20:21], vcc
	s_cbranch_execz .LBB421_558
; %bb.551:
	s_add_u32 s22, s12, -1
	v_lshl_add_u64 v[4:5], v[28:29], 0, 4
	v_lshl_add_u64 v[26:27], v[26:27], 0, 4
	s_addc_u32 s23, s13, -1
	s_mov_b64 s[24:25], 0
	s_mov_b64 s[28:29], 0
                                        ; implicit-def: $sgpr26_sgpr27
	s_branch .LBB421_554
.LBB421_552:                            ;   in Loop: Header=BB421_554 Depth=1
	global_load_dword v28, v[26:27], off
	global_load_dword v29, v[4:5], off
	s_add_u32 s28, s28, 1
	s_addc_u32 s29, s29, 0
	s_andn2_b64 s[26:27], s[26:27], exec
	v_lshl_add_u64 v[4:5], v[4:5], 0, 4
	v_lshl_add_u64 v[26:27], v[26:27], 0, 4
	s_waitcnt vmcnt(0)
	v_cmp_ne_u32_e32 vcc, v28, v29
	s_and_b64 s[30:31], vcc, exec
	s_or_b64 s[26:27], s[26:27], s[30:31]
.LBB421_553:                            ;   in Loop: Header=BB421_554 Depth=1
	s_and_b64 s[30:31], exec, s[26:27]
	s_or_b64 s[24:25], s[30:31], s[24:25]
	v_mov_b64_e32 v[28:29], s[28:29]
	s_andn2_b64 exec, exec, s[24:25]
	s_cbranch_execz .LBB421_557
.LBB421_554:                            ; =>This Inner Loop Header: Depth=1
	s_or_b64 s[26:27], s[26:27], exec
	s_cmp_eq_u64 s[22:23], s[28:29]
	s_cbranch_scc0 .LBB421_552
; %bb.555:                              ;   in Loop: Header=BB421_554 Depth=1
                                        ; implicit-def: $vgpr4_vgpr5
                                        ; implicit-def: $vgpr26_vgpr27
	s_mov_b64 s[28:29], s[12:13]
	s_branch .LBB421_553
.LBB421_556:
	v_mov_b64_e32 v[4:5], 0
	s_branch .LBB421_559
.LBB421_557:
	s_or_b64 exec, exec, s[24:25]
	v_cmp_gt_i64_e32 vcc, s[12:13], v[28:29]
	s_mov_b32 s7, 0
	v_mov_b32_e32 v5, s7
	v_cndmask_b32_e64 v4, 0, 1, vcc
.LBB421_558:
	s_or_b64 exec, exec, s[20:21]
.LBB421_559:
	s_or_b64 exec, exec, s[4:5]
	v_cmp_ne_u32_e32 vcc, 0, v0
	v_cmp_gt_u32_e64 s[4:5], s10, v1
	s_and_b64 s[20:21], vcc, s[4:5]
	s_waitcnt lgkmcnt(0)
	; wave barrier
	s_waitcnt lgkmcnt(0)
                                        ; implicit-def: $sgpr24_sgpr25
	s_and_saveexec_b64 s[4:5], s[20:21]
	s_cbranch_execz .LBB421_571
; %bb.560:
	s_and_b64 vcc, exec, s[2:3]
	s_cbranch_vccnz .LBB421_567
; %bb.561:
	v_mul_lo_u32 v1, v3, s12
	v_add_u32_e32 v3, -8, v48
	ds_read_b64 v[26:27], v3
	v_mul_lo_u32 v28, v2, s13
	v_mad_u64_u32 v[2:3], s[2:3], v2, s12, 0
	v_add3_u32 v3, v3, v28, v1
	s_waitcnt lgkmcnt(0)
	v_mul_lo_u32 v1, v27, s12
	v_mul_lo_u32 v27, v26, s13
	v_mad_u64_u32 v[28:29], s[2:3], v26, s12, 0
	v_add3_u32 v29, v29, v27, v1
	v_lshl_add_u64 v[26:27], v[2:3], 2, s[14:15]
	v_lshl_add_u64 v[2:3], v[28:29], 2, s[14:15]
	global_load_dword v1, v[26:27], off
	global_load_dword v28, v[2:3], off
	s_mov_b64 s[14:15], -1
	s_waitcnt vmcnt(0)
	v_cmp_eq_u32_e32 vcc, v1, v28
	s_and_saveexec_b64 s[2:3], vcc
	s_cbranch_execz .LBB421_569
; %bb.562:
	s_add_u32 s14, s12, -1
	v_lshl_add_u64 v[2:3], v[2:3], 0, 4
	v_lshl_add_u64 v[26:27], v[26:27], 0, 4
	s_addc_u32 s15, s13, -1
	s_mov_b64 s[20:21], 0
	s_mov_b64 s[24:25], 0
                                        ; implicit-def: $sgpr22_sgpr23
	s_branch .LBB421_565
.LBB421_563:                            ;   in Loop: Header=BB421_565 Depth=1
	global_load_dword v1, v[26:27], off
	global_load_dword v28, v[2:3], off
	s_add_u32 s24, s24, 1
	s_addc_u32 s25, s25, 0
	s_andn2_b64 s[22:23], s[22:23], exec
	v_lshl_add_u64 v[2:3], v[2:3], 0, 4
	v_lshl_add_u64 v[26:27], v[26:27], 0, 4
	s_waitcnt vmcnt(0)
	v_cmp_ne_u32_e32 vcc, v1, v28
	s_and_b64 s[26:27], vcc, exec
	s_or_b64 s[22:23], s[22:23], s[26:27]
.LBB421_564:                            ;   in Loop: Header=BB421_565 Depth=1
	s_and_b64 s[26:27], exec, s[22:23]
	s_or_b64 s[20:21], s[26:27], s[20:21]
	v_mov_b64_e32 v[28:29], s[24:25]
	s_andn2_b64 exec, exec, s[20:21]
	s_cbranch_execz .LBB421_568
.LBB421_565:                            ; =>This Inner Loop Header: Depth=1
	s_or_b64 s[22:23], s[22:23], exec
	s_cmp_eq_u64 s[14:15], s[24:25]
	s_cbranch_scc0 .LBB421_563
; %bb.566:                              ;   in Loop: Header=BB421_565 Depth=1
                                        ; implicit-def: $vgpr2_vgpr3
                                        ; implicit-def: $vgpr26_vgpr27
	s_mov_b64 s[24:25], s[12:13]
	s_branch .LBB421_564
.LBB421_567:
	s_mov_b64 s[14:15], 0
	s_branch .LBB421_570
.LBB421_568:
	s_or_b64 exec, exec, s[20:21]
	v_cmp_gt_i64_e32 vcc, s[12:13], v[28:29]
	s_orn2_b64 s[14:15], vcc, exec
.LBB421_569:
	s_or_b64 exec, exec, s[2:3]
.LBB421_570:
	s_and_b64 s[24:25], s[14:15], exec
	s_or_b64 s[18:19], s[18:19], exec
.LBB421_571:
	s_or_b64 exec, exec, s[4:5]
	v_mov_b64_e32 v[50:51], v[44:45]
	v_mov_b64_e32 v[52:53], v[24:25]
	;; [unrolled: 1-line block ×23, first 2 shown]
.LBB421_572:
	s_and_saveexec_b64 s[2:3], s[18:19]
	s_cbranch_execz .LBB421_574
; %bb.573:
	s_mov_b32 s4, 0
	v_cndmask_b32_e64 v2, 0, 1, s[24:25]
	v_mov_b32_e32 v3, s4
	v_mov_b64_e32 v[30:31], v[54:55]
	v_mov_b64_e32 v[80:81], v[56:57]
	;; [unrolled: 1-line block ×9, first 2 shown]
	s_waitcnt lgkmcnt(0)
	v_mov_b64_e32 v[26:27], v[46:47]
	v_mov_b64_e32 v[72:73], v[52:53]
.LBB421_574:
	s_or_b64 exec, exec, s[2:3]
	s_add_u32 s4, s8, s16
	s_addc_u32 s5, s9, s17
	s_and_b64 vcc, exec, s[0:1]
	s_waitcnt lgkmcnt(0)
	; wave barrier
	s_waitcnt lgkmcnt(0)
	s_cbranch_vccz .LBB421_600
; %bb.575:
	s_movk_i32 s2, 0x68
	v_mul_u32_u24_e32 v1, 0x68, v0
	v_mov_b32_e32 v4, v82
	v_mov_b32_e32 v5, v83
	v_mul_i32_i24_e32 v28, 0xffffffa0, v0
	ds_write2_b64 v1, v[2:3], v[4:5] offset1:1
	ds_write2_b64 v1, v[74:75], v[42:43] offset0:2 offset1:3
	ds_write2_b64 v1, v[76:77], v[38:39] offset0:4 offset1:5
	;; [unrolled: 1-line block ×5, first 2 shown]
	ds_write_b64 v1, v[50:51] offset:96
	v_mad_u32_u24 v4, v0, s2, v28
	s_waitcnt lgkmcnt(0)
	; wave barrier
	s_waitcnt lgkmcnt(0)
	ds_read2st64_b64 v[44:47], v4 offset0:1 offset1:2
	ds_read2st64_b64 v[20:23], v4 offset0:3 offset1:4
	ds_read2st64_b64 v[16:19], v4 offset0:5 offset1:6
	ds_read2st64_b64 v[12:15], v4 offset0:7 offset1:8
	ds_read2st64_b64 v[8:11], v4 offset0:9 offset1:10
	ds_read2st64_b64 v[4:7], v4 offset0:11 offset1:12
	s_mov_b32 s7, 0
	s_add_i32 s11, s11, s10
	s_lshl_b64 s[0:1], s[6:7], 3
	s_add_u32 s0, s4, s0
	s_addc_u32 s1, s5, s1
	v_mov_b32_e32 v49, 0
	v_lshl_add_u64 v[24:25], s[0:1], 0, v[48:49]
	v_cmp_gt_u32_e32 vcc, s11, v0
	s_and_saveexec_b64 s[0:1], vcc
	s_cbranch_execz .LBB421_577
; %bb.576:
	v_add_u32_e32 v1, v1, v28
	ds_read_b64 v[28:29], v1
	s_waitcnt lgkmcnt(0)
	global_store_dwordx2 v[24:25], v[28:29], off
.LBB421_577:
	s_or_b64 exec, exec, s[0:1]
	v_or_b32_e32 v1, 64, v0
	v_cmp_gt_u32_e32 vcc, s11, v1
	s_and_saveexec_b64 s[0:1], vcc
	s_cbranch_execz .LBB421_579
; %bb.578:
	s_waitcnt lgkmcnt(5)
	global_store_dwordx2 v[24:25], v[44:45], off offset:512
.LBB421_579:
	s_or_b64 exec, exec, s[0:1]
	v_or_b32_e32 v1, 0x80, v0
	v_cmp_gt_u32_e32 vcc, s11, v1
	s_and_saveexec_b64 s[0:1], vcc
	s_cbranch_execz .LBB421_581
; %bb.580:
	s_waitcnt lgkmcnt(5)
	global_store_dwordx2 v[24:25], v[46:47], off offset:1024
.LBB421_581:
	;; [unrolled: 9-line block ×7, first 2 shown]
	s_or_b64 exec, exec, s[0:1]
	v_or_b32_e32 v1, 0x200, v0
	v_cmp_gt_u32_e32 vcc, s11, v1
	s_and_saveexec_b64 s[0:1], vcc
	s_cbranch_execz .LBB421_593
; %bb.592:
	s_waitcnt lgkmcnt(2)
	v_add_co_u32_e32 v12, vcc, 0x1000, v24
	s_nop 1
	v_addc_co_u32_e32 v13, vcc, 0, v25, vcc
	global_store_dwordx2 v[12:13], v[14:15], off
.LBB421_593:
	s_or_b64 exec, exec, s[0:1]
	v_or_b32_e32 v1, 0x240, v0
	v_cmp_gt_u32_e32 vcc, s11, v1
	s_and_saveexec_b64 s[0:1], vcc
	s_cbranch_execz .LBB421_595
; %bb.594:
	s_waitcnt lgkmcnt(2)
	v_add_co_u32_e32 v12, vcc, 0x1000, v24
	s_nop 1
	v_addc_co_u32_e32 v13, vcc, 0, v25, vcc
	s_waitcnt lgkmcnt(1)
	global_store_dwordx2 v[12:13], v[8:9], off offset:512
.LBB421_595:
	s_or_b64 exec, exec, s[0:1]
	v_or_b32_e32 v1, 0x280, v0
	v_cmp_gt_u32_e32 vcc, s11, v1
	s_and_saveexec_b64 s[0:1], vcc
	s_cbranch_execz .LBB421_597
; %bb.596:
	s_waitcnt lgkmcnt(1)
	v_add_co_u32_e32 v8, vcc, 0x1000, v24
	s_nop 1
	v_addc_co_u32_e32 v9, vcc, 0, v25, vcc
	global_store_dwordx2 v[8:9], v[10:11], off offset:1024
.LBB421_597:
	s_or_b64 exec, exec, s[0:1]
	v_or_b32_e32 v1, 0x2c0, v0
	v_cmp_gt_u32_e32 vcc, s11, v1
	s_and_saveexec_b64 s[0:1], vcc
	s_cbranch_execz .LBB421_599
; %bb.598:
	s_waitcnt lgkmcnt(1)
	v_add_co_u32_e32 v8, vcc, 0x1000, v24
	s_nop 1
	v_addc_co_u32_e32 v9, vcc, 0, v25, vcc
	s_waitcnt lgkmcnt(0)
	global_store_dwordx2 v[8:9], v[4:5], off offset:1536
.LBB421_599:
	s_or_b64 exec, exec, s[0:1]
	v_or_b32_e32 v1, 0x300, v0
	v_cmp_gt_u32_e64 s[0:1], s11, v1
	s_branch .LBB421_602
.LBB421_600:
	s_mov_b64 s[0:1], 0
                                        ; implicit-def: $vgpr6_vgpr7
                                        ; implicit-def: $vgpr24_vgpr25
	s_cbranch_execz .LBB421_602
; %bb.601:
	s_mov_b32 s7, 0
	s_lshl_b64 s[2:3], s[6:7], 3
	v_mul_u32_u24_e32 v1, 0x68, v0
	s_add_u32 s2, s4, s2
	s_movk_i32 s4, 0x68
	ds_write2_b64 v1, v[2:3], v[82:83] offset1:1
	ds_write2_b64 v1, v[74:75], v[42:43] offset0:2 offset1:3
	ds_write2_b64 v1, v[76:77], v[38:39] offset0:4 offset1:5
	ds_write2_b64 v1, v[78:79], v[34:35] offset0:6 offset1:7
	ds_write2_b64 v1, v[80:81], v[30:31] offset0:8 offset1:9
	ds_write2_b64 v1, v[26:27], v[72:73] offset0:10 offset1:11
	ds_write_b64 v1, v[50:51] offset:96
	v_mul_i32_i24_e32 v1, 0xffffffa0, v0
	s_waitcnt lgkmcnt(7)
	v_mad_u32_u24 v4, v0, s4, v1
	s_addc_u32 s3, s5, s3
	s_waitcnt lgkmcnt(0)
	; wave barrier
	s_waitcnt lgkmcnt(0)
	ds_read2st64_b64 v[0:3], v4 offset1:1
	ds_read2st64_b64 v[8:11], v4 offset0:2 offset1:3
	ds_read2st64_b64 v[12:15], v4 offset0:4 offset1:5
	ds_read2st64_b64 v[16:19], v4 offset0:6 offset1:7
	ds_read2st64_b64 v[20:23], v4 offset0:8 offset1:9
	ds_read2st64_b64 v[26:29], v4 offset0:10 offset1:11
	ds_read_b64 v[6:7], v4 offset:6144
	v_mov_b32_e32 v49, 0
	v_lshl_add_u64 v[24:25], s[2:3], 0, v[48:49]
	s_waitcnt lgkmcnt(6)
	global_store_dwordx2 v48, v[0:1], s[2:3]
	global_store_dwordx2 v48, v[2:3], s[2:3] offset:512
	s_waitcnt lgkmcnt(5)
	global_store_dwordx2 v48, v[8:9], s[2:3] offset:1024
	global_store_dwordx2 v48, v[10:11], s[2:3] offset:1536
	s_waitcnt lgkmcnt(4)
	global_store_dwordx2 v48, v[12:13], s[2:3] offset:2048
	;; [unrolled: 3-line block ×3, first 2 shown]
	global_store_dwordx2 v48, v[18:19], s[2:3] offset:3584
	v_add_co_u32_e32 v0, vcc, 0x1000, v24
	s_or_b64 s[0:1], s[0:1], exec
	s_nop 0
	v_addc_co_u32_e32 v1, vcc, 0, v25, vcc
	s_waitcnt lgkmcnt(2)
	global_store_dwordx2 v[0:1], v[20:21], off
	global_store_dwordx2 v[0:1], v[22:23], off offset:512
	s_waitcnt lgkmcnt(1)
	global_store_dwordx2 v[0:1], v[26:27], off offset:1024
	global_store_dwordx2 v[0:1], v[28:29], off offset:1536
.LBB421_602:
	s_and_saveexec_b64 s[2:3], s[0:1]
	s_cbranch_execnz .LBB421_604
; %bb.603:
	s_endpgm
.LBB421_604:
	v_add_co_u32_e32 v0, vcc, 0x1000, v24
	s_nop 1
	v_addc_co_u32_e32 v1, vcc, 0, v25, vcc
	s_waitcnt lgkmcnt(0)
	global_store_dwordx2 v[0:1], v[6:7], off offset:2048
	s_endpgm
	.section	.rodata,"a",@progbits
	.p2align	6, 0x0
	.amdhsa_kernel _ZN7rocprim17ROCPRIM_400000_NS6detail17trampoline_kernelINS0_14default_configENS1_35adjacent_difference_config_selectorILb0ElEEZNS1_24adjacent_difference_implIS3_Lb0ELb0EPlS7_ZN2at6native12_GLOBAL__N_124unique_dim_cuda_templateIiEESt5tupleIJNS8_6TensorESD_SD_EERKSD_lbbbEUlllE1_EE10hipError_tPvRmT2_T3_mT4_P12ihipStream_tbEUlT_E_NS1_11comp_targetILNS1_3genE5ELNS1_11target_archE942ELNS1_3gpuE9ELNS1_3repE0EEENS1_30default_config_static_selectorELNS0_4arch9wavefront6targetE1EEEvT1_
		.amdhsa_group_segment_fixed_size 6656
		.amdhsa_private_segment_fixed_size 0
		.amdhsa_kernarg_size 64
		.amdhsa_user_sgpr_count 2
		.amdhsa_user_sgpr_dispatch_ptr 0
		.amdhsa_user_sgpr_queue_ptr 0
		.amdhsa_user_sgpr_kernarg_segment_ptr 1
		.amdhsa_user_sgpr_dispatch_id 0
		.amdhsa_user_sgpr_kernarg_preload_length 0
		.amdhsa_user_sgpr_kernarg_preload_offset 0
		.amdhsa_user_sgpr_private_segment_size 0
		.amdhsa_uses_dynamic_stack 0
		.amdhsa_enable_private_segment 0
		.amdhsa_system_sgpr_workgroup_id_x 1
		.amdhsa_system_sgpr_workgroup_id_y 0
		.amdhsa_system_sgpr_workgroup_id_z 0
		.amdhsa_system_sgpr_workgroup_info 0
		.amdhsa_system_vgpr_workitem_id 0
		.amdhsa_next_free_vgpr 84
		.amdhsa_next_free_sgpr 38
		.amdhsa_accum_offset 84
		.amdhsa_reserve_vcc 1
		.amdhsa_float_round_mode_32 0
		.amdhsa_float_round_mode_16_64 0
		.amdhsa_float_denorm_mode_32 3
		.amdhsa_float_denorm_mode_16_64 3
		.amdhsa_dx10_clamp 1
		.amdhsa_ieee_mode 1
		.amdhsa_fp16_overflow 0
		.amdhsa_tg_split 0
		.amdhsa_exception_fp_ieee_invalid_op 0
		.amdhsa_exception_fp_denorm_src 0
		.amdhsa_exception_fp_ieee_div_zero 0
		.amdhsa_exception_fp_ieee_overflow 0
		.amdhsa_exception_fp_ieee_underflow 0
		.amdhsa_exception_fp_ieee_inexact 0
		.amdhsa_exception_int_div_zero 0
	.end_amdhsa_kernel
	.section	.text._ZN7rocprim17ROCPRIM_400000_NS6detail17trampoline_kernelINS0_14default_configENS1_35adjacent_difference_config_selectorILb0ElEEZNS1_24adjacent_difference_implIS3_Lb0ELb0EPlS7_ZN2at6native12_GLOBAL__N_124unique_dim_cuda_templateIiEESt5tupleIJNS8_6TensorESD_SD_EERKSD_lbbbEUlllE1_EE10hipError_tPvRmT2_T3_mT4_P12ihipStream_tbEUlT_E_NS1_11comp_targetILNS1_3genE5ELNS1_11target_archE942ELNS1_3gpuE9ELNS1_3repE0EEENS1_30default_config_static_selectorELNS0_4arch9wavefront6targetE1EEEvT1_,"axG",@progbits,_ZN7rocprim17ROCPRIM_400000_NS6detail17trampoline_kernelINS0_14default_configENS1_35adjacent_difference_config_selectorILb0ElEEZNS1_24adjacent_difference_implIS3_Lb0ELb0EPlS7_ZN2at6native12_GLOBAL__N_124unique_dim_cuda_templateIiEESt5tupleIJNS8_6TensorESD_SD_EERKSD_lbbbEUlllE1_EE10hipError_tPvRmT2_T3_mT4_P12ihipStream_tbEUlT_E_NS1_11comp_targetILNS1_3genE5ELNS1_11target_archE942ELNS1_3gpuE9ELNS1_3repE0EEENS1_30default_config_static_selectorELNS0_4arch9wavefront6targetE1EEEvT1_,comdat
.Lfunc_end421:
	.size	_ZN7rocprim17ROCPRIM_400000_NS6detail17trampoline_kernelINS0_14default_configENS1_35adjacent_difference_config_selectorILb0ElEEZNS1_24adjacent_difference_implIS3_Lb0ELb0EPlS7_ZN2at6native12_GLOBAL__N_124unique_dim_cuda_templateIiEESt5tupleIJNS8_6TensorESD_SD_EERKSD_lbbbEUlllE1_EE10hipError_tPvRmT2_T3_mT4_P12ihipStream_tbEUlT_E_NS1_11comp_targetILNS1_3genE5ELNS1_11target_archE942ELNS1_3gpuE9ELNS1_3repE0EEENS1_30default_config_static_selectorELNS0_4arch9wavefront6targetE1EEEvT1_, .Lfunc_end421-_ZN7rocprim17ROCPRIM_400000_NS6detail17trampoline_kernelINS0_14default_configENS1_35adjacent_difference_config_selectorILb0ElEEZNS1_24adjacent_difference_implIS3_Lb0ELb0EPlS7_ZN2at6native12_GLOBAL__N_124unique_dim_cuda_templateIiEESt5tupleIJNS8_6TensorESD_SD_EERKSD_lbbbEUlllE1_EE10hipError_tPvRmT2_T3_mT4_P12ihipStream_tbEUlT_E_NS1_11comp_targetILNS1_3genE5ELNS1_11target_archE942ELNS1_3gpuE9ELNS1_3repE0EEENS1_30default_config_static_selectorELNS0_4arch9wavefront6targetE1EEEvT1_
                                        ; -- End function
	.section	.AMDGPU.csdata,"",@progbits
; Kernel info:
; codeLenInByte = 18140
; NumSgprs: 44
; NumVgprs: 84
; NumAgprs: 0
; TotalNumVgprs: 84
; ScratchSize: 0
; MemoryBound: 0
; FloatMode: 240
; IeeeMode: 1
; LDSByteSize: 6656 bytes/workgroup (compile time only)
; SGPRBlocks: 5
; VGPRBlocks: 10
; NumSGPRsForWavesPerEU: 44
; NumVGPRsForWavesPerEU: 84
; AccumOffset: 84
; Occupancy: 3
; WaveLimiterHint : 1
; COMPUTE_PGM_RSRC2:SCRATCH_EN: 0
; COMPUTE_PGM_RSRC2:USER_SGPR: 2
; COMPUTE_PGM_RSRC2:TRAP_HANDLER: 0
; COMPUTE_PGM_RSRC2:TGID_X_EN: 1
; COMPUTE_PGM_RSRC2:TGID_Y_EN: 0
; COMPUTE_PGM_RSRC2:TGID_Z_EN: 0
; COMPUTE_PGM_RSRC2:TIDIG_COMP_CNT: 0
; COMPUTE_PGM_RSRC3_GFX90A:ACCUM_OFFSET: 20
; COMPUTE_PGM_RSRC3_GFX90A:TG_SPLIT: 0
	.section	.text._ZN7rocprim17ROCPRIM_400000_NS6detail17trampoline_kernelINS0_14default_configENS1_35adjacent_difference_config_selectorILb0ElEEZNS1_24adjacent_difference_implIS3_Lb0ELb0EPlS7_ZN2at6native12_GLOBAL__N_124unique_dim_cuda_templateIiEESt5tupleIJNS8_6TensorESD_SD_EERKSD_lbbbEUlllE1_EE10hipError_tPvRmT2_T3_mT4_P12ihipStream_tbEUlT_E_NS1_11comp_targetILNS1_3genE4ELNS1_11target_archE910ELNS1_3gpuE8ELNS1_3repE0EEENS1_30default_config_static_selectorELNS0_4arch9wavefront6targetE1EEEvT1_,"axG",@progbits,_ZN7rocprim17ROCPRIM_400000_NS6detail17trampoline_kernelINS0_14default_configENS1_35adjacent_difference_config_selectorILb0ElEEZNS1_24adjacent_difference_implIS3_Lb0ELb0EPlS7_ZN2at6native12_GLOBAL__N_124unique_dim_cuda_templateIiEESt5tupleIJNS8_6TensorESD_SD_EERKSD_lbbbEUlllE1_EE10hipError_tPvRmT2_T3_mT4_P12ihipStream_tbEUlT_E_NS1_11comp_targetILNS1_3genE4ELNS1_11target_archE910ELNS1_3gpuE8ELNS1_3repE0EEENS1_30default_config_static_selectorELNS0_4arch9wavefront6targetE1EEEvT1_,comdat
	.globl	_ZN7rocprim17ROCPRIM_400000_NS6detail17trampoline_kernelINS0_14default_configENS1_35adjacent_difference_config_selectorILb0ElEEZNS1_24adjacent_difference_implIS3_Lb0ELb0EPlS7_ZN2at6native12_GLOBAL__N_124unique_dim_cuda_templateIiEESt5tupleIJNS8_6TensorESD_SD_EERKSD_lbbbEUlllE1_EE10hipError_tPvRmT2_T3_mT4_P12ihipStream_tbEUlT_E_NS1_11comp_targetILNS1_3genE4ELNS1_11target_archE910ELNS1_3gpuE8ELNS1_3repE0EEENS1_30default_config_static_selectorELNS0_4arch9wavefront6targetE1EEEvT1_ ; -- Begin function _ZN7rocprim17ROCPRIM_400000_NS6detail17trampoline_kernelINS0_14default_configENS1_35adjacent_difference_config_selectorILb0ElEEZNS1_24adjacent_difference_implIS3_Lb0ELb0EPlS7_ZN2at6native12_GLOBAL__N_124unique_dim_cuda_templateIiEESt5tupleIJNS8_6TensorESD_SD_EERKSD_lbbbEUlllE1_EE10hipError_tPvRmT2_T3_mT4_P12ihipStream_tbEUlT_E_NS1_11comp_targetILNS1_3genE4ELNS1_11target_archE910ELNS1_3gpuE8ELNS1_3repE0EEENS1_30default_config_static_selectorELNS0_4arch9wavefront6targetE1EEEvT1_
	.p2align	8
	.type	_ZN7rocprim17ROCPRIM_400000_NS6detail17trampoline_kernelINS0_14default_configENS1_35adjacent_difference_config_selectorILb0ElEEZNS1_24adjacent_difference_implIS3_Lb0ELb0EPlS7_ZN2at6native12_GLOBAL__N_124unique_dim_cuda_templateIiEESt5tupleIJNS8_6TensorESD_SD_EERKSD_lbbbEUlllE1_EE10hipError_tPvRmT2_T3_mT4_P12ihipStream_tbEUlT_E_NS1_11comp_targetILNS1_3genE4ELNS1_11target_archE910ELNS1_3gpuE8ELNS1_3repE0EEENS1_30default_config_static_selectorELNS0_4arch9wavefront6targetE1EEEvT1_,@function
_ZN7rocprim17ROCPRIM_400000_NS6detail17trampoline_kernelINS0_14default_configENS1_35adjacent_difference_config_selectorILb0ElEEZNS1_24adjacent_difference_implIS3_Lb0ELb0EPlS7_ZN2at6native12_GLOBAL__N_124unique_dim_cuda_templateIiEESt5tupleIJNS8_6TensorESD_SD_EERKSD_lbbbEUlllE1_EE10hipError_tPvRmT2_T3_mT4_P12ihipStream_tbEUlT_E_NS1_11comp_targetILNS1_3genE4ELNS1_11target_archE910ELNS1_3gpuE8ELNS1_3repE0EEENS1_30default_config_static_selectorELNS0_4arch9wavefront6targetE1EEEvT1_: ; @_ZN7rocprim17ROCPRIM_400000_NS6detail17trampoline_kernelINS0_14default_configENS1_35adjacent_difference_config_selectorILb0ElEEZNS1_24adjacent_difference_implIS3_Lb0ELb0EPlS7_ZN2at6native12_GLOBAL__N_124unique_dim_cuda_templateIiEESt5tupleIJNS8_6TensorESD_SD_EERKSD_lbbbEUlllE1_EE10hipError_tPvRmT2_T3_mT4_P12ihipStream_tbEUlT_E_NS1_11comp_targetILNS1_3genE4ELNS1_11target_archE910ELNS1_3gpuE8ELNS1_3repE0EEENS1_30default_config_static_selectorELNS0_4arch9wavefront6targetE1EEEvT1_
; %bb.0:
	.section	.rodata,"a",@progbits
	.p2align	6, 0x0
	.amdhsa_kernel _ZN7rocprim17ROCPRIM_400000_NS6detail17trampoline_kernelINS0_14default_configENS1_35adjacent_difference_config_selectorILb0ElEEZNS1_24adjacent_difference_implIS3_Lb0ELb0EPlS7_ZN2at6native12_GLOBAL__N_124unique_dim_cuda_templateIiEESt5tupleIJNS8_6TensorESD_SD_EERKSD_lbbbEUlllE1_EE10hipError_tPvRmT2_T3_mT4_P12ihipStream_tbEUlT_E_NS1_11comp_targetILNS1_3genE4ELNS1_11target_archE910ELNS1_3gpuE8ELNS1_3repE0EEENS1_30default_config_static_selectorELNS0_4arch9wavefront6targetE1EEEvT1_
		.amdhsa_group_segment_fixed_size 0
		.amdhsa_private_segment_fixed_size 0
		.amdhsa_kernarg_size 64
		.amdhsa_user_sgpr_count 2
		.amdhsa_user_sgpr_dispatch_ptr 0
		.amdhsa_user_sgpr_queue_ptr 0
		.amdhsa_user_sgpr_kernarg_segment_ptr 1
		.amdhsa_user_sgpr_dispatch_id 0
		.amdhsa_user_sgpr_kernarg_preload_length 0
		.amdhsa_user_sgpr_kernarg_preload_offset 0
		.amdhsa_user_sgpr_private_segment_size 0
		.amdhsa_uses_dynamic_stack 0
		.amdhsa_enable_private_segment 0
		.amdhsa_system_sgpr_workgroup_id_x 1
		.amdhsa_system_sgpr_workgroup_id_y 0
		.amdhsa_system_sgpr_workgroup_id_z 0
		.amdhsa_system_sgpr_workgroup_info 0
		.amdhsa_system_vgpr_workitem_id 0
		.amdhsa_next_free_vgpr 1
		.amdhsa_next_free_sgpr 0
		.amdhsa_accum_offset 4
		.amdhsa_reserve_vcc 0
		.amdhsa_float_round_mode_32 0
		.amdhsa_float_round_mode_16_64 0
		.amdhsa_float_denorm_mode_32 3
		.amdhsa_float_denorm_mode_16_64 3
		.amdhsa_dx10_clamp 1
		.amdhsa_ieee_mode 1
		.amdhsa_fp16_overflow 0
		.amdhsa_tg_split 0
		.amdhsa_exception_fp_ieee_invalid_op 0
		.amdhsa_exception_fp_denorm_src 0
		.amdhsa_exception_fp_ieee_div_zero 0
		.amdhsa_exception_fp_ieee_overflow 0
		.amdhsa_exception_fp_ieee_underflow 0
		.amdhsa_exception_fp_ieee_inexact 0
		.amdhsa_exception_int_div_zero 0
	.end_amdhsa_kernel
	.section	.text._ZN7rocprim17ROCPRIM_400000_NS6detail17trampoline_kernelINS0_14default_configENS1_35adjacent_difference_config_selectorILb0ElEEZNS1_24adjacent_difference_implIS3_Lb0ELb0EPlS7_ZN2at6native12_GLOBAL__N_124unique_dim_cuda_templateIiEESt5tupleIJNS8_6TensorESD_SD_EERKSD_lbbbEUlllE1_EE10hipError_tPvRmT2_T3_mT4_P12ihipStream_tbEUlT_E_NS1_11comp_targetILNS1_3genE4ELNS1_11target_archE910ELNS1_3gpuE8ELNS1_3repE0EEENS1_30default_config_static_selectorELNS0_4arch9wavefront6targetE1EEEvT1_,"axG",@progbits,_ZN7rocprim17ROCPRIM_400000_NS6detail17trampoline_kernelINS0_14default_configENS1_35adjacent_difference_config_selectorILb0ElEEZNS1_24adjacent_difference_implIS3_Lb0ELb0EPlS7_ZN2at6native12_GLOBAL__N_124unique_dim_cuda_templateIiEESt5tupleIJNS8_6TensorESD_SD_EERKSD_lbbbEUlllE1_EE10hipError_tPvRmT2_T3_mT4_P12ihipStream_tbEUlT_E_NS1_11comp_targetILNS1_3genE4ELNS1_11target_archE910ELNS1_3gpuE8ELNS1_3repE0EEENS1_30default_config_static_selectorELNS0_4arch9wavefront6targetE1EEEvT1_,comdat
.Lfunc_end422:
	.size	_ZN7rocprim17ROCPRIM_400000_NS6detail17trampoline_kernelINS0_14default_configENS1_35adjacent_difference_config_selectorILb0ElEEZNS1_24adjacent_difference_implIS3_Lb0ELb0EPlS7_ZN2at6native12_GLOBAL__N_124unique_dim_cuda_templateIiEESt5tupleIJNS8_6TensorESD_SD_EERKSD_lbbbEUlllE1_EE10hipError_tPvRmT2_T3_mT4_P12ihipStream_tbEUlT_E_NS1_11comp_targetILNS1_3genE4ELNS1_11target_archE910ELNS1_3gpuE8ELNS1_3repE0EEENS1_30default_config_static_selectorELNS0_4arch9wavefront6targetE1EEEvT1_, .Lfunc_end422-_ZN7rocprim17ROCPRIM_400000_NS6detail17trampoline_kernelINS0_14default_configENS1_35adjacent_difference_config_selectorILb0ElEEZNS1_24adjacent_difference_implIS3_Lb0ELb0EPlS7_ZN2at6native12_GLOBAL__N_124unique_dim_cuda_templateIiEESt5tupleIJNS8_6TensorESD_SD_EERKSD_lbbbEUlllE1_EE10hipError_tPvRmT2_T3_mT4_P12ihipStream_tbEUlT_E_NS1_11comp_targetILNS1_3genE4ELNS1_11target_archE910ELNS1_3gpuE8ELNS1_3repE0EEENS1_30default_config_static_selectorELNS0_4arch9wavefront6targetE1EEEvT1_
                                        ; -- End function
	.section	.AMDGPU.csdata,"",@progbits
; Kernel info:
; codeLenInByte = 0
; NumSgprs: 6
; NumVgprs: 0
; NumAgprs: 0
; TotalNumVgprs: 0
; ScratchSize: 0
; MemoryBound: 0
; FloatMode: 240
; IeeeMode: 1
; LDSByteSize: 0 bytes/workgroup (compile time only)
; SGPRBlocks: 0
; VGPRBlocks: 0
; NumSGPRsForWavesPerEU: 6
; NumVGPRsForWavesPerEU: 1
; AccumOffset: 4
; Occupancy: 8
; WaveLimiterHint : 0
; COMPUTE_PGM_RSRC2:SCRATCH_EN: 0
; COMPUTE_PGM_RSRC2:USER_SGPR: 2
; COMPUTE_PGM_RSRC2:TRAP_HANDLER: 0
; COMPUTE_PGM_RSRC2:TGID_X_EN: 1
; COMPUTE_PGM_RSRC2:TGID_Y_EN: 0
; COMPUTE_PGM_RSRC2:TGID_Z_EN: 0
; COMPUTE_PGM_RSRC2:TIDIG_COMP_CNT: 0
; COMPUTE_PGM_RSRC3_GFX90A:ACCUM_OFFSET: 0
; COMPUTE_PGM_RSRC3_GFX90A:TG_SPLIT: 0
	.section	.text._ZN7rocprim17ROCPRIM_400000_NS6detail17trampoline_kernelINS0_14default_configENS1_35adjacent_difference_config_selectorILb0ElEEZNS1_24adjacent_difference_implIS3_Lb0ELb0EPlS7_ZN2at6native12_GLOBAL__N_124unique_dim_cuda_templateIiEESt5tupleIJNS8_6TensorESD_SD_EERKSD_lbbbEUlllE1_EE10hipError_tPvRmT2_T3_mT4_P12ihipStream_tbEUlT_E_NS1_11comp_targetILNS1_3genE3ELNS1_11target_archE908ELNS1_3gpuE7ELNS1_3repE0EEENS1_30default_config_static_selectorELNS0_4arch9wavefront6targetE1EEEvT1_,"axG",@progbits,_ZN7rocprim17ROCPRIM_400000_NS6detail17trampoline_kernelINS0_14default_configENS1_35adjacent_difference_config_selectorILb0ElEEZNS1_24adjacent_difference_implIS3_Lb0ELb0EPlS7_ZN2at6native12_GLOBAL__N_124unique_dim_cuda_templateIiEESt5tupleIJNS8_6TensorESD_SD_EERKSD_lbbbEUlllE1_EE10hipError_tPvRmT2_T3_mT4_P12ihipStream_tbEUlT_E_NS1_11comp_targetILNS1_3genE3ELNS1_11target_archE908ELNS1_3gpuE7ELNS1_3repE0EEENS1_30default_config_static_selectorELNS0_4arch9wavefront6targetE1EEEvT1_,comdat
	.globl	_ZN7rocprim17ROCPRIM_400000_NS6detail17trampoline_kernelINS0_14default_configENS1_35adjacent_difference_config_selectorILb0ElEEZNS1_24adjacent_difference_implIS3_Lb0ELb0EPlS7_ZN2at6native12_GLOBAL__N_124unique_dim_cuda_templateIiEESt5tupleIJNS8_6TensorESD_SD_EERKSD_lbbbEUlllE1_EE10hipError_tPvRmT2_T3_mT4_P12ihipStream_tbEUlT_E_NS1_11comp_targetILNS1_3genE3ELNS1_11target_archE908ELNS1_3gpuE7ELNS1_3repE0EEENS1_30default_config_static_selectorELNS0_4arch9wavefront6targetE1EEEvT1_ ; -- Begin function _ZN7rocprim17ROCPRIM_400000_NS6detail17trampoline_kernelINS0_14default_configENS1_35adjacent_difference_config_selectorILb0ElEEZNS1_24adjacent_difference_implIS3_Lb0ELb0EPlS7_ZN2at6native12_GLOBAL__N_124unique_dim_cuda_templateIiEESt5tupleIJNS8_6TensorESD_SD_EERKSD_lbbbEUlllE1_EE10hipError_tPvRmT2_T3_mT4_P12ihipStream_tbEUlT_E_NS1_11comp_targetILNS1_3genE3ELNS1_11target_archE908ELNS1_3gpuE7ELNS1_3repE0EEENS1_30default_config_static_selectorELNS0_4arch9wavefront6targetE1EEEvT1_
	.p2align	8
	.type	_ZN7rocprim17ROCPRIM_400000_NS6detail17trampoline_kernelINS0_14default_configENS1_35adjacent_difference_config_selectorILb0ElEEZNS1_24adjacent_difference_implIS3_Lb0ELb0EPlS7_ZN2at6native12_GLOBAL__N_124unique_dim_cuda_templateIiEESt5tupleIJNS8_6TensorESD_SD_EERKSD_lbbbEUlllE1_EE10hipError_tPvRmT2_T3_mT4_P12ihipStream_tbEUlT_E_NS1_11comp_targetILNS1_3genE3ELNS1_11target_archE908ELNS1_3gpuE7ELNS1_3repE0EEENS1_30default_config_static_selectorELNS0_4arch9wavefront6targetE1EEEvT1_,@function
_ZN7rocprim17ROCPRIM_400000_NS6detail17trampoline_kernelINS0_14default_configENS1_35adjacent_difference_config_selectorILb0ElEEZNS1_24adjacent_difference_implIS3_Lb0ELb0EPlS7_ZN2at6native12_GLOBAL__N_124unique_dim_cuda_templateIiEESt5tupleIJNS8_6TensorESD_SD_EERKSD_lbbbEUlllE1_EE10hipError_tPvRmT2_T3_mT4_P12ihipStream_tbEUlT_E_NS1_11comp_targetILNS1_3genE3ELNS1_11target_archE908ELNS1_3gpuE7ELNS1_3repE0EEENS1_30default_config_static_selectorELNS0_4arch9wavefront6targetE1EEEvT1_: ; @_ZN7rocprim17ROCPRIM_400000_NS6detail17trampoline_kernelINS0_14default_configENS1_35adjacent_difference_config_selectorILb0ElEEZNS1_24adjacent_difference_implIS3_Lb0ELb0EPlS7_ZN2at6native12_GLOBAL__N_124unique_dim_cuda_templateIiEESt5tupleIJNS8_6TensorESD_SD_EERKSD_lbbbEUlllE1_EE10hipError_tPvRmT2_T3_mT4_P12ihipStream_tbEUlT_E_NS1_11comp_targetILNS1_3genE3ELNS1_11target_archE908ELNS1_3gpuE7ELNS1_3repE0EEENS1_30default_config_static_selectorELNS0_4arch9wavefront6targetE1EEEvT1_
; %bb.0:
	.section	.rodata,"a",@progbits
	.p2align	6, 0x0
	.amdhsa_kernel _ZN7rocprim17ROCPRIM_400000_NS6detail17trampoline_kernelINS0_14default_configENS1_35adjacent_difference_config_selectorILb0ElEEZNS1_24adjacent_difference_implIS3_Lb0ELb0EPlS7_ZN2at6native12_GLOBAL__N_124unique_dim_cuda_templateIiEESt5tupleIJNS8_6TensorESD_SD_EERKSD_lbbbEUlllE1_EE10hipError_tPvRmT2_T3_mT4_P12ihipStream_tbEUlT_E_NS1_11comp_targetILNS1_3genE3ELNS1_11target_archE908ELNS1_3gpuE7ELNS1_3repE0EEENS1_30default_config_static_selectorELNS0_4arch9wavefront6targetE1EEEvT1_
		.amdhsa_group_segment_fixed_size 0
		.amdhsa_private_segment_fixed_size 0
		.amdhsa_kernarg_size 64
		.amdhsa_user_sgpr_count 2
		.amdhsa_user_sgpr_dispatch_ptr 0
		.amdhsa_user_sgpr_queue_ptr 0
		.amdhsa_user_sgpr_kernarg_segment_ptr 1
		.amdhsa_user_sgpr_dispatch_id 0
		.amdhsa_user_sgpr_kernarg_preload_length 0
		.amdhsa_user_sgpr_kernarg_preload_offset 0
		.amdhsa_user_sgpr_private_segment_size 0
		.amdhsa_uses_dynamic_stack 0
		.amdhsa_enable_private_segment 0
		.amdhsa_system_sgpr_workgroup_id_x 1
		.amdhsa_system_sgpr_workgroup_id_y 0
		.amdhsa_system_sgpr_workgroup_id_z 0
		.amdhsa_system_sgpr_workgroup_info 0
		.amdhsa_system_vgpr_workitem_id 0
		.amdhsa_next_free_vgpr 1
		.amdhsa_next_free_sgpr 0
		.amdhsa_accum_offset 4
		.amdhsa_reserve_vcc 0
		.amdhsa_float_round_mode_32 0
		.amdhsa_float_round_mode_16_64 0
		.amdhsa_float_denorm_mode_32 3
		.amdhsa_float_denorm_mode_16_64 3
		.amdhsa_dx10_clamp 1
		.amdhsa_ieee_mode 1
		.amdhsa_fp16_overflow 0
		.amdhsa_tg_split 0
		.amdhsa_exception_fp_ieee_invalid_op 0
		.amdhsa_exception_fp_denorm_src 0
		.amdhsa_exception_fp_ieee_div_zero 0
		.amdhsa_exception_fp_ieee_overflow 0
		.amdhsa_exception_fp_ieee_underflow 0
		.amdhsa_exception_fp_ieee_inexact 0
		.amdhsa_exception_int_div_zero 0
	.end_amdhsa_kernel
	.section	.text._ZN7rocprim17ROCPRIM_400000_NS6detail17trampoline_kernelINS0_14default_configENS1_35adjacent_difference_config_selectorILb0ElEEZNS1_24adjacent_difference_implIS3_Lb0ELb0EPlS7_ZN2at6native12_GLOBAL__N_124unique_dim_cuda_templateIiEESt5tupleIJNS8_6TensorESD_SD_EERKSD_lbbbEUlllE1_EE10hipError_tPvRmT2_T3_mT4_P12ihipStream_tbEUlT_E_NS1_11comp_targetILNS1_3genE3ELNS1_11target_archE908ELNS1_3gpuE7ELNS1_3repE0EEENS1_30default_config_static_selectorELNS0_4arch9wavefront6targetE1EEEvT1_,"axG",@progbits,_ZN7rocprim17ROCPRIM_400000_NS6detail17trampoline_kernelINS0_14default_configENS1_35adjacent_difference_config_selectorILb0ElEEZNS1_24adjacent_difference_implIS3_Lb0ELb0EPlS7_ZN2at6native12_GLOBAL__N_124unique_dim_cuda_templateIiEESt5tupleIJNS8_6TensorESD_SD_EERKSD_lbbbEUlllE1_EE10hipError_tPvRmT2_T3_mT4_P12ihipStream_tbEUlT_E_NS1_11comp_targetILNS1_3genE3ELNS1_11target_archE908ELNS1_3gpuE7ELNS1_3repE0EEENS1_30default_config_static_selectorELNS0_4arch9wavefront6targetE1EEEvT1_,comdat
.Lfunc_end423:
	.size	_ZN7rocprim17ROCPRIM_400000_NS6detail17trampoline_kernelINS0_14default_configENS1_35adjacent_difference_config_selectorILb0ElEEZNS1_24adjacent_difference_implIS3_Lb0ELb0EPlS7_ZN2at6native12_GLOBAL__N_124unique_dim_cuda_templateIiEESt5tupleIJNS8_6TensorESD_SD_EERKSD_lbbbEUlllE1_EE10hipError_tPvRmT2_T3_mT4_P12ihipStream_tbEUlT_E_NS1_11comp_targetILNS1_3genE3ELNS1_11target_archE908ELNS1_3gpuE7ELNS1_3repE0EEENS1_30default_config_static_selectorELNS0_4arch9wavefront6targetE1EEEvT1_, .Lfunc_end423-_ZN7rocprim17ROCPRIM_400000_NS6detail17trampoline_kernelINS0_14default_configENS1_35adjacent_difference_config_selectorILb0ElEEZNS1_24adjacent_difference_implIS3_Lb0ELb0EPlS7_ZN2at6native12_GLOBAL__N_124unique_dim_cuda_templateIiEESt5tupleIJNS8_6TensorESD_SD_EERKSD_lbbbEUlllE1_EE10hipError_tPvRmT2_T3_mT4_P12ihipStream_tbEUlT_E_NS1_11comp_targetILNS1_3genE3ELNS1_11target_archE908ELNS1_3gpuE7ELNS1_3repE0EEENS1_30default_config_static_selectorELNS0_4arch9wavefront6targetE1EEEvT1_
                                        ; -- End function
	.section	.AMDGPU.csdata,"",@progbits
; Kernel info:
; codeLenInByte = 0
; NumSgprs: 6
; NumVgprs: 0
; NumAgprs: 0
; TotalNumVgprs: 0
; ScratchSize: 0
; MemoryBound: 0
; FloatMode: 240
; IeeeMode: 1
; LDSByteSize: 0 bytes/workgroup (compile time only)
; SGPRBlocks: 0
; VGPRBlocks: 0
; NumSGPRsForWavesPerEU: 6
; NumVGPRsForWavesPerEU: 1
; AccumOffset: 4
; Occupancy: 8
; WaveLimiterHint : 0
; COMPUTE_PGM_RSRC2:SCRATCH_EN: 0
; COMPUTE_PGM_RSRC2:USER_SGPR: 2
; COMPUTE_PGM_RSRC2:TRAP_HANDLER: 0
; COMPUTE_PGM_RSRC2:TGID_X_EN: 1
; COMPUTE_PGM_RSRC2:TGID_Y_EN: 0
; COMPUTE_PGM_RSRC2:TGID_Z_EN: 0
; COMPUTE_PGM_RSRC2:TIDIG_COMP_CNT: 0
; COMPUTE_PGM_RSRC3_GFX90A:ACCUM_OFFSET: 0
; COMPUTE_PGM_RSRC3_GFX90A:TG_SPLIT: 0
	.section	.text._ZN7rocprim17ROCPRIM_400000_NS6detail17trampoline_kernelINS0_14default_configENS1_35adjacent_difference_config_selectorILb0ElEEZNS1_24adjacent_difference_implIS3_Lb0ELb0EPlS7_ZN2at6native12_GLOBAL__N_124unique_dim_cuda_templateIiEESt5tupleIJNS8_6TensorESD_SD_EERKSD_lbbbEUlllE1_EE10hipError_tPvRmT2_T3_mT4_P12ihipStream_tbEUlT_E_NS1_11comp_targetILNS1_3genE2ELNS1_11target_archE906ELNS1_3gpuE6ELNS1_3repE0EEENS1_30default_config_static_selectorELNS0_4arch9wavefront6targetE1EEEvT1_,"axG",@progbits,_ZN7rocprim17ROCPRIM_400000_NS6detail17trampoline_kernelINS0_14default_configENS1_35adjacent_difference_config_selectorILb0ElEEZNS1_24adjacent_difference_implIS3_Lb0ELb0EPlS7_ZN2at6native12_GLOBAL__N_124unique_dim_cuda_templateIiEESt5tupleIJNS8_6TensorESD_SD_EERKSD_lbbbEUlllE1_EE10hipError_tPvRmT2_T3_mT4_P12ihipStream_tbEUlT_E_NS1_11comp_targetILNS1_3genE2ELNS1_11target_archE906ELNS1_3gpuE6ELNS1_3repE0EEENS1_30default_config_static_selectorELNS0_4arch9wavefront6targetE1EEEvT1_,comdat
	.globl	_ZN7rocprim17ROCPRIM_400000_NS6detail17trampoline_kernelINS0_14default_configENS1_35adjacent_difference_config_selectorILb0ElEEZNS1_24adjacent_difference_implIS3_Lb0ELb0EPlS7_ZN2at6native12_GLOBAL__N_124unique_dim_cuda_templateIiEESt5tupleIJNS8_6TensorESD_SD_EERKSD_lbbbEUlllE1_EE10hipError_tPvRmT2_T3_mT4_P12ihipStream_tbEUlT_E_NS1_11comp_targetILNS1_3genE2ELNS1_11target_archE906ELNS1_3gpuE6ELNS1_3repE0EEENS1_30default_config_static_selectorELNS0_4arch9wavefront6targetE1EEEvT1_ ; -- Begin function _ZN7rocprim17ROCPRIM_400000_NS6detail17trampoline_kernelINS0_14default_configENS1_35adjacent_difference_config_selectorILb0ElEEZNS1_24adjacent_difference_implIS3_Lb0ELb0EPlS7_ZN2at6native12_GLOBAL__N_124unique_dim_cuda_templateIiEESt5tupleIJNS8_6TensorESD_SD_EERKSD_lbbbEUlllE1_EE10hipError_tPvRmT2_T3_mT4_P12ihipStream_tbEUlT_E_NS1_11comp_targetILNS1_3genE2ELNS1_11target_archE906ELNS1_3gpuE6ELNS1_3repE0EEENS1_30default_config_static_selectorELNS0_4arch9wavefront6targetE1EEEvT1_
	.p2align	8
	.type	_ZN7rocprim17ROCPRIM_400000_NS6detail17trampoline_kernelINS0_14default_configENS1_35adjacent_difference_config_selectorILb0ElEEZNS1_24adjacent_difference_implIS3_Lb0ELb0EPlS7_ZN2at6native12_GLOBAL__N_124unique_dim_cuda_templateIiEESt5tupleIJNS8_6TensorESD_SD_EERKSD_lbbbEUlllE1_EE10hipError_tPvRmT2_T3_mT4_P12ihipStream_tbEUlT_E_NS1_11comp_targetILNS1_3genE2ELNS1_11target_archE906ELNS1_3gpuE6ELNS1_3repE0EEENS1_30default_config_static_selectorELNS0_4arch9wavefront6targetE1EEEvT1_,@function
_ZN7rocprim17ROCPRIM_400000_NS6detail17trampoline_kernelINS0_14default_configENS1_35adjacent_difference_config_selectorILb0ElEEZNS1_24adjacent_difference_implIS3_Lb0ELb0EPlS7_ZN2at6native12_GLOBAL__N_124unique_dim_cuda_templateIiEESt5tupleIJNS8_6TensorESD_SD_EERKSD_lbbbEUlllE1_EE10hipError_tPvRmT2_T3_mT4_P12ihipStream_tbEUlT_E_NS1_11comp_targetILNS1_3genE2ELNS1_11target_archE906ELNS1_3gpuE6ELNS1_3repE0EEENS1_30default_config_static_selectorELNS0_4arch9wavefront6targetE1EEEvT1_: ; @_ZN7rocprim17ROCPRIM_400000_NS6detail17trampoline_kernelINS0_14default_configENS1_35adjacent_difference_config_selectorILb0ElEEZNS1_24adjacent_difference_implIS3_Lb0ELb0EPlS7_ZN2at6native12_GLOBAL__N_124unique_dim_cuda_templateIiEESt5tupleIJNS8_6TensorESD_SD_EERKSD_lbbbEUlllE1_EE10hipError_tPvRmT2_T3_mT4_P12ihipStream_tbEUlT_E_NS1_11comp_targetILNS1_3genE2ELNS1_11target_archE906ELNS1_3gpuE6ELNS1_3repE0EEENS1_30default_config_static_selectorELNS0_4arch9wavefront6targetE1EEEvT1_
; %bb.0:
	.section	.rodata,"a",@progbits
	.p2align	6, 0x0
	.amdhsa_kernel _ZN7rocprim17ROCPRIM_400000_NS6detail17trampoline_kernelINS0_14default_configENS1_35adjacent_difference_config_selectorILb0ElEEZNS1_24adjacent_difference_implIS3_Lb0ELb0EPlS7_ZN2at6native12_GLOBAL__N_124unique_dim_cuda_templateIiEESt5tupleIJNS8_6TensorESD_SD_EERKSD_lbbbEUlllE1_EE10hipError_tPvRmT2_T3_mT4_P12ihipStream_tbEUlT_E_NS1_11comp_targetILNS1_3genE2ELNS1_11target_archE906ELNS1_3gpuE6ELNS1_3repE0EEENS1_30default_config_static_selectorELNS0_4arch9wavefront6targetE1EEEvT1_
		.amdhsa_group_segment_fixed_size 0
		.amdhsa_private_segment_fixed_size 0
		.amdhsa_kernarg_size 64
		.amdhsa_user_sgpr_count 2
		.amdhsa_user_sgpr_dispatch_ptr 0
		.amdhsa_user_sgpr_queue_ptr 0
		.amdhsa_user_sgpr_kernarg_segment_ptr 1
		.amdhsa_user_sgpr_dispatch_id 0
		.amdhsa_user_sgpr_kernarg_preload_length 0
		.amdhsa_user_sgpr_kernarg_preload_offset 0
		.amdhsa_user_sgpr_private_segment_size 0
		.amdhsa_uses_dynamic_stack 0
		.amdhsa_enable_private_segment 0
		.amdhsa_system_sgpr_workgroup_id_x 1
		.amdhsa_system_sgpr_workgroup_id_y 0
		.amdhsa_system_sgpr_workgroup_id_z 0
		.amdhsa_system_sgpr_workgroup_info 0
		.amdhsa_system_vgpr_workitem_id 0
		.amdhsa_next_free_vgpr 1
		.amdhsa_next_free_sgpr 0
		.amdhsa_accum_offset 4
		.amdhsa_reserve_vcc 0
		.amdhsa_float_round_mode_32 0
		.amdhsa_float_round_mode_16_64 0
		.amdhsa_float_denorm_mode_32 3
		.amdhsa_float_denorm_mode_16_64 3
		.amdhsa_dx10_clamp 1
		.amdhsa_ieee_mode 1
		.amdhsa_fp16_overflow 0
		.amdhsa_tg_split 0
		.amdhsa_exception_fp_ieee_invalid_op 0
		.amdhsa_exception_fp_denorm_src 0
		.amdhsa_exception_fp_ieee_div_zero 0
		.amdhsa_exception_fp_ieee_overflow 0
		.amdhsa_exception_fp_ieee_underflow 0
		.amdhsa_exception_fp_ieee_inexact 0
		.amdhsa_exception_int_div_zero 0
	.end_amdhsa_kernel
	.section	.text._ZN7rocprim17ROCPRIM_400000_NS6detail17trampoline_kernelINS0_14default_configENS1_35adjacent_difference_config_selectorILb0ElEEZNS1_24adjacent_difference_implIS3_Lb0ELb0EPlS7_ZN2at6native12_GLOBAL__N_124unique_dim_cuda_templateIiEESt5tupleIJNS8_6TensorESD_SD_EERKSD_lbbbEUlllE1_EE10hipError_tPvRmT2_T3_mT4_P12ihipStream_tbEUlT_E_NS1_11comp_targetILNS1_3genE2ELNS1_11target_archE906ELNS1_3gpuE6ELNS1_3repE0EEENS1_30default_config_static_selectorELNS0_4arch9wavefront6targetE1EEEvT1_,"axG",@progbits,_ZN7rocprim17ROCPRIM_400000_NS6detail17trampoline_kernelINS0_14default_configENS1_35adjacent_difference_config_selectorILb0ElEEZNS1_24adjacent_difference_implIS3_Lb0ELb0EPlS7_ZN2at6native12_GLOBAL__N_124unique_dim_cuda_templateIiEESt5tupleIJNS8_6TensorESD_SD_EERKSD_lbbbEUlllE1_EE10hipError_tPvRmT2_T3_mT4_P12ihipStream_tbEUlT_E_NS1_11comp_targetILNS1_3genE2ELNS1_11target_archE906ELNS1_3gpuE6ELNS1_3repE0EEENS1_30default_config_static_selectorELNS0_4arch9wavefront6targetE1EEEvT1_,comdat
.Lfunc_end424:
	.size	_ZN7rocprim17ROCPRIM_400000_NS6detail17trampoline_kernelINS0_14default_configENS1_35adjacent_difference_config_selectorILb0ElEEZNS1_24adjacent_difference_implIS3_Lb0ELb0EPlS7_ZN2at6native12_GLOBAL__N_124unique_dim_cuda_templateIiEESt5tupleIJNS8_6TensorESD_SD_EERKSD_lbbbEUlllE1_EE10hipError_tPvRmT2_T3_mT4_P12ihipStream_tbEUlT_E_NS1_11comp_targetILNS1_3genE2ELNS1_11target_archE906ELNS1_3gpuE6ELNS1_3repE0EEENS1_30default_config_static_selectorELNS0_4arch9wavefront6targetE1EEEvT1_, .Lfunc_end424-_ZN7rocprim17ROCPRIM_400000_NS6detail17trampoline_kernelINS0_14default_configENS1_35adjacent_difference_config_selectorILb0ElEEZNS1_24adjacent_difference_implIS3_Lb0ELb0EPlS7_ZN2at6native12_GLOBAL__N_124unique_dim_cuda_templateIiEESt5tupleIJNS8_6TensorESD_SD_EERKSD_lbbbEUlllE1_EE10hipError_tPvRmT2_T3_mT4_P12ihipStream_tbEUlT_E_NS1_11comp_targetILNS1_3genE2ELNS1_11target_archE906ELNS1_3gpuE6ELNS1_3repE0EEENS1_30default_config_static_selectorELNS0_4arch9wavefront6targetE1EEEvT1_
                                        ; -- End function
	.section	.AMDGPU.csdata,"",@progbits
; Kernel info:
; codeLenInByte = 0
; NumSgprs: 6
; NumVgprs: 0
; NumAgprs: 0
; TotalNumVgprs: 0
; ScratchSize: 0
; MemoryBound: 0
; FloatMode: 240
; IeeeMode: 1
; LDSByteSize: 0 bytes/workgroup (compile time only)
; SGPRBlocks: 0
; VGPRBlocks: 0
; NumSGPRsForWavesPerEU: 6
; NumVGPRsForWavesPerEU: 1
; AccumOffset: 4
; Occupancy: 8
; WaveLimiterHint : 0
; COMPUTE_PGM_RSRC2:SCRATCH_EN: 0
; COMPUTE_PGM_RSRC2:USER_SGPR: 2
; COMPUTE_PGM_RSRC2:TRAP_HANDLER: 0
; COMPUTE_PGM_RSRC2:TGID_X_EN: 1
; COMPUTE_PGM_RSRC2:TGID_Y_EN: 0
; COMPUTE_PGM_RSRC2:TGID_Z_EN: 0
; COMPUTE_PGM_RSRC2:TIDIG_COMP_CNT: 0
; COMPUTE_PGM_RSRC3_GFX90A:ACCUM_OFFSET: 0
; COMPUTE_PGM_RSRC3_GFX90A:TG_SPLIT: 0
	.section	.text._ZN7rocprim17ROCPRIM_400000_NS6detail17trampoline_kernelINS0_14default_configENS1_35adjacent_difference_config_selectorILb0ElEEZNS1_24adjacent_difference_implIS3_Lb0ELb0EPlS7_ZN2at6native12_GLOBAL__N_124unique_dim_cuda_templateIiEESt5tupleIJNS8_6TensorESD_SD_EERKSD_lbbbEUlllE1_EE10hipError_tPvRmT2_T3_mT4_P12ihipStream_tbEUlT_E_NS1_11comp_targetILNS1_3genE9ELNS1_11target_archE1100ELNS1_3gpuE3ELNS1_3repE0EEENS1_30default_config_static_selectorELNS0_4arch9wavefront6targetE1EEEvT1_,"axG",@progbits,_ZN7rocprim17ROCPRIM_400000_NS6detail17trampoline_kernelINS0_14default_configENS1_35adjacent_difference_config_selectorILb0ElEEZNS1_24adjacent_difference_implIS3_Lb0ELb0EPlS7_ZN2at6native12_GLOBAL__N_124unique_dim_cuda_templateIiEESt5tupleIJNS8_6TensorESD_SD_EERKSD_lbbbEUlllE1_EE10hipError_tPvRmT2_T3_mT4_P12ihipStream_tbEUlT_E_NS1_11comp_targetILNS1_3genE9ELNS1_11target_archE1100ELNS1_3gpuE3ELNS1_3repE0EEENS1_30default_config_static_selectorELNS0_4arch9wavefront6targetE1EEEvT1_,comdat
	.globl	_ZN7rocprim17ROCPRIM_400000_NS6detail17trampoline_kernelINS0_14default_configENS1_35adjacent_difference_config_selectorILb0ElEEZNS1_24adjacent_difference_implIS3_Lb0ELb0EPlS7_ZN2at6native12_GLOBAL__N_124unique_dim_cuda_templateIiEESt5tupleIJNS8_6TensorESD_SD_EERKSD_lbbbEUlllE1_EE10hipError_tPvRmT2_T3_mT4_P12ihipStream_tbEUlT_E_NS1_11comp_targetILNS1_3genE9ELNS1_11target_archE1100ELNS1_3gpuE3ELNS1_3repE0EEENS1_30default_config_static_selectorELNS0_4arch9wavefront6targetE1EEEvT1_ ; -- Begin function _ZN7rocprim17ROCPRIM_400000_NS6detail17trampoline_kernelINS0_14default_configENS1_35adjacent_difference_config_selectorILb0ElEEZNS1_24adjacent_difference_implIS3_Lb0ELb0EPlS7_ZN2at6native12_GLOBAL__N_124unique_dim_cuda_templateIiEESt5tupleIJNS8_6TensorESD_SD_EERKSD_lbbbEUlllE1_EE10hipError_tPvRmT2_T3_mT4_P12ihipStream_tbEUlT_E_NS1_11comp_targetILNS1_3genE9ELNS1_11target_archE1100ELNS1_3gpuE3ELNS1_3repE0EEENS1_30default_config_static_selectorELNS0_4arch9wavefront6targetE1EEEvT1_
	.p2align	8
	.type	_ZN7rocprim17ROCPRIM_400000_NS6detail17trampoline_kernelINS0_14default_configENS1_35adjacent_difference_config_selectorILb0ElEEZNS1_24adjacent_difference_implIS3_Lb0ELb0EPlS7_ZN2at6native12_GLOBAL__N_124unique_dim_cuda_templateIiEESt5tupleIJNS8_6TensorESD_SD_EERKSD_lbbbEUlllE1_EE10hipError_tPvRmT2_T3_mT4_P12ihipStream_tbEUlT_E_NS1_11comp_targetILNS1_3genE9ELNS1_11target_archE1100ELNS1_3gpuE3ELNS1_3repE0EEENS1_30default_config_static_selectorELNS0_4arch9wavefront6targetE1EEEvT1_,@function
_ZN7rocprim17ROCPRIM_400000_NS6detail17trampoline_kernelINS0_14default_configENS1_35adjacent_difference_config_selectorILb0ElEEZNS1_24adjacent_difference_implIS3_Lb0ELb0EPlS7_ZN2at6native12_GLOBAL__N_124unique_dim_cuda_templateIiEESt5tupleIJNS8_6TensorESD_SD_EERKSD_lbbbEUlllE1_EE10hipError_tPvRmT2_T3_mT4_P12ihipStream_tbEUlT_E_NS1_11comp_targetILNS1_3genE9ELNS1_11target_archE1100ELNS1_3gpuE3ELNS1_3repE0EEENS1_30default_config_static_selectorELNS0_4arch9wavefront6targetE1EEEvT1_: ; @_ZN7rocprim17ROCPRIM_400000_NS6detail17trampoline_kernelINS0_14default_configENS1_35adjacent_difference_config_selectorILb0ElEEZNS1_24adjacent_difference_implIS3_Lb0ELb0EPlS7_ZN2at6native12_GLOBAL__N_124unique_dim_cuda_templateIiEESt5tupleIJNS8_6TensorESD_SD_EERKSD_lbbbEUlllE1_EE10hipError_tPvRmT2_T3_mT4_P12ihipStream_tbEUlT_E_NS1_11comp_targetILNS1_3genE9ELNS1_11target_archE1100ELNS1_3gpuE3ELNS1_3repE0EEENS1_30default_config_static_selectorELNS0_4arch9wavefront6targetE1EEEvT1_
; %bb.0:
	.section	.rodata,"a",@progbits
	.p2align	6, 0x0
	.amdhsa_kernel _ZN7rocprim17ROCPRIM_400000_NS6detail17trampoline_kernelINS0_14default_configENS1_35adjacent_difference_config_selectorILb0ElEEZNS1_24adjacent_difference_implIS3_Lb0ELb0EPlS7_ZN2at6native12_GLOBAL__N_124unique_dim_cuda_templateIiEESt5tupleIJNS8_6TensorESD_SD_EERKSD_lbbbEUlllE1_EE10hipError_tPvRmT2_T3_mT4_P12ihipStream_tbEUlT_E_NS1_11comp_targetILNS1_3genE9ELNS1_11target_archE1100ELNS1_3gpuE3ELNS1_3repE0EEENS1_30default_config_static_selectorELNS0_4arch9wavefront6targetE1EEEvT1_
		.amdhsa_group_segment_fixed_size 0
		.amdhsa_private_segment_fixed_size 0
		.amdhsa_kernarg_size 64
		.amdhsa_user_sgpr_count 2
		.amdhsa_user_sgpr_dispatch_ptr 0
		.amdhsa_user_sgpr_queue_ptr 0
		.amdhsa_user_sgpr_kernarg_segment_ptr 1
		.amdhsa_user_sgpr_dispatch_id 0
		.amdhsa_user_sgpr_kernarg_preload_length 0
		.amdhsa_user_sgpr_kernarg_preload_offset 0
		.amdhsa_user_sgpr_private_segment_size 0
		.amdhsa_uses_dynamic_stack 0
		.amdhsa_enable_private_segment 0
		.amdhsa_system_sgpr_workgroup_id_x 1
		.amdhsa_system_sgpr_workgroup_id_y 0
		.amdhsa_system_sgpr_workgroup_id_z 0
		.amdhsa_system_sgpr_workgroup_info 0
		.amdhsa_system_vgpr_workitem_id 0
		.amdhsa_next_free_vgpr 1
		.amdhsa_next_free_sgpr 0
		.amdhsa_accum_offset 4
		.amdhsa_reserve_vcc 0
		.amdhsa_float_round_mode_32 0
		.amdhsa_float_round_mode_16_64 0
		.amdhsa_float_denorm_mode_32 3
		.amdhsa_float_denorm_mode_16_64 3
		.amdhsa_dx10_clamp 1
		.amdhsa_ieee_mode 1
		.amdhsa_fp16_overflow 0
		.amdhsa_tg_split 0
		.amdhsa_exception_fp_ieee_invalid_op 0
		.amdhsa_exception_fp_denorm_src 0
		.amdhsa_exception_fp_ieee_div_zero 0
		.amdhsa_exception_fp_ieee_overflow 0
		.amdhsa_exception_fp_ieee_underflow 0
		.amdhsa_exception_fp_ieee_inexact 0
		.amdhsa_exception_int_div_zero 0
	.end_amdhsa_kernel
	.section	.text._ZN7rocprim17ROCPRIM_400000_NS6detail17trampoline_kernelINS0_14default_configENS1_35adjacent_difference_config_selectorILb0ElEEZNS1_24adjacent_difference_implIS3_Lb0ELb0EPlS7_ZN2at6native12_GLOBAL__N_124unique_dim_cuda_templateIiEESt5tupleIJNS8_6TensorESD_SD_EERKSD_lbbbEUlllE1_EE10hipError_tPvRmT2_T3_mT4_P12ihipStream_tbEUlT_E_NS1_11comp_targetILNS1_3genE9ELNS1_11target_archE1100ELNS1_3gpuE3ELNS1_3repE0EEENS1_30default_config_static_selectorELNS0_4arch9wavefront6targetE1EEEvT1_,"axG",@progbits,_ZN7rocprim17ROCPRIM_400000_NS6detail17trampoline_kernelINS0_14default_configENS1_35adjacent_difference_config_selectorILb0ElEEZNS1_24adjacent_difference_implIS3_Lb0ELb0EPlS7_ZN2at6native12_GLOBAL__N_124unique_dim_cuda_templateIiEESt5tupleIJNS8_6TensorESD_SD_EERKSD_lbbbEUlllE1_EE10hipError_tPvRmT2_T3_mT4_P12ihipStream_tbEUlT_E_NS1_11comp_targetILNS1_3genE9ELNS1_11target_archE1100ELNS1_3gpuE3ELNS1_3repE0EEENS1_30default_config_static_selectorELNS0_4arch9wavefront6targetE1EEEvT1_,comdat
.Lfunc_end425:
	.size	_ZN7rocprim17ROCPRIM_400000_NS6detail17trampoline_kernelINS0_14default_configENS1_35adjacent_difference_config_selectorILb0ElEEZNS1_24adjacent_difference_implIS3_Lb0ELb0EPlS7_ZN2at6native12_GLOBAL__N_124unique_dim_cuda_templateIiEESt5tupleIJNS8_6TensorESD_SD_EERKSD_lbbbEUlllE1_EE10hipError_tPvRmT2_T3_mT4_P12ihipStream_tbEUlT_E_NS1_11comp_targetILNS1_3genE9ELNS1_11target_archE1100ELNS1_3gpuE3ELNS1_3repE0EEENS1_30default_config_static_selectorELNS0_4arch9wavefront6targetE1EEEvT1_, .Lfunc_end425-_ZN7rocprim17ROCPRIM_400000_NS6detail17trampoline_kernelINS0_14default_configENS1_35adjacent_difference_config_selectorILb0ElEEZNS1_24adjacent_difference_implIS3_Lb0ELb0EPlS7_ZN2at6native12_GLOBAL__N_124unique_dim_cuda_templateIiEESt5tupleIJNS8_6TensorESD_SD_EERKSD_lbbbEUlllE1_EE10hipError_tPvRmT2_T3_mT4_P12ihipStream_tbEUlT_E_NS1_11comp_targetILNS1_3genE9ELNS1_11target_archE1100ELNS1_3gpuE3ELNS1_3repE0EEENS1_30default_config_static_selectorELNS0_4arch9wavefront6targetE1EEEvT1_
                                        ; -- End function
	.section	.AMDGPU.csdata,"",@progbits
; Kernel info:
; codeLenInByte = 0
; NumSgprs: 6
; NumVgprs: 0
; NumAgprs: 0
; TotalNumVgprs: 0
; ScratchSize: 0
; MemoryBound: 0
; FloatMode: 240
; IeeeMode: 1
; LDSByteSize: 0 bytes/workgroup (compile time only)
; SGPRBlocks: 0
; VGPRBlocks: 0
; NumSGPRsForWavesPerEU: 6
; NumVGPRsForWavesPerEU: 1
; AccumOffset: 4
; Occupancy: 8
; WaveLimiterHint : 0
; COMPUTE_PGM_RSRC2:SCRATCH_EN: 0
; COMPUTE_PGM_RSRC2:USER_SGPR: 2
; COMPUTE_PGM_RSRC2:TRAP_HANDLER: 0
; COMPUTE_PGM_RSRC2:TGID_X_EN: 1
; COMPUTE_PGM_RSRC2:TGID_Y_EN: 0
; COMPUTE_PGM_RSRC2:TGID_Z_EN: 0
; COMPUTE_PGM_RSRC2:TIDIG_COMP_CNT: 0
; COMPUTE_PGM_RSRC3_GFX90A:ACCUM_OFFSET: 0
; COMPUTE_PGM_RSRC3_GFX90A:TG_SPLIT: 0
	.section	.text._ZN7rocprim17ROCPRIM_400000_NS6detail17trampoline_kernelINS0_14default_configENS1_35adjacent_difference_config_selectorILb0ElEEZNS1_24adjacent_difference_implIS3_Lb0ELb0EPlS7_ZN2at6native12_GLOBAL__N_124unique_dim_cuda_templateIiEESt5tupleIJNS8_6TensorESD_SD_EERKSD_lbbbEUlllE1_EE10hipError_tPvRmT2_T3_mT4_P12ihipStream_tbEUlT_E_NS1_11comp_targetILNS1_3genE8ELNS1_11target_archE1030ELNS1_3gpuE2ELNS1_3repE0EEENS1_30default_config_static_selectorELNS0_4arch9wavefront6targetE1EEEvT1_,"axG",@progbits,_ZN7rocprim17ROCPRIM_400000_NS6detail17trampoline_kernelINS0_14default_configENS1_35adjacent_difference_config_selectorILb0ElEEZNS1_24adjacent_difference_implIS3_Lb0ELb0EPlS7_ZN2at6native12_GLOBAL__N_124unique_dim_cuda_templateIiEESt5tupleIJNS8_6TensorESD_SD_EERKSD_lbbbEUlllE1_EE10hipError_tPvRmT2_T3_mT4_P12ihipStream_tbEUlT_E_NS1_11comp_targetILNS1_3genE8ELNS1_11target_archE1030ELNS1_3gpuE2ELNS1_3repE0EEENS1_30default_config_static_selectorELNS0_4arch9wavefront6targetE1EEEvT1_,comdat
	.globl	_ZN7rocprim17ROCPRIM_400000_NS6detail17trampoline_kernelINS0_14default_configENS1_35adjacent_difference_config_selectorILb0ElEEZNS1_24adjacent_difference_implIS3_Lb0ELb0EPlS7_ZN2at6native12_GLOBAL__N_124unique_dim_cuda_templateIiEESt5tupleIJNS8_6TensorESD_SD_EERKSD_lbbbEUlllE1_EE10hipError_tPvRmT2_T3_mT4_P12ihipStream_tbEUlT_E_NS1_11comp_targetILNS1_3genE8ELNS1_11target_archE1030ELNS1_3gpuE2ELNS1_3repE0EEENS1_30default_config_static_selectorELNS0_4arch9wavefront6targetE1EEEvT1_ ; -- Begin function _ZN7rocprim17ROCPRIM_400000_NS6detail17trampoline_kernelINS0_14default_configENS1_35adjacent_difference_config_selectorILb0ElEEZNS1_24adjacent_difference_implIS3_Lb0ELb0EPlS7_ZN2at6native12_GLOBAL__N_124unique_dim_cuda_templateIiEESt5tupleIJNS8_6TensorESD_SD_EERKSD_lbbbEUlllE1_EE10hipError_tPvRmT2_T3_mT4_P12ihipStream_tbEUlT_E_NS1_11comp_targetILNS1_3genE8ELNS1_11target_archE1030ELNS1_3gpuE2ELNS1_3repE0EEENS1_30default_config_static_selectorELNS0_4arch9wavefront6targetE1EEEvT1_
	.p2align	8
	.type	_ZN7rocprim17ROCPRIM_400000_NS6detail17trampoline_kernelINS0_14default_configENS1_35adjacent_difference_config_selectorILb0ElEEZNS1_24adjacent_difference_implIS3_Lb0ELb0EPlS7_ZN2at6native12_GLOBAL__N_124unique_dim_cuda_templateIiEESt5tupleIJNS8_6TensorESD_SD_EERKSD_lbbbEUlllE1_EE10hipError_tPvRmT2_T3_mT4_P12ihipStream_tbEUlT_E_NS1_11comp_targetILNS1_3genE8ELNS1_11target_archE1030ELNS1_3gpuE2ELNS1_3repE0EEENS1_30default_config_static_selectorELNS0_4arch9wavefront6targetE1EEEvT1_,@function
_ZN7rocprim17ROCPRIM_400000_NS6detail17trampoline_kernelINS0_14default_configENS1_35adjacent_difference_config_selectorILb0ElEEZNS1_24adjacent_difference_implIS3_Lb0ELb0EPlS7_ZN2at6native12_GLOBAL__N_124unique_dim_cuda_templateIiEESt5tupleIJNS8_6TensorESD_SD_EERKSD_lbbbEUlllE1_EE10hipError_tPvRmT2_T3_mT4_P12ihipStream_tbEUlT_E_NS1_11comp_targetILNS1_3genE8ELNS1_11target_archE1030ELNS1_3gpuE2ELNS1_3repE0EEENS1_30default_config_static_selectorELNS0_4arch9wavefront6targetE1EEEvT1_: ; @_ZN7rocprim17ROCPRIM_400000_NS6detail17trampoline_kernelINS0_14default_configENS1_35adjacent_difference_config_selectorILb0ElEEZNS1_24adjacent_difference_implIS3_Lb0ELb0EPlS7_ZN2at6native12_GLOBAL__N_124unique_dim_cuda_templateIiEESt5tupleIJNS8_6TensorESD_SD_EERKSD_lbbbEUlllE1_EE10hipError_tPvRmT2_T3_mT4_P12ihipStream_tbEUlT_E_NS1_11comp_targetILNS1_3genE8ELNS1_11target_archE1030ELNS1_3gpuE2ELNS1_3repE0EEENS1_30default_config_static_selectorELNS0_4arch9wavefront6targetE1EEEvT1_
; %bb.0:
	.section	.rodata,"a",@progbits
	.p2align	6, 0x0
	.amdhsa_kernel _ZN7rocprim17ROCPRIM_400000_NS6detail17trampoline_kernelINS0_14default_configENS1_35adjacent_difference_config_selectorILb0ElEEZNS1_24adjacent_difference_implIS3_Lb0ELb0EPlS7_ZN2at6native12_GLOBAL__N_124unique_dim_cuda_templateIiEESt5tupleIJNS8_6TensorESD_SD_EERKSD_lbbbEUlllE1_EE10hipError_tPvRmT2_T3_mT4_P12ihipStream_tbEUlT_E_NS1_11comp_targetILNS1_3genE8ELNS1_11target_archE1030ELNS1_3gpuE2ELNS1_3repE0EEENS1_30default_config_static_selectorELNS0_4arch9wavefront6targetE1EEEvT1_
		.amdhsa_group_segment_fixed_size 0
		.amdhsa_private_segment_fixed_size 0
		.amdhsa_kernarg_size 64
		.amdhsa_user_sgpr_count 2
		.amdhsa_user_sgpr_dispatch_ptr 0
		.amdhsa_user_sgpr_queue_ptr 0
		.amdhsa_user_sgpr_kernarg_segment_ptr 1
		.amdhsa_user_sgpr_dispatch_id 0
		.amdhsa_user_sgpr_kernarg_preload_length 0
		.amdhsa_user_sgpr_kernarg_preload_offset 0
		.amdhsa_user_sgpr_private_segment_size 0
		.amdhsa_uses_dynamic_stack 0
		.amdhsa_enable_private_segment 0
		.amdhsa_system_sgpr_workgroup_id_x 1
		.amdhsa_system_sgpr_workgroup_id_y 0
		.amdhsa_system_sgpr_workgroup_id_z 0
		.amdhsa_system_sgpr_workgroup_info 0
		.amdhsa_system_vgpr_workitem_id 0
		.amdhsa_next_free_vgpr 1
		.amdhsa_next_free_sgpr 0
		.amdhsa_accum_offset 4
		.amdhsa_reserve_vcc 0
		.amdhsa_float_round_mode_32 0
		.amdhsa_float_round_mode_16_64 0
		.amdhsa_float_denorm_mode_32 3
		.amdhsa_float_denorm_mode_16_64 3
		.amdhsa_dx10_clamp 1
		.amdhsa_ieee_mode 1
		.amdhsa_fp16_overflow 0
		.amdhsa_tg_split 0
		.amdhsa_exception_fp_ieee_invalid_op 0
		.amdhsa_exception_fp_denorm_src 0
		.amdhsa_exception_fp_ieee_div_zero 0
		.amdhsa_exception_fp_ieee_overflow 0
		.amdhsa_exception_fp_ieee_underflow 0
		.amdhsa_exception_fp_ieee_inexact 0
		.amdhsa_exception_int_div_zero 0
	.end_amdhsa_kernel
	.section	.text._ZN7rocprim17ROCPRIM_400000_NS6detail17trampoline_kernelINS0_14default_configENS1_35adjacent_difference_config_selectorILb0ElEEZNS1_24adjacent_difference_implIS3_Lb0ELb0EPlS7_ZN2at6native12_GLOBAL__N_124unique_dim_cuda_templateIiEESt5tupleIJNS8_6TensorESD_SD_EERKSD_lbbbEUlllE1_EE10hipError_tPvRmT2_T3_mT4_P12ihipStream_tbEUlT_E_NS1_11comp_targetILNS1_3genE8ELNS1_11target_archE1030ELNS1_3gpuE2ELNS1_3repE0EEENS1_30default_config_static_selectorELNS0_4arch9wavefront6targetE1EEEvT1_,"axG",@progbits,_ZN7rocprim17ROCPRIM_400000_NS6detail17trampoline_kernelINS0_14default_configENS1_35adjacent_difference_config_selectorILb0ElEEZNS1_24adjacent_difference_implIS3_Lb0ELb0EPlS7_ZN2at6native12_GLOBAL__N_124unique_dim_cuda_templateIiEESt5tupleIJNS8_6TensorESD_SD_EERKSD_lbbbEUlllE1_EE10hipError_tPvRmT2_T3_mT4_P12ihipStream_tbEUlT_E_NS1_11comp_targetILNS1_3genE8ELNS1_11target_archE1030ELNS1_3gpuE2ELNS1_3repE0EEENS1_30default_config_static_selectorELNS0_4arch9wavefront6targetE1EEEvT1_,comdat
.Lfunc_end426:
	.size	_ZN7rocprim17ROCPRIM_400000_NS6detail17trampoline_kernelINS0_14default_configENS1_35adjacent_difference_config_selectorILb0ElEEZNS1_24adjacent_difference_implIS3_Lb0ELb0EPlS7_ZN2at6native12_GLOBAL__N_124unique_dim_cuda_templateIiEESt5tupleIJNS8_6TensorESD_SD_EERKSD_lbbbEUlllE1_EE10hipError_tPvRmT2_T3_mT4_P12ihipStream_tbEUlT_E_NS1_11comp_targetILNS1_3genE8ELNS1_11target_archE1030ELNS1_3gpuE2ELNS1_3repE0EEENS1_30default_config_static_selectorELNS0_4arch9wavefront6targetE1EEEvT1_, .Lfunc_end426-_ZN7rocprim17ROCPRIM_400000_NS6detail17trampoline_kernelINS0_14default_configENS1_35adjacent_difference_config_selectorILb0ElEEZNS1_24adjacent_difference_implIS3_Lb0ELb0EPlS7_ZN2at6native12_GLOBAL__N_124unique_dim_cuda_templateIiEESt5tupleIJNS8_6TensorESD_SD_EERKSD_lbbbEUlllE1_EE10hipError_tPvRmT2_T3_mT4_P12ihipStream_tbEUlT_E_NS1_11comp_targetILNS1_3genE8ELNS1_11target_archE1030ELNS1_3gpuE2ELNS1_3repE0EEENS1_30default_config_static_selectorELNS0_4arch9wavefront6targetE1EEEvT1_
                                        ; -- End function
	.section	.AMDGPU.csdata,"",@progbits
; Kernel info:
; codeLenInByte = 0
; NumSgprs: 6
; NumVgprs: 0
; NumAgprs: 0
; TotalNumVgprs: 0
; ScratchSize: 0
; MemoryBound: 0
; FloatMode: 240
; IeeeMode: 1
; LDSByteSize: 0 bytes/workgroup (compile time only)
; SGPRBlocks: 0
; VGPRBlocks: 0
; NumSGPRsForWavesPerEU: 6
; NumVGPRsForWavesPerEU: 1
; AccumOffset: 4
; Occupancy: 8
; WaveLimiterHint : 0
; COMPUTE_PGM_RSRC2:SCRATCH_EN: 0
; COMPUTE_PGM_RSRC2:USER_SGPR: 2
; COMPUTE_PGM_RSRC2:TRAP_HANDLER: 0
; COMPUTE_PGM_RSRC2:TGID_X_EN: 1
; COMPUTE_PGM_RSRC2:TGID_Y_EN: 0
; COMPUTE_PGM_RSRC2:TGID_Z_EN: 0
; COMPUTE_PGM_RSRC2:TIDIG_COMP_CNT: 0
; COMPUTE_PGM_RSRC3_GFX90A:ACCUM_OFFSET: 0
; COMPUTE_PGM_RSRC3_GFX90A:TG_SPLIT: 0
	.section	.text._ZN7rocprim17ROCPRIM_400000_NS6detail17trampoline_kernelINS0_14default_configENS1_25transform_config_selectorIlLb0EEEZNS1_14transform_implILb0ES3_S5_NS0_18transform_iteratorINS0_17counting_iteratorImlEEZNS1_24adjacent_difference_implIS3_Lb1ELb0EPlSB_ZN2at6native12_GLOBAL__N_124unique_dim_cuda_templateIiEESt5tupleIJNSC_6TensorESH_SH_EERKSH_lbbbEUlllE1_EE10hipError_tPvRmT2_T3_mT4_P12ihipStream_tbEUlmE_lEESB_NS0_8identityIvEEEESM_SP_SQ_mSR_ST_bEUlT_E_NS1_11comp_targetILNS1_3genE0ELNS1_11target_archE4294967295ELNS1_3gpuE0ELNS1_3repE0EEENS1_30default_config_static_selectorELNS0_4arch9wavefront6targetE1EEEvT1_,"axG",@progbits,_ZN7rocprim17ROCPRIM_400000_NS6detail17trampoline_kernelINS0_14default_configENS1_25transform_config_selectorIlLb0EEEZNS1_14transform_implILb0ES3_S5_NS0_18transform_iteratorINS0_17counting_iteratorImlEEZNS1_24adjacent_difference_implIS3_Lb1ELb0EPlSB_ZN2at6native12_GLOBAL__N_124unique_dim_cuda_templateIiEESt5tupleIJNSC_6TensorESH_SH_EERKSH_lbbbEUlllE1_EE10hipError_tPvRmT2_T3_mT4_P12ihipStream_tbEUlmE_lEESB_NS0_8identityIvEEEESM_SP_SQ_mSR_ST_bEUlT_E_NS1_11comp_targetILNS1_3genE0ELNS1_11target_archE4294967295ELNS1_3gpuE0ELNS1_3repE0EEENS1_30default_config_static_selectorELNS0_4arch9wavefront6targetE1EEEvT1_,comdat
	.globl	_ZN7rocprim17ROCPRIM_400000_NS6detail17trampoline_kernelINS0_14default_configENS1_25transform_config_selectorIlLb0EEEZNS1_14transform_implILb0ES3_S5_NS0_18transform_iteratorINS0_17counting_iteratorImlEEZNS1_24adjacent_difference_implIS3_Lb1ELb0EPlSB_ZN2at6native12_GLOBAL__N_124unique_dim_cuda_templateIiEESt5tupleIJNSC_6TensorESH_SH_EERKSH_lbbbEUlllE1_EE10hipError_tPvRmT2_T3_mT4_P12ihipStream_tbEUlmE_lEESB_NS0_8identityIvEEEESM_SP_SQ_mSR_ST_bEUlT_E_NS1_11comp_targetILNS1_3genE0ELNS1_11target_archE4294967295ELNS1_3gpuE0ELNS1_3repE0EEENS1_30default_config_static_selectorELNS0_4arch9wavefront6targetE1EEEvT1_ ; -- Begin function _ZN7rocprim17ROCPRIM_400000_NS6detail17trampoline_kernelINS0_14default_configENS1_25transform_config_selectorIlLb0EEEZNS1_14transform_implILb0ES3_S5_NS0_18transform_iteratorINS0_17counting_iteratorImlEEZNS1_24adjacent_difference_implIS3_Lb1ELb0EPlSB_ZN2at6native12_GLOBAL__N_124unique_dim_cuda_templateIiEESt5tupleIJNSC_6TensorESH_SH_EERKSH_lbbbEUlllE1_EE10hipError_tPvRmT2_T3_mT4_P12ihipStream_tbEUlmE_lEESB_NS0_8identityIvEEEESM_SP_SQ_mSR_ST_bEUlT_E_NS1_11comp_targetILNS1_3genE0ELNS1_11target_archE4294967295ELNS1_3gpuE0ELNS1_3repE0EEENS1_30default_config_static_selectorELNS0_4arch9wavefront6targetE1EEEvT1_
	.p2align	8
	.type	_ZN7rocprim17ROCPRIM_400000_NS6detail17trampoline_kernelINS0_14default_configENS1_25transform_config_selectorIlLb0EEEZNS1_14transform_implILb0ES3_S5_NS0_18transform_iteratorINS0_17counting_iteratorImlEEZNS1_24adjacent_difference_implIS3_Lb1ELb0EPlSB_ZN2at6native12_GLOBAL__N_124unique_dim_cuda_templateIiEESt5tupleIJNSC_6TensorESH_SH_EERKSH_lbbbEUlllE1_EE10hipError_tPvRmT2_T3_mT4_P12ihipStream_tbEUlmE_lEESB_NS0_8identityIvEEEESM_SP_SQ_mSR_ST_bEUlT_E_NS1_11comp_targetILNS1_3genE0ELNS1_11target_archE4294967295ELNS1_3gpuE0ELNS1_3repE0EEENS1_30default_config_static_selectorELNS0_4arch9wavefront6targetE1EEEvT1_,@function
_ZN7rocprim17ROCPRIM_400000_NS6detail17trampoline_kernelINS0_14default_configENS1_25transform_config_selectorIlLb0EEEZNS1_14transform_implILb0ES3_S5_NS0_18transform_iteratorINS0_17counting_iteratorImlEEZNS1_24adjacent_difference_implIS3_Lb1ELb0EPlSB_ZN2at6native12_GLOBAL__N_124unique_dim_cuda_templateIiEESt5tupleIJNSC_6TensorESH_SH_EERKSH_lbbbEUlllE1_EE10hipError_tPvRmT2_T3_mT4_P12ihipStream_tbEUlmE_lEESB_NS0_8identityIvEEEESM_SP_SQ_mSR_ST_bEUlT_E_NS1_11comp_targetILNS1_3genE0ELNS1_11target_archE4294967295ELNS1_3gpuE0ELNS1_3repE0EEENS1_30default_config_static_selectorELNS0_4arch9wavefront6targetE1EEEvT1_: ; @_ZN7rocprim17ROCPRIM_400000_NS6detail17trampoline_kernelINS0_14default_configENS1_25transform_config_selectorIlLb0EEEZNS1_14transform_implILb0ES3_S5_NS0_18transform_iteratorINS0_17counting_iteratorImlEEZNS1_24adjacent_difference_implIS3_Lb1ELb0EPlSB_ZN2at6native12_GLOBAL__N_124unique_dim_cuda_templateIiEESt5tupleIJNSC_6TensorESH_SH_EERKSH_lbbbEUlllE1_EE10hipError_tPvRmT2_T3_mT4_P12ihipStream_tbEUlmE_lEESB_NS0_8identityIvEEEESM_SP_SQ_mSR_ST_bEUlT_E_NS1_11comp_targetILNS1_3genE0ELNS1_11target_archE4294967295ELNS1_3gpuE0ELNS1_3repE0EEENS1_30default_config_static_selectorELNS0_4arch9wavefront6targetE1EEEvT1_
; %bb.0:
	.section	.rodata,"a",@progbits
	.p2align	6, 0x0
	.amdhsa_kernel _ZN7rocprim17ROCPRIM_400000_NS6detail17trampoline_kernelINS0_14default_configENS1_25transform_config_selectorIlLb0EEEZNS1_14transform_implILb0ES3_S5_NS0_18transform_iteratorINS0_17counting_iteratorImlEEZNS1_24adjacent_difference_implIS3_Lb1ELb0EPlSB_ZN2at6native12_GLOBAL__N_124unique_dim_cuda_templateIiEESt5tupleIJNSC_6TensorESH_SH_EERKSH_lbbbEUlllE1_EE10hipError_tPvRmT2_T3_mT4_P12ihipStream_tbEUlmE_lEESB_NS0_8identityIvEEEESM_SP_SQ_mSR_ST_bEUlT_E_NS1_11comp_targetILNS1_3genE0ELNS1_11target_archE4294967295ELNS1_3gpuE0ELNS1_3repE0EEENS1_30default_config_static_selectorELNS0_4arch9wavefront6targetE1EEEvT1_
		.amdhsa_group_segment_fixed_size 0
		.amdhsa_private_segment_fixed_size 0
		.amdhsa_kernarg_size 56
		.amdhsa_user_sgpr_count 2
		.amdhsa_user_sgpr_dispatch_ptr 0
		.amdhsa_user_sgpr_queue_ptr 0
		.amdhsa_user_sgpr_kernarg_segment_ptr 1
		.amdhsa_user_sgpr_dispatch_id 0
		.amdhsa_user_sgpr_kernarg_preload_length 0
		.amdhsa_user_sgpr_kernarg_preload_offset 0
		.amdhsa_user_sgpr_private_segment_size 0
		.amdhsa_uses_dynamic_stack 0
		.amdhsa_enable_private_segment 0
		.amdhsa_system_sgpr_workgroup_id_x 1
		.amdhsa_system_sgpr_workgroup_id_y 0
		.amdhsa_system_sgpr_workgroup_id_z 0
		.amdhsa_system_sgpr_workgroup_info 0
		.amdhsa_system_vgpr_workitem_id 0
		.amdhsa_next_free_vgpr 1
		.amdhsa_next_free_sgpr 0
		.amdhsa_accum_offset 4
		.amdhsa_reserve_vcc 0
		.amdhsa_float_round_mode_32 0
		.amdhsa_float_round_mode_16_64 0
		.amdhsa_float_denorm_mode_32 3
		.amdhsa_float_denorm_mode_16_64 3
		.amdhsa_dx10_clamp 1
		.amdhsa_ieee_mode 1
		.amdhsa_fp16_overflow 0
		.amdhsa_tg_split 0
		.amdhsa_exception_fp_ieee_invalid_op 0
		.amdhsa_exception_fp_denorm_src 0
		.amdhsa_exception_fp_ieee_div_zero 0
		.amdhsa_exception_fp_ieee_overflow 0
		.amdhsa_exception_fp_ieee_underflow 0
		.amdhsa_exception_fp_ieee_inexact 0
		.amdhsa_exception_int_div_zero 0
	.end_amdhsa_kernel
	.section	.text._ZN7rocprim17ROCPRIM_400000_NS6detail17trampoline_kernelINS0_14default_configENS1_25transform_config_selectorIlLb0EEEZNS1_14transform_implILb0ES3_S5_NS0_18transform_iteratorINS0_17counting_iteratorImlEEZNS1_24adjacent_difference_implIS3_Lb1ELb0EPlSB_ZN2at6native12_GLOBAL__N_124unique_dim_cuda_templateIiEESt5tupleIJNSC_6TensorESH_SH_EERKSH_lbbbEUlllE1_EE10hipError_tPvRmT2_T3_mT4_P12ihipStream_tbEUlmE_lEESB_NS0_8identityIvEEEESM_SP_SQ_mSR_ST_bEUlT_E_NS1_11comp_targetILNS1_3genE0ELNS1_11target_archE4294967295ELNS1_3gpuE0ELNS1_3repE0EEENS1_30default_config_static_selectorELNS0_4arch9wavefront6targetE1EEEvT1_,"axG",@progbits,_ZN7rocprim17ROCPRIM_400000_NS6detail17trampoline_kernelINS0_14default_configENS1_25transform_config_selectorIlLb0EEEZNS1_14transform_implILb0ES3_S5_NS0_18transform_iteratorINS0_17counting_iteratorImlEEZNS1_24adjacent_difference_implIS3_Lb1ELb0EPlSB_ZN2at6native12_GLOBAL__N_124unique_dim_cuda_templateIiEESt5tupleIJNSC_6TensorESH_SH_EERKSH_lbbbEUlllE1_EE10hipError_tPvRmT2_T3_mT4_P12ihipStream_tbEUlmE_lEESB_NS0_8identityIvEEEESM_SP_SQ_mSR_ST_bEUlT_E_NS1_11comp_targetILNS1_3genE0ELNS1_11target_archE4294967295ELNS1_3gpuE0ELNS1_3repE0EEENS1_30default_config_static_selectorELNS0_4arch9wavefront6targetE1EEEvT1_,comdat
.Lfunc_end427:
	.size	_ZN7rocprim17ROCPRIM_400000_NS6detail17trampoline_kernelINS0_14default_configENS1_25transform_config_selectorIlLb0EEEZNS1_14transform_implILb0ES3_S5_NS0_18transform_iteratorINS0_17counting_iteratorImlEEZNS1_24adjacent_difference_implIS3_Lb1ELb0EPlSB_ZN2at6native12_GLOBAL__N_124unique_dim_cuda_templateIiEESt5tupleIJNSC_6TensorESH_SH_EERKSH_lbbbEUlllE1_EE10hipError_tPvRmT2_T3_mT4_P12ihipStream_tbEUlmE_lEESB_NS0_8identityIvEEEESM_SP_SQ_mSR_ST_bEUlT_E_NS1_11comp_targetILNS1_3genE0ELNS1_11target_archE4294967295ELNS1_3gpuE0ELNS1_3repE0EEENS1_30default_config_static_selectorELNS0_4arch9wavefront6targetE1EEEvT1_, .Lfunc_end427-_ZN7rocprim17ROCPRIM_400000_NS6detail17trampoline_kernelINS0_14default_configENS1_25transform_config_selectorIlLb0EEEZNS1_14transform_implILb0ES3_S5_NS0_18transform_iteratorINS0_17counting_iteratorImlEEZNS1_24adjacent_difference_implIS3_Lb1ELb0EPlSB_ZN2at6native12_GLOBAL__N_124unique_dim_cuda_templateIiEESt5tupleIJNSC_6TensorESH_SH_EERKSH_lbbbEUlllE1_EE10hipError_tPvRmT2_T3_mT4_P12ihipStream_tbEUlmE_lEESB_NS0_8identityIvEEEESM_SP_SQ_mSR_ST_bEUlT_E_NS1_11comp_targetILNS1_3genE0ELNS1_11target_archE4294967295ELNS1_3gpuE0ELNS1_3repE0EEENS1_30default_config_static_selectorELNS0_4arch9wavefront6targetE1EEEvT1_
                                        ; -- End function
	.section	.AMDGPU.csdata,"",@progbits
; Kernel info:
; codeLenInByte = 0
; NumSgprs: 6
; NumVgprs: 0
; NumAgprs: 0
; TotalNumVgprs: 0
; ScratchSize: 0
; MemoryBound: 0
; FloatMode: 240
; IeeeMode: 1
; LDSByteSize: 0 bytes/workgroup (compile time only)
; SGPRBlocks: 0
; VGPRBlocks: 0
; NumSGPRsForWavesPerEU: 6
; NumVGPRsForWavesPerEU: 1
; AccumOffset: 4
; Occupancy: 8
; WaveLimiterHint : 0
; COMPUTE_PGM_RSRC2:SCRATCH_EN: 0
; COMPUTE_PGM_RSRC2:USER_SGPR: 2
; COMPUTE_PGM_RSRC2:TRAP_HANDLER: 0
; COMPUTE_PGM_RSRC2:TGID_X_EN: 1
; COMPUTE_PGM_RSRC2:TGID_Y_EN: 0
; COMPUTE_PGM_RSRC2:TGID_Z_EN: 0
; COMPUTE_PGM_RSRC2:TIDIG_COMP_CNT: 0
; COMPUTE_PGM_RSRC3_GFX90A:ACCUM_OFFSET: 0
; COMPUTE_PGM_RSRC3_GFX90A:TG_SPLIT: 0
	.section	.text._ZN7rocprim17ROCPRIM_400000_NS6detail17trampoline_kernelINS0_14default_configENS1_25transform_config_selectorIlLb0EEEZNS1_14transform_implILb0ES3_S5_NS0_18transform_iteratorINS0_17counting_iteratorImlEEZNS1_24adjacent_difference_implIS3_Lb1ELb0EPlSB_ZN2at6native12_GLOBAL__N_124unique_dim_cuda_templateIiEESt5tupleIJNSC_6TensorESH_SH_EERKSH_lbbbEUlllE1_EE10hipError_tPvRmT2_T3_mT4_P12ihipStream_tbEUlmE_lEESB_NS0_8identityIvEEEESM_SP_SQ_mSR_ST_bEUlT_E_NS1_11comp_targetILNS1_3genE5ELNS1_11target_archE942ELNS1_3gpuE9ELNS1_3repE0EEENS1_30default_config_static_selectorELNS0_4arch9wavefront6targetE1EEEvT1_,"axG",@progbits,_ZN7rocprim17ROCPRIM_400000_NS6detail17trampoline_kernelINS0_14default_configENS1_25transform_config_selectorIlLb0EEEZNS1_14transform_implILb0ES3_S5_NS0_18transform_iteratorINS0_17counting_iteratorImlEEZNS1_24adjacent_difference_implIS3_Lb1ELb0EPlSB_ZN2at6native12_GLOBAL__N_124unique_dim_cuda_templateIiEESt5tupleIJNSC_6TensorESH_SH_EERKSH_lbbbEUlllE1_EE10hipError_tPvRmT2_T3_mT4_P12ihipStream_tbEUlmE_lEESB_NS0_8identityIvEEEESM_SP_SQ_mSR_ST_bEUlT_E_NS1_11comp_targetILNS1_3genE5ELNS1_11target_archE942ELNS1_3gpuE9ELNS1_3repE0EEENS1_30default_config_static_selectorELNS0_4arch9wavefront6targetE1EEEvT1_,comdat
	.globl	_ZN7rocprim17ROCPRIM_400000_NS6detail17trampoline_kernelINS0_14default_configENS1_25transform_config_selectorIlLb0EEEZNS1_14transform_implILb0ES3_S5_NS0_18transform_iteratorINS0_17counting_iteratorImlEEZNS1_24adjacent_difference_implIS3_Lb1ELb0EPlSB_ZN2at6native12_GLOBAL__N_124unique_dim_cuda_templateIiEESt5tupleIJNSC_6TensorESH_SH_EERKSH_lbbbEUlllE1_EE10hipError_tPvRmT2_T3_mT4_P12ihipStream_tbEUlmE_lEESB_NS0_8identityIvEEEESM_SP_SQ_mSR_ST_bEUlT_E_NS1_11comp_targetILNS1_3genE5ELNS1_11target_archE942ELNS1_3gpuE9ELNS1_3repE0EEENS1_30default_config_static_selectorELNS0_4arch9wavefront6targetE1EEEvT1_ ; -- Begin function _ZN7rocprim17ROCPRIM_400000_NS6detail17trampoline_kernelINS0_14default_configENS1_25transform_config_selectorIlLb0EEEZNS1_14transform_implILb0ES3_S5_NS0_18transform_iteratorINS0_17counting_iteratorImlEEZNS1_24adjacent_difference_implIS3_Lb1ELb0EPlSB_ZN2at6native12_GLOBAL__N_124unique_dim_cuda_templateIiEESt5tupleIJNSC_6TensorESH_SH_EERKSH_lbbbEUlllE1_EE10hipError_tPvRmT2_T3_mT4_P12ihipStream_tbEUlmE_lEESB_NS0_8identityIvEEEESM_SP_SQ_mSR_ST_bEUlT_E_NS1_11comp_targetILNS1_3genE5ELNS1_11target_archE942ELNS1_3gpuE9ELNS1_3repE0EEENS1_30default_config_static_selectorELNS0_4arch9wavefront6targetE1EEEvT1_
	.p2align	8
	.type	_ZN7rocprim17ROCPRIM_400000_NS6detail17trampoline_kernelINS0_14default_configENS1_25transform_config_selectorIlLb0EEEZNS1_14transform_implILb0ES3_S5_NS0_18transform_iteratorINS0_17counting_iteratorImlEEZNS1_24adjacent_difference_implIS3_Lb1ELb0EPlSB_ZN2at6native12_GLOBAL__N_124unique_dim_cuda_templateIiEESt5tupleIJNSC_6TensorESH_SH_EERKSH_lbbbEUlllE1_EE10hipError_tPvRmT2_T3_mT4_P12ihipStream_tbEUlmE_lEESB_NS0_8identityIvEEEESM_SP_SQ_mSR_ST_bEUlT_E_NS1_11comp_targetILNS1_3genE5ELNS1_11target_archE942ELNS1_3gpuE9ELNS1_3repE0EEENS1_30default_config_static_selectorELNS0_4arch9wavefront6targetE1EEEvT1_,@function
_ZN7rocprim17ROCPRIM_400000_NS6detail17trampoline_kernelINS0_14default_configENS1_25transform_config_selectorIlLb0EEEZNS1_14transform_implILb0ES3_S5_NS0_18transform_iteratorINS0_17counting_iteratorImlEEZNS1_24adjacent_difference_implIS3_Lb1ELb0EPlSB_ZN2at6native12_GLOBAL__N_124unique_dim_cuda_templateIiEESt5tupleIJNSC_6TensorESH_SH_EERKSH_lbbbEUlllE1_EE10hipError_tPvRmT2_T3_mT4_P12ihipStream_tbEUlmE_lEESB_NS0_8identityIvEEEESM_SP_SQ_mSR_ST_bEUlT_E_NS1_11comp_targetILNS1_3genE5ELNS1_11target_archE942ELNS1_3gpuE9ELNS1_3repE0EEENS1_30default_config_static_selectorELNS0_4arch9wavefront6targetE1EEEvT1_: ; @_ZN7rocprim17ROCPRIM_400000_NS6detail17trampoline_kernelINS0_14default_configENS1_25transform_config_selectorIlLb0EEEZNS1_14transform_implILb0ES3_S5_NS0_18transform_iteratorINS0_17counting_iteratorImlEEZNS1_24adjacent_difference_implIS3_Lb1ELb0EPlSB_ZN2at6native12_GLOBAL__N_124unique_dim_cuda_templateIiEESt5tupleIJNSC_6TensorESH_SH_EERKSH_lbbbEUlllE1_EE10hipError_tPvRmT2_T3_mT4_P12ihipStream_tbEUlmE_lEESB_NS0_8identityIvEEEESM_SP_SQ_mSR_ST_bEUlT_E_NS1_11comp_targetILNS1_3genE5ELNS1_11target_archE942ELNS1_3gpuE9ELNS1_3repE0EEENS1_30default_config_static_selectorELNS0_4arch9wavefront6targetE1EEEvT1_
; %bb.0:
	s_load_dwordx4 s[8:11], s[0:1], 0x18
	s_load_dwordx2 s[12:13], s[0:1], 0x28
	s_load_dwordx4 s[4:7], s[0:1], 0x0
	s_load_dword s14, s[0:1], 0x10
	s_load_dword s3, s[0:1], 0x38
	s_waitcnt lgkmcnt(0)
	s_lshl_b64 s[0:1], s[8:9], 3
	s_add_u32 s11, s12, s0
	s_addc_u32 s16, s13, s1
	s_lshl_b32 s12, s2, 10
	s_add_i32 s3, s3, -1
	s_add_u32 s0, s4, s12
	s_addc_u32 s1, s5, 0
	s_add_u32 s4, s0, s8
	s_addc_u32 s5, s1, s9
	s_mov_b32 s13, 0
	s_cmp_lg_u32 s2, s3
	v_lshlrev_b32_e32 v6, 3, v0
	s_cbranch_scc0 .LBB428_2
; %bb.1:
	v_mov_b32_e32 v1, 0
	v_lshl_add_u64 v[2:3], s[4:5], 0, v[0:1]
	v_mad_u64_u32 v[4:5], s[0:1], v2, s14, 0
	v_mov_b32_e32 v2, v5
	v_mad_u64_u32 v[2:3], s[0:1], v3, s14, v[2:3]
	s_mov_b32 s15, s13
	v_mov_b32_e32 v5, v2
	v_lshl_add_u64 v[2:3], v[4:5], 3, s[6:7]
	s_lshl_b64 s[0:1], s[14:15], 12
	global_load_dwordx2 v[10:11], v[2:3], off
	v_lshl_add_u64 v[2:3], v[2:3], 0, s[0:1]
	global_load_dwordx2 v[4:5], v[2:3], off
	s_lshl_b64 s[2:3], s[12:13], 3
	s_add_u32 s2, s11, s2
	v_mov_b32_e32 v7, v1
	s_addc_u32 s3, s16, s3
	v_lshl_add_u64 v[8:9], s[2:3], 0, v[6:7]
	s_waitcnt vmcnt(1)
	global_store_dwordx2 v6, v[10:11], s[2:3]
	s_mov_b64 s[2:3], -1
	s_cbranch_execz .LBB428_3
	s_branch .LBB428_12
.LBB428_2:
	s_mov_b64 s[2:3], 0
                                        ; implicit-def: $vgpr4_vgpr5
                                        ; implicit-def: $vgpr8_vgpr9
.LBB428_3:
	s_sub_i32 s8, s10, s12
	v_cmp_gt_u32_e32 vcc, s8, v0
                                        ; implicit-def: $vgpr2_vgpr3_vgpr4_vgpr5
	s_and_saveexec_b64 s[0:1], vcc
	s_cbranch_execz .LBB428_5
; %bb.4:
	v_mov_b32_e32 v1, 0
	v_lshl_add_u64 v[2:3], s[4:5], 0, v[0:1]
	s_waitcnt vmcnt(1)
	v_mad_u64_u32 v[4:5], s[18:19], v2, s14, 0
	v_mov_b32_e32 v2, v5
	v_mad_u64_u32 v[2:3], s[18:19], v3, s14, v[2:3]
	v_mov_b32_e32 v5, v2
	v_lshl_add_u64 v[2:3], v[4:5], 3, s[6:7]
	global_load_dwordx2 v[2:3], v[2:3], off
.LBB428_5:
	s_or_b64 exec, exec, s[0:1]
	v_or_b32_e32 v0, 0x200, v0
	v_cmp_gt_u32_e64 s[0:1], s8, v0
	s_and_saveexec_b64 s[8:9], s[0:1]
	s_cbranch_execz .LBB428_7
; %bb.6:
	v_mov_b32_e32 v1, 0
	v_lshl_add_u64 v[0:1], s[4:5], 0, v[0:1]
	s_waitcnt vmcnt(1)
	v_mad_u64_u32 v[4:5], s[4:5], v0, s14, 0
	v_mov_b32_e32 v0, v5
	v_mad_u64_u32 v[0:1], s[4:5], v1, s14, v[0:1]
	v_mov_b32_e32 v5, v0
	v_lshl_add_u64 v[0:1], v[4:5], 3, s[6:7]
	global_load_dwordx2 v[4:5], v[0:1], off
.LBB428_7:
	s_or_b64 exec, exec, s[8:9]
	s_lshl_b64 s[4:5], s[12:13], 3
	s_add_u32 s4, s11, s4
	s_addc_u32 s5, s16, s5
	v_mov_b32_e32 v7, 0
	v_lshl_add_u64 v[8:9], s[4:5], 0, v[6:7]
	s_and_saveexec_b64 s[4:5], vcc
	s_cbranch_execz .LBB428_9
; %bb.8:
	s_waitcnt vmcnt(0)
	global_store_dwordx2 v[8:9], v[2:3], off
.LBB428_9:
	s_or_b64 exec, exec, s[4:5]
	s_and_saveexec_b64 s[4:5], s[0:1]
; %bb.10:
	s_or_b64 s[2:3], s[2:3], exec
; %bb.11:
	s_or_b64 exec, exec, s[4:5]
.LBB428_12:
	s_and_saveexec_b64 s[0:1], s[2:3]
	s_cbranch_execnz .LBB428_14
; %bb.13:
	s_endpgm
.LBB428_14:
	v_add_co_u32_e32 v0, vcc, 0x1000, v8
	s_nop 1
	v_addc_co_u32_e32 v1, vcc, 0, v9, vcc
	s_waitcnt vmcnt(0)
	global_store_dwordx2 v[0:1], v[4:5], off
	s_endpgm
	.section	.rodata,"a",@progbits
	.p2align	6, 0x0
	.amdhsa_kernel _ZN7rocprim17ROCPRIM_400000_NS6detail17trampoline_kernelINS0_14default_configENS1_25transform_config_selectorIlLb0EEEZNS1_14transform_implILb0ES3_S5_NS0_18transform_iteratorINS0_17counting_iteratorImlEEZNS1_24adjacent_difference_implIS3_Lb1ELb0EPlSB_ZN2at6native12_GLOBAL__N_124unique_dim_cuda_templateIiEESt5tupleIJNSC_6TensorESH_SH_EERKSH_lbbbEUlllE1_EE10hipError_tPvRmT2_T3_mT4_P12ihipStream_tbEUlmE_lEESB_NS0_8identityIvEEEESM_SP_SQ_mSR_ST_bEUlT_E_NS1_11comp_targetILNS1_3genE5ELNS1_11target_archE942ELNS1_3gpuE9ELNS1_3repE0EEENS1_30default_config_static_selectorELNS0_4arch9wavefront6targetE1EEEvT1_
		.amdhsa_group_segment_fixed_size 0
		.amdhsa_private_segment_fixed_size 0
		.amdhsa_kernarg_size 312
		.amdhsa_user_sgpr_count 2
		.amdhsa_user_sgpr_dispatch_ptr 0
		.amdhsa_user_sgpr_queue_ptr 0
		.amdhsa_user_sgpr_kernarg_segment_ptr 1
		.amdhsa_user_sgpr_dispatch_id 0
		.amdhsa_user_sgpr_kernarg_preload_length 0
		.amdhsa_user_sgpr_kernarg_preload_offset 0
		.amdhsa_user_sgpr_private_segment_size 0
		.amdhsa_uses_dynamic_stack 0
		.amdhsa_enable_private_segment 0
		.amdhsa_system_sgpr_workgroup_id_x 1
		.amdhsa_system_sgpr_workgroup_id_y 0
		.amdhsa_system_sgpr_workgroup_id_z 0
		.amdhsa_system_sgpr_workgroup_info 0
		.amdhsa_system_vgpr_workitem_id 0
		.amdhsa_next_free_vgpr 12
		.amdhsa_next_free_sgpr 20
		.amdhsa_accum_offset 12
		.amdhsa_reserve_vcc 1
		.amdhsa_float_round_mode_32 0
		.amdhsa_float_round_mode_16_64 0
		.amdhsa_float_denorm_mode_32 3
		.amdhsa_float_denorm_mode_16_64 3
		.amdhsa_dx10_clamp 1
		.amdhsa_ieee_mode 1
		.amdhsa_fp16_overflow 0
		.amdhsa_tg_split 0
		.amdhsa_exception_fp_ieee_invalid_op 0
		.amdhsa_exception_fp_denorm_src 0
		.amdhsa_exception_fp_ieee_div_zero 0
		.amdhsa_exception_fp_ieee_overflow 0
		.amdhsa_exception_fp_ieee_underflow 0
		.amdhsa_exception_fp_ieee_inexact 0
		.amdhsa_exception_int_div_zero 0
	.end_amdhsa_kernel
	.section	.text._ZN7rocprim17ROCPRIM_400000_NS6detail17trampoline_kernelINS0_14default_configENS1_25transform_config_selectorIlLb0EEEZNS1_14transform_implILb0ES3_S5_NS0_18transform_iteratorINS0_17counting_iteratorImlEEZNS1_24adjacent_difference_implIS3_Lb1ELb0EPlSB_ZN2at6native12_GLOBAL__N_124unique_dim_cuda_templateIiEESt5tupleIJNSC_6TensorESH_SH_EERKSH_lbbbEUlllE1_EE10hipError_tPvRmT2_T3_mT4_P12ihipStream_tbEUlmE_lEESB_NS0_8identityIvEEEESM_SP_SQ_mSR_ST_bEUlT_E_NS1_11comp_targetILNS1_3genE5ELNS1_11target_archE942ELNS1_3gpuE9ELNS1_3repE0EEENS1_30default_config_static_selectorELNS0_4arch9wavefront6targetE1EEEvT1_,"axG",@progbits,_ZN7rocprim17ROCPRIM_400000_NS6detail17trampoline_kernelINS0_14default_configENS1_25transform_config_selectorIlLb0EEEZNS1_14transform_implILb0ES3_S5_NS0_18transform_iteratorINS0_17counting_iteratorImlEEZNS1_24adjacent_difference_implIS3_Lb1ELb0EPlSB_ZN2at6native12_GLOBAL__N_124unique_dim_cuda_templateIiEESt5tupleIJNSC_6TensorESH_SH_EERKSH_lbbbEUlllE1_EE10hipError_tPvRmT2_T3_mT4_P12ihipStream_tbEUlmE_lEESB_NS0_8identityIvEEEESM_SP_SQ_mSR_ST_bEUlT_E_NS1_11comp_targetILNS1_3genE5ELNS1_11target_archE942ELNS1_3gpuE9ELNS1_3repE0EEENS1_30default_config_static_selectorELNS0_4arch9wavefront6targetE1EEEvT1_,comdat
.Lfunc_end428:
	.size	_ZN7rocprim17ROCPRIM_400000_NS6detail17trampoline_kernelINS0_14default_configENS1_25transform_config_selectorIlLb0EEEZNS1_14transform_implILb0ES3_S5_NS0_18transform_iteratorINS0_17counting_iteratorImlEEZNS1_24adjacent_difference_implIS3_Lb1ELb0EPlSB_ZN2at6native12_GLOBAL__N_124unique_dim_cuda_templateIiEESt5tupleIJNSC_6TensorESH_SH_EERKSH_lbbbEUlllE1_EE10hipError_tPvRmT2_T3_mT4_P12ihipStream_tbEUlmE_lEESB_NS0_8identityIvEEEESM_SP_SQ_mSR_ST_bEUlT_E_NS1_11comp_targetILNS1_3genE5ELNS1_11target_archE942ELNS1_3gpuE9ELNS1_3repE0EEENS1_30default_config_static_selectorELNS0_4arch9wavefront6targetE1EEEvT1_, .Lfunc_end428-_ZN7rocprim17ROCPRIM_400000_NS6detail17trampoline_kernelINS0_14default_configENS1_25transform_config_selectorIlLb0EEEZNS1_14transform_implILb0ES3_S5_NS0_18transform_iteratorINS0_17counting_iteratorImlEEZNS1_24adjacent_difference_implIS3_Lb1ELb0EPlSB_ZN2at6native12_GLOBAL__N_124unique_dim_cuda_templateIiEESt5tupleIJNSC_6TensorESH_SH_EERKSH_lbbbEUlllE1_EE10hipError_tPvRmT2_T3_mT4_P12ihipStream_tbEUlmE_lEESB_NS0_8identityIvEEEESM_SP_SQ_mSR_ST_bEUlT_E_NS1_11comp_targetILNS1_3genE5ELNS1_11target_archE942ELNS1_3gpuE9ELNS1_3repE0EEENS1_30default_config_static_selectorELNS0_4arch9wavefront6targetE1EEEvT1_
                                        ; -- End function
	.section	.AMDGPU.csdata,"",@progbits
; Kernel info:
; codeLenInByte = 488
; NumSgprs: 26
; NumVgprs: 12
; NumAgprs: 0
; TotalNumVgprs: 12
; ScratchSize: 0
; MemoryBound: 0
; FloatMode: 240
; IeeeMode: 1
; LDSByteSize: 0 bytes/workgroup (compile time only)
; SGPRBlocks: 3
; VGPRBlocks: 1
; NumSGPRsForWavesPerEU: 26
; NumVGPRsForWavesPerEU: 12
; AccumOffset: 12
; Occupancy: 8
; WaveLimiterHint : 0
; COMPUTE_PGM_RSRC2:SCRATCH_EN: 0
; COMPUTE_PGM_RSRC2:USER_SGPR: 2
; COMPUTE_PGM_RSRC2:TRAP_HANDLER: 0
; COMPUTE_PGM_RSRC2:TGID_X_EN: 1
; COMPUTE_PGM_RSRC2:TGID_Y_EN: 0
; COMPUTE_PGM_RSRC2:TGID_Z_EN: 0
; COMPUTE_PGM_RSRC2:TIDIG_COMP_CNT: 0
; COMPUTE_PGM_RSRC3_GFX90A:ACCUM_OFFSET: 2
; COMPUTE_PGM_RSRC3_GFX90A:TG_SPLIT: 0
	.section	.text._ZN7rocprim17ROCPRIM_400000_NS6detail17trampoline_kernelINS0_14default_configENS1_25transform_config_selectorIlLb0EEEZNS1_14transform_implILb0ES3_S5_NS0_18transform_iteratorINS0_17counting_iteratorImlEEZNS1_24adjacent_difference_implIS3_Lb1ELb0EPlSB_ZN2at6native12_GLOBAL__N_124unique_dim_cuda_templateIiEESt5tupleIJNSC_6TensorESH_SH_EERKSH_lbbbEUlllE1_EE10hipError_tPvRmT2_T3_mT4_P12ihipStream_tbEUlmE_lEESB_NS0_8identityIvEEEESM_SP_SQ_mSR_ST_bEUlT_E_NS1_11comp_targetILNS1_3genE4ELNS1_11target_archE910ELNS1_3gpuE8ELNS1_3repE0EEENS1_30default_config_static_selectorELNS0_4arch9wavefront6targetE1EEEvT1_,"axG",@progbits,_ZN7rocprim17ROCPRIM_400000_NS6detail17trampoline_kernelINS0_14default_configENS1_25transform_config_selectorIlLb0EEEZNS1_14transform_implILb0ES3_S5_NS0_18transform_iteratorINS0_17counting_iteratorImlEEZNS1_24adjacent_difference_implIS3_Lb1ELb0EPlSB_ZN2at6native12_GLOBAL__N_124unique_dim_cuda_templateIiEESt5tupleIJNSC_6TensorESH_SH_EERKSH_lbbbEUlllE1_EE10hipError_tPvRmT2_T3_mT4_P12ihipStream_tbEUlmE_lEESB_NS0_8identityIvEEEESM_SP_SQ_mSR_ST_bEUlT_E_NS1_11comp_targetILNS1_3genE4ELNS1_11target_archE910ELNS1_3gpuE8ELNS1_3repE0EEENS1_30default_config_static_selectorELNS0_4arch9wavefront6targetE1EEEvT1_,comdat
	.globl	_ZN7rocprim17ROCPRIM_400000_NS6detail17trampoline_kernelINS0_14default_configENS1_25transform_config_selectorIlLb0EEEZNS1_14transform_implILb0ES3_S5_NS0_18transform_iteratorINS0_17counting_iteratorImlEEZNS1_24adjacent_difference_implIS3_Lb1ELb0EPlSB_ZN2at6native12_GLOBAL__N_124unique_dim_cuda_templateIiEESt5tupleIJNSC_6TensorESH_SH_EERKSH_lbbbEUlllE1_EE10hipError_tPvRmT2_T3_mT4_P12ihipStream_tbEUlmE_lEESB_NS0_8identityIvEEEESM_SP_SQ_mSR_ST_bEUlT_E_NS1_11comp_targetILNS1_3genE4ELNS1_11target_archE910ELNS1_3gpuE8ELNS1_3repE0EEENS1_30default_config_static_selectorELNS0_4arch9wavefront6targetE1EEEvT1_ ; -- Begin function _ZN7rocprim17ROCPRIM_400000_NS6detail17trampoline_kernelINS0_14default_configENS1_25transform_config_selectorIlLb0EEEZNS1_14transform_implILb0ES3_S5_NS0_18transform_iteratorINS0_17counting_iteratorImlEEZNS1_24adjacent_difference_implIS3_Lb1ELb0EPlSB_ZN2at6native12_GLOBAL__N_124unique_dim_cuda_templateIiEESt5tupleIJNSC_6TensorESH_SH_EERKSH_lbbbEUlllE1_EE10hipError_tPvRmT2_T3_mT4_P12ihipStream_tbEUlmE_lEESB_NS0_8identityIvEEEESM_SP_SQ_mSR_ST_bEUlT_E_NS1_11comp_targetILNS1_3genE4ELNS1_11target_archE910ELNS1_3gpuE8ELNS1_3repE0EEENS1_30default_config_static_selectorELNS0_4arch9wavefront6targetE1EEEvT1_
	.p2align	8
	.type	_ZN7rocprim17ROCPRIM_400000_NS6detail17trampoline_kernelINS0_14default_configENS1_25transform_config_selectorIlLb0EEEZNS1_14transform_implILb0ES3_S5_NS0_18transform_iteratorINS0_17counting_iteratorImlEEZNS1_24adjacent_difference_implIS3_Lb1ELb0EPlSB_ZN2at6native12_GLOBAL__N_124unique_dim_cuda_templateIiEESt5tupleIJNSC_6TensorESH_SH_EERKSH_lbbbEUlllE1_EE10hipError_tPvRmT2_T3_mT4_P12ihipStream_tbEUlmE_lEESB_NS0_8identityIvEEEESM_SP_SQ_mSR_ST_bEUlT_E_NS1_11comp_targetILNS1_3genE4ELNS1_11target_archE910ELNS1_3gpuE8ELNS1_3repE0EEENS1_30default_config_static_selectorELNS0_4arch9wavefront6targetE1EEEvT1_,@function
_ZN7rocprim17ROCPRIM_400000_NS6detail17trampoline_kernelINS0_14default_configENS1_25transform_config_selectorIlLb0EEEZNS1_14transform_implILb0ES3_S5_NS0_18transform_iteratorINS0_17counting_iteratorImlEEZNS1_24adjacent_difference_implIS3_Lb1ELb0EPlSB_ZN2at6native12_GLOBAL__N_124unique_dim_cuda_templateIiEESt5tupleIJNSC_6TensorESH_SH_EERKSH_lbbbEUlllE1_EE10hipError_tPvRmT2_T3_mT4_P12ihipStream_tbEUlmE_lEESB_NS0_8identityIvEEEESM_SP_SQ_mSR_ST_bEUlT_E_NS1_11comp_targetILNS1_3genE4ELNS1_11target_archE910ELNS1_3gpuE8ELNS1_3repE0EEENS1_30default_config_static_selectorELNS0_4arch9wavefront6targetE1EEEvT1_: ; @_ZN7rocprim17ROCPRIM_400000_NS6detail17trampoline_kernelINS0_14default_configENS1_25transform_config_selectorIlLb0EEEZNS1_14transform_implILb0ES3_S5_NS0_18transform_iteratorINS0_17counting_iteratorImlEEZNS1_24adjacent_difference_implIS3_Lb1ELb0EPlSB_ZN2at6native12_GLOBAL__N_124unique_dim_cuda_templateIiEESt5tupleIJNSC_6TensorESH_SH_EERKSH_lbbbEUlllE1_EE10hipError_tPvRmT2_T3_mT4_P12ihipStream_tbEUlmE_lEESB_NS0_8identityIvEEEESM_SP_SQ_mSR_ST_bEUlT_E_NS1_11comp_targetILNS1_3genE4ELNS1_11target_archE910ELNS1_3gpuE8ELNS1_3repE0EEENS1_30default_config_static_selectorELNS0_4arch9wavefront6targetE1EEEvT1_
; %bb.0:
	.section	.rodata,"a",@progbits
	.p2align	6, 0x0
	.amdhsa_kernel _ZN7rocprim17ROCPRIM_400000_NS6detail17trampoline_kernelINS0_14default_configENS1_25transform_config_selectorIlLb0EEEZNS1_14transform_implILb0ES3_S5_NS0_18transform_iteratorINS0_17counting_iteratorImlEEZNS1_24adjacent_difference_implIS3_Lb1ELb0EPlSB_ZN2at6native12_GLOBAL__N_124unique_dim_cuda_templateIiEESt5tupleIJNSC_6TensorESH_SH_EERKSH_lbbbEUlllE1_EE10hipError_tPvRmT2_T3_mT4_P12ihipStream_tbEUlmE_lEESB_NS0_8identityIvEEEESM_SP_SQ_mSR_ST_bEUlT_E_NS1_11comp_targetILNS1_3genE4ELNS1_11target_archE910ELNS1_3gpuE8ELNS1_3repE0EEENS1_30default_config_static_selectorELNS0_4arch9wavefront6targetE1EEEvT1_
		.amdhsa_group_segment_fixed_size 0
		.amdhsa_private_segment_fixed_size 0
		.amdhsa_kernarg_size 56
		.amdhsa_user_sgpr_count 2
		.amdhsa_user_sgpr_dispatch_ptr 0
		.amdhsa_user_sgpr_queue_ptr 0
		.amdhsa_user_sgpr_kernarg_segment_ptr 1
		.amdhsa_user_sgpr_dispatch_id 0
		.amdhsa_user_sgpr_kernarg_preload_length 0
		.amdhsa_user_sgpr_kernarg_preload_offset 0
		.amdhsa_user_sgpr_private_segment_size 0
		.amdhsa_uses_dynamic_stack 0
		.amdhsa_enable_private_segment 0
		.amdhsa_system_sgpr_workgroup_id_x 1
		.amdhsa_system_sgpr_workgroup_id_y 0
		.amdhsa_system_sgpr_workgroup_id_z 0
		.amdhsa_system_sgpr_workgroup_info 0
		.amdhsa_system_vgpr_workitem_id 0
		.amdhsa_next_free_vgpr 1
		.amdhsa_next_free_sgpr 0
		.amdhsa_accum_offset 4
		.amdhsa_reserve_vcc 0
		.amdhsa_float_round_mode_32 0
		.amdhsa_float_round_mode_16_64 0
		.amdhsa_float_denorm_mode_32 3
		.amdhsa_float_denorm_mode_16_64 3
		.amdhsa_dx10_clamp 1
		.amdhsa_ieee_mode 1
		.amdhsa_fp16_overflow 0
		.amdhsa_tg_split 0
		.amdhsa_exception_fp_ieee_invalid_op 0
		.amdhsa_exception_fp_denorm_src 0
		.amdhsa_exception_fp_ieee_div_zero 0
		.amdhsa_exception_fp_ieee_overflow 0
		.amdhsa_exception_fp_ieee_underflow 0
		.amdhsa_exception_fp_ieee_inexact 0
		.amdhsa_exception_int_div_zero 0
	.end_amdhsa_kernel
	.section	.text._ZN7rocprim17ROCPRIM_400000_NS6detail17trampoline_kernelINS0_14default_configENS1_25transform_config_selectorIlLb0EEEZNS1_14transform_implILb0ES3_S5_NS0_18transform_iteratorINS0_17counting_iteratorImlEEZNS1_24adjacent_difference_implIS3_Lb1ELb0EPlSB_ZN2at6native12_GLOBAL__N_124unique_dim_cuda_templateIiEESt5tupleIJNSC_6TensorESH_SH_EERKSH_lbbbEUlllE1_EE10hipError_tPvRmT2_T3_mT4_P12ihipStream_tbEUlmE_lEESB_NS0_8identityIvEEEESM_SP_SQ_mSR_ST_bEUlT_E_NS1_11comp_targetILNS1_3genE4ELNS1_11target_archE910ELNS1_3gpuE8ELNS1_3repE0EEENS1_30default_config_static_selectorELNS0_4arch9wavefront6targetE1EEEvT1_,"axG",@progbits,_ZN7rocprim17ROCPRIM_400000_NS6detail17trampoline_kernelINS0_14default_configENS1_25transform_config_selectorIlLb0EEEZNS1_14transform_implILb0ES3_S5_NS0_18transform_iteratorINS0_17counting_iteratorImlEEZNS1_24adjacent_difference_implIS3_Lb1ELb0EPlSB_ZN2at6native12_GLOBAL__N_124unique_dim_cuda_templateIiEESt5tupleIJNSC_6TensorESH_SH_EERKSH_lbbbEUlllE1_EE10hipError_tPvRmT2_T3_mT4_P12ihipStream_tbEUlmE_lEESB_NS0_8identityIvEEEESM_SP_SQ_mSR_ST_bEUlT_E_NS1_11comp_targetILNS1_3genE4ELNS1_11target_archE910ELNS1_3gpuE8ELNS1_3repE0EEENS1_30default_config_static_selectorELNS0_4arch9wavefront6targetE1EEEvT1_,comdat
.Lfunc_end429:
	.size	_ZN7rocprim17ROCPRIM_400000_NS6detail17trampoline_kernelINS0_14default_configENS1_25transform_config_selectorIlLb0EEEZNS1_14transform_implILb0ES3_S5_NS0_18transform_iteratorINS0_17counting_iteratorImlEEZNS1_24adjacent_difference_implIS3_Lb1ELb0EPlSB_ZN2at6native12_GLOBAL__N_124unique_dim_cuda_templateIiEESt5tupleIJNSC_6TensorESH_SH_EERKSH_lbbbEUlllE1_EE10hipError_tPvRmT2_T3_mT4_P12ihipStream_tbEUlmE_lEESB_NS0_8identityIvEEEESM_SP_SQ_mSR_ST_bEUlT_E_NS1_11comp_targetILNS1_3genE4ELNS1_11target_archE910ELNS1_3gpuE8ELNS1_3repE0EEENS1_30default_config_static_selectorELNS0_4arch9wavefront6targetE1EEEvT1_, .Lfunc_end429-_ZN7rocprim17ROCPRIM_400000_NS6detail17trampoline_kernelINS0_14default_configENS1_25transform_config_selectorIlLb0EEEZNS1_14transform_implILb0ES3_S5_NS0_18transform_iteratorINS0_17counting_iteratorImlEEZNS1_24adjacent_difference_implIS3_Lb1ELb0EPlSB_ZN2at6native12_GLOBAL__N_124unique_dim_cuda_templateIiEESt5tupleIJNSC_6TensorESH_SH_EERKSH_lbbbEUlllE1_EE10hipError_tPvRmT2_T3_mT4_P12ihipStream_tbEUlmE_lEESB_NS0_8identityIvEEEESM_SP_SQ_mSR_ST_bEUlT_E_NS1_11comp_targetILNS1_3genE4ELNS1_11target_archE910ELNS1_3gpuE8ELNS1_3repE0EEENS1_30default_config_static_selectorELNS0_4arch9wavefront6targetE1EEEvT1_
                                        ; -- End function
	.section	.AMDGPU.csdata,"",@progbits
; Kernel info:
; codeLenInByte = 0
; NumSgprs: 6
; NumVgprs: 0
; NumAgprs: 0
; TotalNumVgprs: 0
; ScratchSize: 0
; MemoryBound: 0
; FloatMode: 240
; IeeeMode: 1
; LDSByteSize: 0 bytes/workgroup (compile time only)
; SGPRBlocks: 0
; VGPRBlocks: 0
; NumSGPRsForWavesPerEU: 6
; NumVGPRsForWavesPerEU: 1
; AccumOffset: 4
; Occupancy: 8
; WaveLimiterHint : 0
; COMPUTE_PGM_RSRC2:SCRATCH_EN: 0
; COMPUTE_PGM_RSRC2:USER_SGPR: 2
; COMPUTE_PGM_RSRC2:TRAP_HANDLER: 0
; COMPUTE_PGM_RSRC2:TGID_X_EN: 1
; COMPUTE_PGM_RSRC2:TGID_Y_EN: 0
; COMPUTE_PGM_RSRC2:TGID_Z_EN: 0
; COMPUTE_PGM_RSRC2:TIDIG_COMP_CNT: 0
; COMPUTE_PGM_RSRC3_GFX90A:ACCUM_OFFSET: 0
; COMPUTE_PGM_RSRC3_GFX90A:TG_SPLIT: 0
	.section	.text._ZN7rocprim17ROCPRIM_400000_NS6detail17trampoline_kernelINS0_14default_configENS1_25transform_config_selectorIlLb0EEEZNS1_14transform_implILb0ES3_S5_NS0_18transform_iteratorINS0_17counting_iteratorImlEEZNS1_24adjacent_difference_implIS3_Lb1ELb0EPlSB_ZN2at6native12_GLOBAL__N_124unique_dim_cuda_templateIiEESt5tupleIJNSC_6TensorESH_SH_EERKSH_lbbbEUlllE1_EE10hipError_tPvRmT2_T3_mT4_P12ihipStream_tbEUlmE_lEESB_NS0_8identityIvEEEESM_SP_SQ_mSR_ST_bEUlT_E_NS1_11comp_targetILNS1_3genE3ELNS1_11target_archE908ELNS1_3gpuE7ELNS1_3repE0EEENS1_30default_config_static_selectorELNS0_4arch9wavefront6targetE1EEEvT1_,"axG",@progbits,_ZN7rocprim17ROCPRIM_400000_NS6detail17trampoline_kernelINS0_14default_configENS1_25transform_config_selectorIlLb0EEEZNS1_14transform_implILb0ES3_S5_NS0_18transform_iteratorINS0_17counting_iteratorImlEEZNS1_24adjacent_difference_implIS3_Lb1ELb0EPlSB_ZN2at6native12_GLOBAL__N_124unique_dim_cuda_templateIiEESt5tupleIJNSC_6TensorESH_SH_EERKSH_lbbbEUlllE1_EE10hipError_tPvRmT2_T3_mT4_P12ihipStream_tbEUlmE_lEESB_NS0_8identityIvEEEESM_SP_SQ_mSR_ST_bEUlT_E_NS1_11comp_targetILNS1_3genE3ELNS1_11target_archE908ELNS1_3gpuE7ELNS1_3repE0EEENS1_30default_config_static_selectorELNS0_4arch9wavefront6targetE1EEEvT1_,comdat
	.globl	_ZN7rocprim17ROCPRIM_400000_NS6detail17trampoline_kernelINS0_14default_configENS1_25transform_config_selectorIlLb0EEEZNS1_14transform_implILb0ES3_S5_NS0_18transform_iteratorINS0_17counting_iteratorImlEEZNS1_24adjacent_difference_implIS3_Lb1ELb0EPlSB_ZN2at6native12_GLOBAL__N_124unique_dim_cuda_templateIiEESt5tupleIJNSC_6TensorESH_SH_EERKSH_lbbbEUlllE1_EE10hipError_tPvRmT2_T3_mT4_P12ihipStream_tbEUlmE_lEESB_NS0_8identityIvEEEESM_SP_SQ_mSR_ST_bEUlT_E_NS1_11comp_targetILNS1_3genE3ELNS1_11target_archE908ELNS1_3gpuE7ELNS1_3repE0EEENS1_30default_config_static_selectorELNS0_4arch9wavefront6targetE1EEEvT1_ ; -- Begin function _ZN7rocprim17ROCPRIM_400000_NS6detail17trampoline_kernelINS0_14default_configENS1_25transform_config_selectorIlLb0EEEZNS1_14transform_implILb0ES3_S5_NS0_18transform_iteratorINS0_17counting_iteratorImlEEZNS1_24adjacent_difference_implIS3_Lb1ELb0EPlSB_ZN2at6native12_GLOBAL__N_124unique_dim_cuda_templateIiEESt5tupleIJNSC_6TensorESH_SH_EERKSH_lbbbEUlllE1_EE10hipError_tPvRmT2_T3_mT4_P12ihipStream_tbEUlmE_lEESB_NS0_8identityIvEEEESM_SP_SQ_mSR_ST_bEUlT_E_NS1_11comp_targetILNS1_3genE3ELNS1_11target_archE908ELNS1_3gpuE7ELNS1_3repE0EEENS1_30default_config_static_selectorELNS0_4arch9wavefront6targetE1EEEvT1_
	.p2align	8
	.type	_ZN7rocprim17ROCPRIM_400000_NS6detail17trampoline_kernelINS0_14default_configENS1_25transform_config_selectorIlLb0EEEZNS1_14transform_implILb0ES3_S5_NS0_18transform_iteratorINS0_17counting_iteratorImlEEZNS1_24adjacent_difference_implIS3_Lb1ELb0EPlSB_ZN2at6native12_GLOBAL__N_124unique_dim_cuda_templateIiEESt5tupleIJNSC_6TensorESH_SH_EERKSH_lbbbEUlllE1_EE10hipError_tPvRmT2_T3_mT4_P12ihipStream_tbEUlmE_lEESB_NS0_8identityIvEEEESM_SP_SQ_mSR_ST_bEUlT_E_NS1_11comp_targetILNS1_3genE3ELNS1_11target_archE908ELNS1_3gpuE7ELNS1_3repE0EEENS1_30default_config_static_selectorELNS0_4arch9wavefront6targetE1EEEvT1_,@function
_ZN7rocprim17ROCPRIM_400000_NS6detail17trampoline_kernelINS0_14default_configENS1_25transform_config_selectorIlLb0EEEZNS1_14transform_implILb0ES3_S5_NS0_18transform_iteratorINS0_17counting_iteratorImlEEZNS1_24adjacent_difference_implIS3_Lb1ELb0EPlSB_ZN2at6native12_GLOBAL__N_124unique_dim_cuda_templateIiEESt5tupleIJNSC_6TensorESH_SH_EERKSH_lbbbEUlllE1_EE10hipError_tPvRmT2_T3_mT4_P12ihipStream_tbEUlmE_lEESB_NS0_8identityIvEEEESM_SP_SQ_mSR_ST_bEUlT_E_NS1_11comp_targetILNS1_3genE3ELNS1_11target_archE908ELNS1_3gpuE7ELNS1_3repE0EEENS1_30default_config_static_selectorELNS0_4arch9wavefront6targetE1EEEvT1_: ; @_ZN7rocprim17ROCPRIM_400000_NS6detail17trampoline_kernelINS0_14default_configENS1_25transform_config_selectorIlLb0EEEZNS1_14transform_implILb0ES3_S5_NS0_18transform_iteratorINS0_17counting_iteratorImlEEZNS1_24adjacent_difference_implIS3_Lb1ELb0EPlSB_ZN2at6native12_GLOBAL__N_124unique_dim_cuda_templateIiEESt5tupleIJNSC_6TensorESH_SH_EERKSH_lbbbEUlllE1_EE10hipError_tPvRmT2_T3_mT4_P12ihipStream_tbEUlmE_lEESB_NS0_8identityIvEEEESM_SP_SQ_mSR_ST_bEUlT_E_NS1_11comp_targetILNS1_3genE3ELNS1_11target_archE908ELNS1_3gpuE7ELNS1_3repE0EEENS1_30default_config_static_selectorELNS0_4arch9wavefront6targetE1EEEvT1_
; %bb.0:
	.section	.rodata,"a",@progbits
	.p2align	6, 0x0
	.amdhsa_kernel _ZN7rocprim17ROCPRIM_400000_NS6detail17trampoline_kernelINS0_14default_configENS1_25transform_config_selectorIlLb0EEEZNS1_14transform_implILb0ES3_S5_NS0_18transform_iteratorINS0_17counting_iteratorImlEEZNS1_24adjacent_difference_implIS3_Lb1ELb0EPlSB_ZN2at6native12_GLOBAL__N_124unique_dim_cuda_templateIiEESt5tupleIJNSC_6TensorESH_SH_EERKSH_lbbbEUlllE1_EE10hipError_tPvRmT2_T3_mT4_P12ihipStream_tbEUlmE_lEESB_NS0_8identityIvEEEESM_SP_SQ_mSR_ST_bEUlT_E_NS1_11comp_targetILNS1_3genE3ELNS1_11target_archE908ELNS1_3gpuE7ELNS1_3repE0EEENS1_30default_config_static_selectorELNS0_4arch9wavefront6targetE1EEEvT1_
		.amdhsa_group_segment_fixed_size 0
		.amdhsa_private_segment_fixed_size 0
		.amdhsa_kernarg_size 56
		.amdhsa_user_sgpr_count 2
		.amdhsa_user_sgpr_dispatch_ptr 0
		.amdhsa_user_sgpr_queue_ptr 0
		.amdhsa_user_sgpr_kernarg_segment_ptr 1
		.amdhsa_user_sgpr_dispatch_id 0
		.amdhsa_user_sgpr_kernarg_preload_length 0
		.amdhsa_user_sgpr_kernarg_preload_offset 0
		.amdhsa_user_sgpr_private_segment_size 0
		.amdhsa_uses_dynamic_stack 0
		.amdhsa_enable_private_segment 0
		.amdhsa_system_sgpr_workgroup_id_x 1
		.amdhsa_system_sgpr_workgroup_id_y 0
		.amdhsa_system_sgpr_workgroup_id_z 0
		.amdhsa_system_sgpr_workgroup_info 0
		.amdhsa_system_vgpr_workitem_id 0
		.amdhsa_next_free_vgpr 1
		.amdhsa_next_free_sgpr 0
		.amdhsa_accum_offset 4
		.amdhsa_reserve_vcc 0
		.amdhsa_float_round_mode_32 0
		.amdhsa_float_round_mode_16_64 0
		.amdhsa_float_denorm_mode_32 3
		.amdhsa_float_denorm_mode_16_64 3
		.amdhsa_dx10_clamp 1
		.amdhsa_ieee_mode 1
		.amdhsa_fp16_overflow 0
		.amdhsa_tg_split 0
		.amdhsa_exception_fp_ieee_invalid_op 0
		.amdhsa_exception_fp_denorm_src 0
		.amdhsa_exception_fp_ieee_div_zero 0
		.amdhsa_exception_fp_ieee_overflow 0
		.amdhsa_exception_fp_ieee_underflow 0
		.amdhsa_exception_fp_ieee_inexact 0
		.amdhsa_exception_int_div_zero 0
	.end_amdhsa_kernel
	.section	.text._ZN7rocprim17ROCPRIM_400000_NS6detail17trampoline_kernelINS0_14default_configENS1_25transform_config_selectorIlLb0EEEZNS1_14transform_implILb0ES3_S5_NS0_18transform_iteratorINS0_17counting_iteratorImlEEZNS1_24adjacent_difference_implIS3_Lb1ELb0EPlSB_ZN2at6native12_GLOBAL__N_124unique_dim_cuda_templateIiEESt5tupleIJNSC_6TensorESH_SH_EERKSH_lbbbEUlllE1_EE10hipError_tPvRmT2_T3_mT4_P12ihipStream_tbEUlmE_lEESB_NS0_8identityIvEEEESM_SP_SQ_mSR_ST_bEUlT_E_NS1_11comp_targetILNS1_3genE3ELNS1_11target_archE908ELNS1_3gpuE7ELNS1_3repE0EEENS1_30default_config_static_selectorELNS0_4arch9wavefront6targetE1EEEvT1_,"axG",@progbits,_ZN7rocprim17ROCPRIM_400000_NS6detail17trampoline_kernelINS0_14default_configENS1_25transform_config_selectorIlLb0EEEZNS1_14transform_implILb0ES3_S5_NS0_18transform_iteratorINS0_17counting_iteratorImlEEZNS1_24adjacent_difference_implIS3_Lb1ELb0EPlSB_ZN2at6native12_GLOBAL__N_124unique_dim_cuda_templateIiEESt5tupleIJNSC_6TensorESH_SH_EERKSH_lbbbEUlllE1_EE10hipError_tPvRmT2_T3_mT4_P12ihipStream_tbEUlmE_lEESB_NS0_8identityIvEEEESM_SP_SQ_mSR_ST_bEUlT_E_NS1_11comp_targetILNS1_3genE3ELNS1_11target_archE908ELNS1_3gpuE7ELNS1_3repE0EEENS1_30default_config_static_selectorELNS0_4arch9wavefront6targetE1EEEvT1_,comdat
.Lfunc_end430:
	.size	_ZN7rocprim17ROCPRIM_400000_NS6detail17trampoline_kernelINS0_14default_configENS1_25transform_config_selectorIlLb0EEEZNS1_14transform_implILb0ES3_S5_NS0_18transform_iteratorINS0_17counting_iteratorImlEEZNS1_24adjacent_difference_implIS3_Lb1ELb0EPlSB_ZN2at6native12_GLOBAL__N_124unique_dim_cuda_templateIiEESt5tupleIJNSC_6TensorESH_SH_EERKSH_lbbbEUlllE1_EE10hipError_tPvRmT2_T3_mT4_P12ihipStream_tbEUlmE_lEESB_NS0_8identityIvEEEESM_SP_SQ_mSR_ST_bEUlT_E_NS1_11comp_targetILNS1_3genE3ELNS1_11target_archE908ELNS1_3gpuE7ELNS1_3repE0EEENS1_30default_config_static_selectorELNS0_4arch9wavefront6targetE1EEEvT1_, .Lfunc_end430-_ZN7rocprim17ROCPRIM_400000_NS6detail17trampoline_kernelINS0_14default_configENS1_25transform_config_selectorIlLb0EEEZNS1_14transform_implILb0ES3_S5_NS0_18transform_iteratorINS0_17counting_iteratorImlEEZNS1_24adjacent_difference_implIS3_Lb1ELb0EPlSB_ZN2at6native12_GLOBAL__N_124unique_dim_cuda_templateIiEESt5tupleIJNSC_6TensorESH_SH_EERKSH_lbbbEUlllE1_EE10hipError_tPvRmT2_T3_mT4_P12ihipStream_tbEUlmE_lEESB_NS0_8identityIvEEEESM_SP_SQ_mSR_ST_bEUlT_E_NS1_11comp_targetILNS1_3genE3ELNS1_11target_archE908ELNS1_3gpuE7ELNS1_3repE0EEENS1_30default_config_static_selectorELNS0_4arch9wavefront6targetE1EEEvT1_
                                        ; -- End function
	.section	.AMDGPU.csdata,"",@progbits
; Kernel info:
; codeLenInByte = 0
; NumSgprs: 6
; NumVgprs: 0
; NumAgprs: 0
; TotalNumVgprs: 0
; ScratchSize: 0
; MemoryBound: 0
; FloatMode: 240
; IeeeMode: 1
; LDSByteSize: 0 bytes/workgroup (compile time only)
; SGPRBlocks: 0
; VGPRBlocks: 0
; NumSGPRsForWavesPerEU: 6
; NumVGPRsForWavesPerEU: 1
; AccumOffset: 4
; Occupancy: 8
; WaveLimiterHint : 0
; COMPUTE_PGM_RSRC2:SCRATCH_EN: 0
; COMPUTE_PGM_RSRC2:USER_SGPR: 2
; COMPUTE_PGM_RSRC2:TRAP_HANDLER: 0
; COMPUTE_PGM_RSRC2:TGID_X_EN: 1
; COMPUTE_PGM_RSRC2:TGID_Y_EN: 0
; COMPUTE_PGM_RSRC2:TGID_Z_EN: 0
; COMPUTE_PGM_RSRC2:TIDIG_COMP_CNT: 0
; COMPUTE_PGM_RSRC3_GFX90A:ACCUM_OFFSET: 0
; COMPUTE_PGM_RSRC3_GFX90A:TG_SPLIT: 0
	.section	.text._ZN7rocprim17ROCPRIM_400000_NS6detail17trampoline_kernelINS0_14default_configENS1_25transform_config_selectorIlLb0EEEZNS1_14transform_implILb0ES3_S5_NS0_18transform_iteratorINS0_17counting_iteratorImlEEZNS1_24adjacent_difference_implIS3_Lb1ELb0EPlSB_ZN2at6native12_GLOBAL__N_124unique_dim_cuda_templateIiEESt5tupleIJNSC_6TensorESH_SH_EERKSH_lbbbEUlllE1_EE10hipError_tPvRmT2_T3_mT4_P12ihipStream_tbEUlmE_lEESB_NS0_8identityIvEEEESM_SP_SQ_mSR_ST_bEUlT_E_NS1_11comp_targetILNS1_3genE2ELNS1_11target_archE906ELNS1_3gpuE6ELNS1_3repE0EEENS1_30default_config_static_selectorELNS0_4arch9wavefront6targetE1EEEvT1_,"axG",@progbits,_ZN7rocprim17ROCPRIM_400000_NS6detail17trampoline_kernelINS0_14default_configENS1_25transform_config_selectorIlLb0EEEZNS1_14transform_implILb0ES3_S5_NS0_18transform_iteratorINS0_17counting_iteratorImlEEZNS1_24adjacent_difference_implIS3_Lb1ELb0EPlSB_ZN2at6native12_GLOBAL__N_124unique_dim_cuda_templateIiEESt5tupleIJNSC_6TensorESH_SH_EERKSH_lbbbEUlllE1_EE10hipError_tPvRmT2_T3_mT4_P12ihipStream_tbEUlmE_lEESB_NS0_8identityIvEEEESM_SP_SQ_mSR_ST_bEUlT_E_NS1_11comp_targetILNS1_3genE2ELNS1_11target_archE906ELNS1_3gpuE6ELNS1_3repE0EEENS1_30default_config_static_selectorELNS0_4arch9wavefront6targetE1EEEvT1_,comdat
	.globl	_ZN7rocprim17ROCPRIM_400000_NS6detail17trampoline_kernelINS0_14default_configENS1_25transform_config_selectorIlLb0EEEZNS1_14transform_implILb0ES3_S5_NS0_18transform_iteratorINS0_17counting_iteratorImlEEZNS1_24adjacent_difference_implIS3_Lb1ELb0EPlSB_ZN2at6native12_GLOBAL__N_124unique_dim_cuda_templateIiEESt5tupleIJNSC_6TensorESH_SH_EERKSH_lbbbEUlllE1_EE10hipError_tPvRmT2_T3_mT4_P12ihipStream_tbEUlmE_lEESB_NS0_8identityIvEEEESM_SP_SQ_mSR_ST_bEUlT_E_NS1_11comp_targetILNS1_3genE2ELNS1_11target_archE906ELNS1_3gpuE6ELNS1_3repE0EEENS1_30default_config_static_selectorELNS0_4arch9wavefront6targetE1EEEvT1_ ; -- Begin function _ZN7rocprim17ROCPRIM_400000_NS6detail17trampoline_kernelINS0_14default_configENS1_25transform_config_selectorIlLb0EEEZNS1_14transform_implILb0ES3_S5_NS0_18transform_iteratorINS0_17counting_iteratorImlEEZNS1_24adjacent_difference_implIS3_Lb1ELb0EPlSB_ZN2at6native12_GLOBAL__N_124unique_dim_cuda_templateIiEESt5tupleIJNSC_6TensorESH_SH_EERKSH_lbbbEUlllE1_EE10hipError_tPvRmT2_T3_mT4_P12ihipStream_tbEUlmE_lEESB_NS0_8identityIvEEEESM_SP_SQ_mSR_ST_bEUlT_E_NS1_11comp_targetILNS1_3genE2ELNS1_11target_archE906ELNS1_3gpuE6ELNS1_3repE0EEENS1_30default_config_static_selectorELNS0_4arch9wavefront6targetE1EEEvT1_
	.p2align	8
	.type	_ZN7rocprim17ROCPRIM_400000_NS6detail17trampoline_kernelINS0_14default_configENS1_25transform_config_selectorIlLb0EEEZNS1_14transform_implILb0ES3_S5_NS0_18transform_iteratorINS0_17counting_iteratorImlEEZNS1_24adjacent_difference_implIS3_Lb1ELb0EPlSB_ZN2at6native12_GLOBAL__N_124unique_dim_cuda_templateIiEESt5tupleIJNSC_6TensorESH_SH_EERKSH_lbbbEUlllE1_EE10hipError_tPvRmT2_T3_mT4_P12ihipStream_tbEUlmE_lEESB_NS0_8identityIvEEEESM_SP_SQ_mSR_ST_bEUlT_E_NS1_11comp_targetILNS1_3genE2ELNS1_11target_archE906ELNS1_3gpuE6ELNS1_3repE0EEENS1_30default_config_static_selectorELNS0_4arch9wavefront6targetE1EEEvT1_,@function
_ZN7rocprim17ROCPRIM_400000_NS6detail17trampoline_kernelINS0_14default_configENS1_25transform_config_selectorIlLb0EEEZNS1_14transform_implILb0ES3_S5_NS0_18transform_iteratorINS0_17counting_iteratorImlEEZNS1_24adjacent_difference_implIS3_Lb1ELb0EPlSB_ZN2at6native12_GLOBAL__N_124unique_dim_cuda_templateIiEESt5tupleIJNSC_6TensorESH_SH_EERKSH_lbbbEUlllE1_EE10hipError_tPvRmT2_T3_mT4_P12ihipStream_tbEUlmE_lEESB_NS0_8identityIvEEEESM_SP_SQ_mSR_ST_bEUlT_E_NS1_11comp_targetILNS1_3genE2ELNS1_11target_archE906ELNS1_3gpuE6ELNS1_3repE0EEENS1_30default_config_static_selectorELNS0_4arch9wavefront6targetE1EEEvT1_: ; @_ZN7rocprim17ROCPRIM_400000_NS6detail17trampoline_kernelINS0_14default_configENS1_25transform_config_selectorIlLb0EEEZNS1_14transform_implILb0ES3_S5_NS0_18transform_iteratorINS0_17counting_iteratorImlEEZNS1_24adjacent_difference_implIS3_Lb1ELb0EPlSB_ZN2at6native12_GLOBAL__N_124unique_dim_cuda_templateIiEESt5tupleIJNSC_6TensorESH_SH_EERKSH_lbbbEUlllE1_EE10hipError_tPvRmT2_T3_mT4_P12ihipStream_tbEUlmE_lEESB_NS0_8identityIvEEEESM_SP_SQ_mSR_ST_bEUlT_E_NS1_11comp_targetILNS1_3genE2ELNS1_11target_archE906ELNS1_3gpuE6ELNS1_3repE0EEENS1_30default_config_static_selectorELNS0_4arch9wavefront6targetE1EEEvT1_
; %bb.0:
	.section	.rodata,"a",@progbits
	.p2align	6, 0x0
	.amdhsa_kernel _ZN7rocprim17ROCPRIM_400000_NS6detail17trampoline_kernelINS0_14default_configENS1_25transform_config_selectorIlLb0EEEZNS1_14transform_implILb0ES3_S5_NS0_18transform_iteratorINS0_17counting_iteratorImlEEZNS1_24adjacent_difference_implIS3_Lb1ELb0EPlSB_ZN2at6native12_GLOBAL__N_124unique_dim_cuda_templateIiEESt5tupleIJNSC_6TensorESH_SH_EERKSH_lbbbEUlllE1_EE10hipError_tPvRmT2_T3_mT4_P12ihipStream_tbEUlmE_lEESB_NS0_8identityIvEEEESM_SP_SQ_mSR_ST_bEUlT_E_NS1_11comp_targetILNS1_3genE2ELNS1_11target_archE906ELNS1_3gpuE6ELNS1_3repE0EEENS1_30default_config_static_selectorELNS0_4arch9wavefront6targetE1EEEvT1_
		.amdhsa_group_segment_fixed_size 0
		.amdhsa_private_segment_fixed_size 0
		.amdhsa_kernarg_size 56
		.amdhsa_user_sgpr_count 2
		.amdhsa_user_sgpr_dispatch_ptr 0
		.amdhsa_user_sgpr_queue_ptr 0
		.amdhsa_user_sgpr_kernarg_segment_ptr 1
		.amdhsa_user_sgpr_dispatch_id 0
		.amdhsa_user_sgpr_kernarg_preload_length 0
		.amdhsa_user_sgpr_kernarg_preload_offset 0
		.amdhsa_user_sgpr_private_segment_size 0
		.amdhsa_uses_dynamic_stack 0
		.amdhsa_enable_private_segment 0
		.amdhsa_system_sgpr_workgroup_id_x 1
		.amdhsa_system_sgpr_workgroup_id_y 0
		.amdhsa_system_sgpr_workgroup_id_z 0
		.amdhsa_system_sgpr_workgroup_info 0
		.amdhsa_system_vgpr_workitem_id 0
		.amdhsa_next_free_vgpr 1
		.amdhsa_next_free_sgpr 0
		.amdhsa_accum_offset 4
		.amdhsa_reserve_vcc 0
		.amdhsa_float_round_mode_32 0
		.amdhsa_float_round_mode_16_64 0
		.amdhsa_float_denorm_mode_32 3
		.amdhsa_float_denorm_mode_16_64 3
		.amdhsa_dx10_clamp 1
		.amdhsa_ieee_mode 1
		.amdhsa_fp16_overflow 0
		.amdhsa_tg_split 0
		.amdhsa_exception_fp_ieee_invalid_op 0
		.amdhsa_exception_fp_denorm_src 0
		.amdhsa_exception_fp_ieee_div_zero 0
		.amdhsa_exception_fp_ieee_overflow 0
		.amdhsa_exception_fp_ieee_underflow 0
		.amdhsa_exception_fp_ieee_inexact 0
		.amdhsa_exception_int_div_zero 0
	.end_amdhsa_kernel
	.section	.text._ZN7rocprim17ROCPRIM_400000_NS6detail17trampoline_kernelINS0_14default_configENS1_25transform_config_selectorIlLb0EEEZNS1_14transform_implILb0ES3_S5_NS0_18transform_iteratorINS0_17counting_iteratorImlEEZNS1_24adjacent_difference_implIS3_Lb1ELb0EPlSB_ZN2at6native12_GLOBAL__N_124unique_dim_cuda_templateIiEESt5tupleIJNSC_6TensorESH_SH_EERKSH_lbbbEUlllE1_EE10hipError_tPvRmT2_T3_mT4_P12ihipStream_tbEUlmE_lEESB_NS0_8identityIvEEEESM_SP_SQ_mSR_ST_bEUlT_E_NS1_11comp_targetILNS1_3genE2ELNS1_11target_archE906ELNS1_3gpuE6ELNS1_3repE0EEENS1_30default_config_static_selectorELNS0_4arch9wavefront6targetE1EEEvT1_,"axG",@progbits,_ZN7rocprim17ROCPRIM_400000_NS6detail17trampoline_kernelINS0_14default_configENS1_25transform_config_selectorIlLb0EEEZNS1_14transform_implILb0ES3_S5_NS0_18transform_iteratorINS0_17counting_iteratorImlEEZNS1_24adjacent_difference_implIS3_Lb1ELb0EPlSB_ZN2at6native12_GLOBAL__N_124unique_dim_cuda_templateIiEESt5tupleIJNSC_6TensorESH_SH_EERKSH_lbbbEUlllE1_EE10hipError_tPvRmT2_T3_mT4_P12ihipStream_tbEUlmE_lEESB_NS0_8identityIvEEEESM_SP_SQ_mSR_ST_bEUlT_E_NS1_11comp_targetILNS1_3genE2ELNS1_11target_archE906ELNS1_3gpuE6ELNS1_3repE0EEENS1_30default_config_static_selectorELNS0_4arch9wavefront6targetE1EEEvT1_,comdat
.Lfunc_end431:
	.size	_ZN7rocprim17ROCPRIM_400000_NS6detail17trampoline_kernelINS0_14default_configENS1_25transform_config_selectorIlLb0EEEZNS1_14transform_implILb0ES3_S5_NS0_18transform_iteratorINS0_17counting_iteratorImlEEZNS1_24adjacent_difference_implIS3_Lb1ELb0EPlSB_ZN2at6native12_GLOBAL__N_124unique_dim_cuda_templateIiEESt5tupleIJNSC_6TensorESH_SH_EERKSH_lbbbEUlllE1_EE10hipError_tPvRmT2_T3_mT4_P12ihipStream_tbEUlmE_lEESB_NS0_8identityIvEEEESM_SP_SQ_mSR_ST_bEUlT_E_NS1_11comp_targetILNS1_3genE2ELNS1_11target_archE906ELNS1_3gpuE6ELNS1_3repE0EEENS1_30default_config_static_selectorELNS0_4arch9wavefront6targetE1EEEvT1_, .Lfunc_end431-_ZN7rocprim17ROCPRIM_400000_NS6detail17trampoline_kernelINS0_14default_configENS1_25transform_config_selectorIlLb0EEEZNS1_14transform_implILb0ES3_S5_NS0_18transform_iteratorINS0_17counting_iteratorImlEEZNS1_24adjacent_difference_implIS3_Lb1ELb0EPlSB_ZN2at6native12_GLOBAL__N_124unique_dim_cuda_templateIiEESt5tupleIJNSC_6TensorESH_SH_EERKSH_lbbbEUlllE1_EE10hipError_tPvRmT2_T3_mT4_P12ihipStream_tbEUlmE_lEESB_NS0_8identityIvEEEESM_SP_SQ_mSR_ST_bEUlT_E_NS1_11comp_targetILNS1_3genE2ELNS1_11target_archE906ELNS1_3gpuE6ELNS1_3repE0EEENS1_30default_config_static_selectorELNS0_4arch9wavefront6targetE1EEEvT1_
                                        ; -- End function
	.section	.AMDGPU.csdata,"",@progbits
; Kernel info:
; codeLenInByte = 0
; NumSgprs: 6
; NumVgprs: 0
; NumAgprs: 0
; TotalNumVgprs: 0
; ScratchSize: 0
; MemoryBound: 0
; FloatMode: 240
; IeeeMode: 1
; LDSByteSize: 0 bytes/workgroup (compile time only)
; SGPRBlocks: 0
; VGPRBlocks: 0
; NumSGPRsForWavesPerEU: 6
; NumVGPRsForWavesPerEU: 1
; AccumOffset: 4
; Occupancy: 8
; WaveLimiterHint : 0
; COMPUTE_PGM_RSRC2:SCRATCH_EN: 0
; COMPUTE_PGM_RSRC2:USER_SGPR: 2
; COMPUTE_PGM_RSRC2:TRAP_HANDLER: 0
; COMPUTE_PGM_RSRC2:TGID_X_EN: 1
; COMPUTE_PGM_RSRC2:TGID_Y_EN: 0
; COMPUTE_PGM_RSRC2:TGID_Z_EN: 0
; COMPUTE_PGM_RSRC2:TIDIG_COMP_CNT: 0
; COMPUTE_PGM_RSRC3_GFX90A:ACCUM_OFFSET: 0
; COMPUTE_PGM_RSRC3_GFX90A:TG_SPLIT: 0
	.section	.text._ZN7rocprim17ROCPRIM_400000_NS6detail17trampoline_kernelINS0_14default_configENS1_25transform_config_selectorIlLb0EEEZNS1_14transform_implILb0ES3_S5_NS0_18transform_iteratorINS0_17counting_iteratorImlEEZNS1_24adjacent_difference_implIS3_Lb1ELb0EPlSB_ZN2at6native12_GLOBAL__N_124unique_dim_cuda_templateIiEESt5tupleIJNSC_6TensorESH_SH_EERKSH_lbbbEUlllE1_EE10hipError_tPvRmT2_T3_mT4_P12ihipStream_tbEUlmE_lEESB_NS0_8identityIvEEEESM_SP_SQ_mSR_ST_bEUlT_E_NS1_11comp_targetILNS1_3genE10ELNS1_11target_archE1201ELNS1_3gpuE5ELNS1_3repE0EEENS1_30default_config_static_selectorELNS0_4arch9wavefront6targetE1EEEvT1_,"axG",@progbits,_ZN7rocprim17ROCPRIM_400000_NS6detail17trampoline_kernelINS0_14default_configENS1_25transform_config_selectorIlLb0EEEZNS1_14transform_implILb0ES3_S5_NS0_18transform_iteratorINS0_17counting_iteratorImlEEZNS1_24adjacent_difference_implIS3_Lb1ELb0EPlSB_ZN2at6native12_GLOBAL__N_124unique_dim_cuda_templateIiEESt5tupleIJNSC_6TensorESH_SH_EERKSH_lbbbEUlllE1_EE10hipError_tPvRmT2_T3_mT4_P12ihipStream_tbEUlmE_lEESB_NS0_8identityIvEEEESM_SP_SQ_mSR_ST_bEUlT_E_NS1_11comp_targetILNS1_3genE10ELNS1_11target_archE1201ELNS1_3gpuE5ELNS1_3repE0EEENS1_30default_config_static_selectorELNS0_4arch9wavefront6targetE1EEEvT1_,comdat
	.globl	_ZN7rocprim17ROCPRIM_400000_NS6detail17trampoline_kernelINS0_14default_configENS1_25transform_config_selectorIlLb0EEEZNS1_14transform_implILb0ES3_S5_NS0_18transform_iteratorINS0_17counting_iteratorImlEEZNS1_24adjacent_difference_implIS3_Lb1ELb0EPlSB_ZN2at6native12_GLOBAL__N_124unique_dim_cuda_templateIiEESt5tupleIJNSC_6TensorESH_SH_EERKSH_lbbbEUlllE1_EE10hipError_tPvRmT2_T3_mT4_P12ihipStream_tbEUlmE_lEESB_NS0_8identityIvEEEESM_SP_SQ_mSR_ST_bEUlT_E_NS1_11comp_targetILNS1_3genE10ELNS1_11target_archE1201ELNS1_3gpuE5ELNS1_3repE0EEENS1_30default_config_static_selectorELNS0_4arch9wavefront6targetE1EEEvT1_ ; -- Begin function _ZN7rocprim17ROCPRIM_400000_NS6detail17trampoline_kernelINS0_14default_configENS1_25transform_config_selectorIlLb0EEEZNS1_14transform_implILb0ES3_S5_NS0_18transform_iteratorINS0_17counting_iteratorImlEEZNS1_24adjacent_difference_implIS3_Lb1ELb0EPlSB_ZN2at6native12_GLOBAL__N_124unique_dim_cuda_templateIiEESt5tupleIJNSC_6TensorESH_SH_EERKSH_lbbbEUlllE1_EE10hipError_tPvRmT2_T3_mT4_P12ihipStream_tbEUlmE_lEESB_NS0_8identityIvEEEESM_SP_SQ_mSR_ST_bEUlT_E_NS1_11comp_targetILNS1_3genE10ELNS1_11target_archE1201ELNS1_3gpuE5ELNS1_3repE0EEENS1_30default_config_static_selectorELNS0_4arch9wavefront6targetE1EEEvT1_
	.p2align	8
	.type	_ZN7rocprim17ROCPRIM_400000_NS6detail17trampoline_kernelINS0_14default_configENS1_25transform_config_selectorIlLb0EEEZNS1_14transform_implILb0ES3_S5_NS0_18transform_iteratorINS0_17counting_iteratorImlEEZNS1_24adjacent_difference_implIS3_Lb1ELb0EPlSB_ZN2at6native12_GLOBAL__N_124unique_dim_cuda_templateIiEESt5tupleIJNSC_6TensorESH_SH_EERKSH_lbbbEUlllE1_EE10hipError_tPvRmT2_T3_mT4_P12ihipStream_tbEUlmE_lEESB_NS0_8identityIvEEEESM_SP_SQ_mSR_ST_bEUlT_E_NS1_11comp_targetILNS1_3genE10ELNS1_11target_archE1201ELNS1_3gpuE5ELNS1_3repE0EEENS1_30default_config_static_selectorELNS0_4arch9wavefront6targetE1EEEvT1_,@function
_ZN7rocprim17ROCPRIM_400000_NS6detail17trampoline_kernelINS0_14default_configENS1_25transform_config_selectorIlLb0EEEZNS1_14transform_implILb0ES3_S5_NS0_18transform_iteratorINS0_17counting_iteratorImlEEZNS1_24adjacent_difference_implIS3_Lb1ELb0EPlSB_ZN2at6native12_GLOBAL__N_124unique_dim_cuda_templateIiEESt5tupleIJNSC_6TensorESH_SH_EERKSH_lbbbEUlllE1_EE10hipError_tPvRmT2_T3_mT4_P12ihipStream_tbEUlmE_lEESB_NS0_8identityIvEEEESM_SP_SQ_mSR_ST_bEUlT_E_NS1_11comp_targetILNS1_3genE10ELNS1_11target_archE1201ELNS1_3gpuE5ELNS1_3repE0EEENS1_30default_config_static_selectorELNS0_4arch9wavefront6targetE1EEEvT1_: ; @_ZN7rocprim17ROCPRIM_400000_NS6detail17trampoline_kernelINS0_14default_configENS1_25transform_config_selectorIlLb0EEEZNS1_14transform_implILb0ES3_S5_NS0_18transform_iteratorINS0_17counting_iteratorImlEEZNS1_24adjacent_difference_implIS3_Lb1ELb0EPlSB_ZN2at6native12_GLOBAL__N_124unique_dim_cuda_templateIiEESt5tupleIJNSC_6TensorESH_SH_EERKSH_lbbbEUlllE1_EE10hipError_tPvRmT2_T3_mT4_P12ihipStream_tbEUlmE_lEESB_NS0_8identityIvEEEESM_SP_SQ_mSR_ST_bEUlT_E_NS1_11comp_targetILNS1_3genE10ELNS1_11target_archE1201ELNS1_3gpuE5ELNS1_3repE0EEENS1_30default_config_static_selectorELNS0_4arch9wavefront6targetE1EEEvT1_
; %bb.0:
	.section	.rodata,"a",@progbits
	.p2align	6, 0x0
	.amdhsa_kernel _ZN7rocprim17ROCPRIM_400000_NS6detail17trampoline_kernelINS0_14default_configENS1_25transform_config_selectorIlLb0EEEZNS1_14transform_implILb0ES3_S5_NS0_18transform_iteratorINS0_17counting_iteratorImlEEZNS1_24adjacent_difference_implIS3_Lb1ELb0EPlSB_ZN2at6native12_GLOBAL__N_124unique_dim_cuda_templateIiEESt5tupleIJNSC_6TensorESH_SH_EERKSH_lbbbEUlllE1_EE10hipError_tPvRmT2_T3_mT4_P12ihipStream_tbEUlmE_lEESB_NS0_8identityIvEEEESM_SP_SQ_mSR_ST_bEUlT_E_NS1_11comp_targetILNS1_3genE10ELNS1_11target_archE1201ELNS1_3gpuE5ELNS1_3repE0EEENS1_30default_config_static_selectorELNS0_4arch9wavefront6targetE1EEEvT1_
		.amdhsa_group_segment_fixed_size 0
		.amdhsa_private_segment_fixed_size 0
		.amdhsa_kernarg_size 56
		.amdhsa_user_sgpr_count 2
		.amdhsa_user_sgpr_dispatch_ptr 0
		.amdhsa_user_sgpr_queue_ptr 0
		.amdhsa_user_sgpr_kernarg_segment_ptr 1
		.amdhsa_user_sgpr_dispatch_id 0
		.amdhsa_user_sgpr_kernarg_preload_length 0
		.amdhsa_user_sgpr_kernarg_preload_offset 0
		.amdhsa_user_sgpr_private_segment_size 0
		.amdhsa_uses_dynamic_stack 0
		.amdhsa_enable_private_segment 0
		.amdhsa_system_sgpr_workgroup_id_x 1
		.amdhsa_system_sgpr_workgroup_id_y 0
		.amdhsa_system_sgpr_workgroup_id_z 0
		.amdhsa_system_sgpr_workgroup_info 0
		.amdhsa_system_vgpr_workitem_id 0
		.amdhsa_next_free_vgpr 1
		.amdhsa_next_free_sgpr 0
		.amdhsa_accum_offset 4
		.amdhsa_reserve_vcc 0
		.amdhsa_float_round_mode_32 0
		.amdhsa_float_round_mode_16_64 0
		.amdhsa_float_denorm_mode_32 3
		.amdhsa_float_denorm_mode_16_64 3
		.amdhsa_dx10_clamp 1
		.amdhsa_ieee_mode 1
		.amdhsa_fp16_overflow 0
		.amdhsa_tg_split 0
		.amdhsa_exception_fp_ieee_invalid_op 0
		.amdhsa_exception_fp_denorm_src 0
		.amdhsa_exception_fp_ieee_div_zero 0
		.amdhsa_exception_fp_ieee_overflow 0
		.amdhsa_exception_fp_ieee_underflow 0
		.amdhsa_exception_fp_ieee_inexact 0
		.amdhsa_exception_int_div_zero 0
	.end_amdhsa_kernel
	.section	.text._ZN7rocprim17ROCPRIM_400000_NS6detail17trampoline_kernelINS0_14default_configENS1_25transform_config_selectorIlLb0EEEZNS1_14transform_implILb0ES3_S5_NS0_18transform_iteratorINS0_17counting_iteratorImlEEZNS1_24adjacent_difference_implIS3_Lb1ELb0EPlSB_ZN2at6native12_GLOBAL__N_124unique_dim_cuda_templateIiEESt5tupleIJNSC_6TensorESH_SH_EERKSH_lbbbEUlllE1_EE10hipError_tPvRmT2_T3_mT4_P12ihipStream_tbEUlmE_lEESB_NS0_8identityIvEEEESM_SP_SQ_mSR_ST_bEUlT_E_NS1_11comp_targetILNS1_3genE10ELNS1_11target_archE1201ELNS1_3gpuE5ELNS1_3repE0EEENS1_30default_config_static_selectorELNS0_4arch9wavefront6targetE1EEEvT1_,"axG",@progbits,_ZN7rocprim17ROCPRIM_400000_NS6detail17trampoline_kernelINS0_14default_configENS1_25transform_config_selectorIlLb0EEEZNS1_14transform_implILb0ES3_S5_NS0_18transform_iteratorINS0_17counting_iteratorImlEEZNS1_24adjacent_difference_implIS3_Lb1ELb0EPlSB_ZN2at6native12_GLOBAL__N_124unique_dim_cuda_templateIiEESt5tupleIJNSC_6TensorESH_SH_EERKSH_lbbbEUlllE1_EE10hipError_tPvRmT2_T3_mT4_P12ihipStream_tbEUlmE_lEESB_NS0_8identityIvEEEESM_SP_SQ_mSR_ST_bEUlT_E_NS1_11comp_targetILNS1_3genE10ELNS1_11target_archE1201ELNS1_3gpuE5ELNS1_3repE0EEENS1_30default_config_static_selectorELNS0_4arch9wavefront6targetE1EEEvT1_,comdat
.Lfunc_end432:
	.size	_ZN7rocprim17ROCPRIM_400000_NS6detail17trampoline_kernelINS0_14default_configENS1_25transform_config_selectorIlLb0EEEZNS1_14transform_implILb0ES3_S5_NS0_18transform_iteratorINS0_17counting_iteratorImlEEZNS1_24adjacent_difference_implIS3_Lb1ELb0EPlSB_ZN2at6native12_GLOBAL__N_124unique_dim_cuda_templateIiEESt5tupleIJNSC_6TensorESH_SH_EERKSH_lbbbEUlllE1_EE10hipError_tPvRmT2_T3_mT4_P12ihipStream_tbEUlmE_lEESB_NS0_8identityIvEEEESM_SP_SQ_mSR_ST_bEUlT_E_NS1_11comp_targetILNS1_3genE10ELNS1_11target_archE1201ELNS1_3gpuE5ELNS1_3repE0EEENS1_30default_config_static_selectorELNS0_4arch9wavefront6targetE1EEEvT1_, .Lfunc_end432-_ZN7rocprim17ROCPRIM_400000_NS6detail17trampoline_kernelINS0_14default_configENS1_25transform_config_selectorIlLb0EEEZNS1_14transform_implILb0ES3_S5_NS0_18transform_iteratorINS0_17counting_iteratorImlEEZNS1_24adjacent_difference_implIS3_Lb1ELb0EPlSB_ZN2at6native12_GLOBAL__N_124unique_dim_cuda_templateIiEESt5tupleIJNSC_6TensorESH_SH_EERKSH_lbbbEUlllE1_EE10hipError_tPvRmT2_T3_mT4_P12ihipStream_tbEUlmE_lEESB_NS0_8identityIvEEEESM_SP_SQ_mSR_ST_bEUlT_E_NS1_11comp_targetILNS1_3genE10ELNS1_11target_archE1201ELNS1_3gpuE5ELNS1_3repE0EEENS1_30default_config_static_selectorELNS0_4arch9wavefront6targetE1EEEvT1_
                                        ; -- End function
	.section	.AMDGPU.csdata,"",@progbits
; Kernel info:
; codeLenInByte = 0
; NumSgprs: 6
; NumVgprs: 0
; NumAgprs: 0
; TotalNumVgprs: 0
; ScratchSize: 0
; MemoryBound: 0
; FloatMode: 240
; IeeeMode: 1
; LDSByteSize: 0 bytes/workgroup (compile time only)
; SGPRBlocks: 0
; VGPRBlocks: 0
; NumSGPRsForWavesPerEU: 6
; NumVGPRsForWavesPerEU: 1
; AccumOffset: 4
; Occupancy: 8
; WaveLimiterHint : 0
; COMPUTE_PGM_RSRC2:SCRATCH_EN: 0
; COMPUTE_PGM_RSRC2:USER_SGPR: 2
; COMPUTE_PGM_RSRC2:TRAP_HANDLER: 0
; COMPUTE_PGM_RSRC2:TGID_X_EN: 1
; COMPUTE_PGM_RSRC2:TGID_Y_EN: 0
; COMPUTE_PGM_RSRC2:TGID_Z_EN: 0
; COMPUTE_PGM_RSRC2:TIDIG_COMP_CNT: 0
; COMPUTE_PGM_RSRC3_GFX90A:ACCUM_OFFSET: 0
; COMPUTE_PGM_RSRC3_GFX90A:TG_SPLIT: 0
	.section	.text._ZN7rocprim17ROCPRIM_400000_NS6detail17trampoline_kernelINS0_14default_configENS1_25transform_config_selectorIlLb0EEEZNS1_14transform_implILb0ES3_S5_NS0_18transform_iteratorINS0_17counting_iteratorImlEEZNS1_24adjacent_difference_implIS3_Lb1ELb0EPlSB_ZN2at6native12_GLOBAL__N_124unique_dim_cuda_templateIiEESt5tupleIJNSC_6TensorESH_SH_EERKSH_lbbbEUlllE1_EE10hipError_tPvRmT2_T3_mT4_P12ihipStream_tbEUlmE_lEESB_NS0_8identityIvEEEESM_SP_SQ_mSR_ST_bEUlT_E_NS1_11comp_targetILNS1_3genE10ELNS1_11target_archE1200ELNS1_3gpuE4ELNS1_3repE0EEENS1_30default_config_static_selectorELNS0_4arch9wavefront6targetE1EEEvT1_,"axG",@progbits,_ZN7rocprim17ROCPRIM_400000_NS6detail17trampoline_kernelINS0_14default_configENS1_25transform_config_selectorIlLb0EEEZNS1_14transform_implILb0ES3_S5_NS0_18transform_iteratorINS0_17counting_iteratorImlEEZNS1_24adjacent_difference_implIS3_Lb1ELb0EPlSB_ZN2at6native12_GLOBAL__N_124unique_dim_cuda_templateIiEESt5tupleIJNSC_6TensorESH_SH_EERKSH_lbbbEUlllE1_EE10hipError_tPvRmT2_T3_mT4_P12ihipStream_tbEUlmE_lEESB_NS0_8identityIvEEEESM_SP_SQ_mSR_ST_bEUlT_E_NS1_11comp_targetILNS1_3genE10ELNS1_11target_archE1200ELNS1_3gpuE4ELNS1_3repE0EEENS1_30default_config_static_selectorELNS0_4arch9wavefront6targetE1EEEvT1_,comdat
	.globl	_ZN7rocprim17ROCPRIM_400000_NS6detail17trampoline_kernelINS0_14default_configENS1_25transform_config_selectorIlLb0EEEZNS1_14transform_implILb0ES3_S5_NS0_18transform_iteratorINS0_17counting_iteratorImlEEZNS1_24adjacent_difference_implIS3_Lb1ELb0EPlSB_ZN2at6native12_GLOBAL__N_124unique_dim_cuda_templateIiEESt5tupleIJNSC_6TensorESH_SH_EERKSH_lbbbEUlllE1_EE10hipError_tPvRmT2_T3_mT4_P12ihipStream_tbEUlmE_lEESB_NS0_8identityIvEEEESM_SP_SQ_mSR_ST_bEUlT_E_NS1_11comp_targetILNS1_3genE10ELNS1_11target_archE1200ELNS1_3gpuE4ELNS1_3repE0EEENS1_30default_config_static_selectorELNS0_4arch9wavefront6targetE1EEEvT1_ ; -- Begin function _ZN7rocprim17ROCPRIM_400000_NS6detail17trampoline_kernelINS0_14default_configENS1_25transform_config_selectorIlLb0EEEZNS1_14transform_implILb0ES3_S5_NS0_18transform_iteratorINS0_17counting_iteratorImlEEZNS1_24adjacent_difference_implIS3_Lb1ELb0EPlSB_ZN2at6native12_GLOBAL__N_124unique_dim_cuda_templateIiEESt5tupleIJNSC_6TensorESH_SH_EERKSH_lbbbEUlllE1_EE10hipError_tPvRmT2_T3_mT4_P12ihipStream_tbEUlmE_lEESB_NS0_8identityIvEEEESM_SP_SQ_mSR_ST_bEUlT_E_NS1_11comp_targetILNS1_3genE10ELNS1_11target_archE1200ELNS1_3gpuE4ELNS1_3repE0EEENS1_30default_config_static_selectorELNS0_4arch9wavefront6targetE1EEEvT1_
	.p2align	8
	.type	_ZN7rocprim17ROCPRIM_400000_NS6detail17trampoline_kernelINS0_14default_configENS1_25transform_config_selectorIlLb0EEEZNS1_14transform_implILb0ES3_S5_NS0_18transform_iteratorINS0_17counting_iteratorImlEEZNS1_24adjacent_difference_implIS3_Lb1ELb0EPlSB_ZN2at6native12_GLOBAL__N_124unique_dim_cuda_templateIiEESt5tupleIJNSC_6TensorESH_SH_EERKSH_lbbbEUlllE1_EE10hipError_tPvRmT2_T3_mT4_P12ihipStream_tbEUlmE_lEESB_NS0_8identityIvEEEESM_SP_SQ_mSR_ST_bEUlT_E_NS1_11comp_targetILNS1_3genE10ELNS1_11target_archE1200ELNS1_3gpuE4ELNS1_3repE0EEENS1_30default_config_static_selectorELNS0_4arch9wavefront6targetE1EEEvT1_,@function
_ZN7rocprim17ROCPRIM_400000_NS6detail17trampoline_kernelINS0_14default_configENS1_25transform_config_selectorIlLb0EEEZNS1_14transform_implILb0ES3_S5_NS0_18transform_iteratorINS0_17counting_iteratorImlEEZNS1_24adjacent_difference_implIS3_Lb1ELb0EPlSB_ZN2at6native12_GLOBAL__N_124unique_dim_cuda_templateIiEESt5tupleIJNSC_6TensorESH_SH_EERKSH_lbbbEUlllE1_EE10hipError_tPvRmT2_T3_mT4_P12ihipStream_tbEUlmE_lEESB_NS0_8identityIvEEEESM_SP_SQ_mSR_ST_bEUlT_E_NS1_11comp_targetILNS1_3genE10ELNS1_11target_archE1200ELNS1_3gpuE4ELNS1_3repE0EEENS1_30default_config_static_selectorELNS0_4arch9wavefront6targetE1EEEvT1_: ; @_ZN7rocprim17ROCPRIM_400000_NS6detail17trampoline_kernelINS0_14default_configENS1_25transform_config_selectorIlLb0EEEZNS1_14transform_implILb0ES3_S5_NS0_18transform_iteratorINS0_17counting_iteratorImlEEZNS1_24adjacent_difference_implIS3_Lb1ELb0EPlSB_ZN2at6native12_GLOBAL__N_124unique_dim_cuda_templateIiEESt5tupleIJNSC_6TensorESH_SH_EERKSH_lbbbEUlllE1_EE10hipError_tPvRmT2_T3_mT4_P12ihipStream_tbEUlmE_lEESB_NS0_8identityIvEEEESM_SP_SQ_mSR_ST_bEUlT_E_NS1_11comp_targetILNS1_3genE10ELNS1_11target_archE1200ELNS1_3gpuE4ELNS1_3repE0EEENS1_30default_config_static_selectorELNS0_4arch9wavefront6targetE1EEEvT1_
; %bb.0:
	.section	.rodata,"a",@progbits
	.p2align	6, 0x0
	.amdhsa_kernel _ZN7rocprim17ROCPRIM_400000_NS6detail17trampoline_kernelINS0_14default_configENS1_25transform_config_selectorIlLb0EEEZNS1_14transform_implILb0ES3_S5_NS0_18transform_iteratorINS0_17counting_iteratorImlEEZNS1_24adjacent_difference_implIS3_Lb1ELb0EPlSB_ZN2at6native12_GLOBAL__N_124unique_dim_cuda_templateIiEESt5tupleIJNSC_6TensorESH_SH_EERKSH_lbbbEUlllE1_EE10hipError_tPvRmT2_T3_mT4_P12ihipStream_tbEUlmE_lEESB_NS0_8identityIvEEEESM_SP_SQ_mSR_ST_bEUlT_E_NS1_11comp_targetILNS1_3genE10ELNS1_11target_archE1200ELNS1_3gpuE4ELNS1_3repE0EEENS1_30default_config_static_selectorELNS0_4arch9wavefront6targetE1EEEvT1_
		.amdhsa_group_segment_fixed_size 0
		.amdhsa_private_segment_fixed_size 0
		.amdhsa_kernarg_size 56
		.amdhsa_user_sgpr_count 2
		.amdhsa_user_sgpr_dispatch_ptr 0
		.amdhsa_user_sgpr_queue_ptr 0
		.amdhsa_user_sgpr_kernarg_segment_ptr 1
		.amdhsa_user_sgpr_dispatch_id 0
		.amdhsa_user_sgpr_kernarg_preload_length 0
		.amdhsa_user_sgpr_kernarg_preload_offset 0
		.amdhsa_user_sgpr_private_segment_size 0
		.amdhsa_uses_dynamic_stack 0
		.amdhsa_enable_private_segment 0
		.amdhsa_system_sgpr_workgroup_id_x 1
		.amdhsa_system_sgpr_workgroup_id_y 0
		.amdhsa_system_sgpr_workgroup_id_z 0
		.amdhsa_system_sgpr_workgroup_info 0
		.amdhsa_system_vgpr_workitem_id 0
		.amdhsa_next_free_vgpr 1
		.amdhsa_next_free_sgpr 0
		.amdhsa_accum_offset 4
		.amdhsa_reserve_vcc 0
		.amdhsa_float_round_mode_32 0
		.amdhsa_float_round_mode_16_64 0
		.amdhsa_float_denorm_mode_32 3
		.amdhsa_float_denorm_mode_16_64 3
		.amdhsa_dx10_clamp 1
		.amdhsa_ieee_mode 1
		.amdhsa_fp16_overflow 0
		.amdhsa_tg_split 0
		.amdhsa_exception_fp_ieee_invalid_op 0
		.amdhsa_exception_fp_denorm_src 0
		.amdhsa_exception_fp_ieee_div_zero 0
		.amdhsa_exception_fp_ieee_overflow 0
		.amdhsa_exception_fp_ieee_underflow 0
		.amdhsa_exception_fp_ieee_inexact 0
		.amdhsa_exception_int_div_zero 0
	.end_amdhsa_kernel
	.section	.text._ZN7rocprim17ROCPRIM_400000_NS6detail17trampoline_kernelINS0_14default_configENS1_25transform_config_selectorIlLb0EEEZNS1_14transform_implILb0ES3_S5_NS0_18transform_iteratorINS0_17counting_iteratorImlEEZNS1_24adjacent_difference_implIS3_Lb1ELb0EPlSB_ZN2at6native12_GLOBAL__N_124unique_dim_cuda_templateIiEESt5tupleIJNSC_6TensorESH_SH_EERKSH_lbbbEUlllE1_EE10hipError_tPvRmT2_T3_mT4_P12ihipStream_tbEUlmE_lEESB_NS0_8identityIvEEEESM_SP_SQ_mSR_ST_bEUlT_E_NS1_11comp_targetILNS1_3genE10ELNS1_11target_archE1200ELNS1_3gpuE4ELNS1_3repE0EEENS1_30default_config_static_selectorELNS0_4arch9wavefront6targetE1EEEvT1_,"axG",@progbits,_ZN7rocprim17ROCPRIM_400000_NS6detail17trampoline_kernelINS0_14default_configENS1_25transform_config_selectorIlLb0EEEZNS1_14transform_implILb0ES3_S5_NS0_18transform_iteratorINS0_17counting_iteratorImlEEZNS1_24adjacent_difference_implIS3_Lb1ELb0EPlSB_ZN2at6native12_GLOBAL__N_124unique_dim_cuda_templateIiEESt5tupleIJNSC_6TensorESH_SH_EERKSH_lbbbEUlllE1_EE10hipError_tPvRmT2_T3_mT4_P12ihipStream_tbEUlmE_lEESB_NS0_8identityIvEEEESM_SP_SQ_mSR_ST_bEUlT_E_NS1_11comp_targetILNS1_3genE10ELNS1_11target_archE1200ELNS1_3gpuE4ELNS1_3repE0EEENS1_30default_config_static_selectorELNS0_4arch9wavefront6targetE1EEEvT1_,comdat
.Lfunc_end433:
	.size	_ZN7rocprim17ROCPRIM_400000_NS6detail17trampoline_kernelINS0_14default_configENS1_25transform_config_selectorIlLb0EEEZNS1_14transform_implILb0ES3_S5_NS0_18transform_iteratorINS0_17counting_iteratorImlEEZNS1_24adjacent_difference_implIS3_Lb1ELb0EPlSB_ZN2at6native12_GLOBAL__N_124unique_dim_cuda_templateIiEESt5tupleIJNSC_6TensorESH_SH_EERKSH_lbbbEUlllE1_EE10hipError_tPvRmT2_T3_mT4_P12ihipStream_tbEUlmE_lEESB_NS0_8identityIvEEEESM_SP_SQ_mSR_ST_bEUlT_E_NS1_11comp_targetILNS1_3genE10ELNS1_11target_archE1200ELNS1_3gpuE4ELNS1_3repE0EEENS1_30default_config_static_selectorELNS0_4arch9wavefront6targetE1EEEvT1_, .Lfunc_end433-_ZN7rocprim17ROCPRIM_400000_NS6detail17trampoline_kernelINS0_14default_configENS1_25transform_config_selectorIlLb0EEEZNS1_14transform_implILb0ES3_S5_NS0_18transform_iteratorINS0_17counting_iteratorImlEEZNS1_24adjacent_difference_implIS3_Lb1ELb0EPlSB_ZN2at6native12_GLOBAL__N_124unique_dim_cuda_templateIiEESt5tupleIJNSC_6TensorESH_SH_EERKSH_lbbbEUlllE1_EE10hipError_tPvRmT2_T3_mT4_P12ihipStream_tbEUlmE_lEESB_NS0_8identityIvEEEESM_SP_SQ_mSR_ST_bEUlT_E_NS1_11comp_targetILNS1_3genE10ELNS1_11target_archE1200ELNS1_3gpuE4ELNS1_3repE0EEENS1_30default_config_static_selectorELNS0_4arch9wavefront6targetE1EEEvT1_
                                        ; -- End function
	.section	.AMDGPU.csdata,"",@progbits
; Kernel info:
; codeLenInByte = 0
; NumSgprs: 6
; NumVgprs: 0
; NumAgprs: 0
; TotalNumVgprs: 0
; ScratchSize: 0
; MemoryBound: 0
; FloatMode: 240
; IeeeMode: 1
; LDSByteSize: 0 bytes/workgroup (compile time only)
; SGPRBlocks: 0
; VGPRBlocks: 0
; NumSGPRsForWavesPerEU: 6
; NumVGPRsForWavesPerEU: 1
; AccumOffset: 4
; Occupancy: 8
; WaveLimiterHint : 0
; COMPUTE_PGM_RSRC2:SCRATCH_EN: 0
; COMPUTE_PGM_RSRC2:USER_SGPR: 2
; COMPUTE_PGM_RSRC2:TRAP_HANDLER: 0
; COMPUTE_PGM_RSRC2:TGID_X_EN: 1
; COMPUTE_PGM_RSRC2:TGID_Y_EN: 0
; COMPUTE_PGM_RSRC2:TGID_Z_EN: 0
; COMPUTE_PGM_RSRC2:TIDIG_COMP_CNT: 0
; COMPUTE_PGM_RSRC3_GFX90A:ACCUM_OFFSET: 0
; COMPUTE_PGM_RSRC3_GFX90A:TG_SPLIT: 0
	.section	.text._ZN7rocprim17ROCPRIM_400000_NS6detail17trampoline_kernelINS0_14default_configENS1_25transform_config_selectorIlLb0EEEZNS1_14transform_implILb0ES3_S5_NS0_18transform_iteratorINS0_17counting_iteratorImlEEZNS1_24adjacent_difference_implIS3_Lb1ELb0EPlSB_ZN2at6native12_GLOBAL__N_124unique_dim_cuda_templateIiEESt5tupleIJNSC_6TensorESH_SH_EERKSH_lbbbEUlllE1_EE10hipError_tPvRmT2_T3_mT4_P12ihipStream_tbEUlmE_lEESB_NS0_8identityIvEEEESM_SP_SQ_mSR_ST_bEUlT_E_NS1_11comp_targetILNS1_3genE9ELNS1_11target_archE1100ELNS1_3gpuE3ELNS1_3repE0EEENS1_30default_config_static_selectorELNS0_4arch9wavefront6targetE1EEEvT1_,"axG",@progbits,_ZN7rocprim17ROCPRIM_400000_NS6detail17trampoline_kernelINS0_14default_configENS1_25transform_config_selectorIlLb0EEEZNS1_14transform_implILb0ES3_S5_NS0_18transform_iteratorINS0_17counting_iteratorImlEEZNS1_24adjacent_difference_implIS3_Lb1ELb0EPlSB_ZN2at6native12_GLOBAL__N_124unique_dim_cuda_templateIiEESt5tupleIJNSC_6TensorESH_SH_EERKSH_lbbbEUlllE1_EE10hipError_tPvRmT2_T3_mT4_P12ihipStream_tbEUlmE_lEESB_NS0_8identityIvEEEESM_SP_SQ_mSR_ST_bEUlT_E_NS1_11comp_targetILNS1_3genE9ELNS1_11target_archE1100ELNS1_3gpuE3ELNS1_3repE0EEENS1_30default_config_static_selectorELNS0_4arch9wavefront6targetE1EEEvT1_,comdat
	.globl	_ZN7rocprim17ROCPRIM_400000_NS6detail17trampoline_kernelINS0_14default_configENS1_25transform_config_selectorIlLb0EEEZNS1_14transform_implILb0ES3_S5_NS0_18transform_iteratorINS0_17counting_iteratorImlEEZNS1_24adjacent_difference_implIS3_Lb1ELb0EPlSB_ZN2at6native12_GLOBAL__N_124unique_dim_cuda_templateIiEESt5tupleIJNSC_6TensorESH_SH_EERKSH_lbbbEUlllE1_EE10hipError_tPvRmT2_T3_mT4_P12ihipStream_tbEUlmE_lEESB_NS0_8identityIvEEEESM_SP_SQ_mSR_ST_bEUlT_E_NS1_11comp_targetILNS1_3genE9ELNS1_11target_archE1100ELNS1_3gpuE3ELNS1_3repE0EEENS1_30default_config_static_selectorELNS0_4arch9wavefront6targetE1EEEvT1_ ; -- Begin function _ZN7rocprim17ROCPRIM_400000_NS6detail17trampoline_kernelINS0_14default_configENS1_25transform_config_selectorIlLb0EEEZNS1_14transform_implILb0ES3_S5_NS0_18transform_iteratorINS0_17counting_iteratorImlEEZNS1_24adjacent_difference_implIS3_Lb1ELb0EPlSB_ZN2at6native12_GLOBAL__N_124unique_dim_cuda_templateIiEESt5tupleIJNSC_6TensorESH_SH_EERKSH_lbbbEUlllE1_EE10hipError_tPvRmT2_T3_mT4_P12ihipStream_tbEUlmE_lEESB_NS0_8identityIvEEEESM_SP_SQ_mSR_ST_bEUlT_E_NS1_11comp_targetILNS1_3genE9ELNS1_11target_archE1100ELNS1_3gpuE3ELNS1_3repE0EEENS1_30default_config_static_selectorELNS0_4arch9wavefront6targetE1EEEvT1_
	.p2align	8
	.type	_ZN7rocprim17ROCPRIM_400000_NS6detail17trampoline_kernelINS0_14default_configENS1_25transform_config_selectorIlLb0EEEZNS1_14transform_implILb0ES3_S5_NS0_18transform_iteratorINS0_17counting_iteratorImlEEZNS1_24adjacent_difference_implIS3_Lb1ELb0EPlSB_ZN2at6native12_GLOBAL__N_124unique_dim_cuda_templateIiEESt5tupleIJNSC_6TensorESH_SH_EERKSH_lbbbEUlllE1_EE10hipError_tPvRmT2_T3_mT4_P12ihipStream_tbEUlmE_lEESB_NS0_8identityIvEEEESM_SP_SQ_mSR_ST_bEUlT_E_NS1_11comp_targetILNS1_3genE9ELNS1_11target_archE1100ELNS1_3gpuE3ELNS1_3repE0EEENS1_30default_config_static_selectorELNS0_4arch9wavefront6targetE1EEEvT1_,@function
_ZN7rocprim17ROCPRIM_400000_NS6detail17trampoline_kernelINS0_14default_configENS1_25transform_config_selectorIlLb0EEEZNS1_14transform_implILb0ES3_S5_NS0_18transform_iteratorINS0_17counting_iteratorImlEEZNS1_24adjacent_difference_implIS3_Lb1ELb0EPlSB_ZN2at6native12_GLOBAL__N_124unique_dim_cuda_templateIiEESt5tupleIJNSC_6TensorESH_SH_EERKSH_lbbbEUlllE1_EE10hipError_tPvRmT2_T3_mT4_P12ihipStream_tbEUlmE_lEESB_NS0_8identityIvEEEESM_SP_SQ_mSR_ST_bEUlT_E_NS1_11comp_targetILNS1_3genE9ELNS1_11target_archE1100ELNS1_3gpuE3ELNS1_3repE0EEENS1_30default_config_static_selectorELNS0_4arch9wavefront6targetE1EEEvT1_: ; @_ZN7rocprim17ROCPRIM_400000_NS6detail17trampoline_kernelINS0_14default_configENS1_25transform_config_selectorIlLb0EEEZNS1_14transform_implILb0ES3_S5_NS0_18transform_iteratorINS0_17counting_iteratorImlEEZNS1_24adjacent_difference_implIS3_Lb1ELb0EPlSB_ZN2at6native12_GLOBAL__N_124unique_dim_cuda_templateIiEESt5tupleIJNSC_6TensorESH_SH_EERKSH_lbbbEUlllE1_EE10hipError_tPvRmT2_T3_mT4_P12ihipStream_tbEUlmE_lEESB_NS0_8identityIvEEEESM_SP_SQ_mSR_ST_bEUlT_E_NS1_11comp_targetILNS1_3genE9ELNS1_11target_archE1100ELNS1_3gpuE3ELNS1_3repE0EEENS1_30default_config_static_selectorELNS0_4arch9wavefront6targetE1EEEvT1_
; %bb.0:
	.section	.rodata,"a",@progbits
	.p2align	6, 0x0
	.amdhsa_kernel _ZN7rocprim17ROCPRIM_400000_NS6detail17trampoline_kernelINS0_14default_configENS1_25transform_config_selectorIlLb0EEEZNS1_14transform_implILb0ES3_S5_NS0_18transform_iteratorINS0_17counting_iteratorImlEEZNS1_24adjacent_difference_implIS3_Lb1ELb0EPlSB_ZN2at6native12_GLOBAL__N_124unique_dim_cuda_templateIiEESt5tupleIJNSC_6TensorESH_SH_EERKSH_lbbbEUlllE1_EE10hipError_tPvRmT2_T3_mT4_P12ihipStream_tbEUlmE_lEESB_NS0_8identityIvEEEESM_SP_SQ_mSR_ST_bEUlT_E_NS1_11comp_targetILNS1_3genE9ELNS1_11target_archE1100ELNS1_3gpuE3ELNS1_3repE0EEENS1_30default_config_static_selectorELNS0_4arch9wavefront6targetE1EEEvT1_
		.amdhsa_group_segment_fixed_size 0
		.amdhsa_private_segment_fixed_size 0
		.amdhsa_kernarg_size 56
		.amdhsa_user_sgpr_count 2
		.amdhsa_user_sgpr_dispatch_ptr 0
		.amdhsa_user_sgpr_queue_ptr 0
		.amdhsa_user_sgpr_kernarg_segment_ptr 1
		.amdhsa_user_sgpr_dispatch_id 0
		.amdhsa_user_sgpr_kernarg_preload_length 0
		.amdhsa_user_sgpr_kernarg_preload_offset 0
		.amdhsa_user_sgpr_private_segment_size 0
		.amdhsa_uses_dynamic_stack 0
		.amdhsa_enable_private_segment 0
		.amdhsa_system_sgpr_workgroup_id_x 1
		.amdhsa_system_sgpr_workgroup_id_y 0
		.amdhsa_system_sgpr_workgroup_id_z 0
		.amdhsa_system_sgpr_workgroup_info 0
		.amdhsa_system_vgpr_workitem_id 0
		.amdhsa_next_free_vgpr 1
		.amdhsa_next_free_sgpr 0
		.amdhsa_accum_offset 4
		.amdhsa_reserve_vcc 0
		.amdhsa_float_round_mode_32 0
		.amdhsa_float_round_mode_16_64 0
		.amdhsa_float_denorm_mode_32 3
		.amdhsa_float_denorm_mode_16_64 3
		.amdhsa_dx10_clamp 1
		.amdhsa_ieee_mode 1
		.amdhsa_fp16_overflow 0
		.amdhsa_tg_split 0
		.amdhsa_exception_fp_ieee_invalid_op 0
		.amdhsa_exception_fp_denorm_src 0
		.amdhsa_exception_fp_ieee_div_zero 0
		.amdhsa_exception_fp_ieee_overflow 0
		.amdhsa_exception_fp_ieee_underflow 0
		.amdhsa_exception_fp_ieee_inexact 0
		.amdhsa_exception_int_div_zero 0
	.end_amdhsa_kernel
	.section	.text._ZN7rocprim17ROCPRIM_400000_NS6detail17trampoline_kernelINS0_14default_configENS1_25transform_config_selectorIlLb0EEEZNS1_14transform_implILb0ES3_S5_NS0_18transform_iteratorINS0_17counting_iteratorImlEEZNS1_24adjacent_difference_implIS3_Lb1ELb0EPlSB_ZN2at6native12_GLOBAL__N_124unique_dim_cuda_templateIiEESt5tupleIJNSC_6TensorESH_SH_EERKSH_lbbbEUlllE1_EE10hipError_tPvRmT2_T3_mT4_P12ihipStream_tbEUlmE_lEESB_NS0_8identityIvEEEESM_SP_SQ_mSR_ST_bEUlT_E_NS1_11comp_targetILNS1_3genE9ELNS1_11target_archE1100ELNS1_3gpuE3ELNS1_3repE0EEENS1_30default_config_static_selectorELNS0_4arch9wavefront6targetE1EEEvT1_,"axG",@progbits,_ZN7rocprim17ROCPRIM_400000_NS6detail17trampoline_kernelINS0_14default_configENS1_25transform_config_selectorIlLb0EEEZNS1_14transform_implILb0ES3_S5_NS0_18transform_iteratorINS0_17counting_iteratorImlEEZNS1_24adjacent_difference_implIS3_Lb1ELb0EPlSB_ZN2at6native12_GLOBAL__N_124unique_dim_cuda_templateIiEESt5tupleIJNSC_6TensorESH_SH_EERKSH_lbbbEUlllE1_EE10hipError_tPvRmT2_T3_mT4_P12ihipStream_tbEUlmE_lEESB_NS0_8identityIvEEEESM_SP_SQ_mSR_ST_bEUlT_E_NS1_11comp_targetILNS1_3genE9ELNS1_11target_archE1100ELNS1_3gpuE3ELNS1_3repE0EEENS1_30default_config_static_selectorELNS0_4arch9wavefront6targetE1EEEvT1_,comdat
.Lfunc_end434:
	.size	_ZN7rocprim17ROCPRIM_400000_NS6detail17trampoline_kernelINS0_14default_configENS1_25transform_config_selectorIlLb0EEEZNS1_14transform_implILb0ES3_S5_NS0_18transform_iteratorINS0_17counting_iteratorImlEEZNS1_24adjacent_difference_implIS3_Lb1ELb0EPlSB_ZN2at6native12_GLOBAL__N_124unique_dim_cuda_templateIiEESt5tupleIJNSC_6TensorESH_SH_EERKSH_lbbbEUlllE1_EE10hipError_tPvRmT2_T3_mT4_P12ihipStream_tbEUlmE_lEESB_NS0_8identityIvEEEESM_SP_SQ_mSR_ST_bEUlT_E_NS1_11comp_targetILNS1_3genE9ELNS1_11target_archE1100ELNS1_3gpuE3ELNS1_3repE0EEENS1_30default_config_static_selectorELNS0_4arch9wavefront6targetE1EEEvT1_, .Lfunc_end434-_ZN7rocprim17ROCPRIM_400000_NS6detail17trampoline_kernelINS0_14default_configENS1_25transform_config_selectorIlLb0EEEZNS1_14transform_implILb0ES3_S5_NS0_18transform_iteratorINS0_17counting_iteratorImlEEZNS1_24adjacent_difference_implIS3_Lb1ELb0EPlSB_ZN2at6native12_GLOBAL__N_124unique_dim_cuda_templateIiEESt5tupleIJNSC_6TensorESH_SH_EERKSH_lbbbEUlllE1_EE10hipError_tPvRmT2_T3_mT4_P12ihipStream_tbEUlmE_lEESB_NS0_8identityIvEEEESM_SP_SQ_mSR_ST_bEUlT_E_NS1_11comp_targetILNS1_3genE9ELNS1_11target_archE1100ELNS1_3gpuE3ELNS1_3repE0EEENS1_30default_config_static_selectorELNS0_4arch9wavefront6targetE1EEEvT1_
                                        ; -- End function
	.section	.AMDGPU.csdata,"",@progbits
; Kernel info:
; codeLenInByte = 0
; NumSgprs: 6
; NumVgprs: 0
; NumAgprs: 0
; TotalNumVgprs: 0
; ScratchSize: 0
; MemoryBound: 0
; FloatMode: 240
; IeeeMode: 1
; LDSByteSize: 0 bytes/workgroup (compile time only)
; SGPRBlocks: 0
; VGPRBlocks: 0
; NumSGPRsForWavesPerEU: 6
; NumVGPRsForWavesPerEU: 1
; AccumOffset: 4
; Occupancy: 8
; WaveLimiterHint : 0
; COMPUTE_PGM_RSRC2:SCRATCH_EN: 0
; COMPUTE_PGM_RSRC2:USER_SGPR: 2
; COMPUTE_PGM_RSRC2:TRAP_HANDLER: 0
; COMPUTE_PGM_RSRC2:TGID_X_EN: 1
; COMPUTE_PGM_RSRC2:TGID_Y_EN: 0
; COMPUTE_PGM_RSRC2:TGID_Z_EN: 0
; COMPUTE_PGM_RSRC2:TIDIG_COMP_CNT: 0
; COMPUTE_PGM_RSRC3_GFX90A:ACCUM_OFFSET: 0
; COMPUTE_PGM_RSRC3_GFX90A:TG_SPLIT: 0
	.section	.text._ZN7rocprim17ROCPRIM_400000_NS6detail17trampoline_kernelINS0_14default_configENS1_25transform_config_selectorIlLb0EEEZNS1_14transform_implILb0ES3_S5_NS0_18transform_iteratorINS0_17counting_iteratorImlEEZNS1_24adjacent_difference_implIS3_Lb1ELb0EPlSB_ZN2at6native12_GLOBAL__N_124unique_dim_cuda_templateIiEESt5tupleIJNSC_6TensorESH_SH_EERKSH_lbbbEUlllE1_EE10hipError_tPvRmT2_T3_mT4_P12ihipStream_tbEUlmE_lEESB_NS0_8identityIvEEEESM_SP_SQ_mSR_ST_bEUlT_E_NS1_11comp_targetILNS1_3genE8ELNS1_11target_archE1030ELNS1_3gpuE2ELNS1_3repE0EEENS1_30default_config_static_selectorELNS0_4arch9wavefront6targetE1EEEvT1_,"axG",@progbits,_ZN7rocprim17ROCPRIM_400000_NS6detail17trampoline_kernelINS0_14default_configENS1_25transform_config_selectorIlLb0EEEZNS1_14transform_implILb0ES3_S5_NS0_18transform_iteratorINS0_17counting_iteratorImlEEZNS1_24adjacent_difference_implIS3_Lb1ELb0EPlSB_ZN2at6native12_GLOBAL__N_124unique_dim_cuda_templateIiEESt5tupleIJNSC_6TensorESH_SH_EERKSH_lbbbEUlllE1_EE10hipError_tPvRmT2_T3_mT4_P12ihipStream_tbEUlmE_lEESB_NS0_8identityIvEEEESM_SP_SQ_mSR_ST_bEUlT_E_NS1_11comp_targetILNS1_3genE8ELNS1_11target_archE1030ELNS1_3gpuE2ELNS1_3repE0EEENS1_30default_config_static_selectorELNS0_4arch9wavefront6targetE1EEEvT1_,comdat
	.globl	_ZN7rocprim17ROCPRIM_400000_NS6detail17trampoline_kernelINS0_14default_configENS1_25transform_config_selectorIlLb0EEEZNS1_14transform_implILb0ES3_S5_NS0_18transform_iteratorINS0_17counting_iteratorImlEEZNS1_24adjacent_difference_implIS3_Lb1ELb0EPlSB_ZN2at6native12_GLOBAL__N_124unique_dim_cuda_templateIiEESt5tupleIJNSC_6TensorESH_SH_EERKSH_lbbbEUlllE1_EE10hipError_tPvRmT2_T3_mT4_P12ihipStream_tbEUlmE_lEESB_NS0_8identityIvEEEESM_SP_SQ_mSR_ST_bEUlT_E_NS1_11comp_targetILNS1_3genE8ELNS1_11target_archE1030ELNS1_3gpuE2ELNS1_3repE0EEENS1_30default_config_static_selectorELNS0_4arch9wavefront6targetE1EEEvT1_ ; -- Begin function _ZN7rocprim17ROCPRIM_400000_NS6detail17trampoline_kernelINS0_14default_configENS1_25transform_config_selectorIlLb0EEEZNS1_14transform_implILb0ES3_S5_NS0_18transform_iteratorINS0_17counting_iteratorImlEEZNS1_24adjacent_difference_implIS3_Lb1ELb0EPlSB_ZN2at6native12_GLOBAL__N_124unique_dim_cuda_templateIiEESt5tupleIJNSC_6TensorESH_SH_EERKSH_lbbbEUlllE1_EE10hipError_tPvRmT2_T3_mT4_P12ihipStream_tbEUlmE_lEESB_NS0_8identityIvEEEESM_SP_SQ_mSR_ST_bEUlT_E_NS1_11comp_targetILNS1_3genE8ELNS1_11target_archE1030ELNS1_3gpuE2ELNS1_3repE0EEENS1_30default_config_static_selectorELNS0_4arch9wavefront6targetE1EEEvT1_
	.p2align	8
	.type	_ZN7rocprim17ROCPRIM_400000_NS6detail17trampoline_kernelINS0_14default_configENS1_25transform_config_selectorIlLb0EEEZNS1_14transform_implILb0ES3_S5_NS0_18transform_iteratorINS0_17counting_iteratorImlEEZNS1_24adjacent_difference_implIS3_Lb1ELb0EPlSB_ZN2at6native12_GLOBAL__N_124unique_dim_cuda_templateIiEESt5tupleIJNSC_6TensorESH_SH_EERKSH_lbbbEUlllE1_EE10hipError_tPvRmT2_T3_mT4_P12ihipStream_tbEUlmE_lEESB_NS0_8identityIvEEEESM_SP_SQ_mSR_ST_bEUlT_E_NS1_11comp_targetILNS1_3genE8ELNS1_11target_archE1030ELNS1_3gpuE2ELNS1_3repE0EEENS1_30default_config_static_selectorELNS0_4arch9wavefront6targetE1EEEvT1_,@function
_ZN7rocprim17ROCPRIM_400000_NS6detail17trampoline_kernelINS0_14default_configENS1_25transform_config_selectorIlLb0EEEZNS1_14transform_implILb0ES3_S5_NS0_18transform_iteratorINS0_17counting_iteratorImlEEZNS1_24adjacent_difference_implIS3_Lb1ELb0EPlSB_ZN2at6native12_GLOBAL__N_124unique_dim_cuda_templateIiEESt5tupleIJNSC_6TensorESH_SH_EERKSH_lbbbEUlllE1_EE10hipError_tPvRmT2_T3_mT4_P12ihipStream_tbEUlmE_lEESB_NS0_8identityIvEEEESM_SP_SQ_mSR_ST_bEUlT_E_NS1_11comp_targetILNS1_3genE8ELNS1_11target_archE1030ELNS1_3gpuE2ELNS1_3repE0EEENS1_30default_config_static_selectorELNS0_4arch9wavefront6targetE1EEEvT1_: ; @_ZN7rocprim17ROCPRIM_400000_NS6detail17trampoline_kernelINS0_14default_configENS1_25transform_config_selectorIlLb0EEEZNS1_14transform_implILb0ES3_S5_NS0_18transform_iteratorINS0_17counting_iteratorImlEEZNS1_24adjacent_difference_implIS3_Lb1ELb0EPlSB_ZN2at6native12_GLOBAL__N_124unique_dim_cuda_templateIiEESt5tupleIJNSC_6TensorESH_SH_EERKSH_lbbbEUlllE1_EE10hipError_tPvRmT2_T3_mT4_P12ihipStream_tbEUlmE_lEESB_NS0_8identityIvEEEESM_SP_SQ_mSR_ST_bEUlT_E_NS1_11comp_targetILNS1_3genE8ELNS1_11target_archE1030ELNS1_3gpuE2ELNS1_3repE0EEENS1_30default_config_static_selectorELNS0_4arch9wavefront6targetE1EEEvT1_
; %bb.0:
	.section	.rodata,"a",@progbits
	.p2align	6, 0x0
	.amdhsa_kernel _ZN7rocprim17ROCPRIM_400000_NS6detail17trampoline_kernelINS0_14default_configENS1_25transform_config_selectorIlLb0EEEZNS1_14transform_implILb0ES3_S5_NS0_18transform_iteratorINS0_17counting_iteratorImlEEZNS1_24adjacent_difference_implIS3_Lb1ELb0EPlSB_ZN2at6native12_GLOBAL__N_124unique_dim_cuda_templateIiEESt5tupleIJNSC_6TensorESH_SH_EERKSH_lbbbEUlllE1_EE10hipError_tPvRmT2_T3_mT4_P12ihipStream_tbEUlmE_lEESB_NS0_8identityIvEEEESM_SP_SQ_mSR_ST_bEUlT_E_NS1_11comp_targetILNS1_3genE8ELNS1_11target_archE1030ELNS1_3gpuE2ELNS1_3repE0EEENS1_30default_config_static_selectorELNS0_4arch9wavefront6targetE1EEEvT1_
		.amdhsa_group_segment_fixed_size 0
		.amdhsa_private_segment_fixed_size 0
		.amdhsa_kernarg_size 56
		.amdhsa_user_sgpr_count 2
		.amdhsa_user_sgpr_dispatch_ptr 0
		.amdhsa_user_sgpr_queue_ptr 0
		.amdhsa_user_sgpr_kernarg_segment_ptr 1
		.amdhsa_user_sgpr_dispatch_id 0
		.amdhsa_user_sgpr_kernarg_preload_length 0
		.amdhsa_user_sgpr_kernarg_preload_offset 0
		.amdhsa_user_sgpr_private_segment_size 0
		.amdhsa_uses_dynamic_stack 0
		.amdhsa_enable_private_segment 0
		.amdhsa_system_sgpr_workgroup_id_x 1
		.amdhsa_system_sgpr_workgroup_id_y 0
		.amdhsa_system_sgpr_workgroup_id_z 0
		.amdhsa_system_sgpr_workgroup_info 0
		.amdhsa_system_vgpr_workitem_id 0
		.amdhsa_next_free_vgpr 1
		.amdhsa_next_free_sgpr 0
		.amdhsa_accum_offset 4
		.amdhsa_reserve_vcc 0
		.amdhsa_float_round_mode_32 0
		.amdhsa_float_round_mode_16_64 0
		.amdhsa_float_denorm_mode_32 3
		.amdhsa_float_denorm_mode_16_64 3
		.amdhsa_dx10_clamp 1
		.amdhsa_ieee_mode 1
		.amdhsa_fp16_overflow 0
		.amdhsa_tg_split 0
		.amdhsa_exception_fp_ieee_invalid_op 0
		.amdhsa_exception_fp_denorm_src 0
		.amdhsa_exception_fp_ieee_div_zero 0
		.amdhsa_exception_fp_ieee_overflow 0
		.amdhsa_exception_fp_ieee_underflow 0
		.amdhsa_exception_fp_ieee_inexact 0
		.amdhsa_exception_int_div_zero 0
	.end_amdhsa_kernel
	.section	.text._ZN7rocprim17ROCPRIM_400000_NS6detail17trampoline_kernelINS0_14default_configENS1_25transform_config_selectorIlLb0EEEZNS1_14transform_implILb0ES3_S5_NS0_18transform_iteratorINS0_17counting_iteratorImlEEZNS1_24adjacent_difference_implIS3_Lb1ELb0EPlSB_ZN2at6native12_GLOBAL__N_124unique_dim_cuda_templateIiEESt5tupleIJNSC_6TensorESH_SH_EERKSH_lbbbEUlllE1_EE10hipError_tPvRmT2_T3_mT4_P12ihipStream_tbEUlmE_lEESB_NS0_8identityIvEEEESM_SP_SQ_mSR_ST_bEUlT_E_NS1_11comp_targetILNS1_3genE8ELNS1_11target_archE1030ELNS1_3gpuE2ELNS1_3repE0EEENS1_30default_config_static_selectorELNS0_4arch9wavefront6targetE1EEEvT1_,"axG",@progbits,_ZN7rocprim17ROCPRIM_400000_NS6detail17trampoline_kernelINS0_14default_configENS1_25transform_config_selectorIlLb0EEEZNS1_14transform_implILb0ES3_S5_NS0_18transform_iteratorINS0_17counting_iteratorImlEEZNS1_24adjacent_difference_implIS3_Lb1ELb0EPlSB_ZN2at6native12_GLOBAL__N_124unique_dim_cuda_templateIiEESt5tupleIJNSC_6TensorESH_SH_EERKSH_lbbbEUlllE1_EE10hipError_tPvRmT2_T3_mT4_P12ihipStream_tbEUlmE_lEESB_NS0_8identityIvEEEESM_SP_SQ_mSR_ST_bEUlT_E_NS1_11comp_targetILNS1_3genE8ELNS1_11target_archE1030ELNS1_3gpuE2ELNS1_3repE0EEENS1_30default_config_static_selectorELNS0_4arch9wavefront6targetE1EEEvT1_,comdat
.Lfunc_end435:
	.size	_ZN7rocprim17ROCPRIM_400000_NS6detail17trampoline_kernelINS0_14default_configENS1_25transform_config_selectorIlLb0EEEZNS1_14transform_implILb0ES3_S5_NS0_18transform_iteratorINS0_17counting_iteratorImlEEZNS1_24adjacent_difference_implIS3_Lb1ELb0EPlSB_ZN2at6native12_GLOBAL__N_124unique_dim_cuda_templateIiEESt5tupleIJNSC_6TensorESH_SH_EERKSH_lbbbEUlllE1_EE10hipError_tPvRmT2_T3_mT4_P12ihipStream_tbEUlmE_lEESB_NS0_8identityIvEEEESM_SP_SQ_mSR_ST_bEUlT_E_NS1_11comp_targetILNS1_3genE8ELNS1_11target_archE1030ELNS1_3gpuE2ELNS1_3repE0EEENS1_30default_config_static_selectorELNS0_4arch9wavefront6targetE1EEEvT1_, .Lfunc_end435-_ZN7rocprim17ROCPRIM_400000_NS6detail17trampoline_kernelINS0_14default_configENS1_25transform_config_selectorIlLb0EEEZNS1_14transform_implILb0ES3_S5_NS0_18transform_iteratorINS0_17counting_iteratorImlEEZNS1_24adjacent_difference_implIS3_Lb1ELb0EPlSB_ZN2at6native12_GLOBAL__N_124unique_dim_cuda_templateIiEESt5tupleIJNSC_6TensorESH_SH_EERKSH_lbbbEUlllE1_EE10hipError_tPvRmT2_T3_mT4_P12ihipStream_tbEUlmE_lEESB_NS0_8identityIvEEEESM_SP_SQ_mSR_ST_bEUlT_E_NS1_11comp_targetILNS1_3genE8ELNS1_11target_archE1030ELNS1_3gpuE2ELNS1_3repE0EEENS1_30default_config_static_selectorELNS0_4arch9wavefront6targetE1EEEvT1_
                                        ; -- End function
	.section	.AMDGPU.csdata,"",@progbits
; Kernel info:
; codeLenInByte = 0
; NumSgprs: 6
; NumVgprs: 0
; NumAgprs: 0
; TotalNumVgprs: 0
; ScratchSize: 0
; MemoryBound: 0
; FloatMode: 240
; IeeeMode: 1
; LDSByteSize: 0 bytes/workgroup (compile time only)
; SGPRBlocks: 0
; VGPRBlocks: 0
; NumSGPRsForWavesPerEU: 6
; NumVGPRsForWavesPerEU: 1
; AccumOffset: 4
; Occupancy: 8
; WaveLimiterHint : 0
; COMPUTE_PGM_RSRC2:SCRATCH_EN: 0
; COMPUTE_PGM_RSRC2:USER_SGPR: 2
; COMPUTE_PGM_RSRC2:TRAP_HANDLER: 0
; COMPUTE_PGM_RSRC2:TGID_X_EN: 1
; COMPUTE_PGM_RSRC2:TGID_Y_EN: 0
; COMPUTE_PGM_RSRC2:TGID_Z_EN: 0
; COMPUTE_PGM_RSRC2:TIDIG_COMP_CNT: 0
; COMPUTE_PGM_RSRC3_GFX90A:ACCUM_OFFSET: 0
; COMPUTE_PGM_RSRC3_GFX90A:TG_SPLIT: 0
	.section	.text._ZN7rocprim17ROCPRIM_400000_NS6detail17trampoline_kernelINS0_14default_configENS1_35adjacent_difference_config_selectorILb1ElEEZNS1_24adjacent_difference_implIS3_Lb1ELb0EPlS7_ZN2at6native12_GLOBAL__N_124unique_dim_cuda_templateIiEESt5tupleIJNS8_6TensorESD_SD_EERKSD_lbbbEUlllE1_EE10hipError_tPvRmT2_T3_mT4_P12ihipStream_tbEUlT_E_NS1_11comp_targetILNS1_3genE0ELNS1_11target_archE4294967295ELNS1_3gpuE0ELNS1_3repE0EEENS1_30default_config_static_selectorELNS0_4arch9wavefront6targetE1EEEvT1_,"axG",@progbits,_ZN7rocprim17ROCPRIM_400000_NS6detail17trampoline_kernelINS0_14default_configENS1_35adjacent_difference_config_selectorILb1ElEEZNS1_24adjacent_difference_implIS3_Lb1ELb0EPlS7_ZN2at6native12_GLOBAL__N_124unique_dim_cuda_templateIiEESt5tupleIJNS8_6TensorESD_SD_EERKSD_lbbbEUlllE1_EE10hipError_tPvRmT2_T3_mT4_P12ihipStream_tbEUlT_E_NS1_11comp_targetILNS1_3genE0ELNS1_11target_archE4294967295ELNS1_3gpuE0ELNS1_3repE0EEENS1_30default_config_static_selectorELNS0_4arch9wavefront6targetE1EEEvT1_,comdat
	.globl	_ZN7rocprim17ROCPRIM_400000_NS6detail17trampoline_kernelINS0_14default_configENS1_35adjacent_difference_config_selectorILb1ElEEZNS1_24adjacent_difference_implIS3_Lb1ELb0EPlS7_ZN2at6native12_GLOBAL__N_124unique_dim_cuda_templateIiEESt5tupleIJNS8_6TensorESD_SD_EERKSD_lbbbEUlllE1_EE10hipError_tPvRmT2_T3_mT4_P12ihipStream_tbEUlT_E_NS1_11comp_targetILNS1_3genE0ELNS1_11target_archE4294967295ELNS1_3gpuE0ELNS1_3repE0EEENS1_30default_config_static_selectorELNS0_4arch9wavefront6targetE1EEEvT1_ ; -- Begin function _ZN7rocprim17ROCPRIM_400000_NS6detail17trampoline_kernelINS0_14default_configENS1_35adjacent_difference_config_selectorILb1ElEEZNS1_24adjacent_difference_implIS3_Lb1ELb0EPlS7_ZN2at6native12_GLOBAL__N_124unique_dim_cuda_templateIiEESt5tupleIJNS8_6TensorESD_SD_EERKSD_lbbbEUlllE1_EE10hipError_tPvRmT2_T3_mT4_P12ihipStream_tbEUlT_E_NS1_11comp_targetILNS1_3genE0ELNS1_11target_archE4294967295ELNS1_3gpuE0ELNS1_3repE0EEENS1_30default_config_static_selectorELNS0_4arch9wavefront6targetE1EEEvT1_
	.p2align	8
	.type	_ZN7rocprim17ROCPRIM_400000_NS6detail17trampoline_kernelINS0_14default_configENS1_35adjacent_difference_config_selectorILb1ElEEZNS1_24adjacent_difference_implIS3_Lb1ELb0EPlS7_ZN2at6native12_GLOBAL__N_124unique_dim_cuda_templateIiEESt5tupleIJNS8_6TensorESD_SD_EERKSD_lbbbEUlllE1_EE10hipError_tPvRmT2_T3_mT4_P12ihipStream_tbEUlT_E_NS1_11comp_targetILNS1_3genE0ELNS1_11target_archE4294967295ELNS1_3gpuE0ELNS1_3repE0EEENS1_30default_config_static_selectorELNS0_4arch9wavefront6targetE1EEEvT1_,@function
_ZN7rocprim17ROCPRIM_400000_NS6detail17trampoline_kernelINS0_14default_configENS1_35adjacent_difference_config_selectorILb1ElEEZNS1_24adjacent_difference_implIS3_Lb1ELb0EPlS7_ZN2at6native12_GLOBAL__N_124unique_dim_cuda_templateIiEESt5tupleIJNS8_6TensorESD_SD_EERKSD_lbbbEUlllE1_EE10hipError_tPvRmT2_T3_mT4_P12ihipStream_tbEUlT_E_NS1_11comp_targetILNS1_3genE0ELNS1_11target_archE4294967295ELNS1_3gpuE0ELNS1_3repE0EEENS1_30default_config_static_selectorELNS0_4arch9wavefront6targetE1EEEvT1_: ; @_ZN7rocprim17ROCPRIM_400000_NS6detail17trampoline_kernelINS0_14default_configENS1_35adjacent_difference_config_selectorILb1ElEEZNS1_24adjacent_difference_implIS3_Lb1ELb0EPlS7_ZN2at6native12_GLOBAL__N_124unique_dim_cuda_templateIiEESt5tupleIJNS8_6TensorESD_SD_EERKSD_lbbbEUlllE1_EE10hipError_tPvRmT2_T3_mT4_P12ihipStream_tbEUlT_E_NS1_11comp_targetILNS1_3genE0ELNS1_11target_archE4294967295ELNS1_3gpuE0ELNS1_3repE0EEENS1_30default_config_static_selectorELNS0_4arch9wavefront6targetE1EEEvT1_
; %bb.0:
	.section	.rodata,"a",@progbits
	.p2align	6, 0x0
	.amdhsa_kernel _ZN7rocprim17ROCPRIM_400000_NS6detail17trampoline_kernelINS0_14default_configENS1_35adjacent_difference_config_selectorILb1ElEEZNS1_24adjacent_difference_implIS3_Lb1ELb0EPlS7_ZN2at6native12_GLOBAL__N_124unique_dim_cuda_templateIiEESt5tupleIJNS8_6TensorESD_SD_EERKSD_lbbbEUlllE1_EE10hipError_tPvRmT2_T3_mT4_P12ihipStream_tbEUlT_E_NS1_11comp_targetILNS1_3genE0ELNS1_11target_archE4294967295ELNS1_3gpuE0ELNS1_3repE0EEENS1_30default_config_static_selectorELNS0_4arch9wavefront6targetE1EEEvT1_
		.amdhsa_group_segment_fixed_size 0
		.amdhsa_private_segment_fixed_size 0
		.amdhsa_kernarg_size 64
		.amdhsa_user_sgpr_count 2
		.amdhsa_user_sgpr_dispatch_ptr 0
		.amdhsa_user_sgpr_queue_ptr 0
		.amdhsa_user_sgpr_kernarg_segment_ptr 1
		.amdhsa_user_sgpr_dispatch_id 0
		.amdhsa_user_sgpr_kernarg_preload_length 0
		.amdhsa_user_sgpr_kernarg_preload_offset 0
		.amdhsa_user_sgpr_private_segment_size 0
		.amdhsa_uses_dynamic_stack 0
		.amdhsa_enable_private_segment 0
		.amdhsa_system_sgpr_workgroup_id_x 1
		.amdhsa_system_sgpr_workgroup_id_y 0
		.amdhsa_system_sgpr_workgroup_id_z 0
		.amdhsa_system_sgpr_workgroup_info 0
		.amdhsa_system_vgpr_workitem_id 0
		.amdhsa_next_free_vgpr 1
		.amdhsa_next_free_sgpr 0
		.amdhsa_accum_offset 4
		.amdhsa_reserve_vcc 0
		.amdhsa_float_round_mode_32 0
		.amdhsa_float_round_mode_16_64 0
		.amdhsa_float_denorm_mode_32 3
		.amdhsa_float_denorm_mode_16_64 3
		.amdhsa_dx10_clamp 1
		.amdhsa_ieee_mode 1
		.amdhsa_fp16_overflow 0
		.amdhsa_tg_split 0
		.amdhsa_exception_fp_ieee_invalid_op 0
		.amdhsa_exception_fp_denorm_src 0
		.amdhsa_exception_fp_ieee_div_zero 0
		.amdhsa_exception_fp_ieee_overflow 0
		.amdhsa_exception_fp_ieee_underflow 0
		.amdhsa_exception_fp_ieee_inexact 0
		.amdhsa_exception_int_div_zero 0
	.end_amdhsa_kernel
	.section	.text._ZN7rocprim17ROCPRIM_400000_NS6detail17trampoline_kernelINS0_14default_configENS1_35adjacent_difference_config_selectorILb1ElEEZNS1_24adjacent_difference_implIS3_Lb1ELb0EPlS7_ZN2at6native12_GLOBAL__N_124unique_dim_cuda_templateIiEESt5tupleIJNS8_6TensorESD_SD_EERKSD_lbbbEUlllE1_EE10hipError_tPvRmT2_T3_mT4_P12ihipStream_tbEUlT_E_NS1_11comp_targetILNS1_3genE0ELNS1_11target_archE4294967295ELNS1_3gpuE0ELNS1_3repE0EEENS1_30default_config_static_selectorELNS0_4arch9wavefront6targetE1EEEvT1_,"axG",@progbits,_ZN7rocprim17ROCPRIM_400000_NS6detail17trampoline_kernelINS0_14default_configENS1_35adjacent_difference_config_selectorILb1ElEEZNS1_24adjacent_difference_implIS3_Lb1ELb0EPlS7_ZN2at6native12_GLOBAL__N_124unique_dim_cuda_templateIiEESt5tupleIJNS8_6TensorESD_SD_EERKSD_lbbbEUlllE1_EE10hipError_tPvRmT2_T3_mT4_P12ihipStream_tbEUlT_E_NS1_11comp_targetILNS1_3genE0ELNS1_11target_archE4294967295ELNS1_3gpuE0ELNS1_3repE0EEENS1_30default_config_static_selectorELNS0_4arch9wavefront6targetE1EEEvT1_,comdat
.Lfunc_end436:
	.size	_ZN7rocprim17ROCPRIM_400000_NS6detail17trampoline_kernelINS0_14default_configENS1_35adjacent_difference_config_selectorILb1ElEEZNS1_24adjacent_difference_implIS3_Lb1ELb0EPlS7_ZN2at6native12_GLOBAL__N_124unique_dim_cuda_templateIiEESt5tupleIJNS8_6TensorESD_SD_EERKSD_lbbbEUlllE1_EE10hipError_tPvRmT2_T3_mT4_P12ihipStream_tbEUlT_E_NS1_11comp_targetILNS1_3genE0ELNS1_11target_archE4294967295ELNS1_3gpuE0ELNS1_3repE0EEENS1_30default_config_static_selectorELNS0_4arch9wavefront6targetE1EEEvT1_, .Lfunc_end436-_ZN7rocprim17ROCPRIM_400000_NS6detail17trampoline_kernelINS0_14default_configENS1_35adjacent_difference_config_selectorILb1ElEEZNS1_24adjacent_difference_implIS3_Lb1ELb0EPlS7_ZN2at6native12_GLOBAL__N_124unique_dim_cuda_templateIiEESt5tupleIJNS8_6TensorESD_SD_EERKSD_lbbbEUlllE1_EE10hipError_tPvRmT2_T3_mT4_P12ihipStream_tbEUlT_E_NS1_11comp_targetILNS1_3genE0ELNS1_11target_archE4294967295ELNS1_3gpuE0ELNS1_3repE0EEENS1_30default_config_static_selectorELNS0_4arch9wavefront6targetE1EEEvT1_
                                        ; -- End function
	.section	.AMDGPU.csdata,"",@progbits
; Kernel info:
; codeLenInByte = 0
; NumSgprs: 6
; NumVgprs: 0
; NumAgprs: 0
; TotalNumVgprs: 0
; ScratchSize: 0
; MemoryBound: 0
; FloatMode: 240
; IeeeMode: 1
; LDSByteSize: 0 bytes/workgroup (compile time only)
; SGPRBlocks: 0
; VGPRBlocks: 0
; NumSGPRsForWavesPerEU: 6
; NumVGPRsForWavesPerEU: 1
; AccumOffset: 4
; Occupancy: 8
; WaveLimiterHint : 0
; COMPUTE_PGM_RSRC2:SCRATCH_EN: 0
; COMPUTE_PGM_RSRC2:USER_SGPR: 2
; COMPUTE_PGM_RSRC2:TRAP_HANDLER: 0
; COMPUTE_PGM_RSRC2:TGID_X_EN: 1
; COMPUTE_PGM_RSRC2:TGID_Y_EN: 0
; COMPUTE_PGM_RSRC2:TGID_Z_EN: 0
; COMPUTE_PGM_RSRC2:TIDIG_COMP_CNT: 0
; COMPUTE_PGM_RSRC3_GFX90A:ACCUM_OFFSET: 0
; COMPUTE_PGM_RSRC3_GFX90A:TG_SPLIT: 0
	.section	.text._ZN7rocprim17ROCPRIM_400000_NS6detail17trampoline_kernelINS0_14default_configENS1_35adjacent_difference_config_selectorILb1ElEEZNS1_24adjacent_difference_implIS3_Lb1ELb0EPlS7_ZN2at6native12_GLOBAL__N_124unique_dim_cuda_templateIiEESt5tupleIJNS8_6TensorESD_SD_EERKSD_lbbbEUlllE1_EE10hipError_tPvRmT2_T3_mT4_P12ihipStream_tbEUlT_E_NS1_11comp_targetILNS1_3genE10ELNS1_11target_archE1201ELNS1_3gpuE5ELNS1_3repE0EEENS1_30default_config_static_selectorELNS0_4arch9wavefront6targetE1EEEvT1_,"axG",@progbits,_ZN7rocprim17ROCPRIM_400000_NS6detail17trampoline_kernelINS0_14default_configENS1_35adjacent_difference_config_selectorILb1ElEEZNS1_24adjacent_difference_implIS3_Lb1ELb0EPlS7_ZN2at6native12_GLOBAL__N_124unique_dim_cuda_templateIiEESt5tupleIJNS8_6TensorESD_SD_EERKSD_lbbbEUlllE1_EE10hipError_tPvRmT2_T3_mT4_P12ihipStream_tbEUlT_E_NS1_11comp_targetILNS1_3genE10ELNS1_11target_archE1201ELNS1_3gpuE5ELNS1_3repE0EEENS1_30default_config_static_selectorELNS0_4arch9wavefront6targetE1EEEvT1_,comdat
	.globl	_ZN7rocprim17ROCPRIM_400000_NS6detail17trampoline_kernelINS0_14default_configENS1_35adjacent_difference_config_selectorILb1ElEEZNS1_24adjacent_difference_implIS3_Lb1ELb0EPlS7_ZN2at6native12_GLOBAL__N_124unique_dim_cuda_templateIiEESt5tupleIJNS8_6TensorESD_SD_EERKSD_lbbbEUlllE1_EE10hipError_tPvRmT2_T3_mT4_P12ihipStream_tbEUlT_E_NS1_11comp_targetILNS1_3genE10ELNS1_11target_archE1201ELNS1_3gpuE5ELNS1_3repE0EEENS1_30default_config_static_selectorELNS0_4arch9wavefront6targetE1EEEvT1_ ; -- Begin function _ZN7rocprim17ROCPRIM_400000_NS6detail17trampoline_kernelINS0_14default_configENS1_35adjacent_difference_config_selectorILb1ElEEZNS1_24adjacent_difference_implIS3_Lb1ELb0EPlS7_ZN2at6native12_GLOBAL__N_124unique_dim_cuda_templateIiEESt5tupleIJNS8_6TensorESD_SD_EERKSD_lbbbEUlllE1_EE10hipError_tPvRmT2_T3_mT4_P12ihipStream_tbEUlT_E_NS1_11comp_targetILNS1_3genE10ELNS1_11target_archE1201ELNS1_3gpuE5ELNS1_3repE0EEENS1_30default_config_static_selectorELNS0_4arch9wavefront6targetE1EEEvT1_
	.p2align	8
	.type	_ZN7rocprim17ROCPRIM_400000_NS6detail17trampoline_kernelINS0_14default_configENS1_35adjacent_difference_config_selectorILb1ElEEZNS1_24adjacent_difference_implIS3_Lb1ELb0EPlS7_ZN2at6native12_GLOBAL__N_124unique_dim_cuda_templateIiEESt5tupleIJNS8_6TensorESD_SD_EERKSD_lbbbEUlllE1_EE10hipError_tPvRmT2_T3_mT4_P12ihipStream_tbEUlT_E_NS1_11comp_targetILNS1_3genE10ELNS1_11target_archE1201ELNS1_3gpuE5ELNS1_3repE0EEENS1_30default_config_static_selectorELNS0_4arch9wavefront6targetE1EEEvT1_,@function
_ZN7rocprim17ROCPRIM_400000_NS6detail17trampoline_kernelINS0_14default_configENS1_35adjacent_difference_config_selectorILb1ElEEZNS1_24adjacent_difference_implIS3_Lb1ELb0EPlS7_ZN2at6native12_GLOBAL__N_124unique_dim_cuda_templateIiEESt5tupleIJNS8_6TensorESD_SD_EERKSD_lbbbEUlllE1_EE10hipError_tPvRmT2_T3_mT4_P12ihipStream_tbEUlT_E_NS1_11comp_targetILNS1_3genE10ELNS1_11target_archE1201ELNS1_3gpuE5ELNS1_3repE0EEENS1_30default_config_static_selectorELNS0_4arch9wavefront6targetE1EEEvT1_: ; @_ZN7rocprim17ROCPRIM_400000_NS6detail17trampoline_kernelINS0_14default_configENS1_35adjacent_difference_config_selectorILb1ElEEZNS1_24adjacent_difference_implIS3_Lb1ELb0EPlS7_ZN2at6native12_GLOBAL__N_124unique_dim_cuda_templateIiEESt5tupleIJNS8_6TensorESD_SD_EERKSD_lbbbEUlllE1_EE10hipError_tPvRmT2_T3_mT4_P12ihipStream_tbEUlT_E_NS1_11comp_targetILNS1_3genE10ELNS1_11target_archE1201ELNS1_3gpuE5ELNS1_3repE0EEENS1_30default_config_static_selectorELNS0_4arch9wavefront6targetE1EEEvT1_
; %bb.0:
	.section	.rodata,"a",@progbits
	.p2align	6, 0x0
	.amdhsa_kernel _ZN7rocprim17ROCPRIM_400000_NS6detail17trampoline_kernelINS0_14default_configENS1_35adjacent_difference_config_selectorILb1ElEEZNS1_24adjacent_difference_implIS3_Lb1ELb0EPlS7_ZN2at6native12_GLOBAL__N_124unique_dim_cuda_templateIiEESt5tupleIJNS8_6TensorESD_SD_EERKSD_lbbbEUlllE1_EE10hipError_tPvRmT2_T3_mT4_P12ihipStream_tbEUlT_E_NS1_11comp_targetILNS1_3genE10ELNS1_11target_archE1201ELNS1_3gpuE5ELNS1_3repE0EEENS1_30default_config_static_selectorELNS0_4arch9wavefront6targetE1EEEvT1_
		.amdhsa_group_segment_fixed_size 0
		.amdhsa_private_segment_fixed_size 0
		.amdhsa_kernarg_size 64
		.amdhsa_user_sgpr_count 2
		.amdhsa_user_sgpr_dispatch_ptr 0
		.amdhsa_user_sgpr_queue_ptr 0
		.amdhsa_user_sgpr_kernarg_segment_ptr 1
		.amdhsa_user_sgpr_dispatch_id 0
		.amdhsa_user_sgpr_kernarg_preload_length 0
		.amdhsa_user_sgpr_kernarg_preload_offset 0
		.amdhsa_user_sgpr_private_segment_size 0
		.amdhsa_uses_dynamic_stack 0
		.amdhsa_enable_private_segment 0
		.amdhsa_system_sgpr_workgroup_id_x 1
		.amdhsa_system_sgpr_workgroup_id_y 0
		.amdhsa_system_sgpr_workgroup_id_z 0
		.amdhsa_system_sgpr_workgroup_info 0
		.amdhsa_system_vgpr_workitem_id 0
		.amdhsa_next_free_vgpr 1
		.amdhsa_next_free_sgpr 0
		.amdhsa_accum_offset 4
		.amdhsa_reserve_vcc 0
		.amdhsa_float_round_mode_32 0
		.amdhsa_float_round_mode_16_64 0
		.amdhsa_float_denorm_mode_32 3
		.amdhsa_float_denorm_mode_16_64 3
		.amdhsa_dx10_clamp 1
		.amdhsa_ieee_mode 1
		.amdhsa_fp16_overflow 0
		.amdhsa_tg_split 0
		.amdhsa_exception_fp_ieee_invalid_op 0
		.amdhsa_exception_fp_denorm_src 0
		.amdhsa_exception_fp_ieee_div_zero 0
		.amdhsa_exception_fp_ieee_overflow 0
		.amdhsa_exception_fp_ieee_underflow 0
		.amdhsa_exception_fp_ieee_inexact 0
		.amdhsa_exception_int_div_zero 0
	.end_amdhsa_kernel
	.section	.text._ZN7rocprim17ROCPRIM_400000_NS6detail17trampoline_kernelINS0_14default_configENS1_35adjacent_difference_config_selectorILb1ElEEZNS1_24adjacent_difference_implIS3_Lb1ELb0EPlS7_ZN2at6native12_GLOBAL__N_124unique_dim_cuda_templateIiEESt5tupleIJNS8_6TensorESD_SD_EERKSD_lbbbEUlllE1_EE10hipError_tPvRmT2_T3_mT4_P12ihipStream_tbEUlT_E_NS1_11comp_targetILNS1_3genE10ELNS1_11target_archE1201ELNS1_3gpuE5ELNS1_3repE0EEENS1_30default_config_static_selectorELNS0_4arch9wavefront6targetE1EEEvT1_,"axG",@progbits,_ZN7rocprim17ROCPRIM_400000_NS6detail17trampoline_kernelINS0_14default_configENS1_35adjacent_difference_config_selectorILb1ElEEZNS1_24adjacent_difference_implIS3_Lb1ELb0EPlS7_ZN2at6native12_GLOBAL__N_124unique_dim_cuda_templateIiEESt5tupleIJNS8_6TensorESD_SD_EERKSD_lbbbEUlllE1_EE10hipError_tPvRmT2_T3_mT4_P12ihipStream_tbEUlT_E_NS1_11comp_targetILNS1_3genE10ELNS1_11target_archE1201ELNS1_3gpuE5ELNS1_3repE0EEENS1_30default_config_static_selectorELNS0_4arch9wavefront6targetE1EEEvT1_,comdat
.Lfunc_end437:
	.size	_ZN7rocprim17ROCPRIM_400000_NS6detail17trampoline_kernelINS0_14default_configENS1_35adjacent_difference_config_selectorILb1ElEEZNS1_24adjacent_difference_implIS3_Lb1ELb0EPlS7_ZN2at6native12_GLOBAL__N_124unique_dim_cuda_templateIiEESt5tupleIJNS8_6TensorESD_SD_EERKSD_lbbbEUlllE1_EE10hipError_tPvRmT2_T3_mT4_P12ihipStream_tbEUlT_E_NS1_11comp_targetILNS1_3genE10ELNS1_11target_archE1201ELNS1_3gpuE5ELNS1_3repE0EEENS1_30default_config_static_selectorELNS0_4arch9wavefront6targetE1EEEvT1_, .Lfunc_end437-_ZN7rocprim17ROCPRIM_400000_NS6detail17trampoline_kernelINS0_14default_configENS1_35adjacent_difference_config_selectorILb1ElEEZNS1_24adjacent_difference_implIS3_Lb1ELb0EPlS7_ZN2at6native12_GLOBAL__N_124unique_dim_cuda_templateIiEESt5tupleIJNS8_6TensorESD_SD_EERKSD_lbbbEUlllE1_EE10hipError_tPvRmT2_T3_mT4_P12ihipStream_tbEUlT_E_NS1_11comp_targetILNS1_3genE10ELNS1_11target_archE1201ELNS1_3gpuE5ELNS1_3repE0EEENS1_30default_config_static_selectorELNS0_4arch9wavefront6targetE1EEEvT1_
                                        ; -- End function
	.section	.AMDGPU.csdata,"",@progbits
; Kernel info:
; codeLenInByte = 0
; NumSgprs: 6
; NumVgprs: 0
; NumAgprs: 0
; TotalNumVgprs: 0
; ScratchSize: 0
; MemoryBound: 0
; FloatMode: 240
; IeeeMode: 1
; LDSByteSize: 0 bytes/workgroup (compile time only)
; SGPRBlocks: 0
; VGPRBlocks: 0
; NumSGPRsForWavesPerEU: 6
; NumVGPRsForWavesPerEU: 1
; AccumOffset: 4
; Occupancy: 8
; WaveLimiterHint : 0
; COMPUTE_PGM_RSRC2:SCRATCH_EN: 0
; COMPUTE_PGM_RSRC2:USER_SGPR: 2
; COMPUTE_PGM_RSRC2:TRAP_HANDLER: 0
; COMPUTE_PGM_RSRC2:TGID_X_EN: 1
; COMPUTE_PGM_RSRC2:TGID_Y_EN: 0
; COMPUTE_PGM_RSRC2:TGID_Z_EN: 0
; COMPUTE_PGM_RSRC2:TIDIG_COMP_CNT: 0
; COMPUTE_PGM_RSRC3_GFX90A:ACCUM_OFFSET: 0
; COMPUTE_PGM_RSRC3_GFX90A:TG_SPLIT: 0
	.section	.text._ZN7rocprim17ROCPRIM_400000_NS6detail17trampoline_kernelINS0_14default_configENS1_35adjacent_difference_config_selectorILb1ElEEZNS1_24adjacent_difference_implIS3_Lb1ELb0EPlS7_ZN2at6native12_GLOBAL__N_124unique_dim_cuda_templateIiEESt5tupleIJNS8_6TensorESD_SD_EERKSD_lbbbEUlllE1_EE10hipError_tPvRmT2_T3_mT4_P12ihipStream_tbEUlT_E_NS1_11comp_targetILNS1_3genE5ELNS1_11target_archE942ELNS1_3gpuE9ELNS1_3repE0EEENS1_30default_config_static_selectorELNS0_4arch9wavefront6targetE1EEEvT1_,"axG",@progbits,_ZN7rocprim17ROCPRIM_400000_NS6detail17trampoline_kernelINS0_14default_configENS1_35adjacent_difference_config_selectorILb1ElEEZNS1_24adjacent_difference_implIS3_Lb1ELb0EPlS7_ZN2at6native12_GLOBAL__N_124unique_dim_cuda_templateIiEESt5tupleIJNS8_6TensorESD_SD_EERKSD_lbbbEUlllE1_EE10hipError_tPvRmT2_T3_mT4_P12ihipStream_tbEUlT_E_NS1_11comp_targetILNS1_3genE5ELNS1_11target_archE942ELNS1_3gpuE9ELNS1_3repE0EEENS1_30default_config_static_selectorELNS0_4arch9wavefront6targetE1EEEvT1_,comdat
	.globl	_ZN7rocprim17ROCPRIM_400000_NS6detail17trampoline_kernelINS0_14default_configENS1_35adjacent_difference_config_selectorILb1ElEEZNS1_24adjacent_difference_implIS3_Lb1ELb0EPlS7_ZN2at6native12_GLOBAL__N_124unique_dim_cuda_templateIiEESt5tupleIJNS8_6TensorESD_SD_EERKSD_lbbbEUlllE1_EE10hipError_tPvRmT2_T3_mT4_P12ihipStream_tbEUlT_E_NS1_11comp_targetILNS1_3genE5ELNS1_11target_archE942ELNS1_3gpuE9ELNS1_3repE0EEENS1_30default_config_static_selectorELNS0_4arch9wavefront6targetE1EEEvT1_ ; -- Begin function _ZN7rocprim17ROCPRIM_400000_NS6detail17trampoline_kernelINS0_14default_configENS1_35adjacent_difference_config_selectorILb1ElEEZNS1_24adjacent_difference_implIS3_Lb1ELb0EPlS7_ZN2at6native12_GLOBAL__N_124unique_dim_cuda_templateIiEESt5tupleIJNS8_6TensorESD_SD_EERKSD_lbbbEUlllE1_EE10hipError_tPvRmT2_T3_mT4_P12ihipStream_tbEUlT_E_NS1_11comp_targetILNS1_3genE5ELNS1_11target_archE942ELNS1_3gpuE9ELNS1_3repE0EEENS1_30default_config_static_selectorELNS0_4arch9wavefront6targetE1EEEvT1_
	.p2align	8
	.type	_ZN7rocprim17ROCPRIM_400000_NS6detail17trampoline_kernelINS0_14default_configENS1_35adjacent_difference_config_selectorILb1ElEEZNS1_24adjacent_difference_implIS3_Lb1ELb0EPlS7_ZN2at6native12_GLOBAL__N_124unique_dim_cuda_templateIiEESt5tupleIJNS8_6TensorESD_SD_EERKSD_lbbbEUlllE1_EE10hipError_tPvRmT2_T3_mT4_P12ihipStream_tbEUlT_E_NS1_11comp_targetILNS1_3genE5ELNS1_11target_archE942ELNS1_3gpuE9ELNS1_3repE0EEENS1_30default_config_static_selectorELNS0_4arch9wavefront6targetE1EEEvT1_,@function
_ZN7rocprim17ROCPRIM_400000_NS6detail17trampoline_kernelINS0_14default_configENS1_35adjacent_difference_config_selectorILb1ElEEZNS1_24adjacent_difference_implIS3_Lb1ELb0EPlS7_ZN2at6native12_GLOBAL__N_124unique_dim_cuda_templateIiEESt5tupleIJNS8_6TensorESD_SD_EERKSD_lbbbEUlllE1_EE10hipError_tPvRmT2_T3_mT4_P12ihipStream_tbEUlT_E_NS1_11comp_targetILNS1_3genE5ELNS1_11target_archE942ELNS1_3gpuE9ELNS1_3repE0EEENS1_30default_config_static_selectorELNS0_4arch9wavefront6targetE1EEEvT1_: ; @_ZN7rocprim17ROCPRIM_400000_NS6detail17trampoline_kernelINS0_14default_configENS1_35adjacent_difference_config_selectorILb1ElEEZNS1_24adjacent_difference_implIS3_Lb1ELb0EPlS7_ZN2at6native12_GLOBAL__N_124unique_dim_cuda_templateIiEESt5tupleIJNS8_6TensorESD_SD_EERKSD_lbbbEUlllE1_EE10hipError_tPvRmT2_T3_mT4_P12ihipStream_tbEUlT_E_NS1_11comp_targetILNS1_3genE5ELNS1_11target_archE942ELNS1_3gpuE9ELNS1_3repE0EEENS1_30default_config_static_selectorELNS0_4arch9wavefront6targetE1EEEvT1_
; %bb.0:
	s_load_dwordx16 s[4:19], s[0:1], 0x0
	s_mov_b32 s1, 0x545d15a0
	v_bfrev_b32_e32 v1, 4
	s_movk_i32 s0, 0xb00
	s_mul_i32 s20, s2, 0xb00
	s_waitcnt lgkmcnt(0)
	s_lshl_b64 s[6:7], s[6:7], 3
	s_add_u32 s30, s4, s6
	s_addc_u32 s31, s5, s7
	s_add_u32 s1, 0x74, s1
	s_addc_u32 s4, 0, 0
	v_add_co_u32_e32 v1, vcc, s1, v1
	s_cmp_lg_u64 vcc, 0
	v_readfirstlane_b32 s5, v1
	s_addc_u32 s1, s4, 0x1745d1
	s_mul_hi_u32 s21, s5, 0xfffff500
	s_mul_i32 s4, s1, 0xfffff500
	s_sub_i32 s21, s21, s5
	s_add_i32 s21, s21, s4
	s_mul_i32 s23, s5, 0xfffff500
	s_mul_hi_u32 s4, s5, s21
	s_mul_i32 s22, s5, s21
	s_mul_hi_u32 s5, s5, s23
	s_add_u32 s5, s5, s22
	s_addc_u32 s4, 0, s4
	s_mul_hi_u32 s24, s1, s23
	s_mul_i32 s23, s1, s23
	s_add_u32 s5, s5, s23
	s_mul_hi_u32 s22, s1, s21
	s_addc_u32 s4, s4, s24
	s_addc_u32 s5, s22, 0
	s_mul_i32 s21, s1, s21
	s_add_u32 s4, s4, s21
	s_addc_u32 s5, 0, s5
	v_add_co_u32_e32 v1, vcc, s4, v1
	s_cmp_lg_u64 vcc, 0
	s_addc_u32 s1, s1, s5
	v_readfirstlane_b32 s21, v1
	s_mul_i32 s5, s10, s1
	s_mul_hi_u32 s22, s10, s21
	s_mul_hi_u32 s4, s10, s1
	s_add_u32 s5, s22, s5
	s_addc_u32 s4, 0, s4
	s_mul_hi_u32 s23, s11, s21
	s_mul_i32 s21, s11, s21
	s_add_u32 s5, s5, s21
	s_mul_hi_u32 s22, s11, s1
	s_addc_u32 s4, s4, s23
	s_addc_u32 s5, s22, 0
	s_mul_i32 s1, s11, s1
	s_add_u32 s1, s4, s1
	s_addc_u32 s4, 0, s5
	s_add_u32 s5, s1, 1
	s_addc_u32 s21, s4, 0
	s_add_u32 s22, s1, 2
	s_mul_i32 s24, s4, 0xb00
	s_mul_hi_u32 s25, s1, 0xb00
	s_addc_u32 s23, s4, 0
	s_add_i32 s25, s25, s24
	s_mul_i32 s24, s1, 0xb00
	v_mov_b32_e32 v1, s24
	v_sub_co_u32_e32 v1, vcc, s10, v1
	s_cmp_lg_u64 vcc, 0
	s_subb_u32 s24, s11, s25
	v_subrev_co_u32_e32 v2, vcc, s0, v1
	s_cmp_lg_u64 vcc, 0
	s_subb_u32 s0, s24, 0
	v_readfirstlane_b32 s25, v2
	s_cmpk_gt_u32 s25, 0xaff
	s_cselect_b32 s25, -1, 0
	s_cmp_eq_u32 s0, 0
	s_cselect_b32 s0, s25, -1
	s_cmp_lg_u32 s0, 0
	s_cselect_b32 s0, s22, s5
	s_cselect_b32 s5, s23, s21
	v_readfirstlane_b32 s21, v1
	s_cmpk_gt_u32 s21, 0xaff
	s_cselect_b32 s21, -1, 0
	s_cmp_eq_u32 s24, 0
	s_cselect_b32 s21, s21, -1
	s_cmp_lg_u32 s21, 0
	s_cselect_b32 s5, s5, s4
	s_cselect_b32 s4, s0, s1
	s_mul_i32 s0, s5, 0xb00
	s_mul_hi_u32 s1, s4, 0xb00
	s_add_i32 s1, s1, s0
	s_mul_i32 s0, s4, 0xb00
	s_sub_u32 s0, s10, s0
	s_subb_u32 s1, s11, s1
	s_cmp_lg_u64 s[0:1], 0
	s_cselect_b64 s[0:1], -1, 0
	v_cndmask_b32_e64 v1, 0, 1, s[0:1]
	s_mov_b32 s3, 0
	v_readfirstlane_b32 s0, v1
	s_add_u32 s4, s4, s0
	s_addc_u32 s5, s5, 0
	s_add_u32 s24, s18, s2
	s_addc_u32 s25, s19, 0
	s_add_u32 s26, s4, -1
	s_addc_u32 s27, s5, -1
	v_mov_b64_e32 v[2:3], s[26:27]
	v_cmp_ge_u64_e64 s[0:1], s[24:25], v[2:3]
	s_mov_b64 s[22:23], -1
	s_and_b64 vcc, exec, s[0:1]
	s_mul_i32 s11, s26, 0xfffff500
	s_cbranch_vccz .LBB438_24
; %bb.1:
	s_mov_b32 s21, s3
	s_add_i32 s33, s11, s10
	s_lshl_b64 s[22:23], s[20:21], 3
	s_add_u32 s22, s30, s22
	s_addc_u32 s23, s31, s23
	v_cmp_gt_u32_e32 vcc, s33, v0
                                        ; implicit-def: $vgpr2_vgpr3_vgpr4_vgpr5_vgpr6_vgpr7_vgpr8_vgpr9_vgpr10_vgpr11_vgpr12_vgpr13_vgpr14_vgpr15_vgpr16_vgpr17_vgpr18_vgpr19_vgpr20_vgpr21_vgpr22_vgpr23_vgpr24_vgpr25_vgpr26_vgpr27_vgpr28_vgpr29_vgpr30_vgpr31_vgpr32_vgpr33
	s_and_saveexec_b64 s[28:29], vcc
	s_cbranch_execz .LBB438_3
; %bb.2:
	v_lshlrev_b32_e32 v1, 3, v0
	global_load_dwordx2 v[2:3], v1, s[22:23]
.LBB438_3:
	s_or_b64 exec, exec, s[28:29]
	v_or_b32_e32 v1, 0x100, v0
	v_cmp_gt_u32_e32 vcc, s33, v1
	s_and_saveexec_b64 s[28:29], vcc
	s_cbranch_execz .LBB438_5
; %bb.4:
	v_lshlrev_b32_e32 v1, 3, v0
	global_load_dwordx2 v[4:5], v1, s[22:23] offset:2048
.LBB438_5:
	s_or_b64 exec, exec, s[28:29]
	v_or_b32_e32 v1, 0x200, v0
	v_cmp_gt_u32_e32 vcc, s33, v1
	s_and_saveexec_b64 s[28:29], vcc
	s_cbranch_execz .LBB438_7
; %bb.6:
	v_lshlrev_b32_e32 v1, 3, v1
	global_load_dwordx2 v[6:7], v1, s[22:23]
.LBB438_7:
	s_or_b64 exec, exec, s[28:29]
	v_or_b32_e32 v1, 0x300, v0
	v_cmp_gt_u32_e32 vcc, s33, v1
	s_and_saveexec_b64 s[28:29], vcc
	s_cbranch_execz .LBB438_9
; %bb.8:
	v_lshlrev_b32_e32 v1, 3, v1
	global_load_dwordx2 v[8:9], v1, s[22:23]
.LBB438_9:
	s_or_b64 exec, exec, s[28:29]
	v_or_b32_e32 v1, 0x400, v0
	v_cmp_gt_u32_e32 vcc, s33, v1
	s_and_saveexec_b64 s[28:29], vcc
	s_cbranch_execz .LBB438_11
; %bb.10:
	v_lshlrev_b32_e32 v1, 3, v1
	global_load_dwordx2 v[10:11], v1, s[22:23]
.LBB438_11:
	s_or_b64 exec, exec, s[28:29]
	v_or_b32_e32 v1, 0x500, v0
	v_cmp_gt_u32_e32 vcc, s33, v1
	s_and_saveexec_b64 s[28:29], vcc
	s_cbranch_execz .LBB438_13
; %bb.12:
	v_lshlrev_b32_e32 v1, 3, v1
	global_load_dwordx2 v[12:13], v1, s[22:23]
.LBB438_13:
	s_or_b64 exec, exec, s[28:29]
	v_or_b32_e32 v1, 0x600, v0
	v_cmp_gt_u32_e32 vcc, s33, v1
	s_and_saveexec_b64 s[28:29], vcc
	s_cbranch_execz .LBB438_15
; %bb.14:
	v_lshlrev_b32_e32 v1, 3, v1
	global_load_dwordx2 v[14:15], v1, s[22:23]
.LBB438_15:
	s_or_b64 exec, exec, s[28:29]
	v_or_b32_e32 v1, 0x700, v0
	v_cmp_gt_u32_e32 vcc, s33, v1
	s_and_saveexec_b64 s[28:29], vcc
	s_cbranch_execz .LBB438_17
; %bb.16:
	v_lshlrev_b32_e32 v1, 3, v1
	global_load_dwordx2 v[16:17], v1, s[22:23]
.LBB438_17:
	s_or_b64 exec, exec, s[28:29]
	v_or_b32_e32 v1, 0x800, v0
	v_cmp_gt_u32_e32 vcc, s33, v1
	s_and_saveexec_b64 s[28:29], vcc
	s_cbranch_execz .LBB438_19
; %bb.18:
	v_lshlrev_b32_e32 v1, 3, v1
	global_load_dwordx2 v[18:19], v1, s[22:23]
.LBB438_19:
	s_or_b64 exec, exec, s[28:29]
	v_or_b32_e32 v1, 0x900, v0
	v_cmp_gt_u32_e32 vcc, s33, v1
	s_and_saveexec_b64 s[28:29], vcc
	s_cbranch_execz .LBB438_21
; %bb.20:
	v_lshlrev_b32_e32 v1, 3, v1
	global_load_dwordx2 v[20:21], v1, s[22:23]
.LBB438_21:
	s_or_b64 exec, exec, s[28:29]
	v_or_b32_e32 v1, 0xa00, v0
	v_cmp_gt_u32_e32 vcc, s33, v1
	s_and_saveexec_b64 s[28:29], vcc
	s_cbranch_execz .LBB438_23
; %bb.22:
	v_lshlrev_b32_e32 v1, 3, v1
	global_load_dwordx2 v[22:23], v1, s[22:23]
.LBB438_23:
	s_or_b64 exec, exec, s[28:29]
	v_lshlrev_b32_e32 v1, 3, v0
	s_mov_b64 s[22:23], 0
	s_waitcnt vmcnt(0)
	ds_write2st64_b64 v1, v[2:3], v[4:5] offset1:4
	ds_write2st64_b64 v1, v[6:7], v[8:9] offset0:8 offset1:12
	ds_write2st64_b64 v1, v[10:11], v[12:13] offset0:16 offset1:20
	;; [unrolled: 1-line block ×4, first 2 shown]
	ds_write_b64 v1, v[22:23] offset:20480
	s_waitcnt lgkmcnt(0)
	s_barrier
.LBB438_24:
	s_and_b64 vcc, exec, s[22:23]
	v_lshlrev_b32_e32 v40, 3, v0
	s_cbranch_vccz .LBB438_26
; %bb.25:
	s_mov_b32 s21, 0
	s_lshl_b64 s[22:23], s[20:21], 3
	s_add_u32 s22, s30, s22
	s_addc_u32 s23, s31, s23
	v_mov_b32_e32 v41, 0
	v_lshl_add_u64 v[2:3], s[22:23], 0, v[40:41]
	v_add_co_u32_e32 v8, vcc, 0x1000, v2
	global_load_dwordx2 v[4:5], v40, s[22:23]
	global_load_dwordx2 v[6:7], v40, s[22:23] offset:2048
	v_addc_co_u32_e32 v9, vcc, 0, v3, vcc
	v_add_co_u32_e32 v10, vcc, 0x2000, v2
	s_nop 1
	v_addc_co_u32_e32 v11, vcc, 0, v3, vcc
	global_load_dwordx2 v[12:13], v[8:9], off
	global_load_dwordx2 v[14:15], v[8:9], off offset:2048
	global_load_dwordx2 v[16:17], v[10:11], off
	global_load_dwordx2 v[18:19], v[10:11], off offset:2048
	v_add_co_u32_e32 v8, vcc, 0x3000, v2
	s_nop 1
	v_addc_co_u32_e32 v9, vcc, 0, v3, vcc
	v_add_co_u32_e32 v10, vcc, 0x4000, v2
	s_nop 1
	v_addc_co_u32_e32 v11, vcc, 0, v3, vcc
	global_load_dwordx2 v[20:21], v[8:9], off
	global_load_dwordx2 v[22:23], v[8:9], off offset:2048
	global_load_dwordx2 v[24:25], v[10:11], off
	global_load_dwordx2 v[26:27], v[10:11], off offset:2048
	v_add_co_u32_e32 v2, vcc, 0x5000, v2
	s_nop 1
	v_addc_co_u32_e32 v3, vcc, 0, v3, vcc
	global_load_dwordx2 v[2:3], v[2:3], off
	s_waitcnt vmcnt(9)
	ds_write2st64_b64 v40, v[4:5], v[6:7] offset1:4
	s_waitcnt vmcnt(7)
	ds_write2st64_b64 v40, v[12:13], v[14:15] offset0:8 offset1:12
	s_waitcnt vmcnt(5)
	ds_write2st64_b64 v40, v[16:17], v[18:19] offset0:16 offset1:20
	;; [unrolled: 2-line block ×4, first 2 shown]
	s_waitcnt vmcnt(0)
	ds_write_b64 v40, v[2:3] offset:20480
	s_waitcnt lgkmcnt(0)
	s_barrier
.LBB438_26:
	v_mul_u32_u24_e32 v1, 11, v0
	v_lshlrev_b32_e32 v1, 3, v1
	ds_read2_b64 v[2:5], v1 offset1:1
	ds_read2_b64 v[6:9], v1 offset0:2 offset1:3
	ds_read2_b64 v[10:13], v1 offset0:4 offset1:5
	;; [unrolled: 1-line block ×4, first 2 shown]
	ds_read_b64 v[36:37], v1 offset:80
	s_cmp_eq_u64 s[24:25], 0
	s_mov_b64 s[22:23], 0
	s_waitcnt lgkmcnt(0)
	s_barrier
	s_cbranch_scc1 .LBB438_35
; %bb.27:
	s_lshl_b64 s[18:19], s[18:19], 3
	s_add_u32 s16, s16, s18
	s_addc_u32 s17, s17, s19
	s_lshl_b64 s[2:3], s[2:3], 3
	s_add_u32 s2, s16, s2
	s_addc_u32 s3, s17, s3
	s_add_u32 s2, s2, -8
	s_addc_u32 s3, s3, -1
	s_load_dwordx2 s[16:17], s[2:3], 0x0
	s_cmp_lg_u64 s[24:25], s[26:27]
	s_cbranch_scc0 .LBB438_36
; %bb.28:
	v_mul_lo_u32 v1, v21, s12
	v_mul_lo_u32 v24, v20, s13
	v_mad_u64_u32 v[22:23], s[22:23], v20, s12, 0
	v_mov_b64_e32 v[38:39], 0
	v_cmp_lt_i64_e64 s[2:3], s[12:13], 1
	v_add3_u32 v23, v23, v24, v1
	v_cmp_gt_i64_e64 s[18:19], s[12:13], 0
	s_and_b64 vcc, exec, s[2:3]
	v_lshl_add_u64 v[22:23], v[22:23], 2, s[14:15]
	v_mov_b64_e32 v[42:43], v[38:39]
	ds_write_b64 v40, v[36:37]
	s_cbranch_vccnz .LBB438_40
; %bb.29:
	v_mul_lo_u32 v1, v37, s12
	v_mul_lo_u32 v26, v36, s13
	v_mad_u64_u32 v[24:25], s[2:3], v36, s12, 0
	v_add3_u32 v25, v25, v26, v1
	v_lshl_add_u64 v[26:27], v[24:25], 2, s[14:15]
	global_load_dword v1, v[26:27], off
	global_load_dword v24, v[22:23], off
	v_mov_b64_e32 v[42:43], 1
	s_waitcnt vmcnt(0)
	v_cmp_eq_u32_e32 vcc, v1, v24
	s_and_saveexec_b64 s[2:3], vcc
	s_cbranch_execz .LBB438_39
; %bb.30:
	s_add_u32 s22, s12, -1
	v_lshl_add_u64 v[24:25], v[22:23], 0, 4
	v_lshl_add_u64 v[26:27], v[26:27], 0, 4
	s_addc_u32 s23, s13, -1
	s_mov_b64 s[26:27], 0
	s_mov_b64 s[30:31], 0
                                        ; implicit-def: $sgpr28_sgpr29
	s_branch .LBB438_33
.LBB438_31:                             ;   in Loop: Header=BB438_33 Depth=1
	global_load_dword v1, v[26:27], off
	global_load_dword v28, v[24:25], off
	s_add_u32 s30, s30, 1
	s_addc_u32 s31, s31, 0
	s_andn2_b64 s[28:29], s[28:29], exec
	v_lshl_add_u64 v[24:25], v[24:25], 0, 4
	v_lshl_add_u64 v[26:27], v[26:27], 0, 4
	s_waitcnt vmcnt(0)
	v_cmp_ne_u32_e32 vcc, v1, v28
	s_and_b64 s[34:35], vcc, exec
	s_or_b64 s[28:29], s[28:29], s[34:35]
.LBB438_32:                             ;   in Loop: Header=BB438_33 Depth=1
	s_and_b64 s[34:35], exec, s[28:29]
	s_or_b64 s[26:27], s[34:35], s[26:27]
	v_mov_b64_e32 v[28:29], s[30:31]
	s_andn2_b64 exec, exec, s[26:27]
	s_cbranch_execz .LBB438_38
.LBB438_33:                             ; =>This Inner Loop Header: Depth=1
	s_or_b64 s[28:29], s[28:29], exec
	s_cmp_eq_u64 s[22:23], s[30:31]
	s_cbranch_scc0 .LBB438_31
; %bb.34:                               ;   in Loop: Header=BB438_33 Depth=1
                                        ; implicit-def: $vgpr24_vgpr25
                                        ; implicit-def: $vgpr26_vgpr27
	s_mov_b64 s[30:31], s[12:13]
	s_branch .LBB438_32
.LBB438_35:
                                        ; implicit-def: $vgpr22_vgpr23_vgpr24_vgpr25
                                        ; implicit-def: $sgpr18_sgpr19
                                        ; implicit-def: $vgpr42_vgpr43
                                        ; implicit-def: $vgpr44_vgpr45
                                        ; implicit-def: $vgpr38_vgpr39
                                        ; implicit-def: $vgpr58_vgpr59
                                        ; implicit-def: $vgpr56_vgpr57
                                        ; implicit-def: $vgpr54_vgpr55
                                        ; implicit-def: $vgpr52_vgpr53
                                        ; implicit-def: $vgpr50_vgpr51
                                        ; implicit-def: $vgpr48_vgpr49
                                        ; implicit-def: $vgpr46_vgpr47
                                        ; implicit-def: $vgpr60_vgpr61
                                        ; implicit-def: $vgpr68_vgpr69
                                        ; implicit-def: $vgpr62_vgpr63
                                        ; implicit-def: $vgpr64_vgpr65
                                        ; implicit-def: $vgpr66_vgpr67
                                        ; implicit-def: $vgpr24_vgpr25_vgpr26_vgpr27
                                        ; implicit-def: $vgpr28_vgpr29_vgpr30_vgpr31
                                        ; implicit-def: $vgpr32_vgpr33_vgpr34_vgpr35
	s_cbranch_execnz .LBB438_259
	s_branch .LBB438_488
.LBB438_36:
                                        ; implicit-def: $sgpr18_sgpr19
                                        ; implicit-def: $vgpr42_vgpr43
                                        ; implicit-def: $vgpr44_vgpr45
                                        ; implicit-def: $vgpr38_vgpr39
                                        ; implicit-def: $vgpr58_vgpr59
                                        ; implicit-def: $vgpr56_vgpr57
                                        ; implicit-def: $vgpr54_vgpr55
                                        ; implicit-def: $vgpr52_vgpr53
                                        ; implicit-def: $vgpr50_vgpr51
                                        ; implicit-def: $vgpr48_vgpr49
                                        ; implicit-def: $vgpr46_vgpr47
	s_cbranch_execnz .LBB438_134
.LBB438_37:
                                        ; implicit-def: $vgpr22_vgpr23_vgpr24_vgpr25
                                        ; implicit-def: $vgpr60_vgpr61
                                        ; implicit-def: $vgpr68_vgpr69
                                        ; implicit-def: $vgpr62_vgpr63
                                        ; implicit-def: $vgpr64_vgpr65
                                        ; implicit-def: $vgpr66_vgpr67
                                        ; implicit-def: $vgpr28_vgpr29_vgpr30_vgpr31
                                        ; implicit-def: $vgpr32_vgpr33_vgpr34_vgpr35
                                        ; implicit-def: $vgpr24_vgpr25_vgpr26_vgpr27
	s_branch .LBB438_488
.LBB438_38:
	s_or_b64 exec, exec, s[26:27]
	v_cmp_gt_i64_e32 vcc, s[12:13], v[28:29]
	s_mov_b32 s21, 0
	v_mov_b32_e32 v43, s21
	v_cndmask_b32_e64 v42, 0, 1, vcc
.LBB438_39:
	s_or_b64 exec, exec, s[2:3]
.LBB438_40:
	v_mul_lo_u32 v1, v19, s12
	v_mul_lo_u32 v26, v18, s13
	v_mad_u64_u32 v[24:25], s[2:3], v18, s12, 0
	v_add3_u32 v25, v25, v26, v1
	v_cndmask_b32_e64 v1, 0, 1, s[18:19]
	v_cmp_ne_u32_e64 s[2:3], 1, v1
	s_andn2_b64 vcc, exec, s[18:19]
	v_lshl_add_u64 v[24:25], v[24:25], 2, s[14:15]
	v_mov_b64_e32 v[44:45], v[38:39]
	s_cbranch_vccnz .LBB438_49
; %bb.41:
	global_load_dword v1, v[22:23], off
	global_load_dword v26, v[24:25], off
	v_mov_b64_e32 v[44:45], 1
	s_waitcnt vmcnt(0)
	v_cmp_eq_u32_e32 vcc, v1, v26
	s_and_saveexec_b64 s[18:19], vcc
	s_cbranch_execz .LBB438_48
; %bb.42:
	s_add_u32 s22, s12, -1
	v_lshl_add_u64 v[26:27], v[24:25], 0, 4
	v_lshl_add_u64 v[22:23], v[22:23], 0, 4
	s_addc_u32 s23, s13, -1
	s_mov_b64 s[26:27], 0
	s_mov_b64 s[30:31], 0
                                        ; implicit-def: $sgpr28_sgpr29
	s_branch .LBB438_45
.LBB438_43:                             ;   in Loop: Header=BB438_45 Depth=1
	global_load_dword v1, v[22:23], off
	global_load_dword v28, v[26:27], off
	s_add_u32 s30, s30, 1
	s_addc_u32 s31, s31, 0
	s_andn2_b64 s[28:29], s[28:29], exec
	v_lshl_add_u64 v[26:27], v[26:27], 0, 4
	v_lshl_add_u64 v[22:23], v[22:23], 0, 4
	s_waitcnt vmcnt(0)
	v_cmp_ne_u32_e32 vcc, v1, v28
	s_and_b64 s[34:35], vcc, exec
	s_or_b64 s[28:29], s[28:29], s[34:35]
.LBB438_44:                             ;   in Loop: Header=BB438_45 Depth=1
	s_and_b64 s[34:35], exec, s[28:29]
	s_or_b64 s[26:27], s[34:35], s[26:27]
	v_mov_b64_e32 v[28:29], s[30:31]
	s_andn2_b64 exec, exec, s[26:27]
	s_cbranch_execz .LBB438_47
.LBB438_45:                             ; =>This Inner Loop Header: Depth=1
	s_or_b64 s[28:29], s[28:29], exec
	s_cmp_eq_u64 s[22:23], s[30:31]
	s_cbranch_scc0 .LBB438_43
; %bb.46:                               ;   in Loop: Header=BB438_45 Depth=1
                                        ; implicit-def: $vgpr26_vgpr27
                                        ; implicit-def: $vgpr22_vgpr23
	s_mov_b64 s[30:31], s[12:13]
	s_branch .LBB438_44
.LBB438_47:
	s_or_b64 exec, exec, s[26:27]
	v_cmp_gt_i64_e32 vcc, s[12:13], v[28:29]
	s_mov_b32 s21, 0
	v_mov_b32_e32 v45, s21
	v_cndmask_b32_e64 v44, 0, 1, vcc
.LBB438_48:
	s_or_b64 exec, exec, s[18:19]
.LBB438_49:
	v_mul_lo_u32 v1, v17, s12
	v_mul_lo_u32 v26, v16, s13
	v_mad_u64_u32 v[22:23], s[18:19], v16, s12, 0
	v_add3_u32 v23, v23, v26, v1
	s_and_b64 vcc, exec, s[2:3]
	v_lshl_add_u64 v[22:23], v[22:23], 2, s[14:15]
	s_cbranch_vccnz .LBB438_58
; %bb.50:
	global_load_dword v1, v[24:25], off
	global_load_dword v26, v[22:23], off
	v_mov_b64_e32 v[38:39], 1
	s_waitcnt vmcnt(0)
	v_cmp_eq_u32_e32 vcc, v1, v26
	s_and_saveexec_b64 s[18:19], vcc
	s_cbranch_execz .LBB438_57
; %bb.51:
	s_add_u32 s22, s12, -1
	v_lshl_add_u64 v[26:27], v[22:23], 0, 4
	v_lshl_add_u64 v[24:25], v[24:25], 0, 4
	s_addc_u32 s23, s13, -1
	s_mov_b64 s[26:27], 0
	s_mov_b64 s[30:31], 0
                                        ; implicit-def: $sgpr28_sgpr29
	s_branch .LBB438_54
.LBB438_52:                             ;   in Loop: Header=BB438_54 Depth=1
	global_load_dword v1, v[24:25], off
	global_load_dword v28, v[26:27], off
	s_add_u32 s30, s30, 1
	s_addc_u32 s31, s31, 0
	s_andn2_b64 s[28:29], s[28:29], exec
	v_lshl_add_u64 v[26:27], v[26:27], 0, 4
	v_lshl_add_u64 v[24:25], v[24:25], 0, 4
	s_waitcnt vmcnt(0)
	v_cmp_ne_u32_e32 vcc, v1, v28
	s_and_b64 s[34:35], vcc, exec
	s_or_b64 s[28:29], s[28:29], s[34:35]
.LBB438_53:                             ;   in Loop: Header=BB438_54 Depth=1
	s_and_b64 s[34:35], exec, s[28:29]
	s_or_b64 s[26:27], s[34:35], s[26:27]
	v_mov_b64_e32 v[28:29], s[30:31]
	s_andn2_b64 exec, exec, s[26:27]
	s_cbranch_execz .LBB438_56
.LBB438_54:                             ; =>This Inner Loop Header: Depth=1
	s_or_b64 s[28:29], s[28:29], exec
	s_cmp_eq_u64 s[22:23], s[30:31]
	s_cbranch_scc0 .LBB438_52
; %bb.55:                               ;   in Loop: Header=BB438_54 Depth=1
                                        ; implicit-def: $vgpr26_vgpr27
                                        ; implicit-def: $vgpr24_vgpr25
	s_mov_b64 s[30:31], s[12:13]
	s_branch .LBB438_53
.LBB438_56:
	s_or_b64 exec, exec, s[26:27]
	v_cmp_gt_i64_e32 vcc, s[12:13], v[28:29]
	s_mov_b32 s21, 0
	v_mov_b32_e32 v39, s21
	v_cndmask_b32_e64 v38, 0, 1, vcc
.LBB438_57:
	s_or_b64 exec, exec, s[18:19]
.LBB438_58:
	v_mul_lo_u32 v1, v15, s12
	v_mul_lo_u32 v26, v14, s13
	v_mad_u64_u32 v[24:25], s[18:19], v14, s12, 0
	v_add3_u32 v25, v25, v26, v1
	v_mov_b64_e32 v[48:49], 0
	s_and_b64 vcc, exec, s[2:3]
	v_lshl_add_u64 v[24:25], v[24:25], 2, s[14:15]
	v_mov_b64_e32 v[46:47], v[48:49]
	s_cbranch_vccnz .LBB438_67
; %bb.59:
	global_load_dword v1, v[22:23], off
	global_load_dword v26, v[24:25], off
	v_mov_b64_e32 v[46:47], 1
	s_waitcnt vmcnt(0)
	v_cmp_eq_u32_e32 vcc, v1, v26
	s_and_saveexec_b64 s[18:19], vcc
	s_cbranch_execz .LBB438_66
; %bb.60:
	s_add_u32 s22, s12, -1
	v_lshl_add_u64 v[26:27], v[24:25], 0, 4
	v_lshl_add_u64 v[22:23], v[22:23], 0, 4
	s_addc_u32 s23, s13, -1
	s_mov_b64 s[26:27], 0
	s_mov_b64 s[30:31], 0
                                        ; implicit-def: $sgpr28_sgpr29
	s_branch .LBB438_63
.LBB438_61:                             ;   in Loop: Header=BB438_63 Depth=1
	global_load_dword v1, v[22:23], off
	global_load_dword v28, v[26:27], off
	s_add_u32 s30, s30, 1
	s_addc_u32 s31, s31, 0
	s_andn2_b64 s[28:29], s[28:29], exec
	v_lshl_add_u64 v[26:27], v[26:27], 0, 4
	v_lshl_add_u64 v[22:23], v[22:23], 0, 4
	s_waitcnt vmcnt(0)
	v_cmp_ne_u32_e32 vcc, v1, v28
	s_and_b64 s[34:35], vcc, exec
	s_or_b64 s[28:29], s[28:29], s[34:35]
.LBB438_62:                             ;   in Loop: Header=BB438_63 Depth=1
	s_and_b64 s[34:35], exec, s[28:29]
	s_or_b64 s[26:27], s[34:35], s[26:27]
	v_mov_b64_e32 v[28:29], s[30:31]
	s_andn2_b64 exec, exec, s[26:27]
	s_cbranch_execz .LBB438_65
.LBB438_63:                             ; =>This Inner Loop Header: Depth=1
	s_or_b64 s[28:29], s[28:29], exec
	s_cmp_eq_u64 s[22:23], s[30:31]
	s_cbranch_scc0 .LBB438_61
; %bb.64:                               ;   in Loop: Header=BB438_63 Depth=1
                                        ; implicit-def: $vgpr26_vgpr27
                                        ; implicit-def: $vgpr22_vgpr23
	s_mov_b64 s[30:31], s[12:13]
	s_branch .LBB438_62
.LBB438_65:
	s_or_b64 exec, exec, s[26:27]
	v_cmp_gt_i64_e32 vcc, s[12:13], v[28:29]
	s_mov_b32 s21, 0
	v_mov_b32_e32 v47, s21
	v_cndmask_b32_e64 v46, 0, 1, vcc
.LBB438_66:
	s_or_b64 exec, exec, s[18:19]
.LBB438_67:
	v_mul_lo_u32 v1, v13, s12
	v_mul_lo_u32 v26, v12, s13
	v_mad_u64_u32 v[22:23], s[18:19], v12, s12, 0
	v_add3_u32 v23, v23, v26, v1
	s_and_b64 vcc, exec, s[2:3]
	v_lshl_add_u64 v[22:23], v[22:23], 2, s[14:15]
	s_cbranch_vccnz .LBB438_76
; %bb.68:
	global_load_dword v1, v[24:25], off
	global_load_dword v26, v[22:23], off
	v_mov_b64_e32 v[48:49], 1
	s_waitcnt vmcnt(0)
	v_cmp_eq_u32_e32 vcc, v1, v26
	s_and_saveexec_b64 s[18:19], vcc
	s_cbranch_execz .LBB438_75
; %bb.69:
	s_add_u32 s22, s12, -1
	v_lshl_add_u64 v[26:27], v[22:23], 0, 4
	v_lshl_add_u64 v[24:25], v[24:25], 0, 4
	s_addc_u32 s23, s13, -1
	s_mov_b64 s[26:27], 0
	s_mov_b64 s[30:31], 0
                                        ; implicit-def: $sgpr28_sgpr29
	s_branch .LBB438_72
.LBB438_70:                             ;   in Loop: Header=BB438_72 Depth=1
	global_load_dword v1, v[24:25], off
	global_load_dword v28, v[26:27], off
	s_add_u32 s30, s30, 1
	s_addc_u32 s31, s31, 0
	s_andn2_b64 s[28:29], s[28:29], exec
	v_lshl_add_u64 v[26:27], v[26:27], 0, 4
	v_lshl_add_u64 v[24:25], v[24:25], 0, 4
	s_waitcnt vmcnt(0)
	v_cmp_ne_u32_e32 vcc, v1, v28
	s_and_b64 s[34:35], vcc, exec
	s_or_b64 s[28:29], s[28:29], s[34:35]
.LBB438_71:                             ;   in Loop: Header=BB438_72 Depth=1
	s_and_b64 s[34:35], exec, s[28:29]
	s_or_b64 s[26:27], s[34:35], s[26:27]
	v_mov_b64_e32 v[28:29], s[30:31]
	s_andn2_b64 exec, exec, s[26:27]
	s_cbranch_execz .LBB438_74
.LBB438_72:                             ; =>This Inner Loop Header: Depth=1
	s_or_b64 s[28:29], s[28:29], exec
	s_cmp_eq_u64 s[22:23], s[30:31]
	s_cbranch_scc0 .LBB438_70
; %bb.73:                               ;   in Loop: Header=BB438_72 Depth=1
                                        ; implicit-def: $vgpr26_vgpr27
                                        ; implicit-def: $vgpr24_vgpr25
	s_mov_b64 s[30:31], s[12:13]
	s_branch .LBB438_71
.LBB438_74:
	s_or_b64 exec, exec, s[26:27]
	v_cmp_gt_i64_e32 vcc, s[12:13], v[28:29]
	s_mov_b32 s21, 0
	v_mov_b32_e32 v49, s21
	v_cndmask_b32_e64 v48, 0, 1, vcc
.LBB438_75:
	s_or_b64 exec, exec, s[18:19]
.LBB438_76:
	v_mul_lo_u32 v1, v11, s12
	v_mul_lo_u32 v26, v10, s13
	v_mad_u64_u32 v[24:25], s[18:19], v10, s12, 0
	v_add3_u32 v25, v25, v26, v1
	v_mov_b64_e32 v[52:53], 0
	s_and_b64 vcc, exec, s[2:3]
	v_lshl_add_u64 v[24:25], v[24:25], 2, s[14:15]
	v_mov_b64_e32 v[50:51], v[52:53]
	s_cbranch_vccnz .LBB438_85
; %bb.77:
	global_load_dword v1, v[22:23], off
	global_load_dword v26, v[24:25], off
	v_mov_b64_e32 v[50:51], 1
	s_waitcnt vmcnt(0)
	v_cmp_eq_u32_e32 vcc, v1, v26
	s_and_saveexec_b64 s[18:19], vcc
	s_cbranch_execz .LBB438_84
; %bb.78:
	s_add_u32 s22, s12, -1
	v_lshl_add_u64 v[26:27], v[24:25], 0, 4
	v_lshl_add_u64 v[22:23], v[22:23], 0, 4
	s_addc_u32 s23, s13, -1
	s_mov_b64 s[26:27], 0
	s_mov_b64 s[30:31], 0
                                        ; implicit-def: $sgpr28_sgpr29
	s_branch .LBB438_81
.LBB438_79:                             ;   in Loop: Header=BB438_81 Depth=1
	global_load_dword v1, v[22:23], off
	global_load_dword v28, v[26:27], off
	s_add_u32 s30, s30, 1
	s_addc_u32 s31, s31, 0
	s_andn2_b64 s[28:29], s[28:29], exec
	v_lshl_add_u64 v[26:27], v[26:27], 0, 4
	v_lshl_add_u64 v[22:23], v[22:23], 0, 4
	s_waitcnt vmcnt(0)
	v_cmp_ne_u32_e32 vcc, v1, v28
	s_and_b64 s[34:35], vcc, exec
	s_or_b64 s[28:29], s[28:29], s[34:35]
.LBB438_80:                             ;   in Loop: Header=BB438_81 Depth=1
	s_and_b64 s[34:35], exec, s[28:29]
	s_or_b64 s[26:27], s[34:35], s[26:27]
	v_mov_b64_e32 v[28:29], s[30:31]
	s_andn2_b64 exec, exec, s[26:27]
	s_cbranch_execz .LBB438_83
.LBB438_81:                             ; =>This Inner Loop Header: Depth=1
	s_or_b64 s[28:29], s[28:29], exec
	s_cmp_eq_u64 s[22:23], s[30:31]
	s_cbranch_scc0 .LBB438_79
; %bb.82:                               ;   in Loop: Header=BB438_81 Depth=1
                                        ; implicit-def: $vgpr26_vgpr27
                                        ; implicit-def: $vgpr22_vgpr23
	s_mov_b64 s[30:31], s[12:13]
	s_branch .LBB438_80
.LBB438_83:
	s_or_b64 exec, exec, s[26:27]
	v_cmp_gt_i64_e32 vcc, s[12:13], v[28:29]
	s_mov_b32 s21, 0
	v_mov_b32_e32 v51, s21
	v_cndmask_b32_e64 v50, 0, 1, vcc
.LBB438_84:
	s_or_b64 exec, exec, s[18:19]
.LBB438_85:
	v_mul_lo_u32 v1, v9, s12
	v_mul_lo_u32 v26, v8, s13
	v_mad_u64_u32 v[22:23], s[18:19], v8, s12, 0
	v_add3_u32 v23, v23, v26, v1
	s_and_b64 vcc, exec, s[2:3]
	v_lshl_add_u64 v[22:23], v[22:23], 2, s[14:15]
	s_cbranch_vccnz .LBB438_94
; %bb.86:
	global_load_dword v1, v[24:25], off
	global_load_dword v26, v[22:23], off
	v_mov_b64_e32 v[52:53], 1
	s_waitcnt vmcnt(0)
	v_cmp_eq_u32_e32 vcc, v1, v26
	s_and_saveexec_b64 s[18:19], vcc
	s_cbranch_execz .LBB438_93
; %bb.87:
	s_add_u32 s22, s12, -1
	v_lshl_add_u64 v[26:27], v[22:23], 0, 4
	v_lshl_add_u64 v[24:25], v[24:25], 0, 4
	s_addc_u32 s23, s13, -1
	s_mov_b64 s[26:27], 0
	s_mov_b64 s[30:31], 0
                                        ; implicit-def: $sgpr28_sgpr29
	s_branch .LBB438_90
.LBB438_88:                             ;   in Loop: Header=BB438_90 Depth=1
	global_load_dword v1, v[24:25], off
	global_load_dword v28, v[26:27], off
	s_add_u32 s30, s30, 1
	s_addc_u32 s31, s31, 0
	s_andn2_b64 s[28:29], s[28:29], exec
	v_lshl_add_u64 v[26:27], v[26:27], 0, 4
	v_lshl_add_u64 v[24:25], v[24:25], 0, 4
	s_waitcnt vmcnt(0)
	v_cmp_ne_u32_e32 vcc, v1, v28
	s_and_b64 s[34:35], vcc, exec
	s_or_b64 s[28:29], s[28:29], s[34:35]
.LBB438_89:                             ;   in Loop: Header=BB438_90 Depth=1
	s_and_b64 s[34:35], exec, s[28:29]
	s_or_b64 s[26:27], s[34:35], s[26:27]
	v_mov_b64_e32 v[28:29], s[30:31]
	s_andn2_b64 exec, exec, s[26:27]
	s_cbranch_execz .LBB438_92
.LBB438_90:                             ; =>This Inner Loop Header: Depth=1
	s_or_b64 s[28:29], s[28:29], exec
	s_cmp_eq_u64 s[22:23], s[30:31]
	s_cbranch_scc0 .LBB438_88
; %bb.91:                               ;   in Loop: Header=BB438_90 Depth=1
                                        ; implicit-def: $vgpr26_vgpr27
                                        ; implicit-def: $vgpr24_vgpr25
	s_mov_b64 s[30:31], s[12:13]
	s_branch .LBB438_89
.LBB438_92:
	s_or_b64 exec, exec, s[26:27]
	v_cmp_gt_i64_e32 vcc, s[12:13], v[28:29]
	s_mov_b32 s21, 0
	v_mov_b32_e32 v53, s21
	v_cndmask_b32_e64 v52, 0, 1, vcc
.LBB438_93:
	s_or_b64 exec, exec, s[18:19]
.LBB438_94:
	v_mul_lo_u32 v1, v7, s12
	v_mul_lo_u32 v26, v6, s13
	v_mad_u64_u32 v[24:25], s[18:19], v6, s12, 0
	v_add3_u32 v25, v25, v26, v1
	v_mov_b64_e32 v[56:57], 0
	s_and_b64 vcc, exec, s[2:3]
	v_lshl_add_u64 v[24:25], v[24:25], 2, s[14:15]
	v_mov_b64_e32 v[54:55], v[56:57]
	s_cbranch_vccnz .LBB438_103
; %bb.95:
	global_load_dword v1, v[22:23], off
	global_load_dword v26, v[24:25], off
	v_mov_b64_e32 v[54:55], 1
	s_waitcnt vmcnt(0)
	v_cmp_eq_u32_e32 vcc, v1, v26
	s_and_saveexec_b64 s[18:19], vcc
	s_cbranch_execz .LBB438_102
; %bb.96:
	s_add_u32 s22, s12, -1
	v_lshl_add_u64 v[26:27], v[24:25], 0, 4
	v_lshl_add_u64 v[22:23], v[22:23], 0, 4
	s_addc_u32 s23, s13, -1
	s_mov_b64 s[26:27], 0
	s_mov_b64 s[30:31], 0
                                        ; implicit-def: $sgpr28_sgpr29
	s_branch .LBB438_99
.LBB438_97:                             ;   in Loop: Header=BB438_99 Depth=1
	global_load_dword v1, v[22:23], off
	global_load_dword v28, v[26:27], off
	s_add_u32 s30, s30, 1
	s_addc_u32 s31, s31, 0
	s_andn2_b64 s[28:29], s[28:29], exec
	v_lshl_add_u64 v[26:27], v[26:27], 0, 4
	v_lshl_add_u64 v[22:23], v[22:23], 0, 4
	s_waitcnt vmcnt(0)
	v_cmp_ne_u32_e32 vcc, v1, v28
	s_and_b64 s[34:35], vcc, exec
	s_or_b64 s[28:29], s[28:29], s[34:35]
.LBB438_98:                             ;   in Loop: Header=BB438_99 Depth=1
	s_and_b64 s[34:35], exec, s[28:29]
	s_or_b64 s[26:27], s[34:35], s[26:27]
	v_mov_b64_e32 v[28:29], s[30:31]
	s_andn2_b64 exec, exec, s[26:27]
	s_cbranch_execz .LBB438_101
.LBB438_99:                             ; =>This Inner Loop Header: Depth=1
	s_or_b64 s[28:29], s[28:29], exec
	s_cmp_eq_u64 s[22:23], s[30:31]
	s_cbranch_scc0 .LBB438_97
; %bb.100:                              ;   in Loop: Header=BB438_99 Depth=1
                                        ; implicit-def: $vgpr26_vgpr27
                                        ; implicit-def: $vgpr22_vgpr23
	s_mov_b64 s[30:31], s[12:13]
	s_branch .LBB438_98
.LBB438_101:
	s_or_b64 exec, exec, s[26:27]
	v_cmp_gt_i64_e32 vcc, s[12:13], v[28:29]
	s_mov_b32 s21, 0
	v_mov_b32_e32 v55, s21
	v_cndmask_b32_e64 v54, 0, 1, vcc
.LBB438_102:
	s_or_b64 exec, exec, s[18:19]
.LBB438_103:
	v_mul_lo_u32 v1, v5, s12
	v_mul_lo_u32 v26, v4, s13
	v_mad_u64_u32 v[22:23], s[18:19], v4, s12, 0
	v_add3_u32 v23, v23, v26, v1
	s_and_b64 vcc, exec, s[2:3]
	v_lshl_add_u64 v[22:23], v[22:23], 2, s[14:15]
	s_cbranch_vccnz .LBB438_112
; %bb.104:
	global_load_dword v1, v[24:25], off
	global_load_dword v26, v[22:23], off
	v_mov_b64_e32 v[56:57], 1
	s_waitcnt vmcnt(0)
	v_cmp_eq_u32_e32 vcc, v1, v26
	s_and_saveexec_b64 s[18:19], vcc
	s_cbranch_execz .LBB438_111
; %bb.105:
	s_add_u32 s22, s12, -1
	v_lshl_add_u64 v[26:27], v[22:23], 0, 4
	v_lshl_add_u64 v[24:25], v[24:25], 0, 4
	s_addc_u32 s23, s13, -1
	s_mov_b64 s[26:27], 0
	s_mov_b64 s[30:31], 0
                                        ; implicit-def: $sgpr28_sgpr29
	s_branch .LBB438_108
.LBB438_106:                            ;   in Loop: Header=BB438_108 Depth=1
	global_load_dword v1, v[24:25], off
	global_load_dword v28, v[26:27], off
	s_add_u32 s30, s30, 1
	s_addc_u32 s31, s31, 0
	s_andn2_b64 s[28:29], s[28:29], exec
	v_lshl_add_u64 v[26:27], v[26:27], 0, 4
	v_lshl_add_u64 v[24:25], v[24:25], 0, 4
	s_waitcnt vmcnt(0)
	v_cmp_ne_u32_e32 vcc, v1, v28
	s_and_b64 s[34:35], vcc, exec
	s_or_b64 s[28:29], s[28:29], s[34:35]
.LBB438_107:                            ;   in Loop: Header=BB438_108 Depth=1
	s_and_b64 s[34:35], exec, s[28:29]
	s_or_b64 s[26:27], s[34:35], s[26:27]
	v_mov_b64_e32 v[28:29], s[30:31]
	s_andn2_b64 exec, exec, s[26:27]
	s_cbranch_execz .LBB438_110
.LBB438_108:                            ; =>This Inner Loop Header: Depth=1
	s_or_b64 s[28:29], s[28:29], exec
	s_cmp_eq_u64 s[22:23], s[30:31]
	s_cbranch_scc0 .LBB438_106
; %bb.109:                              ;   in Loop: Header=BB438_108 Depth=1
                                        ; implicit-def: $vgpr26_vgpr27
                                        ; implicit-def: $vgpr24_vgpr25
	s_mov_b64 s[30:31], s[12:13]
	s_branch .LBB438_107
.LBB438_110:
	s_or_b64 exec, exec, s[26:27]
	v_cmp_gt_i64_e32 vcc, s[12:13], v[28:29]
	s_mov_b32 s21, 0
	v_mov_b32_e32 v57, s21
	v_cndmask_b32_e64 v56, 0, 1, vcc
.LBB438_111:
	s_or_b64 exec, exec, s[18:19]
.LBB438_112:
	s_and_b64 vcc, exec, s[2:3]
	s_cbranch_vccnz .LBB438_119
; %bb.113:
	v_mul_lo_u32 v1, v3, s12
	v_mul_lo_u32 v26, v2, s13
	v_mad_u64_u32 v[24:25], s[18:19], v2, s12, 0
	v_add3_u32 v25, v25, v26, v1
	v_lshl_add_u64 v[24:25], v[24:25], 2, s[14:15]
	global_load_dword v1, v[22:23], off
	global_load_dword v26, v[24:25], off
	v_mov_b64_e32 v[58:59], 1
	s_waitcnt vmcnt(0)
	v_cmp_eq_u32_e32 vcc, v1, v26
	s_and_saveexec_b64 s[18:19], vcc
	s_cbranch_execz .LBB438_121
; %bb.114:
	s_add_u32 s22, s12, -1
	v_lshl_add_u64 v[24:25], v[24:25], 0, 4
	v_lshl_add_u64 v[22:23], v[22:23], 0, 4
	s_addc_u32 s23, s13, -1
	s_mov_b64 s[26:27], 0
	s_mov_b64 s[30:31], 0
                                        ; implicit-def: $sgpr28_sgpr29
	s_branch .LBB438_117
.LBB438_115:                            ;   in Loop: Header=BB438_117 Depth=1
	global_load_dword v1, v[22:23], off
	global_load_dword v26, v[24:25], off
	s_add_u32 s30, s30, 1
	s_addc_u32 s31, s31, 0
	s_andn2_b64 s[28:29], s[28:29], exec
	v_lshl_add_u64 v[24:25], v[24:25], 0, 4
	v_lshl_add_u64 v[22:23], v[22:23], 0, 4
	s_waitcnt vmcnt(0)
	v_cmp_ne_u32_e32 vcc, v1, v26
	s_and_b64 s[34:35], vcc, exec
	s_or_b64 s[28:29], s[28:29], s[34:35]
.LBB438_116:                            ;   in Loop: Header=BB438_117 Depth=1
	s_and_b64 s[34:35], exec, s[28:29]
	s_or_b64 s[26:27], s[34:35], s[26:27]
	v_mov_b64_e32 v[26:27], s[30:31]
	s_andn2_b64 exec, exec, s[26:27]
	s_cbranch_execz .LBB438_120
.LBB438_117:                            ; =>This Inner Loop Header: Depth=1
	s_or_b64 s[28:29], s[28:29], exec
	s_cmp_eq_u64 s[22:23], s[30:31]
	s_cbranch_scc0 .LBB438_115
; %bb.118:                              ;   in Loop: Header=BB438_117 Depth=1
                                        ; implicit-def: $vgpr24_vgpr25
                                        ; implicit-def: $vgpr22_vgpr23
	s_mov_b64 s[30:31], s[12:13]
	s_branch .LBB438_116
.LBB438_119:
	v_mov_b64_e32 v[58:59], 0
	s_branch .LBB438_122
.LBB438_120:
	s_or_b64 exec, exec, s[26:27]
	v_cmp_gt_i64_e32 vcc, s[12:13], v[26:27]
	s_mov_b32 s21, 0
	v_mov_b32_e32 v59, s21
	v_cndmask_b32_e64 v58, 0, 1, vcc
.LBB438_121:
	s_or_b64 exec, exec, s[18:19]
.LBB438_122:
	v_cmp_ne_u32_e32 vcc, 0, v0
	s_waitcnt lgkmcnt(0)
	v_mov_b64_e32 v[22:23], s[16:17]
	s_barrier
	s_and_saveexec_b64 s[18:19], vcc
	s_cbranch_execz .LBB438_124
; %bb.123:
	v_add_u32_e32 v1, -8, v40
	ds_read_b64 v[22:23], v1
.LBB438_124:
	s_or_b64 exec, exec, s[18:19]
	s_mov_b64 s[26:27], 0
	s_and_b64 vcc, exec, s[2:3]
	s_mov_b64 s[18:19], 0
	s_cbranch_vccnz .LBB438_133
; %bb.125:
	v_mul_lo_u32 v1, v3, s12
	v_mul_lo_u32 v26, v2, s13
	v_mad_u64_u32 v[24:25], s[2:3], v2, s12, 0
	v_add3_u32 v25, v25, v26, v1
	s_waitcnt lgkmcnt(0)
	v_mul_lo_u32 v1, v23, s12
	v_mul_lo_u32 v26, v22, s13
	v_mad_u64_u32 v[22:23], s[2:3], v22, s12, 0
	v_add3_u32 v23, v23, v26, v1
	v_lshl_add_u64 v[24:25], v[24:25], 2, s[14:15]
	v_lshl_add_u64 v[22:23], v[22:23], 2, s[14:15]
	global_load_dword v1, v[24:25], off
	global_load_dword v26, v[22:23], off
	s_mov_b64 s[18:19], -1
	s_waitcnt vmcnt(0)
	v_cmp_eq_u32_e32 vcc, v1, v26
	s_and_saveexec_b64 s[2:3], vcc
	s_cbranch_execz .LBB438_132
; %bb.126:
	s_add_u32 s18, s12, -1
	v_lshl_add_u64 v[22:23], v[22:23], 0, 4
	v_lshl_add_u64 v[24:25], v[24:25], 0, 4
	s_addc_u32 s19, s13, -1
	s_mov_b64 s[22:23], 0
	s_mov_b64 s[30:31], 0
                                        ; implicit-def: $sgpr28_sgpr29
	s_branch .LBB438_129
.LBB438_127:                            ;   in Loop: Header=BB438_129 Depth=1
	global_load_dword v1, v[24:25], off
	global_load_dword v26, v[22:23], off
	s_add_u32 s30, s30, 1
	s_addc_u32 s31, s31, 0
	s_andn2_b64 s[28:29], s[28:29], exec
	v_lshl_add_u64 v[22:23], v[22:23], 0, 4
	v_lshl_add_u64 v[24:25], v[24:25], 0, 4
	s_waitcnt vmcnt(0)
	v_cmp_ne_u32_e32 vcc, v1, v26
	s_and_b64 s[34:35], vcc, exec
	s_or_b64 s[28:29], s[28:29], s[34:35]
.LBB438_128:                            ;   in Loop: Header=BB438_129 Depth=1
	s_and_b64 s[34:35], exec, s[28:29]
	s_or_b64 s[22:23], s[34:35], s[22:23]
	v_mov_b64_e32 v[26:27], s[30:31]
	s_andn2_b64 exec, exec, s[22:23]
	s_cbranch_execz .LBB438_131
.LBB438_129:                            ; =>This Inner Loop Header: Depth=1
	s_or_b64 s[28:29], s[28:29], exec
	s_cmp_eq_u64 s[18:19], s[30:31]
	s_cbranch_scc0 .LBB438_127
; %bb.130:                              ;   in Loop: Header=BB438_129 Depth=1
                                        ; implicit-def: $vgpr22_vgpr23
                                        ; implicit-def: $vgpr24_vgpr25
	s_mov_b64 s[30:31], s[12:13]
	s_branch .LBB438_128
.LBB438_131:
	s_or_b64 exec, exec, s[22:23]
	v_cmp_gt_i64_e32 vcc, s[12:13], v[26:27]
	s_orn2_b64 s[18:19], vcc, exec
.LBB438_132:
	s_or_b64 exec, exec, s[2:3]
.LBB438_133:
	s_mov_b64 s[22:23], -1
	s_and_b64 vcc, exec, s[26:27]
	s_cbranch_vccz .LBB438_37
.LBB438_134:
	s_mul_i32 s21, s24, 0xfffff500
	s_add_i32 s21, s21, s10
	s_waitcnt lgkmcnt(0)
	v_mad_u32_u24 v22, v0, 11, 10
	v_cmp_gt_i64_e64 s[2:3], s[12:13], 0
	v_cmp_gt_u32_e32 vcc, s21, v22
	v_mul_u32_u24_e32 v1, 11, v0
	v_cndmask_b32_e64 v22, 0, 1, s[2:3]
	v_cmp_ne_u32_e64 s[2:3], 1, v22
	v_mov_b64_e32 v[42:43], v[36:37]
	ds_write_b64 v40, v[36:37]
	s_and_saveexec_b64 s[18:19], vcc
	s_cbranch_execz .LBB438_145
; %bb.135:
	s_and_b64 vcc, exec, s[2:3]
	s_cbranch_vccnz .LBB438_142
; %bb.136:
	v_mul_lo_u32 v24, v37, s12
	v_mul_lo_u32 v25, v36, s13
	v_mad_u64_u32 v[22:23], s[24:25], v36, s12, 0
	v_add3_u32 v23, v23, v25, v24
	v_mul_lo_u32 v24, v21, s12
	v_mul_lo_u32 v25, v20, s13
	v_mad_u64_u32 v[26:27], s[24:25], v20, s12, 0
	v_add3_u32 v27, v27, v25, v24
	v_lshl_add_u64 v[24:25], v[22:23], 2, s[14:15]
	v_lshl_add_u64 v[22:23], v[26:27], 2, s[14:15]
	global_load_dword v26, v[24:25], off
	global_load_dword v27, v[22:23], off
	v_mov_b64_e32 v[42:43], 1
	s_waitcnt vmcnt(0)
	v_cmp_eq_u32_e32 vcc, v26, v27
	s_and_saveexec_b64 s[24:25], vcc
	s_cbranch_execz .LBB438_144
; %bb.137:
	s_add_u32 s26, s12, -1
	v_lshl_add_u64 v[22:23], v[22:23], 0, 4
	v_lshl_add_u64 v[24:25], v[24:25], 0, 4
	s_addc_u32 s27, s13, -1
	s_mov_b64 s[28:29], 0
	s_mov_b64 s[34:35], 0
                                        ; implicit-def: $sgpr30_sgpr31
	s_branch .LBB438_140
.LBB438_138:                            ;   in Loop: Header=BB438_140 Depth=1
	global_load_dword v26, v[24:25], off
	global_load_dword v27, v[22:23], off
	s_add_u32 s34, s34, 1
	s_addc_u32 s35, s35, 0
	s_andn2_b64 s[30:31], s[30:31], exec
	v_lshl_add_u64 v[22:23], v[22:23], 0, 4
	v_lshl_add_u64 v[24:25], v[24:25], 0, 4
	s_waitcnt vmcnt(0)
	v_cmp_ne_u32_e32 vcc, v26, v27
	s_and_b64 s[36:37], vcc, exec
	s_or_b64 s[30:31], s[30:31], s[36:37]
.LBB438_139:                            ;   in Loop: Header=BB438_140 Depth=1
	s_and_b64 s[36:37], exec, s[30:31]
	s_or_b64 s[28:29], s[36:37], s[28:29]
	v_mov_b64_e32 v[26:27], s[34:35]
	s_andn2_b64 exec, exec, s[28:29]
	s_cbranch_execz .LBB438_143
.LBB438_140:                            ; =>This Inner Loop Header: Depth=1
	s_or_b64 s[30:31], s[30:31], exec
	s_cmp_eq_u64 s[26:27], s[34:35]
	s_cbranch_scc0 .LBB438_138
; %bb.141:                              ;   in Loop: Header=BB438_140 Depth=1
                                        ; implicit-def: $vgpr22_vgpr23
                                        ; implicit-def: $vgpr24_vgpr25
	s_mov_b64 s[34:35], s[12:13]
	s_branch .LBB438_139
.LBB438_142:
	v_mov_b64_e32 v[42:43], 0
	s_branch .LBB438_145
.LBB438_143:
	s_or_b64 exec, exec, s[28:29]
	v_cmp_gt_i64_e32 vcc, s[12:13], v[26:27]
	s_mov_b32 s26, 0
	v_mov_b32_e32 v43, s26
	v_cndmask_b32_e64 v42, 0, 1, vcc
.LBB438_144:
	s_or_b64 exec, exec, s[24:25]
.LBB438_145:
	s_or_b64 exec, exec, s[18:19]
	v_add_u32_e32 v22, 9, v1
	v_cmp_gt_u32_e32 vcc, s21, v22
	v_mov_b64_e32 v[44:45], v[20:21]
	s_and_saveexec_b64 s[18:19], vcc
	s_cbranch_execz .LBB438_156
; %bb.146:
	s_and_b64 vcc, exec, s[2:3]
	s_cbranch_vccnz .LBB438_153
; %bb.147:
	v_mul_lo_u32 v24, v21, s12
	v_mul_lo_u32 v25, v20, s13
	v_mad_u64_u32 v[22:23], s[24:25], v20, s12, 0
	v_add3_u32 v23, v23, v25, v24
	v_mul_lo_u32 v24, v19, s12
	v_mul_lo_u32 v25, v18, s13
	v_mad_u64_u32 v[26:27], s[24:25], v18, s12, 0
	v_add3_u32 v27, v27, v25, v24
	v_lshl_add_u64 v[24:25], v[22:23], 2, s[14:15]
	v_lshl_add_u64 v[22:23], v[26:27], 2, s[14:15]
	global_load_dword v26, v[24:25], off
	global_load_dword v27, v[22:23], off
	v_mov_b64_e32 v[44:45], 1
	s_waitcnt vmcnt(0)
	v_cmp_eq_u32_e32 vcc, v26, v27
	s_and_saveexec_b64 s[24:25], vcc
	s_cbranch_execz .LBB438_155
; %bb.148:
	s_add_u32 s26, s12, -1
	v_lshl_add_u64 v[22:23], v[22:23], 0, 4
	v_lshl_add_u64 v[24:25], v[24:25], 0, 4
	s_addc_u32 s27, s13, -1
	s_mov_b64 s[28:29], 0
	s_mov_b64 s[34:35], 0
                                        ; implicit-def: $sgpr30_sgpr31
	s_branch .LBB438_151
.LBB438_149:                            ;   in Loop: Header=BB438_151 Depth=1
	global_load_dword v26, v[24:25], off
	global_load_dword v27, v[22:23], off
	s_add_u32 s34, s34, 1
	s_addc_u32 s35, s35, 0
	s_andn2_b64 s[30:31], s[30:31], exec
	v_lshl_add_u64 v[22:23], v[22:23], 0, 4
	v_lshl_add_u64 v[24:25], v[24:25], 0, 4
	s_waitcnt vmcnt(0)
	v_cmp_ne_u32_e32 vcc, v26, v27
	s_and_b64 s[36:37], vcc, exec
	s_or_b64 s[30:31], s[30:31], s[36:37]
.LBB438_150:                            ;   in Loop: Header=BB438_151 Depth=1
	s_and_b64 s[36:37], exec, s[30:31]
	s_or_b64 s[28:29], s[36:37], s[28:29]
	v_mov_b64_e32 v[26:27], s[34:35]
	s_andn2_b64 exec, exec, s[28:29]
	s_cbranch_execz .LBB438_154
.LBB438_151:                            ; =>This Inner Loop Header: Depth=1
	s_or_b64 s[30:31], s[30:31], exec
	s_cmp_eq_u64 s[26:27], s[34:35]
	s_cbranch_scc0 .LBB438_149
; %bb.152:                              ;   in Loop: Header=BB438_151 Depth=1
                                        ; implicit-def: $vgpr22_vgpr23
                                        ; implicit-def: $vgpr24_vgpr25
	s_mov_b64 s[34:35], s[12:13]
	s_branch .LBB438_150
.LBB438_153:
	v_mov_b64_e32 v[44:45], 0
	s_branch .LBB438_156
.LBB438_154:
	s_or_b64 exec, exec, s[28:29]
	v_cmp_gt_i64_e32 vcc, s[12:13], v[26:27]
	s_mov_b32 s26, 0
	v_mov_b32_e32 v45, s26
	v_cndmask_b32_e64 v44, 0, 1, vcc
.LBB438_155:
	s_or_b64 exec, exec, s[24:25]
.LBB438_156:
	s_or_b64 exec, exec, s[18:19]
	v_add_u32_e32 v22, 8, v1
	v_cmp_gt_u32_e32 vcc, s21, v22
	v_mov_b64_e32 v[38:39], v[18:19]
	s_and_saveexec_b64 s[18:19], vcc
	s_cbranch_execz .LBB438_167
; %bb.157:
	s_and_b64 vcc, exec, s[2:3]
	s_cbranch_vccnz .LBB438_164
; %bb.158:
	v_mul_lo_u32 v24, v19, s12
	v_mul_lo_u32 v25, v18, s13
	v_mad_u64_u32 v[22:23], s[24:25], v18, s12, 0
	v_add3_u32 v23, v23, v25, v24
	v_mul_lo_u32 v24, v17, s12
	v_mul_lo_u32 v25, v16, s13
	v_mad_u64_u32 v[26:27], s[24:25], v16, s12, 0
	v_add3_u32 v27, v27, v25, v24
	v_lshl_add_u64 v[24:25], v[22:23], 2, s[14:15]
	v_lshl_add_u64 v[22:23], v[26:27], 2, s[14:15]
	global_load_dword v26, v[24:25], off
	global_load_dword v27, v[22:23], off
	v_mov_b64_e32 v[38:39], 1
	s_waitcnt vmcnt(0)
	v_cmp_eq_u32_e32 vcc, v26, v27
	s_and_saveexec_b64 s[24:25], vcc
	s_cbranch_execz .LBB438_166
; %bb.159:
	s_add_u32 s26, s12, -1
	v_lshl_add_u64 v[22:23], v[22:23], 0, 4
	v_lshl_add_u64 v[24:25], v[24:25], 0, 4
	s_addc_u32 s27, s13, -1
	s_mov_b64 s[28:29], 0
	s_mov_b64 s[34:35], 0
                                        ; implicit-def: $sgpr30_sgpr31
	s_branch .LBB438_162
.LBB438_160:                            ;   in Loop: Header=BB438_162 Depth=1
	global_load_dword v26, v[24:25], off
	global_load_dword v27, v[22:23], off
	s_add_u32 s34, s34, 1
	s_addc_u32 s35, s35, 0
	s_andn2_b64 s[30:31], s[30:31], exec
	v_lshl_add_u64 v[22:23], v[22:23], 0, 4
	v_lshl_add_u64 v[24:25], v[24:25], 0, 4
	s_waitcnt vmcnt(0)
	v_cmp_ne_u32_e32 vcc, v26, v27
	s_and_b64 s[36:37], vcc, exec
	s_or_b64 s[30:31], s[30:31], s[36:37]
.LBB438_161:                            ;   in Loop: Header=BB438_162 Depth=1
	s_and_b64 s[36:37], exec, s[30:31]
	s_or_b64 s[28:29], s[36:37], s[28:29]
	v_mov_b64_e32 v[26:27], s[34:35]
	s_andn2_b64 exec, exec, s[28:29]
	s_cbranch_execz .LBB438_165
.LBB438_162:                            ; =>This Inner Loop Header: Depth=1
	s_or_b64 s[30:31], s[30:31], exec
	s_cmp_eq_u64 s[26:27], s[34:35]
	s_cbranch_scc0 .LBB438_160
; %bb.163:                              ;   in Loop: Header=BB438_162 Depth=1
                                        ; implicit-def: $vgpr22_vgpr23
                                        ; implicit-def: $vgpr24_vgpr25
	s_mov_b64 s[34:35], s[12:13]
	s_branch .LBB438_161
.LBB438_164:
	v_mov_b64_e32 v[38:39], 0
	s_branch .LBB438_167
.LBB438_165:
	s_or_b64 exec, exec, s[28:29]
	v_cmp_gt_i64_e32 vcc, s[12:13], v[26:27]
	s_mov_b32 s26, 0
	v_mov_b32_e32 v39, s26
	v_cndmask_b32_e64 v38, 0, 1, vcc
.LBB438_166:
	s_or_b64 exec, exec, s[24:25]
.LBB438_167:
	s_or_b64 exec, exec, s[18:19]
	v_add_u32_e32 v22, 7, v1
	v_cmp_gt_u32_e32 vcc, s21, v22
	v_mov_b64_e32 v[46:47], v[16:17]
	s_and_saveexec_b64 s[18:19], vcc
	s_cbranch_execz .LBB438_178
; %bb.168:
	s_and_b64 vcc, exec, s[2:3]
	s_cbranch_vccnz .LBB438_175
; %bb.169:
	v_mul_lo_u32 v24, v17, s12
	v_mul_lo_u32 v25, v16, s13
	v_mad_u64_u32 v[22:23], s[24:25], v16, s12, 0
	v_add3_u32 v23, v23, v25, v24
	v_mul_lo_u32 v24, v15, s12
	v_mul_lo_u32 v25, v14, s13
	v_mad_u64_u32 v[26:27], s[24:25], v14, s12, 0
	v_add3_u32 v27, v27, v25, v24
	v_lshl_add_u64 v[24:25], v[22:23], 2, s[14:15]
	v_lshl_add_u64 v[22:23], v[26:27], 2, s[14:15]
	global_load_dword v26, v[24:25], off
	global_load_dword v27, v[22:23], off
	v_mov_b64_e32 v[46:47], 1
	s_waitcnt vmcnt(0)
	v_cmp_eq_u32_e32 vcc, v26, v27
	s_and_saveexec_b64 s[24:25], vcc
	s_cbranch_execz .LBB438_177
; %bb.170:
	s_add_u32 s26, s12, -1
	v_lshl_add_u64 v[22:23], v[22:23], 0, 4
	v_lshl_add_u64 v[24:25], v[24:25], 0, 4
	s_addc_u32 s27, s13, -1
	s_mov_b64 s[28:29], 0
	s_mov_b64 s[34:35], 0
                                        ; implicit-def: $sgpr30_sgpr31
	s_branch .LBB438_173
.LBB438_171:                            ;   in Loop: Header=BB438_173 Depth=1
	global_load_dword v26, v[24:25], off
	global_load_dword v27, v[22:23], off
	s_add_u32 s34, s34, 1
	s_addc_u32 s35, s35, 0
	s_andn2_b64 s[30:31], s[30:31], exec
	v_lshl_add_u64 v[22:23], v[22:23], 0, 4
	v_lshl_add_u64 v[24:25], v[24:25], 0, 4
	s_waitcnt vmcnt(0)
	v_cmp_ne_u32_e32 vcc, v26, v27
	s_and_b64 s[36:37], vcc, exec
	s_or_b64 s[30:31], s[30:31], s[36:37]
.LBB438_172:                            ;   in Loop: Header=BB438_173 Depth=1
	s_and_b64 s[36:37], exec, s[30:31]
	s_or_b64 s[28:29], s[36:37], s[28:29]
	v_mov_b64_e32 v[26:27], s[34:35]
	s_andn2_b64 exec, exec, s[28:29]
	s_cbranch_execz .LBB438_176
.LBB438_173:                            ; =>This Inner Loop Header: Depth=1
	s_or_b64 s[30:31], s[30:31], exec
	s_cmp_eq_u64 s[26:27], s[34:35]
	s_cbranch_scc0 .LBB438_171
; %bb.174:                              ;   in Loop: Header=BB438_173 Depth=1
                                        ; implicit-def: $vgpr22_vgpr23
                                        ; implicit-def: $vgpr24_vgpr25
	s_mov_b64 s[34:35], s[12:13]
	s_branch .LBB438_172
.LBB438_175:
	v_mov_b64_e32 v[46:47], 0
	s_branch .LBB438_178
.LBB438_176:
	s_or_b64 exec, exec, s[28:29]
	v_cmp_gt_i64_e32 vcc, s[12:13], v[26:27]
	s_mov_b32 s26, 0
	v_mov_b32_e32 v47, s26
	v_cndmask_b32_e64 v46, 0, 1, vcc
.LBB438_177:
	s_or_b64 exec, exec, s[24:25]
.LBB438_178:
	s_or_b64 exec, exec, s[18:19]
	v_add_u32_e32 v22, 6, v1
	v_cmp_gt_u32_e32 vcc, s21, v22
	v_mov_b64_e32 v[48:49], v[14:15]
	s_and_saveexec_b64 s[18:19], vcc
	s_cbranch_execz .LBB438_189
; %bb.179:
	s_and_b64 vcc, exec, s[2:3]
	s_cbranch_vccnz .LBB438_186
; %bb.180:
	v_mul_lo_u32 v24, v15, s12
	v_mul_lo_u32 v25, v14, s13
	v_mad_u64_u32 v[22:23], s[24:25], v14, s12, 0
	v_add3_u32 v23, v23, v25, v24
	v_mul_lo_u32 v24, v13, s12
	v_mul_lo_u32 v25, v12, s13
	v_mad_u64_u32 v[26:27], s[24:25], v12, s12, 0
	v_add3_u32 v27, v27, v25, v24
	v_lshl_add_u64 v[24:25], v[22:23], 2, s[14:15]
	v_lshl_add_u64 v[22:23], v[26:27], 2, s[14:15]
	global_load_dword v26, v[24:25], off
	global_load_dword v27, v[22:23], off
	v_mov_b64_e32 v[48:49], 1
	s_waitcnt vmcnt(0)
	v_cmp_eq_u32_e32 vcc, v26, v27
	s_and_saveexec_b64 s[24:25], vcc
	s_cbranch_execz .LBB438_188
; %bb.181:
	s_add_u32 s26, s12, -1
	v_lshl_add_u64 v[22:23], v[22:23], 0, 4
	v_lshl_add_u64 v[24:25], v[24:25], 0, 4
	s_addc_u32 s27, s13, -1
	s_mov_b64 s[28:29], 0
	s_mov_b64 s[34:35], 0
                                        ; implicit-def: $sgpr30_sgpr31
	s_branch .LBB438_184
.LBB438_182:                            ;   in Loop: Header=BB438_184 Depth=1
	global_load_dword v26, v[24:25], off
	global_load_dword v27, v[22:23], off
	s_add_u32 s34, s34, 1
	s_addc_u32 s35, s35, 0
	s_andn2_b64 s[30:31], s[30:31], exec
	v_lshl_add_u64 v[22:23], v[22:23], 0, 4
	v_lshl_add_u64 v[24:25], v[24:25], 0, 4
	s_waitcnt vmcnt(0)
	v_cmp_ne_u32_e32 vcc, v26, v27
	s_and_b64 s[36:37], vcc, exec
	s_or_b64 s[30:31], s[30:31], s[36:37]
.LBB438_183:                            ;   in Loop: Header=BB438_184 Depth=1
	s_and_b64 s[36:37], exec, s[30:31]
	s_or_b64 s[28:29], s[36:37], s[28:29]
	v_mov_b64_e32 v[26:27], s[34:35]
	s_andn2_b64 exec, exec, s[28:29]
	s_cbranch_execz .LBB438_187
.LBB438_184:                            ; =>This Inner Loop Header: Depth=1
	s_or_b64 s[30:31], s[30:31], exec
	s_cmp_eq_u64 s[26:27], s[34:35]
	s_cbranch_scc0 .LBB438_182
; %bb.185:                              ;   in Loop: Header=BB438_184 Depth=1
                                        ; implicit-def: $vgpr22_vgpr23
                                        ; implicit-def: $vgpr24_vgpr25
	s_mov_b64 s[34:35], s[12:13]
	s_branch .LBB438_183
.LBB438_186:
	v_mov_b64_e32 v[48:49], 0
	s_branch .LBB438_189
.LBB438_187:
	s_or_b64 exec, exec, s[28:29]
	v_cmp_gt_i64_e32 vcc, s[12:13], v[26:27]
	s_mov_b32 s26, 0
	v_mov_b32_e32 v49, s26
	v_cndmask_b32_e64 v48, 0, 1, vcc
.LBB438_188:
	s_or_b64 exec, exec, s[24:25]
.LBB438_189:
	s_or_b64 exec, exec, s[18:19]
	v_add_u32_e32 v22, 5, v1
	v_cmp_gt_u32_e32 vcc, s21, v22
	v_mov_b64_e32 v[50:51], v[12:13]
	s_and_saveexec_b64 s[18:19], vcc
	s_cbranch_execz .LBB438_200
; %bb.190:
	s_and_b64 vcc, exec, s[2:3]
	s_cbranch_vccnz .LBB438_197
; %bb.191:
	v_mul_lo_u32 v24, v13, s12
	v_mul_lo_u32 v25, v12, s13
	v_mad_u64_u32 v[22:23], s[24:25], v12, s12, 0
	v_add3_u32 v23, v23, v25, v24
	v_mul_lo_u32 v24, v11, s12
	v_mul_lo_u32 v25, v10, s13
	v_mad_u64_u32 v[26:27], s[24:25], v10, s12, 0
	v_add3_u32 v27, v27, v25, v24
	v_lshl_add_u64 v[24:25], v[22:23], 2, s[14:15]
	v_lshl_add_u64 v[22:23], v[26:27], 2, s[14:15]
	global_load_dword v26, v[24:25], off
	global_load_dword v27, v[22:23], off
	v_mov_b64_e32 v[50:51], 1
	s_waitcnt vmcnt(0)
	v_cmp_eq_u32_e32 vcc, v26, v27
	s_and_saveexec_b64 s[24:25], vcc
	s_cbranch_execz .LBB438_199
; %bb.192:
	s_add_u32 s26, s12, -1
	v_lshl_add_u64 v[22:23], v[22:23], 0, 4
	v_lshl_add_u64 v[24:25], v[24:25], 0, 4
	s_addc_u32 s27, s13, -1
	s_mov_b64 s[28:29], 0
	s_mov_b64 s[34:35], 0
                                        ; implicit-def: $sgpr30_sgpr31
	s_branch .LBB438_195
.LBB438_193:                            ;   in Loop: Header=BB438_195 Depth=1
	global_load_dword v26, v[24:25], off
	global_load_dword v27, v[22:23], off
	s_add_u32 s34, s34, 1
	s_addc_u32 s35, s35, 0
	s_andn2_b64 s[30:31], s[30:31], exec
	v_lshl_add_u64 v[22:23], v[22:23], 0, 4
	v_lshl_add_u64 v[24:25], v[24:25], 0, 4
	s_waitcnt vmcnt(0)
	v_cmp_ne_u32_e32 vcc, v26, v27
	s_and_b64 s[36:37], vcc, exec
	s_or_b64 s[30:31], s[30:31], s[36:37]
.LBB438_194:                            ;   in Loop: Header=BB438_195 Depth=1
	s_and_b64 s[36:37], exec, s[30:31]
	s_or_b64 s[28:29], s[36:37], s[28:29]
	v_mov_b64_e32 v[26:27], s[34:35]
	s_andn2_b64 exec, exec, s[28:29]
	s_cbranch_execz .LBB438_198
.LBB438_195:                            ; =>This Inner Loop Header: Depth=1
	s_or_b64 s[30:31], s[30:31], exec
	s_cmp_eq_u64 s[26:27], s[34:35]
	s_cbranch_scc0 .LBB438_193
; %bb.196:                              ;   in Loop: Header=BB438_195 Depth=1
                                        ; implicit-def: $vgpr22_vgpr23
                                        ; implicit-def: $vgpr24_vgpr25
	s_mov_b64 s[34:35], s[12:13]
	s_branch .LBB438_194
.LBB438_197:
	v_mov_b64_e32 v[50:51], 0
	s_branch .LBB438_200
.LBB438_198:
	s_or_b64 exec, exec, s[28:29]
	v_cmp_gt_i64_e32 vcc, s[12:13], v[26:27]
	s_mov_b32 s26, 0
	v_mov_b32_e32 v51, s26
	v_cndmask_b32_e64 v50, 0, 1, vcc
.LBB438_199:
	s_or_b64 exec, exec, s[24:25]
.LBB438_200:
	s_or_b64 exec, exec, s[18:19]
	v_add_u32_e32 v22, 4, v1
	v_cmp_gt_u32_e32 vcc, s21, v22
	v_mov_b64_e32 v[52:53], v[10:11]
	s_and_saveexec_b64 s[18:19], vcc
	s_cbranch_execz .LBB438_211
; %bb.201:
	s_and_b64 vcc, exec, s[2:3]
	s_cbranch_vccnz .LBB438_208
; %bb.202:
	v_mul_lo_u32 v24, v11, s12
	v_mul_lo_u32 v25, v10, s13
	v_mad_u64_u32 v[22:23], s[24:25], v10, s12, 0
	v_add3_u32 v23, v23, v25, v24
	v_mul_lo_u32 v24, v9, s12
	v_mul_lo_u32 v25, v8, s13
	v_mad_u64_u32 v[26:27], s[24:25], v8, s12, 0
	v_add3_u32 v27, v27, v25, v24
	v_lshl_add_u64 v[24:25], v[22:23], 2, s[14:15]
	v_lshl_add_u64 v[22:23], v[26:27], 2, s[14:15]
	global_load_dword v26, v[24:25], off
	global_load_dword v27, v[22:23], off
	v_mov_b64_e32 v[52:53], 1
	s_waitcnt vmcnt(0)
	v_cmp_eq_u32_e32 vcc, v26, v27
	s_and_saveexec_b64 s[24:25], vcc
	s_cbranch_execz .LBB438_210
; %bb.203:
	s_add_u32 s26, s12, -1
	v_lshl_add_u64 v[22:23], v[22:23], 0, 4
	v_lshl_add_u64 v[24:25], v[24:25], 0, 4
	s_addc_u32 s27, s13, -1
	s_mov_b64 s[28:29], 0
	s_mov_b64 s[34:35], 0
                                        ; implicit-def: $sgpr30_sgpr31
	s_branch .LBB438_206
.LBB438_204:                            ;   in Loop: Header=BB438_206 Depth=1
	global_load_dword v26, v[24:25], off
	global_load_dword v27, v[22:23], off
	s_add_u32 s34, s34, 1
	s_addc_u32 s35, s35, 0
	s_andn2_b64 s[30:31], s[30:31], exec
	v_lshl_add_u64 v[22:23], v[22:23], 0, 4
	v_lshl_add_u64 v[24:25], v[24:25], 0, 4
	s_waitcnt vmcnt(0)
	v_cmp_ne_u32_e32 vcc, v26, v27
	s_and_b64 s[36:37], vcc, exec
	s_or_b64 s[30:31], s[30:31], s[36:37]
.LBB438_205:                            ;   in Loop: Header=BB438_206 Depth=1
	s_and_b64 s[36:37], exec, s[30:31]
	s_or_b64 s[28:29], s[36:37], s[28:29]
	v_mov_b64_e32 v[26:27], s[34:35]
	s_andn2_b64 exec, exec, s[28:29]
	s_cbranch_execz .LBB438_209
.LBB438_206:                            ; =>This Inner Loop Header: Depth=1
	s_or_b64 s[30:31], s[30:31], exec
	s_cmp_eq_u64 s[26:27], s[34:35]
	s_cbranch_scc0 .LBB438_204
; %bb.207:                              ;   in Loop: Header=BB438_206 Depth=1
                                        ; implicit-def: $vgpr22_vgpr23
                                        ; implicit-def: $vgpr24_vgpr25
	s_mov_b64 s[34:35], s[12:13]
	s_branch .LBB438_205
.LBB438_208:
	v_mov_b64_e32 v[52:53], 0
	s_branch .LBB438_211
.LBB438_209:
	s_or_b64 exec, exec, s[28:29]
	v_cmp_gt_i64_e32 vcc, s[12:13], v[26:27]
	s_mov_b32 s26, 0
	v_mov_b32_e32 v53, s26
	v_cndmask_b32_e64 v52, 0, 1, vcc
.LBB438_210:
	s_or_b64 exec, exec, s[24:25]
.LBB438_211:
	s_or_b64 exec, exec, s[18:19]
	v_add_u32_e32 v22, 3, v1
	v_cmp_gt_u32_e32 vcc, s21, v22
	v_mov_b64_e32 v[54:55], v[8:9]
	s_and_saveexec_b64 s[18:19], vcc
	s_cbranch_execz .LBB438_222
; %bb.212:
	s_and_b64 vcc, exec, s[2:3]
	s_cbranch_vccnz .LBB438_219
; %bb.213:
	v_mul_lo_u32 v24, v9, s12
	v_mul_lo_u32 v25, v8, s13
	v_mad_u64_u32 v[22:23], s[24:25], v8, s12, 0
	v_add3_u32 v23, v23, v25, v24
	v_mul_lo_u32 v24, v7, s12
	v_mul_lo_u32 v25, v6, s13
	v_mad_u64_u32 v[26:27], s[24:25], v6, s12, 0
	v_add3_u32 v27, v27, v25, v24
	v_lshl_add_u64 v[24:25], v[22:23], 2, s[14:15]
	v_lshl_add_u64 v[22:23], v[26:27], 2, s[14:15]
	global_load_dword v26, v[24:25], off
	global_load_dword v27, v[22:23], off
	v_mov_b64_e32 v[54:55], 1
	s_waitcnt vmcnt(0)
	v_cmp_eq_u32_e32 vcc, v26, v27
	s_and_saveexec_b64 s[24:25], vcc
	s_cbranch_execz .LBB438_221
; %bb.214:
	s_add_u32 s26, s12, -1
	v_lshl_add_u64 v[22:23], v[22:23], 0, 4
	v_lshl_add_u64 v[24:25], v[24:25], 0, 4
	s_addc_u32 s27, s13, -1
	s_mov_b64 s[28:29], 0
	s_mov_b64 s[34:35], 0
                                        ; implicit-def: $sgpr30_sgpr31
	s_branch .LBB438_217
.LBB438_215:                            ;   in Loop: Header=BB438_217 Depth=1
	global_load_dword v26, v[24:25], off
	global_load_dword v27, v[22:23], off
	s_add_u32 s34, s34, 1
	s_addc_u32 s35, s35, 0
	s_andn2_b64 s[30:31], s[30:31], exec
	v_lshl_add_u64 v[22:23], v[22:23], 0, 4
	v_lshl_add_u64 v[24:25], v[24:25], 0, 4
	s_waitcnt vmcnt(0)
	v_cmp_ne_u32_e32 vcc, v26, v27
	s_and_b64 s[36:37], vcc, exec
	s_or_b64 s[30:31], s[30:31], s[36:37]
.LBB438_216:                            ;   in Loop: Header=BB438_217 Depth=1
	s_and_b64 s[36:37], exec, s[30:31]
	s_or_b64 s[28:29], s[36:37], s[28:29]
	v_mov_b64_e32 v[26:27], s[34:35]
	s_andn2_b64 exec, exec, s[28:29]
	s_cbranch_execz .LBB438_220
.LBB438_217:                            ; =>This Inner Loop Header: Depth=1
	s_or_b64 s[30:31], s[30:31], exec
	s_cmp_eq_u64 s[26:27], s[34:35]
	s_cbranch_scc0 .LBB438_215
; %bb.218:                              ;   in Loop: Header=BB438_217 Depth=1
                                        ; implicit-def: $vgpr22_vgpr23
                                        ; implicit-def: $vgpr24_vgpr25
	s_mov_b64 s[34:35], s[12:13]
	s_branch .LBB438_216
.LBB438_219:
	v_mov_b64_e32 v[54:55], 0
	s_branch .LBB438_222
.LBB438_220:
	s_or_b64 exec, exec, s[28:29]
	v_cmp_gt_i64_e32 vcc, s[12:13], v[26:27]
	s_mov_b32 s26, 0
	v_mov_b32_e32 v55, s26
	v_cndmask_b32_e64 v54, 0, 1, vcc
.LBB438_221:
	s_or_b64 exec, exec, s[24:25]
.LBB438_222:
	s_or_b64 exec, exec, s[18:19]
	v_add_u32_e32 v22, 2, v1
	v_cmp_gt_u32_e32 vcc, s21, v22
	v_mov_b64_e32 v[56:57], v[6:7]
	s_and_saveexec_b64 s[18:19], vcc
	s_cbranch_execz .LBB438_233
; %bb.223:
	s_and_b64 vcc, exec, s[2:3]
	s_cbranch_vccnz .LBB438_230
; %bb.224:
	v_mul_lo_u32 v24, v7, s12
	v_mul_lo_u32 v25, v6, s13
	v_mad_u64_u32 v[22:23], s[24:25], v6, s12, 0
	v_add3_u32 v23, v23, v25, v24
	v_mul_lo_u32 v24, v5, s12
	v_mul_lo_u32 v25, v4, s13
	v_mad_u64_u32 v[26:27], s[24:25], v4, s12, 0
	v_add3_u32 v27, v27, v25, v24
	v_lshl_add_u64 v[24:25], v[22:23], 2, s[14:15]
	v_lshl_add_u64 v[22:23], v[26:27], 2, s[14:15]
	global_load_dword v26, v[24:25], off
	global_load_dword v27, v[22:23], off
	v_mov_b64_e32 v[56:57], 1
	s_waitcnt vmcnt(0)
	v_cmp_eq_u32_e32 vcc, v26, v27
	s_and_saveexec_b64 s[24:25], vcc
	s_cbranch_execz .LBB438_232
; %bb.225:
	s_add_u32 s26, s12, -1
	v_lshl_add_u64 v[22:23], v[22:23], 0, 4
	v_lshl_add_u64 v[24:25], v[24:25], 0, 4
	s_addc_u32 s27, s13, -1
	s_mov_b64 s[28:29], 0
	s_mov_b64 s[34:35], 0
                                        ; implicit-def: $sgpr30_sgpr31
	s_branch .LBB438_228
.LBB438_226:                            ;   in Loop: Header=BB438_228 Depth=1
	global_load_dword v26, v[24:25], off
	global_load_dword v27, v[22:23], off
	s_add_u32 s34, s34, 1
	s_addc_u32 s35, s35, 0
	s_andn2_b64 s[30:31], s[30:31], exec
	v_lshl_add_u64 v[22:23], v[22:23], 0, 4
	v_lshl_add_u64 v[24:25], v[24:25], 0, 4
	s_waitcnt vmcnt(0)
	v_cmp_ne_u32_e32 vcc, v26, v27
	s_and_b64 s[36:37], vcc, exec
	s_or_b64 s[30:31], s[30:31], s[36:37]
.LBB438_227:                            ;   in Loop: Header=BB438_228 Depth=1
	s_and_b64 s[36:37], exec, s[30:31]
	s_or_b64 s[28:29], s[36:37], s[28:29]
	v_mov_b64_e32 v[26:27], s[34:35]
	s_andn2_b64 exec, exec, s[28:29]
	s_cbranch_execz .LBB438_231
.LBB438_228:                            ; =>This Inner Loop Header: Depth=1
	s_or_b64 s[30:31], s[30:31], exec
	s_cmp_eq_u64 s[26:27], s[34:35]
	s_cbranch_scc0 .LBB438_226
; %bb.229:                              ;   in Loop: Header=BB438_228 Depth=1
                                        ; implicit-def: $vgpr22_vgpr23
                                        ; implicit-def: $vgpr24_vgpr25
	s_mov_b64 s[34:35], s[12:13]
	s_branch .LBB438_227
.LBB438_230:
	v_mov_b64_e32 v[56:57], 0
	s_branch .LBB438_233
.LBB438_231:
	s_or_b64 exec, exec, s[28:29]
	v_cmp_gt_i64_e32 vcc, s[12:13], v[26:27]
	s_mov_b32 s26, 0
	v_mov_b32_e32 v57, s26
	v_cndmask_b32_e64 v56, 0, 1, vcc
.LBB438_232:
	s_or_b64 exec, exec, s[24:25]
.LBB438_233:
	s_or_b64 exec, exec, s[18:19]
	v_add_u32_e32 v22, 1, v1
	v_cmp_gt_u32_e32 vcc, s21, v22
	v_mov_b64_e32 v[58:59], v[4:5]
	s_and_saveexec_b64 s[18:19], vcc
	s_cbranch_execz .LBB438_244
; %bb.234:
	s_and_b64 vcc, exec, s[2:3]
	s_cbranch_vccnz .LBB438_241
; %bb.235:
	v_mul_lo_u32 v24, v5, s12
	v_mul_lo_u32 v25, v4, s13
	v_mad_u64_u32 v[22:23], s[24:25], v4, s12, 0
	v_add3_u32 v23, v23, v25, v24
	v_mul_lo_u32 v24, v3, s12
	v_mul_lo_u32 v25, v2, s13
	v_mad_u64_u32 v[26:27], s[24:25], v2, s12, 0
	v_add3_u32 v27, v27, v25, v24
	v_lshl_add_u64 v[24:25], v[22:23], 2, s[14:15]
	v_lshl_add_u64 v[22:23], v[26:27], 2, s[14:15]
	global_load_dword v26, v[24:25], off
	global_load_dword v27, v[22:23], off
	v_mov_b64_e32 v[58:59], 1
	s_waitcnt vmcnt(0)
	v_cmp_eq_u32_e32 vcc, v26, v27
	s_and_saveexec_b64 s[24:25], vcc
	s_cbranch_execz .LBB438_243
; %bb.236:
	s_add_u32 s26, s12, -1
	v_lshl_add_u64 v[22:23], v[22:23], 0, 4
	v_lshl_add_u64 v[24:25], v[24:25], 0, 4
	s_addc_u32 s27, s13, -1
	s_mov_b64 s[28:29], 0
	s_mov_b64 s[34:35], 0
                                        ; implicit-def: $sgpr30_sgpr31
	s_branch .LBB438_239
.LBB438_237:                            ;   in Loop: Header=BB438_239 Depth=1
	global_load_dword v26, v[24:25], off
	global_load_dword v27, v[22:23], off
	s_add_u32 s34, s34, 1
	s_addc_u32 s35, s35, 0
	s_andn2_b64 s[30:31], s[30:31], exec
	v_lshl_add_u64 v[22:23], v[22:23], 0, 4
	v_lshl_add_u64 v[24:25], v[24:25], 0, 4
	s_waitcnt vmcnt(0)
	v_cmp_ne_u32_e32 vcc, v26, v27
	s_and_b64 s[36:37], vcc, exec
	s_or_b64 s[30:31], s[30:31], s[36:37]
.LBB438_238:                            ;   in Loop: Header=BB438_239 Depth=1
	s_and_b64 s[36:37], exec, s[30:31]
	s_or_b64 s[28:29], s[36:37], s[28:29]
	v_mov_b64_e32 v[26:27], s[34:35]
	s_andn2_b64 exec, exec, s[28:29]
	s_cbranch_execz .LBB438_242
.LBB438_239:                            ; =>This Inner Loop Header: Depth=1
	s_or_b64 s[30:31], s[30:31], exec
	s_cmp_eq_u64 s[26:27], s[34:35]
	s_cbranch_scc0 .LBB438_237
; %bb.240:                              ;   in Loop: Header=BB438_239 Depth=1
                                        ; implicit-def: $vgpr22_vgpr23
                                        ; implicit-def: $vgpr24_vgpr25
	s_mov_b64 s[34:35], s[12:13]
	s_branch .LBB438_238
.LBB438_241:
	v_mov_b64_e32 v[58:59], 0
	s_branch .LBB438_244
.LBB438_242:
	s_or_b64 exec, exec, s[28:29]
	v_cmp_gt_i64_e32 vcc, s[12:13], v[26:27]
	s_mov_b32 s26, 0
	v_mov_b32_e32 v59, s26
	v_cndmask_b32_e64 v58, 0, 1, vcc
.LBB438_243:
	s_or_b64 exec, exec, s[24:25]
.LBB438_244:
	s_or_b64 exec, exec, s[18:19]
	v_cmp_ne_u32_e32 vcc, 0, v0
	v_mov_b64_e32 v[22:23], s[16:17]
	s_waitcnt lgkmcnt(0)
	s_barrier
	s_and_saveexec_b64 s[16:17], vcc
	s_cbranch_execz .LBB438_246
; %bb.245:
	v_add_u32_e32 v22, -8, v40
	ds_read_b64 v[22:23], v22
.LBB438_246:
	s_or_b64 exec, exec, s[16:17]
	v_cmp_gt_u32_e32 vcc, s21, v1
                                        ; implicit-def: $sgpr18_sgpr19
	s_and_saveexec_b64 s[16:17], vcc
	s_cbranch_execz .LBB438_258
; %bb.247:
	s_and_b64 vcc, exec, s[2:3]
	s_cbranch_vccnz .LBB438_254
; %bb.248:
	v_mul_lo_u32 v1, v3, s12
	v_mul_lo_u32 v26, v2, s13
	v_mad_u64_u32 v[24:25], s[2:3], v2, s12, 0
	v_add3_u32 v25, v25, v26, v1
	s_waitcnt lgkmcnt(0)
	v_mul_lo_u32 v1, v23, s12
	v_mul_lo_u32 v26, v22, s13
	v_mad_u64_u32 v[22:23], s[2:3], v22, s12, 0
	v_add3_u32 v23, v23, v26, v1
	v_lshl_add_u64 v[24:25], v[24:25], 2, s[14:15]
	v_lshl_add_u64 v[22:23], v[22:23], 2, s[14:15]
	global_load_dword v1, v[24:25], off
	global_load_dword v26, v[22:23], off
	s_mov_b64 s[18:19], -1
	s_waitcnt vmcnt(0)
	v_cmp_eq_u32_e32 vcc, v1, v26
	s_and_saveexec_b64 s[2:3], vcc
	s_cbranch_execz .LBB438_256
; %bb.249:
	s_add_u32 s18, s12, -1
	v_lshl_add_u64 v[22:23], v[22:23], 0, 4
	v_lshl_add_u64 v[24:25], v[24:25], 0, 4
	s_addc_u32 s19, s13, -1
	s_mov_b64 s[24:25], 0
	s_mov_b64 s[28:29], 0
                                        ; implicit-def: $sgpr26_sgpr27
	s_branch .LBB438_252
.LBB438_250:                            ;   in Loop: Header=BB438_252 Depth=1
	global_load_dword v1, v[24:25], off
	global_load_dword v26, v[22:23], off
	s_add_u32 s28, s28, 1
	s_addc_u32 s29, s29, 0
	s_andn2_b64 s[26:27], s[26:27], exec
	v_lshl_add_u64 v[22:23], v[22:23], 0, 4
	v_lshl_add_u64 v[24:25], v[24:25], 0, 4
	s_waitcnt vmcnt(0)
	v_cmp_ne_u32_e32 vcc, v1, v26
	s_and_b64 s[30:31], vcc, exec
	s_or_b64 s[26:27], s[26:27], s[30:31]
.LBB438_251:                            ;   in Loop: Header=BB438_252 Depth=1
	s_and_b64 s[30:31], exec, s[26:27]
	s_or_b64 s[24:25], s[30:31], s[24:25]
	v_mov_b64_e32 v[26:27], s[28:29]
	s_andn2_b64 exec, exec, s[24:25]
	s_cbranch_execz .LBB438_255
.LBB438_252:                            ; =>This Inner Loop Header: Depth=1
	s_or_b64 s[26:27], s[26:27], exec
	s_cmp_eq_u64 s[18:19], s[28:29]
	s_cbranch_scc0 .LBB438_250
; %bb.253:                              ;   in Loop: Header=BB438_252 Depth=1
                                        ; implicit-def: $vgpr22_vgpr23
                                        ; implicit-def: $vgpr24_vgpr25
	s_mov_b64 s[28:29], s[12:13]
	s_branch .LBB438_251
.LBB438_254:
	s_mov_b64 s[18:19], 0
	s_branch .LBB438_257
.LBB438_255:
	s_or_b64 exec, exec, s[24:25]
	v_cmp_gt_i64_e32 vcc, s[12:13], v[26:27]
	s_orn2_b64 s[18:19], vcc, exec
.LBB438_256:
	s_or_b64 exec, exec, s[2:3]
.LBB438_257:
	s_and_b64 s[18:19], s[18:19], exec
	s_or_b64 s[22:23], s[22:23], exec
.LBB438_258:
	s_or_b64 exec, exec, s[16:17]
	v_mov_b64_e32 v[60:61], v[44:45]
	s_waitcnt lgkmcnt(0)
	v_mov_b64_e32 v[22:23], v[38:39]
	v_mov_b64_e32 v[68:69], v[58:59]
	;; [unrolled: 1-line block ×8, first 2 shown]
	s_branch .LBB438_488
.LBB438_259:
	s_cmp_lg_u64 s[4:5], 1
	s_cbranch_scc0 .LBB438_267
; %bb.260:
	v_mul_lo_u32 v1, v21, s12
	v_mul_lo_u32 v24, v20, s13
	s_waitcnt lgkmcnt(0)
	v_mad_u64_u32 v[22:23], s[16:17], v20, s12, 0
	v_mov_b64_e32 v[38:39], 0
	v_cmp_lt_i64_e64 s[2:3], s[12:13], 1
	v_add3_u32 v23, v23, v24, v1
	v_cmp_gt_i64_e64 s[4:5], s[12:13], 0
	s_and_b64 vcc, exec, s[2:3]
	v_lshl_add_u64 v[22:23], v[22:23], 2, s[14:15]
	v_mov_b64_e32 v[42:43], v[38:39]
	ds_write_b64 v40, v[36:37]
	s_cbranch_vccnz .LBB438_270
; %bb.261:
	v_mul_lo_u32 v1, v37, s12
	v_mul_lo_u32 v26, v36, s13
	v_mad_u64_u32 v[24:25], s[2:3], v36, s12, 0
	v_add3_u32 v25, v25, v26, v1
	v_lshl_add_u64 v[26:27], v[24:25], 2, s[14:15]
	global_load_dword v1, v[26:27], off
	global_load_dword v24, v[22:23], off
	v_mov_b64_e32 v[42:43], 1
	s_waitcnt vmcnt(0)
	v_cmp_eq_u32_e32 vcc, v1, v24
	s_and_saveexec_b64 s[2:3], vcc
	s_cbranch_execz .LBB438_269
; %bb.262:
	s_add_u32 s16, s12, -1
	v_lshl_add_u64 v[24:25], v[22:23], 0, 4
	v_lshl_add_u64 v[26:27], v[26:27], 0, 4
	s_addc_u32 s17, s13, -1
	s_mov_b64 s[18:19], 0
	s_mov_b64 s[26:27], 0
                                        ; implicit-def: $sgpr24_sgpr25
	s_branch .LBB438_265
.LBB438_263:                            ;   in Loop: Header=BB438_265 Depth=1
	global_load_dword v1, v[26:27], off
	global_load_dword v28, v[24:25], off
	s_add_u32 s26, s26, 1
	s_addc_u32 s27, s27, 0
	s_andn2_b64 s[24:25], s[24:25], exec
	v_lshl_add_u64 v[24:25], v[24:25], 0, 4
	v_lshl_add_u64 v[26:27], v[26:27], 0, 4
	s_waitcnt vmcnt(0)
	v_cmp_ne_u32_e32 vcc, v1, v28
	s_and_b64 s[28:29], vcc, exec
	s_or_b64 s[24:25], s[24:25], s[28:29]
.LBB438_264:                            ;   in Loop: Header=BB438_265 Depth=1
	s_and_b64 s[28:29], exec, s[24:25]
	s_or_b64 s[18:19], s[28:29], s[18:19]
	v_mov_b64_e32 v[28:29], s[26:27]
	s_andn2_b64 exec, exec, s[18:19]
	s_cbranch_execz .LBB438_268
.LBB438_265:                            ; =>This Inner Loop Header: Depth=1
	s_or_b64 s[24:25], s[24:25], exec
	s_cmp_eq_u64 s[16:17], s[26:27]
	s_cbranch_scc0 .LBB438_263
; %bb.266:                              ;   in Loop: Header=BB438_265 Depth=1
                                        ; implicit-def: $vgpr24_vgpr25
                                        ; implicit-def: $vgpr26_vgpr27
	s_mov_b64 s[26:27], s[12:13]
	s_branch .LBB438_264
.LBB438_267:
                                        ; implicit-def: $vgpr22_vgpr23_vgpr24_vgpr25
                                        ; implicit-def: $sgpr18_sgpr19
                                        ; implicit-def: $vgpr42_vgpr43
                                        ; implicit-def: $vgpr44_vgpr45
                                        ; implicit-def: $vgpr38_vgpr39
                                        ; implicit-def: $vgpr58_vgpr59
                                        ; implicit-def: $vgpr56_vgpr57
                                        ; implicit-def: $vgpr54_vgpr55
                                        ; implicit-def: $vgpr52_vgpr53
                                        ; implicit-def: $vgpr50_vgpr51
                                        ; implicit-def: $vgpr48_vgpr49
                                        ; implicit-def: $vgpr46_vgpr47
                                        ; implicit-def: $vgpr60_vgpr61
                                        ; implicit-def: $vgpr68_vgpr69
                                        ; implicit-def: $vgpr62_vgpr63
                                        ; implicit-def: $vgpr64_vgpr65
                                        ; implicit-def: $vgpr66_vgpr67
                                        ; implicit-def: $vgpr24_vgpr25_vgpr26_vgpr27
                                        ; implicit-def: $vgpr28_vgpr29_vgpr30_vgpr31
                                        ; implicit-def: $vgpr32_vgpr33_vgpr34_vgpr35
	s_cbranch_execnz .LBB438_365
	s_branch .LBB438_488
.LBB438_268:
	s_or_b64 exec, exec, s[18:19]
	v_cmp_gt_i64_e32 vcc, s[12:13], v[28:29]
	s_mov_b32 s16, 0
	v_mov_b32_e32 v43, s16
	v_cndmask_b32_e64 v42, 0, 1, vcc
.LBB438_269:
	s_or_b64 exec, exec, s[2:3]
.LBB438_270:
	v_mul_lo_u32 v1, v19, s12
	v_mul_lo_u32 v26, v18, s13
	v_mad_u64_u32 v[24:25], s[2:3], v18, s12, 0
	v_add3_u32 v25, v25, v26, v1
	v_cndmask_b32_e64 v1, 0, 1, s[4:5]
	v_cmp_ne_u32_e64 s[2:3], 1, v1
	s_andn2_b64 vcc, exec, s[4:5]
	v_lshl_add_u64 v[24:25], v[24:25], 2, s[14:15]
	v_mov_b64_e32 v[44:45], v[38:39]
	s_cbranch_vccnz .LBB438_279
; %bb.271:
	global_load_dword v1, v[22:23], off
	global_load_dword v26, v[24:25], off
	v_mov_b64_e32 v[44:45], 1
	s_waitcnt vmcnt(0)
	v_cmp_eq_u32_e32 vcc, v1, v26
	s_and_saveexec_b64 s[4:5], vcc
	s_cbranch_execz .LBB438_278
; %bb.272:
	s_add_u32 s16, s12, -1
	v_lshl_add_u64 v[26:27], v[24:25], 0, 4
	v_lshl_add_u64 v[22:23], v[22:23], 0, 4
	s_addc_u32 s17, s13, -1
	s_mov_b64 s[18:19], 0
	s_mov_b64 s[26:27], 0
                                        ; implicit-def: $sgpr24_sgpr25
	s_branch .LBB438_275
.LBB438_273:                            ;   in Loop: Header=BB438_275 Depth=1
	global_load_dword v1, v[22:23], off
	global_load_dword v28, v[26:27], off
	s_add_u32 s26, s26, 1
	s_addc_u32 s27, s27, 0
	s_andn2_b64 s[24:25], s[24:25], exec
	v_lshl_add_u64 v[26:27], v[26:27], 0, 4
	v_lshl_add_u64 v[22:23], v[22:23], 0, 4
	s_waitcnt vmcnt(0)
	v_cmp_ne_u32_e32 vcc, v1, v28
	s_and_b64 s[28:29], vcc, exec
	s_or_b64 s[24:25], s[24:25], s[28:29]
.LBB438_274:                            ;   in Loop: Header=BB438_275 Depth=1
	s_and_b64 s[28:29], exec, s[24:25]
	s_or_b64 s[18:19], s[28:29], s[18:19]
	v_mov_b64_e32 v[28:29], s[26:27]
	s_andn2_b64 exec, exec, s[18:19]
	s_cbranch_execz .LBB438_277
.LBB438_275:                            ; =>This Inner Loop Header: Depth=1
	s_or_b64 s[24:25], s[24:25], exec
	s_cmp_eq_u64 s[16:17], s[26:27]
	s_cbranch_scc0 .LBB438_273
; %bb.276:                              ;   in Loop: Header=BB438_275 Depth=1
                                        ; implicit-def: $vgpr26_vgpr27
                                        ; implicit-def: $vgpr22_vgpr23
	s_mov_b64 s[26:27], s[12:13]
	s_branch .LBB438_274
.LBB438_277:
	s_or_b64 exec, exec, s[18:19]
	v_cmp_gt_i64_e32 vcc, s[12:13], v[28:29]
	s_mov_b32 s16, 0
	v_mov_b32_e32 v45, s16
	v_cndmask_b32_e64 v44, 0, 1, vcc
.LBB438_278:
	s_or_b64 exec, exec, s[4:5]
.LBB438_279:
	v_mul_lo_u32 v1, v17, s12
	v_mul_lo_u32 v26, v16, s13
	v_mad_u64_u32 v[22:23], s[4:5], v16, s12, 0
	v_add3_u32 v23, v23, v26, v1
	s_and_b64 vcc, exec, s[2:3]
	v_lshl_add_u64 v[22:23], v[22:23], 2, s[14:15]
	s_cbranch_vccnz .LBB438_288
; %bb.280:
	global_load_dword v1, v[24:25], off
	global_load_dword v26, v[22:23], off
	v_mov_b64_e32 v[38:39], 1
	s_waitcnt vmcnt(0)
	v_cmp_eq_u32_e32 vcc, v1, v26
	s_and_saveexec_b64 s[4:5], vcc
	s_cbranch_execz .LBB438_287
; %bb.281:
	s_add_u32 s16, s12, -1
	v_lshl_add_u64 v[26:27], v[22:23], 0, 4
	v_lshl_add_u64 v[24:25], v[24:25], 0, 4
	s_addc_u32 s17, s13, -1
	s_mov_b64 s[18:19], 0
	s_mov_b64 s[26:27], 0
                                        ; implicit-def: $sgpr24_sgpr25
	s_branch .LBB438_284
.LBB438_282:                            ;   in Loop: Header=BB438_284 Depth=1
	global_load_dword v1, v[24:25], off
	global_load_dword v28, v[26:27], off
	s_add_u32 s26, s26, 1
	s_addc_u32 s27, s27, 0
	s_andn2_b64 s[24:25], s[24:25], exec
	v_lshl_add_u64 v[26:27], v[26:27], 0, 4
	v_lshl_add_u64 v[24:25], v[24:25], 0, 4
	s_waitcnt vmcnt(0)
	v_cmp_ne_u32_e32 vcc, v1, v28
	s_and_b64 s[28:29], vcc, exec
	s_or_b64 s[24:25], s[24:25], s[28:29]
.LBB438_283:                            ;   in Loop: Header=BB438_284 Depth=1
	s_and_b64 s[28:29], exec, s[24:25]
	s_or_b64 s[18:19], s[28:29], s[18:19]
	v_mov_b64_e32 v[28:29], s[26:27]
	s_andn2_b64 exec, exec, s[18:19]
	s_cbranch_execz .LBB438_286
.LBB438_284:                            ; =>This Inner Loop Header: Depth=1
	s_or_b64 s[24:25], s[24:25], exec
	s_cmp_eq_u64 s[16:17], s[26:27]
	s_cbranch_scc0 .LBB438_282
; %bb.285:                              ;   in Loop: Header=BB438_284 Depth=1
                                        ; implicit-def: $vgpr26_vgpr27
                                        ; implicit-def: $vgpr24_vgpr25
	s_mov_b64 s[26:27], s[12:13]
	s_branch .LBB438_283
.LBB438_286:
	s_or_b64 exec, exec, s[18:19]
	v_cmp_gt_i64_e32 vcc, s[12:13], v[28:29]
	s_mov_b32 s16, 0
	v_mov_b32_e32 v39, s16
	v_cndmask_b32_e64 v38, 0, 1, vcc
.LBB438_287:
	s_or_b64 exec, exec, s[4:5]
.LBB438_288:
	v_mul_lo_u32 v1, v15, s12
	v_mul_lo_u32 v26, v14, s13
	v_mad_u64_u32 v[24:25], s[4:5], v14, s12, 0
	v_add3_u32 v25, v25, v26, v1
	v_mov_b64_e32 v[48:49], 0
	s_and_b64 vcc, exec, s[2:3]
	v_lshl_add_u64 v[24:25], v[24:25], 2, s[14:15]
	v_mov_b64_e32 v[46:47], v[48:49]
	s_cbranch_vccnz .LBB438_297
; %bb.289:
	global_load_dword v1, v[22:23], off
	global_load_dword v26, v[24:25], off
	v_mov_b64_e32 v[46:47], 1
	s_waitcnt vmcnt(0)
	v_cmp_eq_u32_e32 vcc, v1, v26
	s_and_saveexec_b64 s[4:5], vcc
	s_cbranch_execz .LBB438_296
; %bb.290:
	s_add_u32 s16, s12, -1
	v_lshl_add_u64 v[26:27], v[24:25], 0, 4
	v_lshl_add_u64 v[22:23], v[22:23], 0, 4
	s_addc_u32 s17, s13, -1
	s_mov_b64 s[18:19], 0
	s_mov_b64 s[26:27], 0
                                        ; implicit-def: $sgpr24_sgpr25
	s_branch .LBB438_293
.LBB438_291:                            ;   in Loop: Header=BB438_293 Depth=1
	global_load_dword v1, v[22:23], off
	global_load_dword v28, v[26:27], off
	s_add_u32 s26, s26, 1
	s_addc_u32 s27, s27, 0
	s_andn2_b64 s[24:25], s[24:25], exec
	v_lshl_add_u64 v[26:27], v[26:27], 0, 4
	v_lshl_add_u64 v[22:23], v[22:23], 0, 4
	s_waitcnt vmcnt(0)
	v_cmp_ne_u32_e32 vcc, v1, v28
	s_and_b64 s[28:29], vcc, exec
	s_or_b64 s[24:25], s[24:25], s[28:29]
.LBB438_292:                            ;   in Loop: Header=BB438_293 Depth=1
	s_and_b64 s[28:29], exec, s[24:25]
	s_or_b64 s[18:19], s[28:29], s[18:19]
	v_mov_b64_e32 v[28:29], s[26:27]
	s_andn2_b64 exec, exec, s[18:19]
	s_cbranch_execz .LBB438_295
.LBB438_293:                            ; =>This Inner Loop Header: Depth=1
	s_or_b64 s[24:25], s[24:25], exec
	s_cmp_eq_u64 s[16:17], s[26:27]
	s_cbranch_scc0 .LBB438_291
; %bb.294:                              ;   in Loop: Header=BB438_293 Depth=1
                                        ; implicit-def: $vgpr26_vgpr27
                                        ; implicit-def: $vgpr22_vgpr23
	s_mov_b64 s[26:27], s[12:13]
	s_branch .LBB438_292
.LBB438_295:
	s_or_b64 exec, exec, s[18:19]
	v_cmp_gt_i64_e32 vcc, s[12:13], v[28:29]
	s_mov_b32 s16, 0
	v_mov_b32_e32 v47, s16
	v_cndmask_b32_e64 v46, 0, 1, vcc
.LBB438_296:
	s_or_b64 exec, exec, s[4:5]
.LBB438_297:
	v_mul_lo_u32 v1, v13, s12
	v_mul_lo_u32 v26, v12, s13
	v_mad_u64_u32 v[22:23], s[4:5], v12, s12, 0
	v_add3_u32 v23, v23, v26, v1
	s_and_b64 vcc, exec, s[2:3]
	v_lshl_add_u64 v[22:23], v[22:23], 2, s[14:15]
	s_cbranch_vccnz .LBB438_306
; %bb.298:
	global_load_dword v1, v[24:25], off
	global_load_dword v26, v[22:23], off
	v_mov_b64_e32 v[48:49], 1
	s_waitcnt vmcnt(0)
	v_cmp_eq_u32_e32 vcc, v1, v26
	s_and_saveexec_b64 s[4:5], vcc
	s_cbranch_execz .LBB438_305
; %bb.299:
	s_add_u32 s16, s12, -1
	v_lshl_add_u64 v[26:27], v[22:23], 0, 4
	v_lshl_add_u64 v[24:25], v[24:25], 0, 4
	s_addc_u32 s17, s13, -1
	s_mov_b64 s[18:19], 0
	s_mov_b64 s[26:27], 0
                                        ; implicit-def: $sgpr24_sgpr25
	s_branch .LBB438_302
.LBB438_300:                            ;   in Loop: Header=BB438_302 Depth=1
	global_load_dword v1, v[24:25], off
	global_load_dword v28, v[26:27], off
	s_add_u32 s26, s26, 1
	s_addc_u32 s27, s27, 0
	s_andn2_b64 s[24:25], s[24:25], exec
	v_lshl_add_u64 v[26:27], v[26:27], 0, 4
	v_lshl_add_u64 v[24:25], v[24:25], 0, 4
	s_waitcnt vmcnt(0)
	v_cmp_ne_u32_e32 vcc, v1, v28
	s_and_b64 s[28:29], vcc, exec
	s_or_b64 s[24:25], s[24:25], s[28:29]
.LBB438_301:                            ;   in Loop: Header=BB438_302 Depth=1
	s_and_b64 s[28:29], exec, s[24:25]
	s_or_b64 s[18:19], s[28:29], s[18:19]
	v_mov_b64_e32 v[28:29], s[26:27]
	s_andn2_b64 exec, exec, s[18:19]
	s_cbranch_execz .LBB438_304
.LBB438_302:                            ; =>This Inner Loop Header: Depth=1
	s_or_b64 s[24:25], s[24:25], exec
	s_cmp_eq_u64 s[16:17], s[26:27]
	s_cbranch_scc0 .LBB438_300
; %bb.303:                              ;   in Loop: Header=BB438_302 Depth=1
                                        ; implicit-def: $vgpr26_vgpr27
                                        ; implicit-def: $vgpr24_vgpr25
	s_mov_b64 s[26:27], s[12:13]
	s_branch .LBB438_301
.LBB438_304:
	s_or_b64 exec, exec, s[18:19]
	v_cmp_gt_i64_e32 vcc, s[12:13], v[28:29]
	s_mov_b32 s16, 0
	v_mov_b32_e32 v49, s16
	v_cndmask_b32_e64 v48, 0, 1, vcc
.LBB438_305:
	s_or_b64 exec, exec, s[4:5]
.LBB438_306:
	v_mul_lo_u32 v1, v11, s12
	v_mul_lo_u32 v26, v10, s13
	v_mad_u64_u32 v[24:25], s[4:5], v10, s12, 0
	v_add3_u32 v25, v25, v26, v1
	v_mov_b64_e32 v[52:53], 0
	s_and_b64 vcc, exec, s[2:3]
	v_lshl_add_u64 v[24:25], v[24:25], 2, s[14:15]
	v_mov_b64_e32 v[50:51], v[52:53]
	s_cbranch_vccnz .LBB438_315
; %bb.307:
	global_load_dword v1, v[22:23], off
	global_load_dword v26, v[24:25], off
	v_mov_b64_e32 v[50:51], 1
	s_waitcnt vmcnt(0)
	v_cmp_eq_u32_e32 vcc, v1, v26
	s_and_saveexec_b64 s[4:5], vcc
	s_cbranch_execz .LBB438_314
; %bb.308:
	s_add_u32 s16, s12, -1
	v_lshl_add_u64 v[26:27], v[24:25], 0, 4
	v_lshl_add_u64 v[22:23], v[22:23], 0, 4
	s_addc_u32 s17, s13, -1
	s_mov_b64 s[18:19], 0
	s_mov_b64 s[26:27], 0
                                        ; implicit-def: $sgpr24_sgpr25
	s_branch .LBB438_311
.LBB438_309:                            ;   in Loop: Header=BB438_311 Depth=1
	global_load_dword v1, v[22:23], off
	global_load_dword v28, v[26:27], off
	s_add_u32 s26, s26, 1
	s_addc_u32 s27, s27, 0
	s_andn2_b64 s[24:25], s[24:25], exec
	v_lshl_add_u64 v[26:27], v[26:27], 0, 4
	v_lshl_add_u64 v[22:23], v[22:23], 0, 4
	s_waitcnt vmcnt(0)
	v_cmp_ne_u32_e32 vcc, v1, v28
	s_and_b64 s[28:29], vcc, exec
	s_or_b64 s[24:25], s[24:25], s[28:29]
.LBB438_310:                            ;   in Loop: Header=BB438_311 Depth=1
	s_and_b64 s[28:29], exec, s[24:25]
	s_or_b64 s[18:19], s[28:29], s[18:19]
	v_mov_b64_e32 v[28:29], s[26:27]
	s_andn2_b64 exec, exec, s[18:19]
	s_cbranch_execz .LBB438_313
.LBB438_311:                            ; =>This Inner Loop Header: Depth=1
	s_or_b64 s[24:25], s[24:25], exec
	s_cmp_eq_u64 s[16:17], s[26:27]
	s_cbranch_scc0 .LBB438_309
; %bb.312:                              ;   in Loop: Header=BB438_311 Depth=1
                                        ; implicit-def: $vgpr26_vgpr27
                                        ; implicit-def: $vgpr22_vgpr23
	s_mov_b64 s[26:27], s[12:13]
	s_branch .LBB438_310
.LBB438_313:
	s_or_b64 exec, exec, s[18:19]
	v_cmp_gt_i64_e32 vcc, s[12:13], v[28:29]
	s_mov_b32 s16, 0
	v_mov_b32_e32 v51, s16
	v_cndmask_b32_e64 v50, 0, 1, vcc
.LBB438_314:
	s_or_b64 exec, exec, s[4:5]
.LBB438_315:
	v_mul_lo_u32 v1, v9, s12
	v_mul_lo_u32 v26, v8, s13
	v_mad_u64_u32 v[22:23], s[4:5], v8, s12, 0
	v_add3_u32 v23, v23, v26, v1
	s_and_b64 vcc, exec, s[2:3]
	v_lshl_add_u64 v[22:23], v[22:23], 2, s[14:15]
	s_cbranch_vccnz .LBB438_324
; %bb.316:
	global_load_dword v1, v[24:25], off
	global_load_dword v26, v[22:23], off
	v_mov_b64_e32 v[52:53], 1
	s_waitcnt vmcnt(0)
	v_cmp_eq_u32_e32 vcc, v1, v26
	s_and_saveexec_b64 s[4:5], vcc
	s_cbranch_execz .LBB438_323
; %bb.317:
	s_add_u32 s16, s12, -1
	v_lshl_add_u64 v[26:27], v[22:23], 0, 4
	v_lshl_add_u64 v[24:25], v[24:25], 0, 4
	s_addc_u32 s17, s13, -1
	s_mov_b64 s[18:19], 0
	s_mov_b64 s[26:27], 0
                                        ; implicit-def: $sgpr24_sgpr25
	s_branch .LBB438_320
.LBB438_318:                            ;   in Loop: Header=BB438_320 Depth=1
	global_load_dword v1, v[24:25], off
	global_load_dword v28, v[26:27], off
	s_add_u32 s26, s26, 1
	s_addc_u32 s27, s27, 0
	s_andn2_b64 s[24:25], s[24:25], exec
	v_lshl_add_u64 v[26:27], v[26:27], 0, 4
	v_lshl_add_u64 v[24:25], v[24:25], 0, 4
	s_waitcnt vmcnt(0)
	v_cmp_ne_u32_e32 vcc, v1, v28
	s_and_b64 s[28:29], vcc, exec
	s_or_b64 s[24:25], s[24:25], s[28:29]
.LBB438_319:                            ;   in Loop: Header=BB438_320 Depth=1
	s_and_b64 s[28:29], exec, s[24:25]
	s_or_b64 s[18:19], s[28:29], s[18:19]
	v_mov_b64_e32 v[28:29], s[26:27]
	s_andn2_b64 exec, exec, s[18:19]
	s_cbranch_execz .LBB438_322
.LBB438_320:                            ; =>This Inner Loop Header: Depth=1
	s_or_b64 s[24:25], s[24:25], exec
	s_cmp_eq_u64 s[16:17], s[26:27]
	s_cbranch_scc0 .LBB438_318
; %bb.321:                              ;   in Loop: Header=BB438_320 Depth=1
                                        ; implicit-def: $vgpr26_vgpr27
                                        ; implicit-def: $vgpr24_vgpr25
	s_mov_b64 s[26:27], s[12:13]
	s_branch .LBB438_319
.LBB438_322:
	s_or_b64 exec, exec, s[18:19]
	v_cmp_gt_i64_e32 vcc, s[12:13], v[28:29]
	s_mov_b32 s16, 0
	v_mov_b32_e32 v53, s16
	v_cndmask_b32_e64 v52, 0, 1, vcc
.LBB438_323:
	s_or_b64 exec, exec, s[4:5]
.LBB438_324:
	v_mul_lo_u32 v1, v7, s12
	v_mul_lo_u32 v26, v6, s13
	v_mad_u64_u32 v[24:25], s[4:5], v6, s12, 0
	v_add3_u32 v25, v25, v26, v1
	v_mov_b64_e32 v[56:57], 0
	s_and_b64 vcc, exec, s[2:3]
	v_lshl_add_u64 v[24:25], v[24:25], 2, s[14:15]
	v_mov_b64_e32 v[54:55], v[56:57]
	s_cbranch_vccnz .LBB438_333
; %bb.325:
	global_load_dword v1, v[22:23], off
	global_load_dword v26, v[24:25], off
	v_mov_b64_e32 v[54:55], 1
	s_waitcnt vmcnt(0)
	v_cmp_eq_u32_e32 vcc, v1, v26
	s_and_saveexec_b64 s[4:5], vcc
	s_cbranch_execz .LBB438_332
; %bb.326:
	s_add_u32 s16, s12, -1
	v_lshl_add_u64 v[26:27], v[24:25], 0, 4
	v_lshl_add_u64 v[22:23], v[22:23], 0, 4
	s_addc_u32 s17, s13, -1
	s_mov_b64 s[18:19], 0
	s_mov_b64 s[26:27], 0
                                        ; implicit-def: $sgpr24_sgpr25
	s_branch .LBB438_329
.LBB438_327:                            ;   in Loop: Header=BB438_329 Depth=1
	global_load_dword v1, v[22:23], off
	global_load_dword v28, v[26:27], off
	s_add_u32 s26, s26, 1
	s_addc_u32 s27, s27, 0
	s_andn2_b64 s[24:25], s[24:25], exec
	v_lshl_add_u64 v[26:27], v[26:27], 0, 4
	v_lshl_add_u64 v[22:23], v[22:23], 0, 4
	s_waitcnt vmcnt(0)
	v_cmp_ne_u32_e32 vcc, v1, v28
	s_and_b64 s[28:29], vcc, exec
	s_or_b64 s[24:25], s[24:25], s[28:29]
.LBB438_328:                            ;   in Loop: Header=BB438_329 Depth=1
	s_and_b64 s[28:29], exec, s[24:25]
	s_or_b64 s[18:19], s[28:29], s[18:19]
	v_mov_b64_e32 v[28:29], s[26:27]
	s_andn2_b64 exec, exec, s[18:19]
	s_cbranch_execz .LBB438_331
.LBB438_329:                            ; =>This Inner Loop Header: Depth=1
	s_or_b64 s[24:25], s[24:25], exec
	s_cmp_eq_u64 s[16:17], s[26:27]
	s_cbranch_scc0 .LBB438_327
; %bb.330:                              ;   in Loop: Header=BB438_329 Depth=1
                                        ; implicit-def: $vgpr26_vgpr27
                                        ; implicit-def: $vgpr22_vgpr23
	s_mov_b64 s[26:27], s[12:13]
	s_branch .LBB438_328
.LBB438_331:
	s_or_b64 exec, exec, s[18:19]
	v_cmp_gt_i64_e32 vcc, s[12:13], v[28:29]
	s_mov_b32 s16, 0
	v_mov_b32_e32 v55, s16
	v_cndmask_b32_e64 v54, 0, 1, vcc
.LBB438_332:
	s_or_b64 exec, exec, s[4:5]
.LBB438_333:
	v_mul_lo_u32 v1, v5, s12
	v_mul_lo_u32 v26, v4, s13
	v_mad_u64_u32 v[22:23], s[4:5], v4, s12, 0
	v_add3_u32 v23, v23, v26, v1
	s_and_b64 vcc, exec, s[2:3]
	v_lshl_add_u64 v[22:23], v[22:23], 2, s[14:15]
	s_cbranch_vccnz .LBB438_342
; %bb.334:
	global_load_dword v1, v[24:25], off
	global_load_dword v26, v[22:23], off
	v_mov_b64_e32 v[56:57], 1
	s_waitcnt vmcnt(0)
	v_cmp_eq_u32_e32 vcc, v1, v26
	s_and_saveexec_b64 s[4:5], vcc
	s_cbranch_execz .LBB438_341
; %bb.335:
	s_add_u32 s16, s12, -1
	v_lshl_add_u64 v[26:27], v[22:23], 0, 4
	v_lshl_add_u64 v[24:25], v[24:25], 0, 4
	s_addc_u32 s17, s13, -1
	s_mov_b64 s[18:19], 0
	s_mov_b64 s[26:27], 0
                                        ; implicit-def: $sgpr24_sgpr25
	s_branch .LBB438_338
.LBB438_336:                            ;   in Loop: Header=BB438_338 Depth=1
	global_load_dword v1, v[24:25], off
	global_load_dword v28, v[26:27], off
	s_add_u32 s26, s26, 1
	s_addc_u32 s27, s27, 0
	s_andn2_b64 s[24:25], s[24:25], exec
	v_lshl_add_u64 v[26:27], v[26:27], 0, 4
	v_lshl_add_u64 v[24:25], v[24:25], 0, 4
	s_waitcnt vmcnt(0)
	v_cmp_ne_u32_e32 vcc, v1, v28
	s_and_b64 s[28:29], vcc, exec
	s_or_b64 s[24:25], s[24:25], s[28:29]
.LBB438_337:                            ;   in Loop: Header=BB438_338 Depth=1
	s_and_b64 s[28:29], exec, s[24:25]
	s_or_b64 s[18:19], s[28:29], s[18:19]
	v_mov_b64_e32 v[28:29], s[26:27]
	s_andn2_b64 exec, exec, s[18:19]
	s_cbranch_execz .LBB438_340
.LBB438_338:                            ; =>This Inner Loop Header: Depth=1
	s_or_b64 s[24:25], s[24:25], exec
	s_cmp_eq_u64 s[16:17], s[26:27]
	s_cbranch_scc0 .LBB438_336
; %bb.339:                              ;   in Loop: Header=BB438_338 Depth=1
                                        ; implicit-def: $vgpr26_vgpr27
                                        ; implicit-def: $vgpr24_vgpr25
	s_mov_b64 s[26:27], s[12:13]
	s_branch .LBB438_337
.LBB438_340:
	s_or_b64 exec, exec, s[18:19]
	v_cmp_gt_i64_e32 vcc, s[12:13], v[28:29]
	s_mov_b32 s16, 0
	v_mov_b32_e32 v57, s16
	v_cndmask_b32_e64 v56, 0, 1, vcc
.LBB438_341:
	s_or_b64 exec, exec, s[4:5]
.LBB438_342:
	s_and_b64 vcc, exec, s[2:3]
	s_cbranch_vccnz .LBB438_349
; %bb.343:
	v_mul_lo_u32 v1, v3, s12
	v_mul_lo_u32 v26, v2, s13
	v_mad_u64_u32 v[24:25], s[4:5], v2, s12, 0
	v_add3_u32 v25, v25, v26, v1
	v_lshl_add_u64 v[24:25], v[24:25], 2, s[14:15]
	global_load_dword v1, v[22:23], off
	global_load_dword v26, v[24:25], off
	v_mov_b64_e32 v[58:59], 1
	s_waitcnt vmcnt(0)
	v_cmp_eq_u32_e32 vcc, v1, v26
	s_and_saveexec_b64 s[4:5], vcc
	s_cbranch_execz .LBB438_351
; %bb.344:
	s_add_u32 s16, s12, -1
	v_lshl_add_u64 v[24:25], v[24:25], 0, 4
	v_lshl_add_u64 v[22:23], v[22:23], 0, 4
	s_addc_u32 s17, s13, -1
	s_mov_b64 s[18:19], 0
	s_mov_b64 s[26:27], 0
                                        ; implicit-def: $sgpr24_sgpr25
	s_branch .LBB438_347
.LBB438_345:                            ;   in Loop: Header=BB438_347 Depth=1
	global_load_dword v1, v[22:23], off
	global_load_dword v26, v[24:25], off
	s_add_u32 s26, s26, 1
	s_addc_u32 s27, s27, 0
	s_andn2_b64 s[24:25], s[24:25], exec
	v_lshl_add_u64 v[24:25], v[24:25], 0, 4
	v_lshl_add_u64 v[22:23], v[22:23], 0, 4
	s_waitcnt vmcnt(0)
	v_cmp_ne_u32_e32 vcc, v1, v26
	s_and_b64 s[28:29], vcc, exec
	s_or_b64 s[24:25], s[24:25], s[28:29]
.LBB438_346:                            ;   in Loop: Header=BB438_347 Depth=1
	s_and_b64 s[28:29], exec, s[24:25]
	s_or_b64 s[18:19], s[28:29], s[18:19]
	v_mov_b64_e32 v[26:27], s[26:27]
	s_andn2_b64 exec, exec, s[18:19]
	s_cbranch_execz .LBB438_350
.LBB438_347:                            ; =>This Inner Loop Header: Depth=1
	s_or_b64 s[24:25], s[24:25], exec
	s_cmp_eq_u64 s[16:17], s[26:27]
	s_cbranch_scc0 .LBB438_345
; %bb.348:                              ;   in Loop: Header=BB438_347 Depth=1
                                        ; implicit-def: $vgpr24_vgpr25
                                        ; implicit-def: $vgpr22_vgpr23
	s_mov_b64 s[26:27], s[12:13]
	s_branch .LBB438_346
.LBB438_349:
	v_mov_b64_e32 v[58:59], 0
	s_branch .LBB438_352
.LBB438_350:
	s_or_b64 exec, exec, s[18:19]
	v_cmp_gt_i64_e32 vcc, s[12:13], v[26:27]
	s_mov_b32 s16, 0
	v_mov_b32_e32 v59, s16
	v_cndmask_b32_e64 v58, 0, 1, vcc
.LBB438_351:
	s_or_b64 exec, exec, s[4:5]
.LBB438_352:
	v_cmp_ne_u32_e32 vcc, 0, v0
	s_waitcnt lgkmcnt(0)
	s_barrier
	s_waitcnt lgkmcnt(0)
                                        ; implicit-def: $sgpr18_sgpr19
	s_and_saveexec_b64 s[4:5], vcc
	s_cbranch_execz .LBB438_364
; %bb.353:
	s_and_b64 vcc, exec, s[2:3]
	s_cbranch_vccnz .LBB438_360
; %bb.354:
	v_add_u32_e32 v22, -8, v40
	ds_read_b64 v[22:23], v22
	v_mul_lo_u32 v1, v3, s12
	v_mul_lo_u32 v26, v2, s13
	v_mad_u64_u32 v[24:25], s[2:3], v2, s12, 0
	v_add3_u32 v25, v25, v26, v1
	s_waitcnt lgkmcnt(0)
	v_mul_lo_u32 v1, v23, s12
	v_mul_lo_u32 v26, v22, s13
	v_mad_u64_u32 v[22:23], s[2:3], v22, s12, 0
	v_add3_u32 v23, v23, v26, v1
	v_lshl_add_u64 v[24:25], v[24:25], 2, s[14:15]
	v_lshl_add_u64 v[22:23], v[22:23], 2, s[14:15]
	global_load_dword v1, v[24:25], off
	global_load_dword v26, v[22:23], off
	s_mov_b64 s[16:17], -1
	s_waitcnt vmcnt(0)
	v_cmp_eq_u32_e32 vcc, v1, v26
	s_and_saveexec_b64 s[2:3], vcc
	s_cbranch_execz .LBB438_362
; %bb.355:
	s_add_u32 s16, s12, -1
	v_lshl_add_u64 v[22:23], v[22:23], 0, 4
	v_lshl_add_u64 v[24:25], v[24:25], 0, 4
	s_addc_u32 s17, s13, -1
	s_mov_b64 s[18:19], 0
	s_mov_b64 s[26:27], 0
                                        ; implicit-def: $sgpr24_sgpr25
	s_branch .LBB438_358
.LBB438_356:                            ;   in Loop: Header=BB438_358 Depth=1
	global_load_dword v1, v[24:25], off
	global_load_dword v26, v[22:23], off
	s_add_u32 s26, s26, 1
	s_addc_u32 s27, s27, 0
	s_andn2_b64 s[24:25], s[24:25], exec
	v_lshl_add_u64 v[22:23], v[22:23], 0, 4
	v_lshl_add_u64 v[24:25], v[24:25], 0, 4
	s_waitcnt vmcnt(0)
	v_cmp_ne_u32_e32 vcc, v1, v26
	s_and_b64 s[28:29], vcc, exec
	s_or_b64 s[24:25], s[24:25], s[28:29]
.LBB438_357:                            ;   in Loop: Header=BB438_358 Depth=1
	s_and_b64 s[28:29], exec, s[24:25]
	s_or_b64 s[18:19], s[28:29], s[18:19]
	v_mov_b64_e32 v[26:27], s[26:27]
	s_andn2_b64 exec, exec, s[18:19]
	s_cbranch_execz .LBB438_361
.LBB438_358:                            ; =>This Inner Loop Header: Depth=1
	s_or_b64 s[24:25], s[24:25], exec
	s_cmp_eq_u64 s[16:17], s[26:27]
	s_cbranch_scc0 .LBB438_356
; %bb.359:                              ;   in Loop: Header=BB438_358 Depth=1
                                        ; implicit-def: $vgpr22_vgpr23
                                        ; implicit-def: $vgpr24_vgpr25
	s_mov_b64 s[26:27], s[12:13]
	s_branch .LBB438_357
.LBB438_360:
	s_mov_b64 s[16:17], 0
	s_branch .LBB438_363
.LBB438_361:
	s_or_b64 exec, exec, s[18:19]
	v_cmp_gt_i64_e32 vcc, s[12:13], v[26:27]
	s_orn2_b64 s[16:17], vcc, exec
.LBB438_362:
	s_or_b64 exec, exec, s[2:3]
.LBB438_363:
	s_and_b64 s[18:19], s[16:17], exec
	s_or_b64 s[22:23], s[22:23], exec
.LBB438_364:
	s_or_b64 exec, exec, s[4:5]
	v_mov_b64_e32 v[60:61], v[44:45]
	v_mov_b64_e32 v[22:23], v[38:39]
	;; [unrolled: 1-line block ×9, first 2 shown]
	s_branch .LBB438_488
.LBB438_365:
	s_waitcnt lgkmcnt(0)
	v_mad_u32_u24 v22, v0, 11, 10
	v_cmp_gt_i64_e64 s[2:3], s[12:13], 0
	v_cmp_gt_u32_e32 vcc, s10, v22
	v_mul_u32_u24_e32 v1, 11, v0
	v_cndmask_b32_e64 v22, 0, 1, s[2:3]
	v_cmp_ne_u32_e64 s[2:3], 1, v22
	ds_write_b64 v40, v[36:37]
	s_and_saveexec_b64 s[4:5], vcc
	s_cbranch_execz .LBB438_376
; %bb.366:
	s_and_b64 vcc, exec, s[2:3]
	s_cbranch_vccnz .LBB438_373
; %bb.367:
	v_mul_lo_u32 v24, v37, s12
	v_mul_lo_u32 v25, v36, s13
	v_mad_u64_u32 v[22:23], s[16:17], v36, s12, 0
	v_add3_u32 v23, v23, v25, v24
	v_mul_lo_u32 v24, v21, s12
	v_mul_lo_u32 v25, v20, s13
	v_mad_u64_u32 v[26:27], s[16:17], v20, s12, 0
	v_add3_u32 v27, v27, v25, v24
	v_lshl_add_u64 v[24:25], v[22:23], 2, s[14:15]
	v_lshl_add_u64 v[22:23], v[26:27], 2, s[14:15]
	global_load_dword v26, v[24:25], off
	global_load_dword v27, v[22:23], off
	v_mov_b64_e32 v[36:37], 1
	s_waitcnt vmcnt(0)
	v_cmp_eq_u32_e32 vcc, v26, v27
	s_and_saveexec_b64 s[16:17], vcc
	s_cbranch_execz .LBB438_375
; %bb.368:
	s_add_u32 s18, s12, -1
	v_lshl_add_u64 v[22:23], v[22:23], 0, 4
	v_lshl_add_u64 v[24:25], v[24:25], 0, 4
	s_addc_u32 s19, s13, -1
	s_mov_b64 s[24:25], 0
	s_mov_b64 s[28:29], 0
                                        ; implicit-def: $sgpr26_sgpr27
	s_branch .LBB438_371
.LBB438_369:                            ;   in Loop: Header=BB438_371 Depth=1
	global_load_dword v26, v[24:25], off
	global_load_dword v27, v[22:23], off
	s_add_u32 s28, s28, 1
	s_addc_u32 s29, s29, 0
	s_andn2_b64 s[26:27], s[26:27], exec
	v_lshl_add_u64 v[22:23], v[22:23], 0, 4
	v_lshl_add_u64 v[24:25], v[24:25], 0, 4
	s_waitcnt vmcnt(0)
	v_cmp_ne_u32_e32 vcc, v26, v27
	s_and_b64 s[30:31], vcc, exec
	s_or_b64 s[26:27], s[26:27], s[30:31]
.LBB438_370:                            ;   in Loop: Header=BB438_371 Depth=1
	s_and_b64 s[30:31], exec, s[26:27]
	s_or_b64 s[24:25], s[30:31], s[24:25]
	v_mov_b64_e32 v[26:27], s[28:29]
	s_andn2_b64 exec, exec, s[24:25]
	s_cbranch_execz .LBB438_374
.LBB438_371:                            ; =>This Inner Loop Header: Depth=1
	s_or_b64 s[26:27], s[26:27], exec
	s_cmp_eq_u64 s[18:19], s[28:29]
	s_cbranch_scc0 .LBB438_369
; %bb.372:                              ;   in Loop: Header=BB438_371 Depth=1
                                        ; implicit-def: $vgpr22_vgpr23
                                        ; implicit-def: $vgpr24_vgpr25
	s_mov_b64 s[28:29], s[12:13]
	s_branch .LBB438_370
.LBB438_373:
	v_mov_b64_e32 v[36:37], 0
	s_branch .LBB438_376
.LBB438_374:
	s_or_b64 exec, exec, s[24:25]
	v_cmp_gt_i64_e32 vcc, s[12:13], v[26:27]
	s_mov_b32 s18, 0
	v_mov_b32_e32 v37, s18
	v_cndmask_b32_e64 v36, 0, 1, vcc
.LBB438_375:
	s_or_b64 exec, exec, s[16:17]
.LBB438_376:
	s_or_b64 exec, exec, s[4:5]
	v_add_u32_e32 v22, 9, v1
	v_cmp_gt_u32_e32 vcc, s10, v22
	s_and_saveexec_b64 s[4:5], vcc
	s_cbranch_execz .LBB438_387
; %bb.377:
	s_and_b64 vcc, exec, s[2:3]
	s_cbranch_vccnz .LBB438_384
; %bb.378:
	v_mul_lo_u32 v22, v21, s12
	v_mul_lo_u32 v23, v20, s13
	v_mad_u64_u32 v[20:21], s[16:17], v20, s12, 0
	v_add3_u32 v21, v21, v23, v22
	v_mul_lo_u32 v22, v19, s12
	v_mul_lo_u32 v23, v18, s13
	v_mad_u64_u32 v[24:25], s[16:17], v18, s12, 0
	v_add3_u32 v25, v25, v23, v22
	v_lshl_add_u64 v[22:23], v[20:21], 2, s[14:15]
	v_lshl_add_u64 v[24:25], v[24:25], 2, s[14:15]
	global_load_dword v20, v[22:23], off
	global_load_dword v21, v[24:25], off
	s_waitcnt vmcnt(0)
	v_cmp_eq_u32_e32 vcc, v20, v21
	v_mov_b64_e32 v[20:21], 1
	s_and_saveexec_b64 s[16:17], vcc
	s_cbranch_execz .LBB438_386
; %bb.379:
	s_add_u32 s18, s12, -1
	v_lshl_add_u64 v[20:21], v[24:25], 0, 4
	v_lshl_add_u64 v[22:23], v[22:23], 0, 4
	s_addc_u32 s19, s13, -1
	s_mov_b64 s[24:25], 0
	s_mov_b64 s[28:29], 0
                                        ; implicit-def: $sgpr26_sgpr27
	s_branch .LBB438_382
.LBB438_380:                            ;   in Loop: Header=BB438_382 Depth=1
	global_load_dword v24, v[22:23], off
	global_load_dword v25, v[20:21], off
	s_add_u32 s28, s28, 1
	s_addc_u32 s29, s29, 0
	s_andn2_b64 s[26:27], s[26:27], exec
	v_lshl_add_u64 v[20:21], v[20:21], 0, 4
	v_lshl_add_u64 v[22:23], v[22:23], 0, 4
	s_waitcnt vmcnt(0)
	v_cmp_ne_u32_e32 vcc, v24, v25
	s_and_b64 s[30:31], vcc, exec
	s_or_b64 s[26:27], s[26:27], s[30:31]
.LBB438_381:                            ;   in Loop: Header=BB438_382 Depth=1
	s_and_b64 s[30:31], exec, s[26:27]
	s_or_b64 s[24:25], s[30:31], s[24:25]
	v_mov_b64_e32 v[24:25], s[28:29]
	s_andn2_b64 exec, exec, s[24:25]
	s_cbranch_execz .LBB438_385
.LBB438_382:                            ; =>This Inner Loop Header: Depth=1
	s_or_b64 s[26:27], s[26:27], exec
	s_cmp_eq_u64 s[18:19], s[28:29]
	s_cbranch_scc0 .LBB438_380
; %bb.383:                              ;   in Loop: Header=BB438_382 Depth=1
                                        ; implicit-def: $vgpr20_vgpr21
                                        ; implicit-def: $vgpr22_vgpr23
	s_mov_b64 s[28:29], s[12:13]
	s_branch .LBB438_381
.LBB438_384:
	v_mov_b64_e32 v[20:21], 0
	s_branch .LBB438_387
.LBB438_385:
	s_or_b64 exec, exec, s[24:25]
	v_cmp_gt_i64_e32 vcc, s[12:13], v[24:25]
	s_mov_b32 s18, 0
	v_mov_b32_e32 v21, s18
	v_cndmask_b32_e64 v20, 0, 1, vcc
.LBB438_386:
	s_or_b64 exec, exec, s[16:17]
.LBB438_387:
	s_or_b64 exec, exec, s[4:5]
	v_add_u32_e32 v22, 8, v1
	v_cmp_gt_u32_e32 vcc, s10, v22
	s_and_saveexec_b64 s[4:5], vcc
	s_cbranch_execz .LBB438_398
; %bb.388:
	s_and_b64 vcc, exec, s[2:3]
	s_cbranch_vccnz .LBB438_395
; %bb.389:
	v_mul_lo_u32 v22, v19, s12
	v_mul_lo_u32 v23, v18, s13
	v_mad_u64_u32 v[18:19], s[16:17], v18, s12, 0
	v_add3_u32 v19, v19, v23, v22
	v_mul_lo_u32 v22, v17, s12
	v_mul_lo_u32 v23, v16, s13
	v_mad_u64_u32 v[24:25], s[16:17], v16, s12, 0
	v_add3_u32 v25, v25, v23, v22
	v_lshl_add_u64 v[22:23], v[18:19], 2, s[14:15]
	v_lshl_add_u64 v[24:25], v[24:25], 2, s[14:15]
	global_load_dword v18, v[22:23], off
	global_load_dword v19, v[24:25], off
	s_waitcnt vmcnt(0)
	v_cmp_eq_u32_e32 vcc, v18, v19
	v_mov_b64_e32 v[18:19], 1
	s_and_saveexec_b64 s[16:17], vcc
	s_cbranch_execz .LBB438_397
; %bb.390:
	s_add_u32 s18, s12, -1
	v_lshl_add_u64 v[18:19], v[24:25], 0, 4
	v_lshl_add_u64 v[22:23], v[22:23], 0, 4
	s_addc_u32 s19, s13, -1
	s_mov_b64 s[24:25], 0
	s_mov_b64 s[28:29], 0
                                        ; implicit-def: $sgpr26_sgpr27
	s_branch .LBB438_393
.LBB438_391:                            ;   in Loop: Header=BB438_393 Depth=1
	global_load_dword v24, v[22:23], off
	global_load_dword v25, v[18:19], off
	s_add_u32 s28, s28, 1
	s_addc_u32 s29, s29, 0
	s_andn2_b64 s[26:27], s[26:27], exec
	v_lshl_add_u64 v[18:19], v[18:19], 0, 4
	v_lshl_add_u64 v[22:23], v[22:23], 0, 4
	s_waitcnt vmcnt(0)
	v_cmp_ne_u32_e32 vcc, v24, v25
	s_and_b64 s[30:31], vcc, exec
	s_or_b64 s[26:27], s[26:27], s[30:31]
.LBB438_392:                            ;   in Loop: Header=BB438_393 Depth=1
	s_and_b64 s[30:31], exec, s[26:27]
	s_or_b64 s[24:25], s[30:31], s[24:25]
	v_mov_b64_e32 v[24:25], s[28:29]
	s_andn2_b64 exec, exec, s[24:25]
	s_cbranch_execz .LBB438_396
.LBB438_393:                            ; =>This Inner Loop Header: Depth=1
	s_or_b64 s[26:27], s[26:27], exec
	s_cmp_eq_u64 s[18:19], s[28:29]
	s_cbranch_scc0 .LBB438_391
; %bb.394:                              ;   in Loop: Header=BB438_393 Depth=1
                                        ; implicit-def: $vgpr18_vgpr19
                                        ; implicit-def: $vgpr22_vgpr23
	s_mov_b64 s[28:29], s[12:13]
	s_branch .LBB438_392
.LBB438_395:
	v_mov_b64_e32 v[18:19], 0
	s_branch .LBB438_398
.LBB438_396:
	s_or_b64 exec, exec, s[24:25]
	v_cmp_gt_i64_e32 vcc, s[12:13], v[24:25]
	s_mov_b32 s18, 0
	v_mov_b32_e32 v19, s18
	v_cndmask_b32_e64 v18, 0, 1, vcc
.LBB438_397:
	s_or_b64 exec, exec, s[16:17]
.LBB438_398:
	s_or_b64 exec, exec, s[4:5]
	v_add_u32_e32 v22, 7, v1
	v_cmp_gt_u32_e32 vcc, s10, v22
	s_and_saveexec_b64 s[4:5], vcc
	s_cbranch_execz .LBB438_409
; %bb.399:
	s_and_b64 vcc, exec, s[2:3]
	s_cbranch_vccnz .LBB438_406
; %bb.400:
	v_mul_lo_u32 v22, v17, s12
	v_mul_lo_u32 v23, v16, s13
	v_mad_u64_u32 v[16:17], s[16:17], v16, s12, 0
	v_add3_u32 v17, v17, v23, v22
	v_mul_lo_u32 v22, v15, s12
	v_mul_lo_u32 v23, v14, s13
	v_mad_u64_u32 v[24:25], s[16:17], v14, s12, 0
	v_add3_u32 v25, v25, v23, v22
	v_lshl_add_u64 v[22:23], v[16:17], 2, s[14:15]
	v_lshl_add_u64 v[24:25], v[24:25], 2, s[14:15]
	global_load_dword v16, v[22:23], off
	global_load_dword v17, v[24:25], off
	s_waitcnt vmcnt(0)
	v_cmp_eq_u32_e32 vcc, v16, v17
	v_mov_b64_e32 v[16:17], 1
	s_and_saveexec_b64 s[16:17], vcc
	s_cbranch_execz .LBB438_408
; %bb.401:
	s_add_u32 s18, s12, -1
	v_lshl_add_u64 v[16:17], v[24:25], 0, 4
	v_lshl_add_u64 v[22:23], v[22:23], 0, 4
	s_addc_u32 s19, s13, -1
	s_mov_b64 s[24:25], 0
	s_mov_b64 s[28:29], 0
                                        ; implicit-def: $sgpr26_sgpr27
	s_branch .LBB438_404
.LBB438_402:                            ;   in Loop: Header=BB438_404 Depth=1
	global_load_dword v24, v[22:23], off
	global_load_dword v25, v[16:17], off
	s_add_u32 s28, s28, 1
	s_addc_u32 s29, s29, 0
	s_andn2_b64 s[26:27], s[26:27], exec
	v_lshl_add_u64 v[16:17], v[16:17], 0, 4
	v_lshl_add_u64 v[22:23], v[22:23], 0, 4
	s_waitcnt vmcnt(0)
	v_cmp_ne_u32_e32 vcc, v24, v25
	s_and_b64 s[30:31], vcc, exec
	s_or_b64 s[26:27], s[26:27], s[30:31]
.LBB438_403:                            ;   in Loop: Header=BB438_404 Depth=1
	s_and_b64 s[30:31], exec, s[26:27]
	s_or_b64 s[24:25], s[30:31], s[24:25]
	v_mov_b64_e32 v[24:25], s[28:29]
	s_andn2_b64 exec, exec, s[24:25]
	s_cbranch_execz .LBB438_407
.LBB438_404:                            ; =>This Inner Loop Header: Depth=1
	s_or_b64 s[26:27], s[26:27], exec
	s_cmp_eq_u64 s[18:19], s[28:29]
	s_cbranch_scc0 .LBB438_402
; %bb.405:                              ;   in Loop: Header=BB438_404 Depth=1
                                        ; implicit-def: $vgpr16_vgpr17
                                        ; implicit-def: $vgpr22_vgpr23
	s_mov_b64 s[28:29], s[12:13]
	s_branch .LBB438_403
.LBB438_406:
	v_mov_b64_e32 v[16:17], 0
	s_branch .LBB438_409
.LBB438_407:
	s_or_b64 exec, exec, s[24:25]
	v_cmp_gt_i64_e32 vcc, s[12:13], v[24:25]
	s_mov_b32 s18, 0
	v_mov_b32_e32 v17, s18
	v_cndmask_b32_e64 v16, 0, 1, vcc
.LBB438_408:
	s_or_b64 exec, exec, s[16:17]
.LBB438_409:
	s_or_b64 exec, exec, s[4:5]
	v_add_u32_e32 v22, 6, v1
	v_cmp_gt_u32_e32 vcc, s10, v22
	s_and_saveexec_b64 s[4:5], vcc
	s_cbranch_execz .LBB438_420
; %bb.410:
	s_and_b64 vcc, exec, s[2:3]
	s_cbranch_vccnz .LBB438_417
; %bb.411:
	v_mul_lo_u32 v22, v15, s12
	v_mul_lo_u32 v23, v14, s13
	v_mad_u64_u32 v[14:15], s[16:17], v14, s12, 0
	v_add3_u32 v15, v15, v23, v22
	v_mul_lo_u32 v22, v13, s12
	v_mul_lo_u32 v23, v12, s13
	v_mad_u64_u32 v[24:25], s[16:17], v12, s12, 0
	v_add3_u32 v25, v25, v23, v22
	v_lshl_add_u64 v[22:23], v[14:15], 2, s[14:15]
	v_lshl_add_u64 v[24:25], v[24:25], 2, s[14:15]
	global_load_dword v14, v[22:23], off
	global_load_dword v15, v[24:25], off
	s_waitcnt vmcnt(0)
	v_cmp_eq_u32_e32 vcc, v14, v15
	v_mov_b64_e32 v[14:15], 1
	s_and_saveexec_b64 s[16:17], vcc
	s_cbranch_execz .LBB438_419
; %bb.412:
	s_add_u32 s18, s12, -1
	v_lshl_add_u64 v[14:15], v[24:25], 0, 4
	v_lshl_add_u64 v[22:23], v[22:23], 0, 4
	s_addc_u32 s19, s13, -1
	s_mov_b64 s[24:25], 0
	s_mov_b64 s[28:29], 0
                                        ; implicit-def: $sgpr26_sgpr27
	s_branch .LBB438_415
.LBB438_413:                            ;   in Loop: Header=BB438_415 Depth=1
	global_load_dword v24, v[22:23], off
	global_load_dword v25, v[14:15], off
	s_add_u32 s28, s28, 1
	s_addc_u32 s29, s29, 0
	s_andn2_b64 s[26:27], s[26:27], exec
	v_lshl_add_u64 v[14:15], v[14:15], 0, 4
	v_lshl_add_u64 v[22:23], v[22:23], 0, 4
	s_waitcnt vmcnt(0)
	v_cmp_ne_u32_e32 vcc, v24, v25
	s_and_b64 s[30:31], vcc, exec
	s_or_b64 s[26:27], s[26:27], s[30:31]
.LBB438_414:                            ;   in Loop: Header=BB438_415 Depth=1
	s_and_b64 s[30:31], exec, s[26:27]
	s_or_b64 s[24:25], s[30:31], s[24:25]
	v_mov_b64_e32 v[24:25], s[28:29]
	s_andn2_b64 exec, exec, s[24:25]
	s_cbranch_execz .LBB438_418
.LBB438_415:                            ; =>This Inner Loop Header: Depth=1
	s_or_b64 s[26:27], s[26:27], exec
	s_cmp_eq_u64 s[18:19], s[28:29]
	s_cbranch_scc0 .LBB438_413
; %bb.416:                              ;   in Loop: Header=BB438_415 Depth=1
                                        ; implicit-def: $vgpr14_vgpr15
                                        ; implicit-def: $vgpr22_vgpr23
	s_mov_b64 s[28:29], s[12:13]
	s_branch .LBB438_414
.LBB438_417:
	v_mov_b64_e32 v[14:15], 0
	s_branch .LBB438_420
.LBB438_418:
	s_or_b64 exec, exec, s[24:25]
	v_cmp_gt_i64_e32 vcc, s[12:13], v[24:25]
	s_mov_b32 s18, 0
	v_mov_b32_e32 v15, s18
	v_cndmask_b32_e64 v14, 0, 1, vcc
.LBB438_419:
	s_or_b64 exec, exec, s[16:17]
.LBB438_420:
	s_or_b64 exec, exec, s[4:5]
	v_add_u32_e32 v22, 5, v1
	v_cmp_gt_u32_e32 vcc, s10, v22
	s_and_saveexec_b64 s[4:5], vcc
	s_cbranch_execz .LBB438_431
; %bb.421:
	s_and_b64 vcc, exec, s[2:3]
	s_cbranch_vccnz .LBB438_428
; %bb.422:
	v_mul_lo_u32 v22, v13, s12
	v_mul_lo_u32 v23, v12, s13
	v_mad_u64_u32 v[12:13], s[16:17], v12, s12, 0
	v_add3_u32 v13, v13, v23, v22
	v_mul_lo_u32 v22, v11, s12
	v_mul_lo_u32 v23, v10, s13
	v_mad_u64_u32 v[24:25], s[16:17], v10, s12, 0
	v_add3_u32 v25, v25, v23, v22
	v_lshl_add_u64 v[22:23], v[12:13], 2, s[14:15]
	v_lshl_add_u64 v[24:25], v[24:25], 2, s[14:15]
	global_load_dword v12, v[22:23], off
	global_load_dword v13, v[24:25], off
	s_waitcnt vmcnt(0)
	v_cmp_eq_u32_e32 vcc, v12, v13
	v_mov_b64_e32 v[12:13], 1
	s_and_saveexec_b64 s[16:17], vcc
	s_cbranch_execz .LBB438_430
; %bb.423:
	s_add_u32 s18, s12, -1
	v_lshl_add_u64 v[12:13], v[24:25], 0, 4
	v_lshl_add_u64 v[22:23], v[22:23], 0, 4
	s_addc_u32 s19, s13, -1
	s_mov_b64 s[24:25], 0
	s_mov_b64 s[28:29], 0
                                        ; implicit-def: $sgpr26_sgpr27
	s_branch .LBB438_426
.LBB438_424:                            ;   in Loop: Header=BB438_426 Depth=1
	global_load_dword v24, v[22:23], off
	global_load_dword v25, v[12:13], off
	s_add_u32 s28, s28, 1
	s_addc_u32 s29, s29, 0
	s_andn2_b64 s[26:27], s[26:27], exec
	v_lshl_add_u64 v[12:13], v[12:13], 0, 4
	v_lshl_add_u64 v[22:23], v[22:23], 0, 4
	s_waitcnt vmcnt(0)
	v_cmp_ne_u32_e32 vcc, v24, v25
	s_and_b64 s[30:31], vcc, exec
	s_or_b64 s[26:27], s[26:27], s[30:31]
.LBB438_425:                            ;   in Loop: Header=BB438_426 Depth=1
	s_and_b64 s[30:31], exec, s[26:27]
	s_or_b64 s[24:25], s[30:31], s[24:25]
	v_mov_b64_e32 v[24:25], s[28:29]
	s_andn2_b64 exec, exec, s[24:25]
	s_cbranch_execz .LBB438_429
.LBB438_426:                            ; =>This Inner Loop Header: Depth=1
	s_or_b64 s[26:27], s[26:27], exec
	s_cmp_eq_u64 s[18:19], s[28:29]
	s_cbranch_scc0 .LBB438_424
; %bb.427:                              ;   in Loop: Header=BB438_426 Depth=1
                                        ; implicit-def: $vgpr12_vgpr13
                                        ; implicit-def: $vgpr22_vgpr23
	s_mov_b64 s[28:29], s[12:13]
	s_branch .LBB438_425
.LBB438_428:
	v_mov_b64_e32 v[12:13], 0
	s_branch .LBB438_431
.LBB438_429:
	s_or_b64 exec, exec, s[24:25]
	v_cmp_gt_i64_e32 vcc, s[12:13], v[24:25]
	s_mov_b32 s18, 0
	v_mov_b32_e32 v13, s18
	v_cndmask_b32_e64 v12, 0, 1, vcc
.LBB438_430:
	s_or_b64 exec, exec, s[16:17]
.LBB438_431:
	s_or_b64 exec, exec, s[4:5]
	v_add_u32_e32 v22, 4, v1
	v_cmp_gt_u32_e32 vcc, s10, v22
	s_and_saveexec_b64 s[4:5], vcc
	s_cbranch_execz .LBB438_442
; %bb.432:
	s_and_b64 vcc, exec, s[2:3]
	s_cbranch_vccnz .LBB438_439
; %bb.433:
	v_mul_lo_u32 v22, v11, s12
	v_mul_lo_u32 v23, v10, s13
	v_mad_u64_u32 v[10:11], s[16:17], v10, s12, 0
	v_add3_u32 v11, v11, v23, v22
	v_mul_lo_u32 v22, v9, s12
	v_mul_lo_u32 v23, v8, s13
	v_mad_u64_u32 v[24:25], s[16:17], v8, s12, 0
	v_add3_u32 v25, v25, v23, v22
	v_lshl_add_u64 v[22:23], v[10:11], 2, s[14:15]
	v_lshl_add_u64 v[24:25], v[24:25], 2, s[14:15]
	global_load_dword v10, v[22:23], off
	global_load_dword v11, v[24:25], off
	s_waitcnt vmcnt(0)
	v_cmp_eq_u32_e32 vcc, v10, v11
	v_mov_b64_e32 v[10:11], 1
	s_and_saveexec_b64 s[16:17], vcc
	s_cbranch_execz .LBB438_441
; %bb.434:
	s_add_u32 s18, s12, -1
	v_lshl_add_u64 v[10:11], v[24:25], 0, 4
	v_lshl_add_u64 v[22:23], v[22:23], 0, 4
	s_addc_u32 s19, s13, -1
	s_mov_b64 s[24:25], 0
	s_mov_b64 s[28:29], 0
                                        ; implicit-def: $sgpr26_sgpr27
	s_branch .LBB438_437
.LBB438_435:                            ;   in Loop: Header=BB438_437 Depth=1
	global_load_dword v24, v[22:23], off
	global_load_dword v25, v[10:11], off
	s_add_u32 s28, s28, 1
	s_addc_u32 s29, s29, 0
	s_andn2_b64 s[26:27], s[26:27], exec
	v_lshl_add_u64 v[10:11], v[10:11], 0, 4
	v_lshl_add_u64 v[22:23], v[22:23], 0, 4
	s_waitcnt vmcnt(0)
	v_cmp_ne_u32_e32 vcc, v24, v25
	s_and_b64 s[30:31], vcc, exec
	s_or_b64 s[26:27], s[26:27], s[30:31]
.LBB438_436:                            ;   in Loop: Header=BB438_437 Depth=1
	s_and_b64 s[30:31], exec, s[26:27]
	s_or_b64 s[24:25], s[30:31], s[24:25]
	v_mov_b64_e32 v[24:25], s[28:29]
	s_andn2_b64 exec, exec, s[24:25]
	s_cbranch_execz .LBB438_440
.LBB438_437:                            ; =>This Inner Loop Header: Depth=1
	s_or_b64 s[26:27], s[26:27], exec
	s_cmp_eq_u64 s[18:19], s[28:29]
	s_cbranch_scc0 .LBB438_435
; %bb.438:                              ;   in Loop: Header=BB438_437 Depth=1
                                        ; implicit-def: $vgpr10_vgpr11
                                        ; implicit-def: $vgpr22_vgpr23
	s_mov_b64 s[28:29], s[12:13]
	s_branch .LBB438_436
.LBB438_439:
	v_mov_b64_e32 v[10:11], 0
	s_branch .LBB438_442
.LBB438_440:
	s_or_b64 exec, exec, s[24:25]
	v_cmp_gt_i64_e32 vcc, s[12:13], v[24:25]
	s_mov_b32 s18, 0
	v_mov_b32_e32 v11, s18
	v_cndmask_b32_e64 v10, 0, 1, vcc
.LBB438_441:
	s_or_b64 exec, exec, s[16:17]
.LBB438_442:
	s_or_b64 exec, exec, s[4:5]
	v_add_u32_e32 v22, 3, v1
	v_cmp_gt_u32_e32 vcc, s10, v22
	s_and_saveexec_b64 s[4:5], vcc
	s_cbranch_execz .LBB438_453
; %bb.443:
	s_and_b64 vcc, exec, s[2:3]
	s_cbranch_vccnz .LBB438_450
; %bb.444:
	v_mul_lo_u32 v22, v9, s12
	v_mul_lo_u32 v23, v8, s13
	v_mad_u64_u32 v[8:9], s[16:17], v8, s12, 0
	v_add3_u32 v9, v9, v23, v22
	v_mul_lo_u32 v22, v7, s12
	v_mul_lo_u32 v23, v6, s13
	v_mad_u64_u32 v[24:25], s[16:17], v6, s12, 0
	v_add3_u32 v25, v25, v23, v22
	v_lshl_add_u64 v[22:23], v[8:9], 2, s[14:15]
	v_lshl_add_u64 v[24:25], v[24:25], 2, s[14:15]
	global_load_dword v8, v[22:23], off
	global_load_dword v9, v[24:25], off
	s_waitcnt vmcnt(0)
	v_cmp_eq_u32_e32 vcc, v8, v9
	v_mov_b64_e32 v[8:9], 1
	s_and_saveexec_b64 s[16:17], vcc
	s_cbranch_execz .LBB438_452
; %bb.445:
	s_add_u32 s18, s12, -1
	v_lshl_add_u64 v[8:9], v[24:25], 0, 4
	v_lshl_add_u64 v[22:23], v[22:23], 0, 4
	s_addc_u32 s19, s13, -1
	s_mov_b64 s[24:25], 0
	s_mov_b64 s[28:29], 0
                                        ; implicit-def: $sgpr26_sgpr27
	s_branch .LBB438_448
.LBB438_446:                            ;   in Loop: Header=BB438_448 Depth=1
	global_load_dword v24, v[22:23], off
	global_load_dword v25, v[8:9], off
	s_add_u32 s28, s28, 1
	s_addc_u32 s29, s29, 0
	s_andn2_b64 s[26:27], s[26:27], exec
	v_lshl_add_u64 v[8:9], v[8:9], 0, 4
	v_lshl_add_u64 v[22:23], v[22:23], 0, 4
	s_waitcnt vmcnt(0)
	v_cmp_ne_u32_e32 vcc, v24, v25
	s_and_b64 s[30:31], vcc, exec
	s_or_b64 s[26:27], s[26:27], s[30:31]
.LBB438_447:                            ;   in Loop: Header=BB438_448 Depth=1
	s_and_b64 s[30:31], exec, s[26:27]
	s_or_b64 s[24:25], s[30:31], s[24:25]
	v_mov_b64_e32 v[24:25], s[28:29]
	s_andn2_b64 exec, exec, s[24:25]
	s_cbranch_execz .LBB438_451
.LBB438_448:                            ; =>This Inner Loop Header: Depth=1
	s_or_b64 s[26:27], s[26:27], exec
	s_cmp_eq_u64 s[18:19], s[28:29]
	s_cbranch_scc0 .LBB438_446
; %bb.449:                              ;   in Loop: Header=BB438_448 Depth=1
                                        ; implicit-def: $vgpr8_vgpr9
                                        ; implicit-def: $vgpr22_vgpr23
	s_mov_b64 s[28:29], s[12:13]
	s_branch .LBB438_447
.LBB438_450:
	v_mov_b64_e32 v[8:9], 0
	s_branch .LBB438_453
.LBB438_451:
	s_or_b64 exec, exec, s[24:25]
	v_cmp_gt_i64_e32 vcc, s[12:13], v[24:25]
	s_mov_b32 s18, 0
	v_mov_b32_e32 v9, s18
	v_cndmask_b32_e64 v8, 0, 1, vcc
.LBB438_452:
	s_or_b64 exec, exec, s[16:17]
.LBB438_453:
	s_or_b64 exec, exec, s[4:5]
	v_add_u32_e32 v22, 2, v1
	v_cmp_gt_u32_e32 vcc, s10, v22
	s_and_saveexec_b64 s[4:5], vcc
	s_cbranch_execz .LBB438_464
; %bb.454:
	s_and_b64 vcc, exec, s[2:3]
	s_cbranch_vccnz .LBB438_461
; %bb.455:
	v_mul_lo_u32 v22, v7, s12
	v_mul_lo_u32 v23, v6, s13
	v_mad_u64_u32 v[6:7], s[16:17], v6, s12, 0
	v_add3_u32 v7, v7, v23, v22
	v_mul_lo_u32 v22, v5, s12
	v_mul_lo_u32 v23, v4, s13
	v_mad_u64_u32 v[24:25], s[16:17], v4, s12, 0
	v_add3_u32 v25, v25, v23, v22
	v_lshl_add_u64 v[22:23], v[6:7], 2, s[14:15]
	v_lshl_add_u64 v[24:25], v[24:25], 2, s[14:15]
	global_load_dword v6, v[22:23], off
	global_load_dword v7, v[24:25], off
	s_waitcnt vmcnt(0)
	v_cmp_eq_u32_e32 vcc, v6, v7
	v_mov_b64_e32 v[6:7], 1
	s_and_saveexec_b64 s[16:17], vcc
	s_cbranch_execz .LBB438_463
; %bb.456:
	s_add_u32 s18, s12, -1
	v_lshl_add_u64 v[6:7], v[24:25], 0, 4
	v_lshl_add_u64 v[22:23], v[22:23], 0, 4
	s_addc_u32 s19, s13, -1
	s_mov_b64 s[24:25], 0
	s_mov_b64 s[28:29], 0
                                        ; implicit-def: $sgpr26_sgpr27
	s_branch .LBB438_459
.LBB438_457:                            ;   in Loop: Header=BB438_459 Depth=1
	global_load_dword v24, v[22:23], off
	global_load_dword v25, v[6:7], off
	s_add_u32 s28, s28, 1
	s_addc_u32 s29, s29, 0
	s_andn2_b64 s[26:27], s[26:27], exec
	v_lshl_add_u64 v[6:7], v[6:7], 0, 4
	v_lshl_add_u64 v[22:23], v[22:23], 0, 4
	s_waitcnt vmcnt(0)
	v_cmp_ne_u32_e32 vcc, v24, v25
	s_and_b64 s[30:31], vcc, exec
	s_or_b64 s[26:27], s[26:27], s[30:31]
.LBB438_458:                            ;   in Loop: Header=BB438_459 Depth=1
	s_and_b64 s[30:31], exec, s[26:27]
	s_or_b64 s[24:25], s[30:31], s[24:25]
	v_mov_b64_e32 v[24:25], s[28:29]
	s_andn2_b64 exec, exec, s[24:25]
	s_cbranch_execz .LBB438_462
.LBB438_459:                            ; =>This Inner Loop Header: Depth=1
	s_or_b64 s[26:27], s[26:27], exec
	s_cmp_eq_u64 s[18:19], s[28:29]
	s_cbranch_scc0 .LBB438_457
; %bb.460:                              ;   in Loop: Header=BB438_459 Depth=1
                                        ; implicit-def: $vgpr6_vgpr7
                                        ; implicit-def: $vgpr22_vgpr23
	s_mov_b64 s[28:29], s[12:13]
	s_branch .LBB438_458
.LBB438_461:
	v_mov_b64_e32 v[6:7], 0
	s_branch .LBB438_464
.LBB438_462:
	s_or_b64 exec, exec, s[24:25]
	v_cmp_gt_i64_e32 vcc, s[12:13], v[24:25]
	s_mov_b32 s18, 0
	v_mov_b32_e32 v7, s18
	v_cndmask_b32_e64 v6, 0, 1, vcc
.LBB438_463:
	s_or_b64 exec, exec, s[16:17]
.LBB438_464:
	s_or_b64 exec, exec, s[4:5]
	v_add_u32_e32 v22, 1, v1
	v_cmp_gt_u32_e32 vcc, s10, v22
	s_and_saveexec_b64 s[4:5], vcc
	s_cbranch_execz .LBB438_475
; %bb.465:
	s_and_b64 vcc, exec, s[2:3]
	s_cbranch_vccnz .LBB438_472
; %bb.466:
	v_mul_lo_u32 v22, v5, s12
	v_mul_lo_u32 v23, v4, s13
	v_mad_u64_u32 v[4:5], s[16:17], v4, s12, 0
	v_add3_u32 v5, v5, v23, v22
	v_mul_lo_u32 v22, v3, s12
	v_mul_lo_u32 v23, v2, s13
	v_mad_u64_u32 v[24:25], s[16:17], v2, s12, 0
	v_add3_u32 v25, v25, v23, v22
	v_lshl_add_u64 v[22:23], v[4:5], 2, s[14:15]
	v_lshl_add_u64 v[24:25], v[24:25], 2, s[14:15]
	global_load_dword v4, v[22:23], off
	global_load_dword v5, v[24:25], off
	s_waitcnt vmcnt(0)
	v_cmp_eq_u32_e32 vcc, v4, v5
	v_mov_b64_e32 v[4:5], 1
	s_and_saveexec_b64 s[16:17], vcc
	s_cbranch_execz .LBB438_474
; %bb.467:
	s_add_u32 s18, s12, -1
	v_lshl_add_u64 v[4:5], v[24:25], 0, 4
	v_lshl_add_u64 v[22:23], v[22:23], 0, 4
	s_addc_u32 s19, s13, -1
	s_mov_b64 s[24:25], 0
	s_mov_b64 s[28:29], 0
                                        ; implicit-def: $sgpr26_sgpr27
	s_branch .LBB438_470
.LBB438_468:                            ;   in Loop: Header=BB438_470 Depth=1
	global_load_dword v24, v[22:23], off
	global_load_dword v25, v[4:5], off
	s_add_u32 s28, s28, 1
	s_addc_u32 s29, s29, 0
	s_andn2_b64 s[26:27], s[26:27], exec
	v_lshl_add_u64 v[4:5], v[4:5], 0, 4
	v_lshl_add_u64 v[22:23], v[22:23], 0, 4
	s_waitcnt vmcnt(0)
	v_cmp_ne_u32_e32 vcc, v24, v25
	s_and_b64 s[30:31], vcc, exec
	s_or_b64 s[26:27], s[26:27], s[30:31]
.LBB438_469:                            ;   in Loop: Header=BB438_470 Depth=1
	s_and_b64 s[30:31], exec, s[26:27]
	s_or_b64 s[24:25], s[30:31], s[24:25]
	v_mov_b64_e32 v[24:25], s[28:29]
	s_andn2_b64 exec, exec, s[24:25]
	s_cbranch_execz .LBB438_473
.LBB438_470:                            ; =>This Inner Loop Header: Depth=1
	s_or_b64 s[26:27], s[26:27], exec
	s_cmp_eq_u64 s[18:19], s[28:29]
	s_cbranch_scc0 .LBB438_468
; %bb.471:                              ;   in Loop: Header=BB438_470 Depth=1
                                        ; implicit-def: $vgpr4_vgpr5
                                        ; implicit-def: $vgpr22_vgpr23
	s_mov_b64 s[28:29], s[12:13]
	s_branch .LBB438_469
.LBB438_472:
	v_mov_b64_e32 v[4:5], 0
	s_branch .LBB438_475
.LBB438_473:
	s_or_b64 exec, exec, s[24:25]
	v_cmp_gt_i64_e32 vcc, s[12:13], v[24:25]
	s_mov_b32 s18, 0
	v_mov_b32_e32 v5, s18
	v_cndmask_b32_e64 v4, 0, 1, vcc
.LBB438_474:
	s_or_b64 exec, exec, s[16:17]
.LBB438_475:
	s_or_b64 exec, exec, s[4:5]
	v_cmp_ne_u32_e32 vcc, 0, v0
	v_cmp_gt_u32_e64 s[4:5], s10, v1
	s_and_b64 s[16:17], vcc, s[4:5]
	s_waitcnt lgkmcnt(0)
	s_barrier
	s_waitcnt lgkmcnt(0)
                                        ; implicit-def: $sgpr18_sgpr19
	s_and_saveexec_b64 s[4:5], s[16:17]
	s_cbranch_execz .LBB438_487
; %bb.476:
	s_and_b64 vcc, exec, s[2:3]
	s_cbranch_vccnz .LBB438_483
; %bb.477:
	v_mul_lo_u32 v1, v3, s12
	v_add_u32_e32 v3, -8, v40
	ds_read_b64 v[22:23], v3
	v_mul_lo_u32 v24, v2, s13
	v_mad_u64_u32 v[2:3], s[2:3], v2, s12, 0
	v_add3_u32 v3, v3, v24, v1
	s_waitcnt lgkmcnt(0)
	v_mul_lo_u32 v1, v23, s12
	v_mul_lo_u32 v23, v22, s13
	v_mad_u64_u32 v[24:25], s[2:3], v22, s12, 0
	v_add3_u32 v25, v25, v23, v1
	v_lshl_add_u64 v[22:23], v[2:3], 2, s[14:15]
	v_lshl_add_u64 v[2:3], v[24:25], 2, s[14:15]
	global_load_dword v1, v[22:23], off
	global_load_dword v24, v[2:3], off
	s_mov_b64 s[14:15], -1
	s_waitcnt vmcnt(0)
	v_cmp_eq_u32_e32 vcc, v1, v24
	s_and_saveexec_b64 s[2:3], vcc
	s_cbranch_execz .LBB438_485
; %bb.478:
	s_add_u32 s14, s12, -1
	v_lshl_add_u64 v[2:3], v[2:3], 0, 4
	v_lshl_add_u64 v[22:23], v[22:23], 0, 4
	s_addc_u32 s15, s13, -1
	s_mov_b64 s[16:17], 0
	s_mov_b64 s[24:25], 0
                                        ; implicit-def: $sgpr18_sgpr19
	s_branch .LBB438_481
.LBB438_479:                            ;   in Loop: Header=BB438_481 Depth=1
	global_load_dword v1, v[22:23], off
	global_load_dword v24, v[2:3], off
	s_add_u32 s24, s24, 1
	s_addc_u32 s25, s25, 0
	s_andn2_b64 s[18:19], s[18:19], exec
	v_lshl_add_u64 v[2:3], v[2:3], 0, 4
	v_lshl_add_u64 v[22:23], v[22:23], 0, 4
	s_waitcnt vmcnt(0)
	v_cmp_ne_u32_e32 vcc, v1, v24
	s_and_b64 s[26:27], vcc, exec
	s_or_b64 s[18:19], s[18:19], s[26:27]
.LBB438_480:                            ;   in Loop: Header=BB438_481 Depth=1
	s_and_b64 s[26:27], exec, s[18:19]
	s_or_b64 s[16:17], s[26:27], s[16:17]
	v_mov_b64_e32 v[24:25], s[24:25]
	s_andn2_b64 exec, exec, s[16:17]
	s_cbranch_execz .LBB438_484
.LBB438_481:                            ; =>This Inner Loop Header: Depth=1
	s_or_b64 s[18:19], s[18:19], exec
	s_cmp_eq_u64 s[14:15], s[24:25]
	s_cbranch_scc0 .LBB438_479
; %bb.482:                              ;   in Loop: Header=BB438_481 Depth=1
                                        ; implicit-def: $vgpr2_vgpr3
                                        ; implicit-def: $vgpr22_vgpr23
	s_mov_b64 s[24:25], s[12:13]
	s_branch .LBB438_480
.LBB438_483:
	s_mov_b64 s[14:15], 0
	s_branch .LBB438_486
.LBB438_484:
	s_or_b64 exec, exec, s[16:17]
	v_cmp_gt_i64_e32 vcc, s[12:13], v[24:25]
	s_orn2_b64 s[14:15], vcc, exec
.LBB438_485:
	s_or_b64 exec, exec, s[2:3]
.LBB438_486:
	s_and_b64 s[18:19], s[14:15], exec
	s_or_b64 s[22:23], s[22:23], exec
.LBB438_487:
	s_or_b64 exec, exec, s[4:5]
	v_mov_b64_e32 v[42:43], v[36:37]
	v_mov_b64_e32 v[44:45], v[20:21]
	;; [unrolled: 1-line block ×19, first 2 shown]
.LBB438_488:
	s_and_saveexec_b64 s[2:3], s[22:23]
	s_cbranch_execz .LBB438_490
; %bb.489:
	s_mov_b32 s4, 0
	v_cndmask_b32_e64 v2, 0, 1, s[18:19]
	v_mov_b32_e32 v3, s4
	v_mov_b64_e32 v[26:27], v[46:47]
	v_mov_b64_e32 v[66:67], v[48:49]
	;; [unrolled: 1-line block ×7, first 2 shown]
	s_waitcnt lgkmcnt(0)
	v_mov_b64_e32 v[22:23], v[38:39]
	v_mov_b64_e32 v[60:61], v[44:45]
.LBB438_490:
	s_or_b64 exec, exec, s[2:3]
	s_add_u32 s4, s8, s6
	s_addc_u32 s5, s9, s7
	s_and_b64 vcc, exec, s[0:1]
	s_waitcnt lgkmcnt(0)
	s_barrier
	s_cbranch_vccz .LBB438_512
; %bb.491:
	s_movk_i32 s2, 0x58
	v_mul_u32_u24_e32 v1, 0x58, v0
	v_mov_b32_e32 v4, v68
	v_mov_b32_e32 v5, v69
	v_mul_i32_i24_e32 v24, 0xffffffb0, v0
	ds_write2_b64 v1, v[2:3], v[4:5] offset1:1
	ds_write2_b64 v1, v[62:63], v[34:35] offset0:2 offset1:3
	ds_write2_b64 v1, v[64:65], v[30:31] offset0:4 offset1:5
	;; [unrolled: 1-line block ×4, first 2 shown]
	ds_write_b64 v1, v[42:43] offset:80
	v_mad_u32_u24 v4, v0, s2, v24
	s_waitcnt lgkmcnt(0)
	s_barrier
	ds_read2st64_b64 v[36:39], v4 offset0:4 offset1:8
	ds_read2st64_b64 v[16:19], v4 offset0:12 offset1:16
	;; [unrolled: 1-line block ×5, first 2 shown]
	s_mov_b32 s21, 0
	s_add_i32 s11, s11, s10
	s_lshl_b64 s[0:1], s[20:21], 3
	s_add_u32 s0, s4, s0
	s_addc_u32 s1, s5, s1
	v_mov_b32_e32 v41, 0
	v_lshl_add_u64 v[20:21], s[0:1], 0, v[40:41]
	v_cmp_gt_u32_e32 vcc, s11, v0
	s_and_saveexec_b64 s[0:1], vcc
	s_cbranch_execz .LBB438_493
; %bb.492:
	v_add_u32_e32 v1, v1, v24
	ds_read_b64 v[24:25], v1
	s_waitcnt lgkmcnt(0)
	global_store_dwordx2 v[20:21], v[24:25], off
.LBB438_493:
	s_or_b64 exec, exec, s[0:1]
	v_or_b32_e32 v1, 0x100, v0
	v_cmp_gt_u32_e32 vcc, s11, v1
	s_and_saveexec_b64 s[0:1], vcc
	s_cbranch_execz .LBB438_495
; %bb.494:
	s_waitcnt lgkmcnt(4)
	global_store_dwordx2 v[20:21], v[36:37], off offset:2048
.LBB438_495:
	s_or_b64 exec, exec, s[0:1]
	v_or_b32_e32 v1, 0x200, v0
	v_cmp_gt_u32_e32 vcc, s11, v1
	s_and_saveexec_b64 s[0:1], vcc
	s_cbranch_execz .LBB438_497
; %bb.496:
	v_add_co_u32_e32 v24, vcc, 0x1000, v20
	s_nop 1
	v_addc_co_u32_e32 v25, vcc, 0, v21, vcc
	s_waitcnt lgkmcnt(4)
	global_store_dwordx2 v[24:25], v[38:39], off
.LBB438_497:
	s_or_b64 exec, exec, s[0:1]
	v_or_b32_e32 v1, 0x300, v0
	v_cmp_gt_u32_e32 vcc, s11, v1
	s_and_saveexec_b64 s[0:1], vcc
	s_cbranch_execz .LBB438_499
; %bb.498:
	v_add_co_u32_e32 v24, vcc, 0x1000, v20
	s_nop 1
	v_addc_co_u32_e32 v25, vcc, 0, v21, vcc
	s_waitcnt lgkmcnt(3)
	global_store_dwordx2 v[24:25], v[16:17], off offset:2048
.LBB438_499:
	s_or_b64 exec, exec, s[0:1]
	v_or_b32_e32 v1, 0x400, v0
	v_cmp_gt_u32_e32 vcc, s11, v1
	s_and_saveexec_b64 s[0:1], vcc
	s_cbranch_execz .LBB438_501
; %bb.500:
	s_waitcnt lgkmcnt(3)
	v_add_co_u32_e32 v16, vcc, 0x2000, v20
	s_nop 1
	v_addc_co_u32_e32 v17, vcc, 0, v21, vcc
	global_store_dwordx2 v[16:17], v[18:19], off
.LBB438_501:
	s_or_b64 exec, exec, s[0:1]
	v_or_b32_e32 v1, 0x500, v0
	v_cmp_gt_u32_e32 vcc, s11, v1
	s_and_saveexec_b64 s[0:1], vcc
	s_cbranch_execz .LBB438_503
; %bb.502:
	s_waitcnt lgkmcnt(3)
	v_add_co_u32_e32 v16, vcc, 0x2000, v20
	s_nop 1
	v_addc_co_u32_e32 v17, vcc, 0, v21, vcc
	s_waitcnt lgkmcnt(2)
	global_store_dwordx2 v[16:17], v[12:13], off offset:2048
.LBB438_503:
	s_or_b64 exec, exec, s[0:1]
	v_or_b32_e32 v1, 0x600, v0
	v_cmp_gt_u32_e32 vcc, s11, v1
	s_and_saveexec_b64 s[0:1], vcc
	s_cbranch_execz .LBB438_505
; %bb.504:
	s_waitcnt lgkmcnt(2)
	v_add_co_u32_e32 v12, vcc, 0x3000, v20
	s_nop 1
	v_addc_co_u32_e32 v13, vcc, 0, v21, vcc
	global_store_dwordx2 v[12:13], v[14:15], off
.LBB438_505:
	s_or_b64 exec, exec, s[0:1]
	v_or_b32_e32 v1, 0x700, v0
	v_cmp_gt_u32_e32 vcc, s11, v1
	s_and_saveexec_b64 s[0:1], vcc
	s_cbranch_execz .LBB438_507
; %bb.506:
	s_waitcnt lgkmcnt(2)
	v_add_co_u32_e32 v12, vcc, 0x3000, v20
	s_nop 1
	v_addc_co_u32_e32 v13, vcc, 0, v21, vcc
	s_waitcnt lgkmcnt(1)
	global_store_dwordx2 v[12:13], v[8:9], off offset:2048
.LBB438_507:
	;; [unrolled: 25-line block ×3, first 2 shown]
	s_or_b64 exec, exec, s[0:1]
	v_or_b32_e32 v1, 0xa00, v0
	v_cmp_gt_u32_e64 s[0:1], s11, v1
	s_branch .LBB438_514
.LBB438_512:
	s_mov_b64 s[0:1], 0
                                        ; implicit-def: $vgpr6_vgpr7
                                        ; implicit-def: $vgpr20_vgpr21
	s_cbranch_execz .LBB438_514
; %bb.513:
	s_mov_b32 s21, 0
	s_lshl_b64 s[2:3], s[20:21], 3
	v_mul_u32_u24_e32 v1, 0x58, v0
	s_add_u32 s2, s4, s2
	s_movk_i32 s4, 0x58
	ds_write2_b64 v1, v[2:3], v[68:69] offset1:1
	ds_write2_b64 v1, v[62:63], v[34:35] offset0:2 offset1:3
	ds_write2_b64 v1, v[64:65], v[30:31] offset0:4 offset1:5
	;; [unrolled: 1-line block ×4, first 2 shown]
	ds_write_b64 v1, v[42:43] offset:80
	v_mul_i32_i24_e32 v1, 0xffffffb0, v0
	s_addc_u32 s3, s5, s3
	s_waitcnt lgkmcnt(6)
	v_mad_u32_u24 v4, v0, s4, v1
	v_mov_b32_e32 v41, 0
	s_waitcnt lgkmcnt(0)
	s_barrier
	ds_read2st64_b64 v[0:3], v4 offset1:4
	ds_read2st64_b64 v[8:11], v4 offset0:8 offset1:12
	ds_read2st64_b64 v[12:15], v4 offset0:16 offset1:20
	;; [unrolled: 1-line block ×4, first 2 shown]
	ds_read_b64 v[6:7], v4 offset:20480
	v_lshl_add_u64 v[20:21], s[2:3], 0, v[40:41]
	s_waitcnt lgkmcnt(5)
	global_store_dwordx2 v40, v[0:1], s[2:3]
	global_store_dwordx2 v40, v[2:3], s[2:3] offset:2048
	s_movk_i32 s2, 0x1000
	v_add_co_u32_e32 v0, vcc, s2, v20
	s_movk_i32 s2, 0x2000
	s_nop 0
	v_addc_co_u32_e32 v1, vcc, 0, v21, vcc
	v_add_co_u32_e32 v2, vcc, s2, v20
	s_or_b64 s[0:1], s[0:1], exec
	s_nop 0
	v_addc_co_u32_e32 v3, vcc, 0, v21, vcc
	s_waitcnt lgkmcnt(4)
	global_store_dwordx2 v[2:3], v[8:9], off offset:-4096
	global_store_dwordx2 v[0:1], v[10:11], off offset:2048
	s_waitcnt lgkmcnt(3)
	global_store_dwordx2 v[2:3], v[12:13], off
	global_store_dwordx2 v[2:3], v[14:15], off offset:2048
	v_add_co_u32_e32 v0, vcc, 0x3000, v20
	s_nop 1
	v_addc_co_u32_e32 v1, vcc, 0, v21, vcc
	s_waitcnt lgkmcnt(2)
	global_store_dwordx2 v[0:1], v[16:17], off
	global_store_dwordx2 v[0:1], v[18:19], off offset:2048
	v_add_co_u32_e32 v0, vcc, 0x4000, v20
	s_nop 1
	v_addc_co_u32_e32 v1, vcc, 0, v21, vcc
	s_waitcnt lgkmcnt(1)
	global_store_dwordx2 v[0:1], v[22:23], off
	global_store_dwordx2 v[0:1], v[24:25], off offset:2048
.LBB438_514:
	s_and_saveexec_b64 s[2:3], s[0:1]
	s_cbranch_execnz .LBB438_516
; %bb.515:
	s_endpgm
.LBB438_516:
	v_add_co_u32_e32 v0, vcc, 0x5000, v20
	s_nop 1
	v_addc_co_u32_e32 v1, vcc, 0, v21, vcc
	s_waitcnt lgkmcnt(0)
	global_store_dwordx2 v[0:1], v[6:7], off
	s_endpgm
	.section	.rodata,"a",@progbits
	.p2align	6, 0x0
	.amdhsa_kernel _ZN7rocprim17ROCPRIM_400000_NS6detail17trampoline_kernelINS0_14default_configENS1_35adjacent_difference_config_selectorILb1ElEEZNS1_24adjacent_difference_implIS3_Lb1ELb0EPlS7_ZN2at6native12_GLOBAL__N_124unique_dim_cuda_templateIiEESt5tupleIJNS8_6TensorESD_SD_EERKSD_lbbbEUlllE1_EE10hipError_tPvRmT2_T3_mT4_P12ihipStream_tbEUlT_E_NS1_11comp_targetILNS1_3genE5ELNS1_11target_archE942ELNS1_3gpuE9ELNS1_3repE0EEENS1_30default_config_static_selectorELNS0_4arch9wavefront6targetE1EEEvT1_
		.amdhsa_group_segment_fixed_size 22528
		.amdhsa_private_segment_fixed_size 0
		.amdhsa_kernarg_size 64
		.amdhsa_user_sgpr_count 2
		.amdhsa_user_sgpr_dispatch_ptr 0
		.amdhsa_user_sgpr_queue_ptr 0
		.amdhsa_user_sgpr_kernarg_segment_ptr 1
		.amdhsa_user_sgpr_dispatch_id 0
		.amdhsa_user_sgpr_kernarg_preload_length 0
		.amdhsa_user_sgpr_kernarg_preload_offset 0
		.amdhsa_user_sgpr_private_segment_size 0
		.amdhsa_uses_dynamic_stack 0
		.amdhsa_enable_private_segment 0
		.amdhsa_system_sgpr_workgroup_id_x 1
		.amdhsa_system_sgpr_workgroup_id_y 0
		.amdhsa_system_sgpr_workgroup_id_z 0
		.amdhsa_system_sgpr_workgroup_info 0
		.amdhsa_system_vgpr_workitem_id 0
		.amdhsa_next_free_vgpr 70
		.amdhsa_next_free_sgpr 38
		.amdhsa_accum_offset 72
		.amdhsa_reserve_vcc 1
		.amdhsa_float_round_mode_32 0
		.amdhsa_float_round_mode_16_64 0
		.amdhsa_float_denorm_mode_32 3
		.amdhsa_float_denorm_mode_16_64 3
		.amdhsa_dx10_clamp 1
		.amdhsa_ieee_mode 1
		.amdhsa_fp16_overflow 0
		.amdhsa_tg_split 0
		.amdhsa_exception_fp_ieee_invalid_op 0
		.amdhsa_exception_fp_denorm_src 0
		.amdhsa_exception_fp_ieee_div_zero 0
		.amdhsa_exception_fp_ieee_overflow 0
		.amdhsa_exception_fp_ieee_underflow 0
		.amdhsa_exception_fp_ieee_inexact 0
		.amdhsa_exception_int_div_zero 0
	.end_amdhsa_kernel
	.section	.text._ZN7rocprim17ROCPRIM_400000_NS6detail17trampoline_kernelINS0_14default_configENS1_35adjacent_difference_config_selectorILb1ElEEZNS1_24adjacent_difference_implIS3_Lb1ELb0EPlS7_ZN2at6native12_GLOBAL__N_124unique_dim_cuda_templateIiEESt5tupleIJNS8_6TensorESD_SD_EERKSD_lbbbEUlllE1_EE10hipError_tPvRmT2_T3_mT4_P12ihipStream_tbEUlT_E_NS1_11comp_targetILNS1_3genE5ELNS1_11target_archE942ELNS1_3gpuE9ELNS1_3repE0EEENS1_30default_config_static_selectorELNS0_4arch9wavefront6targetE1EEEvT1_,"axG",@progbits,_ZN7rocprim17ROCPRIM_400000_NS6detail17trampoline_kernelINS0_14default_configENS1_35adjacent_difference_config_selectorILb1ElEEZNS1_24adjacent_difference_implIS3_Lb1ELb0EPlS7_ZN2at6native12_GLOBAL__N_124unique_dim_cuda_templateIiEESt5tupleIJNS8_6TensorESD_SD_EERKSD_lbbbEUlllE1_EE10hipError_tPvRmT2_T3_mT4_P12ihipStream_tbEUlT_E_NS1_11comp_targetILNS1_3genE5ELNS1_11target_archE942ELNS1_3gpuE9ELNS1_3repE0EEENS1_30default_config_static_selectorELNS0_4arch9wavefront6targetE1EEEvT1_,comdat
.Lfunc_end438:
	.size	_ZN7rocprim17ROCPRIM_400000_NS6detail17trampoline_kernelINS0_14default_configENS1_35adjacent_difference_config_selectorILb1ElEEZNS1_24adjacent_difference_implIS3_Lb1ELb0EPlS7_ZN2at6native12_GLOBAL__N_124unique_dim_cuda_templateIiEESt5tupleIJNS8_6TensorESD_SD_EERKSD_lbbbEUlllE1_EE10hipError_tPvRmT2_T3_mT4_P12ihipStream_tbEUlT_E_NS1_11comp_targetILNS1_3genE5ELNS1_11target_archE942ELNS1_3gpuE9ELNS1_3repE0EEENS1_30default_config_static_selectorELNS0_4arch9wavefront6targetE1EEEvT1_, .Lfunc_end438-_ZN7rocprim17ROCPRIM_400000_NS6detail17trampoline_kernelINS0_14default_configENS1_35adjacent_difference_config_selectorILb1ElEEZNS1_24adjacent_difference_implIS3_Lb1ELb0EPlS7_ZN2at6native12_GLOBAL__N_124unique_dim_cuda_templateIiEESt5tupleIJNS8_6TensorESD_SD_EERKSD_lbbbEUlllE1_EE10hipError_tPvRmT2_T3_mT4_P12ihipStream_tbEUlT_E_NS1_11comp_targetILNS1_3genE5ELNS1_11target_archE942ELNS1_3gpuE9ELNS1_3repE0EEENS1_30default_config_static_selectorELNS0_4arch9wavefront6targetE1EEEvT1_
                                        ; -- End function
	.section	.AMDGPU.csdata,"",@progbits
; Kernel info:
; codeLenInByte = 15780
; NumSgprs: 44
; NumVgprs: 70
; NumAgprs: 0
; TotalNumVgprs: 70
; ScratchSize: 0
; MemoryBound: 0
; FloatMode: 240
; IeeeMode: 1
; LDSByteSize: 22528 bytes/workgroup (compile time only)
; SGPRBlocks: 5
; VGPRBlocks: 8
; NumSGPRsForWavesPerEU: 44
; NumVGPRsForWavesPerEU: 70
; AccumOffset: 72
; Occupancy: 2
; WaveLimiterHint : 1
; COMPUTE_PGM_RSRC2:SCRATCH_EN: 0
; COMPUTE_PGM_RSRC2:USER_SGPR: 2
; COMPUTE_PGM_RSRC2:TRAP_HANDLER: 0
; COMPUTE_PGM_RSRC2:TGID_X_EN: 1
; COMPUTE_PGM_RSRC2:TGID_Y_EN: 0
; COMPUTE_PGM_RSRC2:TGID_Z_EN: 0
; COMPUTE_PGM_RSRC2:TIDIG_COMP_CNT: 0
; COMPUTE_PGM_RSRC3_GFX90A:ACCUM_OFFSET: 17
; COMPUTE_PGM_RSRC3_GFX90A:TG_SPLIT: 0
	.section	.text._ZN7rocprim17ROCPRIM_400000_NS6detail17trampoline_kernelINS0_14default_configENS1_35adjacent_difference_config_selectorILb1ElEEZNS1_24adjacent_difference_implIS3_Lb1ELb0EPlS7_ZN2at6native12_GLOBAL__N_124unique_dim_cuda_templateIiEESt5tupleIJNS8_6TensorESD_SD_EERKSD_lbbbEUlllE1_EE10hipError_tPvRmT2_T3_mT4_P12ihipStream_tbEUlT_E_NS1_11comp_targetILNS1_3genE4ELNS1_11target_archE910ELNS1_3gpuE8ELNS1_3repE0EEENS1_30default_config_static_selectorELNS0_4arch9wavefront6targetE1EEEvT1_,"axG",@progbits,_ZN7rocprim17ROCPRIM_400000_NS6detail17trampoline_kernelINS0_14default_configENS1_35adjacent_difference_config_selectorILb1ElEEZNS1_24adjacent_difference_implIS3_Lb1ELb0EPlS7_ZN2at6native12_GLOBAL__N_124unique_dim_cuda_templateIiEESt5tupleIJNS8_6TensorESD_SD_EERKSD_lbbbEUlllE1_EE10hipError_tPvRmT2_T3_mT4_P12ihipStream_tbEUlT_E_NS1_11comp_targetILNS1_3genE4ELNS1_11target_archE910ELNS1_3gpuE8ELNS1_3repE0EEENS1_30default_config_static_selectorELNS0_4arch9wavefront6targetE1EEEvT1_,comdat
	.globl	_ZN7rocprim17ROCPRIM_400000_NS6detail17trampoline_kernelINS0_14default_configENS1_35adjacent_difference_config_selectorILb1ElEEZNS1_24adjacent_difference_implIS3_Lb1ELb0EPlS7_ZN2at6native12_GLOBAL__N_124unique_dim_cuda_templateIiEESt5tupleIJNS8_6TensorESD_SD_EERKSD_lbbbEUlllE1_EE10hipError_tPvRmT2_T3_mT4_P12ihipStream_tbEUlT_E_NS1_11comp_targetILNS1_3genE4ELNS1_11target_archE910ELNS1_3gpuE8ELNS1_3repE0EEENS1_30default_config_static_selectorELNS0_4arch9wavefront6targetE1EEEvT1_ ; -- Begin function _ZN7rocprim17ROCPRIM_400000_NS6detail17trampoline_kernelINS0_14default_configENS1_35adjacent_difference_config_selectorILb1ElEEZNS1_24adjacent_difference_implIS3_Lb1ELb0EPlS7_ZN2at6native12_GLOBAL__N_124unique_dim_cuda_templateIiEESt5tupleIJNS8_6TensorESD_SD_EERKSD_lbbbEUlllE1_EE10hipError_tPvRmT2_T3_mT4_P12ihipStream_tbEUlT_E_NS1_11comp_targetILNS1_3genE4ELNS1_11target_archE910ELNS1_3gpuE8ELNS1_3repE0EEENS1_30default_config_static_selectorELNS0_4arch9wavefront6targetE1EEEvT1_
	.p2align	8
	.type	_ZN7rocprim17ROCPRIM_400000_NS6detail17trampoline_kernelINS0_14default_configENS1_35adjacent_difference_config_selectorILb1ElEEZNS1_24adjacent_difference_implIS3_Lb1ELb0EPlS7_ZN2at6native12_GLOBAL__N_124unique_dim_cuda_templateIiEESt5tupleIJNS8_6TensorESD_SD_EERKSD_lbbbEUlllE1_EE10hipError_tPvRmT2_T3_mT4_P12ihipStream_tbEUlT_E_NS1_11comp_targetILNS1_3genE4ELNS1_11target_archE910ELNS1_3gpuE8ELNS1_3repE0EEENS1_30default_config_static_selectorELNS0_4arch9wavefront6targetE1EEEvT1_,@function
_ZN7rocprim17ROCPRIM_400000_NS6detail17trampoline_kernelINS0_14default_configENS1_35adjacent_difference_config_selectorILb1ElEEZNS1_24adjacent_difference_implIS3_Lb1ELb0EPlS7_ZN2at6native12_GLOBAL__N_124unique_dim_cuda_templateIiEESt5tupleIJNS8_6TensorESD_SD_EERKSD_lbbbEUlllE1_EE10hipError_tPvRmT2_T3_mT4_P12ihipStream_tbEUlT_E_NS1_11comp_targetILNS1_3genE4ELNS1_11target_archE910ELNS1_3gpuE8ELNS1_3repE0EEENS1_30default_config_static_selectorELNS0_4arch9wavefront6targetE1EEEvT1_: ; @_ZN7rocprim17ROCPRIM_400000_NS6detail17trampoline_kernelINS0_14default_configENS1_35adjacent_difference_config_selectorILb1ElEEZNS1_24adjacent_difference_implIS3_Lb1ELb0EPlS7_ZN2at6native12_GLOBAL__N_124unique_dim_cuda_templateIiEESt5tupleIJNS8_6TensorESD_SD_EERKSD_lbbbEUlllE1_EE10hipError_tPvRmT2_T3_mT4_P12ihipStream_tbEUlT_E_NS1_11comp_targetILNS1_3genE4ELNS1_11target_archE910ELNS1_3gpuE8ELNS1_3repE0EEENS1_30default_config_static_selectorELNS0_4arch9wavefront6targetE1EEEvT1_
; %bb.0:
	.section	.rodata,"a",@progbits
	.p2align	6, 0x0
	.amdhsa_kernel _ZN7rocprim17ROCPRIM_400000_NS6detail17trampoline_kernelINS0_14default_configENS1_35adjacent_difference_config_selectorILb1ElEEZNS1_24adjacent_difference_implIS3_Lb1ELb0EPlS7_ZN2at6native12_GLOBAL__N_124unique_dim_cuda_templateIiEESt5tupleIJNS8_6TensorESD_SD_EERKSD_lbbbEUlllE1_EE10hipError_tPvRmT2_T3_mT4_P12ihipStream_tbEUlT_E_NS1_11comp_targetILNS1_3genE4ELNS1_11target_archE910ELNS1_3gpuE8ELNS1_3repE0EEENS1_30default_config_static_selectorELNS0_4arch9wavefront6targetE1EEEvT1_
		.amdhsa_group_segment_fixed_size 0
		.amdhsa_private_segment_fixed_size 0
		.amdhsa_kernarg_size 64
		.amdhsa_user_sgpr_count 2
		.amdhsa_user_sgpr_dispatch_ptr 0
		.amdhsa_user_sgpr_queue_ptr 0
		.amdhsa_user_sgpr_kernarg_segment_ptr 1
		.amdhsa_user_sgpr_dispatch_id 0
		.amdhsa_user_sgpr_kernarg_preload_length 0
		.amdhsa_user_sgpr_kernarg_preload_offset 0
		.amdhsa_user_sgpr_private_segment_size 0
		.amdhsa_uses_dynamic_stack 0
		.amdhsa_enable_private_segment 0
		.amdhsa_system_sgpr_workgroup_id_x 1
		.amdhsa_system_sgpr_workgroup_id_y 0
		.amdhsa_system_sgpr_workgroup_id_z 0
		.amdhsa_system_sgpr_workgroup_info 0
		.amdhsa_system_vgpr_workitem_id 0
		.amdhsa_next_free_vgpr 1
		.amdhsa_next_free_sgpr 0
		.amdhsa_accum_offset 4
		.amdhsa_reserve_vcc 0
		.amdhsa_float_round_mode_32 0
		.amdhsa_float_round_mode_16_64 0
		.amdhsa_float_denorm_mode_32 3
		.amdhsa_float_denorm_mode_16_64 3
		.amdhsa_dx10_clamp 1
		.amdhsa_ieee_mode 1
		.amdhsa_fp16_overflow 0
		.amdhsa_tg_split 0
		.amdhsa_exception_fp_ieee_invalid_op 0
		.amdhsa_exception_fp_denorm_src 0
		.amdhsa_exception_fp_ieee_div_zero 0
		.amdhsa_exception_fp_ieee_overflow 0
		.amdhsa_exception_fp_ieee_underflow 0
		.amdhsa_exception_fp_ieee_inexact 0
		.amdhsa_exception_int_div_zero 0
	.end_amdhsa_kernel
	.section	.text._ZN7rocprim17ROCPRIM_400000_NS6detail17trampoline_kernelINS0_14default_configENS1_35adjacent_difference_config_selectorILb1ElEEZNS1_24adjacent_difference_implIS3_Lb1ELb0EPlS7_ZN2at6native12_GLOBAL__N_124unique_dim_cuda_templateIiEESt5tupleIJNS8_6TensorESD_SD_EERKSD_lbbbEUlllE1_EE10hipError_tPvRmT2_T3_mT4_P12ihipStream_tbEUlT_E_NS1_11comp_targetILNS1_3genE4ELNS1_11target_archE910ELNS1_3gpuE8ELNS1_3repE0EEENS1_30default_config_static_selectorELNS0_4arch9wavefront6targetE1EEEvT1_,"axG",@progbits,_ZN7rocprim17ROCPRIM_400000_NS6detail17trampoline_kernelINS0_14default_configENS1_35adjacent_difference_config_selectorILb1ElEEZNS1_24adjacent_difference_implIS3_Lb1ELb0EPlS7_ZN2at6native12_GLOBAL__N_124unique_dim_cuda_templateIiEESt5tupleIJNS8_6TensorESD_SD_EERKSD_lbbbEUlllE1_EE10hipError_tPvRmT2_T3_mT4_P12ihipStream_tbEUlT_E_NS1_11comp_targetILNS1_3genE4ELNS1_11target_archE910ELNS1_3gpuE8ELNS1_3repE0EEENS1_30default_config_static_selectorELNS0_4arch9wavefront6targetE1EEEvT1_,comdat
.Lfunc_end439:
	.size	_ZN7rocprim17ROCPRIM_400000_NS6detail17trampoline_kernelINS0_14default_configENS1_35adjacent_difference_config_selectorILb1ElEEZNS1_24adjacent_difference_implIS3_Lb1ELb0EPlS7_ZN2at6native12_GLOBAL__N_124unique_dim_cuda_templateIiEESt5tupleIJNS8_6TensorESD_SD_EERKSD_lbbbEUlllE1_EE10hipError_tPvRmT2_T3_mT4_P12ihipStream_tbEUlT_E_NS1_11comp_targetILNS1_3genE4ELNS1_11target_archE910ELNS1_3gpuE8ELNS1_3repE0EEENS1_30default_config_static_selectorELNS0_4arch9wavefront6targetE1EEEvT1_, .Lfunc_end439-_ZN7rocprim17ROCPRIM_400000_NS6detail17trampoline_kernelINS0_14default_configENS1_35adjacent_difference_config_selectorILb1ElEEZNS1_24adjacent_difference_implIS3_Lb1ELb0EPlS7_ZN2at6native12_GLOBAL__N_124unique_dim_cuda_templateIiEESt5tupleIJNS8_6TensorESD_SD_EERKSD_lbbbEUlllE1_EE10hipError_tPvRmT2_T3_mT4_P12ihipStream_tbEUlT_E_NS1_11comp_targetILNS1_3genE4ELNS1_11target_archE910ELNS1_3gpuE8ELNS1_3repE0EEENS1_30default_config_static_selectorELNS0_4arch9wavefront6targetE1EEEvT1_
                                        ; -- End function
	.section	.AMDGPU.csdata,"",@progbits
; Kernel info:
; codeLenInByte = 0
; NumSgprs: 6
; NumVgprs: 0
; NumAgprs: 0
; TotalNumVgprs: 0
; ScratchSize: 0
; MemoryBound: 0
; FloatMode: 240
; IeeeMode: 1
; LDSByteSize: 0 bytes/workgroup (compile time only)
; SGPRBlocks: 0
; VGPRBlocks: 0
; NumSGPRsForWavesPerEU: 6
; NumVGPRsForWavesPerEU: 1
; AccumOffset: 4
; Occupancy: 8
; WaveLimiterHint : 0
; COMPUTE_PGM_RSRC2:SCRATCH_EN: 0
; COMPUTE_PGM_RSRC2:USER_SGPR: 2
; COMPUTE_PGM_RSRC2:TRAP_HANDLER: 0
; COMPUTE_PGM_RSRC2:TGID_X_EN: 1
; COMPUTE_PGM_RSRC2:TGID_Y_EN: 0
; COMPUTE_PGM_RSRC2:TGID_Z_EN: 0
; COMPUTE_PGM_RSRC2:TIDIG_COMP_CNT: 0
; COMPUTE_PGM_RSRC3_GFX90A:ACCUM_OFFSET: 0
; COMPUTE_PGM_RSRC3_GFX90A:TG_SPLIT: 0
	.section	.text._ZN7rocprim17ROCPRIM_400000_NS6detail17trampoline_kernelINS0_14default_configENS1_35adjacent_difference_config_selectorILb1ElEEZNS1_24adjacent_difference_implIS3_Lb1ELb0EPlS7_ZN2at6native12_GLOBAL__N_124unique_dim_cuda_templateIiEESt5tupleIJNS8_6TensorESD_SD_EERKSD_lbbbEUlllE1_EE10hipError_tPvRmT2_T3_mT4_P12ihipStream_tbEUlT_E_NS1_11comp_targetILNS1_3genE3ELNS1_11target_archE908ELNS1_3gpuE7ELNS1_3repE0EEENS1_30default_config_static_selectorELNS0_4arch9wavefront6targetE1EEEvT1_,"axG",@progbits,_ZN7rocprim17ROCPRIM_400000_NS6detail17trampoline_kernelINS0_14default_configENS1_35adjacent_difference_config_selectorILb1ElEEZNS1_24adjacent_difference_implIS3_Lb1ELb0EPlS7_ZN2at6native12_GLOBAL__N_124unique_dim_cuda_templateIiEESt5tupleIJNS8_6TensorESD_SD_EERKSD_lbbbEUlllE1_EE10hipError_tPvRmT2_T3_mT4_P12ihipStream_tbEUlT_E_NS1_11comp_targetILNS1_3genE3ELNS1_11target_archE908ELNS1_3gpuE7ELNS1_3repE0EEENS1_30default_config_static_selectorELNS0_4arch9wavefront6targetE1EEEvT1_,comdat
	.globl	_ZN7rocprim17ROCPRIM_400000_NS6detail17trampoline_kernelINS0_14default_configENS1_35adjacent_difference_config_selectorILb1ElEEZNS1_24adjacent_difference_implIS3_Lb1ELb0EPlS7_ZN2at6native12_GLOBAL__N_124unique_dim_cuda_templateIiEESt5tupleIJNS8_6TensorESD_SD_EERKSD_lbbbEUlllE1_EE10hipError_tPvRmT2_T3_mT4_P12ihipStream_tbEUlT_E_NS1_11comp_targetILNS1_3genE3ELNS1_11target_archE908ELNS1_3gpuE7ELNS1_3repE0EEENS1_30default_config_static_selectorELNS0_4arch9wavefront6targetE1EEEvT1_ ; -- Begin function _ZN7rocprim17ROCPRIM_400000_NS6detail17trampoline_kernelINS0_14default_configENS1_35adjacent_difference_config_selectorILb1ElEEZNS1_24adjacent_difference_implIS3_Lb1ELb0EPlS7_ZN2at6native12_GLOBAL__N_124unique_dim_cuda_templateIiEESt5tupleIJNS8_6TensorESD_SD_EERKSD_lbbbEUlllE1_EE10hipError_tPvRmT2_T3_mT4_P12ihipStream_tbEUlT_E_NS1_11comp_targetILNS1_3genE3ELNS1_11target_archE908ELNS1_3gpuE7ELNS1_3repE0EEENS1_30default_config_static_selectorELNS0_4arch9wavefront6targetE1EEEvT1_
	.p2align	8
	.type	_ZN7rocprim17ROCPRIM_400000_NS6detail17trampoline_kernelINS0_14default_configENS1_35adjacent_difference_config_selectorILb1ElEEZNS1_24adjacent_difference_implIS3_Lb1ELb0EPlS7_ZN2at6native12_GLOBAL__N_124unique_dim_cuda_templateIiEESt5tupleIJNS8_6TensorESD_SD_EERKSD_lbbbEUlllE1_EE10hipError_tPvRmT2_T3_mT4_P12ihipStream_tbEUlT_E_NS1_11comp_targetILNS1_3genE3ELNS1_11target_archE908ELNS1_3gpuE7ELNS1_3repE0EEENS1_30default_config_static_selectorELNS0_4arch9wavefront6targetE1EEEvT1_,@function
_ZN7rocprim17ROCPRIM_400000_NS6detail17trampoline_kernelINS0_14default_configENS1_35adjacent_difference_config_selectorILb1ElEEZNS1_24adjacent_difference_implIS3_Lb1ELb0EPlS7_ZN2at6native12_GLOBAL__N_124unique_dim_cuda_templateIiEESt5tupleIJNS8_6TensorESD_SD_EERKSD_lbbbEUlllE1_EE10hipError_tPvRmT2_T3_mT4_P12ihipStream_tbEUlT_E_NS1_11comp_targetILNS1_3genE3ELNS1_11target_archE908ELNS1_3gpuE7ELNS1_3repE0EEENS1_30default_config_static_selectorELNS0_4arch9wavefront6targetE1EEEvT1_: ; @_ZN7rocprim17ROCPRIM_400000_NS6detail17trampoline_kernelINS0_14default_configENS1_35adjacent_difference_config_selectorILb1ElEEZNS1_24adjacent_difference_implIS3_Lb1ELb0EPlS7_ZN2at6native12_GLOBAL__N_124unique_dim_cuda_templateIiEESt5tupleIJNS8_6TensorESD_SD_EERKSD_lbbbEUlllE1_EE10hipError_tPvRmT2_T3_mT4_P12ihipStream_tbEUlT_E_NS1_11comp_targetILNS1_3genE3ELNS1_11target_archE908ELNS1_3gpuE7ELNS1_3repE0EEENS1_30default_config_static_selectorELNS0_4arch9wavefront6targetE1EEEvT1_
; %bb.0:
	.section	.rodata,"a",@progbits
	.p2align	6, 0x0
	.amdhsa_kernel _ZN7rocprim17ROCPRIM_400000_NS6detail17trampoline_kernelINS0_14default_configENS1_35adjacent_difference_config_selectorILb1ElEEZNS1_24adjacent_difference_implIS3_Lb1ELb0EPlS7_ZN2at6native12_GLOBAL__N_124unique_dim_cuda_templateIiEESt5tupleIJNS8_6TensorESD_SD_EERKSD_lbbbEUlllE1_EE10hipError_tPvRmT2_T3_mT4_P12ihipStream_tbEUlT_E_NS1_11comp_targetILNS1_3genE3ELNS1_11target_archE908ELNS1_3gpuE7ELNS1_3repE0EEENS1_30default_config_static_selectorELNS0_4arch9wavefront6targetE1EEEvT1_
		.amdhsa_group_segment_fixed_size 0
		.amdhsa_private_segment_fixed_size 0
		.amdhsa_kernarg_size 64
		.amdhsa_user_sgpr_count 2
		.amdhsa_user_sgpr_dispatch_ptr 0
		.amdhsa_user_sgpr_queue_ptr 0
		.amdhsa_user_sgpr_kernarg_segment_ptr 1
		.amdhsa_user_sgpr_dispatch_id 0
		.amdhsa_user_sgpr_kernarg_preload_length 0
		.amdhsa_user_sgpr_kernarg_preload_offset 0
		.amdhsa_user_sgpr_private_segment_size 0
		.amdhsa_uses_dynamic_stack 0
		.amdhsa_enable_private_segment 0
		.amdhsa_system_sgpr_workgroup_id_x 1
		.amdhsa_system_sgpr_workgroup_id_y 0
		.amdhsa_system_sgpr_workgroup_id_z 0
		.amdhsa_system_sgpr_workgroup_info 0
		.amdhsa_system_vgpr_workitem_id 0
		.amdhsa_next_free_vgpr 1
		.amdhsa_next_free_sgpr 0
		.amdhsa_accum_offset 4
		.amdhsa_reserve_vcc 0
		.amdhsa_float_round_mode_32 0
		.amdhsa_float_round_mode_16_64 0
		.amdhsa_float_denorm_mode_32 3
		.amdhsa_float_denorm_mode_16_64 3
		.amdhsa_dx10_clamp 1
		.amdhsa_ieee_mode 1
		.amdhsa_fp16_overflow 0
		.amdhsa_tg_split 0
		.amdhsa_exception_fp_ieee_invalid_op 0
		.amdhsa_exception_fp_denorm_src 0
		.amdhsa_exception_fp_ieee_div_zero 0
		.amdhsa_exception_fp_ieee_overflow 0
		.amdhsa_exception_fp_ieee_underflow 0
		.amdhsa_exception_fp_ieee_inexact 0
		.amdhsa_exception_int_div_zero 0
	.end_amdhsa_kernel
	.section	.text._ZN7rocprim17ROCPRIM_400000_NS6detail17trampoline_kernelINS0_14default_configENS1_35adjacent_difference_config_selectorILb1ElEEZNS1_24adjacent_difference_implIS3_Lb1ELb0EPlS7_ZN2at6native12_GLOBAL__N_124unique_dim_cuda_templateIiEESt5tupleIJNS8_6TensorESD_SD_EERKSD_lbbbEUlllE1_EE10hipError_tPvRmT2_T3_mT4_P12ihipStream_tbEUlT_E_NS1_11comp_targetILNS1_3genE3ELNS1_11target_archE908ELNS1_3gpuE7ELNS1_3repE0EEENS1_30default_config_static_selectorELNS0_4arch9wavefront6targetE1EEEvT1_,"axG",@progbits,_ZN7rocprim17ROCPRIM_400000_NS6detail17trampoline_kernelINS0_14default_configENS1_35adjacent_difference_config_selectorILb1ElEEZNS1_24adjacent_difference_implIS3_Lb1ELb0EPlS7_ZN2at6native12_GLOBAL__N_124unique_dim_cuda_templateIiEESt5tupleIJNS8_6TensorESD_SD_EERKSD_lbbbEUlllE1_EE10hipError_tPvRmT2_T3_mT4_P12ihipStream_tbEUlT_E_NS1_11comp_targetILNS1_3genE3ELNS1_11target_archE908ELNS1_3gpuE7ELNS1_3repE0EEENS1_30default_config_static_selectorELNS0_4arch9wavefront6targetE1EEEvT1_,comdat
.Lfunc_end440:
	.size	_ZN7rocprim17ROCPRIM_400000_NS6detail17trampoline_kernelINS0_14default_configENS1_35adjacent_difference_config_selectorILb1ElEEZNS1_24adjacent_difference_implIS3_Lb1ELb0EPlS7_ZN2at6native12_GLOBAL__N_124unique_dim_cuda_templateIiEESt5tupleIJNS8_6TensorESD_SD_EERKSD_lbbbEUlllE1_EE10hipError_tPvRmT2_T3_mT4_P12ihipStream_tbEUlT_E_NS1_11comp_targetILNS1_3genE3ELNS1_11target_archE908ELNS1_3gpuE7ELNS1_3repE0EEENS1_30default_config_static_selectorELNS0_4arch9wavefront6targetE1EEEvT1_, .Lfunc_end440-_ZN7rocprim17ROCPRIM_400000_NS6detail17trampoline_kernelINS0_14default_configENS1_35adjacent_difference_config_selectorILb1ElEEZNS1_24adjacent_difference_implIS3_Lb1ELb0EPlS7_ZN2at6native12_GLOBAL__N_124unique_dim_cuda_templateIiEESt5tupleIJNS8_6TensorESD_SD_EERKSD_lbbbEUlllE1_EE10hipError_tPvRmT2_T3_mT4_P12ihipStream_tbEUlT_E_NS1_11comp_targetILNS1_3genE3ELNS1_11target_archE908ELNS1_3gpuE7ELNS1_3repE0EEENS1_30default_config_static_selectorELNS0_4arch9wavefront6targetE1EEEvT1_
                                        ; -- End function
	.section	.AMDGPU.csdata,"",@progbits
; Kernel info:
; codeLenInByte = 0
; NumSgprs: 6
; NumVgprs: 0
; NumAgprs: 0
; TotalNumVgprs: 0
; ScratchSize: 0
; MemoryBound: 0
; FloatMode: 240
; IeeeMode: 1
; LDSByteSize: 0 bytes/workgroup (compile time only)
; SGPRBlocks: 0
; VGPRBlocks: 0
; NumSGPRsForWavesPerEU: 6
; NumVGPRsForWavesPerEU: 1
; AccumOffset: 4
; Occupancy: 8
; WaveLimiterHint : 0
; COMPUTE_PGM_RSRC2:SCRATCH_EN: 0
; COMPUTE_PGM_RSRC2:USER_SGPR: 2
; COMPUTE_PGM_RSRC2:TRAP_HANDLER: 0
; COMPUTE_PGM_RSRC2:TGID_X_EN: 1
; COMPUTE_PGM_RSRC2:TGID_Y_EN: 0
; COMPUTE_PGM_RSRC2:TGID_Z_EN: 0
; COMPUTE_PGM_RSRC2:TIDIG_COMP_CNT: 0
; COMPUTE_PGM_RSRC3_GFX90A:ACCUM_OFFSET: 0
; COMPUTE_PGM_RSRC3_GFX90A:TG_SPLIT: 0
	.section	.text._ZN7rocprim17ROCPRIM_400000_NS6detail17trampoline_kernelINS0_14default_configENS1_35adjacent_difference_config_selectorILb1ElEEZNS1_24adjacent_difference_implIS3_Lb1ELb0EPlS7_ZN2at6native12_GLOBAL__N_124unique_dim_cuda_templateIiEESt5tupleIJNS8_6TensorESD_SD_EERKSD_lbbbEUlllE1_EE10hipError_tPvRmT2_T3_mT4_P12ihipStream_tbEUlT_E_NS1_11comp_targetILNS1_3genE2ELNS1_11target_archE906ELNS1_3gpuE6ELNS1_3repE0EEENS1_30default_config_static_selectorELNS0_4arch9wavefront6targetE1EEEvT1_,"axG",@progbits,_ZN7rocprim17ROCPRIM_400000_NS6detail17trampoline_kernelINS0_14default_configENS1_35adjacent_difference_config_selectorILb1ElEEZNS1_24adjacent_difference_implIS3_Lb1ELb0EPlS7_ZN2at6native12_GLOBAL__N_124unique_dim_cuda_templateIiEESt5tupleIJNS8_6TensorESD_SD_EERKSD_lbbbEUlllE1_EE10hipError_tPvRmT2_T3_mT4_P12ihipStream_tbEUlT_E_NS1_11comp_targetILNS1_3genE2ELNS1_11target_archE906ELNS1_3gpuE6ELNS1_3repE0EEENS1_30default_config_static_selectorELNS0_4arch9wavefront6targetE1EEEvT1_,comdat
	.globl	_ZN7rocprim17ROCPRIM_400000_NS6detail17trampoline_kernelINS0_14default_configENS1_35adjacent_difference_config_selectorILb1ElEEZNS1_24adjacent_difference_implIS3_Lb1ELb0EPlS7_ZN2at6native12_GLOBAL__N_124unique_dim_cuda_templateIiEESt5tupleIJNS8_6TensorESD_SD_EERKSD_lbbbEUlllE1_EE10hipError_tPvRmT2_T3_mT4_P12ihipStream_tbEUlT_E_NS1_11comp_targetILNS1_3genE2ELNS1_11target_archE906ELNS1_3gpuE6ELNS1_3repE0EEENS1_30default_config_static_selectorELNS0_4arch9wavefront6targetE1EEEvT1_ ; -- Begin function _ZN7rocprim17ROCPRIM_400000_NS6detail17trampoline_kernelINS0_14default_configENS1_35adjacent_difference_config_selectorILb1ElEEZNS1_24adjacent_difference_implIS3_Lb1ELb0EPlS7_ZN2at6native12_GLOBAL__N_124unique_dim_cuda_templateIiEESt5tupleIJNS8_6TensorESD_SD_EERKSD_lbbbEUlllE1_EE10hipError_tPvRmT2_T3_mT4_P12ihipStream_tbEUlT_E_NS1_11comp_targetILNS1_3genE2ELNS1_11target_archE906ELNS1_3gpuE6ELNS1_3repE0EEENS1_30default_config_static_selectorELNS0_4arch9wavefront6targetE1EEEvT1_
	.p2align	8
	.type	_ZN7rocprim17ROCPRIM_400000_NS6detail17trampoline_kernelINS0_14default_configENS1_35adjacent_difference_config_selectorILb1ElEEZNS1_24adjacent_difference_implIS3_Lb1ELb0EPlS7_ZN2at6native12_GLOBAL__N_124unique_dim_cuda_templateIiEESt5tupleIJNS8_6TensorESD_SD_EERKSD_lbbbEUlllE1_EE10hipError_tPvRmT2_T3_mT4_P12ihipStream_tbEUlT_E_NS1_11comp_targetILNS1_3genE2ELNS1_11target_archE906ELNS1_3gpuE6ELNS1_3repE0EEENS1_30default_config_static_selectorELNS0_4arch9wavefront6targetE1EEEvT1_,@function
_ZN7rocprim17ROCPRIM_400000_NS6detail17trampoline_kernelINS0_14default_configENS1_35adjacent_difference_config_selectorILb1ElEEZNS1_24adjacent_difference_implIS3_Lb1ELb0EPlS7_ZN2at6native12_GLOBAL__N_124unique_dim_cuda_templateIiEESt5tupleIJNS8_6TensorESD_SD_EERKSD_lbbbEUlllE1_EE10hipError_tPvRmT2_T3_mT4_P12ihipStream_tbEUlT_E_NS1_11comp_targetILNS1_3genE2ELNS1_11target_archE906ELNS1_3gpuE6ELNS1_3repE0EEENS1_30default_config_static_selectorELNS0_4arch9wavefront6targetE1EEEvT1_: ; @_ZN7rocprim17ROCPRIM_400000_NS6detail17trampoline_kernelINS0_14default_configENS1_35adjacent_difference_config_selectorILb1ElEEZNS1_24adjacent_difference_implIS3_Lb1ELb0EPlS7_ZN2at6native12_GLOBAL__N_124unique_dim_cuda_templateIiEESt5tupleIJNS8_6TensorESD_SD_EERKSD_lbbbEUlllE1_EE10hipError_tPvRmT2_T3_mT4_P12ihipStream_tbEUlT_E_NS1_11comp_targetILNS1_3genE2ELNS1_11target_archE906ELNS1_3gpuE6ELNS1_3repE0EEENS1_30default_config_static_selectorELNS0_4arch9wavefront6targetE1EEEvT1_
; %bb.0:
	.section	.rodata,"a",@progbits
	.p2align	6, 0x0
	.amdhsa_kernel _ZN7rocprim17ROCPRIM_400000_NS6detail17trampoline_kernelINS0_14default_configENS1_35adjacent_difference_config_selectorILb1ElEEZNS1_24adjacent_difference_implIS3_Lb1ELb0EPlS7_ZN2at6native12_GLOBAL__N_124unique_dim_cuda_templateIiEESt5tupleIJNS8_6TensorESD_SD_EERKSD_lbbbEUlllE1_EE10hipError_tPvRmT2_T3_mT4_P12ihipStream_tbEUlT_E_NS1_11comp_targetILNS1_3genE2ELNS1_11target_archE906ELNS1_3gpuE6ELNS1_3repE0EEENS1_30default_config_static_selectorELNS0_4arch9wavefront6targetE1EEEvT1_
		.amdhsa_group_segment_fixed_size 0
		.amdhsa_private_segment_fixed_size 0
		.amdhsa_kernarg_size 64
		.amdhsa_user_sgpr_count 2
		.amdhsa_user_sgpr_dispatch_ptr 0
		.amdhsa_user_sgpr_queue_ptr 0
		.amdhsa_user_sgpr_kernarg_segment_ptr 1
		.amdhsa_user_sgpr_dispatch_id 0
		.amdhsa_user_sgpr_kernarg_preload_length 0
		.amdhsa_user_sgpr_kernarg_preload_offset 0
		.amdhsa_user_sgpr_private_segment_size 0
		.amdhsa_uses_dynamic_stack 0
		.amdhsa_enable_private_segment 0
		.amdhsa_system_sgpr_workgroup_id_x 1
		.amdhsa_system_sgpr_workgroup_id_y 0
		.amdhsa_system_sgpr_workgroup_id_z 0
		.amdhsa_system_sgpr_workgroup_info 0
		.amdhsa_system_vgpr_workitem_id 0
		.amdhsa_next_free_vgpr 1
		.amdhsa_next_free_sgpr 0
		.amdhsa_accum_offset 4
		.amdhsa_reserve_vcc 0
		.amdhsa_float_round_mode_32 0
		.amdhsa_float_round_mode_16_64 0
		.amdhsa_float_denorm_mode_32 3
		.amdhsa_float_denorm_mode_16_64 3
		.amdhsa_dx10_clamp 1
		.amdhsa_ieee_mode 1
		.amdhsa_fp16_overflow 0
		.amdhsa_tg_split 0
		.amdhsa_exception_fp_ieee_invalid_op 0
		.amdhsa_exception_fp_denorm_src 0
		.amdhsa_exception_fp_ieee_div_zero 0
		.amdhsa_exception_fp_ieee_overflow 0
		.amdhsa_exception_fp_ieee_underflow 0
		.amdhsa_exception_fp_ieee_inexact 0
		.amdhsa_exception_int_div_zero 0
	.end_amdhsa_kernel
	.section	.text._ZN7rocprim17ROCPRIM_400000_NS6detail17trampoline_kernelINS0_14default_configENS1_35adjacent_difference_config_selectorILb1ElEEZNS1_24adjacent_difference_implIS3_Lb1ELb0EPlS7_ZN2at6native12_GLOBAL__N_124unique_dim_cuda_templateIiEESt5tupleIJNS8_6TensorESD_SD_EERKSD_lbbbEUlllE1_EE10hipError_tPvRmT2_T3_mT4_P12ihipStream_tbEUlT_E_NS1_11comp_targetILNS1_3genE2ELNS1_11target_archE906ELNS1_3gpuE6ELNS1_3repE0EEENS1_30default_config_static_selectorELNS0_4arch9wavefront6targetE1EEEvT1_,"axG",@progbits,_ZN7rocprim17ROCPRIM_400000_NS6detail17trampoline_kernelINS0_14default_configENS1_35adjacent_difference_config_selectorILb1ElEEZNS1_24adjacent_difference_implIS3_Lb1ELb0EPlS7_ZN2at6native12_GLOBAL__N_124unique_dim_cuda_templateIiEESt5tupleIJNS8_6TensorESD_SD_EERKSD_lbbbEUlllE1_EE10hipError_tPvRmT2_T3_mT4_P12ihipStream_tbEUlT_E_NS1_11comp_targetILNS1_3genE2ELNS1_11target_archE906ELNS1_3gpuE6ELNS1_3repE0EEENS1_30default_config_static_selectorELNS0_4arch9wavefront6targetE1EEEvT1_,comdat
.Lfunc_end441:
	.size	_ZN7rocprim17ROCPRIM_400000_NS6detail17trampoline_kernelINS0_14default_configENS1_35adjacent_difference_config_selectorILb1ElEEZNS1_24adjacent_difference_implIS3_Lb1ELb0EPlS7_ZN2at6native12_GLOBAL__N_124unique_dim_cuda_templateIiEESt5tupleIJNS8_6TensorESD_SD_EERKSD_lbbbEUlllE1_EE10hipError_tPvRmT2_T3_mT4_P12ihipStream_tbEUlT_E_NS1_11comp_targetILNS1_3genE2ELNS1_11target_archE906ELNS1_3gpuE6ELNS1_3repE0EEENS1_30default_config_static_selectorELNS0_4arch9wavefront6targetE1EEEvT1_, .Lfunc_end441-_ZN7rocprim17ROCPRIM_400000_NS6detail17trampoline_kernelINS0_14default_configENS1_35adjacent_difference_config_selectorILb1ElEEZNS1_24adjacent_difference_implIS3_Lb1ELb0EPlS7_ZN2at6native12_GLOBAL__N_124unique_dim_cuda_templateIiEESt5tupleIJNS8_6TensorESD_SD_EERKSD_lbbbEUlllE1_EE10hipError_tPvRmT2_T3_mT4_P12ihipStream_tbEUlT_E_NS1_11comp_targetILNS1_3genE2ELNS1_11target_archE906ELNS1_3gpuE6ELNS1_3repE0EEENS1_30default_config_static_selectorELNS0_4arch9wavefront6targetE1EEEvT1_
                                        ; -- End function
	.section	.AMDGPU.csdata,"",@progbits
; Kernel info:
; codeLenInByte = 0
; NumSgprs: 6
; NumVgprs: 0
; NumAgprs: 0
; TotalNumVgprs: 0
; ScratchSize: 0
; MemoryBound: 0
; FloatMode: 240
; IeeeMode: 1
; LDSByteSize: 0 bytes/workgroup (compile time only)
; SGPRBlocks: 0
; VGPRBlocks: 0
; NumSGPRsForWavesPerEU: 6
; NumVGPRsForWavesPerEU: 1
; AccumOffset: 4
; Occupancy: 8
; WaveLimiterHint : 0
; COMPUTE_PGM_RSRC2:SCRATCH_EN: 0
; COMPUTE_PGM_RSRC2:USER_SGPR: 2
; COMPUTE_PGM_RSRC2:TRAP_HANDLER: 0
; COMPUTE_PGM_RSRC2:TGID_X_EN: 1
; COMPUTE_PGM_RSRC2:TGID_Y_EN: 0
; COMPUTE_PGM_RSRC2:TGID_Z_EN: 0
; COMPUTE_PGM_RSRC2:TIDIG_COMP_CNT: 0
; COMPUTE_PGM_RSRC3_GFX90A:ACCUM_OFFSET: 0
; COMPUTE_PGM_RSRC3_GFX90A:TG_SPLIT: 0
	.section	.text._ZN7rocprim17ROCPRIM_400000_NS6detail17trampoline_kernelINS0_14default_configENS1_35adjacent_difference_config_selectorILb1ElEEZNS1_24adjacent_difference_implIS3_Lb1ELb0EPlS7_ZN2at6native12_GLOBAL__N_124unique_dim_cuda_templateIiEESt5tupleIJNS8_6TensorESD_SD_EERKSD_lbbbEUlllE1_EE10hipError_tPvRmT2_T3_mT4_P12ihipStream_tbEUlT_E_NS1_11comp_targetILNS1_3genE9ELNS1_11target_archE1100ELNS1_3gpuE3ELNS1_3repE0EEENS1_30default_config_static_selectorELNS0_4arch9wavefront6targetE1EEEvT1_,"axG",@progbits,_ZN7rocprim17ROCPRIM_400000_NS6detail17trampoline_kernelINS0_14default_configENS1_35adjacent_difference_config_selectorILb1ElEEZNS1_24adjacent_difference_implIS3_Lb1ELb0EPlS7_ZN2at6native12_GLOBAL__N_124unique_dim_cuda_templateIiEESt5tupleIJNS8_6TensorESD_SD_EERKSD_lbbbEUlllE1_EE10hipError_tPvRmT2_T3_mT4_P12ihipStream_tbEUlT_E_NS1_11comp_targetILNS1_3genE9ELNS1_11target_archE1100ELNS1_3gpuE3ELNS1_3repE0EEENS1_30default_config_static_selectorELNS0_4arch9wavefront6targetE1EEEvT1_,comdat
	.globl	_ZN7rocprim17ROCPRIM_400000_NS6detail17trampoline_kernelINS0_14default_configENS1_35adjacent_difference_config_selectorILb1ElEEZNS1_24adjacent_difference_implIS3_Lb1ELb0EPlS7_ZN2at6native12_GLOBAL__N_124unique_dim_cuda_templateIiEESt5tupleIJNS8_6TensorESD_SD_EERKSD_lbbbEUlllE1_EE10hipError_tPvRmT2_T3_mT4_P12ihipStream_tbEUlT_E_NS1_11comp_targetILNS1_3genE9ELNS1_11target_archE1100ELNS1_3gpuE3ELNS1_3repE0EEENS1_30default_config_static_selectorELNS0_4arch9wavefront6targetE1EEEvT1_ ; -- Begin function _ZN7rocprim17ROCPRIM_400000_NS6detail17trampoline_kernelINS0_14default_configENS1_35adjacent_difference_config_selectorILb1ElEEZNS1_24adjacent_difference_implIS3_Lb1ELb0EPlS7_ZN2at6native12_GLOBAL__N_124unique_dim_cuda_templateIiEESt5tupleIJNS8_6TensorESD_SD_EERKSD_lbbbEUlllE1_EE10hipError_tPvRmT2_T3_mT4_P12ihipStream_tbEUlT_E_NS1_11comp_targetILNS1_3genE9ELNS1_11target_archE1100ELNS1_3gpuE3ELNS1_3repE0EEENS1_30default_config_static_selectorELNS0_4arch9wavefront6targetE1EEEvT1_
	.p2align	8
	.type	_ZN7rocprim17ROCPRIM_400000_NS6detail17trampoline_kernelINS0_14default_configENS1_35adjacent_difference_config_selectorILb1ElEEZNS1_24adjacent_difference_implIS3_Lb1ELb0EPlS7_ZN2at6native12_GLOBAL__N_124unique_dim_cuda_templateIiEESt5tupleIJNS8_6TensorESD_SD_EERKSD_lbbbEUlllE1_EE10hipError_tPvRmT2_T3_mT4_P12ihipStream_tbEUlT_E_NS1_11comp_targetILNS1_3genE9ELNS1_11target_archE1100ELNS1_3gpuE3ELNS1_3repE0EEENS1_30default_config_static_selectorELNS0_4arch9wavefront6targetE1EEEvT1_,@function
_ZN7rocprim17ROCPRIM_400000_NS6detail17trampoline_kernelINS0_14default_configENS1_35adjacent_difference_config_selectorILb1ElEEZNS1_24adjacent_difference_implIS3_Lb1ELb0EPlS7_ZN2at6native12_GLOBAL__N_124unique_dim_cuda_templateIiEESt5tupleIJNS8_6TensorESD_SD_EERKSD_lbbbEUlllE1_EE10hipError_tPvRmT2_T3_mT4_P12ihipStream_tbEUlT_E_NS1_11comp_targetILNS1_3genE9ELNS1_11target_archE1100ELNS1_3gpuE3ELNS1_3repE0EEENS1_30default_config_static_selectorELNS0_4arch9wavefront6targetE1EEEvT1_: ; @_ZN7rocprim17ROCPRIM_400000_NS6detail17trampoline_kernelINS0_14default_configENS1_35adjacent_difference_config_selectorILb1ElEEZNS1_24adjacent_difference_implIS3_Lb1ELb0EPlS7_ZN2at6native12_GLOBAL__N_124unique_dim_cuda_templateIiEESt5tupleIJNS8_6TensorESD_SD_EERKSD_lbbbEUlllE1_EE10hipError_tPvRmT2_T3_mT4_P12ihipStream_tbEUlT_E_NS1_11comp_targetILNS1_3genE9ELNS1_11target_archE1100ELNS1_3gpuE3ELNS1_3repE0EEENS1_30default_config_static_selectorELNS0_4arch9wavefront6targetE1EEEvT1_
; %bb.0:
	.section	.rodata,"a",@progbits
	.p2align	6, 0x0
	.amdhsa_kernel _ZN7rocprim17ROCPRIM_400000_NS6detail17trampoline_kernelINS0_14default_configENS1_35adjacent_difference_config_selectorILb1ElEEZNS1_24adjacent_difference_implIS3_Lb1ELb0EPlS7_ZN2at6native12_GLOBAL__N_124unique_dim_cuda_templateIiEESt5tupleIJNS8_6TensorESD_SD_EERKSD_lbbbEUlllE1_EE10hipError_tPvRmT2_T3_mT4_P12ihipStream_tbEUlT_E_NS1_11comp_targetILNS1_3genE9ELNS1_11target_archE1100ELNS1_3gpuE3ELNS1_3repE0EEENS1_30default_config_static_selectorELNS0_4arch9wavefront6targetE1EEEvT1_
		.amdhsa_group_segment_fixed_size 0
		.amdhsa_private_segment_fixed_size 0
		.amdhsa_kernarg_size 64
		.amdhsa_user_sgpr_count 2
		.amdhsa_user_sgpr_dispatch_ptr 0
		.amdhsa_user_sgpr_queue_ptr 0
		.amdhsa_user_sgpr_kernarg_segment_ptr 1
		.amdhsa_user_sgpr_dispatch_id 0
		.amdhsa_user_sgpr_kernarg_preload_length 0
		.amdhsa_user_sgpr_kernarg_preload_offset 0
		.amdhsa_user_sgpr_private_segment_size 0
		.amdhsa_uses_dynamic_stack 0
		.amdhsa_enable_private_segment 0
		.amdhsa_system_sgpr_workgroup_id_x 1
		.amdhsa_system_sgpr_workgroup_id_y 0
		.amdhsa_system_sgpr_workgroup_id_z 0
		.amdhsa_system_sgpr_workgroup_info 0
		.amdhsa_system_vgpr_workitem_id 0
		.amdhsa_next_free_vgpr 1
		.amdhsa_next_free_sgpr 0
		.amdhsa_accum_offset 4
		.amdhsa_reserve_vcc 0
		.amdhsa_float_round_mode_32 0
		.amdhsa_float_round_mode_16_64 0
		.amdhsa_float_denorm_mode_32 3
		.amdhsa_float_denorm_mode_16_64 3
		.amdhsa_dx10_clamp 1
		.amdhsa_ieee_mode 1
		.amdhsa_fp16_overflow 0
		.amdhsa_tg_split 0
		.amdhsa_exception_fp_ieee_invalid_op 0
		.amdhsa_exception_fp_denorm_src 0
		.amdhsa_exception_fp_ieee_div_zero 0
		.amdhsa_exception_fp_ieee_overflow 0
		.amdhsa_exception_fp_ieee_underflow 0
		.amdhsa_exception_fp_ieee_inexact 0
		.amdhsa_exception_int_div_zero 0
	.end_amdhsa_kernel
	.section	.text._ZN7rocprim17ROCPRIM_400000_NS6detail17trampoline_kernelINS0_14default_configENS1_35adjacent_difference_config_selectorILb1ElEEZNS1_24adjacent_difference_implIS3_Lb1ELb0EPlS7_ZN2at6native12_GLOBAL__N_124unique_dim_cuda_templateIiEESt5tupleIJNS8_6TensorESD_SD_EERKSD_lbbbEUlllE1_EE10hipError_tPvRmT2_T3_mT4_P12ihipStream_tbEUlT_E_NS1_11comp_targetILNS1_3genE9ELNS1_11target_archE1100ELNS1_3gpuE3ELNS1_3repE0EEENS1_30default_config_static_selectorELNS0_4arch9wavefront6targetE1EEEvT1_,"axG",@progbits,_ZN7rocprim17ROCPRIM_400000_NS6detail17trampoline_kernelINS0_14default_configENS1_35adjacent_difference_config_selectorILb1ElEEZNS1_24adjacent_difference_implIS3_Lb1ELb0EPlS7_ZN2at6native12_GLOBAL__N_124unique_dim_cuda_templateIiEESt5tupleIJNS8_6TensorESD_SD_EERKSD_lbbbEUlllE1_EE10hipError_tPvRmT2_T3_mT4_P12ihipStream_tbEUlT_E_NS1_11comp_targetILNS1_3genE9ELNS1_11target_archE1100ELNS1_3gpuE3ELNS1_3repE0EEENS1_30default_config_static_selectorELNS0_4arch9wavefront6targetE1EEEvT1_,comdat
.Lfunc_end442:
	.size	_ZN7rocprim17ROCPRIM_400000_NS6detail17trampoline_kernelINS0_14default_configENS1_35adjacent_difference_config_selectorILb1ElEEZNS1_24adjacent_difference_implIS3_Lb1ELb0EPlS7_ZN2at6native12_GLOBAL__N_124unique_dim_cuda_templateIiEESt5tupleIJNS8_6TensorESD_SD_EERKSD_lbbbEUlllE1_EE10hipError_tPvRmT2_T3_mT4_P12ihipStream_tbEUlT_E_NS1_11comp_targetILNS1_3genE9ELNS1_11target_archE1100ELNS1_3gpuE3ELNS1_3repE0EEENS1_30default_config_static_selectorELNS0_4arch9wavefront6targetE1EEEvT1_, .Lfunc_end442-_ZN7rocprim17ROCPRIM_400000_NS6detail17trampoline_kernelINS0_14default_configENS1_35adjacent_difference_config_selectorILb1ElEEZNS1_24adjacent_difference_implIS3_Lb1ELb0EPlS7_ZN2at6native12_GLOBAL__N_124unique_dim_cuda_templateIiEESt5tupleIJNS8_6TensorESD_SD_EERKSD_lbbbEUlllE1_EE10hipError_tPvRmT2_T3_mT4_P12ihipStream_tbEUlT_E_NS1_11comp_targetILNS1_3genE9ELNS1_11target_archE1100ELNS1_3gpuE3ELNS1_3repE0EEENS1_30default_config_static_selectorELNS0_4arch9wavefront6targetE1EEEvT1_
                                        ; -- End function
	.section	.AMDGPU.csdata,"",@progbits
; Kernel info:
; codeLenInByte = 0
; NumSgprs: 6
; NumVgprs: 0
; NumAgprs: 0
; TotalNumVgprs: 0
; ScratchSize: 0
; MemoryBound: 0
; FloatMode: 240
; IeeeMode: 1
; LDSByteSize: 0 bytes/workgroup (compile time only)
; SGPRBlocks: 0
; VGPRBlocks: 0
; NumSGPRsForWavesPerEU: 6
; NumVGPRsForWavesPerEU: 1
; AccumOffset: 4
; Occupancy: 8
; WaveLimiterHint : 0
; COMPUTE_PGM_RSRC2:SCRATCH_EN: 0
; COMPUTE_PGM_RSRC2:USER_SGPR: 2
; COMPUTE_PGM_RSRC2:TRAP_HANDLER: 0
; COMPUTE_PGM_RSRC2:TGID_X_EN: 1
; COMPUTE_PGM_RSRC2:TGID_Y_EN: 0
; COMPUTE_PGM_RSRC2:TGID_Z_EN: 0
; COMPUTE_PGM_RSRC2:TIDIG_COMP_CNT: 0
; COMPUTE_PGM_RSRC3_GFX90A:ACCUM_OFFSET: 0
; COMPUTE_PGM_RSRC3_GFX90A:TG_SPLIT: 0
	.section	.text._ZN7rocprim17ROCPRIM_400000_NS6detail17trampoline_kernelINS0_14default_configENS1_35adjacent_difference_config_selectorILb1ElEEZNS1_24adjacent_difference_implIS3_Lb1ELb0EPlS7_ZN2at6native12_GLOBAL__N_124unique_dim_cuda_templateIiEESt5tupleIJNS8_6TensorESD_SD_EERKSD_lbbbEUlllE1_EE10hipError_tPvRmT2_T3_mT4_P12ihipStream_tbEUlT_E_NS1_11comp_targetILNS1_3genE8ELNS1_11target_archE1030ELNS1_3gpuE2ELNS1_3repE0EEENS1_30default_config_static_selectorELNS0_4arch9wavefront6targetE1EEEvT1_,"axG",@progbits,_ZN7rocprim17ROCPRIM_400000_NS6detail17trampoline_kernelINS0_14default_configENS1_35adjacent_difference_config_selectorILb1ElEEZNS1_24adjacent_difference_implIS3_Lb1ELb0EPlS7_ZN2at6native12_GLOBAL__N_124unique_dim_cuda_templateIiEESt5tupleIJNS8_6TensorESD_SD_EERKSD_lbbbEUlllE1_EE10hipError_tPvRmT2_T3_mT4_P12ihipStream_tbEUlT_E_NS1_11comp_targetILNS1_3genE8ELNS1_11target_archE1030ELNS1_3gpuE2ELNS1_3repE0EEENS1_30default_config_static_selectorELNS0_4arch9wavefront6targetE1EEEvT1_,comdat
	.globl	_ZN7rocprim17ROCPRIM_400000_NS6detail17trampoline_kernelINS0_14default_configENS1_35adjacent_difference_config_selectorILb1ElEEZNS1_24adjacent_difference_implIS3_Lb1ELb0EPlS7_ZN2at6native12_GLOBAL__N_124unique_dim_cuda_templateIiEESt5tupleIJNS8_6TensorESD_SD_EERKSD_lbbbEUlllE1_EE10hipError_tPvRmT2_T3_mT4_P12ihipStream_tbEUlT_E_NS1_11comp_targetILNS1_3genE8ELNS1_11target_archE1030ELNS1_3gpuE2ELNS1_3repE0EEENS1_30default_config_static_selectorELNS0_4arch9wavefront6targetE1EEEvT1_ ; -- Begin function _ZN7rocprim17ROCPRIM_400000_NS6detail17trampoline_kernelINS0_14default_configENS1_35adjacent_difference_config_selectorILb1ElEEZNS1_24adjacent_difference_implIS3_Lb1ELb0EPlS7_ZN2at6native12_GLOBAL__N_124unique_dim_cuda_templateIiEESt5tupleIJNS8_6TensorESD_SD_EERKSD_lbbbEUlllE1_EE10hipError_tPvRmT2_T3_mT4_P12ihipStream_tbEUlT_E_NS1_11comp_targetILNS1_3genE8ELNS1_11target_archE1030ELNS1_3gpuE2ELNS1_3repE0EEENS1_30default_config_static_selectorELNS0_4arch9wavefront6targetE1EEEvT1_
	.p2align	8
	.type	_ZN7rocprim17ROCPRIM_400000_NS6detail17trampoline_kernelINS0_14default_configENS1_35adjacent_difference_config_selectorILb1ElEEZNS1_24adjacent_difference_implIS3_Lb1ELb0EPlS7_ZN2at6native12_GLOBAL__N_124unique_dim_cuda_templateIiEESt5tupleIJNS8_6TensorESD_SD_EERKSD_lbbbEUlllE1_EE10hipError_tPvRmT2_T3_mT4_P12ihipStream_tbEUlT_E_NS1_11comp_targetILNS1_3genE8ELNS1_11target_archE1030ELNS1_3gpuE2ELNS1_3repE0EEENS1_30default_config_static_selectorELNS0_4arch9wavefront6targetE1EEEvT1_,@function
_ZN7rocprim17ROCPRIM_400000_NS6detail17trampoline_kernelINS0_14default_configENS1_35adjacent_difference_config_selectorILb1ElEEZNS1_24adjacent_difference_implIS3_Lb1ELb0EPlS7_ZN2at6native12_GLOBAL__N_124unique_dim_cuda_templateIiEESt5tupleIJNS8_6TensorESD_SD_EERKSD_lbbbEUlllE1_EE10hipError_tPvRmT2_T3_mT4_P12ihipStream_tbEUlT_E_NS1_11comp_targetILNS1_3genE8ELNS1_11target_archE1030ELNS1_3gpuE2ELNS1_3repE0EEENS1_30default_config_static_selectorELNS0_4arch9wavefront6targetE1EEEvT1_: ; @_ZN7rocprim17ROCPRIM_400000_NS6detail17trampoline_kernelINS0_14default_configENS1_35adjacent_difference_config_selectorILb1ElEEZNS1_24adjacent_difference_implIS3_Lb1ELb0EPlS7_ZN2at6native12_GLOBAL__N_124unique_dim_cuda_templateIiEESt5tupleIJNS8_6TensorESD_SD_EERKSD_lbbbEUlllE1_EE10hipError_tPvRmT2_T3_mT4_P12ihipStream_tbEUlT_E_NS1_11comp_targetILNS1_3genE8ELNS1_11target_archE1030ELNS1_3gpuE2ELNS1_3repE0EEENS1_30default_config_static_selectorELNS0_4arch9wavefront6targetE1EEEvT1_
; %bb.0:
	.section	.rodata,"a",@progbits
	.p2align	6, 0x0
	.amdhsa_kernel _ZN7rocprim17ROCPRIM_400000_NS6detail17trampoline_kernelINS0_14default_configENS1_35adjacent_difference_config_selectorILb1ElEEZNS1_24adjacent_difference_implIS3_Lb1ELb0EPlS7_ZN2at6native12_GLOBAL__N_124unique_dim_cuda_templateIiEESt5tupleIJNS8_6TensorESD_SD_EERKSD_lbbbEUlllE1_EE10hipError_tPvRmT2_T3_mT4_P12ihipStream_tbEUlT_E_NS1_11comp_targetILNS1_3genE8ELNS1_11target_archE1030ELNS1_3gpuE2ELNS1_3repE0EEENS1_30default_config_static_selectorELNS0_4arch9wavefront6targetE1EEEvT1_
		.amdhsa_group_segment_fixed_size 0
		.amdhsa_private_segment_fixed_size 0
		.amdhsa_kernarg_size 64
		.amdhsa_user_sgpr_count 2
		.amdhsa_user_sgpr_dispatch_ptr 0
		.amdhsa_user_sgpr_queue_ptr 0
		.amdhsa_user_sgpr_kernarg_segment_ptr 1
		.amdhsa_user_sgpr_dispatch_id 0
		.amdhsa_user_sgpr_kernarg_preload_length 0
		.amdhsa_user_sgpr_kernarg_preload_offset 0
		.amdhsa_user_sgpr_private_segment_size 0
		.amdhsa_uses_dynamic_stack 0
		.amdhsa_enable_private_segment 0
		.amdhsa_system_sgpr_workgroup_id_x 1
		.amdhsa_system_sgpr_workgroup_id_y 0
		.amdhsa_system_sgpr_workgroup_id_z 0
		.amdhsa_system_sgpr_workgroup_info 0
		.amdhsa_system_vgpr_workitem_id 0
		.amdhsa_next_free_vgpr 1
		.amdhsa_next_free_sgpr 0
		.amdhsa_accum_offset 4
		.amdhsa_reserve_vcc 0
		.amdhsa_float_round_mode_32 0
		.amdhsa_float_round_mode_16_64 0
		.amdhsa_float_denorm_mode_32 3
		.amdhsa_float_denorm_mode_16_64 3
		.amdhsa_dx10_clamp 1
		.amdhsa_ieee_mode 1
		.amdhsa_fp16_overflow 0
		.amdhsa_tg_split 0
		.amdhsa_exception_fp_ieee_invalid_op 0
		.amdhsa_exception_fp_denorm_src 0
		.amdhsa_exception_fp_ieee_div_zero 0
		.amdhsa_exception_fp_ieee_overflow 0
		.amdhsa_exception_fp_ieee_underflow 0
		.amdhsa_exception_fp_ieee_inexact 0
		.amdhsa_exception_int_div_zero 0
	.end_amdhsa_kernel
	.section	.text._ZN7rocprim17ROCPRIM_400000_NS6detail17trampoline_kernelINS0_14default_configENS1_35adjacent_difference_config_selectorILb1ElEEZNS1_24adjacent_difference_implIS3_Lb1ELb0EPlS7_ZN2at6native12_GLOBAL__N_124unique_dim_cuda_templateIiEESt5tupleIJNS8_6TensorESD_SD_EERKSD_lbbbEUlllE1_EE10hipError_tPvRmT2_T3_mT4_P12ihipStream_tbEUlT_E_NS1_11comp_targetILNS1_3genE8ELNS1_11target_archE1030ELNS1_3gpuE2ELNS1_3repE0EEENS1_30default_config_static_selectorELNS0_4arch9wavefront6targetE1EEEvT1_,"axG",@progbits,_ZN7rocprim17ROCPRIM_400000_NS6detail17trampoline_kernelINS0_14default_configENS1_35adjacent_difference_config_selectorILb1ElEEZNS1_24adjacent_difference_implIS3_Lb1ELb0EPlS7_ZN2at6native12_GLOBAL__N_124unique_dim_cuda_templateIiEESt5tupleIJNS8_6TensorESD_SD_EERKSD_lbbbEUlllE1_EE10hipError_tPvRmT2_T3_mT4_P12ihipStream_tbEUlT_E_NS1_11comp_targetILNS1_3genE8ELNS1_11target_archE1030ELNS1_3gpuE2ELNS1_3repE0EEENS1_30default_config_static_selectorELNS0_4arch9wavefront6targetE1EEEvT1_,comdat
.Lfunc_end443:
	.size	_ZN7rocprim17ROCPRIM_400000_NS6detail17trampoline_kernelINS0_14default_configENS1_35adjacent_difference_config_selectorILb1ElEEZNS1_24adjacent_difference_implIS3_Lb1ELb0EPlS7_ZN2at6native12_GLOBAL__N_124unique_dim_cuda_templateIiEESt5tupleIJNS8_6TensorESD_SD_EERKSD_lbbbEUlllE1_EE10hipError_tPvRmT2_T3_mT4_P12ihipStream_tbEUlT_E_NS1_11comp_targetILNS1_3genE8ELNS1_11target_archE1030ELNS1_3gpuE2ELNS1_3repE0EEENS1_30default_config_static_selectorELNS0_4arch9wavefront6targetE1EEEvT1_, .Lfunc_end443-_ZN7rocprim17ROCPRIM_400000_NS6detail17trampoline_kernelINS0_14default_configENS1_35adjacent_difference_config_selectorILb1ElEEZNS1_24adjacent_difference_implIS3_Lb1ELb0EPlS7_ZN2at6native12_GLOBAL__N_124unique_dim_cuda_templateIiEESt5tupleIJNS8_6TensorESD_SD_EERKSD_lbbbEUlllE1_EE10hipError_tPvRmT2_T3_mT4_P12ihipStream_tbEUlT_E_NS1_11comp_targetILNS1_3genE8ELNS1_11target_archE1030ELNS1_3gpuE2ELNS1_3repE0EEENS1_30default_config_static_selectorELNS0_4arch9wavefront6targetE1EEEvT1_
                                        ; -- End function
	.section	.AMDGPU.csdata,"",@progbits
; Kernel info:
; codeLenInByte = 0
; NumSgprs: 6
; NumVgprs: 0
; NumAgprs: 0
; TotalNumVgprs: 0
; ScratchSize: 0
; MemoryBound: 0
; FloatMode: 240
; IeeeMode: 1
; LDSByteSize: 0 bytes/workgroup (compile time only)
; SGPRBlocks: 0
; VGPRBlocks: 0
; NumSGPRsForWavesPerEU: 6
; NumVGPRsForWavesPerEU: 1
; AccumOffset: 4
; Occupancy: 8
; WaveLimiterHint : 0
; COMPUTE_PGM_RSRC2:SCRATCH_EN: 0
; COMPUTE_PGM_RSRC2:USER_SGPR: 2
; COMPUTE_PGM_RSRC2:TRAP_HANDLER: 0
; COMPUTE_PGM_RSRC2:TGID_X_EN: 1
; COMPUTE_PGM_RSRC2:TGID_Y_EN: 0
; COMPUTE_PGM_RSRC2:TGID_Z_EN: 0
; COMPUTE_PGM_RSRC2:TIDIG_COMP_CNT: 0
; COMPUTE_PGM_RSRC3_GFX90A:ACCUM_OFFSET: 0
; COMPUTE_PGM_RSRC3_GFX90A:TG_SPLIT: 0
	.section	.text._ZN7rocprim17ROCPRIM_400000_NS6detail17trampoline_kernelINS0_14default_configENS1_25partition_config_selectorILNS1_17partition_subalgoE8ElNS0_10empty_typeEbEEZZNS1_14partition_implILS5_8ELb0ES3_jPlPS6_PKS6_NS0_5tupleIJS9_S6_EEENSD_IJSA_SA_EEENS0_18inequality_wrapperIZN2at6native12_GLOBAL__N_124unique_dim_cuda_templateIiEESt5tupleIJNSH_6TensorESM_SM_EERKSM_lbbbEUlllE0_EEPmJS6_EEE10hipError_tPvRmT3_T4_T5_T6_T7_T9_mT8_P12ihipStream_tbDpT10_ENKUlT_T0_E_clISt17integral_constantIbLb0EES1C_EEDaS17_S18_EUlS17_E_NS1_11comp_targetILNS1_3genE0ELNS1_11target_archE4294967295ELNS1_3gpuE0ELNS1_3repE0EEENS1_30default_config_static_selectorELNS0_4arch9wavefront6targetE1EEEvT1_,"axG",@progbits,_ZN7rocprim17ROCPRIM_400000_NS6detail17trampoline_kernelINS0_14default_configENS1_25partition_config_selectorILNS1_17partition_subalgoE8ElNS0_10empty_typeEbEEZZNS1_14partition_implILS5_8ELb0ES3_jPlPS6_PKS6_NS0_5tupleIJS9_S6_EEENSD_IJSA_SA_EEENS0_18inequality_wrapperIZN2at6native12_GLOBAL__N_124unique_dim_cuda_templateIiEESt5tupleIJNSH_6TensorESM_SM_EERKSM_lbbbEUlllE0_EEPmJS6_EEE10hipError_tPvRmT3_T4_T5_T6_T7_T9_mT8_P12ihipStream_tbDpT10_ENKUlT_T0_E_clISt17integral_constantIbLb0EES1C_EEDaS17_S18_EUlS17_E_NS1_11comp_targetILNS1_3genE0ELNS1_11target_archE4294967295ELNS1_3gpuE0ELNS1_3repE0EEENS1_30default_config_static_selectorELNS0_4arch9wavefront6targetE1EEEvT1_,comdat
	.globl	_ZN7rocprim17ROCPRIM_400000_NS6detail17trampoline_kernelINS0_14default_configENS1_25partition_config_selectorILNS1_17partition_subalgoE8ElNS0_10empty_typeEbEEZZNS1_14partition_implILS5_8ELb0ES3_jPlPS6_PKS6_NS0_5tupleIJS9_S6_EEENSD_IJSA_SA_EEENS0_18inequality_wrapperIZN2at6native12_GLOBAL__N_124unique_dim_cuda_templateIiEESt5tupleIJNSH_6TensorESM_SM_EERKSM_lbbbEUlllE0_EEPmJS6_EEE10hipError_tPvRmT3_T4_T5_T6_T7_T9_mT8_P12ihipStream_tbDpT10_ENKUlT_T0_E_clISt17integral_constantIbLb0EES1C_EEDaS17_S18_EUlS17_E_NS1_11comp_targetILNS1_3genE0ELNS1_11target_archE4294967295ELNS1_3gpuE0ELNS1_3repE0EEENS1_30default_config_static_selectorELNS0_4arch9wavefront6targetE1EEEvT1_ ; -- Begin function _ZN7rocprim17ROCPRIM_400000_NS6detail17trampoline_kernelINS0_14default_configENS1_25partition_config_selectorILNS1_17partition_subalgoE8ElNS0_10empty_typeEbEEZZNS1_14partition_implILS5_8ELb0ES3_jPlPS6_PKS6_NS0_5tupleIJS9_S6_EEENSD_IJSA_SA_EEENS0_18inequality_wrapperIZN2at6native12_GLOBAL__N_124unique_dim_cuda_templateIiEESt5tupleIJNSH_6TensorESM_SM_EERKSM_lbbbEUlllE0_EEPmJS6_EEE10hipError_tPvRmT3_T4_T5_T6_T7_T9_mT8_P12ihipStream_tbDpT10_ENKUlT_T0_E_clISt17integral_constantIbLb0EES1C_EEDaS17_S18_EUlS17_E_NS1_11comp_targetILNS1_3genE0ELNS1_11target_archE4294967295ELNS1_3gpuE0ELNS1_3repE0EEENS1_30default_config_static_selectorELNS0_4arch9wavefront6targetE1EEEvT1_
	.p2align	8
	.type	_ZN7rocprim17ROCPRIM_400000_NS6detail17trampoline_kernelINS0_14default_configENS1_25partition_config_selectorILNS1_17partition_subalgoE8ElNS0_10empty_typeEbEEZZNS1_14partition_implILS5_8ELb0ES3_jPlPS6_PKS6_NS0_5tupleIJS9_S6_EEENSD_IJSA_SA_EEENS0_18inequality_wrapperIZN2at6native12_GLOBAL__N_124unique_dim_cuda_templateIiEESt5tupleIJNSH_6TensorESM_SM_EERKSM_lbbbEUlllE0_EEPmJS6_EEE10hipError_tPvRmT3_T4_T5_T6_T7_T9_mT8_P12ihipStream_tbDpT10_ENKUlT_T0_E_clISt17integral_constantIbLb0EES1C_EEDaS17_S18_EUlS17_E_NS1_11comp_targetILNS1_3genE0ELNS1_11target_archE4294967295ELNS1_3gpuE0ELNS1_3repE0EEENS1_30default_config_static_selectorELNS0_4arch9wavefront6targetE1EEEvT1_,@function
_ZN7rocprim17ROCPRIM_400000_NS6detail17trampoline_kernelINS0_14default_configENS1_25partition_config_selectorILNS1_17partition_subalgoE8ElNS0_10empty_typeEbEEZZNS1_14partition_implILS5_8ELb0ES3_jPlPS6_PKS6_NS0_5tupleIJS9_S6_EEENSD_IJSA_SA_EEENS0_18inequality_wrapperIZN2at6native12_GLOBAL__N_124unique_dim_cuda_templateIiEESt5tupleIJNSH_6TensorESM_SM_EERKSM_lbbbEUlllE0_EEPmJS6_EEE10hipError_tPvRmT3_T4_T5_T6_T7_T9_mT8_P12ihipStream_tbDpT10_ENKUlT_T0_E_clISt17integral_constantIbLb0EES1C_EEDaS17_S18_EUlS17_E_NS1_11comp_targetILNS1_3genE0ELNS1_11target_archE4294967295ELNS1_3gpuE0ELNS1_3repE0EEENS1_30default_config_static_selectorELNS0_4arch9wavefront6targetE1EEEvT1_: ; @_ZN7rocprim17ROCPRIM_400000_NS6detail17trampoline_kernelINS0_14default_configENS1_25partition_config_selectorILNS1_17partition_subalgoE8ElNS0_10empty_typeEbEEZZNS1_14partition_implILS5_8ELb0ES3_jPlPS6_PKS6_NS0_5tupleIJS9_S6_EEENSD_IJSA_SA_EEENS0_18inequality_wrapperIZN2at6native12_GLOBAL__N_124unique_dim_cuda_templateIiEESt5tupleIJNSH_6TensorESM_SM_EERKSM_lbbbEUlllE0_EEPmJS6_EEE10hipError_tPvRmT3_T4_T5_T6_T7_T9_mT8_P12ihipStream_tbDpT10_ENKUlT_T0_E_clISt17integral_constantIbLb0EES1C_EEDaS17_S18_EUlS17_E_NS1_11comp_targetILNS1_3genE0ELNS1_11target_archE4294967295ELNS1_3gpuE0ELNS1_3repE0EEENS1_30default_config_static_selectorELNS0_4arch9wavefront6targetE1EEEvT1_
; %bb.0:
	.section	.rodata,"a",@progbits
	.p2align	6, 0x0
	.amdhsa_kernel _ZN7rocprim17ROCPRIM_400000_NS6detail17trampoline_kernelINS0_14default_configENS1_25partition_config_selectorILNS1_17partition_subalgoE8ElNS0_10empty_typeEbEEZZNS1_14partition_implILS5_8ELb0ES3_jPlPS6_PKS6_NS0_5tupleIJS9_S6_EEENSD_IJSA_SA_EEENS0_18inequality_wrapperIZN2at6native12_GLOBAL__N_124unique_dim_cuda_templateIiEESt5tupleIJNSH_6TensorESM_SM_EERKSM_lbbbEUlllE0_EEPmJS6_EEE10hipError_tPvRmT3_T4_T5_T6_T7_T9_mT8_P12ihipStream_tbDpT10_ENKUlT_T0_E_clISt17integral_constantIbLb0EES1C_EEDaS17_S18_EUlS17_E_NS1_11comp_targetILNS1_3genE0ELNS1_11target_archE4294967295ELNS1_3gpuE0ELNS1_3repE0EEENS1_30default_config_static_selectorELNS0_4arch9wavefront6targetE1EEEvT1_
		.amdhsa_group_segment_fixed_size 0
		.amdhsa_private_segment_fixed_size 0
		.amdhsa_kernarg_size 120
		.amdhsa_user_sgpr_count 2
		.amdhsa_user_sgpr_dispatch_ptr 0
		.amdhsa_user_sgpr_queue_ptr 0
		.amdhsa_user_sgpr_kernarg_segment_ptr 1
		.amdhsa_user_sgpr_dispatch_id 0
		.amdhsa_user_sgpr_kernarg_preload_length 0
		.amdhsa_user_sgpr_kernarg_preload_offset 0
		.amdhsa_user_sgpr_private_segment_size 0
		.amdhsa_uses_dynamic_stack 0
		.amdhsa_enable_private_segment 0
		.amdhsa_system_sgpr_workgroup_id_x 1
		.amdhsa_system_sgpr_workgroup_id_y 0
		.amdhsa_system_sgpr_workgroup_id_z 0
		.amdhsa_system_sgpr_workgroup_info 0
		.amdhsa_system_vgpr_workitem_id 0
		.amdhsa_next_free_vgpr 1
		.amdhsa_next_free_sgpr 0
		.amdhsa_accum_offset 4
		.amdhsa_reserve_vcc 0
		.amdhsa_float_round_mode_32 0
		.amdhsa_float_round_mode_16_64 0
		.amdhsa_float_denorm_mode_32 3
		.amdhsa_float_denorm_mode_16_64 3
		.amdhsa_dx10_clamp 1
		.amdhsa_ieee_mode 1
		.amdhsa_fp16_overflow 0
		.amdhsa_tg_split 0
		.amdhsa_exception_fp_ieee_invalid_op 0
		.amdhsa_exception_fp_denorm_src 0
		.amdhsa_exception_fp_ieee_div_zero 0
		.amdhsa_exception_fp_ieee_overflow 0
		.amdhsa_exception_fp_ieee_underflow 0
		.amdhsa_exception_fp_ieee_inexact 0
		.amdhsa_exception_int_div_zero 0
	.end_amdhsa_kernel
	.section	.text._ZN7rocprim17ROCPRIM_400000_NS6detail17trampoline_kernelINS0_14default_configENS1_25partition_config_selectorILNS1_17partition_subalgoE8ElNS0_10empty_typeEbEEZZNS1_14partition_implILS5_8ELb0ES3_jPlPS6_PKS6_NS0_5tupleIJS9_S6_EEENSD_IJSA_SA_EEENS0_18inequality_wrapperIZN2at6native12_GLOBAL__N_124unique_dim_cuda_templateIiEESt5tupleIJNSH_6TensorESM_SM_EERKSM_lbbbEUlllE0_EEPmJS6_EEE10hipError_tPvRmT3_T4_T5_T6_T7_T9_mT8_P12ihipStream_tbDpT10_ENKUlT_T0_E_clISt17integral_constantIbLb0EES1C_EEDaS17_S18_EUlS17_E_NS1_11comp_targetILNS1_3genE0ELNS1_11target_archE4294967295ELNS1_3gpuE0ELNS1_3repE0EEENS1_30default_config_static_selectorELNS0_4arch9wavefront6targetE1EEEvT1_,"axG",@progbits,_ZN7rocprim17ROCPRIM_400000_NS6detail17trampoline_kernelINS0_14default_configENS1_25partition_config_selectorILNS1_17partition_subalgoE8ElNS0_10empty_typeEbEEZZNS1_14partition_implILS5_8ELb0ES3_jPlPS6_PKS6_NS0_5tupleIJS9_S6_EEENSD_IJSA_SA_EEENS0_18inequality_wrapperIZN2at6native12_GLOBAL__N_124unique_dim_cuda_templateIiEESt5tupleIJNSH_6TensorESM_SM_EERKSM_lbbbEUlllE0_EEPmJS6_EEE10hipError_tPvRmT3_T4_T5_T6_T7_T9_mT8_P12ihipStream_tbDpT10_ENKUlT_T0_E_clISt17integral_constantIbLb0EES1C_EEDaS17_S18_EUlS17_E_NS1_11comp_targetILNS1_3genE0ELNS1_11target_archE4294967295ELNS1_3gpuE0ELNS1_3repE0EEENS1_30default_config_static_selectorELNS0_4arch9wavefront6targetE1EEEvT1_,comdat
.Lfunc_end444:
	.size	_ZN7rocprim17ROCPRIM_400000_NS6detail17trampoline_kernelINS0_14default_configENS1_25partition_config_selectorILNS1_17partition_subalgoE8ElNS0_10empty_typeEbEEZZNS1_14partition_implILS5_8ELb0ES3_jPlPS6_PKS6_NS0_5tupleIJS9_S6_EEENSD_IJSA_SA_EEENS0_18inequality_wrapperIZN2at6native12_GLOBAL__N_124unique_dim_cuda_templateIiEESt5tupleIJNSH_6TensorESM_SM_EERKSM_lbbbEUlllE0_EEPmJS6_EEE10hipError_tPvRmT3_T4_T5_T6_T7_T9_mT8_P12ihipStream_tbDpT10_ENKUlT_T0_E_clISt17integral_constantIbLb0EES1C_EEDaS17_S18_EUlS17_E_NS1_11comp_targetILNS1_3genE0ELNS1_11target_archE4294967295ELNS1_3gpuE0ELNS1_3repE0EEENS1_30default_config_static_selectorELNS0_4arch9wavefront6targetE1EEEvT1_, .Lfunc_end444-_ZN7rocprim17ROCPRIM_400000_NS6detail17trampoline_kernelINS0_14default_configENS1_25partition_config_selectorILNS1_17partition_subalgoE8ElNS0_10empty_typeEbEEZZNS1_14partition_implILS5_8ELb0ES3_jPlPS6_PKS6_NS0_5tupleIJS9_S6_EEENSD_IJSA_SA_EEENS0_18inequality_wrapperIZN2at6native12_GLOBAL__N_124unique_dim_cuda_templateIiEESt5tupleIJNSH_6TensorESM_SM_EERKSM_lbbbEUlllE0_EEPmJS6_EEE10hipError_tPvRmT3_T4_T5_T6_T7_T9_mT8_P12ihipStream_tbDpT10_ENKUlT_T0_E_clISt17integral_constantIbLb0EES1C_EEDaS17_S18_EUlS17_E_NS1_11comp_targetILNS1_3genE0ELNS1_11target_archE4294967295ELNS1_3gpuE0ELNS1_3repE0EEENS1_30default_config_static_selectorELNS0_4arch9wavefront6targetE1EEEvT1_
                                        ; -- End function
	.section	.AMDGPU.csdata,"",@progbits
; Kernel info:
; codeLenInByte = 0
; NumSgprs: 6
; NumVgprs: 0
; NumAgprs: 0
; TotalNumVgprs: 0
; ScratchSize: 0
; MemoryBound: 0
; FloatMode: 240
; IeeeMode: 1
; LDSByteSize: 0 bytes/workgroup (compile time only)
; SGPRBlocks: 0
; VGPRBlocks: 0
; NumSGPRsForWavesPerEU: 6
; NumVGPRsForWavesPerEU: 1
; AccumOffset: 4
; Occupancy: 8
; WaveLimiterHint : 0
; COMPUTE_PGM_RSRC2:SCRATCH_EN: 0
; COMPUTE_PGM_RSRC2:USER_SGPR: 2
; COMPUTE_PGM_RSRC2:TRAP_HANDLER: 0
; COMPUTE_PGM_RSRC2:TGID_X_EN: 1
; COMPUTE_PGM_RSRC2:TGID_Y_EN: 0
; COMPUTE_PGM_RSRC2:TGID_Z_EN: 0
; COMPUTE_PGM_RSRC2:TIDIG_COMP_CNT: 0
; COMPUTE_PGM_RSRC3_GFX90A:ACCUM_OFFSET: 0
; COMPUTE_PGM_RSRC3_GFX90A:TG_SPLIT: 0
	.section	.text._ZN7rocprim17ROCPRIM_400000_NS6detail17trampoline_kernelINS0_14default_configENS1_25partition_config_selectorILNS1_17partition_subalgoE8ElNS0_10empty_typeEbEEZZNS1_14partition_implILS5_8ELb0ES3_jPlPS6_PKS6_NS0_5tupleIJS9_S6_EEENSD_IJSA_SA_EEENS0_18inequality_wrapperIZN2at6native12_GLOBAL__N_124unique_dim_cuda_templateIiEESt5tupleIJNSH_6TensorESM_SM_EERKSM_lbbbEUlllE0_EEPmJS6_EEE10hipError_tPvRmT3_T4_T5_T6_T7_T9_mT8_P12ihipStream_tbDpT10_ENKUlT_T0_E_clISt17integral_constantIbLb0EES1C_EEDaS17_S18_EUlS17_E_NS1_11comp_targetILNS1_3genE5ELNS1_11target_archE942ELNS1_3gpuE9ELNS1_3repE0EEENS1_30default_config_static_selectorELNS0_4arch9wavefront6targetE1EEEvT1_,"axG",@progbits,_ZN7rocprim17ROCPRIM_400000_NS6detail17trampoline_kernelINS0_14default_configENS1_25partition_config_selectorILNS1_17partition_subalgoE8ElNS0_10empty_typeEbEEZZNS1_14partition_implILS5_8ELb0ES3_jPlPS6_PKS6_NS0_5tupleIJS9_S6_EEENSD_IJSA_SA_EEENS0_18inequality_wrapperIZN2at6native12_GLOBAL__N_124unique_dim_cuda_templateIiEESt5tupleIJNSH_6TensorESM_SM_EERKSM_lbbbEUlllE0_EEPmJS6_EEE10hipError_tPvRmT3_T4_T5_T6_T7_T9_mT8_P12ihipStream_tbDpT10_ENKUlT_T0_E_clISt17integral_constantIbLb0EES1C_EEDaS17_S18_EUlS17_E_NS1_11comp_targetILNS1_3genE5ELNS1_11target_archE942ELNS1_3gpuE9ELNS1_3repE0EEENS1_30default_config_static_selectorELNS0_4arch9wavefront6targetE1EEEvT1_,comdat
	.globl	_ZN7rocprim17ROCPRIM_400000_NS6detail17trampoline_kernelINS0_14default_configENS1_25partition_config_selectorILNS1_17partition_subalgoE8ElNS0_10empty_typeEbEEZZNS1_14partition_implILS5_8ELb0ES3_jPlPS6_PKS6_NS0_5tupleIJS9_S6_EEENSD_IJSA_SA_EEENS0_18inequality_wrapperIZN2at6native12_GLOBAL__N_124unique_dim_cuda_templateIiEESt5tupleIJNSH_6TensorESM_SM_EERKSM_lbbbEUlllE0_EEPmJS6_EEE10hipError_tPvRmT3_T4_T5_T6_T7_T9_mT8_P12ihipStream_tbDpT10_ENKUlT_T0_E_clISt17integral_constantIbLb0EES1C_EEDaS17_S18_EUlS17_E_NS1_11comp_targetILNS1_3genE5ELNS1_11target_archE942ELNS1_3gpuE9ELNS1_3repE0EEENS1_30default_config_static_selectorELNS0_4arch9wavefront6targetE1EEEvT1_ ; -- Begin function _ZN7rocprim17ROCPRIM_400000_NS6detail17trampoline_kernelINS0_14default_configENS1_25partition_config_selectorILNS1_17partition_subalgoE8ElNS0_10empty_typeEbEEZZNS1_14partition_implILS5_8ELb0ES3_jPlPS6_PKS6_NS0_5tupleIJS9_S6_EEENSD_IJSA_SA_EEENS0_18inequality_wrapperIZN2at6native12_GLOBAL__N_124unique_dim_cuda_templateIiEESt5tupleIJNSH_6TensorESM_SM_EERKSM_lbbbEUlllE0_EEPmJS6_EEE10hipError_tPvRmT3_T4_T5_T6_T7_T9_mT8_P12ihipStream_tbDpT10_ENKUlT_T0_E_clISt17integral_constantIbLb0EES1C_EEDaS17_S18_EUlS17_E_NS1_11comp_targetILNS1_3genE5ELNS1_11target_archE942ELNS1_3gpuE9ELNS1_3repE0EEENS1_30default_config_static_selectorELNS0_4arch9wavefront6targetE1EEEvT1_
	.p2align	8
	.type	_ZN7rocprim17ROCPRIM_400000_NS6detail17trampoline_kernelINS0_14default_configENS1_25partition_config_selectorILNS1_17partition_subalgoE8ElNS0_10empty_typeEbEEZZNS1_14partition_implILS5_8ELb0ES3_jPlPS6_PKS6_NS0_5tupleIJS9_S6_EEENSD_IJSA_SA_EEENS0_18inequality_wrapperIZN2at6native12_GLOBAL__N_124unique_dim_cuda_templateIiEESt5tupleIJNSH_6TensorESM_SM_EERKSM_lbbbEUlllE0_EEPmJS6_EEE10hipError_tPvRmT3_T4_T5_T6_T7_T9_mT8_P12ihipStream_tbDpT10_ENKUlT_T0_E_clISt17integral_constantIbLb0EES1C_EEDaS17_S18_EUlS17_E_NS1_11comp_targetILNS1_3genE5ELNS1_11target_archE942ELNS1_3gpuE9ELNS1_3repE0EEENS1_30default_config_static_selectorELNS0_4arch9wavefront6targetE1EEEvT1_,@function
_ZN7rocprim17ROCPRIM_400000_NS6detail17trampoline_kernelINS0_14default_configENS1_25partition_config_selectorILNS1_17partition_subalgoE8ElNS0_10empty_typeEbEEZZNS1_14partition_implILS5_8ELb0ES3_jPlPS6_PKS6_NS0_5tupleIJS9_S6_EEENSD_IJSA_SA_EEENS0_18inequality_wrapperIZN2at6native12_GLOBAL__N_124unique_dim_cuda_templateIiEESt5tupleIJNSH_6TensorESM_SM_EERKSM_lbbbEUlllE0_EEPmJS6_EEE10hipError_tPvRmT3_T4_T5_T6_T7_T9_mT8_P12ihipStream_tbDpT10_ENKUlT_T0_E_clISt17integral_constantIbLb0EES1C_EEDaS17_S18_EUlS17_E_NS1_11comp_targetILNS1_3genE5ELNS1_11target_archE942ELNS1_3gpuE9ELNS1_3repE0EEENS1_30default_config_static_selectorELNS0_4arch9wavefront6targetE1EEEvT1_: ; @_ZN7rocprim17ROCPRIM_400000_NS6detail17trampoline_kernelINS0_14default_configENS1_25partition_config_selectorILNS1_17partition_subalgoE8ElNS0_10empty_typeEbEEZZNS1_14partition_implILS5_8ELb0ES3_jPlPS6_PKS6_NS0_5tupleIJS9_S6_EEENSD_IJSA_SA_EEENS0_18inequality_wrapperIZN2at6native12_GLOBAL__N_124unique_dim_cuda_templateIiEESt5tupleIJNSH_6TensorESM_SM_EERKSM_lbbbEUlllE0_EEPmJS6_EEE10hipError_tPvRmT3_T4_T5_T6_T7_T9_mT8_P12ihipStream_tbDpT10_ENKUlT_T0_E_clISt17integral_constantIbLb0EES1C_EEDaS17_S18_EUlS17_E_NS1_11comp_targetILNS1_3genE5ELNS1_11target_archE942ELNS1_3gpuE9ELNS1_3repE0EEENS1_30default_config_static_selectorELNS0_4arch9wavefront6targetE1EEEvT1_
; %bb.0:
	s_load_dwordx8 s[20:27], s[0:1], 0x40
	s_load_dwordx4 s[4:7], s[0:1], 0x8
	s_load_dwordx4 s[28:31], s[0:1], 0x60
	s_load_dword s3, s[0:1], 0x70
	s_waitcnt lgkmcnt(0)
	v_mov_b32_e32 v2, s24
	s_lshl_b64 s[8:9], s[6:7], 3
	s_add_u32 s12, s4, s8
	s_mul_i32 s8, s3, 0xe00
	s_addc_u32 s13, s5, s9
	s_add_i32 s10, s3, -1
	s_add_i32 s3, s8, s6
	s_sub_i32 s3, s24, s3
	s_add_u32 s8, s6, s8
	s_addc_u32 s9, s7, 0
	v_mov_b32_e32 v3, s25
	s_cmp_eq_u32 s2, s10
	s_load_dwordx2 s[22:23], s[22:23], 0x0
	v_cmp_ge_u64_e32 vcc, s[8:9], v[2:3]
	s_cselect_b64 s[24:25], -1, 0
	s_mul_i32 s4, s2, 0xe00
	s_mov_b32 s5, 0
	s_and_b64 s[8:9], s[24:25], vcc
	s_xor_b64 s[34:35], s[8:9], -1
	s_lshl_b64 s[4:5], s[4:5], 3
	s_add_u32 s4, s12, s4
	s_mov_b64 s[10:11], -1
	s_addc_u32 s5, s13, s5
	s_and_b64 vcc, exec, s[34:35]
	s_cbranch_vccz .LBB445_2
; %bb.1:
	v_lshlrev_b32_e32 v2, 3, v0
	v_mov_b32_e32 v3, 0
	v_lshl_add_u64 v[4:5], s[4:5], 0, v[2:3]
	v_add_co_u32_e32 v8, vcc, 0x1000, v4
	global_load_dwordx2 v[6:7], v2, s[4:5]
	s_nop 0
	v_addc_co_u32_e32 v9, vcc, 0, v5, vcc
	v_add_co_u32_e32 v10, vcc, 0x2000, v4
	s_mov_b64 s[10:11], 0
	s_nop 0
	v_addc_co_u32_e32 v11, vcc, 0, v5, vcc
	v_add_co_u32_e32 v12, vcc, 0x3000, v4
	s_nop 1
	v_addc_co_u32_e32 v13, vcc, 0, v5, vcc
	v_add_co_u32_e32 v14, vcc, 0x4000, v4
	s_nop 1
	v_addc_co_u32_e32 v15, vcc, 0, v5, vcc
	global_load_dwordx2 v[16:17], v[8:9], off
	global_load_dwordx2 v[18:19], v[10:11], off
	;; [unrolled: 1-line block ×4, first 2 shown]
	v_add_co_u32_e32 v8, vcc, 0x5000, v4
	s_nop 1
	v_addc_co_u32_e32 v9, vcc, 0, v5, vcc
	v_add_co_u32_e32 v4, vcc, 0x6000, v4
	global_load_dwordx2 v[8:9], v[8:9], off
	s_nop 0
	v_addc_co_u32_e32 v5, vcc, 0, v5, vcc
	global_load_dwordx2 v[4:5], v[4:5], off
	s_waitcnt vmcnt(5)
	ds_write2st64_b64 v2, v[6:7], v[16:17] offset1:8
	s_waitcnt vmcnt(3)
	ds_write2st64_b64 v2, v[18:19], v[20:21] offset0:16 offset1:24
	s_waitcnt vmcnt(1)
	ds_write2st64_b64 v2, v[22:23], v[8:9] offset0:32 offset1:40
	s_waitcnt vmcnt(0)
	ds_write_b64 v2, v[4:5] offset:24576
	s_waitcnt lgkmcnt(0)
	s_barrier
.LBB445_2:
	s_andn2_b64 vcc, exec, s[10:11]
	s_addk_i32 s3, 0xe00
	s_cbranch_vccnz .LBB445_18
; %bb.3:
	v_cmp_gt_u32_e32 vcc, s3, v0
                                        ; implicit-def: $vgpr2_vgpr3_vgpr4_vgpr5_vgpr6_vgpr7_vgpr8_vgpr9_vgpr10_vgpr11_vgpr12_vgpr13_vgpr14_vgpr15_vgpr16_vgpr17
	s_and_saveexec_b64 s[10:11], vcc
	s_cbranch_execz .LBB445_5
; %bb.4:
	v_lshlrev_b32_e32 v1, 3, v0
	global_load_dwordx2 v[2:3], v1, s[4:5]
.LBB445_5:
	s_or_b64 exec, exec, s[10:11]
	v_or_b32_e32 v1, 0x200, v0
	v_cmp_gt_u32_e32 vcc, s3, v1
	s_and_saveexec_b64 s[10:11], vcc
	s_cbranch_execz .LBB445_7
; %bb.6:
	v_lshlrev_b32_e32 v1, 3, v1
	global_load_dwordx2 v[4:5], v1, s[4:5]
.LBB445_7:
	s_or_b64 exec, exec, s[10:11]
	v_or_b32_e32 v1, 0x400, v0
	v_cmp_gt_u32_e32 vcc, s3, v1
	;; [unrolled: 9-line block ×6, first 2 shown]
	s_and_saveexec_b64 s[10:11], vcc
	s_cbranch_execz .LBB445_17
; %bb.16:
	v_lshlrev_b32_e32 v1, 3, v1
	global_load_dwordx2 v[14:15], v1, s[4:5]
.LBB445_17:
	s_or_b64 exec, exec, s[10:11]
	v_lshlrev_b32_e32 v1, 3, v0
	s_waitcnt vmcnt(0)
	ds_write2st64_b64 v1, v[2:3], v[4:5] offset1:8
	ds_write2st64_b64 v1, v[6:7], v[8:9] offset0:16 offset1:24
	ds_write2st64_b64 v1, v[10:11], v[12:13] offset0:32 offset1:40
	ds_write_b64 v1, v[14:15] offset:24576
	s_waitcnt lgkmcnt(0)
	s_barrier
.LBB445_18:
	v_mul_u32_u24_e32 v1, 7, v0
	v_lshlrev_b32_e32 v30, 3, v1
	s_waitcnt lgkmcnt(0)
	ds_read2_b64 v[10:13], v30 offset1:1
	ds_read2_b64 v[6:9], v30 offset0:2 offset1:3
	ds_read2_b64 v[2:5], v30 offset0:4 offset1:5
	ds_read_b64 v[14:15], v30 offset:48
	s_cmp_lg_u32 s2, 0
	s_cselect_b64 s[16:17], -1, 0
	s_cmp_lg_u64 s[6:7], 0
	s_cselect_b64 s[6:7], -1, 0
	s_or_b64 s[6:7], s[16:17], s[6:7]
	v_mad_u32_u24 v25, v0, 7, 1
	v_mad_u32_u24 v24, v0, 7, 2
	;; [unrolled: 1-line block ×6, first 2 shown]
	s_mov_b64 s[10:11], 0
	s_and_b64 vcc, exec, s[6:7]
	v_cmp_gt_i64_e64 s[12:13], s[26:27], 0
	s_waitcnt lgkmcnt(0)
	s_barrier
	s_cbranch_vccz .LBB445_27
; %bb.19:
	s_add_u32 s4, s4, -8
	s_addc_u32 s5, s5, -1
	s_load_dwordx2 s[6:7], s[4:5], 0x0
	v_cndmask_b32_e64 v16, 0, 1, s[12:13]
	v_lshlrev_b32_e32 v31, 3, v0
	s_and_b64 vcc, exec, s[34:35]
	v_cmp_ne_u32_e64 s[4:5], 1, v16
	ds_write_b64 v31, v[14:15]
	s_cbranch_vccz .LBB445_29
; %bb.20:
	v_mul_lo_u32 v18, v5, s26
	v_mul_lo_u32 v19, v4, s27
	v_mad_u64_u32 v[16:17], s[12:13], v4, s26, 0
	v_add3_u32 v17, v17, v19, v18
	s_and_b64 vcc, exec, s[4:5]
	v_lshl_add_u64 v[16:17], v[16:17], 2, s[28:29]
	s_cbranch_vccnz .LBB445_32
; %bb.21:
	v_mul_lo_u32 v20, v15, s26
	v_mul_lo_u32 v21, v14, s27
	v_mad_u64_u32 v[18:19], s[10:11], v14, s26, 0
	v_add3_u32 v19, v19, v21, v20
	v_lshl_add_u64 v[18:19], v[18:19], 2, s[28:29]
	global_load_dword v20, v[16:17], off
	global_load_dword v21, v[18:19], off
	s_mov_b64 s[10:11], -1
	s_waitcnt vmcnt(0)
	v_cmp_eq_u32_e32 vcc, v20, v21
	s_and_saveexec_b64 s[12:13], vcc
	s_cbranch_execz .LBB445_31
; %bb.22:
	s_add_u32 s10, s26, -1
	v_lshl_add_u64 v[18:19], v[18:19], 0, 4
	v_lshl_add_u64 v[20:21], v[16:17], 0, 4
	s_addc_u32 s11, s27, -1
	s_mov_b64 s[14:15], 0
	s_mov_b64 s[36:37], 0
                                        ; implicit-def: $sgpr18_sgpr19
	s_branch .LBB445_25
.LBB445_23:                             ;   in Loop: Header=BB445_25 Depth=1
	global_load_dword v22, v[20:21], off
	global_load_dword v23, v[18:19], off
	s_add_u32 s36, s36, 1
	s_addc_u32 s37, s37, 0
	s_andn2_b64 s[18:19], s[18:19], exec
	v_lshl_add_u64 v[18:19], v[18:19], 0, 4
	v_lshl_add_u64 v[20:21], v[20:21], 0, 4
	s_waitcnt vmcnt(0)
	v_cmp_ne_u32_e32 vcc, v22, v23
	s_and_b64 s[38:39], vcc, exec
	s_or_b64 s[18:19], s[18:19], s[38:39]
.LBB445_24:                             ;   in Loop: Header=BB445_25 Depth=1
	s_and_b64 s[38:39], exec, s[18:19]
	s_or_b64 s[14:15], s[38:39], s[14:15]
	v_mov_b64_e32 v[22:23], s[36:37]
	s_andn2_b64 exec, exec, s[14:15]
	s_cbranch_execz .LBB445_30
.LBB445_25:                             ; =>This Inner Loop Header: Depth=1
	s_or_b64 s[18:19], s[18:19], exec
	s_cmp_eq_u64 s[10:11], s[36:37]
	s_cbranch_scc0 .LBB445_23
; %bb.26:                               ;   in Loop: Header=BB445_25 Depth=1
                                        ; implicit-def: $vgpr18_vgpr19
                                        ; implicit-def: $vgpr20_vgpr21
	s_mov_b64 s[36:37], s[26:27]
	s_branch .LBB445_24
.LBB445_27:
                                        ; implicit-def: $sgpr18_sgpr19
                                        ; implicit-def: $vgpr34
                                        ; implicit-def: $vgpr33
                                        ; implicit-def: $vgpr32
                                        ; implicit-def: $vgpr20
	s_branch .LBB445_170
.LBB445_28:
                                        ; implicit-def: $vgpr16_vgpr17
	s_branch .LBB445_318
.LBB445_29:
                                        ; implicit-def: $sgpr18_sgpr19
                                        ; implicit-def: $vgpr34
                                        ; implicit-def: $vgpr33
                                        ; implicit-def: $vgpr32
                                        ; implicit-def: $vgpr20
	s_cbranch_execnz .LBB445_89
	s_branch .LBB445_169
.LBB445_30:
	s_or_b64 exec, exec, s[14:15]
	v_cmp_gt_i64_e32 vcc, s[26:27], v[22:23]
	s_orn2_b64 s[10:11], vcc, exec
.LBB445_31:
	s_or_b64 exec, exec, s[12:13]
.LBB445_32:
	v_mul_lo_u32 v20, v3, s26
	v_mul_lo_u32 v21, v2, s27
	v_mad_u64_u32 v[18:19], s[12:13], v2, s26, 0
	v_add3_u32 v19, v19, v21, v20
	s_mov_b64 s[12:13], 0
	s_and_b64 vcc, exec, s[4:5]
	v_lshl_add_u64 v[18:19], v[18:19], 2, s[28:29]
	s_mov_b64 s[14:15], 0
	s_cbranch_vccnz .LBB445_41
; %bb.33:
	global_load_dword v20, v[18:19], off
	global_load_dword v21, v[16:17], off
	s_mov_b64 s[14:15], -1
	s_waitcnt vmcnt(0)
	v_cmp_eq_u32_e32 vcc, v20, v21
	s_and_saveexec_b64 s[18:19], vcc
	s_cbranch_execz .LBB445_40
; %bb.34:
	s_add_u32 s14, s26, -1
	v_lshl_add_u64 v[16:17], v[16:17], 0, 4
	v_lshl_add_u64 v[20:21], v[18:19], 0, 4
	s_addc_u32 s15, s27, -1
	s_mov_b64 s[36:37], 0
	s_mov_b64 s[40:41], 0
                                        ; implicit-def: $sgpr38_sgpr39
	s_branch .LBB445_37
.LBB445_35:                             ;   in Loop: Header=BB445_37 Depth=1
	global_load_dword v22, v[20:21], off
	global_load_dword v23, v[16:17], off
	s_add_u32 s40, s40, 1
	s_addc_u32 s41, s41, 0
	s_andn2_b64 s[38:39], s[38:39], exec
	v_lshl_add_u64 v[16:17], v[16:17], 0, 4
	v_lshl_add_u64 v[20:21], v[20:21], 0, 4
	s_waitcnt vmcnt(0)
	v_cmp_ne_u32_e32 vcc, v22, v23
	s_and_b64 s[42:43], vcc, exec
	s_or_b64 s[38:39], s[38:39], s[42:43]
.LBB445_36:                             ;   in Loop: Header=BB445_37 Depth=1
	s_and_b64 s[42:43], exec, s[38:39]
	s_or_b64 s[36:37], s[42:43], s[36:37]
	v_mov_b64_e32 v[22:23], s[40:41]
	s_andn2_b64 exec, exec, s[36:37]
	s_cbranch_execz .LBB445_39
.LBB445_37:                             ; =>This Inner Loop Header: Depth=1
	s_or_b64 s[38:39], s[38:39], exec
	s_cmp_eq_u64 s[14:15], s[40:41]
	s_cbranch_scc0 .LBB445_35
; %bb.38:                               ;   in Loop: Header=BB445_37 Depth=1
                                        ; implicit-def: $vgpr16_vgpr17
                                        ; implicit-def: $vgpr20_vgpr21
	s_mov_b64 s[40:41], s[26:27]
	s_branch .LBB445_36
.LBB445_39:
	s_or_b64 exec, exec, s[36:37]
	v_cmp_gt_i64_e32 vcc, s[26:27], v[22:23]
	s_orn2_b64 s[14:15], vcc, exec
.LBB445_40:
	s_or_b64 exec, exec, s[18:19]
.LBB445_41:
	v_mul_lo_u32 v20, v9, s26
	v_mul_lo_u32 v21, v8, s27
	v_mad_u64_u32 v[16:17], s[18:19], v8, s26, 0
	v_add3_u32 v17, v17, v21, v20
	s_and_b64 vcc, exec, s[4:5]
	v_lshl_add_u64 v[16:17], v[16:17], 2, s[28:29]
	s_cbranch_vccnz .LBB445_50
; %bb.42:
	global_load_dword v20, v[16:17], off
	global_load_dword v21, v[18:19], off
	s_mov_b64 s[12:13], -1
	s_waitcnt vmcnt(0)
	v_cmp_eq_u32_e32 vcc, v20, v21
	s_and_saveexec_b64 s[18:19], vcc
	s_cbranch_execz .LBB445_49
; %bb.43:
	s_add_u32 s12, s26, -1
	v_lshl_add_u64 v[18:19], v[18:19], 0, 4
	v_lshl_add_u64 v[20:21], v[16:17], 0, 4
	s_addc_u32 s13, s27, -1
	s_mov_b64 s[36:37], 0
	s_mov_b64 s[40:41], 0
                                        ; implicit-def: $sgpr38_sgpr39
	s_branch .LBB445_46
.LBB445_44:                             ;   in Loop: Header=BB445_46 Depth=1
	global_load_dword v22, v[20:21], off
	global_load_dword v23, v[18:19], off
	s_add_u32 s40, s40, 1
	s_addc_u32 s41, s41, 0
	s_andn2_b64 s[38:39], s[38:39], exec
	v_lshl_add_u64 v[18:19], v[18:19], 0, 4
	v_lshl_add_u64 v[20:21], v[20:21], 0, 4
	s_waitcnt vmcnt(0)
	v_cmp_ne_u32_e32 vcc, v22, v23
	s_and_b64 s[42:43], vcc, exec
	s_or_b64 s[38:39], s[38:39], s[42:43]
.LBB445_45:                             ;   in Loop: Header=BB445_46 Depth=1
	s_and_b64 s[42:43], exec, s[38:39]
	s_or_b64 s[36:37], s[42:43], s[36:37]
	v_mov_b64_e32 v[22:23], s[40:41]
	s_andn2_b64 exec, exec, s[36:37]
	s_cbranch_execz .LBB445_48
.LBB445_46:                             ; =>This Inner Loop Header: Depth=1
	s_or_b64 s[38:39], s[38:39], exec
	s_cmp_eq_u64 s[12:13], s[40:41]
	s_cbranch_scc0 .LBB445_44
; %bb.47:                               ;   in Loop: Header=BB445_46 Depth=1
                                        ; implicit-def: $vgpr18_vgpr19
                                        ; implicit-def: $vgpr20_vgpr21
	s_mov_b64 s[40:41], s[26:27]
	s_branch .LBB445_45
.LBB445_48:
	s_or_b64 exec, exec, s[36:37]
	v_cmp_gt_i64_e32 vcc, s[26:27], v[22:23]
	s_orn2_b64 s[12:13], vcc, exec
.LBB445_49:
	s_or_b64 exec, exec, s[18:19]
.LBB445_50:
	v_mul_lo_u32 v20, v7, s26
	v_mul_lo_u32 v21, v6, s27
	v_mad_u64_u32 v[18:19], s[18:19], v6, s26, 0
	v_add3_u32 v19, v19, v21, v20
	s_mov_b64 s[18:19], 0
	s_and_b64 vcc, exec, s[4:5]
	v_lshl_add_u64 v[20:21], v[18:19], 2, s[28:29]
	s_mov_b64 s[36:37], 0
	s_cbranch_vccnz .LBB445_59
; %bb.51:
	global_load_dword v18, v[20:21], off
	global_load_dword v19, v[16:17], off
	s_mov_b64 s[36:37], -1
	s_waitcnt vmcnt(0)
	v_cmp_eq_u32_e32 vcc, v18, v19
	s_and_saveexec_b64 s[38:39], vcc
	s_cbranch_execz .LBB445_58
; %bb.52:
	s_add_u32 s36, s26, -1
	v_lshl_add_u64 v[16:17], v[16:17], 0, 4
	v_lshl_add_u64 v[18:19], v[20:21], 0, 4
	s_addc_u32 s37, s27, -1
	s_mov_b64 s[40:41], 0
	s_mov_b64 s[44:45], 0
                                        ; implicit-def: $sgpr42_sgpr43
	s_branch .LBB445_55
.LBB445_53:                             ;   in Loop: Header=BB445_55 Depth=1
	global_load_dword v22, v[18:19], off
	global_load_dword v23, v[16:17], off
	s_add_u32 s44, s44, 1
	s_addc_u32 s45, s45, 0
	s_andn2_b64 s[42:43], s[42:43], exec
	v_lshl_add_u64 v[16:17], v[16:17], 0, 4
	v_lshl_add_u64 v[18:19], v[18:19], 0, 4
	s_waitcnt vmcnt(0)
	v_cmp_ne_u32_e32 vcc, v22, v23
	s_and_b64 s[46:47], vcc, exec
	s_or_b64 s[42:43], s[42:43], s[46:47]
.LBB445_54:                             ;   in Loop: Header=BB445_55 Depth=1
	s_and_b64 s[46:47], exec, s[42:43]
	s_or_b64 s[40:41], s[46:47], s[40:41]
	v_mov_b64_e32 v[22:23], s[44:45]
	s_andn2_b64 exec, exec, s[40:41]
	s_cbranch_execz .LBB445_57
.LBB445_55:                             ; =>This Inner Loop Header: Depth=1
	s_or_b64 s[42:43], s[42:43], exec
	s_cmp_eq_u64 s[36:37], s[44:45]
	s_cbranch_scc0 .LBB445_53
; %bb.56:                               ;   in Loop: Header=BB445_55 Depth=1
                                        ; implicit-def: $vgpr16_vgpr17
                                        ; implicit-def: $vgpr18_vgpr19
	s_mov_b64 s[44:45], s[26:27]
	s_branch .LBB445_54
.LBB445_57:
	s_or_b64 exec, exec, s[40:41]
	v_cmp_gt_i64_e32 vcc, s[26:27], v[22:23]
	s_orn2_b64 s[36:37], vcc, exec
.LBB445_58:
	s_or_b64 exec, exec, s[38:39]
.LBB445_59:
	v_mul_lo_u32 v18, v13, s26
	v_mul_lo_u32 v19, v12, s27
	v_mad_u64_u32 v[16:17], s[38:39], v12, s26, 0
	v_add3_u32 v17, v17, v19, v18
	s_and_b64 vcc, exec, s[4:5]
	v_lshl_add_u64 v[18:19], v[16:17], 2, s[28:29]
	s_cbranch_vccnz .LBB445_68
; %bb.60:
	global_load_dword v16, v[18:19], off
	global_load_dword v17, v[20:21], off
	s_mov_b64 s[18:19], -1
	s_waitcnt vmcnt(0)
	v_cmp_eq_u32_e32 vcc, v16, v17
	s_and_saveexec_b64 s[38:39], vcc
	s_cbranch_execz .LBB445_67
; %bb.61:
	s_add_u32 s18, s26, -1
	v_lshl_add_u64 v[16:17], v[20:21], 0, 4
	v_lshl_add_u64 v[20:21], v[18:19], 0, 4
	s_addc_u32 s19, s27, -1
	s_mov_b64 s[40:41], 0
	s_mov_b64 s[44:45], 0
                                        ; implicit-def: $sgpr42_sgpr43
	s_branch .LBB445_64
.LBB445_62:                             ;   in Loop: Header=BB445_64 Depth=1
	global_load_dword v22, v[20:21], off
	global_load_dword v23, v[16:17], off
	s_add_u32 s44, s44, 1
	s_addc_u32 s45, s45, 0
	s_andn2_b64 s[42:43], s[42:43], exec
	v_lshl_add_u64 v[16:17], v[16:17], 0, 4
	v_lshl_add_u64 v[20:21], v[20:21], 0, 4
	s_waitcnt vmcnt(0)
	v_cmp_ne_u32_e32 vcc, v22, v23
	s_and_b64 s[46:47], vcc, exec
	s_or_b64 s[42:43], s[42:43], s[46:47]
.LBB445_63:                             ;   in Loop: Header=BB445_64 Depth=1
	s_and_b64 s[46:47], exec, s[42:43]
	s_or_b64 s[40:41], s[46:47], s[40:41]
	v_mov_b64_e32 v[22:23], s[44:45]
	s_andn2_b64 exec, exec, s[40:41]
	s_cbranch_execz .LBB445_66
.LBB445_64:                             ; =>This Inner Loop Header: Depth=1
	s_or_b64 s[42:43], s[42:43], exec
	s_cmp_eq_u64 s[18:19], s[44:45]
	s_cbranch_scc0 .LBB445_62
; %bb.65:                               ;   in Loop: Header=BB445_64 Depth=1
                                        ; implicit-def: $vgpr16_vgpr17
                                        ; implicit-def: $vgpr20_vgpr21
	s_mov_b64 s[44:45], s[26:27]
	s_branch .LBB445_63
.LBB445_66:
	s_or_b64 exec, exec, s[40:41]
	v_cmp_gt_i64_e32 vcc, s[26:27], v[22:23]
	s_orn2_b64 s[18:19], vcc, exec
.LBB445_67:
	s_or_b64 exec, exec, s[38:39]
.LBB445_68:
	v_mul_lo_u32 v20, v11, s26
	v_mul_lo_u32 v21, v10, s27
	v_mad_u64_u32 v[16:17], s[38:39], v10, s26, 0
	v_add3_u32 v17, v17, v21, v20
	s_mov_b64 s[40:41], 0
	s_and_b64 vcc, exec, s[4:5]
	v_lshl_add_u64 v[16:17], v[16:17], 2, s[28:29]
	s_cbranch_vccnz .LBB445_77
; %bb.69:
	global_load_dword v20, v[16:17], off
	global_load_dword v21, v[18:19], off
	s_mov_b64 s[40:41], -1
	s_waitcnt vmcnt(0)
	v_cmp_eq_u32_e32 vcc, v20, v21
	s_and_saveexec_b64 s[38:39], vcc
	s_cbranch_execz .LBB445_76
; %bb.70:
	s_add_u32 s40, s26, -1
	v_lshl_add_u64 v[18:19], v[18:19], 0, 4
	v_lshl_add_u64 v[20:21], v[16:17], 0, 4
	s_addc_u32 s41, s27, -1
	s_mov_b64 s[42:43], 0
	s_mov_b64 s[46:47], 0
                                        ; implicit-def: $sgpr44_sgpr45
	s_branch .LBB445_73
.LBB445_71:                             ;   in Loop: Header=BB445_73 Depth=1
	global_load_dword v22, v[20:21], off
	global_load_dword v23, v[18:19], off
	s_add_u32 s46, s46, 1
	s_addc_u32 s47, s47, 0
	s_andn2_b64 s[44:45], s[44:45], exec
	v_lshl_add_u64 v[18:19], v[18:19], 0, 4
	v_lshl_add_u64 v[20:21], v[20:21], 0, 4
	s_waitcnt vmcnt(0)
	v_cmp_ne_u32_e32 vcc, v22, v23
	s_and_b64 s[48:49], vcc, exec
	s_or_b64 s[44:45], s[44:45], s[48:49]
.LBB445_72:                             ;   in Loop: Header=BB445_73 Depth=1
	s_and_b64 s[48:49], exec, s[44:45]
	s_or_b64 s[42:43], s[48:49], s[42:43]
	v_mov_b64_e32 v[22:23], s[46:47]
	s_andn2_b64 exec, exec, s[42:43]
	s_cbranch_execz .LBB445_75
.LBB445_73:                             ; =>This Inner Loop Header: Depth=1
	s_or_b64 s[44:45], s[44:45], exec
	s_cmp_eq_u64 s[40:41], s[46:47]
	s_cbranch_scc0 .LBB445_71
; %bb.74:                               ;   in Loop: Header=BB445_73 Depth=1
                                        ; implicit-def: $vgpr18_vgpr19
                                        ; implicit-def: $vgpr20_vgpr21
	s_mov_b64 s[46:47], s[26:27]
	s_branch .LBB445_72
.LBB445_75:
	s_or_b64 exec, exec, s[42:43]
	v_cmp_gt_i64_e32 vcc, s[26:27], v[22:23]
	s_orn2_b64 s[40:41], vcc, exec
.LBB445_76:
	s_or_b64 exec, exec, s[38:39]
.LBB445_77:
	v_cmp_ne_u32_e32 vcc, 0, v0
	s_waitcnt lgkmcnt(0)
	v_mov_b64_e32 v[18:19], s[6:7]
	s_barrier
	s_and_saveexec_b64 s[38:39], vcc
	s_cbranch_execz .LBB445_79
; %bb.78:
	v_add_u32_e32 v18, -8, v31
	ds_read_b64 v[18:19], v18
.LBB445_79:
	s_or_b64 exec, exec, s[38:39]
	v_cndmask_b32_e64 v21, 0, 1, s[36:37]
	v_cndmask_b32_e64 v20, 0, 1, s[18:19]
	;; [unrolled: 1-line block ×3, first 2 shown]
	v_lshlrev_b16_e32 v21, 8, v21
	v_lshlrev_b16_e32 v22, 8, v22
	v_or_b32_sdwa v23, v20, v21 dst_sel:WORD_1 dst_unused:UNUSED_PAD src0_sel:DWORD src1_sel:DWORD
	s_mov_b64 s[36:37], 0
	s_and_b64 vcc, exec, s[4:5]
	s_mov_b64 s[18:19], 0
	s_cbranch_vccnz .LBB445_88
; %bb.80:
	s_waitcnt lgkmcnt(0)
	v_mul_lo_u32 v20, v19, s26
	v_mul_lo_u32 v21, v18, s27
	v_mad_u64_u32 v[18:19], s[18:19], v18, s26, 0
	v_add3_u32 v19, v19, v21, v20
	v_lshl_add_u64 v[18:19], v[18:19], 2, s[28:29]
	global_load_dword v20, v[18:19], off
	global_load_dword v21, v[16:17], off
	s_mov_b64 s[18:19], -1
	s_waitcnt vmcnt(0)
	v_cmp_eq_u32_e32 vcc, v20, v21
	s_and_saveexec_b64 s[38:39], vcc
	s_cbranch_execz .LBB445_87
; %bb.81:
	s_add_u32 s18, s26, -1
	v_lshl_add_u64 v[16:17], v[16:17], 0, 4
	v_lshl_add_u64 v[18:19], v[18:19], 0, 4
	s_addc_u32 s19, s27, -1
	s_mov_b64 s[40:41], 0
	s_mov_b64 s[44:45], 0
                                        ; implicit-def: $sgpr42_sgpr43
	s_branch .LBB445_84
.LBB445_82:                             ;   in Loop: Header=BB445_84 Depth=1
	global_load_dword v20, v[18:19], off
	global_load_dword v21, v[16:17], off
	s_add_u32 s44, s44, 1
	s_addc_u32 s45, s45, 0
	s_andn2_b64 s[42:43], s[42:43], exec
	v_lshl_add_u64 v[16:17], v[16:17], 0, 4
	v_lshl_add_u64 v[18:19], v[18:19], 0, 4
	s_waitcnt vmcnt(0)
	v_cmp_ne_u32_e32 vcc, v20, v21
	s_and_b64 s[46:47], vcc, exec
	s_or_b64 s[42:43], s[42:43], s[46:47]
.LBB445_83:                             ;   in Loop: Header=BB445_84 Depth=1
	s_and_b64 s[46:47], exec, s[42:43]
	s_or_b64 s[40:41], s[46:47], s[40:41]
	v_mov_b64_e32 v[20:21], s[44:45]
	s_andn2_b64 exec, exec, s[40:41]
	s_cbranch_execz .LBB445_86
.LBB445_84:                             ; =>This Inner Loop Header: Depth=1
	s_or_b64 s[42:43], s[42:43], exec
	s_cmp_eq_u64 s[18:19], s[44:45]
	s_cbranch_scc0 .LBB445_82
; %bb.85:                               ;   in Loop: Header=BB445_84 Depth=1
                                        ; implicit-def: $vgpr16_vgpr17
                                        ; implicit-def: $vgpr18_vgpr19
	s_mov_b64 s[44:45], s[26:27]
	s_branch .LBB445_83
.LBB445_86:
	s_or_b64 exec, exec, s[40:41]
	v_cmp_gt_i64_e32 vcc, s[26:27], v[20:21]
	s_orn2_b64 s[18:19], vcc, exec
.LBB445_87:
	s_or_b64 exec, exec, s[38:39]
.LBB445_88:
	v_cndmask_b32_e64 v32, 0, 1, s[12:13]
	v_cndmask_b32_e64 v33, 0, 1, s[14:15]
	;; [unrolled: 1-line block ×3, first 2 shown]
	v_or_b32_e32 v20, v22, v23
	s_and_b64 vcc, exec, s[36:37]
	s_cbranch_vccz .LBB445_169
.LBB445_89:
	v_cmp_gt_u32_e32 vcc, s3, v27
	s_mov_b64 s[12:13], 0
	s_mov_b64 s[10:11], 0
	s_and_saveexec_b64 s[14:15], vcc
	s_cbranch_execz .LBB445_100
; %bb.90:
	s_and_b64 vcc, exec, s[4:5]
	s_mov_b64 s[18:19], 0
	s_cbranch_vccnz .LBB445_99
; %bb.91:
	s_waitcnt lgkmcnt(0)
	v_mul_lo_u32 v18, v5, s26
	v_mul_lo_u32 v19, v4, s27
	v_mad_u64_u32 v[16:17], s[10:11], v4, s26, 0
	v_add3_u32 v17, v17, v19, v18
	v_mul_lo_u32 v18, v15, s26
	v_mul_lo_u32 v19, v14, s27
	v_mad_u64_u32 v[20:21], s[10:11], v14, s26, 0
	v_add3_u32 v21, v21, v19, v18
	v_lshl_add_u64 v[18:19], v[16:17], 2, s[28:29]
	v_lshl_add_u64 v[16:17], v[20:21], 2, s[28:29]
	global_load_dword v20, v[18:19], off
	global_load_dword v21, v[16:17], off
	s_mov_b64 s[18:19], -1
	s_waitcnt vmcnt(0)
	v_cmp_eq_u32_e32 vcc, v20, v21
	s_and_saveexec_b64 s[10:11], vcc
	s_cbranch_execz .LBB445_98
; %bb.92:
	s_add_u32 s18, s26, -1
	v_lshl_add_u64 v[16:17], v[16:17], 0, 4
	v_lshl_add_u64 v[18:19], v[18:19], 0, 4
	s_addc_u32 s19, s27, -1
	s_mov_b64 s[36:37], 0
	s_mov_b64 s[40:41], 0
                                        ; implicit-def: $sgpr38_sgpr39
	s_branch .LBB445_95
.LBB445_93:                             ;   in Loop: Header=BB445_95 Depth=1
	global_load_dword v20, v[18:19], off
	global_load_dword v21, v[16:17], off
	s_add_u32 s40, s40, 1
	s_addc_u32 s41, s41, 0
	s_andn2_b64 s[38:39], s[38:39], exec
	v_lshl_add_u64 v[16:17], v[16:17], 0, 4
	v_lshl_add_u64 v[18:19], v[18:19], 0, 4
	s_waitcnt vmcnt(0)
	v_cmp_ne_u32_e32 vcc, v20, v21
	s_and_b64 s[42:43], vcc, exec
	s_or_b64 s[38:39], s[38:39], s[42:43]
.LBB445_94:                             ;   in Loop: Header=BB445_95 Depth=1
	s_and_b64 s[42:43], exec, s[38:39]
	s_or_b64 s[36:37], s[42:43], s[36:37]
	v_mov_b64_e32 v[20:21], s[40:41]
	s_andn2_b64 exec, exec, s[36:37]
	s_cbranch_execz .LBB445_97
.LBB445_95:                             ; =>This Inner Loop Header: Depth=1
	s_or_b64 s[38:39], s[38:39], exec
	s_cmp_eq_u64 s[18:19], s[40:41]
	s_cbranch_scc0 .LBB445_93
; %bb.96:                               ;   in Loop: Header=BB445_95 Depth=1
                                        ; implicit-def: $vgpr16_vgpr17
                                        ; implicit-def: $vgpr18_vgpr19
	s_mov_b64 s[40:41], s[26:27]
	s_branch .LBB445_94
.LBB445_97:
	s_or_b64 exec, exec, s[36:37]
	v_cmp_gt_i64_e32 vcc, s[26:27], v[20:21]
	s_orn2_b64 s[18:19], vcc, exec
.LBB445_98:
	s_or_b64 exec, exec, s[10:11]
.LBB445_99:
	s_and_b64 s[10:11], s[18:19], exec
.LBB445_100:
	s_or_b64 exec, exec, s[14:15]
	v_cmp_gt_u32_e32 vcc, s3, v29
	s_and_saveexec_b64 s[14:15], vcc
	s_cbranch_execz .LBB445_111
; %bb.101:
	s_and_b64 vcc, exec, s[4:5]
	s_mov_b64 s[18:19], 0
	s_cbranch_vccnz .LBB445_110
; %bb.102:
	s_waitcnt lgkmcnt(0)
	v_mul_lo_u32 v18, v3, s26
	v_mul_lo_u32 v19, v2, s27
	v_mad_u64_u32 v[16:17], s[12:13], v2, s26, 0
	v_add3_u32 v17, v17, v19, v18
	v_mul_lo_u32 v18, v5, s26
	v_mul_lo_u32 v19, v4, s27
	v_mad_u64_u32 v[20:21], s[12:13], v4, s26, 0
	v_add3_u32 v21, v21, v19, v18
	v_lshl_add_u64 v[18:19], v[16:17], 2, s[28:29]
	v_lshl_add_u64 v[16:17], v[20:21], 2, s[28:29]
	global_load_dword v20, v[18:19], off
	global_load_dword v21, v[16:17], off
	s_mov_b64 s[18:19], -1
	s_waitcnt vmcnt(0)
	v_cmp_eq_u32_e32 vcc, v20, v21
	s_and_saveexec_b64 s[12:13], vcc
	s_cbranch_execz .LBB445_109
; %bb.103:
	s_add_u32 s18, s26, -1
	v_lshl_add_u64 v[16:17], v[16:17], 0, 4
	v_lshl_add_u64 v[18:19], v[18:19], 0, 4
	s_addc_u32 s19, s27, -1
	s_mov_b64 s[36:37], 0
	s_mov_b64 s[40:41], 0
                                        ; implicit-def: $sgpr38_sgpr39
	s_branch .LBB445_106
.LBB445_104:                            ;   in Loop: Header=BB445_106 Depth=1
	global_load_dword v20, v[18:19], off
	global_load_dword v21, v[16:17], off
	s_add_u32 s40, s40, 1
	s_addc_u32 s41, s41, 0
	s_andn2_b64 s[38:39], s[38:39], exec
	v_lshl_add_u64 v[16:17], v[16:17], 0, 4
	v_lshl_add_u64 v[18:19], v[18:19], 0, 4
	s_waitcnt vmcnt(0)
	v_cmp_ne_u32_e32 vcc, v20, v21
	s_and_b64 s[42:43], vcc, exec
	s_or_b64 s[38:39], s[38:39], s[42:43]
.LBB445_105:                            ;   in Loop: Header=BB445_106 Depth=1
	s_and_b64 s[42:43], exec, s[38:39]
	s_or_b64 s[36:37], s[42:43], s[36:37]
	v_mov_b64_e32 v[20:21], s[40:41]
	s_andn2_b64 exec, exec, s[36:37]
	s_cbranch_execz .LBB445_108
.LBB445_106:                            ; =>This Inner Loop Header: Depth=1
	s_or_b64 s[38:39], s[38:39], exec
	s_cmp_eq_u64 s[18:19], s[40:41]
	s_cbranch_scc0 .LBB445_104
; %bb.107:                              ;   in Loop: Header=BB445_106 Depth=1
                                        ; implicit-def: $vgpr16_vgpr17
                                        ; implicit-def: $vgpr18_vgpr19
	s_mov_b64 s[40:41], s[26:27]
	s_branch .LBB445_105
.LBB445_108:
	s_or_b64 exec, exec, s[36:37]
	v_cmp_gt_i64_e32 vcc, s[26:27], v[20:21]
	s_orn2_b64 s[18:19], vcc, exec
.LBB445_109:
	s_or_b64 exec, exec, s[12:13]
.LBB445_110:
	s_and_b64 s[12:13], s[18:19], exec
.LBB445_111:
	s_or_b64 exec, exec, s[14:15]
	v_cmp_gt_u32_e32 vcc, s3, v26
	s_mov_b64 s[18:19], 0
	s_mov_b64 s[14:15], 0
	s_and_saveexec_b64 s[36:37], vcc
	s_cbranch_execz .LBB445_122
; %bb.112:
	s_and_b64 vcc, exec, s[4:5]
	s_mov_b64 s[38:39], 0
	s_cbranch_vccnz .LBB445_121
; %bb.113:
	s_waitcnt lgkmcnt(0)
	v_mul_lo_u32 v18, v9, s26
	v_mul_lo_u32 v19, v8, s27
	v_mad_u64_u32 v[16:17], s[14:15], v8, s26, 0
	v_add3_u32 v17, v17, v19, v18
	v_mul_lo_u32 v18, v3, s26
	v_mul_lo_u32 v19, v2, s27
	v_mad_u64_u32 v[20:21], s[14:15], v2, s26, 0
	v_add3_u32 v21, v21, v19, v18
	v_lshl_add_u64 v[18:19], v[16:17], 2, s[28:29]
	v_lshl_add_u64 v[16:17], v[20:21], 2, s[28:29]
	global_load_dword v20, v[18:19], off
	global_load_dword v21, v[16:17], off
	s_mov_b64 s[38:39], -1
	s_waitcnt vmcnt(0)
	v_cmp_eq_u32_e32 vcc, v20, v21
	s_and_saveexec_b64 s[14:15], vcc
	s_cbranch_execz .LBB445_120
; %bb.114:
	s_add_u32 s38, s26, -1
	v_lshl_add_u64 v[16:17], v[16:17], 0, 4
	v_lshl_add_u64 v[18:19], v[18:19], 0, 4
	s_addc_u32 s39, s27, -1
	s_mov_b64 s[40:41], 0
	s_mov_b64 s[44:45], 0
                                        ; implicit-def: $sgpr42_sgpr43
	s_branch .LBB445_117
.LBB445_115:                            ;   in Loop: Header=BB445_117 Depth=1
	global_load_dword v20, v[18:19], off
	global_load_dword v21, v[16:17], off
	s_add_u32 s44, s44, 1
	s_addc_u32 s45, s45, 0
	s_andn2_b64 s[42:43], s[42:43], exec
	v_lshl_add_u64 v[16:17], v[16:17], 0, 4
	v_lshl_add_u64 v[18:19], v[18:19], 0, 4
	s_waitcnt vmcnt(0)
	v_cmp_ne_u32_e32 vcc, v20, v21
	s_and_b64 s[46:47], vcc, exec
	s_or_b64 s[42:43], s[42:43], s[46:47]
.LBB445_116:                            ;   in Loop: Header=BB445_117 Depth=1
	s_and_b64 s[46:47], exec, s[42:43]
	s_or_b64 s[40:41], s[46:47], s[40:41]
	v_mov_b64_e32 v[20:21], s[44:45]
	s_andn2_b64 exec, exec, s[40:41]
	s_cbranch_execz .LBB445_119
.LBB445_117:                            ; =>This Inner Loop Header: Depth=1
	s_or_b64 s[42:43], s[42:43], exec
	s_cmp_eq_u64 s[38:39], s[44:45]
	s_cbranch_scc0 .LBB445_115
; %bb.118:                              ;   in Loop: Header=BB445_117 Depth=1
                                        ; implicit-def: $vgpr16_vgpr17
                                        ; implicit-def: $vgpr18_vgpr19
	s_mov_b64 s[44:45], s[26:27]
	s_branch .LBB445_116
.LBB445_119:
	s_or_b64 exec, exec, s[40:41]
	v_cmp_gt_i64_e32 vcc, s[26:27], v[20:21]
	s_orn2_b64 s[38:39], vcc, exec
.LBB445_120:
	s_or_b64 exec, exec, s[14:15]
.LBB445_121:
	s_and_b64 s[14:15], s[38:39], exec
.LBB445_122:
	s_or_b64 exec, exec, s[36:37]
	v_cmp_gt_u32_e32 vcc, s3, v28
	s_and_saveexec_b64 s[36:37], vcc
	s_cbranch_execz .LBB445_133
; %bb.123:
	s_and_b64 vcc, exec, s[4:5]
	s_mov_b64 s[38:39], 0
	s_cbranch_vccnz .LBB445_132
; %bb.124:
	s_waitcnt lgkmcnt(0)
	v_mul_lo_u32 v18, v7, s26
	v_mul_lo_u32 v19, v6, s27
	v_mad_u64_u32 v[16:17], s[18:19], v6, s26, 0
	v_add3_u32 v17, v17, v19, v18
	v_mul_lo_u32 v18, v9, s26
	v_mul_lo_u32 v19, v8, s27
	v_mad_u64_u32 v[20:21], s[18:19], v8, s26, 0
	v_add3_u32 v21, v21, v19, v18
	v_lshl_add_u64 v[18:19], v[16:17], 2, s[28:29]
	v_lshl_add_u64 v[16:17], v[20:21], 2, s[28:29]
	global_load_dword v20, v[18:19], off
	global_load_dword v21, v[16:17], off
	s_mov_b64 s[38:39], -1
	s_waitcnt vmcnt(0)
	v_cmp_eq_u32_e32 vcc, v20, v21
	s_and_saveexec_b64 s[18:19], vcc
	s_cbranch_execz .LBB445_131
; %bb.125:
	s_add_u32 s38, s26, -1
	v_lshl_add_u64 v[16:17], v[16:17], 0, 4
	v_lshl_add_u64 v[18:19], v[18:19], 0, 4
	s_addc_u32 s39, s27, -1
	s_mov_b64 s[40:41], 0
	s_mov_b64 s[44:45], 0
                                        ; implicit-def: $sgpr42_sgpr43
	s_branch .LBB445_128
.LBB445_126:                            ;   in Loop: Header=BB445_128 Depth=1
	global_load_dword v20, v[18:19], off
	global_load_dword v21, v[16:17], off
	s_add_u32 s44, s44, 1
	s_addc_u32 s45, s45, 0
	s_andn2_b64 s[42:43], s[42:43], exec
	v_lshl_add_u64 v[16:17], v[16:17], 0, 4
	v_lshl_add_u64 v[18:19], v[18:19], 0, 4
	s_waitcnt vmcnt(0)
	v_cmp_ne_u32_e32 vcc, v20, v21
	s_and_b64 s[46:47], vcc, exec
	s_or_b64 s[42:43], s[42:43], s[46:47]
.LBB445_127:                            ;   in Loop: Header=BB445_128 Depth=1
	s_and_b64 s[46:47], exec, s[42:43]
	s_or_b64 s[40:41], s[46:47], s[40:41]
	v_mov_b64_e32 v[20:21], s[44:45]
	s_andn2_b64 exec, exec, s[40:41]
	s_cbranch_execz .LBB445_130
.LBB445_128:                            ; =>This Inner Loop Header: Depth=1
	s_or_b64 s[42:43], s[42:43], exec
	s_cmp_eq_u64 s[38:39], s[44:45]
	s_cbranch_scc0 .LBB445_126
; %bb.129:                              ;   in Loop: Header=BB445_128 Depth=1
                                        ; implicit-def: $vgpr16_vgpr17
                                        ; implicit-def: $vgpr18_vgpr19
	s_mov_b64 s[44:45], s[26:27]
	s_branch .LBB445_127
.LBB445_130:
	s_or_b64 exec, exec, s[40:41]
	v_cmp_gt_i64_e32 vcc, s[26:27], v[20:21]
	s_orn2_b64 s[38:39], vcc, exec
.LBB445_131:
	s_or_b64 exec, exec, s[18:19]
.LBB445_132:
	s_and_b64 s[18:19], s[38:39], exec
.LBB445_133:
	s_or_b64 exec, exec, s[36:37]
	v_cmp_gt_u32_e32 vcc, s3, v24
	s_mov_b64 s[36:37], 0
	s_mov_b64 s[38:39], 0
	s_and_saveexec_b64 s[40:41], vcc
	s_cbranch_execz .LBB445_144
; %bb.134:
	s_and_b64 vcc, exec, s[4:5]
	s_mov_b64 s[42:43], 0
	s_cbranch_vccnz .LBB445_143
; %bb.135:
	s_waitcnt lgkmcnt(0)
	v_mul_lo_u32 v18, v13, s26
	v_mul_lo_u32 v19, v12, s27
	v_mad_u64_u32 v[16:17], s[38:39], v12, s26, 0
	v_add3_u32 v17, v17, v19, v18
	v_mul_lo_u32 v18, v7, s26
	v_mul_lo_u32 v19, v6, s27
	v_mad_u64_u32 v[20:21], s[38:39], v6, s26, 0
	v_add3_u32 v21, v21, v19, v18
	v_lshl_add_u64 v[18:19], v[16:17], 2, s[28:29]
	v_lshl_add_u64 v[16:17], v[20:21], 2, s[28:29]
	global_load_dword v20, v[18:19], off
	global_load_dword v21, v[16:17], off
	s_mov_b64 s[42:43], -1
	s_waitcnt vmcnt(0)
	v_cmp_eq_u32_e32 vcc, v20, v21
	s_and_saveexec_b64 s[38:39], vcc
	s_cbranch_execz .LBB445_142
; %bb.136:
	s_add_u32 s42, s26, -1
	v_lshl_add_u64 v[16:17], v[16:17], 0, 4
	v_lshl_add_u64 v[18:19], v[18:19], 0, 4
	s_addc_u32 s43, s27, -1
	s_mov_b64 s[44:45], 0
	s_mov_b64 s[48:49], 0
                                        ; implicit-def: $sgpr46_sgpr47
	s_branch .LBB445_139
.LBB445_137:                            ;   in Loop: Header=BB445_139 Depth=1
	global_load_dword v20, v[18:19], off
	global_load_dword v21, v[16:17], off
	s_add_u32 s48, s48, 1
	s_addc_u32 s49, s49, 0
	s_andn2_b64 s[46:47], s[46:47], exec
	v_lshl_add_u64 v[16:17], v[16:17], 0, 4
	v_lshl_add_u64 v[18:19], v[18:19], 0, 4
	s_waitcnt vmcnt(0)
	v_cmp_ne_u32_e32 vcc, v20, v21
	s_and_b64 s[50:51], vcc, exec
	s_or_b64 s[46:47], s[46:47], s[50:51]
.LBB445_138:                            ;   in Loop: Header=BB445_139 Depth=1
	s_and_b64 s[50:51], exec, s[46:47]
	s_or_b64 s[44:45], s[50:51], s[44:45]
	v_mov_b64_e32 v[20:21], s[48:49]
	s_andn2_b64 exec, exec, s[44:45]
	s_cbranch_execz .LBB445_141
.LBB445_139:                            ; =>This Inner Loop Header: Depth=1
	s_or_b64 s[46:47], s[46:47], exec
	s_cmp_eq_u64 s[42:43], s[48:49]
	s_cbranch_scc0 .LBB445_137
; %bb.140:                              ;   in Loop: Header=BB445_139 Depth=1
                                        ; implicit-def: $vgpr16_vgpr17
                                        ; implicit-def: $vgpr18_vgpr19
	s_mov_b64 s[48:49], s[26:27]
	s_branch .LBB445_138
.LBB445_141:
	s_or_b64 exec, exec, s[44:45]
	v_cmp_gt_i64_e32 vcc, s[26:27], v[20:21]
	s_orn2_b64 s[42:43], vcc, exec
.LBB445_142:
	s_or_b64 exec, exec, s[38:39]
.LBB445_143:
	s_and_b64 s[38:39], s[42:43], exec
.LBB445_144:
	s_or_b64 exec, exec, s[40:41]
	v_cmp_gt_u32_e32 vcc, s3, v25
	s_and_saveexec_b64 s[40:41], vcc
	s_cbranch_execz .LBB445_155
; %bb.145:
	s_and_b64 vcc, exec, s[4:5]
	s_mov_b64 s[42:43], 0
	s_cbranch_vccnz .LBB445_154
; %bb.146:
	s_waitcnt lgkmcnt(0)
	v_mul_lo_u32 v18, v11, s26
	v_mul_lo_u32 v19, v10, s27
	v_mad_u64_u32 v[16:17], s[36:37], v10, s26, 0
	v_add3_u32 v17, v17, v19, v18
	v_mul_lo_u32 v18, v13, s26
	v_mul_lo_u32 v19, v12, s27
	v_mad_u64_u32 v[20:21], s[36:37], v12, s26, 0
	v_add3_u32 v21, v21, v19, v18
	v_lshl_add_u64 v[18:19], v[16:17], 2, s[28:29]
	v_lshl_add_u64 v[16:17], v[20:21], 2, s[28:29]
	global_load_dword v20, v[18:19], off
	global_load_dword v21, v[16:17], off
	s_mov_b64 s[42:43], -1
	s_waitcnt vmcnt(0)
	v_cmp_eq_u32_e32 vcc, v20, v21
	s_and_saveexec_b64 s[36:37], vcc
	s_cbranch_execz .LBB445_153
; %bb.147:
	s_add_u32 s42, s26, -1
	v_lshl_add_u64 v[16:17], v[16:17], 0, 4
	v_lshl_add_u64 v[18:19], v[18:19], 0, 4
	s_addc_u32 s43, s27, -1
	s_mov_b64 s[44:45], 0
	s_mov_b64 s[48:49], 0
                                        ; implicit-def: $sgpr46_sgpr47
	s_branch .LBB445_150
.LBB445_148:                            ;   in Loop: Header=BB445_150 Depth=1
	global_load_dword v20, v[18:19], off
	global_load_dword v21, v[16:17], off
	s_add_u32 s48, s48, 1
	s_addc_u32 s49, s49, 0
	s_andn2_b64 s[46:47], s[46:47], exec
	v_lshl_add_u64 v[16:17], v[16:17], 0, 4
	v_lshl_add_u64 v[18:19], v[18:19], 0, 4
	s_waitcnt vmcnt(0)
	v_cmp_ne_u32_e32 vcc, v20, v21
	s_and_b64 s[50:51], vcc, exec
	s_or_b64 s[46:47], s[46:47], s[50:51]
.LBB445_149:                            ;   in Loop: Header=BB445_150 Depth=1
	s_and_b64 s[50:51], exec, s[46:47]
	s_or_b64 s[44:45], s[50:51], s[44:45]
	v_mov_b64_e32 v[20:21], s[48:49]
	s_andn2_b64 exec, exec, s[44:45]
	s_cbranch_execz .LBB445_152
.LBB445_150:                            ; =>This Inner Loop Header: Depth=1
	s_or_b64 s[46:47], s[46:47], exec
	s_cmp_eq_u64 s[42:43], s[48:49]
	s_cbranch_scc0 .LBB445_148
; %bb.151:                              ;   in Loop: Header=BB445_150 Depth=1
                                        ; implicit-def: $vgpr16_vgpr17
                                        ; implicit-def: $vgpr18_vgpr19
	s_mov_b64 s[48:49], s[26:27]
	s_branch .LBB445_149
.LBB445_152:
	s_or_b64 exec, exec, s[44:45]
	v_cmp_gt_i64_e32 vcc, s[26:27], v[20:21]
	s_orn2_b64 s[42:43], vcc, exec
.LBB445_153:
	s_or_b64 exec, exec, s[36:37]
.LBB445_154:
	s_and_b64 s[36:37], s[42:43], exec
.LBB445_155:
	s_or_b64 exec, exec, s[40:41]
	v_cmp_ne_u32_e32 vcc, 0, v0
	s_waitcnt lgkmcnt(0)
	v_mov_b64_e32 v[16:17], s[6:7]
	s_barrier
	s_and_saveexec_b64 s[6:7], vcc
	s_cbranch_execz .LBB445_157
; %bb.156:
	v_add_u32_e32 v16, -8, v31
	ds_read_b64 v[16:17], v16
.LBB445_157:
	s_or_b64 exec, exec, s[6:7]
	v_cndmask_b32_e64 v19, 0, 1, s[18:19]
	v_cndmask_b32_e64 v18, 0, 1, s[38:39]
	;; [unrolled: 1-line block ×3, first 2 shown]
	v_lshlrev_b16_e32 v19, 8, v19
	v_cmp_gt_u32_e32 vcc, s3, v1
	v_lshlrev_b16_e32 v22, 8, v20
	v_or_b32_sdwa v23, v18, v19 dst_sel:WORD_1 dst_unused:UNUSED_PAD src0_sel:DWORD src1_sel:DWORD
	s_mov_b64 s[18:19], 0
	s_and_saveexec_b64 s[6:7], vcc
	s_cbranch_execz .LBB445_168
; %bb.158:
	s_and_b64 vcc, exec, s[4:5]
	s_cbranch_vccnz .LBB445_167
; %bb.159:
	s_waitcnt lgkmcnt(0)
	v_mul_lo_u32 v18, v17, s26
	v_mul_lo_u32 v19, v16, s27
	v_mad_u64_u32 v[16:17], s[4:5], v16, s26, 0
	v_add3_u32 v17, v17, v19, v18
	v_mul_lo_u32 v18, v11, s26
	v_mul_lo_u32 v19, v10, s27
	v_mad_u64_u32 v[20:21], s[4:5], v10, s26, 0
	v_add3_u32 v21, v21, v19, v18
	v_lshl_add_u64 v[18:19], v[16:17], 2, s[28:29]
	v_lshl_add_u64 v[16:17], v[20:21], 2, s[28:29]
	global_load_dword v20, v[18:19], off
	global_load_dword v21, v[16:17], off
	s_mov_b64 s[18:19], -1
	s_waitcnt vmcnt(0)
	v_cmp_eq_u32_e32 vcc, v20, v21
	s_and_saveexec_b64 s[4:5], vcc
	s_cbranch_execz .LBB445_166
; %bb.160:
	s_add_u32 s18, s26, -1
	v_lshl_add_u64 v[16:17], v[16:17], 0, 4
	v_lshl_add_u64 v[18:19], v[18:19], 0, 4
	s_addc_u32 s19, s27, -1
	s_mov_b64 s[36:37], 0
	s_mov_b64 s[40:41], 0
                                        ; implicit-def: $sgpr38_sgpr39
	s_branch .LBB445_163
.LBB445_161:                            ;   in Loop: Header=BB445_163 Depth=1
	global_load_dword v20, v[18:19], off
	global_load_dword v21, v[16:17], off
	s_add_u32 s40, s40, 1
	s_addc_u32 s41, s41, 0
	s_andn2_b64 s[38:39], s[38:39], exec
	v_lshl_add_u64 v[16:17], v[16:17], 0, 4
	v_lshl_add_u64 v[18:19], v[18:19], 0, 4
	s_waitcnt vmcnt(0)
	v_cmp_ne_u32_e32 vcc, v20, v21
	s_and_b64 s[42:43], vcc, exec
	s_or_b64 s[38:39], s[38:39], s[42:43]
.LBB445_162:                            ;   in Loop: Header=BB445_163 Depth=1
	s_and_b64 s[42:43], exec, s[38:39]
	s_or_b64 s[36:37], s[42:43], s[36:37]
	v_mov_b64_e32 v[20:21], s[40:41]
	s_andn2_b64 exec, exec, s[36:37]
	s_cbranch_execz .LBB445_165
.LBB445_163:                            ; =>This Inner Loop Header: Depth=1
	s_or_b64 s[38:39], s[38:39], exec
	s_cmp_eq_u64 s[18:19], s[40:41]
	s_cbranch_scc0 .LBB445_161
; %bb.164:                              ;   in Loop: Header=BB445_163 Depth=1
                                        ; implicit-def: $vgpr16_vgpr17
                                        ; implicit-def: $vgpr18_vgpr19
	s_mov_b64 s[40:41], s[26:27]
	s_branch .LBB445_162
.LBB445_165:
	s_or_b64 exec, exec, s[36:37]
	v_cmp_gt_i64_e32 vcc, s[26:27], v[20:21]
	s_orn2_b64 s[18:19], vcc, exec
.LBB445_166:
	s_or_b64 exec, exec, s[4:5]
.LBB445_167:
	s_and_b64 s[18:19], s[18:19], exec
.LBB445_168:
	s_or_b64 exec, exec, s[6:7]
	v_cndmask_b32_e64 v32, 0, 1, s[14:15]
	v_cndmask_b32_e64 v33, 0, 1, s[12:13]
	;; [unrolled: 1-line block ×3, first 2 shown]
	v_or_b32_e32 v20, v22, v23
.LBB445_169:
	s_mov_b64 s[10:11], -1
	s_cbranch_execnz .LBB445_28
.LBB445_170:
	s_movk_i32 s4, 0xffd0
	v_mad_i32_i24 v30, v0, s4, v30
	s_mov_b64 s[12:13], 0
	s_waitcnt lgkmcnt(0)
	v_cmp_gt_i64_e64 s[6:7], s[26:27], 0
	s_and_b64 vcc, exec, s[34:35]
	ds_write_b64 v30, v[14:15]
	s_cbranch_vccz .LBB445_178
; %bb.171:
	v_mul_lo_u32 v18, v5, s26
	v_mul_lo_u32 v19, v4, s27
	v_mad_u64_u32 v[16:17], s[4:5], v4, s26, 0
	v_add3_u32 v17, v17, v19, v18
	v_cndmask_b32_e64 v18, 0, 1, s[6:7]
	v_cmp_ne_u32_e64 s[4:5], 1, v18
	s_andn2_b64 vcc, exec, s[6:7]
	v_lshl_add_u64 v[16:17], v[16:17], 2, s[28:29]
	s_cbranch_vccnz .LBB445_181
; %bb.172:
	v_mul_lo_u32 v20, v15, s26
	v_mul_lo_u32 v21, v14, s27
	v_mad_u64_u32 v[18:19], s[12:13], v14, s26, 0
	v_add3_u32 v19, v19, v21, v20
	v_lshl_add_u64 v[18:19], v[18:19], 2, s[28:29]
	global_load_dword v20, v[16:17], off
	global_load_dword v21, v[18:19], off
	s_mov_b64 s[12:13], -1
	s_waitcnt vmcnt(0)
	v_cmp_eq_u32_e32 vcc, v20, v21
	s_and_saveexec_b64 s[14:15], vcc
	s_cbranch_execz .LBB445_180
; %bb.173:
	s_add_u32 s12, s26, -1
	v_lshl_add_u64 v[18:19], v[18:19], 0, 4
	v_lshl_add_u64 v[20:21], v[16:17], 0, 4
	s_addc_u32 s13, s27, -1
	s_mov_b64 s[18:19], 0
	s_mov_b64 s[38:39], 0
                                        ; implicit-def: $sgpr36_sgpr37
	s_branch .LBB445_176
.LBB445_174:                            ;   in Loop: Header=BB445_176 Depth=1
	global_load_dword v22, v[20:21], off
	global_load_dword v23, v[18:19], off
	s_add_u32 s38, s38, 1
	s_addc_u32 s39, s39, 0
	s_andn2_b64 s[36:37], s[36:37], exec
	v_lshl_add_u64 v[18:19], v[18:19], 0, 4
	v_lshl_add_u64 v[20:21], v[20:21], 0, 4
	s_waitcnt vmcnt(0)
	v_cmp_ne_u32_e32 vcc, v22, v23
	s_and_b64 s[40:41], vcc, exec
	s_or_b64 s[36:37], s[36:37], s[40:41]
.LBB445_175:                            ;   in Loop: Header=BB445_176 Depth=1
	s_and_b64 s[40:41], exec, s[36:37]
	s_or_b64 s[18:19], s[40:41], s[18:19]
	v_mov_b64_e32 v[22:23], s[38:39]
	s_andn2_b64 exec, exec, s[18:19]
	s_cbranch_execz .LBB445_179
.LBB445_176:                            ; =>This Inner Loop Header: Depth=1
	s_or_b64 s[36:37], s[36:37], exec
	s_cmp_eq_u64 s[12:13], s[38:39]
	s_cbranch_scc0 .LBB445_174
; %bb.177:                              ;   in Loop: Header=BB445_176 Depth=1
                                        ; implicit-def: $vgpr18_vgpr19
                                        ; implicit-def: $vgpr20_vgpr21
	s_mov_b64 s[38:39], s[26:27]
	s_branch .LBB445_175
.LBB445_178:
                                        ; implicit-def: $sgpr18_sgpr19
                                        ; implicit-def: $vgpr34
                                        ; implicit-def: $vgpr33
                                        ; implicit-def: $vgpr32
                                        ; implicit-def: $vgpr20
                                        ; implicit-def: $vgpr16_vgpr17
	s_cbranch_execnz .LBB445_238
	s_branch .LBB445_318
.LBB445_179:
	s_or_b64 exec, exec, s[18:19]
	v_cmp_gt_i64_e32 vcc, s[26:27], v[22:23]
	s_orn2_b64 s[12:13], vcc, exec
.LBB445_180:
	s_or_b64 exec, exec, s[14:15]
.LBB445_181:
	v_mul_lo_u32 v20, v3, s26
	v_mul_lo_u32 v21, v2, s27
	v_mad_u64_u32 v[18:19], s[14:15], v2, s26, 0
	v_add3_u32 v19, v19, v21, v20
	s_mov_b64 s[14:15], 0
	s_and_b64 vcc, exec, s[4:5]
	v_lshl_add_u64 v[18:19], v[18:19], 2, s[28:29]
	s_mov_b64 s[18:19], 0
	s_cbranch_vccnz .LBB445_190
; %bb.182:
	global_load_dword v20, v[18:19], off
	global_load_dword v21, v[16:17], off
	s_mov_b64 s[18:19], -1
	s_waitcnt vmcnt(0)
	v_cmp_eq_u32_e32 vcc, v20, v21
	s_and_saveexec_b64 s[36:37], vcc
	s_cbranch_execz .LBB445_189
; %bb.183:
	s_add_u32 s18, s26, -1
	v_lshl_add_u64 v[16:17], v[16:17], 0, 4
	v_lshl_add_u64 v[20:21], v[18:19], 0, 4
	s_addc_u32 s19, s27, -1
	s_mov_b64 s[38:39], 0
	s_mov_b64 s[42:43], 0
                                        ; implicit-def: $sgpr40_sgpr41
	s_branch .LBB445_186
.LBB445_184:                            ;   in Loop: Header=BB445_186 Depth=1
	global_load_dword v22, v[20:21], off
	global_load_dword v23, v[16:17], off
	s_add_u32 s42, s42, 1
	s_addc_u32 s43, s43, 0
	s_andn2_b64 s[40:41], s[40:41], exec
	v_lshl_add_u64 v[16:17], v[16:17], 0, 4
	v_lshl_add_u64 v[20:21], v[20:21], 0, 4
	s_waitcnt vmcnt(0)
	v_cmp_ne_u32_e32 vcc, v22, v23
	s_and_b64 s[44:45], vcc, exec
	s_or_b64 s[40:41], s[40:41], s[44:45]
.LBB445_185:                            ;   in Loop: Header=BB445_186 Depth=1
	s_and_b64 s[44:45], exec, s[40:41]
	s_or_b64 s[38:39], s[44:45], s[38:39]
	v_mov_b64_e32 v[22:23], s[42:43]
	s_andn2_b64 exec, exec, s[38:39]
	s_cbranch_execz .LBB445_188
.LBB445_186:                            ; =>This Inner Loop Header: Depth=1
	s_or_b64 s[40:41], s[40:41], exec
	s_cmp_eq_u64 s[18:19], s[42:43]
	s_cbranch_scc0 .LBB445_184
; %bb.187:                              ;   in Loop: Header=BB445_186 Depth=1
                                        ; implicit-def: $vgpr16_vgpr17
                                        ; implicit-def: $vgpr20_vgpr21
	s_mov_b64 s[42:43], s[26:27]
	s_branch .LBB445_185
.LBB445_188:
	s_or_b64 exec, exec, s[38:39]
	v_cmp_gt_i64_e32 vcc, s[26:27], v[22:23]
	s_orn2_b64 s[18:19], vcc, exec
.LBB445_189:
	s_or_b64 exec, exec, s[36:37]
.LBB445_190:
	v_mul_lo_u32 v20, v9, s26
	v_mul_lo_u32 v21, v8, s27
	v_mad_u64_u32 v[16:17], s[36:37], v8, s26, 0
	v_add3_u32 v17, v17, v21, v20
	s_and_b64 vcc, exec, s[4:5]
	v_lshl_add_u64 v[16:17], v[16:17], 2, s[28:29]
	s_cbranch_vccnz .LBB445_199
; %bb.191:
	global_load_dword v20, v[16:17], off
	global_load_dword v21, v[18:19], off
	s_mov_b64 s[14:15], -1
	s_waitcnt vmcnt(0)
	v_cmp_eq_u32_e32 vcc, v20, v21
	s_and_saveexec_b64 s[36:37], vcc
	s_cbranch_execz .LBB445_198
; %bb.192:
	s_add_u32 s14, s26, -1
	v_lshl_add_u64 v[18:19], v[18:19], 0, 4
	v_lshl_add_u64 v[20:21], v[16:17], 0, 4
	s_addc_u32 s15, s27, -1
	s_mov_b64 s[38:39], 0
	s_mov_b64 s[42:43], 0
                                        ; implicit-def: $sgpr40_sgpr41
	s_branch .LBB445_195
.LBB445_193:                            ;   in Loop: Header=BB445_195 Depth=1
	global_load_dword v22, v[20:21], off
	global_load_dword v23, v[18:19], off
	s_add_u32 s42, s42, 1
	s_addc_u32 s43, s43, 0
	s_andn2_b64 s[40:41], s[40:41], exec
	v_lshl_add_u64 v[18:19], v[18:19], 0, 4
	v_lshl_add_u64 v[20:21], v[20:21], 0, 4
	s_waitcnt vmcnt(0)
	v_cmp_ne_u32_e32 vcc, v22, v23
	s_and_b64 s[44:45], vcc, exec
	s_or_b64 s[40:41], s[40:41], s[44:45]
.LBB445_194:                            ;   in Loop: Header=BB445_195 Depth=1
	s_and_b64 s[44:45], exec, s[40:41]
	s_or_b64 s[38:39], s[44:45], s[38:39]
	v_mov_b64_e32 v[22:23], s[42:43]
	s_andn2_b64 exec, exec, s[38:39]
	s_cbranch_execz .LBB445_197
.LBB445_195:                            ; =>This Inner Loop Header: Depth=1
	s_or_b64 s[40:41], s[40:41], exec
	s_cmp_eq_u64 s[14:15], s[42:43]
	s_cbranch_scc0 .LBB445_193
; %bb.196:                              ;   in Loop: Header=BB445_195 Depth=1
                                        ; implicit-def: $vgpr18_vgpr19
                                        ; implicit-def: $vgpr20_vgpr21
	s_mov_b64 s[42:43], s[26:27]
	s_branch .LBB445_194
.LBB445_197:
	s_or_b64 exec, exec, s[38:39]
	v_cmp_gt_i64_e32 vcc, s[26:27], v[22:23]
	s_orn2_b64 s[14:15], vcc, exec
.LBB445_198:
	s_or_b64 exec, exec, s[36:37]
.LBB445_199:
	v_mul_lo_u32 v20, v7, s26
	v_mul_lo_u32 v21, v6, s27
	v_mad_u64_u32 v[18:19], s[36:37], v6, s26, 0
	v_add3_u32 v19, v19, v21, v20
	s_mov_b64 s[36:37], 0
	s_and_b64 vcc, exec, s[4:5]
	v_lshl_add_u64 v[18:19], v[18:19], 2, s[28:29]
	s_mov_b64 s[38:39], 0
	s_cbranch_vccnz .LBB445_208
; %bb.200:
	global_load_dword v20, v[18:19], off
	global_load_dword v21, v[16:17], off
	s_mov_b64 s[38:39], -1
	s_waitcnt vmcnt(0)
	v_cmp_eq_u32_e32 vcc, v20, v21
	s_and_saveexec_b64 s[40:41], vcc
	s_cbranch_execz .LBB445_207
; %bb.201:
	s_add_u32 s38, s26, -1
	v_lshl_add_u64 v[16:17], v[16:17], 0, 4
	v_lshl_add_u64 v[20:21], v[18:19], 0, 4
	s_addc_u32 s39, s27, -1
	s_mov_b64 s[42:43], 0
	s_mov_b64 s[46:47], 0
                                        ; implicit-def: $sgpr44_sgpr45
	s_branch .LBB445_204
.LBB445_202:                            ;   in Loop: Header=BB445_204 Depth=1
	global_load_dword v22, v[20:21], off
	global_load_dword v23, v[16:17], off
	s_add_u32 s46, s46, 1
	s_addc_u32 s47, s47, 0
	s_andn2_b64 s[44:45], s[44:45], exec
	v_lshl_add_u64 v[16:17], v[16:17], 0, 4
	v_lshl_add_u64 v[20:21], v[20:21], 0, 4
	s_waitcnt vmcnt(0)
	v_cmp_ne_u32_e32 vcc, v22, v23
	s_and_b64 s[48:49], vcc, exec
	s_or_b64 s[44:45], s[44:45], s[48:49]
.LBB445_203:                            ;   in Loop: Header=BB445_204 Depth=1
	s_and_b64 s[48:49], exec, s[44:45]
	s_or_b64 s[42:43], s[48:49], s[42:43]
	v_mov_b64_e32 v[22:23], s[46:47]
	s_andn2_b64 exec, exec, s[42:43]
	s_cbranch_execz .LBB445_206
.LBB445_204:                            ; =>This Inner Loop Header: Depth=1
	s_or_b64 s[44:45], s[44:45], exec
	s_cmp_eq_u64 s[38:39], s[46:47]
	s_cbranch_scc0 .LBB445_202
; %bb.205:                              ;   in Loop: Header=BB445_204 Depth=1
                                        ; implicit-def: $vgpr16_vgpr17
                                        ; implicit-def: $vgpr20_vgpr21
	s_mov_b64 s[46:47], s[26:27]
	s_branch .LBB445_203
.LBB445_206:
	s_or_b64 exec, exec, s[42:43]
	v_cmp_gt_i64_e32 vcc, s[26:27], v[22:23]
	s_orn2_b64 s[38:39], vcc, exec
.LBB445_207:
	s_or_b64 exec, exec, s[40:41]
.LBB445_208:
	v_mul_lo_u32 v20, v13, s26
	v_mul_lo_u32 v21, v12, s27
	v_mad_u64_u32 v[16:17], s[40:41], v12, s26, 0
	v_add3_u32 v17, v17, v21, v20
	s_and_b64 vcc, exec, s[4:5]
	v_lshl_add_u64 v[16:17], v[16:17], 2, s[28:29]
	s_cbranch_vccnz .LBB445_217
; %bb.209:
	global_load_dword v20, v[16:17], off
	global_load_dword v21, v[18:19], off
	s_mov_b64 s[36:37], -1
	s_waitcnt vmcnt(0)
	v_cmp_eq_u32_e32 vcc, v20, v21
	s_and_saveexec_b64 s[40:41], vcc
	s_cbranch_execz .LBB445_216
; %bb.210:
	s_add_u32 s36, s26, -1
	v_lshl_add_u64 v[18:19], v[18:19], 0, 4
	v_lshl_add_u64 v[20:21], v[16:17], 0, 4
	s_addc_u32 s37, s27, -1
	s_mov_b64 s[42:43], 0
	s_mov_b64 s[46:47], 0
                                        ; implicit-def: $sgpr44_sgpr45
	s_branch .LBB445_213
.LBB445_211:                            ;   in Loop: Header=BB445_213 Depth=1
	global_load_dword v22, v[20:21], off
	global_load_dword v23, v[18:19], off
	s_add_u32 s46, s46, 1
	s_addc_u32 s47, s47, 0
	s_andn2_b64 s[44:45], s[44:45], exec
	v_lshl_add_u64 v[18:19], v[18:19], 0, 4
	v_lshl_add_u64 v[20:21], v[20:21], 0, 4
	s_waitcnt vmcnt(0)
	v_cmp_ne_u32_e32 vcc, v22, v23
	s_and_b64 s[48:49], vcc, exec
	s_or_b64 s[44:45], s[44:45], s[48:49]
.LBB445_212:                            ;   in Loop: Header=BB445_213 Depth=1
	s_and_b64 s[48:49], exec, s[44:45]
	s_or_b64 s[42:43], s[48:49], s[42:43]
	v_mov_b64_e32 v[22:23], s[46:47]
	s_andn2_b64 exec, exec, s[42:43]
	s_cbranch_execz .LBB445_215
.LBB445_213:                            ; =>This Inner Loop Header: Depth=1
	s_or_b64 s[44:45], s[44:45], exec
	s_cmp_eq_u64 s[36:37], s[46:47]
	s_cbranch_scc0 .LBB445_211
; %bb.214:                              ;   in Loop: Header=BB445_213 Depth=1
                                        ; implicit-def: $vgpr18_vgpr19
                                        ; implicit-def: $vgpr20_vgpr21
	s_mov_b64 s[46:47], s[26:27]
	s_branch .LBB445_212
.LBB445_215:
	s_or_b64 exec, exec, s[42:43]
	v_cmp_gt_i64_e32 vcc, s[26:27], v[22:23]
	s_orn2_b64 s[36:37], vcc, exec
.LBB445_216:
	s_or_b64 exec, exec, s[40:41]
.LBB445_217:
	v_mul_lo_u32 v20, v11, s26
	v_mul_lo_u32 v21, v10, s27
	v_mad_u64_u32 v[18:19], s[40:41], v10, s26, 0
	v_add3_u32 v19, v19, v21, v20
	s_and_b64 vcc, exec, s[4:5]
	s_mov_b64 s[42:43], 0
	s_cbranch_vccnz .LBB445_226
; %bb.218:
	v_lshl_add_u64 v[20:21], v[18:19], 2, s[28:29]
	global_load_dword v22, v[20:21], off
	global_load_dword v23, v[16:17], off
	s_mov_b64 s[42:43], -1
	s_waitcnt vmcnt(0)
	v_cmp_eq_u32_e32 vcc, v22, v23
	s_and_saveexec_b64 s[40:41], vcc
	s_cbranch_execz .LBB445_225
; %bb.219:
	s_add_u32 s42, s26, -1
	v_lshl_add_u64 v[16:17], v[16:17], 0, 4
	v_lshl_add_u64 v[20:21], v[20:21], 0, 4
	s_addc_u32 s43, s27, -1
	s_mov_b64 s[44:45], 0
	s_mov_b64 s[48:49], 0
                                        ; implicit-def: $sgpr46_sgpr47
	s_branch .LBB445_222
.LBB445_220:                            ;   in Loop: Header=BB445_222 Depth=1
	global_load_dword v22, v[20:21], off
	global_load_dword v23, v[16:17], off
	s_add_u32 s48, s48, 1
	s_addc_u32 s49, s49, 0
	s_andn2_b64 s[46:47], s[46:47], exec
	v_lshl_add_u64 v[16:17], v[16:17], 0, 4
	v_lshl_add_u64 v[20:21], v[20:21], 0, 4
	s_waitcnt vmcnt(0)
	v_cmp_ne_u32_e32 vcc, v22, v23
	s_and_b64 s[50:51], vcc, exec
	s_or_b64 s[46:47], s[46:47], s[50:51]
.LBB445_221:                            ;   in Loop: Header=BB445_222 Depth=1
	s_and_b64 s[50:51], exec, s[46:47]
	s_or_b64 s[44:45], s[50:51], s[44:45]
	v_mov_b64_e32 v[22:23], s[48:49]
	s_andn2_b64 exec, exec, s[44:45]
	s_cbranch_execz .LBB445_224
.LBB445_222:                            ; =>This Inner Loop Header: Depth=1
	s_or_b64 s[46:47], s[46:47], exec
	s_cmp_eq_u64 s[42:43], s[48:49]
	s_cbranch_scc0 .LBB445_220
; %bb.223:                              ;   in Loop: Header=BB445_222 Depth=1
                                        ; implicit-def: $vgpr16_vgpr17
                                        ; implicit-def: $vgpr20_vgpr21
	s_mov_b64 s[48:49], s[26:27]
	s_branch .LBB445_221
.LBB445_224:
	s_or_b64 exec, exec, s[44:45]
	v_cmp_gt_i64_e32 vcc, s[26:27], v[22:23]
	s_orn2_b64 s[42:43], vcc, exec
.LBB445_225:
	s_or_b64 exec, exec, s[40:41]
.LBB445_226:
	v_cndmask_b32_e64 v17, 0, 1, s[38:39]
	v_cndmask_b32_e64 v16, 0, 1, s[36:37]
	;; [unrolled: 1-line block ×3, first 2 shown]
	v_lshlrev_b16_e32 v17, 8, v17
	v_cndmask_b32_e64 v32, 0, 1, s[14:15]
	v_cndmask_b32_e64 v20, 0, 1, s[42:43]
	v_or_b32_sdwa v16, v16, v17 dst_sel:WORD_1 dst_unused:UNUSED_PAD src0_sel:DWORD src1_sel:DWORD
	v_lshlrev_b16_e32 v17, 8, v33
	v_lshlrev_b16_e32 v20, 8, v20
	v_or_b32_e32 v17, v32, v17
	v_or_b32_e32 v20, 1, v20
	v_and_b32_e32 v17, 0xffff, v17
	v_cndmask_b32_e64 v34, 0, 1, s[12:13]
	v_or_b32_sdwa v16, v20, v16 dst_sel:DWORD dst_unused:UNUSED_PAD src0_sel:WORD_0 src1_sel:DWORD
	v_lshl_or_b32 v17, v34, 16, v17
	v_cmp_ne_u32_e32 vcc, 0, v0
	s_waitcnt lgkmcnt(0)
	s_barrier
	s_waitcnt lgkmcnt(0)
                                        ; implicit-def: $sgpr18_sgpr19
                                        ; implicit-def: $vgpr20
	s_and_saveexec_b64 s[12:13], vcc
	s_xor_b64 s[12:13], exec, s[12:13]
	s_cbranch_execz .LBB445_237
; %bb.227:
	s_mov_b32 s33, 0x3020104
	s_and_b64 vcc, exec, s[4:5]
	s_mov_b64 s[14:15], 0
	s_cbranch_vccnz .LBB445_236
; %bb.228:
	v_add_u32_e32 v17, -8, v30
	ds_read_b64 v[20:21], v17
	v_lshl_add_u64 v[18:19], v[18:19], 2, s[28:29]
	s_mov_b64 s[14:15], -1
	s_waitcnt lgkmcnt(0)
	v_mul_lo_u32 v17, v21, s26
	v_mul_lo_u32 v22, v20, s27
	v_mad_u64_u32 v[20:21], s[4:5], v20, s26, 0
	v_add3_u32 v21, v21, v22, v17
	v_lshl_add_u64 v[20:21], v[20:21], 2, s[28:29]
	global_load_dword v17, v[20:21], off
	global_load_dword v22, v[18:19], off
	s_waitcnt vmcnt(0)
	v_cmp_eq_u32_e32 vcc, v17, v22
	s_and_saveexec_b64 s[4:5], vcc
	s_cbranch_execz .LBB445_235
; %bb.229:
	s_add_u32 s14, s26, -1
	v_lshl_add_u64 v[18:19], v[18:19], 0, 4
	v_lshl_add_u64 v[20:21], v[20:21], 0, 4
	s_addc_u32 s15, s27, -1
	s_mov_b64 s[18:19], 0
	s_mov_b64 s[38:39], 0
                                        ; implicit-def: $sgpr36_sgpr37
	s_branch .LBB445_232
.LBB445_230:                            ;   in Loop: Header=BB445_232 Depth=1
	global_load_dword v17, v[20:21], off
	global_load_dword v22, v[18:19], off
	s_add_u32 s38, s38, 1
	s_addc_u32 s39, s39, 0
	s_andn2_b64 s[36:37], s[36:37], exec
	v_lshl_add_u64 v[18:19], v[18:19], 0, 4
	v_lshl_add_u64 v[20:21], v[20:21], 0, 4
	s_waitcnt vmcnt(0)
	v_cmp_ne_u32_e32 vcc, v17, v22
	s_and_b64 s[40:41], vcc, exec
	s_or_b64 s[36:37], s[36:37], s[40:41]
.LBB445_231:                            ;   in Loop: Header=BB445_232 Depth=1
	s_and_b64 s[40:41], exec, s[36:37]
	s_or_b64 s[18:19], s[40:41], s[18:19]
	v_mov_b64_e32 v[22:23], s[38:39]
	s_andn2_b64 exec, exec, s[18:19]
	s_cbranch_execz .LBB445_234
.LBB445_232:                            ; =>This Inner Loop Header: Depth=1
	s_or_b64 s[36:37], s[36:37], exec
	s_cmp_eq_u64 s[14:15], s[38:39]
	s_cbranch_scc0 .LBB445_230
; %bb.233:                              ;   in Loop: Header=BB445_232 Depth=1
                                        ; implicit-def: $vgpr18_vgpr19
                                        ; implicit-def: $vgpr20_vgpr21
	s_mov_b64 s[38:39], s[26:27]
	s_branch .LBB445_231
.LBB445_234:
	s_or_b64 exec, exec, s[18:19]
	v_cmp_gt_i64_e32 vcc, s[26:27], v[22:23]
	s_orn2_b64 s[14:15], vcc, exec
.LBB445_235:
	s_or_b64 exec, exec, s[4:5]
.LBB445_236:
	v_perm_b32 v20, v16, v16, s33
	s_and_b64 s[18:19], s[14:15], exec
	s_or_b64 s[10:11], s[10:11], exec
                                        ; implicit-def: $vgpr16_vgpr17
.LBB445_237:
	s_or_b64 exec, exec, s[12:13]
	s_branch .LBB445_318
.LBB445_238:
	v_cmp_gt_u32_e32 vcc, s3, v27
	s_mov_b64 s[12:13], 0
	s_mov_b64 s[4:5], 0
	s_and_saveexec_b64 s[14:15], vcc
	s_cbranch_execz .LBB445_249
; %bb.239:
	s_andn2_b64 vcc, exec, s[6:7]
	s_mov_b64 s[18:19], 0
	s_cbranch_vccnz .LBB445_248
; %bb.240:
	v_mul_lo_u32 v18, v5, s26
	v_mul_lo_u32 v19, v4, s27
	v_mad_u64_u32 v[16:17], s[4:5], v4, s26, 0
	v_add3_u32 v17, v17, v19, v18
	v_mul_lo_u32 v18, v15, s26
	v_mul_lo_u32 v19, v14, s27
	v_mad_u64_u32 v[20:21], s[4:5], v14, s26, 0
	v_add3_u32 v21, v21, v19, v18
	v_lshl_add_u64 v[18:19], v[16:17], 2, s[28:29]
	v_lshl_add_u64 v[16:17], v[20:21], 2, s[28:29]
	global_load_dword v20, v[18:19], off
	global_load_dword v21, v[16:17], off
	s_mov_b64 s[18:19], -1
	s_waitcnt vmcnt(0)
	v_cmp_eq_u32_e32 vcc, v20, v21
	s_and_saveexec_b64 s[4:5], vcc
	s_cbranch_execz .LBB445_247
; %bb.241:
	s_add_u32 s18, s26, -1
	v_lshl_add_u64 v[16:17], v[16:17], 0, 4
	v_lshl_add_u64 v[18:19], v[18:19], 0, 4
	s_addc_u32 s19, s27, -1
	s_mov_b64 s[36:37], 0
	s_mov_b64 s[40:41], 0
                                        ; implicit-def: $sgpr38_sgpr39
	s_branch .LBB445_244
.LBB445_242:                            ;   in Loop: Header=BB445_244 Depth=1
	global_load_dword v20, v[18:19], off
	global_load_dword v21, v[16:17], off
	s_add_u32 s40, s40, 1
	s_addc_u32 s41, s41, 0
	s_andn2_b64 s[38:39], s[38:39], exec
	v_lshl_add_u64 v[16:17], v[16:17], 0, 4
	v_lshl_add_u64 v[18:19], v[18:19], 0, 4
	s_waitcnt vmcnt(0)
	v_cmp_ne_u32_e32 vcc, v20, v21
	s_and_b64 s[42:43], vcc, exec
	s_or_b64 s[38:39], s[38:39], s[42:43]
.LBB445_243:                            ;   in Loop: Header=BB445_244 Depth=1
	s_and_b64 s[42:43], exec, s[38:39]
	s_or_b64 s[36:37], s[42:43], s[36:37]
	v_mov_b64_e32 v[20:21], s[40:41]
	s_andn2_b64 exec, exec, s[36:37]
	s_cbranch_execz .LBB445_246
.LBB445_244:                            ; =>This Inner Loop Header: Depth=1
	s_or_b64 s[38:39], s[38:39], exec
	s_cmp_eq_u64 s[18:19], s[40:41]
	s_cbranch_scc0 .LBB445_242
; %bb.245:                              ;   in Loop: Header=BB445_244 Depth=1
                                        ; implicit-def: $vgpr16_vgpr17
                                        ; implicit-def: $vgpr18_vgpr19
	s_mov_b64 s[40:41], s[26:27]
	s_branch .LBB445_243
.LBB445_246:
	s_or_b64 exec, exec, s[36:37]
	v_cmp_gt_i64_e32 vcc, s[26:27], v[20:21]
	s_orn2_b64 s[18:19], vcc, exec
.LBB445_247:
	s_or_b64 exec, exec, s[4:5]
.LBB445_248:
	s_and_b64 s[4:5], s[18:19], exec
.LBB445_249:
	s_or_b64 exec, exec, s[14:15]
	v_cmp_gt_u32_e32 vcc, s3, v29
	s_and_saveexec_b64 s[14:15], vcc
	s_cbranch_execz .LBB445_260
; %bb.250:
	s_andn2_b64 vcc, exec, s[6:7]
	s_mov_b64 s[18:19], 0
	s_cbranch_vccnz .LBB445_259
; %bb.251:
	v_mul_lo_u32 v18, v3, s26
	v_mul_lo_u32 v19, v2, s27
	v_mad_u64_u32 v[16:17], s[12:13], v2, s26, 0
	v_add3_u32 v17, v17, v19, v18
	v_mul_lo_u32 v18, v5, s26
	v_mul_lo_u32 v19, v4, s27
	v_mad_u64_u32 v[20:21], s[12:13], v4, s26, 0
	v_add3_u32 v21, v21, v19, v18
	v_lshl_add_u64 v[18:19], v[16:17], 2, s[28:29]
	v_lshl_add_u64 v[16:17], v[20:21], 2, s[28:29]
	global_load_dword v20, v[18:19], off
	global_load_dword v21, v[16:17], off
	s_mov_b64 s[18:19], -1
	s_waitcnt vmcnt(0)
	v_cmp_eq_u32_e32 vcc, v20, v21
	s_and_saveexec_b64 s[12:13], vcc
	s_cbranch_execz .LBB445_258
; %bb.252:
	s_add_u32 s18, s26, -1
	v_lshl_add_u64 v[16:17], v[16:17], 0, 4
	v_lshl_add_u64 v[18:19], v[18:19], 0, 4
	s_addc_u32 s19, s27, -1
	s_mov_b64 s[36:37], 0
	s_mov_b64 s[40:41], 0
                                        ; implicit-def: $sgpr38_sgpr39
	s_branch .LBB445_255
.LBB445_253:                            ;   in Loop: Header=BB445_255 Depth=1
	global_load_dword v20, v[18:19], off
	global_load_dword v21, v[16:17], off
	s_add_u32 s40, s40, 1
	s_addc_u32 s41, s41, 0
	s_andn2_b64 s[38:39], s[38:39], exec
	v_lshl_add_u64 v[16:17], v[16:17], 0, 4
	v_lshl_add_u64 v[18:19], v[18:19], 0, 4
	s_waitcnt vmcnt(0)
	v_cmp_ne_u32_e32 vcc, v20, v21
	s_and_b64 s[42:43], vcc, exec
	s_or_b64 s[38:39], s[38:39], s[42:43]
.LBB445_254:                            ;   in Loop: Header=BB445_255 Depth=1
	s_and_b64 s[42:43], exec, s[38:39]
	s_or_b64 s[36:37], s[42:43], s[36:37]
	v_mov_b64_e32 v[20:21], s[40:41]
	s_andn2_b64 exec, exec, s[36:37]
	s_cbranch_execz .LBB445_257
.LBB445_255:                            ; =>This Inner Loop Header: Depth=1
	s_or_b64 s[38:39], s[38:39], exec
	s_cmp_eq_u64 s[18:19], s[40:41]
	s_cbranch_scc0 .LBB445_253
; %bb.256:                              ;   in Loop: Header=BB445_255 Depth=1
                                        ; implicit-def: $vgpr16_vgpr17
                                        ; implicit-def: $vgpr18_vgpr19
	s_mov_b64 s[40:41], s[26:27]
	s_branch .LBB445_254
.LBB445_257:
	s_or_b64 exec, exec, s[36:37]
	v_cmp_gt_i64_e32 vcc, s[26:27], v[20:21]
	s_orn2_b64 s[18:19], vcc, exec
.LBB445_258:
	s_or_b64 exec, exec, s[12:13]
.LBB445_259:
	s_and_b64 s[12:13], s[18:19], exec
.LBB445_260:
	s_or_b64 exec, exec, s[14:15]
	v_cmp_gt_u32_e32 vcc, s3, v26
	s_mov_b64 s[18:19], 0
	s_mov_b64 s[14:15], 0
	s_and_saveexec_b64 s[36:37], vcc
	s_cbranch_execz .LBB445_271
; %bb.261:
	s_andn2_b64 vcc, exec, s[6:7]
	s_mov_b64 s[38:39], 0
	s_cbranch_vccnz .LBB445_270
; %bb.262:
	v_mul_lo_u32 v18, v9, s26
	v_mul_lo_u32 v19, v8, s27
	v_mad_u64_u32 v[16:17], s[14:15], v8, s26, 0
	v_add3_u32 v17, v17, v19, v18
	v_mul_lo_u32 v18, v3, s26
	v_mul_lo_u32 v19, v2, s27
	v_mad_u64_u32 v[20:21], s[14:15], v2, s26, 0
	v_add3_u32 v21, v21, v19, v18
	v_lshl_add_u64 v[18:19], v[16:17], 2, s[28:29]
	v_lshl_add_u64 v[16:17], v[20:21], 2, s[28:29]
	global_load_dword v20, v[18:19], off
	global_load_dword v21, v[16:17], off
	s_mov_b64 s[38:39], -1
	s_waitcnt vmcnt(0)
	v_cmp_eq_u32_e32 vcc, v20, v21
	s_and_saveexec_b64 s[14:15], vcc
	s_cbranch_execz .LBB445_269
; %bb.263:
	s_add_u32 s38, s26, -1
	v_lshl_add_u64 v[16:17], v[16:17], 0, 4
	v_lshl_add_u64 v[18:19], v[18:19], 0, 4
	s_addc_u32 s39, s27, -1
	s_mov_b64 s[40:41], 0
	s_mov_b64 s[44:45], 0
                                        ; implicit-def: $sgpr42_sgpr43
	s_branch .LBB445_266
.LBB445_264:                            ;   in Loop: Header=BB445_266 Depth=1
	global_load_dword v20, v[18:19], off
	global_load_dword v21, v[16:17], off
	s_add_u32 s44, s44, 1
	s_addc_u32 s45, s45, 0
	s_andn2_b64 s[42:43], s[42:43], exec
	v_lshl_add_u64 v[16:17], v[16:17], 0, 4
	v_lshl_add_u64 v[18:19], v[18:19], 0, 4
	s_waitcnt vmcnt(0)
	v_cmp_ne_u32_e32 vcc, v20, v21
	s_and_b64 s[46:47], vcc, exec
	s_or_b64 s[42:43], s[42:43], s[46:47]
.LBB445_265:                            ;   in Loop: Header=BB445_266 Depth=1
	s_and_b64 s[46:47], exec, s[42:43]
	s_or_b64 s[40:41], s[46:47], s[40:41]
	v_mov_b64_e32 v[20:21], s[44:45]
	s_andn2_b64 exec, exec, s[40:41]
	s_cbranch_execz .LBB445_268
.LBB445_266:                            ; =>This Inner Loop Header: Depth=1
	s_or_b64 s[42:43], s[42:43], exec
	s_cmp_eq_u64 s[38:39], s[44:45]
	s_cbranch_scc0 .LBB445_264
; %bb.267:                              ;   in Loop: Header=BB445_266 Depth=1
                                        ; implicit-def: $vgpr16_vgpr17
                                        ; implicit-def: $vgpr18_vgpr19
	s_mov_b64 s[44:45], s[26:27]
	s_branch .LBB445_265
.LBB445_268:
	s_or_b64 exec, exec, s[40:41]
	v_cmp_gt_i64_e32 vcc, s[26:27], v[20:21]
	s_orn2_b64 s[38:39], vcc, exec
.LBB445_269:
	s_or_b64 exec, exec, s[14:15]
.LBB445_270:
	s_and_b64 s[14:15], s[38:39], exec
.LBB445_271:
	s_or_b64 exec, exec, s[36:37]
	v_cmp_gt_u32_e32 vcc, s3, v28
	s_and_saveexec_b64 s[36:37], vcc
	s_cbranch_execz .LBB445_282
; %bb.272:
	s_andn2_b64 vcc, exec, s[6:7]
	s_mov_b64 s[38:39], 0
	s_cbranch_vccnz .LBB445_281
; %bb.273:
	v_mul_lo_u32 v18, v7, s26
	v_mul_lo_u32 v19, v6, s27
	v_mad_u64_u32 v[16:17], s[18:19], v6, s26, 0
	v_add3_u32 v17, v17, v19, v18
	v_mul_lo_u32 v18, v9, s26
	v_mul_lo_u32 v19, v8, s27
	v_mad_u64_u32 v[20:21], s[18:19], v8, s26, 0
	v_add3_u32 v21, v21, v19, v18
	v_lshl_add_u64 v[18:19], v[16:17], 2, s[28:29]
	v_lshl_add_u64 v[16:17], v[20:21], 2, s[28:29]
	global_load_dword v20, v[18:19], off
	global_load_dword v21, v[16:17], off
	s_mov_b64 s[38:39], -1
	s_waitcnt vmcnt(0)
	v_cmp_eq_u32_e32 vcc, v20, v21
	s_and_saveexec_b64 s[18:19], vcc
	s_cbranch_execz .LBB445_280
; %bb.274:
	s_add_u32 s38, s26, -1
	v_lshl_add_u64 v[16:17], v[16:17], 0, 4
	v_lshl_add_u64 v[18:19], v[18:19], 0, 4
	s_addc_u32 s39, s27, -1
	s_mov_b64 s[40:41], 0
	s_mov_b64 s[44:45], 0
                                        ; implicit-def: $sgpr42_sgpr43
	s_branch .LBB445_277
.LBB445_275:                            ;   in Loop: Header=BB445_277 Depth=1
	global_load_dword v20, v[18:19], off
	global_load_dword v21, v[16:17], off
	s_add_u32 s44, s44, 1
	s_addc_u32 s45, s45, 0
	s_andn2_b64 s[42:43], s[42:43], exec
	v_lshl_add_u64 v[16:17], v[16:17], 0, 4
	v_lshl_add_u64 v[18:19], v[18:19], 0, 4
	s_waitcnt vmcnt(0)
	v_cmp_ne_u32_e32 vcc, v20, v21
	s_and_b64 s[46:47], vcc, exec
	s_or_b64 s[42:43], s[42:43], s[46:47]
.LBB445_276:                            ;   in Loop: Header=BB445_277 Depth=1
	s_and_b64 s[46:47], exec, s[42:43]
	s_or_b64 s[40:41], s[46:47], s[40:41]
	v_mov_b64_e32 v[20:21], s[44:45]
	s_andn2_b64 exec, exec, s[40:41]
	s_cbranch_execz .LBB445_279
.LBB445_277:                            ; =>This Inner Loop Header: Depth=1
	s_or_b64 s[42:43], s[42:43], exec
	s_cmp_eq_u64 s[38:39], s[44:45]
	s_cbranch_scc0 .LBB445_275
; %bb.278:                              ;   in Loop: Header=BB445_277 Depth=1
                                        ; implicit-def: $vgpr16_vgpr17
                                        ; implicit-def: $vgpr18_vgpr19
	s_mov_b64 s[44:45], s[26:27]
	s_branch .LBB445_276
.LBB445_279:
	s_or_b64 exec, exec, s[40:41]
	v_cmp_gt_i64_e32 vcc, s[26:27], v[20:21]
	s_orn2_b64 s[38:39], vcc, exec
.LBB445_280:
	s_or_b64 exec, exec, s[18:19]
.LBB445_281:
	s_and_b64 s[18:19], s[38:39], exec
.LBB445_282:
	s_or_b64 exec, exec, s[36:37]
	v_cmp_gt_u32_e32 vcc, s3, v24
	s_mov_b64 s[36:37], 0
	s_mov_b64 s[38:39], 0
	s_and_saveexec_b64 s[40:41], vcc
	s_cbranch_execz .LBB445_293
; %bb.283:
	s_andn2_b64 vcc, exec, s[6:7]
	s_mov_b64 s[42:43], 0
	s_cbranch_vccnz .LBB445_292
; %bb.284:
	v_mul_lo_u32 v18, v13, s26
	v_mul_lo_u32 v19, v12, s27
	v_mad_u64_u32 v[16:17], s[38:39], v12, s26, 0
	v_add3_u32 v17, v17, v19, v18
	v_mul_lo_u32 v18, v7, s26
	v_mul_lo_u32 v19, v6, s27
	v_mad_u64_u32 v[20:21], s[38:39], v6, s26, 0
	v_add3_u32 v21, v21, v19, v18
	v_lshl_add_u64 v[18:19], v[16:17], 2, s[28:29]
	v_lshl_add_u64 v[16:17], v[20:21], 2, s[28:29]
	global_load_dword v20, v[18:19], off
	global_load_dword v21, v[16:17], off
	s_mov_b64 s[42:43], -1
	s_waitcnt vmcnt(0)
	v_cmp_eq_u32_e32 vcc, v20, v21
	s_and_saveexec_b64 s[38:39], vcc
	s_cbranch_execz .LBB445_291
; %bb.285:
	s_add_u32 s42, s26, -1
	v_lshl_add_u64 v[16:17], v[16:17], 0, 4
	v_lshl_add_u64 v[18:19], v[18:19], 0, 4
	s_addc_u32 s43, s27, -1
	s_mov_b64 s[44:45], 0
	s_mov_b64 s[48:49], 0
                                        ; implicit-def: $sgpr46_sgpr47
	s_branch .LBB445_288
.LBB445_286:                            ;   in Loop: Header=BB445_288 Depth=1
	global_load_dword v20, v[18:19], off
	global_load_dword v21, v[16:17], off
	s_add_u32 s48, s48, 1
	s_addc_u32 s49, s49, 0
	s_andn2_b64 s[46:47], s[46:47], exec
	v_lshl_add_u64 v[16:17], v[16:17], 0, 4
	v_lshl_add_u64 v[18:19], v[18:19], 0, 4
	s_waitcnt vmcnt(0)
	v_cmp_ne_u32_e32 vcc, v20, v21
	s_and_b64 s[50:51], vcc, exec
	s_or_b64 s[46:47], s[46:47], s[50:51]
.LBB445_287:                            ;   in Loop: Header=BB445_288 Depth=1
	s_and_b64 s[50:51], exec, s[46:47]
	s_or_b64 s[44:45], s[50:51], s[44:45]
	v_mov_b64_e32 v[20:21], s[48:49]
	s_andn2_b64 exec, exec, s[44:45]
	s_cbranch_execz .LBB445_290
.LBB445_288:                            ; =>This Inner Loop Header: Depth=1
	s_or_b64 s[46:47], s[46:47], exec
	s_cmp_eq_u64 s[42:43], s[48:49]
	s_cbranch_scc0 .LBB445_286
; %bb.289:                              ;   in Loop: Header=BB445_288 Depth=1
                                        ; implicit-def: $vgpr16_vgpr17
                                        ; implicit-def: $vgpr18_vgpr19
	s_mov_b64 s[48:49], s[26:27]
	s_branch .LBB445_287
.LBB445_290:
	s_or_b64 exec, exec, s[44:45]
	v_cmp_gt_i64_e32 vcc, s[26:27], v[20:21]
	s_orn2_b64 s[42:43], vcc, exec
.LBB445_291:
	s_or_b64 exec, exec, s[38:39]
.LBB445_292:
	s_and_b64 s[38:39], s[42:43], exec
.LBB445_293:
	s_or_b64 exec, exec, s[40:41]
	v_cmp_gt_u32_e32 vcc, s3, v25
	s_and_saveexec_b64 s[40:41], vcc
	s_cbranch_execz .LBB445_304
; %bb.294:
	s_andn2_b64 vcc, exec, s[6:7]
	s_mov_b64 s[42:43], 0
	s_cbranch_vccnz .LBB445_303
; %bb.295:
	v_mul_lo_u32 v18, v11, s26
	v_mul_lo_u32 v19, v10, s27
	v_mad_u64_u32 v[16:17], s[36:37], v10, s26, 0
	v_add3_u32 v17, v17, v19, v18
	v_mul_lo_u32 v18, v13, s26
	v_mul_lo_u32 v19, v12, s27
	v_mad_u64_u32 v[20:21], s[36:37], v12, s26, 0
	v_add3_u32 v21, v21, v19, v18
	v_lshl_add_u64 v[18:19], v[16:17], 2, s[28:29]
	v_lshl_add_u64 v[16:17], v[20:21], 2, s[28:29]
	global_load_dword v20, v[18:19], off
	global_load_dword v21, v[16:17], off
	s_mov_b64 s[42:43], -1
	s_waitcnt vmcnt(0)
	v_cmp_eq_u32_e32 vcc, v20, v21
	s_and_saveexec_b64 s[36:37], vcc
	s_cbranch_execz .LBB445_302
; %bb.296:
	s_add_u32 s42, s26, -1
	v_lshl_add_u64 v[16:17], v[16:17], 0, 4
	v_lshl_add_u64 v[18:19], v[18:19], 0, 4
	s_addc_u32 s43, s27, -1
	s_mov_b64 s[44:45], 0
	s_mov_b64 s[48:49], 0
                                        ; implicit-def: $sgpr46_sgpr47
	s_branch .LBB445_299
.LBB445_297:                            ;   in Loop: Header=BB445_299 Depth=1
	global_load_dword v20, v[18:19], off
	global_load_dword v21, v[16:17], off
	s_add_u32 s48, s48, 1
	s_addc_u32 s49, s49, 0
	s_andn2_b64 s[46:47], s[46:47], exec
	v_lshl_add_u64 v[16:17], v[16:17], 0, 4
	v_lshl_add_u64 v[18:19], v[18:19], 0, 4
	s_waitcnt vmcnt(0)
	v_cmp_ne_u32_e32 vcc, v20, v21
	s_and_b64 s[50:51], vcc, exec
	s_or_b64 s[46:47], s[46:47], s[50:51]
.LBB445_298:                            ;   in Loop: Header=BB445_299 Depth=1
	s_and_b64 s[50:51], exec, s[46:47]
	s_or_b64 s[44:45], s[50:51], s[44:45]
	v_mov_b64_e32 v[20:21], s[48:49]
	s_andn2_b64 exec, exec, s[44:45]
	s_cbranch_execz .LBB445_301
.LBB445_299:                            ; =>This Inner Loop Header: Depth=1
	s_or_b64 s[46:47], s[46:47], exec
	s_cmp_eq_u64 s[42:43], s[48:49]
	s_cbranch_scc0 .LBB445_297
; %bb.300:                              ;   in Loop: Header=BB445_299 Depth=1
                                        ; implicit-def: $vgpr16_vgpr17
                                        ; implicit-def: $vgpr18_vgpr19
	s_mov_b64 s[48:49], s[26:27]
	s_branch .LBB445_298
.LBB445_301:
	s_or_b64 exec, exec, s[44:45]
	v_cmp_gt_i64_e32 vcc, s[26:27], v[20:21]
	s_orn2_b64 s[42:43], vcc, exec
.LBB445_302:
	s_or_b64 exec, exec, s[36:37]
.LBB445_303:
	s_and_b64 s[36:37], s[42:43], exec
.LBB445_304:
	s_or_b64 exec, exec, s[40:41]
	v_cndmask_b32_e64 v17, 0, 1, s[18:19]
	v_cndmask_b32_e64 v16, 0, 1, s[38:39]
	;; [unrolled: 1-line block ×3, first 2 shown]
	v_lshlrev_b16_e32 v17, 8, v17
	v_cndmask_b32_e64 v32, 0, 1, s[14:15]
	v_cndmask_b32_e64 v18, 0, 1, s[36:37]
	v_or_b32_sdwa v16, v16, v17 dst_sel:WORD_1 dst_unused:UNUSED_PAD src0_sel:DWORD src1_sel:DWORD
	v_lshlrev_b16_e32 v17, 8, v33
	v_lshlrev_b16_e32 v18, 8, v18
	v_or_b32_e32 v17, v32, v17
	v_or_b32_e32 v18, 1, v18
	v_and_b32_e32 v17, 0xffff, v17
	v_cndmask_b32_e64 v34, 0, 1, s[4:5]
	v_or_b32_sdwa v16, v18, v16 dst_sel:DWORD dst_unused:UNUSED_PAD src0_sel:WORD_0 src1_sel:DWORD
	v_lshl_or_b32 v17, v34, 16, v17
	v_cmp_ne_u32_e32 vcc, 0, v0
	s_waitcnt lgkmcnt(0)
	s_barrier
	s_waitcnt lgkmcnt(0)
                                        ; implicit-def: $sgpr18_sgpr19
                                        ; implicit-def: $vgpr20
	s_and_saveexec_b64 s[4:5], vcc
	s_cbranch_execz .LBB445_317
; %bb.305:
	v_cmp_gt_u32_e32 vcc, s3, v1
	s_mov_b32 s33, 0x3020104
	s_mov_b64 s[14:15], 0
	s_and_saveexec_b64 s[12:13], vcc
	s_cbranch_execz .LBB445_316
; %bb.306:
	s_andn2_b64 vcc, exec, s[6:7]
	s_cbranch_vccnz .LBB445_315
; %bb.307:
	v_add_u32_e32 v17, -8, v30
	ds_read_b64 v[18:19], v17
	v_mul_lo_u32 v17, v11, s26
	v_mad_u64_u32 v[22:23], s[6:7], v10, s26, 0
	s_mov_b64 s[14:15], -1
	s_waitcnt lgkmcnt(0)
	v_mul_lo_u32 v20, v19, s26
	v_mul_lo_u32 v21, v18, s27
	v_mad_u64_u32 v[18:19], s[6:7], v18, s26, 0
	v_add3_u32 v19, v19, v21, v20
	v_mul_lo_u32 v20, v10, s27
	v_add3_u32 v23, v23, v20, v17
	v_lshl_add_u64 v[20:21], v[18:19], 2, s[28:29]
	v_lshl_add_u64 v[18:19], v[22:23], 2, s[28:29]
	global_load_dword v17, v[20:21], off
	global_load_dword v22, v[18:19], off
	s_waitcnt vmcnt(0)
	v_cmp_eq_u32_e32 vcc, v17, v22
	s_and_saveexec_b64 s[6:7], vcc
	s_cbranch_execz .LBB445_314
; %bb.308:
	s_add_u32 s14, s26, -1
	v_lshl_add_u64 v[18:19], v[18:19], 0, 4
	v_lshl_add_u64 v[20:21], v[20:21], 0, 4
	s_addc_u32 s15, s27, -1
	s_mov_b64 s[18:19], 0
	s_mov_b64 s[36:37], 0
                                        ; implicit-def: $sgpr28_sgpr29
	s_branch .LBB445_311
.LBB445_309:                            ;   in Loop: Header=BB445_311 Depth=1
	global_load_dword v17, v[20:21], off
	global_load_dword v22, v[18:19], off
	s_add_u32 s36, s36, 1
	s_addc_u32 s37, s37, 0
	s_andn2_b64 s[28:29], s[28:29], exec
	v_lshl_add_u64 v[18:19], v[18:19], 0, 4
	v_lshl_add_u64 v[20:21], v[20:21], 0, 4
	s_waitcnt vmcnt(0)
	v_cmp_ne_u32_e32 vcc, v17, v22
	s_and_b64 s[38:39], vcc, exec
	s_or_b64 s[28:29], s[28:29], s[38:39]
.LBB445_310:                            ;   in Loop: Header=BB445_311 Depth=1
	s_and_b64 s[38:39], exec, s[28:29]
	s_or_b64 s[18:19], s[38:39], s[18:19]
	v_mov_b64_e32 v[22:23], s[36:37]
	s_andn2_b64 exec, exec, s[18:19]
	s_cbranch_execz .LBB445_313
.LBB445_311:                            ; =>This Inner Loop Header: Depth=1
	s_or_b64 s[28:29], s[28:29], exec
	s_cmp_eq_u64 s[14:15], s[36:37]
	s_cbranch_scc0 .LBB445_309
; %bb.312:                              ;   in Loop: Header=BB445_311 Depth=1
                                        ; implicit-def: $vgpr18_vgpr19
                                        ; implicit-def: $vgpr20_vgpr21
	s_mov_b64 s[36:37], s[26:27]
	s_branch .LBB445_310
.LBB445_313:
	s_or_b64 exec, exec, s[18:19]
	v_cmp_gt_i64_e32 vcc, s[26:27], v[22:23]
	s_orn2_b64 s[14:15], vcc, exec
.LBB445_314:
	s_or_b64 exec, exec, s[6:7]
.LBB445_315:
	s_and_b64 s[14:15], s[14:15], exec
.LBB445_316:
	s_or_b64 exec, exec, s[12:13]
	v_perm_b32 v20, v16, v16, s33
	s_and_b64 s[18:19], s[14:15], exec
	s_or_b64 s[10:11], s[10:11], exec
                                        ; implicit-def: $vgpr16_vgpr17
.LBB445_317:
	s_or_b64 exec, exec, s[4:5]
.LBB445_318:
	s_and_saveexec_b64 s[4:5], s[10:11]
	s_cbranch_execz .LBB445_320
; %bb.319:
	s_waitcnt lgkmcnt(0)
	v_lshlrev_b16_e32 v17, 8, v33
	v_and_b32_e32 v18, 0xff, v34
	v_or_b32_sdwa v17, v32, v17 dst_sel:DWORD dst_unused:UNUSED_PAD src0_sel:BYTE_0 src1_sel:DWORD
	v_lshlrev_b32_e32 v18, 16, v18
	s_movk_i32 s6, 0xff
	v_or_b32_sdwa v17, v17, v18 dst_sel:DWORD dst_unused:UNUSED_PAD src0_sel:WORD_0 src1_sel:DWORD
	v_lshrrev_b32_e32 v18, 24, v20
	v_lshlrev_b16_e32 v18, 8, v18
	v_and_b32_sdwa v19, v20, s6 dst_sel:DWORD dst_unused:UNUSED_PAD src0_sel:WORD_1 src1_sel:DWORD
	v_or_b32_sdwa v18, v19, v18 dst_sel:WORD_1 dst_unused:UNUSED_PAD src0_sel:DWORD src1_sel:DWORD
	v_mov_b32_e32 v19, 8
	v_cndmask_b32_e64 v16, 0, 1, s[18:19]
	v_lshrrev_b32_sdwa v19, v19, v20 dst_sel:BYTE_1 dst_unused:UNUSED_PAD src0_sel:DWORD src1_sel:DWORD
	s_nop 0
	v_or_b32_e32 v16, v16, v19
	v_or_b32_sdwa v16, v16, v18 dst_sel:DWORD dst_unused:UNUSED_PAD src0_sel:WORD_0 src1_sel:DWORD
.LBB445_320:
	s_or_b64 exec, exec, s[4:5]
	s_andn2_b64 vcc, exec, s[8:9]
	s_cbranch_vccnz .LBB445_322
; %bb.321:
	s_waitcnt lgkmcnt(0)
	v_and_b32_e32 v18, 0xffff0000, v16
	v_cmp_gt_u32_e32 vcc, s3, v1
	s_mov_b32 s4, 0x40c0100
	s_nop 0
	v_cndmask_b32_e32 v1, v18, v16, vcc
	v_and_b32_e32 v1, 0xffff00ff, v1
	v_cmp_gt_u32_e32 vcc, s3, v25
	s_nop 1
	v_cndmask_b32_e32 v1, v1, v16, vcc
	v_lshrrev_b32_e32 v18, 24, v1
	v_perm_b32 v1, v18, v1, s4
	v_cmp_gt_u32_e32 vcc, s3, v24
	v_and_b32_e32 v18, 0xffffff00, v17
	s_nop 0
	v_cndmask_b32_e32 v1, v1, v16, vcc
	v_and_b32_e32 v1, 0xffffff, v1
	v_cmp_gt_u32_e32 vcc, s3, v28
	s_nop 1
	v_cndmask_b32_e32 v1, v1, v16, vcc
	v_cmp_gt_u32_e32 vcc, s3, v26
	s_nop 1
	v_cndmask_b32_e32 v18, v18, v17, vcc
	v_and_b32_e32 v18, 0xffff00ff, v18
	v_cndmask_b32_e32 v1, v1, v16, vcc
	v_cmp_gt_u32_e32 vcc, s3, v29
	s_nop 1
	v_cndmask_b32_e32 v18, v18, v17, vcc
	v_lshrrev_b32_e32 v19, 24, v18
	v_cndmask_b32_e32 v1, v1, v16, vcc
	v_perm_b32 v18, v19, v18, s4
	v_cmp_gt_u32_e32 vcc, s3, v27
	s_mov_b32 s3, 0x3020104
	s_nop 0
	v_cndmask_b32_e32 v1, v1, v16, vcc
	v_cndmask_b32_e32 v16, v18, v17, vcc
	v_mov_b32_e32 v17, 8
	v_lshrrev_b32_sdwa v17, v17, v16 dst_sel:BYTE_1 dst_unused:UNUSED_PAD src0_sel:DWORD src1_sel:DWORD
	s_nop 0
	v_or_b32_sdwa v17, v16, v17 dst_sel:DWORD dst_unused:UNUSED_PAD src0_sel:BYTE_0 src1_sel:DWORD
	v_and_b32_e32 v17, 0xffff, v17
	v_bfe_u32 v16, v16, 16, 8
	v_lshl_or_b32 v17, v16, 16, v17
	v_perm_b32 v16, v1, v1, s3
.LBB445_322:
	s_waitcnt lgkmcnt(0)
	v_and_b32_e32 v1, 0xff, v16
	v_bfe_u32 v29, v16, 8, 8
	v_bfe_u32 v31, v16, 16, 8
	v_alignbit_b32 v18, v17, v16, 24
	v_and_b32_e32 v33, 0xff, v18
	v_and_b32_e32 v35, 0xff, v17
	v_add3_u32 v19, v29, v1, v31
	v_bfe_u32 v36, v17, 8, 8
	v_bfe_u32 v18, v17, 16, 8
	v_add3_u32 v19, v19, v33, v35
	v_add3_u32 v39, v19, v36, v18
	v_mbcnt_lo_u32_b32 v18, -1, 0
	v_mbcnt_hi_u32_b32 v37, -1, v18
	v_and_b32_e32 v18, 15, v37
	v_cmp_eq_u32_e64 s[14:15], 0, v18
	v_cmp_lt_u32_e64 s[12:13], 1, v18
	v_cmp_lt_u32_e64 s[10:11], 3, v18
	;; [unrolled: 1-line block ×3, first 2 shown]
	v_and_b32_e32 v18, 16, v37
	v_cmp_eq_u32_e64 s[6:7], 0, v18
	v_or_b32_e32 v18, 63, v0
	v_cmp_lt_u32_e64 s[18:19], 31, v37
	v_lshrrev_b32_e32 v38, 6, v0
	v_cmp_eq_u32_e64 s[4:5], v18, v0
	s_and_b64 vcc, exec, s[16:17]
	s_barrier
	s_cbranch_vccz .LBB445_349
; %bb.323:
	v_mov_b32_dpp v18, v39 row_shr:1 row_mask:0xf bank_mask:0xf
	v_cndmask_b32_e64 v18, v18, 0, s[14:15]
	v_add_u32_e32 v18, v18, v39
	s_nop 1
	v_mov_b32_dpp v19, v18 row_shr:2 row_mask:0xf bank_mask:0xf
	v_cndmask_b32_e64 v19, 0, v19, s[12:13]
	v_add_u32_e32 v18, v18, v19
	s_nop 1
	;; [unrolled: 4-line block ×4, first 2 shown]
	v_mov_b32_dpp v19, v18 row_bcast:15 row_mask:0xf bank_mask:0xf
	v_cndmask_b32_e64 v19, v19, 0, s[6:7]
	v_add_u32_e32 v18, v18, v19
	s_nop 1
	v_mov_b32_dpp v19, v18 row_bcast:31 row_mask:0xf bank_mask:0xf
	v_cndmask_b32_e64 v19, 0, v19, s[18:19]
	v_add_u32_e32 v18, v18, v19
	s_and_saveexec_b64 s[16:17], s[4:5]
	s_cbranch_execz .LBB445_325
; %bb.324:
	v_lshlrev_b32_e32 v19, 2, v38
	ds_write_b32 v19, v18
.LBB445_325:
	s_or_b64 exec, exec, s[16:17]
	v_cmp_gt_u32_e32 vcc, 8, v0
	s_waitcnt lgkmcnt(0)
	s_barrier
	s_and_saveexec_b64 s[16:17], vcc
	s_cbranch_execz .LBB445_327
; %bb.326:
	v_lshlrev_b32_e32 v19, 2, v0
	ds_read_b32 v20, v19
	v_and_b32_e32 v21, 7, v37
	v_cmp_ne_u32_e32 vcc, 0, v21
	s_waitcnt lgkmcnt(0)
	v_mov_b32_dpp v22, v20 row_shr:1 row_mask:0xf bank_mask:0xf
	v_cndmask_b32_e32 v22, 0, v22, vcc
	v_add_u32_e32 v20, v22, v20
	v_cmp_lt_u32_e32 vcc, 1, v21
	s_nop 0
	v_mov_b32_dpp v22, v20 row_shr:2 row_mask:0xf bank_mask:0xf
	v_cndmask_b32_e32 v22, 0, v22, vcc
	v_add_u32_e32 v20, v20, v22
	v_cmp_lt_u32_e32 vcc, 3, v21
	s_nop 0
	v_mov_b32_dpp v22, v20 row_shr:4 row_mask:0xf bank_mask:0xf
	v_cndmask_b32_e32 v21, 0, v22, vcc
	v_add_u32_e32 v20, v20, v21
	ds_write_b32 v19, v20
.LBB445_327:
	s_or_b64 exec, exec, s[16:17]
	v_cmp_gt_u32_e32 vcc, 64, v0
	v_cmp_lt_u32_e64 s[16:17], 63, v0
	s_waitcnt lgkmcnt(0)
	s_barrier
	s_waitcnt lgkmcnt(0)
                                        ; implicit-def: $vgpr28
	s_and_saveexec_b64 s[26:27], s[16:17]
	s_cbranch_execz .LBB445_329
; %bb.328:
	v_lshl_add_u32 v19, v38, 2, -4
	ds_read_b32 v28, v19
	s_waitcnt lgkmcnt(0)
	v_add_u32_e32 v18, v28, v18
.LBB445_329:
	s_or_b64 exec, exec, s[26:27]
	v_add_u32_e32 v19, -1, v37
	v_and_b32_e32 v20, 64, v37
	v_cmp_lt_i32_e64 s[16:17], v19, v20
	s_nop 1
	v_cndmask_b32_e64 v19, v19, v37, s[16:17]
	v_lshlrev_b32_e32 v19, 2, v19
	ds_bpermute_b32 v30, v19, v18
	v_cmp_eq_u32_e64 s[16:17], 0, v37
	s_and_saveexec_b64 s[26:27], vcc
	s_cbranch_execz .LBB445_348
; %bb.330:
	v_mov_b32_e32 v25, 0
	ds_read_b32 v18, v25 offset:28
	s_and_saveexec_b64 s[28:29], s[16:17]
	s_cbranch_execz .LBB445_332
; %bb.331:
	s_add_i32 s36, s2, 64
	s_mov_b32 s37, 0
	s_lshl_b64 s[36:37], s[36:37], 3
	s_add_u32 s36, s30, s36
	v_mov_b32_e32 v19, 1
	s_addc_u32 s37, s31, s37
	s_waitcnt lgkmcnt(0)
	global_store_dwordx2 v25, v[18:19], s[36:37] sc1
.LBB445_332:
	s_or_b64 exec, exec, s[28:29]
	v_xad_u32 v20, v37, -1, s2
	v_add_u32_e32 v24, 64, v20
	v_lshl_add_u64 v[26:27], v[24:25], 3, s[30:31]
	global_load_dwordx2 v[22:23], v[26:27], off sc1
	s_waitcnt vmcnt(0)
	v_cmp_eq_u16_sdwa s[36:37], v23, v25 src0_sel:BYTE_0 src1_sel:DWORD
	s_and_saveexec_b64 s[28:29], s[36:37]
	s_cbranch_execz .LBB445_336
; %bb.333:
	s_mov_b64 s[36:37], 0
	v_mov_b32_e32 v19, 0
.LBB445_334:                            ; =>This Inner Loop Header: Depth=1
	global_load_dwordx2 v[22:23], v[26:27], off sc1
	s_waitcnt vmcnt(0)
	v_cmp_ne_u16_sdwa s[38:39], v23, v19 src0_sel:BYTE_0 src1_sel:DWORD
	s_or_b64 s[36:37], s[38:39], s[36:37]
	s_andn2_b64 exec, exec, s[36:37]
	s_cbranch_execnz .LBB445_334
; %bb.335:
	s_or_b64 exec, exec, s[36:37]
.LBB445_336:
	s_or_b64 exec, exec, s[28:29]
	v_and_b32_e32 v32, 63, v37
	v_mov_b32_e32 v19, 2
	v_cmp_ne_u32_e32 vcc, 63, v32
	v_cmp_eq_u16_sdwa s[28:29], v23, v19 src0_sel:BYTE_0 src1_sel:DWORD
	v_lshlrev_b64 v[24:25], v37, -1
	v_addc_co_u32_e32 v27, vcc, 0, v37, vcc
	v_and_b32_e32 v21, s29, v25
	v_lshlrev_b32_e32 v34, 2, v27
	v_or_b32_e32 v21, 0x80000000, v21
	ds_bpermute_b32 v27, v34, v22
	v_and_b32_e32 v26, s28, v24
	v_ffbl_b32_e32 v21, v21
	v_add_u32_e32 v21, 32, v21
	v_ffbl_b32_e32 v26, v26
	v_min_u32_e32 v21, v26, v21
	v_cmp_lt_u32_e32 vcc, v32, v21
	v_add_u32_e32 v41, 2, v32
	v_add_u32_e32 v43, 4, v32
	s_waitcnt lgkmcnt(0)
	v_cndmask_b32_e32 v26, 0, v27, vcc
	v_cmp_gt_u32_e32 vcc, 62, v32
	v_add_u32_e32 v22, v26, v22
	v_add_u32_e32 v45, 8, v32
	v_cndmask_b32_e64 v26, 0, 1, vcc
	v_lshlrev_b32_e32 v26, 1, v26
	v_add_lshl_u32 v40, v26, v37, 2
	ds_bpermute_b32 v26, v40, v22
	v_cmp_le_u32_e32 vcc, v41, v21
	v_add_u32_e32 v48, 16, v32
	v_add_u32_e32 v50, 32, v32
	s_waitcnt lgkmcnt(0)
	v_cndmask_b32_e32 v26, 0, v26, vcc
	v_cmp_gt_u32_e32 vcc, 60, v32
	v_add_u32_e32 v22, v22, v26
	s_nop 0
	v_cndmask_b32_e64 v26, 0, 1, vcc
	v_lshlrev_b32_e32 v26, 2, v26
	v_add_lshl_u32 v42, v26, v37, 2
	ds_bpermute_b32 v26, v42, v22
	v_cmp_le_u32_e32 vcc, v43, v21
	s_waitcnt lgkmcnt(0)
	s_nop 0
	v_cndmask_b32_e32 v26, 0, v26, vcc
	v_cmp_gt_u32_e32 vcc, 56, v32
	v_add_u32_e32 v22, v22, v26
	s_nop 0
	v_cndmask_b32_e64 v26, 0, 1, vcc
	v_lshlrev_b32_e32 v26, 3, v26
	v_add_lshl_u32 v44, v26, v37, 2
	ds_bpermute_b32 v26, v44, v22
	v_cmp_le_u32_e32 vcc, v45, v21
	s_waitcnt lgkmcnt(0)
	s_nop 0
	;; [unrolled: 11-line block ×4, first 2 shown]
	v_cndmask_b32_e32 v21, 0, v26, vcc
	v_add_u32_e32 v22, v22, v21
	v_mov_b32_e32 v21, 0
	s_branch .LBB445_338
.LBB445_337:                            ;   in Loop: Header=BB445_338 Depth=1
	s_or_b64 exec, exec, s[28:29]
	v_cmp_eq_u16_sdwa s[28:29], v23, v19 src0_sel:BYTE_0 src1_sel:DWORD
	ds_bpermute_b32 v51, v34, v22
	v_subrev_u32_e32 v20, 64, v20
	v_and_b32_e32 v26, s29, v25
	v_or_b32_e32 v26, 0x80000000, v26
	v_and_b32_e32 v27, s28, v24
	v_ffbl_b32_e32 v26, v26
	v_add_u32_e32 v26, 32, v26
	v_ffbl_b32_e32 v27, v27
	v_min_u32_e32 v26, v27, v26
	v_cmp_lt_u32_e32 vcc, v32, v26
	s_waitcnt lgkmcnt(0)
	s_nop 0
	v_cndmask_b32_e32 v27, 0, v51, vcc
	v_add_u32_e32 v22, v27, v22
	ds_bpermute_b32 v27, v40, v22
	v_cmp_le_u32_e32 vcc, v41, v26
	s_waitcnt lgkmcnt(0)
	s_nop 0
	v_cndmask_b32_e32 v27, 0, v27, vcc
	v_add_u32_e32 v22, v22, v27
	ds_bpermute_b32 v27, v42, v22
	v_cmp_le_u32_e32 vcc, v43, v26
	;; [unrolled: 6-line block ×5, first 2 shown]
	s_waitcnt lgkmcnt(0)
	s_nop 0
	v_cndmask_b32_e32 v26, 0, v27, vcc
	v_add3_u32 v22, v26, v46, v22
.LBB445_338:                            ; =>This Loop Header: Depth=1
                                        ;     Child Loop BB445_341 Depth 2
	v_cmp_ne_u16_sdwa s[28:29], v23, v19 src0_sel:BYTE_0 src1_sel:DWORD
	v_mov_b32_e32 v46, v22
	s_nop 0
	v_cndmask_b32_e64 v23, 0, 1, s[28:29]
	;;#ASMSTART
	;;#ASMEND
	s_nop 0
	v_cmp_ne_u32_e32 vcc, 0, v23
	s_cmp_lg_u64 vcc, exec
	s_cbranch_scc1 .LBB445_343
; %bb.339:                              ;   in Loop: Header=BB445_338 Depth=1
	v_lshl_add_u64 v[26:27], v[20:21], 3, s[30:31]
	global_load_dwordx2 v[22:23], v[26:27], off sc1
	s_waitcnt vmcnt(0)
	v_cmp_eq_u16_sdwa s[36:37], v23, v21 src0_sel:BYTE_0 src1_sel:DWORD
	s_and_saveexec_b64 s[28:29], s[36:37]
	s_cbranch_execz .LBB445_337
; %bb.340:                              ;   in Loop: Header=BB445_338 Depth=1
	s_mov_b64 s[36:37], 0
.LBB445_341:                            ;   Parent Loop BB445_338 Depth=1
                                        ; =>  This Inner Loop Header: Depth=2
	global_load_dwordx2 v[22:23], v[26:27], off sc1
	s_waitcnt vmcnt(0)
	v_cmp_ne_u16_sdwa s[38:39], v23, v21 src0_sel:BYTE_0 src1_sel:DWORD
	s_or_b64 s[36:37], s[38:39], s[36:37]
	s_andn2_b64 exec, exec, s[36:37]
	s_cbranch_execnz .LBB445_341
; %bb.342:                              ;   in Loop: Header=BB445_338 Depth=1
	s_or_b64 exec, exec, s[36:37]
	s_branch .LBB445_337
.LBB445_343:                            ;   in Loop: Header=BB445_338 Depth=1
                                        ; implicit-def: $vgpr22
                                        ; implicit-def: $vgpr23
	s_cbranch_execz .LBB445_338
; %bb.344:
	s_and_saveexec_b64 s[28:29], s[16:17]
	s_cbranch_execz .LBB445_346
; %bb.345:
	s_add_i32 s2, s2, 64
	s_mov_b32 s3, 0
	s_lshl_b64 s[2:3], s[2:3], 3
	s_add_u32 s2, s30, s2
	v_add_u32_e32 v20, v46, v18
	v_mov_b32_e32 v21, 2
	s_addc_u32 s3, s31, s3
	v_mov_b32_e32 v19, 0
	global_store_dwordx2 v19, v[20:21], s[2:3] sc1
	s_movk_i32 s2, 0x7000
	v_add_u32_e64 v19, s2, 0
	ds_write2_b32 v19, v18, v46 offset1:2
.LBB445_346:
	s_or_b64 exec, exec, s[28:29]
	v_cmp_eq_u32_e32 vcc, 0, v0
	s_and_b64 exec, exec, vcc
	s_cbranch_execz .LBB445_348
; %bb.347:
	v_mov_b32_e32 v18, 0
	ds_write_b32 v18, v46 offset:28
.LBB445_348:
	s_or_b64 exec, exec, s[26:27]
	v_mov_b32_e32 v18, 0
	s_waitcnt lgkmcnt(0)
	s_barrier
	ds_read_b32 v18, v18 offset:28
	v_cndmask_b32_e64 v19, v30, v28, s[16:17]
	v_cmp_ne_u32_e32 vcc, 0, v0
	s_movk_i32 s2, 0x7000
	s_waitcnt lgkmcnt(0)
	v_cndmask_b32_e32 v19, 0, v19, vcc
	v_add_u32_e32 v34, v18, v19
	v_add_u32_e32 v32, v34, v1
	v_add_u32_e64 v18, s2, 0
	v_add_u32_e32 v30, v32, v29
	s_barrier
	ds_read2_b32 v[18:19], v18 offset1:2
	v_add_u32_e32 v28, v30, v31
	v_add_u32_e32 v26, v28, v33
	;; [unrolled: 1-line block ×4, first 2 shown]
	s_load_dwordx2 s[2:3], s[0:1], 0x28
	v_lshrrev_b64 v[20:21], 24, v[16:17]
	s_branch .LBB445_359
.LBB445_349:
                                        ; implicit-def: $vgpr22
                                        ; implicit-def: $vgpr24
                                        ; implicit-def: $vgpr26
                                        ; implicit-def: $vgpr28
                                        ; implicit-def: $vgpr30
                                        ; implicit-def: $vgpr32
                                        ; implicit-def: $vgpr34
                                        ; implicit-def: $vgpr19
	s_load_dwordx2 s[2:3], s[0:1], 0x28
	v_lshrrev_b64 v[20:21], 24, v[16:17]
	s_cbranch_execz .LBB445_359
; %bb.350:
	s_waitcnt lgkmcnt(0)
	v_mov_b32_dpp v18, v39 row_shr:1 row_mask:0xf bank_mask:0xf
	v_cndmask_b32_e64 v18, v18, 0, s[14:15]
	v_add_u32_e32 v18, v18, v39
	s_nop 1
	v_mov_b32_dpp v19, v18 row_shr:2 row_mask:0xf bank_mask:0xf
	v_cndmask_b32_e64 v19, 0, v19, s[12:13]
	v_add_u32_e32 v18, v18, v19
	s_nop 1
	;; [unrolled: 4-line block ×4, first 2 shown]
	v_mov_b32_dpp v19, v18 row_bcast:15 row_mask:0xf bank_mask:0xf
	v_cndmask_b32_e64 v19, v19, 0, s[6:7]
	v_add_u32_e32 v18, v18, v19
	s_nop 1
	v_mov_b32_dpp v19, v18 row_bcast:31 row_mask:0xf bank_mask:0xf
	v_cndmask_b32_e64 v19, 0, v19, s[18:19]
	v_add_u32_e32 v18, v18, v19
	s_and_saveexec_b64 s[0:1], s[4:5]
	s_cbranch_execz .LBB445_352
; %bb.351:
	v_lshlrev_b32_e32 v19, 2, v38
	ds_write_b32 v19, v18
.LBB445_352:
	s_or_b64 exec, exec, s[0:1]
	v_cmp_gt_u32_e32 vcc, 8, v0
	s_waitcnt lgkmcnt(0)
	s_barrier
	s_and_saveexec_b64 s[0:1], vcc
	s_cbranch_execz .LBB445_354
; %bb.353:
	v_lshlrev_b32_e32 v19, 2, v0
	ds_read_b32 v21, v19
	v_and_b32_e32 v22, 7, v37
	v_cmp_ne_u32_e32 vcc, 0, v22
	s_waitcnt lgkmcnt(0)
	v_mov_b32_dpp v23, v21 row_shr:1 row_mask:0xf bank_mask:0xf
	v_cndmask_b32_e32 v23, 0, v23, vcc
	v_add_u32_e32 v21, v23, v21
	v_cmp_lt_u32_e32 vcc, 1, v22
	s_nop 0
	v_mov_b32_dpp v23, v21 row_shr:2 row_mask:0xf bank_mask:0xf
	v_cndmask_b32_e32 v23, 0, v23, vcc
	v_add_u32_e32 v21, v21, v23
	v_cmp_lt_u32_e32 vcc, 3, v22
	s_nop 0
	v_mov_b32_dpp v23, v21 row_shr:4 row_mask:0xf bank_mask:0xf
	v_cndmask_b32_e32 v22, 0, v23, vcc
	v_add_u32_e32 v21, v21, v22
	ds_write_b32 v19, v21
.LBB445_354:
	s_or_b64 exec, exec, s[0:1]
	v_cmp_lt_u32_e32 vcc, 63, v0
	v_mov_b32_e32 v19, 0
	v_mov_b32_e32 v21, 0
	s_waitcnt lgkmcnt(0)
	s_barrier
	s_and_saveexec_b64 s[0:1], vcc
	s_cbranch_execz .LBB445_356
; %bb.355:
	v_lshl_add_u32 v21, v38, 2, -4
	ds_read_b32 v21, v21
.LBB445_356:
	s_or_b64 exec, exec, s[0:1]
	v_add_u32_e32 v22, -1, v37
	v_and_b32_e32 v23, 64, v37
	v_cmp_lt_i32_e32 vcc, v22, v23
	s_waitcnt lgkmcnt(0)
	v_add_u32_e32 v18, v21, v18
	v_cndmask_b32_e32 v22, v22, v37, vcc
	v_lshlrev_b32_e32 v22, 2, v22
	ds_bpermute_b32 v22, v22, v18
	ds_read_b32 v18, v19 offset:28
	v_cmp_eq_u32_e32 vcc, 0, v0
	s_and_saveexec_b64 s[0:1], vcc
	s_cbranch_execz .LBB445_358
; %bb.357:
	v_mov_b32_e32 v23, 0
	v_mov_b32_e32 v19, 2
	s_waitcnt lgkmcnt(0)
	global_store_dwordx2 v23, v[18:19], s[30:31] offset:512 sc1
.LBB445_358:
	s_or_b64 exec, exec, s[0:1]
	v_cmp_eq_u32_e64 s[0:1], 0, v37
	v_mov_b32_e32 v19, 0
	s_waitcnt lgkmcnt(0)
	v_cndmask_b32_e64 v21, v22, v21, s[0:1]
	v_cndmask_b32_e64 v34, v21, 0, vcc
	v_add_u32_e32 v32, v34, v1
	v_add_u32_e32 v30, v32, v29
	;; [unrolled: 1-line block ×6, first 2 shown]
	s_barrier
.LBB445_359:
	s_movk_i32 s0, 0x201
	s_waitcnt lgkmcnt(0)
	v_cmp_gt_u32_e32 vcc, s0, v18
	v_lshrrev_b32_e32 v21, 8, v16
	v_lshrrev_b32_e32 v1, 8, v17
	s_mov_b64 s[0:1], -1
	s_cbranch_vccnz .LBB445_363
; %bb.360:
	s_and_b64 vcc, exec, s[0:1]
	s_cbranch_vccnz .LBB445_385
.LBB445_361:
	v_cmp_eq_u32_e32 vcc, 0, v0
	s_and_b64 s[0:1], vcc, s[24:25]
	s_and_saveexec_b64 s[2:3], s[0:1]
	s_cbranch_execnz .LBB445_403
.LBB445_362:
	s_endpgm
.LBB445_363:
	v_add_u32_e32 v23, v19, v18
	v_cmp_lt_u32_e32 vcc, v34, v23
	s_or_b64 s[4:5], s[34:35], vcc
	s_and_saveexec_b64 s[0:1], s[4:5]
	s_cbranch_execz .LBB445_366
; %bb.364:
	v_and_b32_e32 v25, 1, v16
	v_cmp_eq_u32_e32 vcc, 1, v25
	s_and_b64 exec, exec, vcc
	s_cbranch_execz .LBB445_366
; %bb.365:
	s_lshl_b64 s[4:5], s[22:23], 3
	s_add_u32 s4, s2, s4
	s_addc_u32 s5, s3, s5
	v_mov_b32_e32 v35, 0
	v_lshl_add_u64 v[36:37], v[34:35], 3, s[4:5]
	global_store_dwordx2 v[36:37], v[10:11], off
.LBB445_366:
	s_or_b64 exec, exec, s[0:1]
	v_cmp_lt_u32_e32 vcc, v32, v23
	s_or_b64 s[4:5], s[34:35], vcc
	s_and_saveexec_b64 s[0:1], s[4:5]
	s_cbranch_execz .LBB445_369
; %bb.367:
	v_and_b32_e32 v25, 1, v21
	v_cmp_eq_u32_e32 vcc, 1, v25
	s_and_b64 exec, exec, vcc
	s_cbranch_execz .LBB445_369
; %bb.368:
	s_lshl_b64 s[4:5], s[22:23], 3
	s_add_u32 s4, s2, s4
	s_addc_u32 s5, s3, s5
	v_mov_b32_e32 v33, 0
	v_lshl_add_u64 v[36:37], v[32:33], 3, s[4:5]
	global_store_dwordx2 v[36:37], v[12:13], off
.LBB445_369:
	s_or_b64 exec, exec, s[0:1]
	v_cmp_lt_u32_e32 vcc, v30, v23
	s_or_b64 s[4:5], s[34:35], vcc
	s_and_saveexec_b64 s[0:1], s[4:5]
	s_cbranch_execz .LBB445_372
; %bb.370:
	v_mov_b32_e32 v25, 1
	v_and_b32_sdwa v25, v25, v16 dst_sel:DWORD dst_unused:UNUSED_PAD src0_sel:DWORD src1_sel:WORD_1
	v_cmp_eq_u32_e32 vcc, 1, v25
	s_and_b64 exec, exec, vcc
	s_cbranch_execz .LBB445_372
; %bb.371:
	s_lshl_b64 s[4:5], s[22:23], 3
	s_add_u32 s4, s2, s4
	s_addc_u32 s5, s3, s5
	v_mov_b32_e32 v31, 0
	v_lshl_add_u64 v[36:37], v[30:31], 3, s[4:5]
	global_store_dwordx2 v[36:37], v[6:7], off
.LBB445_372:
	s_or_b64 exec, exec, s[0:1]
	v_cmp_lt_u32_e32 vcc, v28, v23
	s_or_b64 s[4:5], s[34:35], vcc
	s_and_saveexec_b64 s[0:1], s[4:5]
	s_cbranch_execz .LBB445_375
; %bb.373:
	v_and_b32_e32 v25, 1, v20
	v_cmp_eq_u32_e32 vcc, 1, v25
	s_and_b64 exec, exec, vcc
	s_cbranch_execz .LBB445_375
; %bb.374:
	s_lshl_b64 s[4:5], s[22:23], 3
	s_add_u32 s4, s2, s4
	s_addc_u32 s5, s3, s5
	v_mov_b32_e32 v29, 0
	v_lshl_add_u64 v[36:37], v[28:29], 3, s[4:5]
	global_store_dwordx2 v[36:37], v[8:9], off
.LBB445_375:
	s_or_b64 exec, exec, s[0:1]
	v_cmp_lt_u32_e32 vcc, v26, v23
	s_or_b64 s[4:5], s[34:35], vcc
	s_and_saveexec_b64 s[0:1], s[4:5]
	s_cbranch_execz .LBB445_378
; %bb.376:
	v_and_b32_e32 v25, 1, v17
	v_cmp_eq_u32_e32 vcc, 1, v25
	s_and_b64 exec, exec, vcc
	s_cbranch_execz .LBB445_378
; %bb.377:
	s_lshl_b64 s[4:5], s[22:23], 3
	s_add_u32 s4, s2, s4
	s_addc_u32 s5, s3, s5
	v_mov_b32_e32 v27, 0
	v_lshl_add_u64 v[36:37], v[26:27], 3, s[4:5]
	global_store_dwordx2 v[36:37], v[2:3], off
.LBB445_378:
	;; [unrolled: 18-line block ×3, first 2 shown]
	s_or_b64 exec, exec, s[0:1]
	v_cmp_lt_u32_e32 vcc, v22, v23
	s_or_b64 s[4:5], s[34:35], vcc
	s_and_saveexec_b64 s[0:1], s[4:5]
	s_cbranch_execz .LBB445_384
; %bb.382:
	v_mov_b32_e32 v23, 1
	v_and_b32_sdwa v23, v23, v17 dst_sel:DWORD dst_unused:UNUSED_PAD src0_sel:DWORD src1_sel:WORD_1
	v_cmp_eq_u32_e32 vcc, 1, v23
	s_and_b64 exec, exec, vcc
	s_cbranch_execz .LBB445_384
; %bb.383:
	s_lshl_b64 s[4:5], s[22:23], 3
	s_add_u32 s4, s2, s4
	s_addc_u32 s5, s3, s5
	v_mov_b32_e32 v23, 0
	v_lshl_add_u64 v[36:37], v[22:23], 3, s[4:5]
	global_store_dwordx2 v[36:37], v[14:15], off
.LBB445_384:
	s_or_b64 exec, exec, s[0:1]
	s_branch .LBB445_361
.LBB445_385:
	v_and_b32_e32 v23, 1, v16
	v_cmp_eq_u32_e32 vcc, 1, v23
	s_and_saveexec_b64 s[0:1], vcc
	s_cbranch_execz .LBB445_387
; %bb.386:
	v_sub_u32_e32 v23, v34, v19
	v_lshlrev_b32_e32 v23, 3, v23
	ds_write_b64 v23, v[10:11]
.LBB445_387:
	s_or_b64 exec, exec, s[0:1]
	v_and_b32_e32 v10, 1, v21
	v_cmp_eq_u32_e32 vcc, 1, v10
	s_and_saveexec_b64 s[0:1], vcc
	s_cbranch_execz .LBB445_389
; %bb.388:
	v_sub_u32_e32 v10, v32, v19
	v_lshlrev_b32_e32 v10, 3, v10
	ds_write_b64 v10, v[12:13]
.LBB445_389:
	s_or_b64 exec, exec, s[0:1]
	v_mov_b32_e32 v10, 1
	v_and_b32_sdwa v10, v10, v16 dst_sel:DWORD dst_unused:UNUSED_PAD src0_sel:DWORD src1_sel:WORD_1
	v_cmp_eq_u32_e32 vcc, 1, v10
	s_and_saveexec_b64 s[0:1], vcc
	s_cbranch_execz .LBB445_391
; %bb.390:
	v_sub_u32_e32 v10, v30, v19
	v_lshlrev_b32_e32 v10, 3, v10
	ds_write_b64 v10, v[6:7]
.LBB445_391:
	s_or_b64 exec, exec, s[0:1]
	v_and_b32_e32 v6, 1, v20
	v_cmp_eq_u32_e32 vcc, 1, v6
	s_and_saveexec_b64 s[0:1], vcc
	s_cbranch_execz .LBB445_393
; %bb.392:
	v_sub_u32_e32 v6, v28, v19
	v_lshlrev_b32_e32 v6, 3, v6
	ds_write_b64 v6, v[8:9]
.LBB445_393:
	s_or_b64 exec, exec, s[0:1]
	v_and_b32_e32 v6, 1, v17
	;; [unrolled: 10-line block ×3, first 2 shown]
	v_cmp_eq_u32_e32 vcc, 1, v1
	s_and_saveexec_b64 s[0:1], vcc
	s_cbranch_execz .LBB445_397
; %bb.396:
	v_sub_u32_e32 v1, v24, v19
	v_lshlrev_b32_e32 v1, 3, v1
	ds_write_b64 v1, v[4:5]
.LBB445_397:
	s_or_b64 exec, exec, s[0:1]
	v_mov_b32_e32 v1, 1
	v_and_b32_sdwa v1, v1, v17 dst_sel:DWORD dst_unused:UNUSED_PAD src0_sel:DWORD src1_sel:WORD_1
	v_cmp_eq_u32_e32 vcc, 1, v1
	s_and_saveexec_b64 s[0:1], vcc
	s_cbranch_execz .LBB445_399
; %bb.398:
	v_sub_u32_e32 v1, v22, v19
	v_lshlrev_b32_e32 v1, 3, v1
	ds_write_b64 v1, v[14:15]
.LBB445_399:
	s_or_b64 exec, exec, s[0:1]
	v_cmp_lt_u32_e32 vcc, v0, v18
	s_waitcnt lgkmcnt(0)
	s_barrier
	s_and_saveexec_b64 s[0:1], vcc
	s_cbranch_execz .LBB445_402
; %bb.400:
	v_mov_b32_e32 v5, 0
	v_mov_b32_e32 v4, v19
	s_lshl_b64 s[4:5], s[22:23], 3
	v_lshlrev_b64 v[6:7], 3, v[4:5]
	v_lshl_add_u64 v[6:7], s[4:5], 0, v[6:7]
	v_lshlrev_b32_e32 v2, 3, v0
	v_mov_b32_e32 v3, v5
	v_lshl_add_u64 v[4:5], s[2:3], 0, v[6:7]
	v_lshl_add_u64 v[4:5], v[4:5], 0, v[2:3]
	s_mov_b64 s[2:3], 0
	s_mov_b64 s[4:5], 0x1000
	v_mov_b32_e32 v1, v0
.LBB445_401:                            ; =>This Inner Loop Header: Depth=1
	ds_read_b64 v[6:7], v2
	v_add_u32_e32 v1, 0x200, v1
	v_cmp_ge_u32_e32 vcc, v1, v18
	v_add_u32_e32 v2, 0x1000, v2
	s_or_b64 s[2:3], vcc, s[2:3]
	s_waitcnt lgkmcnt(0)
	global_store_dwordx2 v[4:5], v[6:7], off
	v_lshl_add_u64 v[4:5], v[4:5], 0, s[4:5]
	s_andn2_b64 exec, exec, s[2:3]
	s_cbranch_execnz .LBB445_401
.LBB445_402:
	s_or_b64 exec, exec, s[0:1]
	v_cmp_eq_u32_e32 vcc, 0, v0
	s_and_b64 s[0:1], vcc, s[24:25]
	s_and_saveexec_b64 s[2:3], s[0:1]
	s_cbranch_execz .LBB445_362
.LBB445_403:
	v_mov_b32_e32 v1, 0
	v_mov_b32_e32 v0, v18
	v_lshl_add_u64 v[2:3], s[22:23], 0, v[0:1]
	v_mov_b32_e32 v0, v19
	v_lshl_add_u64 v[2:3], v[2:3], 0, v[0:1]
	global_store_dwordx2 v1, v[2:3], s[20:21]
	s_endpgm
	.section	.rodata,"a",@progbits
	.p2align	6, 0x0
	.amdhsa_kernel _ZN7rocprim17ROCPRIM_400000_NS6detail17trampoline_kernelINS0_14default_configENS1_25partition_config_selectorILNS1_17partition_subalgoE8ElNS0_10empty_typeEbEEZZNS1_14partition_implILS5_8ELb0ES3_jPlPS6_PKS6_NS0_5tupleIJS9_S6_EEENSD_IJSA_SA_EEENS0_18inequality_wrapperIZN2at6native12_GLOBAL__N_124unique_dim_cuda_templateIiEESt5tupleIJNSH_6TensorESM_SM_EERKSM_lbbbEUlllE0_EEPmJS6_EEE10hipError_tPvRmT3_T4_T5_T6_T7_T9_mT8_P12ihipStream_tbDpT10_ENKUlT_T0_E_clISt17integral_constantIbLb0EES1C_EEDaS17_S18_EUlS17_E_NS1_11comp_targetILNS1_3genE5ELNS1_11target_archE942ELNS1_3gpuE9ELNS1_3repE0EEENS1_30default_config_static_selectorELNS0_4arch9wavefront6targetE1EEEvT1_
		.amdhsa_group_segment_fixed_size 28684
		.amdhsa_private_segment_fixed_size 0
		.amdhsa_kernarg_size 120
		.amdhsa_user_sgpr_count 2
		.amdhsa_user_sgpr_dispatch_ptr 0
		.amdhsa_user_sgpr_queue_ptr 0
		.amdhsa_user_sgpr_kernarg_segment_ptr 1
		.amdhsa_user_sgpr_dispatch_id 0
		.amdhsa_user_sgpr_kernarg_preload_length 0
		.amdhsa_user_sgpr_kernarg_preload_offset 0
		.amdhsa_user_sgpr_private_segment_size 0
		.amdhsa_uses_dynamic_stack 0
		.amdhsa_enable_private_segment 0
		.amdhsa_system_sgpr_workgroup_id_x 1
		.amdhsa_system_sgpr_workgroup_id_y 0
		.amdhsa_system_sgpr_workgroup_id_z 0
		.amdhsa_system_sgpr_workgroup_info 0
		.amdhsa_system_vgpr_workitem_id 0
		.amdhsa_next_free_vgpr 52
		.amdhsa_next_free_sgpr 52
		.amdhsa_accum_offset 52
		.amdhsa_reserve_vcc 1
		.amdhsa_float_round_mode_32 0
		.amdhsa_float_round_mode_16_64 0
		.amdhsa_float_denorm_mode_32 3
		.amdhsa_float_denorm_mode_16_64 3
		.amdhsa_dx10_clamp 1
		.amdhsa_ieee_mode 1
		.amdhsa_fp16_overflow 0
		.amdhsa_tg_split 0
		.amdhsa_exception_fp_ieee_invalid_op 0
		.amdhsa_exception_fp_denorm_src 0
		.amdhsa_exception_fp_ieee_div_zero 0
		.amdhsa_exception_fp_ieee_overflow 0
		.amdhsa_exception_fp_ieee_underflow 0
		.amdhsa_exception_fp_ieee_inexact 0
		.amdhsa_exception_int_div_zero 0
	.end_amdhsa_kernel
	.section	.text._ZN7rocprim17ROCPRIM_400000_NS6detail17trampoline_kernelINS0_14default_configENS1_25partition_config_selectorILNS1_17partition_subalgoE8ElNS0_10empty_typeEbEEZZNS1_14partition_implILS5_8ELb0ES3_jPlPS6_PKS6_NS0_5tupleIJS9_S6_EEENSD_IJSA_SA_EEENS0_18inequality_wrapperIZN2at6native12_GLOBAL__N_124unique_dim_cuda_templateIiEESt5tupleIJNSH_6TensorESM_SM_EERKSM_lbbbEUlllE0_EEPmJS6_EEE10hipError_tPvRmT3_T4_T5_T6_T7_T9_mT8_P12ihipStream_tbDpT10_ENKUlT_T0_E_clISt17integral_constantIbLb0EES1C_EEDaS17_S18_EUlS17_E_NS1_11comp_targetILNS1_3genE5ELNS1_11target_archE942ELNS1_3gpuE9ELNS1_3repE0EEENS1_30default_config_static_selectorELNS0_4arch9wavefront6targetE1EEEvT1_,"axG",@progbits,_ZN7rocprim17ROCPRIM_400000_NS6detail17trampoline_kernelINS0_14default_configENS1_25partition_config_selectorILNS1_17partition_subalgoE8ElNS0_10empty_typeEbEEZZNS1_14partition_implILS5_8ELb0ES3_jPlPS6_PKS6_NS0_5tupleIJS9_S6_EEENSD_IJSA_SA_EEENS0_18inequality_wrapperIZN2at6native12_GLOBAL__N_124unique_dim_cuda_templateIiEESt5tupleIJNSH_6TensorESM_SM_EERKSM_lbbbEUlllE0_EEPmJS6_EEE10hipError_tPvRmT3_T4_T5_T6_T7_T9_mT8_P12ihipStream_tbDpT10_ENKUlT_T0_E_clISt17integral_constantIbLb0EES1C_EEDaS17_S18_EUlS17_E_NS1_11comp_targetILNS1_3genE5ELNS1_11target_archE942ELNS1_3gpuE9ELNS1_3repE0EEENS1_30default_config_static_selectorELNS0_4arch9wavefront6targetE1EEEvT1_,comdat
.Lfunc_end445:
	.size	_ZN7rocprim17ROCPRIM_400000_NS6detail17trampoline_kernelINS0_14default_configENS1_25partition_config_selectorILNS1_17partition_subalgoE8ElNS0_10empty_typeEbEEZZNS1_14partition_implILS5_8ELb0ES3_jPlPS6_PKS6_NS0_5tupleIJS9_S6_EEENSD_IJSA_SA_EEENS0_18inequality_wrapperIZN2at6native12_GLOBAL__N_124unique_dim_cuda_templateIiEESt5tupleIJNSH_6TensorESM_SM_EERKSM_lbbbEUlllE0_EEPmJS6_EEE10hipError_tPvRmT3_T4_T5_T6_T7_T9_mT8_P12ihipStream_tbDpT10_ENKUlT_T0_E_clISt17integral_constantIbLb0EES1C_EEDaS17_S18_EUlS17_E_NS1_11comp_targetILNS1_3genE5ELNS1_11target_archE942ELNS1_3gpuE9ELNS1_3repE0EEENS1_30default_config_static_selectorELNS0_4arch9wavefront6targetE1EEEvT1_, .Lfunc_end445-_ZN7rocprim17ROCPRIM_400000_NS6detail17trampoline_kernelINS0_14default_configENS1_25partition_config_selectorILNS1_17partition_subalgoE8ElNS0_10empty_typeEbEEZZNS1_14partition_implILS5_8ELb0ES3_jPlPS6_PKS6_NS0_5tupleIJS9_S6_EEENSD_IJSA_SA_EEENS0_18inequality_wrapperIZN2at6native12_GLOBAL__N_124unique_dim_cuda_templateIiEESt5tupleIJNSH_6TensorESM_SM_EERKSM_lbbbEUlllE0_EEPmJS6_EEE10hipError_tPvRmT3_T4_T5_T6_T7_T9_mT8_P12ihipStream_tbDpT10_ENKUlT_T0_E_clISt17integral_constantIbLb0EES1C_EEDaS17_S18_EUlS17_E_NS1_11comp_targetILNS1_3genE5ELNS1_11target_archE942ELNS1_3gpuE9ELNS1_3repE0EEENS1_30default_config_static_selectorELNS0_4arch9wavefront6targetE1EEEvT1_
                                        ; -- End function
	.section	.AMDGPU.csdata,"",@progbits
; Kernel info:
; codeLenInByte = 12836
; NumSgprs: 58
; NumVgprs: 52
; NumAgprs: 0
; TotalNumVgprs: 52
; ScratchSize: 0
; MemoryBound: 0
; FloatMode: 240
; IeeeMode: 1
; LDSByteSize: 28684 bytes/workgroup (compile time only)
; SGPRBlocks: 7
; VGPRBlocks: 6
; NumSGPRsForWavesPerEU: 58
; NumVGPRsForWavesPerEU: 52
; AccumOffset: 52
; Occupancy: 4
; WaveLimiterHint : 1
; COMPUTE_PGM_RSRC2:SCRATCH_EN: 0
; COMPUTE_PGM_RSRC2:USER_SGPR: 2
; COMPUTE_PGM_RSRC2:TRAP_HANDLER: 0
; COMPUTE_PGM_RSRC2:TGID_X_EN: 1
; COMPUTE_PGM_RSRC2:TGID_Y_EN: 0
; COMPUTE_PGM_RSRC2:TGID_Z_EN: 0
; COMPUTE_PGM_RSRC2:TIDIG_COMP_CNT: 0
; COMPUTE_PGM_RSRC3_GFX90A:ACCUM_OFFSET: 12
; COMPUTE_PGM_RSRC3_GFX90A:TG_SPLIT: 0
	.section	.text._ZN7rocprim17ROCPRIM_400000_NS6detail17trampoline_kernelINS0_14default_configENS1_25partition_config_selectorILNS1_17partition_subalgoE8ElNS0_10empty_typeEbEEZZNS1_14partition_implILS5_8ELb0ES3_jPlPS6_PKS6_NS0_5tupleIJS9_S6_EEENSD_IJSA_SA_EEENS0_18inequality_wrapperIZN2at6native12_GLOBAL__N_124unique_dim_cuda_templateIiEESt5tupleIJNSH_6TensorESM_SM_EERKSM_lbbbEUlllE0_EEPmJS6_EEE10hipError_tPvRmT3_T4_T5_T6_T7_T9_mT8_P12ihipStream_tbDpT10_ENKUlT_T0_E_clISt17integral_constantIbLb0EES1C_EEDaS17_S18_EUlS17_E_NS1_11comp_targetILNS1_3genE4ELNS1_11target_archE910ELNS1_3gpuE8ELNS1_3repE0EEENS1_30default_config_static_selectorELNS0_4arch9wavefront6targetE1EEEvT1_,"axG",@progbits,_ZN7rocprim17ROCPRIM_400000_NS6detail17trampoline_kernelINS0_14default_configENS1_25partition_config_selectorILNS1_17partition_subalgoE8ElNS0_10empty_typeEbEEZZNS1_14partition_implILS5_8ELb0ES3_jPlPS6_PKS6_NS0_5tupleIJS9_S6_EEENSD_IJSA_SA_EEENS0_18inequality_wrapperIZN2at6native12_GLOBAL__N_124unique_dim_cuda_templateIiEESt5tupleIJNSH_6TensorESM_SM_EERKSM_lbbbEUlllE0_EEPmJS6_EEE10hipError_tPvRmT3_T4_T5_T6_T7_T9_mT8_P12ihipStream_tbDpT10_ENKUlT_T0_E_clISt17integral_constantIbLb0EES1C_EEDaS17_S18_EUlS17_E_NS1_11comp_targetILNS1_3genE4ELNS1_11target_archE910ELNS1_3gpuE8ELNS1_3repE0EEENS1_30default_config_static_selectorELNS0_4arch9wavefront6targetE1EEEvT1_,comdat
	.globl	_ZN7rocprim17ROCPRIM_400000_NS6detail17trampoline_kernelINS0_14default_configENS1_25partition_config_selectorILNS1_17partition_subalgoE8ElNS0_10empty_typeEbEEZZNS1_14partition_implILS5_8ELb0ES3_jPlPS6_PKS6_NS0_5tupleIJS9_S6_EEENSD_IJSA_SA_EEENS0_18inequality_wrapperIZN2at6native12_GLOBAL__N_124unique_dim_cuda_templateIiEESt5tupleIJNSH_6TensorESM_SM_EERKSM_lbbbEUlllE0_EEPmJS6_EEE10hipError_tPvRmT3_T4_T5_T6_T7_T9_mT8_P12ihipStream_tbDpT10_ENKUlT_T0_E_clISt17integral_constantIbLb0EES1C_EEDaS17_S18_EUlS17_E_NS1_11comp_targetILNS1_3genE4ELNS1_11target_archE910ELNS1_3gpuE8ELNS1_3repE0EEENS1_30default_config_static_selectorELNS0_4arch9wavefront6targetE1EEEvT1_ ; -- Begin function _ZN7rocprim17ROCPRIM_400000_NS6detail17trampoline_kernelINS0_14default_configENS1_25partition_config_selectorILNS1_17partition_subalgoE8ElNS0_10empty_typeEbEEZZNS1_14partition_implILS5_8ELb0ES3_jPlPS6_PKS6_NS0_5tupleIJS9_S6_EEENSD_IJSA_SA_EEENS0_18inequality_wrapperIZN2at6native12_GLOBAL__N_124unique_dim_cuda_templateIiEESt5tupleIJNSH_6TensorESM_SM_EERKSM_lbbbEUlllE0_EEPmJS6_EEE10hipError_tPvRmT3_T4_T5_T6_T7_T9_mT8_P12ihipStream_tbDpT10_ENKUlT_T0_E_clISt17integral_constantIbLb0EES1C_EEDaS17_S18_EUlS17_E_NS1_11comp_targetILNS1_3genE4ELNS1_11target_archE910ELNS1_3gpuE8ELNS1_3repE0EEENS1_30default_config_static_selectorELNS0_4arch9wavefront6targetE1EEEvT1_
	.p2align	8
	.type	_ZN7rocprim17ROCPRIM_400000_NS6detail17trampoline_kernelINS0_14default_configENS1_25partition_config_selectorILNS1_17partition_subalgoE8ElNS0_10empty_typeEbEEZZNS1_14partition_implILS5_8ELb0ES3_jPlPS6_PKS6_NS0_5tupleIJS9_S6_EEENSD_IJSA_SA_EEENS0_18inequality_wrapperIZN2at6native12_GLOBAL__N_124unique_dim_cuda_templateIiEESt5tupleIJNSH_6TensorESM_SM_EERKSM_lbbbEUlllE0_EEPmJS6_EEE10hipError_tPvRmT3_T4_T5_T6_T7_T9_mT8_P12ihipStream_tbDpT10_ENKUlT_T0_E_clISt17integral_constantIbLb0EES1C_EEDaS17_S18_EUlS17_E_NS1_11comp_targetILNS1_3genE4ELNS1_11target_archE910ELNS1_3gpuE8ELNS1_3repE0EEENS1_30default_config_static_selectorELNS0_4arch9wavefront6targetE1EEEvT1_,@function
_ZN7rocprim17ROCPRIM_400000_NS6detail17trampoline_kernelINS0_14default_configENS1_25partition_config_selectorILNS1_17partition_subalgoE8ElNS0_10empty_typeEbEEZZNS1_14partition_implILS5_8ELb0ES3_jPlPS6_PKS6_NS0_5tupleIJS9_S6_EEENSD_IJSA_SA_EEENS0_18inequality_wrapperIZN2at6native12_GLOBAL__N_124unique_dim_cuda_templateIiEESt5tupleIJNSH_6TensorESM_SM_EERKSM_lbbbEUlllE0_EEPmJS6_EEE10hipError_tPvRmT3_T4_T5_T6_T7_T9_mT8_P12ihipStream_tbDpT10_ENKUlT_T0_E_clISt17integral_constantIbLb0EES1C_EEDaS17_S18_EUlS17_E_NS1_11comp_targetILNS1_3genE4ELNS1_11target_archE910ELNS1_3gpuE8ELNS1_3repE0EEENS1_30default_config_static_selectorELNS0_4arch9wavefront6targetE1EEEvT1_: ; @_ZN7rocprim17ROCPRIM_400000_NS6detail17trampoline_kernelINS0_14default_configENS1_25partition_config_selectorILNS1_17partition_subalgoE8ElNS0_10empty_typeEbEEZZNS1_14partition_implILS5_8ELb0ES3_jPlPS6_PKS6_NS0_5tupleIJS9_S6_EEENSD_IJSA_SA_EEENS0_18inequality_wrapperIZN2at6native12_GLOBAL__N_124unique_dim_cuda_templateIiEESt5tupleIJNSH_6TensorESM_SM_EERKSM_lbbbEUlllE0_EEPmJS6_EEE10hipError_tPvRmT3_T4_T5_T6_T7_T9_mT8_P12ihipStream_tbDpT10_ENKUlT_T0_E_clISt17integral_constantIbLb0EES1C_EEDaS17_S18_EUlS17_E_NS1_11comp_targetILNS1_3genE4ELNS1_11target_archE910ELNS1_3gpuE8ELNS1_3repE0EEENS1_30default_config_static_selectorELNS0_4arch9wavefront6targetE1EEEvT1_
; %bb.0:
	.section	.rodata,"a",@progbits
	.p2align	6, 0x0
	.amdhsa_kernel _ZN7rocprim17ROCPRIM_400000_NS6detail17trampoline_kernelINS0_14default_configENS1_25partition_config_selectorILNS1_17partition_subalgoE8ElNS0_10empty_typeEbEEZZNS1_14partition_implILS5_8ELb0ES3_jPlPS6_PKS6_NS0_5tupleIJS9_S6_EEENSD_IJSA_SA_EEENS0_18inequality_wrapperIZN2at6native12_GLOBAL__N_124unique_dim_cuda_templateIiEESt5tupleIJNSH_6TensorESM_SM_EERKSM_lbbbEUlllE0_EEPmJS6_EEE10hipError_tPvRmT3_T4_T5_T6_T7_T9_mT8_P12ihipStream_tbDpT10_ENKUlT_T0_E_clISt17integral_constantIbLb0EES1C_EEDaS17_S18_EUlS17_E_NS1_11comp_targetILNS1_3genE4ELNS1_11target_archE910ELNS1_3gpuE8ELNS1_3repE0EEENS1_30default_config_static_selectorELNS0_4arch9wavefront6targetE1EEEvT1_
		.amdhsa_group_segment_fixed_size 0
		.amdhsa_private_segment_fixed_size 0
		.amdhsa_kernarg_size 120
		.amdhsa_user_sgpr_count 2
		.amdhsa_user_sgpr_dispatch_ptr 0
		.amdhsa_user_sgpr_queue_ptr 0
		.amdhsa_user_sgpr_kernarg_segment_ptr 1
		.amdhsa_user_sgpr_dispatch_id 0
		.amdhsa_user_sgpr_kernarg_preload_length 0
		.amdhsa_user_sgpr_kernarg_preload_offset 0
		.amdhsa_user_sgpr_private_segment_size 0
		.amdhsa_uses_dynamic_stack 0
		.amdhsa_enable_private_segment 0
		.amdhsa_system_sgpr_workgroup_id_x 1
		.amdhsa_system_sgpr_workgroup_id_y 0
		.amdhsa_system_sgpr_workgroup_id_z 0
		.amdhsa_system_sgpr_workgroup_info 0
		.amdhsa_system_vgpr_workitem_id 0
		.amdhsa_next_free_vgpr 1
		.amdhsa_next_free_sgpr 0
		.amdhsa_accum_offset 4
		.amdhsa_reserve_vcc 0
		.amdhsa_float_round_mode_32 0
		.amdhsa_float_round_mode_16_64 0
		.amdhsa_float_denorm_mode_32 3
		.amdhsa_float_denorm_mode_16_64 3
		.amdhsa_dx10_clamp 1
		.amdhsa_ieee_mode 1
		.amdhsa_fp16_overflow 0
		.amdhsa_tg_split 0
		.amdhsa_exception_fp_ieee_invalid_op 0
		.amdhsa_exception_fp_denorm_src 0
		.amdhsa_exception_fp_ieee_div_zero 0
		.amdhsa_exception_fp_ieee_overflow 0
		.amdhsa_exception_fp_ieee_underflow 0
		.amdhsa_exception_fp_ieee_inexact 0
		.amdhsa_exception_int_div_zero 0
	.end_amdhsa_kernel
	.section	.text._ZN7rocprim17ROCPRIM_400000_NS6detail17trampoline_kernelINS0_14default_configENS1_25partition_config_selectorILNS1_17partition_subalgoE8ElNS0_10empty_typeEbEEZZNS1_14partition_implILS5_8ELb0ES3_jPlPS6_PKS6_NS0_5tupleIJS9_S6_EEENSD_IJSA_SA_EEENS0_18inequality_wrapperIZN2at6native12_GLOBAL__N_124unique_dim_cuda_templateIiEESt5tupleIJNSH_6TensorESM_SM_EERKSM_lbbbEUlllE0_EEPmJS6_EEE10hipError_tPvRmT3_T4_T5_T6_T7_T9_mT8_P12ihipStream_tbDpT10_ENKUlT_T0_E_clISt17integral_constantIbLb0EES1C_EEDaS17_S18_EUlS17_E_NS1_11comp_targetILNS1_3genE4ELNS1_11target_archE910ELNS1_3gpuE8ELNS1_3repE0EEENS1_30default_config_static_selectorELNS0_4arch9wavefront6targetE1EEEvT1_,"axG",@progbits,_ZN7rocprim17ROCPRIM_400000_NS6detail17trampoline_kernelINS0_14default_configENS1_25partition_config_selectorILNS1_17partition_subalgoE8ElNS0_10empty_typeEbEEZZNS1_14partition_implILS5_8ELb0ES3_jPlPS6_PKS6_NS0_5tupleIJS9_S6_EEENSD_IJSA_SA_EEENS0_18inequality_wrapperIZN2at6native12_GLOBAL__N_124unique_dim_cuda_templateIiEESt5tupleIJNSH_6TensorESM_SM_EERKSM_lbbbEUlllE0_EEPmJS6_EEE10hipError_tPvRmT3_T4_T5_T6_T7_T9_mT8_P12ihipStream_tbDpT10_ENKUlT_T0_E_clISt17integral_constantIbLb0EES1C_EEDaS17_S18_EUlS17_E_NS1_11comp_targetILNS1_3genE4ELNS1_11target_archE910ELNS1_3gpuE8ELNS1_3repE0EEENS1_30default_config_static_selectorELNS0_4arch9wavefront6targetE1EEEvT1_,comdat
.Lfunc_end446:
	.size	_ZN7rocprim17ROCPRIM_400000_NS6detail17trampoline_kernelINS0_14default_configENS1_25partition_config_selectorILNS1_17partition_subalgoE8ElNS0_10empty_typeEbEEZZNS1_14partition_implILS5_8ELb0ES3_jPlPS6_PKS6_NS0_5tupleIJS9_S6_EEENSD_IJSA_SA_EEENS0_18inequality_wrapperIZN2at6native12_GLOBAL__N_124unique_dim_cuda_templateIiEESt5tupleIJNSH_6TensorESM_SM_EERKSM_lbbbEUlllE0_EEPmJS6_EEE10hipError_tPvRmT3_T4_T5_T6_T7_T9_mT8_P12ihipStream_tbDpT10_ENKUlT_T0_E_clISt17integral_constantIbLb0EES1C_EEDaS17_S18_EUlS17_E_NS1_11comp_targetILNS1_3genE4ELNS1_11target_archE910ELNS1_3gpuE8ELNS1_3repE0EEENS1_30default_config_static_selectorELNS0_4arch9wavefront6targetE1EEEvT1_, .Lfunc_end446-_ZN7rocprim17ROCPRIM_400000_NS6detail17trampoline_kernelINS0_14default_configENS1_25partition_config_selectorILNS1_17partition_subalgoE8ElNS0_10empty_typeEbEEZZNS1_14partition_implILS5_8ELb0ES3_jPlPS6_PKS6_NS0_5tupleIJS9_S6_EEENSD_IJSA_SA_EEENS0_18inequality_wrapperIZN2at6native12_GLOBAL__N_124unique_dim_cuda_templateIiEESt5tupleIJNSH_6TensorESM_SM_EERKSM_lbbbEUlllE0_EEPmJS6_EEE10hipError_tPvRmT3_T4_T5_T6_T7_T9_mT8_P12ihipStream_tbDpT10_ENKUlT_T0_E_clISt17integral_constantIbLb0EES1C_EEDaS17_S18_EUlS17_E_NS1_11comp_targetILNS1_3genE4ELNS1_11target_archE910ELNS1_3gpuE8ELNS1_3repE0EEENS1_30default_config_static_selectorELNS0_4arch9wavefront6targetE1EEEvT1_
                                        ; -- End function
	.section	.AMDGPU.csdata,"",@progbits
; Kernel info:
; codeLenInByte = 0
; NumSgprs: 6
; NumVgprs: 0
; NumAgprs: 0
; TotalNumVgprs: 0
; ScratchSize: 0
; MemoryBound: 0
; FloatMode: 240
; IeeeMode: 1
; LDSByteSize: 0 bytes/workgroup (compile time only)
; SGPRBlocks: 0
; VGPRBlocks: 0
; NumSGPRsForWavesPerEU: 6
; NumVGPRsForWavesPerEU: 1
; AccumOffset: 4
; Occupancy: 8
; WaveLimiterHint : 0
; COMPUTE_PGM_RSRC2:SCRATCH_EN: 0
; COMPUTE_PGM_RSRC2:USER_SGPR: 2
; COMPUTE_PGM_RSRC2:TRAP_HANDLER: 0
; COMPUTE_PGM_RSRC2:TGID_X_EN: 1
; COMPUTE_PGM_RSRC2:TGID_Y_EN: 0
; COMPUTE_PGM_RSRC2:TGID_Z_EN: 0
; COMPUTE_PGM_RSRC2:TIDIG_COMP_CNT: 0
; COMPUTE_PGM_RSRC3_GFX90A:ACCUM_OFFSET: 0
; COMPUTE_PGM_RSRC3_GFX90A:TG_SPLIT: 0
	.section	.text._ZN7rocprim17ROCPRIM_400000_NS6detail17trampoline_kernelINS0_14default_configENS1_25partition_config_selectorILNS1_17partition_subalgoE8ElNS0_10empty_typeEbEEZZNS1_14partition_implILS5_8ELb0ES3_jPlPS6_PKS6_NS0_5tupleIJS9_S6_EEENSD_IJSA_SA_EEENS0_18inequality_wrapperIZN2at6native12_GLOBAL__N_124unique_dim_cuda_templateIiEESt5tupleIJNSH_6TensorESM_SM_EERKSM_lbbbEUlllE0_EEPmJS6_EEE10hipError_tPvRmT3_T4_T5_T6_T7_T9_mT8_P12ihipStream_tbDpT10_ENKUlT_T0_E_clISt17integral_constantIbLb0EES1C_EEDaS17_S18_EUlS17_E_NS1_11comp_targetILNS1_3genE3ELNS1_11target_archE908ELNS1_3gpuE7ELNS1_3repE0EEENS1_30default_config_static_selectorELNS0_4arch9wavefront6targetE1EEEvT1_,"axG",@progbits,_ZN7rocprim17ROCPRIM_400000_NS6detail17trampoline_kernelINS0_14default_configENS1_25partition_config_selectorILNS1_17partition_subalgoE8ElNS0_10empty_typeEbEEZZNS1_14partition_implILS5_8ELb0ES3_jPlPS6_PKS6_NS0_5tupleIJS9_S6_EEENSD_IJSA_SA_EEENS0_18inequality_wrapperIZN2at6native12_GLOBAL__N_124unique_dim_cuda_templateIiEESt5tupleIJNSH_6TensorESM_SM_EERKSM_lbbbEUlllE0_EEPmJS6_EEE10hipError_tPvRmT3_T4_T5_T6_T7_T9_mT8_P12ihipStream_tbDpT10_ENKUlT_T0_E_clISt17integral_constantIbLb0EES1C_EEDaS17_S18_EUlS17_E_NS1_11comp_targetILNS1_3genE3ELNS1_11target_archE908ELNS1_3gpuE7ELNS1_3repE0EEENS1_30default_config_static_selectorELNS0_4arch9wavefront6targetE1EEEvT1_,comdat
	.globl	_ZN7rocprim17ROCPRIM_400000_NS6detail17trampoline_kernelINS0_14default_configENS1_25partition_config_selectorILNS1_17partition_subalgoE8ElNS0_10empty_typeEbEEZZNS1_14partition_implILS5_8ELb0ES3_jPlPS6_PKS6_NS0_5tupleIJS9_S6_EEENSD_IJSA_SA_EEENS0_18inequality_wrapperIZN2at6native12_GLOBAL__N_124unique_dim_cuda_templateIiEESt5tupleIJNSH_6TensorESM_SM_EERKSM_lbbbEUlllE0_EEPmJS6_EEE10hipError_tPvRmT3_T4_T5_T6_T7_T9_mT8_P12ihipStream_tbDpT10_ENKUlT_T0_E_clISt17integral_constantIbLb0EES1C_EEDaS17_S18_EUlS17_E_NS1_11comp_targetILNS1_3genE3ELNS1_11target_archE908ELNS1_3gpuE7ELNS1_3repE0EEENS1_30default_config_static_selectorELNS0_4arch9wavefront6targetE1EEEvT1_ ; -- Begin function _ZN7rocprim17ROCPRIM_400000_NS6detail17trampoline_kernelINS0_14default_configENS1_25partition_config_selectorILNS1_17partition_subalgoE8ElNS0_10empty_typeEbEEZZNS1_14partition_implILS5_8ELb0ES3_jPlPS6_PKS6_NS0_5tupleIJS9_S6_EEENSD_IJSA_SA_EEENS0_18inequality_wrapperIZN2at6native12_GLOBAL__N_124unique_dim_cuda_templateIiEESt5tupleIJNSH_6TensorESM_SM_EERKSM_lbbbEUlllE0_EEPmJS6_EEE10hipError_tPvRmT3_T4_T5_T6_T7_T9_mT8_P12ihipStream_tbDpT10_ENKUlT_T0_E_clISt17integral_constantIbLb0EES1C_EEDaS17_S18_EUlS17_E_NS1_11comp_targetILNS1_3genE3ELNS1_11target_archE908ELNS1_3gpuE7ELNS1_3repE0EEENS1_30default_config_static_selectorELNS0_4arch9wavefront6targetE1EEEvT1_
	.p2align	8
	.type	_ZN7rocprim17ROCPRIM_400000_NS6detail17trampoline_kernelINS0_14default_configENS1_25partition_config_selectorILNS1_17partition_subalgoE8ElNS0_10empty_typeEbEEZZNS1_14partition_implILS5_8ELb0ES3_jPlPS6_PKS6_NS0_5tupleIJS9_S6_EEENSD_IJSA_SA_EEENS0_18inequality_wrapperIZN2at6native12_GLOBAL__N_124unique_dim_cuda_templateIiEESt5tupleIJNSH_6TensorESM_SM_EERKSM_lbbbEUlllE0_EEPmJS6_EEE10hipError_tPvRmT3_T4_T5_T6_T7_T9_mT8_P12ihipStream_tbDpT10_ENKUlT_T0_E_clISt17integral_constantIbLb0EES1C_EEDaS17_S18_EUlS17_E_NS1_11comp_targetILNS1_3genE3ELNS1_11target_archE908ELNS1_3gpuE7ELNS1_3repE0EEENS1_30default_config_static_selectorELNS0_4arch9wavefront6targetE1EEEvT1_,@function
_ZN7rocprim17ROCPRIM_400000_NS6detail17trampoline_kernelINS0_14default_configENS1_25partition_config_selectorILNS1_17partition_subalgoE8ElNS0_10empty_typeEbEEZZNS1_14partition_implILS5_8ELb0ES3_jPlPS6_PKS6_NS0_5tupleIJS9_S6_EEENSD_IJSA_SA_EEENS0_18inequality_wrapperIZN2at6native12_GLOBAL__N_124unique_dim_cuda_templateIiEESt5tupleIJNSH_6TensorESM_SM_EERKSM_lbbbEUlllE0_EEPmJS6_EEE10hipError_tPvRmT3_T4_T5_T6_T7_T9_mT8_P12ihipStream_tbDpT10_ENKUlT_T0_E_clISt17integral_constantIbLb0EES1C_EEDaS17_S18_EUlS17_E_NS1_11comp_targetILNS1_3genE3ELNS1_11target_archE908ELNS1_3gpuE7ELNS1_3repE0EEENS1_30default_config_static_selectorELNS0_4arch9wavefront6targetE1EEEvT1_: ; @_ZN7rocprim17ROCPRIM_400000_NS6detail17trampoline_kernelINS0_14default_configENS1_25partition_config_selectorILNS1_17partition_subalgoE8ElNS0_10empty_typeEbEEZZNS1_14partition_implILS5_8ELb0ES3_jPlPS6_PKS6_NS0_5tupleIJS9_S6_EEENSD_IJSA_SA_EEENS0_18inequality_wrapperIZN2at6native12_GLOBAL__N_124unique_dim_cuda_templateIiEESt5tupleIJNSH_6TensorESM_SM_EERKSM_lbbbEUlllE0_EEPmJS6_EEE10hipError_tPvRmT3_T4_T5_T6_T7_T9_mT8_P12ihipStream_tbDpT10_ENKUlT_T0_E_clISt17integral_constantIbLb0EES1C_EEDaS17_S18_EUlS17_E_NS1_11comp_targetILNS1_3genE3ELNS1_11target_archE908ELNS1_3gpuE7ELNS1_3repE0EEENS1_30default_config_static_selectorELNS0_4arch9wavefront6targetE1EEEvT1_
; %bb.0:
	.section	.rodata,"a",@progbits
	.p2align	6, 0x0
	.amdhsa_kernel _ZN7rocprim17ROCPRIM_400000_NS6detail17trampoline_kernelINS0_14default_configENS1_25partition_config_selectorILNS1_17partition_subalgoE8ElNS0_10empty_typeEbEEZZNS1_14partition_implILS5_8ELb0ES3_jPlPS6_PKS6_NS0_5tupleIJS9_S6_EEENSD_IJSA_SA_EEENS0_18inequality_wrapperIZN2at6native12_GLOBAL__N_124unique_dim_cuda_templateIiEESt5tupleIJNSH_6TensorESM_SM_EERKSM_lbbbEUlllE0_EEPmJS6_EEE10hipError_tPvRmT3_T4_T5_T6_T7_T9_mT8_P12ihipStream_tbDpT10_ENKUlT_T0_E_clISt17integral_constantIbLb0EES1C_EEDaS17_S18_EUlS17_E_NS1_11comp_targetILNS1_3genE3ELNS1_11target_archE908ELNS1_3gpuE7ELNS1_3repE0EEENS1_30default_config_static_selectorELNS0_4arch9wavefront6targetE1EEEvT1_
		.amdhsa_group_segment_fixed_size 0
		.amdhsa_private_segment_fixed_size 0
		.amdhsa_kernarg_size 120
		.amdhsa_user_sgpr_count 2
		.amdhsa_user_sgpr_dispatch_ptr 0
		.amdhsa_user_sgpr_queue_ptr 0
		.amdhsa_user_sgpr_kernarg_segment_ptr 1
		.amdhsa_user_sgpr_dispatch_id 0
		.amdhsa_user_sgpr_kernarg_preload_length 0
		.amdhsa_user_sgpr_kernarg_preload_offset 0
		.amdhsa_user_sgpr_private_segment_size 0
		.amdhsa_uses_dynamic_stack 0
		.amdhsa_enable_private_segment 0
		.amdhsa_system_sgpr_workgroup_id_x 1
		.amdhsa_system_sgpr_workgroup_id_y 0
		.amdhsa_system_sgpr_workgroup_id_z 0
		.amdhsa_system_sgpr_workgroup_info 0
		.amdhsa_system_vgpr_workitem_id 0
		.amdhsa_next_free_vgpr 1
		.amdhsa_next_free_sgpr 0
		.amdhsa_accum_offset 4
		.amdhsa_reserve_vcc 0
		.amdhsa_float_round_mode_32 0
		.amdhsa_float_round_mode_16_64 0
		.amdhsa_float_denorm_mode_32 3
		.amdhsa_float_denorm_mode_16_64 3
		.amdhsa_dx10_clamp 1
		.amdhsa_ieee_mode 1
		.amdhsa_fp16_overflow 0
		.amdhsa_tg_split 0
		.amdhsa_exception_fp_ieee_invalid_op 0
		.amdhsa_exception_fp_denorm_src 0
		.amdhsa_exception_fp_ieee_div_zero 0
		.amdhsa_exception_fp_ieee_overflow 0
		.amdhsa_exception_fp_ieee_underflow 0
		.amdhsa_exception_fp_ieee_inexact 0
		.amdhsa_exception_int_div_zero 0
	.end_amdhsa_kernel
	.section	.text._ZN7rocprim17ROCPRIM_400000_NS6detail17trampoline_kernelINS0_14default_configENS1_25partition_config_selectorILNS1_17partition_subalgoE8ElNS0_10empty_typeEbEEZZNS1_14partition_implILS5_8ELb0ES3_jPlPS6_PKS6_NS0_5tupleIJS9_S6_EEENSD_IJSA_SA_EEENS0_18inequality_wrapperIZN2at6native12_GLOBAL__N_124unique_dim_cuda_templateIiEESt5tupleIJNSH_6TensorESM_SM_EERKSM_lbbbEUlllE0_EEPmJS6_EEE10hipError_tPvRmT3_T4_T5_T6_T7_T9_mT8_P12ihipStream_tbDpT10_ENKUlT_T0_E_clISt17integral_constantIbLb0EES1C_EEDaS17_S18_EUlS17_E_NS1_11comp_targetILNS1_3genE3ELNS1_11target_archE908ELNS1_3gpuE7ELNS1_3repE0EEENS1_30default_config_static_selectorELNS0_4arch9wavefront6targetE1EEEvT1_,"axG",@progbits,_ZN7rocprim17ROCPRIM_400000_NS6detail17trampoline_kernelINS0_14default_configENS1_25partition_config_selectorILNS1_17partition_subalgoE8ElNS0_10empty_typeEbEEZZNS1_14partition_implILS5_8ELb0ES3_jPlPS6_PKS6_NS0_5tupleIJS9_S6_EEENSD_IJSA_SA_EEENS0_18inequality_wrapperIZN2at6native12_GLOBAL__N_124unique_dim_cuda_templateIiEESt5tupleIJNSH_6TensorESM_SM_EERKSM_lbbbEUlllE0_EEPmJS6_EEE10hipError_tPvRmT3_T4_T5_T6_T7_T9_mT8_P12ihipStream_tbDpT10_ENKUlT_T0_E_clISt17integral_constantIbLb0EES1C_EEDaS17_S18_EUlS17_E_NS1_11comp_targetILNS1_3genE3ELNS1_11target_archE908ELNS1_3gpuE7ELNS1_3repE0EEENS1_30default_config_static_selectorELNS0_4arch9wavefront6targetE1EEEvT1_,comdat
.Lfunc_end447:
	.size	_ZN7rocprim17ROCPRIM_400000_NS6detail17trampoline_kernelINS0_14default_configENS1_25partition_config_selectorILNS1_17partition_subalgoE8ElNS0_10empty_typeEbEEZZNS1_14partition_implILS5_8ELb0ES3_jPlPS6_PKS6_NS0_5tupleIJS9_S6_EEENSD_IJSA_SA_EEENS0_18inequality_wrapperIZN2at6native12_GLOBAL__N_124unique_dim_cuda_templateIiEESt5tupleIJNSH_6TensorESM_SM_EERKSM_lbbbEUlllE0_EEPmJS6_EEE10hipError_tPvRmT3_T4_T5_T6_T7_T9_mT8_P12ihipStream_tbDpT10_ENKUlT_T0_E_clISt17integral_constantIbLb0EES1C_EEDaS17_S18_EUlS17_E_NS1_11comp_targetILNS1_3genE3ELNS1_11target_archE908ELNS1_3gpuE7ELNS1_3repE0EEENS1_30default_config_static_selectorELNS0_4arch9wavefront6targetE1EEEvT1_, .Lfunc_end447-_ZN7rocprim17ROCPRIM_400000_NS6detail17trampoline_kernelINS0_14default_configENS1_25partition_config_selectorILNS1_17partition_subalgoE8ElNS0_10empty_typeEbEEZZNS1_14partition_implILS5_8ELb0ES3_jPlPS6_PKS6_NS0_5tupleIJS9_S6_EEENSD_IJSA_SA_EEENS0_18inequality_wrapperIZN2at6native12_GLOBAL__N_124unique_dim_cuda_templateIiEESt5tupleIJNSH_6TensorESM_SM_EERKSM_lbbbEUlllE0_EEPmJS6_EEE10hipError_tPvRmT3_T4_T5_T6_T7_T9_mT8_P12ihipStream_tbDpT10_ENKUlT_T0_E_clISt17integral_constantIbLb0EES1C_EEDaS17_S18_EUlS17_E_NS1_11comp_targetILNS1_3genE3ELNS1_11target_archE908ELNS1_3gpuE7ELNS1_3repE0EEENS1_30default_config_static_selectorELNS0_4arch9wavefront6targetE1EEEvT1_
                                        ; -- End function
	.section	.AMDGPU.csdata,"",@progbits
; Kernel info:
; codeLenInByte = 0
; NumSgprs: 6
; NumVgprs: 0
; NumAgprs: 0
; TotalNumVgprs: 0
; ScratchSize: 0
; MemoryBound: 0
; FloatMode: 240
; IeeeMode: 1
; LDSByteSize: 0 bytes/workgroup (compile time only)
; SGPRBlocks: 0
; VGPRBlocks: 0
; NumSGPRsForWavesPerEU: 6
; NumVGPRsForWavesPerEU: 1
; AccumOffset: 4
; Occupancy: 8
; WaveLimiterHint : 0
; COMPUTE_PGM_RSRC2:SCRATCH_EN: 0
; COMPUTE_PGM_RSRC2:USER_SGPR: 2
; COMPUTE_PGM_RSRC2:TRAP_HANDLER: 0
; COMPUTE_PGM_RSRC2:TGID_X_EN: 1
; COMPUTE_PGM_RSRC2:TGID_Y_EN: 0
; COMPUTE_PGM_RSRC2:TGID_Z_EN: 0
; COMPUTE_PGM_RSRC2:TIDIG_COMP_CNT: 0
; COMPUTE_PGM_RSRC3_GFX90A:ACCUM_OFFSET: 0
; COMPUTE_PGM_RSRC3_GFX90A:TG_SPLIT: 0
	.section	.text._ZN7rocprim17ROCPRIM_400000_NS6detail17trampoline_kernelINS0_14default_configENS1_25partition_config_selectorILNS1_17partition_subalgoE8ElNS0_10empty_typeEbEEZZNS1_14partition_implILS5_8ELb0ES3_jPlPS6_PKS6_NS0_5tupleIJS9_S6_EEENSD_IJSA_SA_EEENS0_18inequality_wrapperIZN2at6native12_GLOBAL__N_124unique_dim_cuda_templateIiEESt5tupleIJNSH_6TensorESM_SM_EERKSM_lbbbEUlllE0_EEPmJS6_EEE10hipError_tPvRmT3_T4_T5_T6_T7_T9_mT8_P12ihipStream_tbDpT10_ENKUlT_T0_E_clISt17integral_constantIbLb0EES1C_EEDaS17_S18_EUlS17_E_NS1_11comp_targetILNS1_3genE2ELNS1_11target_archE906ELNS1_3gpuE6ELNS1_3repE0EEENS1_30default_config_static_selectorELNS0_4arch9wavefront6targetE1EEEvT1_,"axG",@progbits,_ZN7rocprim17ROCPRIM_400000_NS6detail17trampoline_kernelINS0_14default_configENS1_25partition_config_selectorILNS1_17partition_subalgoE8ElNS0_10empty_typeEbEEZZNS1_14partition_implILS5_8ELb0ES3_jPlPS6_PKS6_NS0_5tupleIJS9_S6_EEENSD_IJSA_SA_EEENS0_18inequality_wrapperIZN2at6native12_GLOBAL__N_124unique_dim_cuda_templateIiEESt5tupleIJNSH_6TensorESM_SM_EERKSM_lbbbEUlllE0_EEPmJS6_EEE10hipError_tPvRmT3_T4_T5_T6_T7_T9_mT8_P12ihipStream_tbDpT10_ENKUlT_T0_E_clISt17integral_constantIbLb0EES1C_EEDaS17_S18_EUlS17_E_NS1_11comp_targetILNS1_3genE2ELNS1_11target_archE906ELNS1_3gpuE6ELNS1_3repE0EEENS1_30default_config_static_selectorELNS0_4arch9wavefront6targetE1EEEvT1_,comdat
	.globl	_ZN7rocprim17ROCPRIM_400000_NS6detail17trampoline_kernelINS0_14default_configENS1_25partition_config_selectorILNS1_17partition_subalgoE8ElNS0_10empty_typeEbEEZZNS1_14partition_implILS5_8ELb0ES3_jPlPS6_PKS6_NS0_5tupleIJS9_S6_EEENSD_IJSA_SA_EEENS0_18inequality_wrapperIZN2at6native12_GLOBAL__N_124unique_dim_cuda_templateIiEESt5tupleIJNSH_6TensorESM_SM_EERKSM_lbbbEUlllE0_EEPmJS6_EEE10hipError_tPvRmT3_T4_T5_T6_T7_T9_mT8_P12ihipStream_tbDpT10_ENKUlT_T0_E_clISt17integral_constantIbLb0EES1C_EEDaS17_S18_EUlS17_E_NS1_11comp_targetILNS1_3genE2ELNS1_11target_archE906ELNS1_3gpuE6ELNS1_3repE0EEENS1_30default_config_static_selectorELNS0_4arch9wavefront6targetE1EEEvT1_ ; -- Begin function _ZN7rocprim17ROCPRIM_400000_NS6detail17trampoline_kernelINS0_14default_configENS1_25partition_config_selectorILNS1_17partition_subalgoE8ElNS0_10empty_typeEbEEZZNS1_14partition_implILS5_8ELb0ES3_jPlPS6_PKS6_NS0_5tupleIJS9_S6_EEENSD_IJSA_SA_EEENS0_18inequality_wrapperIZN2at6native12_GLOBAL__N_124unique_dim_cuda_templateIiEESt5tupleIJNSH_6TensorESM_SM_EERKSM_lbbbEUlllE0_EEPmJS6_EEE10hipError_tPvRmT3_T4_T5_T6_T7_T9_mT8_P12ihipStream_tbDpT10_ENKUlT_T0_E_clISt17integral_constantIbLb0EES1C_EEDaS17_S18_EUlS17_E_NS1_11comp_targetILNS1_3genE2ELNS1_11target_archE906ELNS1_3gpuE6ELNS1_3repE0EEENS1_30default_config_static_selectorELNS0_4arch9wavefront6targetE1EEEvT1_
	.p2align	8
	.type	_ZN7rocprim17ROCPRIM_400000_NS6detail17trampoline_kernelINS0_14default_configENS1_25partition_config_selectorILNS1_17partition_subalgoE8ElNS0_10empty_typeEbEEZZNS1_14partition_implILS5_8ELb0ES3_jPlPS6_PKS6_NS0_5tupleIJS9_S6_EEENSD_IJSA_SA_EEENS0_18inequality_wrapperIZN2at6native12_GLOBAL__N_124unique_dim_cuda_templateIiEESt5tupleIJNSH_6TensorESM_SM_EERKSM_lbbbEUlllE0_EEPmJS6_EEE10hipError_tPvRmT3_T4_T5_T6_T7_T9_mT8_P12ihipStream_tbDpT10_ENKUlT_T0_E_clISt17integral_constantIbLb0EES1C_EEDaS17_S18_EUlS17_E_NS1_11comp_targetILNS1_3genE2ELNS1_11target_archE906ELNS1_3gpuE6ELNS1_3repE0EEENS1_30default_config_static_selectorELNS0_4arch9wavefront6targetE1EEEvT1_,@function
_ZN7rocprim17ROCPRIM_400000_NS6detail17trampoline_kernelINS0_14default_configENS1_25partition_config_selectorILNS1_17partition_subalgoE8ElNS0_10empty_typeEbEEZZNS1_14partition_implILS5_8ELb0ES3_jPlPS6_PKS6_NS0_5tupleIJS9_S6_EEENSD_IJSA_SA_EEENS0_18inequality_wrapperIZN2at6native12_GLOBAL__N_124unique_dim_cuda_templateIiEESt5tupleIJNSH_6TensorESM_SM_EERKSM_lbbbEUlllE0_EEPmJS6_EEE10hipError_tPvRmT3_T4_T5_T6_T7_T9_mT8_P12ihipStream_tbDpT10_ENKUlT_T0_E_clISt17integral_constantIbLb0EES1C_EEDaS17_S18_EUlS17_E_NS1_11comp_targetILNS1_3genE2ELNS1_11target_archE906ELNS1_3gpuE6ELNS1_3repE0EEENS1_30default_config_static_selectorELNS0_4arch9wavefront6targetE1EEEvT1_: ; @_ZN7rocprim17ROCPRIM_400000_NS6detail17trampoline_kernelINS0_14default_configENS1_25partition_config_selectorILNS1_17partition_subalgoE8ElNS0_10empty_typeEbEEZZNS1_14partition_implILS5_8ELb0ES3_jPlPS6_PKS6_NS0_5tupleIJS9_S6_EEENSD_IJSA_SA_EEENS0_18inequality_wrapperIZN2at6native12_GLOBAL__N_124unique_dim_cuda_templateIiEESt5tupleIJNSH_6TensorESM_SM_EERKSM_lbbbEUlllE0_EEPmJS6_EEE10hipError_tPvRmT3_T4_T5_T6_T7_T9_mT8_P12ihipStream_tbDpT10_ENKUlT_T0_E_clISt17integral_constantIbLb0EES1C_EEDaS17_S18_EUlS17_E_NS1_11comp_targetILNS1_3genE2ELNS1_11target_archE906ELNS1_3gpuE6ELNS1_3repE0EEENS1_30default_config_static_selectorELNS0_4arch9wavefront6targetE1EEEvT1_
; %bb.0:
	.section	.rodata,"a",@progbits
	.p2align	6, 0x0
	.amdhsa_kernel _ZN7rocprim17ROCPRIM_400000_NS6detail17trampoline_kernelINS0_14default_configENS1_25partition_config_selectorILNS1_17partition_subalgoE8ElNS0_10empty_typeEbEEZZNS1_14partition_implILS5_8ELb0ES3_jPlPS6_PKS6_NS0_5tupleIJS9_S6_EEENSD_IJSA_SA_EEENS0_18inequality_wrapperIZN2at6native12_GLOBAL__N_124unique_dim_cuda_templateIiEESt5tupleIJNSH_6TensorESM_SM_EERKSM_lbbbEUlllE0_EEPmJS6_EEE10hipError_tPvRmT3_T4_T5_T6_T7_T9_mT8_P12ihipStream_tbDpT10_ENKUlT_T0_E_clISt17integral_constantIbLb0EES1C_EEDaS17_S18_EUlS17_E_NS1_11comp_targetILNS1_3genE2ELNS1_11target_archE906ELNS1_3gpuE6ELNS1_3repE0EEENS1_30default_config_static_selectorELNS0_4arch9wavefront6targetE1EEEvT1_
		.amdhsa_group_segment_fixed_size 0
		.amdhsa_private_segment_fixed_size 0
		.amdhsa_kernarg_size 120
		.amdhsa_user_sgpr_count 2
		.amdhsa_user_sgpr_dispatch_ptr 0
		.amdhsa_user_sgpr_queue_ptr 0
		.amdhsa_user_sgpr_kernarg_segment_ptr 1
		.amdhsa_user_sgpr_dispatch_id 0
		.amdhsa_user_sgpr_kernarg_preload_length 0
		.amdhsa_user_sgpr_kernarg_preload_offset 0
		.amdhsa_user_sgpr_private_segment_size 0
		.amdhsa_uses_dynamic_stack 0
		.amdhsa_enable_private_segment 0
		.amdhsa_system_sgpr_workgroup_id_x 1
		.amdhsa_system_sgpr_workgroup_id_y 0
		.amdhsa_system_sgpr_workgroup_id_z 0
		.amdhsa_system_sgpr_workgroup_info 0
		.amdhsa_system_vgpr_workitem_id 0
		.amdhsa_next_free_vgpr 1
		.amdhsa_next_free_sgpr 0
		.amdhsa_accum_offset 4
		.amdhsa_reserve_vcc 0
		.amdhsa_float_round_mode_32 0
		.amdhsa_float_round_mode_16_64 0
		.amdhsa_float_denorm_mode_32 3
		.amdhsa_float_denorm_mode_16_64 3
		.amdhsa_dx10_clamp 1
		.amdhsa_ieee_mode 1
		.amdhsa_fp16_overflow 0
		.amdhsa_tg_split 0
		.amdhsa_exception_fp_ieee_invalid_op 0
		.amdhsa_exception_fp_denorm_src 0
		.amdhsa_exception_fp_ieee_div_zero 0
		.amdhsa_exception_fp_ieee_overflow 0
		.amdhsa_exception_fp_ieee_underflow 0
		.amdhsa_exception_fp_ieee_inexact 0
		.amdhsa_exception_int_div_zero 0
	.end_amdhsa_kernel
	.section	.text._ZN7rocprim17ROCPRIM_400000_NS6detail17trampoline_kernelINS0_14default_configENS1_25partition_config_selectorILNS1_17partition_subalgoE8ElNS0_10empty_typeEbEEZZNS1_14partition_implILS5_8ELb0ES3_jPlPS6_PKS6_NS0_5tupleIJS9_S6_EEENSD_IJSA_SA_EEENS0_18inequality_wrapperIZN2at6native12_GLOBAL__N_124unique_dim_cuda_templateIiEESt5tupleIJNSH_6TensorESM_SM_EERKSM_lbbbEUlllE0_EEPmJS6_EEE10hipError_tPvRmT3_T4_T5_T6_T7_T9_mT8_P12ihipStream_tbDpT10_ENKUlT_T0_E_clISt17integral_constantIbLb0EES1C_EEDaS17_S18_EUlS17_E_NS1_11comp_targetILNS1_3genE2ELNS1_11target_archE906ELNS1_3gpuE6ELNS1_3repE0EEENS1_30default_config_static_selectorELNS0_4arch9wavefront6targetE1EEEvT1_,"axG",@progbits,_ZN7rocprim17ROCPRIM_400000_NS6detail17trampoline_kernelINS0_14default_configENS1_25partition_config_selectorILNS1_17partition_subalgoE8ElNS0_10empty_typeEbEEZZNS1_14partition_implILS5_8ELb0ES3_jPlPS6_PKS6_NS0_5tupleIJS9_S6_EEENSD_IJSA_SA_EEENS0_18inequality_wrapperIZN2at6native12_GLOBAL__N_124unique_dim_cuda_templateIiEESt5tupleIJNSH_6TensorESM_SM_EERKSM_lbbbEUlllE0_EEPmJS6_EEE10hipError_tPvRmT3_T4_T5_T6_T7_T9_mT8_P12ihipStream_tbDpT10_ENKUlT_T0_E_clISt17integral_constantIbLb0EES1C_EEDaS17_S18_EUlS17_E_NS1_11comp_targetILNS1_3genE2ELNS1_11target_archE906ELNS1_3gpuE6ELNS1_3repE0EEENS1_30default_config_static_selectorELNS0_4arch9wavefront6targetE1EEEvT1_,comdat
.Lfunc_end448:
	.size	_ZN7rocprim17ROCPRIM_400000_NS6detail17trampoline_kernelINS0_14default_configENS1_25partition_config_selectorILNS1_17partition_subalgoE8ElNS0_10empty_typeEbEEZZNS1_14partition_implILS5_8ELb0ES3_jPlPS6_PKS6_NS0_5tupleIJS9_S6_EEENSD_IJSA_SA_EEENS0_18inequality_wrapperIZN2at6native12_GLOBAL__N_124unique_dim_cuda_templateIiEESt5tupleIJNSH_6TensorESM_SM_EERKSM_lbbbEUlllE0_EEPmJS6_EEE10hipError_tPvRmT3_T4_T5_T6_T7_T9_mT8_P12ihipStream_tbDpT10_ENKUlT_T0_E_clISt17integral_constantIbLb0EES1C_EEDaS17_S18_EUlS17_E_NS1_11comp_targetILNS1_3genE2ELNS1_11target_archE906ELNS1_3gpuE6ELNS1_3repE0EEENS1_30default_config_static_selectorELNS0_4arch9wavefront6targetE1EEEvT1_, .Lfunc_end448-_ZN7rocprim17ROCPRIM_400000_NS6detail17trampoline_kernelINS0_14default_configENS1_25partition_config_selectorILNS1_17partition_subalgoE8ElNS0_10empty_typeEbEEZZNS1_14partition_implILS5_8ELb0ES3_jPlPS6_PKS6_NS0_5tupleIJS9_S6_EEENSD_IJSA_SA_EEENS0_18inequality_wrapperIZN2at6native12_GLOBAL__N_124unique_dim_cuda_templateIiEESt5tupleIJNSH_6TensorESM_SM_EERKSM_lbbbEUlllE0_EEPmJS6_EEE10hipError_tPvRmT3_T4_T5_T6_T7_T9_mT8_P12ihipStream_tbDpT10_ENKUlT_T0_E_clISt17integral_constantIbLb0EES1C_EEDaS17_S18_EUlS17_E_NS1_11comp_targetILNS1_3genE2ELNS1_11target_archE906ELNS1_3gpuE6ELNS1_3repE0EEENS1_30default_config_static_selectorELNS0_4arch9wavefront6targetE1EEEvT1_
                                        ; -- End function
	.section	.AMDGPU.csdata,"",@progbits
; Kernel info:
; codeLenInByte = 0
; NumSgprs: 6
; NumVgprs: 0
; NumAgprs: 0
; TotalNumVgprs: 0
; ScratchSize: 0
; MemoryBound: 0
; FloatMode: 240
; IeeeMode: 1
; LDSByteSize: 0 bytes/workgroup (compile time only)
; SGPRBlocks: 0
; VGPRBlocks: 0
; NumSGPRsForWavesPerEU: 6
; NumVGPRsForWavesPerEU: 1
; AccumOffset: 4
; Occupancy: 8
; WaveLimiterHint : 0
; COMPUTE_PGM_RSRC2:SCRATCH_EN: 0
; COMPUTE_PGM_RSRC2:USER_SGPR: 2
; COMPUTE_PGM_RSRC2:TRAP_HANDLER: 0
; COMPUTE_PGM_RSRC2:TGID_X_EN: 1
; COMPUTE_PGM_RSRC2:TGID_Y_EN: 0
; COMPUTE_PGM_RSRC2:TGID_Z_EN: 0
; COMPUTE_PGM_RSRC2:TIDIG_COMP_CNT: 0
; COMPUTE_PGM_RSRC3_GFX90A:ACCUM_OFFSET: 0
; COMPUTE_PGM_RSRC3_GFX90A:TG_SPLIT: 0
	.section	.text._ZN7rocprim17ROCPRIM_400000_NS6detail17trampoline_kernelINS0_14default_configENS1_25partition_config_selectorILNS1_17partition_subalgoE8ElNS0_10empty_typeEbEEZZNS1_14partition_implILS5_8ELb0ES3_jPlPS6_PKS6_NS0_5tupleIJS9_S6_EEENSD_IJSA_SA_EEENS0_18inequality_wrapperIZN2at6native12_GLOBAL__N_124unique_dim_cuda_templateIiEESt5tupleIJNSH_6TensorESM_SM_EERKSM_lbbbEUlllE0_EEPmJS6_EEE10hipError_tPvRmT3_T4_T5_T6_T7_T9_mT8_P12ihipStream_tbDpT10_ENKUlT_T0_E_clISt17integral_constantIbLb0EES1C_EEDaS17_S18_EUlS17_E_NS1_11comp_targetILNS1_3genE10ELNS1_11target_archE1200ELNS1_3gpuE4ELNS1_3repE0EEENS1_30default_config_static_selectorELNS0_4arch9wavefront6targetE1EEEvT1_,"axG",@progbits,_ZN7rocprim17ROCPRIM_400000_NS6detail17trampoline_kernelINS0_14default_configENS1_25partition_config_selectorILNS1_17partition_subalgoE8ElNS0_10empty_typeEbEEZZNS1_14partition_implILS5_8ELb0ES3_jPlPS6_PKS6_NS0_5tupleIJS9_S6_EEENSD_IJSA_SA_EEENS0_18inequality_wrapperIZN2at6native12_GLOBAL__N_124unique_dim_cuda_templateIiEESt5tupleIJNSH_6TensorESM_SM_EERKSM_lbbbEUlllE0_EEPmJS6_EEE10hipError_tPvRmT3_T4_T5_T6_T7_T9_mT8_P12ihipStream_tbDpT10_ENKUlT_T0_E_clISt17integral_constantIbLb0EES1C_EEDaS17_S18_EUlS17_E_NS1_11comp_targetILNS1_3genE10ELNS1_11target_archE1200ELNS1_3gpuE4ELNS1_3repE0EEENS1_30default_config_static_selectorELNS0_4arch9wavefront6targetE1EEEvT1_,comdat
	.globl	_ZN7rocprim17ROCPRIM_400000_NS6detail17trampoline_kernelINS0_14default_configENS1_25partition_config_selectorILNS1_17partition_subalgoE8ElNS0_10empty_typeEbEEZZNS1_14partition_implILS5_8ELb0ES3_jPlPS6_PKS6_NS0_5tupleIJS9_S6_EEENSD_IJSA_SA_EEENS0_18inequality_wrapperIZN2at6native12_GLOBAL__N_124unique_dim_cuda_templateIiEESt5tupleIJNSH_6TensorESM_SM_EERKSM_lbbbEUlllE0_EEPmJS6_EEE10hipError_tPvRmT3_T4_T5_T6_T7_T9_mT8_P12ihipStream_tbDpT10_ENKUlT_T0_E_clISt17integral_constantIbLb0EES1C_EEDaS17_S18_EUlS17_E_NS1_11comp_targetILNS1_3genE10ELNS1_11target_archE1200ELNS1_3gpuE4ELNS1_3repE0EEENS1_30default_config_static_selectorELNS0_4arch9wavefront6targetE1EEEvT1_ ; -- Begin function _ZN7rocprim17ROCPRIM_400000_NS6detail17trampoline_kernelINS0_14default_configENS1_25partition_config_selectorILNS1_17partition_subalgoE8ElNS0_10empty_typeEbEEZZNS1_14partition_implILS5_8ELb0ES3_jPlPS6_PKS6_NS0_5tupleIJS9_S6_EEENSD_IJSA_SA_EEENS0_18inequality_wrapperIZN2at6native12_GLOBAL__N_124unique_dim_cuda_templateIiEESt5tupleIJNSH_6TensorESM_SM_EERKSM_lbbbEUlllE0_EEPmJS6_EEE10hipError_tPvRmT3_T4_T5_T6_T7_T9_mT8_P12ihipStream_tbDpT10_ENKUlT_T0_E_clISt17integral_constantIbLb0EES1C_EEDaS17_S18_EUlS17_E_NS1_11comp_targetILNS1_3genE10ELNS1_11target_archE1200ELNS1_3gpuE4ELNS1_3repE0EEENS1_30default_config_static_selectorELNS0_4arch9wavefront6targetE1EEEvT1_
	.p2align	8
	.type	_ZN7rocprim17ROCPRIM_400000_NS6detail17trampoline_kernelINS0_14default_configENS1_25partition_config_selectorILNS1_17partition_subalgoE8ElNS0_10empty_typeEbEEZZNS1_14partition_implILS5_8ELb0ES3_jPlPS6_PKS6_NS0_5tupleIJS9_S6_EEENSD_IJSA_SA_EEENS0_18inequality_wrapperIZN2at6native12_GLOBAL__N_124unique_dim_cuda_templateIiEESt5tupleIJNSH_6TensorESM_SM_EERKSM_lbbbEUlllE0_EEPmJS6_EEE10hipError_tPvRmT3_T4_T5_T6_T7_T9_mT8_P12ihipStream_tbDpT10_ENKUlT_T0_E_clISt17integral_constantIbLb0EES1C_EEDaS17_S18_EUlS17_E_NS1_11comp_targetILNS1_3genE10ELNS1_11target_archE1200ELNS1_3gpuE4ELNS1_3repE0EEENS1_30default_config_static_selectorELNS0_4arch9wavefront6targetE1EEEvT1_,@function
_ZN7rocprim17ROCPRIM_400000_NS6detail17trampoline_kernelINS0_14default_configENS1_25partition_config_selectorILNS1_17partition_subalgoE8ElNS0_10empty_typeEbEEZZNS1_14partition_implILS5_8ELb0ES3_jPlPS6_PKS6_NS0_5tupleIJS9_S6_EEENSD_IJSA_SA_EEENS0_18inequality_wrapperIZN2at6native12_GLOBAL__N_124unique_dim_cuda_templateIiEESt5tupleIJNSH_6TensorESM_SM_EERKSM_lbbbEUlllE0_EEPmJS6_EEE10hipError_tPvRmT3_T4_T5_T6_T7_T9_mT8_P12ihipStream_tbDpT10_ENKUlT_T0_E_clISt17integral_constantIbLb0EES1C_EEDaS17_S18_EUlS17_E_NS1_11comp_targetILNS1_3genE10ELNS1_11target_archE1200ELNS1_3gpuE4ELNS1_3repE0EEENS1_30default_config_static_selectorELNS0_4arch9wavefront6targetE1EEEvT1_: ; @_ZN7rocprim17ROCPRIM_400000_NS6detail17trampoline_kernelINS0_14default_configENS1_25partition_config_selectorILNS1_17partition_subalgoE8ElNS0_10empty_typeEbEEZZNS1_14partition_implILS5_8ELb0ES3_jPlPS6_PKS6_NS0_5tupleIJS9_S6_EEENSD_IJSA_SA_EEENS0_18inequality_wrapperIZN2at6native12_GLOBAL__N_124unique_dim_cuda_templateIiEESt5tupleIJNSH_6TensorESM_SM_EERKSM_lbbbEUlllE0_EEPmJS6_EEE10hipError_tPvRmT3_T4_T5_T6_T7_T9_mT8_P12ihipStream_tbDpT10_ENKUlT_T0_E_clISt17integral_constantIbLb0EES1C_EEDaS17_S18_EUlS17_E_NS1_11comp_targetILNS1_3genE10ELNS1_11target_archE1200ELNS1_3gpuE4ELNS1_3repE0EEENS1_30default_config_static_selectorELNS0_4arch9wavefront6targetE1EEEvT1_
; %bb.0:
	.section	.rodata,"a",@progbits
	.p2align	6, 0x0
	.amdhsa_kernel _ZN7rocprim17ROCPRIM_400000_NS6detail17trampoline_kernelINS0_14default_configENS1_25partition_config_selectorILNS1_17partition_subalgoE8ElNS0_10empty_typeEbEEZZNS1_14partition_implILS5_8ELb0ES3_jPlPS6_PKS6_NS0_5tupleIJS9_S6_EEENSD_IJSA_SA_EEENS0_18inequality_wrapperIZN2at6native12_GLOBAL__N_124unique_dim_cuda_templateIiEESt5tupleIJNSH_6TensorESM_SM_EERKSM_lbbbEUlllE0_EEPmJS6_EEE10hipError_tPvRmT3_T4_T5_T6_T7_T9_mT8_P12ihipStream_tbDpT10_ENKUlT_T0_E_clISt17integral_constantIbLb0EES1C_EEDaS17_S18_EUlS17_E_NS1_11comp_targetILNS1_3genE10ELNS1_11target_archE1200ELNS1_3gpuE4ELNS1_3repE0EEENS1_30default_config_static_selectorELNS0_4arch9wavefront6targetE1EEEvT1_
		.amdhsa_group_segment_fixed_size 0
		.amdhsa_private_segment_fixed_size 0
		.amdhsa_kernarg_size 120
		.amdhsa_user_sgpr_count 2
		.amdhsa_user_sgpr_dispatch_ptr 0
		.amdhsa_user_sgpr_queue_ptr 0
		.amdhsa_user_sgpr_kernarg_segment_ptr 1
		.amdhsa_user_sgpr_dispatch_id 0
		.amdhsa_user_sgpr_kernarg_preload_length 0
		.amdhsa_user_sgpr_kernarg_preload_offset 0
		.amdhsa_user_sgpr_private_segment_size 0
		.amdhsa_uses_dynamic_stack 0
		.amdhsa_enable_private_segment 0
		.amdhsa_system_sgpr_workgroup_id_x 1
		.amdhsa_system_sgpr_workgroup_id_y 0
		.amdhsa_system_sgpr_workgroup_id_z 0
		.amdhsa_system_sgpr_workgroup_info 0
		.amdhsa_system_vgpr_workitem_id 0
		.amdhsa_next_free_vgpr 1
		.amdhsa_next_free_sgpr 0
		.amdhsa_accum_offset 4
		.amdhsa_reserve_vcc 0
		.amdhsa_float_round_mode_32 0
		.amdhsa_float_round_mode_16_64 0
		.amdhsa_float_denorm_mode_32 3
		.amdhsa_float_denorm_mode_16_64 3
		.amdhsa_dx10_clamp 1
		.amdhsa_ieee_mode 1
		.amdhsa_fp16_overflow 0
		.amdhsa_tg_split 0
		.amdhsa_exception_fp_ieee_invalid_op 0
		.amdhsa_exception_fp_denorm_src 0
		.amdhsa_exception_fp_ieee_div_zero 0
		.amdhsa_exception_fp_ieee_overflow 0
		.amdhsa_exception_fp_ieee_underflow 0
		.amdhsa_exception_fp_ieee_inexact 0
		.amdhsa_exception_int_div_zero 0
	.end_amdhsa_kernel
	.section	.text._ZN7rocprim17ROCPRIM_400000_NS6detail17trampoline_kernelINS0_14default_configENS1_25partition_config_selectorILNS1_17partition_subalgoE8ElNS0_10empty_typeEbEEZZNS1_14partition_implILS5_8ELb0ES3_jPlPS6_PKS6_NS0_5tupleIJS9_S6_EEENSD_IJSA_SA_EEENS0_18inequality_wrapperIZN2at6native12_GLOBAL__N_124unique_dim_cuda_templateIiEESt5tupleIJNSH_6TensorESM_SM_EERKSM_lbbbEUlllE0_EEPmJS6_EEE10hipError_tPvRmT3_T4_T5_T6_T7_T9_mT8_P12ihipStream_tbDpT10_ENKUlT_T0_E_clISt17integral_constantIbLb0EES1C_EEDaS17_S18_EUlS17_E_NS1_11comp_targetILNS1_3genE10ELNS1_11target_archE1200ELNS1_3gpuE4ELNS1_3repE0EEENS1_30default_config_static_selectorELNS0_4arch9wavefront6targetE1EEEvT1_,"axG",@progbits,_ZN7rocprim17ROCPRIM_400000_NS6detail17trampoline_kernelINS0_14default_configENS1_25partition_config_selectorILNS1_17partition_subalgoE8ElNS0_10empty_typeEbEEZZNS1_14partition_implILS5_8ELb0ES3_jPlPS6_PKS6_NS0_5tupleIJS9_S6_EEENSD_IJSA_SA_EEENS0_18inequality_wrapperIZN2at6native12_GLOBAL__N_124unique_dim_cuda_templateIiEESt5tupleIJNSH_6TensorESM_SM_EERKSM_lbbbEUlllE0_EEPmJS6_EEE10hipError_tPvRmT3_T4_T5_T6_T7_T9_mT8_P12ihipStream_tbDpT10_ENKUlT_T0_E_clISt17integral_constantIbLb0EES1C_EEDaS17_S18_EUlS17_E_NS1_11comp_targetILNS1_3genE10ELNS1_11target_archE1200ELNS1_3gpuE4ELNS1_3repE0EEENS1_30default_config_static_selectorELNS0_4arch9wavefront6targetE1EEEvT1_,comdat
.Lfunc_end449:
	.size	_ZN7rocprim17ROCPRIM_400000_NS6detail17trampoline_kernelINS0_14default_configENS1_25partition_config_selectorILNS1_17partition_subalgoE8ElNS0_10empty_typeEbEEZZNS1_14partition_implILS5_8ELb0ES3_jPlPS6_PKS6_NS0_5tupleIJS9_S6_EEENSD_IJSA_SA_EEENS0_18inequality_wrapperIZN2at6native12_GLOBAL__N_124unique_dim_cuda_templateIiEESt5tupleIJNSH_6TensorESM_SM_EERKSM_lbbbEUlllE0_EEPmJS6_EEE10hipError_tPvRmT3_T4_T5_T6_T7_T9_mT8_P12ihipStream_tbDpT10_ENKUlT_T0_E_clISt17integral_constantIbLb0EES1C_EEDaS17_S18_EUlS17_E_NS1_11comp_targetILNS1_3genE10ELNS1_11target_archE1200ELNS1_3gpuE4ELNS1_3repE0EEENS1_30default_config_static_selectorELNS0_4arch9wavefront6targetE1EEEvT1_, .Lfunc_end449-_ZN7rocprim17ROCPRIM_400000_NS6detail17trampoline_kernelINS0_14default_configENS1_25partition_config_selectorILNS1_17partition_subalgoE8ElNS0_10empty_typeEbEEZZNS1_14partition_implILS5_8ELb0ES3_jPlPS6_PKS6_NS0_5tupleIJS9_S6_EEENSD_IJSA_SA_EEENS0_18inequality_wrapperIZN2at6native12_GLOBAL__N_124unique_dim_cuda_templateIiEESt5tupleIJNSH_6TensorESM_SM_EERKSM_lbbbEUlllE0_EEPmJS6_EEE10hipError_tPvRmT3_T4_T5_T6_T7_T9_mT8_P12ihipStream_tbDpT10_ENKUlT_T0_E_clISt17integral_constantIbLb0EES1C_EEDaS17_S18_EUlS17_E_NS1_11comp_targetILNS1_3genE10ELNS1_11target_archE1200ELNS1_3gpuE4ELNS1_3repE0EEENS1_30default_config_static_selectorELNS0_4arch9wavefront6targetE1EEEvT1_
                                        ; -- End function
	.section	.AMDGPU.csdata,"",@progbits
; Kernel info:
; codeLenInByte = 0
; NumSgprs: 6
; NumVgprs: 0
; NumAgprs: 0
; TotalNumVgprs: 0
; ScratchSize: 0
; MemoryBound: 0
; FloatMode: 240
; IeeeMode: 1
; LDSByteSize: 0 bytes/workgroup (compile time only)
; SGPRBlocks: 0
; VGPRBlocks: 0
; NumSGPRsForWavesPerEU: 6
; NumVGPRsForWavesPerEU: 1
; AccumOffset: 4
; Occupancy: 8
; WaveLimiterHint : 0
; COMPUTE_PGM_RSRC2:SCRATCH_EN: 0
; COMPUTE_PGM_RSRC2:USER_SGPR: 2
; COMPUTE_PGM_RSRC2:TRAP_HANDLER: 0
; COMPUTE_PGM_RSRC2:TGID_X_EN: 1
; COMPUTE_PGM_RSRC2:TGID_Y_EN: 0
; COMPUTE_PGM_RSRC2:TGID_Z_EN: 0
; COMPUTE_PGM_RSRC2:TIDIG_COMP_CNT: 0
; COMPUTE_PGM_RSRC3_GFX90A:ACCUM_OFFSET: 0
; COMPUTE_PGM_RSRC3_GFX90A:TG_SPLIT: 0
	.section	.text._ZN7rocprim17ROCPRIM_400000_NS6detail17trampoline_kernelINS0_14default_configENS1_25partition_config_selectorILNS1_17partition_subalgoE8ElNS0_10empty_typeEbEEZZNS1_14partition_implILS5_8ELb0ES3_jPlPS6_PKS6_NS0_5tupleIJS9_S6_EEENSD_IJSA_SA_EEENS0_18inequality_wrapperIZN2at6native12_GLOBAL__N_124unique_dim_cuda_templateIiEESt5tupleIJNSH_6TensorESM_SM_EERKSM_lbbbEUlllE0_EEPmJS6_EEE10hipError_tPvRmT3_T4_T5_T6_T7_T9_mT8_P12ihipStream_tbDpT10_ENKUlT_T0_E_clISt17integral_constantIbLb0EES1C_EEDaS17_S18_EUlS17_E_NS1_11comp_targetILNS1_3genE9ELNS1_11target_archE1100ELNS1_3gpuE3ELNS1_3repE0EEENS1_30default_config_static_selectorELNS0_4arch9wavefront6targetE1EEEvT1_,"axG",@progbits,_ZN7rocprim17ROCPRIM_400000_NS6detail17trampoline_kernelINS0_14default_configENS1_25partition_config_selectorILNS1_17partition_subalgoE8ElNS0_10empty_typeEbEEZZNS1_14partition_implILS5_8ELb0ES3_jPlPS6_PKS6_NS0_5tupleIJS9_S6_EEENSD_IJSA_SA_EEENS0_18inequality_wrapperIZN2at6native12_GLOBAL__N_124unique_dim_cuda_templateIiEESt5tupleIJNSH_6TensorESM_SM_EERKSM_lbbbEUlllE0_EEPmJS6_EEE10hipError_tPvRmT3_T4_T5_T6_T7_T9_mT8_P12ihipStream_tbDpT10_ENKUlT_T0_E_clISt17integral_constantIbLb0EES1C_EEDaS17_S18_EUlS17_E_NS1_11comp_targetILNS1_3genE9ELNS1_11target_archE1100ELNS1_3gpuE3ELNS1_3repE0EEENS1_30default_config_static_selectorELNS0_4arch9wavefront6targetE1EEEvT1_,comdat
	.globl	_ZN7rocprim17ROCPRIM_400000_NS6detail17trampoline_kernelINS0_14default_configENS1_25partition_config_selectorILNS1_17partition_subalgoE8ElNS0_10empty_typeEbEEZZNS1_14partition_implILS5_8ELb0ES3_jPlPS6_PKS6_NS0_5tupleIJS9_S6_EEENSD_IJSA_SA_EEENS0_18inequality_wrapperIZN2at6native12_GLOBAL__N_124unique_dim_cuda_templateIiEESt5tupleIJNSH_6TensorESM_SM_EERKSM_lbbbEUlllE0_EEPmJS6_EEE10hipError_tPvRmT3_T4_T5_T6_T7_T9_mT8_P12ihipStream_tbDpT10_ENKUlT_T0_E_clISt17integral_constantIbLb0EES1C_EEDaS17_S18_EUlS17_E_NS1_11comp_targetILNS1_3genE9ELNS1_11target_archE1100ELNS1_3gpuE3ELNS1_3repE0EEENS1_30default_config_static_selectorELNS0_4arch9wavefront6targetE1EEEvT1_ ; -- Begin function _ZN7rocprim17ROCPRIM_400000_NS6detail17trampoline_kernelINS0_14default_configENS1_25partition_config_selectorILNS1_17partition_subalgoE8ElNS0_10empty_typeEbEEZZNS1_14partition_implILS5_8ELb0ES3_jPlPS6_PKS6_NS0_5tupleIJS9_S6_EEENSD_IJSA_SA_EEENS0_18inequality_wrapperIZN2at6native12_GLOBAL__N_124unique_dim_cuda_templateIiEESt5tupleIJNSH_6TensorESM_SM_EERKSM_lbbbEUlllE0_EEPmJS6_EEE10hipError_tPvRmT3_T4_T5_T6_T7_T9_mT8_P12ihipStream_tbDpT10_ENKUlT_T0_E_clISt17integral_constantIbLb0EES1C_EEDaS17_S18_EUlS17_E_NS1_11comp_targetILNS1_3genE9ELNS1_11target_archE1100ELNS1_3gpuE3ELNS1_3repE0EEENS1_30default_config_static_selectorELNS0_4arch9wavefront6targetE1EEEvT1_
	.p2align	8
	.type	_ZN7rocprim17ROCPRIM_400000_NS6detail17trampoline_kernelINS0_14default_configENS1_25partition_config_selectorILNS1_17partition_subalgoE8ElNS0_10empty_typeEbEEZZNS1_14partition_implILS5_8ELb0ES3_jPlPS6_PKS6_NS0_5tupleIJS9_S6_EEENSD_IJSA_SA_EEENS0_18inequality_wrapperIZN2at6native12_GLOBAL__N_124unique_dim_cuda_templateIiEESt5tupleIJNSH_6TensorESM_SM_EERKSM_lbbbEUlllE0_EEPmJS6_EEE10hipError_tPvRmT3_T4_T5_T6_T7_T9_mT8_P12ihipStream_tbDpT10_ENKUlT_T0_E_clISt17integral_constantIbLb0EES1C_EEDaS17_S18_EUlS17_E_NS1_11comp_targetILNS1_3genE9ELNS1_11target_archE1100ELNS1_3gpuE3ELNS1_3repE0EEENS1_30default_config_static_selectorELNS0_4arch9wavefront6targetE1EEEvT1_,@function
_ZN7rocprim17ROCPRIM_400000_NS6detail17trampoline_kernelINS0_14default_configENS1_25partition_config_selectorILNS1_17partition_subalgoE8ElNS0_10empty_typeEbEEZZNS1_14partition_implILS5_8ELb0ES3_jPlPS6_PKS6_NS0_5tupleIJS9_S6_EEENSD_IJSA_SA_EEENS0_18inequality_wrapperIZN2at6native12_GLOBAL__N_124unique_dim_cuda_templateIiEESt5tupleIJNSH_6TensorESM_SM_EERKSM_lbbbEUlllE0_EEPmJS6_EEE10hipError_tPvRmT3_T4_T5_T6_T7_T9_mT8_P12ihipStream_tbDpT10_ENKUlT_T0_E_clISt17integral_constantIbLb0EES1C_EEDaS17_S18_EUlS17_E_NS1_11comp_targetILNS1_3genE9ELNS1_11target_archE1100ELNS1_3gpuE3ELNS1_3repE0EEENS1_30default_config_static_selectorELNS0_4arch9wavefront6targetE1EEEvT1_: ; @_ZN7rocprim17ROCPRIM_400000_NS6detail17trampoline_kernelINS0_14default_configENS1_25partition_config_selectorILNS1_17partition_subalgoE8ElNS0_10empty_typeEbEEZZNS1_14partition_implILS5_8ELb0ES3_jPlPS6_PKS6_NS0_5tupleIJS9_S6_EEENSD_IJSA_SA_EEENS0_18inequality_wrapperIZN2at6native12_GLOBAL__N_124unique_dim_cuda_templateIiEESt5tupleIJNSH_6TensorESM_SM_EERKSM_lbbbEUlllE0_EEPmJS6_EEE10hipError_tPvRmT3_T4_T5_T6_T7_T9_mT8_P12ihipStream_tbDpT10_ENKUlT_T0_E_clISt17integral_constantIbLb0EES1C_EEDaS17_S18_EUlS17_E_NS1_11comp_targetILNS1_3genE9ELNS1_11target_archE1100ELNS1_3gpuE3ELNS1_3repE0EEENS1_30default_config_static_selectorELNS0_4arch9wavefront6targetE1EEEvT1_
; %bb.0:
	.section	.rodata,"a",@progbits
	.p2align	6, 0x0
	.amdhsa_kernel _ZN7rocprim17ROCPRIM_400000_NS6detail17trampoline_kernelINS0_14default_configENS1_25partition_config_selectorILNS1_17partition_subalgoE8ElNS0_10empty_typeEbEEZZNS1_14partition_implILS5_8ELb0ES3_jPlPS6_PKS6_NS0_5tupleIJS9_S6_EEENSD_IJSA_SA_EEENS0_18inequality_wrapperIZN2at6native12_GLOBAL__N_124unique_dim_cuda_templateIiEESt5tupleIJNSH_6TensorESM_SM_EERKSM_lbbbEUlllE0_EEPmJS6_EEE10hipError_tPvRmT3_T4_T5_T6_T7_T9_mT8_P12ihipStream_tbDpT10_ENKUlT_T0_E_clISt17integral_constantIbLb0EES1C_EEDaS17_S18_EUlS17_E_NS1_11comp_targetILNS1_3genE9ELNS1_11target_archE1100ELNS1_3gpuE3ELNS1_3repE0EEENS1_30default_config_static_selectorELNS0_4arch9wavefront6targetE1EEEvT1_
		.amdhsa_group_segment_fixed_size 0
		.amdhsa_private_segment_fixed_size 0
		.amdhsa_kernarg_size 120
		.amdhsa_user_sgpr_count 2
		.amdhsa_user_sgpr_dispatch_ptr 0
		.amdhsa_user_sgpr_queue_ptr 0
		.amdhsa_user_sgpr_kernarg_segment_ptr 1
		.amdhsa_user_sgpr_dispatch_id 0
		.amdhsa_user_sgpr_kernarg_preload_length 0
		.amdhsa_user_sgpr_kernarg_preload_offset 0
		.amdhsa_user_sgpr_private_segment_size 0
		.amdhsa_uses_dynamic_stack 0
		.amdhsa_enable_private_segment 0
		.amdhsa_system_sgpr_workgroup_id_x 1
		.amdhsa_system_sgpr_workgroup_id_y 0
		.amdhsa_system_sgpr_workgroup_id_z 0
		.amdhsa_system_sgpr_workgroup_info 0
		.amdhsa_system_vgpr_workitem_id 0
		.amdhsa_next_free_vgpr 1
		.amdhsa_next_free_sgpr 0
		.amdhsa_accum_offset 4
		.amdhsa_reserve_vcc 0
		.amdhsa_float_round_mode_32 0
		.amdhsa_float_round_mode_16_64 0
		.amdhsa_float_denorm_mode_32 3
		.amdhsa_float_denorm_mode_16_64 3
		.amdhsa_dx10_clamp 1
		.amdhsa_ieee_mode 1
		.amdhsa_fp16_overflow 0
		.amdhsa_tg_split 0
		.amdhsa_exception_fp_ieee_invalid_op 0
		.amdhsa_exception_fp_denorm_src 0
		.amdhsa_exception_fp_ieee_div_zero 0
		.amdhsa_exception_fp_ieee_overflow 0
		.amdhsa_exception_fp_ieee_underflow 0
		.amdhsa_exception_fp_ieee_inexact 0
		.amdhsa_exception_int_div_zero 0
	.end_amdhsa_kernel
	.section	.text._ZN7rocprim17ROCPRIM_400000_NS6detail17trampoline_kernelINS0_14default_configENS1_25partition_config_selectorILNS1_17partition_subalgoE8ElNS0_10empty_typeEbEEZZNS1_14partition_implILS5_8ELb0ES3_jPlPS6_PKS6_NS0_5tupleIJS9_S6_EEENSD_IJSA_SA_EEENS0_18inequality_wrapperIZN2at6native12_GLOBAL__N_124unique_dim_cuda_templateIiEESt5tupleIJNSH_6TensorESM_SM_EERKSM_lbbbEUlllE0_EEPmJS6_EEE10hipError_tPvRmT3_T4_T5_T6_T7_T9_mT8_P12ihipStream_tbDpT10_ENKUlT_T0_E_clISt17integral_constantIbLb0EES1C_EEDaS17_S18_EUlS17_E_NS1_11comp_targetILNS1_3genE9ELNS1_11target_archE1100ELNS1_3gpuE3ELNS1_3repE0EEENS1_30default_config_static_selectorELNS0_4arch9wavefront6targetE1EEEvT1_,"axG",@progbits,_ZN7rocprim17ROCPRIM_400000_NS6detail17trampoline_kernelINS0_14default_configENS1_25partition_config_selectorILNS1_17partition_subalgoE8ElNS0_10empty_typeEbEEZZNS1_14partition_implILS5_8ELb0ES3_jPlPS6_PKS6_NS0_5tupleIJS9_S6_EEENSD_IJSA_SA_EEENS0_18inequality_wrapperIZN2at6native12_GLOBAL__N_124unique_dim_cuda_templateIiEESt5tupleIJNSH_6TensorESM_SM_EERKSM_lbbbEUlllE0_EEPmJS6_EEE10hipError_tPvRmT3_T4_T5_T6_T7_T9_mT8_P12ihipStream_tbDpT10_ENKUlT_T0_E_clISt17integral_constantIbLb0EES1C_EEDaS17_S18_EUlS17_E_NS1_11comp_targetILNS1_3genE9ELNS1_11target_archE1100ELNS1_3gpuE3ELNS1_3repE0EEENS1_30default_config_static_selectorELNS0_4arch9wavefront6targetE1EEEvT1_,comdat
.Lfunc_end450:
	.size	_ZN7rocprim17ROCPRIM_400000_NS6detail17trampoline_kernelINS0_14default_configENS1_25partition_config_selectorILNS1_17partition_subalgoE8ElNS0_10empty_typeEbEEZZNS1_14partition_implILS5_8ELb0ES3_jPlPS6_PKS6_NS0_5tupleIJS9_S6_EEENSD_IJSA_SA_EEENS0_18inequality_wrapperIZN2at6native12_GLOBAL__N_124unique_dim_cuda_templateIiEESt5tupleIJNSH_6TensorESM_SM_EERKSM_lbbbEUlllE0_EEPmJS6_EEE10hipError_tPvRmT3_T4_T5_T6_T7_T9_mT8_P12ihipStream_tbDpT10_ENKUlT_T0_E_clISt17integral_constantIbLb0EES1C_EEDaS17_S18_EUlS17_E_NS1_11comp_targetILNS1_3genE9ELNS1_11target_archE1100ELNS1_3gpuE3ELNS1_3repE0EEENS1_30default_config_static_selectorELNS0_4arch9wavefront6targetE1EEEvT1_, .Lfunc_end450-_ZN7rocprim17ROCPRIM_400000_NS6detail17trampoline_kernelINS0_14default_configENS1_25partition_config_selectorILNS1_17partition_subalgoE8ElNS0_10empty_typeEbEEZZNS1_14partition_implILS5_8ELb0ES3_jPlPS6_PKS6_NS0_5tupleIJS9_S6_EEENSD_IJSA_SA_EEENS0_18inequality_wrapperIZN2at6native12_GLOBAL__N_124unique_dim_cuda_templateIiEESt5tupleIJNSH_6TensorESM_SM_EERKSM_lbbbEUlllE0_EEPmJS6_EEE10hipError_tPvRmT3_T4_T5_T6_T7_T9_mT8_P12ihipStream_tbDpT10_ENKUlT_T0_E_clISt17integral_constantIbLb0EES1C_EEDaS17_S18_EUlS17_E_NS1_11comp_targetILNS1_3genE9ELNS1_11target_archE1100ELNS1_3gpuE3ELNS1_3repE0EEENS1_30default_config_static_selectorELNS0_4arch9wavefront6targetE1EEEvT1_
                                        ; -- End function
	.section	.AMDGPU.csdata,"",@progbits
; Kernel info:
; codeLenInByte = 0
; NumSgprs: 6
; NumVgprs: 0
; NumAgprs: 0
; TotalNumVgprs: 0
; ScratchSize: 0
; MemoryBound: 0
; FloatMode: 240
; IeeeMode: 1
; LDSByteSize: 0 bytes/workgroup (compile time only)
; SGPRBlocks: 0
; VGPRBlocks: 0
; NumSGPRsForWavesPerEU: 6
; NumVGPRsForWavesPerEU: 1
; AccumOffset: 4
; Occupancy: 8
; WaveLimiterHint : 0
; COMPUTE_PGM_RSRC2:SCRATCH_EN: 0
; COMPUTE_PGM_RSRC2:USER_SGPR: 2
; COMPUTE_PGM_RSRC2:TRAP_HANDLER: 0
; COMPUTE_PGM_RSRC2:TGID_X_EN: 1
; COMPUTE_PGM_RSRC2:TGID_Y_EN: 0
; COMPUTE_PGM_RSRC2:TGID_Z_EN: 0
; COMPUTE_PGM_RSRC2:TIDIG_COMP_CNT: 0
; COMPUTE_PGM_RSRC3_GFX90A:ACCUM_OFFSET: 0
; COMPUTE_PGM_RSRC3_GFX90A:TG_SPLIT: 0
	.section	.text._ZN7rocprim17ROCPRIM_400000_NS6detail17trampoline_kernelINS0_14default_configENS1_25partition_config_selectorILNS1_17partition_subalgoE8ElNS0_10empty_typeEbEEZZNS1_14partition_implILS5_8ELb0ES3_jPlPS6_PKS6_NS0_5tupleIJS9_S6_EEENSD_IJSA_SA_EEENS0_18inequality_wrapperIZN2at6native12_GLOBAL__N_124unique_dim_cuda_templateIiEESt5tupleIJNSH_6TensorESM_SM_EERKSM_lbbbEUlllE0_EEPmJS6_EEE10hipError_tPvRmT3_T4_T5_T6_T7_T9_mT8_P12ihipStream_tbDpT10_ENKUlT_T0_E_clISt17integral_constantIbLb0EES1C_EEDaS17_S18_EUlS17_E_NS1_11comp_targetILNS1_3genE8ELNS1_11target_archE1030ELNS1_3gpuE2ELNS1_3repE0EEENS1_30default_config_static_selectorELNS0_4arch9wavefront6targetE1EEEvT1_,"axG",@progbits,_ZN7rocprim17ROCPRIM_400000_NS6detail17trampoline_kernelINS0_14default_configENS1_25partition_config_selectorILNS1_17partition_subalgoE8ElNS0_10empty_typeEbEEZZNS1_14partition_implILS5_8ELb0ES3_jPlPS6_PKS6_NS0_5tupleIJS9_S6_EEENSD_IJSA_SA_EEENS0_18inequality_wrapperIZN2at6native12_GLOBAL__N_124unique_dim_cuda_templateIiEESt5tupleIJNSH_6TensorESM_SM_EERKSM_lbbbEUlllE0_EEPmJS6_EEE10hipError_tPvRmT3_T4_T5_T6_T7_T9_mT8_P12ihipStream_tbDpT10_ENKUlT_T0_E_clISt17integral_constantIbLb0EES1C_EEDaS17_S18_EUlS17_E_NS1_11comp_targetILNS1_3genE8ELNS1_11target_archE1030ELNS1_3gpuE2ELNS1_3repE0EEENS1_30default_config_static_selectorELNS0_4arch9wavefront6targetE1EEEvT1_,comdat
	.globl	_ZN7rocprim17ROCPRIM_400000_NS6detail17trampoline_kernelINS0_14default_configENS1_25partition_config_selectorILNS1_17partition_subalgoE8ElNS0_10empty_typeEbEEZZNS1_14partition_implILS5_8ELb0ES3_jPlPS6_PKS6_NS0_5tupleIJS9_S6_EEENSD_IJSA_SA_EEENS0_18inequality_wrapperIZN2at6native12_GLOBAL__N_124unique_dim_cuda_templateIiEESt5tupleIJNSH_6TensorESM_SM_EERKSM_lbbbEUlllE0_EEPmJS6_EEE10hipError_tPvRmT3_T4_T5_T6_T7_T9_mT8_P12ihipStream_tbDpT10_ENKUlT_T0_E_clISt17integral_constantIbLb0EES1C_EEDaS17_S18_EUlS17_E_NS1_11comp_targetILNS1_3genE8ELNS1_11target_archE1030ELNS1_3gpuE2ELNS1_3repE0EEENS1_30default_config_static_selectorELNS0_4arch9wavefront6targetE1EEEvT1_ ; -- Begin function _ZN7rocprim17ROCPRIM_400000_NS6detail17trampoline_kernelINS0_14default_configENS1_25partition_config_selectorILNS1_17partition_subalgoE8ElNS0_10empty_typeEbEEZZNS1_14partition_implILS5_8ELb0ES3_jPlPS6_PKS6_NS0_5tupleIJS9_S6_EEENSD_IJSA_SA_EEENS0_18inequality_wrapperIZN2at6native12_GLOBAL__N_124unique_dim_cuda_templateIiEESt5tupleIJNSH_6TensorESM_SM_EERKSM_lbbbEUlllE0_EEPmJS6_EEE10hipError_tPvRmT3_T4_T5_T6_T7_T9_mT8_P12ihipStream_tbDpT10_ENKUlT_T0_E_clISt17integral_constantIbLb0EES1C_EEDaS17_S18_EUlS17_E_NS1_11comp_targetILNS1_3genE8ELNS1_11target_archE1030ELNS1_3gpuE2ELNS1_3repE0EEENS1_30default_config_static_selectorELNS0_4arch9wavefront6targetE1EEEvT1_
	.p2align	8
	.type	_ZN7rocprim17ROCPRIM_400000_NS6detail17trampoline_kernelINS0_14default_configENS1_25partition_config_selectorILNS1_17partition_subalgoE8ElNS0_10empty_typeEbEEZZNS1_14partition_implILS5_8ELb0ES3_jPlPS6_PKS6_NS0_5tupleIJS9_S6_EEENSD_IJSA_SA_EEENS0_18inequality_wrapperIZN2at6native12_GLOBAL__N_124unique_dim_cuda_templateIiEESt5tupleIJNSH_6TensorESM_SM_EERKSM_lbbbEUlllE0_EEPmJS6_EEE10hipError_tPvRmT3_T4_T5_T6_T7_T9_mT8_P12ihipStream_tbDpT10_ENKUlT_T0_E_clISt17integral_constantIbLb0EES1C_EEDaS17_S18_EUlS17_E_NS1_11comp_targetILNS1_3genE8ELNS1_11target_archE1030ELNS1_3gpuE2ELNS1_3repE0EEENS1_30default_config_static_selectorELNS0_4arch9wavefront6targetE1EEEvT1_,@function
_ZN7rocprim17ROCPRIM_400000_NS6detail17trampoline_kernelINS0_14default_configENS1_25partition_config_selectorILNS1_17partition_subalgoE8ElNS0_10empty_typeEbEEZZNS1_14partition_implILS5_8ELb0ES3_jPlPS6_PKS6_NS0_5tupleIJS9_S6_EEENSD_IJSA_SA_EEENS0_18inequality_wrapperIZN2at6native12_GLOBAL__N_124unique_dim_cuda_templateIiEESt5tupleIJNSH_6TensorESM_SM_EERKSM_lbbbEUlllE0_EEPmJS6_EEE10hipError_tPvRmT3_T4_T5_T6_T7_T9_mT8_P12ihipStream_tbDpT10_ENKUlT_T0_E_clISt17integral_constantIbLb0EES1C_EEDaS17_S18_EUlS17_E_NS1_11comp_targetILNS1_3genE8ELNS1_11target_archE1030ELNS1_3gpuE2ELNS1_3repE0EEENS1_30default_config_static_selectorELNS0_4arch9wavefront6targetE1EEEvT1_: ; @_ZN7rocprim17ROCPRIM_400000_NS6detail17trampoline_kernelINS0_14default_configENS1_25partition_config_selectorILNS1_17partition_subalgoE8ElNS0_10empty_typeEbEEZZNS1_14partition_implILS5_8ELb0ES3_jPlPS6_PKS6_NS0_5tupleIJS9_S6_EEENSD_IJSA_SA_EEENS0_18inequality_wrapperIZN2at6native12_GLOBAL__N_124unique_dim_cuda_templateIiEESt5tupleIJNSH_6TensorESM_SM_EERKSM_lbbbEUlllE0_EEPmJS6_EEE10hipError_tPvRmT3_T4_T5_T6_T7_T9_mT8_P12ihipStream_tbDpT10_ENKUlT_T0_E_clISt17integral_constantIbLb0EES1C_EEDaS17_S18_EUlS17_E_NS1_11comp_targetILNS1_3genE8ELNS1_11target_archE1030ELNS1_3gpuE2ELNS1_3repE0EEENS1_30default_config_static_selectorELNS0_4arch9wavefront6targetE1EEEvT1_
; %bb.0:
	.section	.rodata,"a",@progbits
	.p2align	6, 0x0
	.amdhsa_kernel _ZN7rocprim17ROCPRIM_400000_NS6detail17trampoline_kernelINS0_14default_configENS1_25partition_config_selectorILNS1_17partition_subalgoE8ElNS0_10empty_typeEbEEZZNS1_14partition_implILS5_8ELb0ES3_jPlPS6_PKS6_NS0_5tupleIJS9_S6_EEENSD_IJSA_SA_EEENS0_18inequality_wrapperIZN2at6native12_GLOBAL__N_124unique_dim_cuda_templateIiEESt5tupleIJNSH_6TensorESM_SM_EERKSM_lbbbEUlllE0_EEPmJS6_EEE10hipError_tPvRmT3_T4_T5_T6_T7_T9_mT8_P12ihipStream_tbDpT10_ENKUlT_T0_E_clISt17integral_constantIbLb0EES1C_EEDaS17_S18_EUlS17_E_NS1_11comp_targetILNS1_3genE8ELNS1_11target_archE1030ELNS1_3gpuE2ELNS1_3repE0EEENS1_30default_config_static_selectorELNS0_4arch9wavefront6targetE1EEEvT1_
		.amdhsa_group_segment_fixed_size 0
		.amdhsa_private_segment_fixed_size 0
		.amdhsa_kernarg_size 120
		.amdhsa_user_sgpr_count 2
		.amdhsa_user_sgpr_dispatch_ptr 0
		.amdhsa_user_sgpr_queue_ptr 0
		.amdhsa_user_sgpr_kernarg_segment_ptr 1
		.amdhsa_user_sgpr_dispatch_id 0
		.amdhsa_user_sgpr_kernarg_preload_length 0
		.amdhsa_user_sgpr_kernarg_preload_offset 0
		.amdhsa_user_sgpr_private_segment_size 0
		.amdhsa_uses_dynamic_stack 0
		.amdhsa_enable_private_segment 0
		.amdhsa_system_sgpr_workgroup_id_x 1
		.amdhsa_system_sgpr_workgroup_id_y 0
		.amdhsa_system_sgpr_workgroup_id_z 0
		.amdhsa_system_sgpr_workgroup_info 0
		.amdhsa_system_vgpr_workitem_id 0
		.amdhsa_next_free_vgpr 1
		.amdhsa_next_free_sgpr 0
		.amdhsa_accum_offset 4
		.amdhsa_reserve_vcc 0
		.amdhsa_float_round_mode_32 0
		.amdhsa_float_round_mode_16_64 0
		.amdhsa_float_denorm_mode_32 3
		.amdhsa_float_denorm_mode_16_64 3
		.amdhsa_dx10_clamp 1
		.amdhsa_ieee_mode 1
		.amdhsa_fp16_overflow 0
		.amdhsa_tg_split 0
		.amdhsa_exception_fp_ieee_invalid_op 0
		.amdhsa_exception_fp_denorm_src 0
		.amdhsa_exception_fp_ieee_div_zero 0
		.amdhsa_exception_fp_ieee_overflow 0
		.amdhsa_exception_fp_ieee_underflow 0
		.amdhsa_exception_fp_ieee_inexact 0
		.amdhsa_exception_int_div_zero 0
	.end_amdhsa_kernel
	.section	.text._ZN7rocprim17ROCPRIM_400000_NS6detail17trampoline_kernelINS0_14default_configENS1_25partition_config_selectorILNS1_17partition_subalgoE8ElNS0_10empty_typeEbEEZZNS1_14partition_implILS5_8ELb0ES3_jPlPS6_PKS6_NS0_5tupleIJS9_S6_EEENSD_IJSA_SA_EEENS0_18inequality_wrapperIZN2at6native12_GLOBAL__N_124unique_dim_cuda_templateIiEESt5tupleIJNSH_6TensorESM_SM_EERKSM_lbbbEUlllE0_EEPmJS6_EEE10hipError_tPvRmT3_T4_T5_T6_T7_T9_mT8_P12ihipStream_tbDpT10_ENKUlT_T0_E_clISt17integral_constantIbLb0EES1C_EEDaS17_S18_EUlS17_E_NS1_11comp_targetILNS1_3genE8ELNS1_11target_archE1030ELNS1_3gpuE2ELNS1_3repE0EEENS1_30default_config_static_selectorELNS0_4arch9wavefront6targetE1EEEvT1_,"axG",@progbits,_ZN7rocprim17ROCPRIM_400000_NS6detail17trampoline_kernelINS0_14default_configENS1_25partition_config_selectorILNS1_17partition_subalgoE8ElNS0_10empty_typeEbEEZZNS1_14partition_implILS5_8ELb0ES3_jPlPS6_PKS6_NS0_5tupleIJS9_S6_EEENSD_IJSA_SA_EEENS0_18inequality_wrapperIZN2at6native12_GLOBAL__N_124unique_dim_cuda_templateIiEESt5tupleIJNSH_6TensorESM_SM_EERKSM_lbbbEUlllE0_EEPmJS6_EEE10hipError_tPvRmT3_T4_T5_T6_T7_T9_mT8_P12ihipStream_tbDpT10_ENKUlT_T0_E_clISt17integral_constantIbLb0EES1C_EEDaS17_S18_EUlS17_E_NS1_11comp_targetILNS1_3genE8ELNS1_11target_archE1030ELNS1_3gpuE2ELNS1_3repE0EEENS1_30default_config_static_selectorELNS0_4arch9wavefront6targetE1EEEvT1_,comdat
.Lfunc_end451:
	.size	_ZN7rocprim17ROCPRIM_400000_NS6detail17trampoline_kernelINS0_14default_configENS1_25partition_config_selectorILNS1_17partition_subalgoE8ElNS0_10empty_typeEbEEZZNS1_14partition_implILS5_8ELb0ES3_jPlPS6_PKS6_NS0_5tupleIJS9_S6_EEENSD_IJSA_SA_EEENS0_18inequality_wrapperIZN2at6native12_GLOBAL__N_124unique_dim_cuda_templateIiEESt5tupleIJNSH_6TensorESM_SM_EERKSM_lbbbEUlllE0_EEPmJS6_EEE10hipError_tPvRmT3_T4_T5_T6_T7_T9_mT8_P12ihipStream_tbDpT10_ENKUlT_T0_E_clISt17integral_constantIbLb0EES1C_EEDaS17_S18_EUlS17_E_NS1_11comp_targetILNS1_3genE8ELNS1_11target_archE1030ELNS1_3gpuE2ELNS1_3repE0EEENS1_30default_config_static_selectorELNS0_4arch9wavefront6targetE1EEEvT1_, .Lfunc_end451-_ZN7rocprim17ROCPRIM_400000_NS6detail17trampoline_kernelINS0_14default_configENS1_25partition_config_selectorILNS1_17partition_subalgoE8ElNS0_10empty_typeEbEEZZNS1_14partition_implILS5_8ELb0ES3_jPlPS6_PKS6_NS0_5tupleIJS9_S6_EEENSD_IJSA_SA_EEENS0_18inequality_wrapperIZN2at6native12_GLOBAL__N_124unique_dim_cuda_templateIiEESt5tupleIJNSH_6TensorESM_SM_EERKSM_lbbbEUlllE0_EEPmJS6_EEE10hipError_tPvRmT3_T4_T5_T6_T7_T9_mT8_P12ihipStream_tbDpT10_ENKUlT_T0_E_clISt17integral_constantIbLb0EES1C_EEDaS17_S18_EUlS17_E_NS1_11comp_targetILNS1_3genE8ELNS1_11target_archE1030ELNS1_3gpuE2ELNS1_3repE0EEENS1_30default_config_static_selectorELNS0_4arch9wavefront6targetE1EEEvT1_
                                        ; -- End function
	.section	.AMDGPU.csdata,"",@progbits
; Kernel info:
; codeLenInByte = 0
; NumSgprs: 6
; NumVgprs: 0
; NumAgprs: 0
; TotalNumVgprs: 0
; ScratchSize: 0
; MemoryBound: 0
; FloatMode: 240
; IeeeMode: 1
; LDSByteSize: 0 bytes/workgroup (compile time only)
; SGPRBlocks: 0
; VGPRBlocks: 0
; NumSGPRsForWavesPerEU: 6
; NumVGPRsForWavesPerEU: 1
; AccumOffset: 4
; Occupancy: 8
; WaveLimiterHint : 0
; COMPUTE_PGM_RSRC2:SCRATCH_EN: 0
; COMPUTE_PGM_RSRC2:USER_SGPR: 2
; COMPUTE_PGM_RSRC2:TRAP_HANDLER: 0
; COMPUTE_PGM_RSRC2:TGID_X_EN: 1
; COMPUTE_PGM_RSRC2:TGID_Y_EN: 0
; COMPUTE_PGM_RSRC2:TGID_Z_EN: 0
; COMPUTE_PGM_RSRC2:TIDIG_COMP_CNT: 0
; COMPUTE_PGM_RSRC3_GFX90A:ACCUM_OFFSET: 0
; COMPUTE_PGM_RSRC3_GFX90A:TG_SPLIT: 0
	.section	.text._ZN7rocprim17ROCPRIM_400000_NS6detail17trampoline_kernelINS0_14default_configENS1_25partition_config_selectorILNS1_17partition_subalgoE8ElNS0_10empty_typeEbEEZZNS1_14partition_implILS5_8ELb0ES3_jPlPS6_PKS6_NS0_5tupleIJS9_S6_EEENSD_IJSA_SA_EEENS0_18inequality_wrapperIZN2at6native12_GLOBAL__N_124unique_dim_cuda_templateIiEESt5tupleIJNSH_6TensorESM_SM_EERKSM_lbbbEUlllE0_EEPmJS6_EEE10hipError_tPvRmT3_T4_T5_T6_T7_T9_mT8_P12ihipStream_tbDpT10_ENKUlT_T0_E_clISt17integral_constantIbLb1EES1C_EEDaS17_S18_EUlS17_E_NS1_11comp_targetILNS1_3genE0ELNS1_11target_archE4294967295ELNS1_3gpuE0ELNS1_3repE0EEENS1_30default_config_static_selectorELNS0_4arch9wavefront6targetE1EEEvT1_,"axG",@progbits,_ZN7rocprim17ROCPRIM_400000_NS6detail17trampoline_kernelINS0_14default_configENS1_25partition_config_selectorILNS1_17partition_subalgoE8ElNS0_10empty_typeEbEEZZNS1_14partition_implILS5_8ELb0ES3_jPlPS6_PKS6_NS0_5tupleIJS9_S6_EEENSD_IJSA_SA_EEENS0_18inequality_wrapperIZN2at6native12_GLOBAL__N_124unique_dim_cuda_templateIiEESt5tupleIJNSH_6TensorESM_SM_EERKSM_lbbbEUlllE0_EEPmJS6_EEE10hipError_tPvRmT3_T4_T5_T6_T7_T9_mT8_P12ihipStream_tbDpT10_ENKUlT_T0_E_clISt17integral_constantIbLb1EES1C_EEDaS17_S18_EUlS17_E_NS1_11comp_targetILNS1_3genE0ELNS1_11target_archE4294967295ELNS1_3gpuE0ELNS1_3repE0EEENS1_30default_config_static_selectorELNS0_4arch9wavefront6targetE1EEEvT1_,comdat
	.globl	_ZN7rocprim17ROCPRIM_400000_NS6detail17trampoline_kernelINS0_14default_configENS1_25partition_config_selectorILNS1_17partition_subalgoE8ElNS0_10empty_typeEbEEZZNS1_14partition_implILS5_8ELb0ES3_jPlPS6_PKS6_NS0_5tupleIJS9_S6_EEENSD_IJSA_SA_EEENS0_18inequality_wrapperIZN2at6native12_GLOBAL__N_124unique_dim_cuda_templateIiEESt5tupleIJNSH_6TensorESM_SM_EERKSM_lbbbEUlllE0_EEPmJS6_EEE10hipError_tPvRmT3_T4_T5_T6_T7_T9_mT8_P12ihipStream_tbDpT10_ENKUlT_T0_E_clISt17integral_constantIbLb1EES1C_EEDaS17_S18_EUlS17_E_NS1_11comp_targetILNS1_3genE0ELNS1_11target_archE4294967295ELNS1_3gpuE0ELNS1_3repE0EEENS1_30default_config_static_selectorELNS0_4arch9wavefront6targetE1EEEvT1_ ; -- Begin function _ZN7rocprim17ROCPRIM_400000_NS6detail17trampoline_kernelINS0_14default_configENS1_25partition_config_selectorILNS1_17partition_subalgoE8ElNS0_10empty_typeEbEEZZNS1_14partition_implILS5_8ELb0ES3_jPlPS6_PKS6_NS0_5tupleIJS9_S6_EEENSD_IJSA_SA_EEENS0_18inequality_wrapperIZN2at6native12_GLOBAL__N_124unique_dim_cuda_templateIiEESt5tupleIJNSH_6TensorESM_SM_EERKSM_lbbbEUlllE0_EEPmJS6_EEE10hipError_tPvRmT3_T4_T5_T6_T7_T9_mT8_P12ihipStream_tbDpT10_ENKUlT_T0_E_clISt17integral_constantIbLb1EES1C_EEDaS17_S18_EUlS17_E_NS1_11comp_targetILNS1_3genE0ELNS1_11target_archE4294967295ELNS1_3gpuE0ELNS1_3repE0EEENS1_30default_config_static_selectorELNS0_4arch9wavefront6targetE1EEEvT1_
	.p2align	8
	.type	_ZN7rocprim17ROCPRIM_400000_NS6detail17trampoline_kernelINS0_14default_configENS1_25partition_config_selectorILNS1_17partition_subalgoE8ElNS0_10empty_typeEbEEZZNS1_14partition_implILS5_8ELb0ES3_jPlPS6_PKS6_NS0_5tupleIJS9_S6_EEENSD_IJSA_SA_EEENS0_18inequality_wrapperIZN2at6native12_GLOBAL__N_124unique_dim_cuda_templateIiEESt5tupleIJNSH_6TensorESM_SM_EERKSM_lbbbEUlllE0_EEPmJS6_EEE10hipError_tPvRmT3_T4_T5_T6_T7_T9_mT8_P12ihipStream_tbDpT10_ENKUlT_T0_E_clISt17integral_constantIbLb1EES1C_EEDaS17_S18_EUlS17_E_NS1_11comp_targetILNS1_3genE0ELNS1_11target_archE4294967295ELNS1_3gpuE0ELNS1_3repE0EEENS1_30default_config_static_selectorELNS0_4arch9wavefront6targetE1EEEvT1_,@function
_ZN7rocprim17ROCPRIM_400000_NS6detail17trampoline_kernelINS0_14default_configENS1_25partition_config_selectorILNS1_17partition_subalgoE8ElNS0_10empty_typeEbEEZZNS1_14partition_implILS5_8ELb0ES3_jPlPS6_PKS6_NS0_5tupleIJS9_S6_EEENSD_IJSA_SA_EEENS0_18inequality_wrapperIZN2at6native12_GLOBAL__N_124unique_dim_cuda_templateIiEESt5tupleIJNSH_6TensorESM_SM_EERKSM_lbbbEUlllE0_EEPmJS6_EEE10hipError_tPvRmT3_T4_T5_T6_T7_T9_mT8_P12ihipStream_tbDpT10_ENKUlT_T0_E_clISt17integral_constantIbLb1EES1C_EEDaS17_S18_EUlS17_E_NS1_11comp_targetILNS1_3genE0ELNS1_11target_archE4294967295ELNS1_3gpuE0ELNS1_3repE0EEENS1_30default_config_static_selectorELNS0_4arch9wavefront6targetE1EEEvT1_: ; @_ZN7rocprim17ROCPRIM_400000_NS6detail17trampoline_kernelINS0_14default_configENS1_25partition_config_selectorILNS1_17partition_subalgoE8ElNS0_10empty_typeEbEEZZNS1_14partition_implILS5_8ELb0ES3_jPlPS6_PKS6_NS0_5tupleIJS9_S6_EEENSD_IJSA_SA_EEENS0_18inequality_wrapperIZN2at6native12_GLOBAL__N_124unique_dim_cuda_templateIiEESt5tupleIJNSH_6TensorESM_SM_EERKSM_lbbbEUlllE0_EEPmJS6_EEE10hipError_tPvRmT3_T4_T5_T6_T7_T9_mT8_P12ihipStream_tbDpT10_ENKUlT_T0_E_clISt17integral_constantIbLb1EES1C_EEDaS17_S18_EUlS17_E_NS1_11comp_targetILNS1_3genE0ELNS1_11target_archE4294967295ELNS1_3gpuE0ELNS1_3repE0EEENS1_30default_config_static_selectorELNS0_4arch9wavefront6targetE1EEEvT1_
; %bb.0:
	.section	.rodata,"a",@progbits
	.p2align	6, 0x0
	.amdhsa_kernel _ZN7rocprim17ROCPRIM_400000_NS6detail17trampoline_kernelINS0_14default_configENS1_25partition_config_selectorILNS1_17partition_subalgoE8ElNS0_10empty_typeEbEEZZNS1_14partition_implILS5_8ELb0ES3_jPlPS6_PKS6_NS0_5tupleIJS9_S6_EEENSD_IJSA_SA_EEENS0_18inequality_wrapperIZN2at6native12_GLOBAL__N_124unique_dim_cuda_templateIiEESt5tupleIJNSH_6TensorESM_SM_EERKSM_lbbbEUlllE0_EEPmJS6_EEE10hipError_tPvRmT3_T4_T5_T6_T7_T9_mT8_P12ihipStream_tbDpT10_ENKUlT_T0_E_clISt17integral_constantIbLb1EES1C_EEDaS17_S18_EUlS17_E_NS1_11comp_targetILNS1_3genE0ELNS1_11target_archE4294967295ELNS1_3gpuE0ELNS1_3repE0EEENS1_30default_config_static_selectorELNS0_4arch9wavefront6targetE1EEEvT1_
		.amdhsa_group_segment_fixed_size 0
		.amdhsa_private_segment_fixed_size 0
		.amdhsa_kernarg_size 136
		.amdhsa_user_sgpr_count 2
		.amdhsa_user_sgpr_dispatch_ptr 0
		.amdhsa_user_sgpr_queue_ptr 0
		.amdhsa_user_sgpr_kernarg_segment_ptr 1
		.amdhsa_user_sgpr_dispatch_id 0
		.amdhsa_user_sgpr_kernarg_preload_length 0
		.amdhsa_user_sgpr_kernarg_preload_offset 0
		.amdhsa_user_sgpr_private_segment_size 0
		.amdhsa_uses_dynamic_stack 0
		.amdhsa_enable_private_segment 0
		.amdhsa_system_sgpr_workgroup_id_x 1
		.amdhsa_system_sgpr_workgroup_id_y 0
		.amdhsa_system_sgpr_workgroup_id_z 0
		.amdhsa_system_sgpr_workgroup_info 0
		.amdhsa_system_vgpr_workitem_id 0
		.amdhsa_next_free_vgpr 1
		.amdhsa_next_free_sgpr 0
		.amdhsa_accum_offset 4
		.amdhsa_reserve_vcc 0
		.amdhsa_float_round_mode_32 0
		.amdhsa_float_round_mode_16_64 0
		.amdhsa_float_denorm_mode_32 3
		.amdhsa_float_denorm_mode_16_64 3
		.amdhsa_dx10_clamp 1
		.amdhsa_ieee_mode 1
		.amdhsa_fp16_overflow 0
		.amdhsa_tg_split 0
		.amdhsa_exception_fp_ieee_invalid_op 0
		.amdhsa_exception_fp_denorm_src 0
		.amdhsa_exception_fp_ieee_div_zero 0
		.amdhsa_exception_fp_ieee_overflow 0
		.amdhsa_exception_fp_ieee_underflow 0
		.amdhsa_exception_fp_ieee_inexact 0
		.amdhsa_exception_int_div_zero 0
	.end_amdhsa_kernel
	.section	.text._ZN7rocprim17ROCPRIM_400000_NS6detail17trampoline_kernelINS0_14default_configENS1_25partition_config_selectorILNS1_17partition_subalgoE8ElNS0_10empty_typeEbEEZZNS1_14partition_implILS5_8ELb0ES3_jPlPS6_PKS6_NS0_5tupleIJS9_S6_EEENSD_IJSA_SA_EEENS0_18inequality_wrapperIZN2at6native12_GLOBAL__N_124unique_dim_cuda_templateIiEESt5tupleIJNSH_6TensorESM_SM_EERKSM_lbbbEUlllE0_EEPmJS6_EEE10hipError_tPvRmT3_T4_T5_T6_T7_T9_mT8_P12ihipStream_tbDpT10_ENKUlT_T0_E_clISt17integral_constantIbLb1EES1C_EEDaS17_S18_EUlS17_E_NS1_11comp_targetILNS1_3genE0ELNS1_11target_archE4294967295ELNS1_3gpuE0ELNS1_3repE0EEENS1_30default_config_static_selectorELNS0_4arch9wavefront6targetE1EEEvT1_,"axG",@progbits,_ZN7rocprim17ROCPRIM_400000_NS6detail17trampoline_kernelINS0_14default_configENS1_25partition_config_selectorILNS1_17partition_subalgoE8ElNS0_10empty_typeEbEEZZNS1_14partition_implILS5_8ELb0ES3_jPlPS6_PKS6_NS0_5tupleIJS9_S6_EEENSD_IJSA_SA_EEENS0_18inequality_wrapperIZN2at6native12_GLOBAL__N_124unique_dim_cuda_templateIiEESt5tupleIJNSH_6TensorESM_SM_EERKSM_lbbbEUlllE0_EEPmJS6_EEE10hipError_tPvRmT3_T4_T5_T6_T7_T9_mT8_P12ihipStream_tbDpT10_ENKUlT_T0_E_clISt17integral_constantIbLb1EES1C_EEDaS17_S18_EUlS17_E_NS1_11comp_targetILNS1_3genE0ELNS1_11target_archE4294967295ELNS1_3gpuE0ELNS1_3repE0EEENS1_30default_config_static_selectorELNS0_4arch9wavefront6targetE1EEEvT1_,comdat
.Lfunc_end452:
	.size	_ZN7rocprim17ROCPRIM_400000_NS6detail17trampoline_kernelINS0_14default_configENS1_25partition_config_selectorILNS1_17partition_subalgoE8ElNS0_10empty_typeEbEEZZNS1_14partition_implILS5_8ELb0ES3_jPlPS6_PKS6_NS0_5tupleIJS9_S6_EEENSD_IJSA_SA_EEENS0_18inequality_wrapperIZN2at6native12_GLOBAL__N_124unique_dim_cuda_templateIiEESt5tupleIJNSH_6TensorESM_SM_EERKSM_lbbbEUlllE0_EEPmJS6_EEE10hipError_tPvRmT3_T4_T5_T6_T7_T9_mT8_P12ihipStream_tbDpT10_ENKUlT_T0_E_clISt17integral_constantIbLb1EES1C_EEDaS17_S18_EUlS17_E_NS1_11comp_targetILNS1_3genE0ELNS1_11target_archE4294967295ELNS1_3gpuE0ELNS1_3repE0EEENS1_30default_config_static_selectorELNS0_4arch9wavefront6targetE1EEEvT1_, .Lfunc_end452-_ZN7rocprim17ROCPRIM_400000_NS6detail17trampoline_kernelINS0_14default_configENS1_25partition_config_selectorILNS1_17partition_subalgoE8ElNS0_10empty_typeEbEEZZNS1_14partition_implILS5_8ELb0ES3_jPlPS6_PKS6_NS0_5tupleIJS9_S6_EEENSD_IJSA_SA_EEENS0_18inequality_wrapperIZN2at6native12_GLOBAL__N_124unique_dim_cuda_templateIiEESt5tupleIJNSH_6TensorESM_SM_EERKSM_lbbbEUlllE0_EEPmJS6_EEE10hipError_tPvRmT3_T4_T5_T6_T7_T9_mT8_P12ihipStream_tbDpT10_ENKUlT_T0_E_clISt17integral_constantIbLb1EES1C_EEDaS17_S18_EUlS17_E_NS1_11comp_targetILNS1_3genE0ELNS1_11target_archE4294967295ELNS1_3gpuE0ELNS1_3repE0EEENS1_30default_config_static_selectorELNS0_4arch9wavefront6targetE1EEEvT1_
                                        ; -- End function
	.section	.AMDGPU.csdata,"",@progbits
; Kernel info:
; codeLenInByte = 0
; NumSgprs: 6
; NumVgprs: 0
; NumAgprs: 0
; TotalNumVgprs: 0
; ScratchSize: 0
; MemoryBound: 0
; FloatMode: 240
; IeeeMode: 1
; LDSByteSize: 0 bytes/workgroup (compile time only)
; SGPRBlocks: 0
; VGPRBlocks: 0
; NumSGPRsForWavesPerEU: 6
; NumVGPRsForWavesPerEU: 1
; AccumOffset: 4
; Occupancy: 8
; WaveLimiterHint : 0
; COMPUTE_PGM_RSRC2:SCRATCH_EN: 0
; COMPUTE_PGM_RSRC2:USER_SGPR: 2
; COMPUTE_PGM_RSRC2:TRAP_HANDLER: 0
; COMPUTE_PGM_RSRC2:TGID_X_EN: 1
; COMPUTE_PGM_RSRC2:TGID_Y_EN: 0
; COMPUTE_PGM_RSRC2:TGID_Z_EN: 0
; COMPUTE_PGM_RSRC2:TIDIG_COMP_CNT: 0
; COMPUTE_PGM_RSRC3_GFX90A:ACCUM_OFFSET: 0
; COMPUTE_PGM_RSRC3_GFX90A:TG_SPLIT: 0
	.section	.text._ZN7rocprim17ROCPRIM_400000_NS6detail17trampoline_kernelINS0_14default_configENS1_25partition_config_selectorILNS1_17partition_subalgoE8ElNS0_10empty_typeEbEEZZNS1_14partition_implILS5_8ELb0ES3_jPlPS6_PKS6_NS0_5tupleIJS9_S6_EEENSD_IJSA_SA_EEENS0_18inequality_wrapperIZN2at6native12_GLOBAL__N_124unique_dim_cuda_templateIiEESt5tupleIJNSH_6TensorESM_SM_EERKSM_lbbbEUlllE0_EEPmJS6_EEE10hipError_tPvRmT3_T4_T5_T6_T7_T9_mT8_P12ihipStream_tbDpT10_ENKUlT_T0_E_clISt17integral_constantIbLb1EES1C_EEDaS17_S18_EUlS17_E_NS1_11comp_targetILNS1_3genE5ELNS1_11target_archE942ELNS1_3gpuE9ELNS1_3repE0EEENS1_30default_config_static_selectorELNS0_4arch9wavefront6targetE1EEEvT1_,"axG",@progbits,_ZN7rocprim17ROCPRIM_400000_NS6detail17trampoline_kernelINS0_14default_configENS1_25partition_config_selectorILNS1_17partition_subalgoE8ElNS0_10empty_typeEbEEZZNS1_14partition_implILS5_8ELb0ES3_jPlPS6_PKS6_NS0_5tupleIJS9_S6_EEENSD_IJSA_SA_EEENS0_18inequality_wrapperIZN2at6native12_GLOBAL__N_124unique_dim_cuda_templateIiEESt5tupleIJNSH_6TensorESM_SM_EERKSM_lbbbEUlllE0_EEPmJS6_EEE10hipError_tPvRmT3_T4_T5_T6_T7_T9_mT8_P12ihipStream_tbDpT10_ENKUlT_T0_E_clISt17integral_constantIbLb1EES1C_EEDaS17_S18_EUlS17_E_NS1_11comp_targetILNS1_3genE5ELNS1_11target_archE942ELNS1_3gpuE9ELNS1_3repE0EEENS1_30default_config_static_selectorELNS0_4arch9wavefront6targetE1EEEvT1_,comdat
	.globl	_ZN7rocprim17ROCPRIM_400000_NS6detail17trampoline_kernelINS0_14default_configENS1_25partition_config_selectorILNS1_17partition_subalgoE8ElNS0_10empty_typeEbEEZZNS1_14partition_implILS5_8ELb0ES3_jPlPS6_PKS6_NS0_5tupleIJS9_S6_EEENSD_IJSA_SA_EEENS0_18inequality_wrapperIZN2at6native12_GLOBAL__N_124unique_dim_cuda_templateIiEESt5tupleIJNSH_6TensorESM_SM_EERKSM_lbbbEUlllE0_EEPmJS6_EEE10hipError_tPvRmT3_T4_T5_T6_T7_T9_mT8_P12ihipStream_tbDpT10_ENKUlT_T0_E_clISt17integral_constantIbLb1EES1C_EEDaS17_S18_EUlS17_E_NS1_11comp_targetILNS1_3genE5ELNS1_11target_archE942ELNS1_3gpuE9ELNS1_3repE0EEENS1_30default_config_static_selectorELNS0_4arch9wavefront6targetE1EEEvT1_ ; -- Begin function _ZN7rocprim17ROCPRIM_400000_NS6detail17trampoline_kernelINS0_14default_configENS1_25partition_config_selectorILNS1_17partition_subalgoE8ElNS0_10empty_typeEbEEZZNS1_14partition_implILS5_8ELb0ES3_jPlPS6_PKS6_NS0_5tupleIJS9_S6_EEENSD_IJSA_SA_EEENS0_18inequality_wrapperIZN2at6native12_GLOBAL__N_124unique_dim_cuda_templateIiEESt5tupleIJNSH_6TensorESM_SM_EERKSM_lbbbEUlllE0_EEPmJS6_EEE10hipError_tPvRmT3_T4_T5_T6_T7_T9_mT8_P12ihipStream_tbDpT10_ENKUlT_T0_E_clISt17integral_constantIbLb1EES1C_EEDaS17_S18_EUlS17_E_NS1_11comp_targetILNS1_3genE5ELNS1_11target_archE942ELNS1_3gpuE9ELNS1_3repE0EEENS1_30default_config_static_selectorELNS0_4arch9wavefront6targetE1EEEvT1_
	.p2align	8
	.type	_ZN7rocprim17ROCPRIM_400000_NS6detail17trampoline_kernelINS0_14default_configENS1_25partition_config_selectorILNS1_17partition_subalgoE8ElNS0_10empty_typeEbEEZZNS1_14partition_implILS5_8ELb0ES3_jPlPS6_PKS6_NS0_5tupleIJS9_S6_EEENSD_IJSA_SA_EEENS0_18inequality_wrapperIZN2at6native12_GLOBAL__N_124unique_dim_cuda_templateIiEESt5tupleIJNSH_6TensorESM_SM_EERKSM_lbbbEUlllE0_EEPmJS6_EEE10hipError_tPvRmT3_T4_T5_T6_T7_T9_mT8_P12ihipStream_tbDpT10_ENKUlT_T0_E_clISt17integral_constantIbLb1EES1C_EEDaS17_S18_EUlS17_E_NS1_11comp_targetILNS1_3genE5ELNS1_11target_archE942ELNS1_3gpuE9ELNS1_3repE0EEENS1_30default_config_static_selectorELNS0_4arch9wavefront6targetE1EEEvT1_,@function
_ZN7rocprim17ROCPRIM_400000_NS6detail17trampoline_kernelINS0_14default_configENS1_25partition_config_selectorILNS1_17partition_subalgoE8ElNS0_10empty_typeEbEEZZNS1_14partition_implILS5_8ELb0ES3_jPlPS6_PKS6_NS0_5tupleIJS9_S6_EEENSD_IJSA_SA_EEENS0_18inequality_wrapperIZN2at6native12_GLOBAL__N_124unique_dim_cuda_templateIiEESt5tupleIJNSH_6TensorESM_SM_EERKSM_lbbbEUlllE0_EEPmJS6_EEE10hipError_tPvRmT3_T4_T5_T6_T7_T9_mT8_P12ihipStream_tbDpT10_ENKUlT_T0_E_clISt17integral_constantIbLb1EES1C_EEDaS17_S18_EUlS17_E_NS1_11comp_targetILNS1_3genE5ELNS1_11target_archE942ELNS1_3gpuE9ELNS1_3repE0EEENS1_30default_config_static_selectorELNS0_4arch9wavefront6targetE1EEEvT1_: ; @_ZN7rocprim17ROCPRIM_400000_NS6detail17trampoline_kernelINS0_14default_configENS1_25partition_config_selectorILNS1_17partition_subalgoE8ElNS0_10empty_typeEbEEZZNS1_14partition_implILS5_8ELb0ES3_jPlPS6_PKS6_NS0_5tupleIJS9_S6_EEENSD_IJSA_SA_EEENS0_18inequality_wrapperIZN2at6native12_GLOBAL__N_124unique_dim_cuda_templateIiEESt5tupleIJNSH_6TensorESM_SM_EERKSM_lbbbEUlllE0_EEPmJS6_EEE10hipError_tPvRmT3_T4_T5_T6_T7_T9_mT8_P12ihipStream_tbDpT10_ENKUlT_T0_E_clISt17integral_constantIbLb1EES1C_EEDaS17_S18_EUlS17_E_NS1_11comp_targetILNS1_3genE5ELNS1_11target_archE942ELNS1_3gpuE9ELNS1_3repE0EEENS1_30default_config_static_selectorELNS0_4arch9wavefront6targetE1EEEvT1_
; %bb.0:
	s_load_dwordx2 s[34:35], s[0:1], 0x28
	s_load_dwordx8 s[20:27], s[0:1], 0x40
	s_load_dwordx4 s[28:31], s[0:1], 0x60
	v_cmp_ne_u32_e64 s[2:3], 0, v0
	v_cmp_eq_u32_e64 s[18:19], 0, v0
	s_and_saveexec_b64 s[4:5], s[18:19]
	s_cbranch_execz .LBB453_4
; %bb.1:
	s_mov_b64 s[8:9], exec
	v_mbcnt_lo_u32_b32 v1, s8, 0
	v_mbcnt_hi_u32_b32 v1, s9, v1
	v_cmp_eq_u32_e32 vcc, 0, v1
                                        ; implicit-def: $vgpr2
	s_and_saveexec_b64 s[6:7], vcc
	s_cbranch_execz .LBB453_3
; %bb.2:
	s_load_dwordx2 s[10:11], s[0:1], 0x78
	s_bcnt1_i32_b64 s8, s[8:9]
	v_mov_b32_e32 v2, 0
	v_mov_b32_e32 v3, s8
	s_waitcnt lgkmcnt(0)
	global_atomic_add v2, v2, v3, s[10:11] sc0
.LBB453_3:
	s_or_b64 exec, exec, s[6:7]
	s_waitcnt vmcnt(0)
	v_readfirstlane_b32 s6, v2
	v_mov_b32_e32 v2, 0
	s_nop 0
	v_add_u32_e32 v1, s6, v1
	ds_write_b32 v2, v1
.LBB453_4:
	s_or_b64 exec, exec, s[4:5]
	v_mov_b32_e32 v3, 0
	s_load_dwordx4 s[4:7], s[0:1], 0x8
	s_load_dword s10, s[0:1], 0x70
	s_waitcnt lgkmcnt(0)
	s_barrier
	ds_read_b32 v1, v3
	s_waitcnt lgkmcnt(0)
	s_barrier
	global_load_dwordx2 v[4:5], v3, s[22:23]
	s_lshl_b64 s[0:1], s[6:7], 3
	s_mul_i32 s12, s10, 0xe00
	s_add_u32 s0, s4, s0
	s_addc_u32 s1, s5, s1
	s_add_i32 s4, s12, s6
	s_add_i32 s10, s10, -1
	s_sub_i32 s52, s24, s4
	s_add_u32 s4, s6, s12
	s_movk_i32 s11, 0xe00
	s_addc_u32 s5, s7, 0
	v_readfirstlane_b32 s33, v1
	v_mov_b32_e32 v6, s24
	v_mov_b32_e32 v7, s25
	v_mul_lo_u32 v2, v1, s11
	s_cmp_eq_u32 s33, s10
	v_cmp_ge_u64_e32 vcc, s[4:5], v[6:7]
	v_lshlrev_b64 v[6:7], 3, v[2:3]
	s_cselect_b64 s[24:25], -1, 0
	v_lshl_add_u64 v[18:19], s[0:1], 0, v[6:7]
	s_and_b64 s[0:1], vcc, s[24:25]
	s_xor_b64 s[36:37], s[0:1], -1
	s_mov_b64 s[8:9], -1
	s_and_b64 vcc, exec, s[36:37]
	s_waitcnt vmcnt(0)
	v_readfirstlane_b32 s22, v4
	v_readfirstlane_b32 s23, v5
	s_cbranch_vccz .LBB453_6
; %bb.5:
	v_lshlrev_b32_e32 v2, 3, v0
	v_lshl_add_u64 v[4:5], v[18:19], 0, v[2:3]
	v_add_co_u32_e32 v8, vcc, 0x1000, v4
	v_readfirstlane_b32 s4, v18
	s_nop 0
	v_addc_co_u32_e32 v9, vcc, 0, v5, vcc
	v_add_co_u32_e32 v10, vcc, 0x2000, v4
	v_readfirstlane_b32 s5, v19
	s_nop 0
	v_addc_co_u32_e32 v11, vcc, 0, v5, vcc
	v_add_co_u32_e32 v12, vcc, 0x3000, v4
	s_mov_b64 s[8:9], 0
	s_nop 0
	v_addc_co_u32_e32 v13, vcc, 0, v5, vcc
	v_add_co_u32_e32 v14, vcc, 0x4000, v4
	global_load_dwordx2 v[6:7], v2, s[4:5]
	s_nop 0
	v_addc_co_u32_e32 v15, vcc, 0, v5, vcc
	global_load_dwordx2 v[16:17], v[8:9], off
	global_load_dwordx2 v[20:21], v[10:11], off
	;; [unrolled: 1-line block ×4, first 2 shown]
	v_add_co_u32_e32 v8, vcc, 0x5000, v4
	s_nop 1
	v_addc_co_u32_e32 v9, vcc, 0, v5, vcc
	v_add_co_u32_e32 v4, vcc, 0x6000, v4
	global_load_dwordx2 v[8:9], v[8:9], off
	s_nop 0
	v_addc_co_u32_e32 v5, vcc, 0, v5, vcc
	global_load_dwordx2 v[4:5], v[4:5], off
	s_waitcnt vmcnt(5)
	ds_write2st64_b64 v2, v[6:7], v[16:17] offset1:8
	s_waitcnt vmcnt(3)
	ds_write2st64_b64 v2, v[20:21], v[22:23] offset0:16 offset1:24
	s_waitcnt vmcnt(1)
	ds_write2st64_b64 v2, v[24:25], v[8:9] offset0:32 offset1:40
	s_waitcnt vmcnt(0)
	ds_write_b64 v2, v[4:5] offset:24576
	s_waitcnt lgkmcnt(0)
	s_barrier
.LBB453_6:
	s_andn2_b64 vcc, exec, s[8:9]
	s_addk_i32 s52, 0xe00
	s_cbranch_vccnz .LBB453_22
; %bb.7:
	v_cmp_gt_u32_e32 vcc, s52, v0
                                        ; implicit-def: $vgpr2_vgpr3_vgpr4_vgpr5_vgpr6_vgpr7_vgpr8_vgpr9_vgpr10_vgpr11_vgpr12_vgpr13_vgpr14_vgpr15_vgpr16_vgpr17
	s_and_saveexec_b64 s[4:5], vcc
	s_cbranch_execz .LBB453_9
; %bb.8:
	v_lshlrev_b32_e32 v1, 3, v0
	v_readfirstlane_b32 s8, v18
	v_readfirstlane_b32 s9, v19
	s_nop 4
	global_load_dwordx2 v[2:3], v1, s[8:9]
.LBB453_9:
	s_or_b64 exec, exec, s[4:5]
	v_or_b32_e32 v1, 0x200, v0
	v_cmp_gt_u32_e32 vcc, s52, v1
	s_and_saveexec_b64 s[4:5], vcc
	s_cbranch_execz .LBB453_11
; %bb.10:
	v_lshlrev_b32_e32 v1, 3, v1
	v_readfirstlane_b32 s8, v18
	v_readfirstlane_b32 s9, v19
	s_nop 4
	global_load_dwordx2 v[4:5], v1, s[8:9]
.LBB453_11:
	s_or_b64 exec, exec, s[4:5]
	v_or_b32_e32 v1, 0x400, v0
	v_cmp_gt_u32_e32 vcc, s52, v1
	;; [unrolled: 12-line block ×6, first 2 shown]
	s_and_saveexec_b64 s[4:5], vcc
	s_cbranch_execz .LBB453_21
; %bb.20:
	v_lshlrev_b32_e32 v1, 3, v1
	v_readfirstlane_b32 s8, v18
	v_readfirstlane_b32 s9, v19
	s_nop 4
	global_load_dwordx2 v[14:15], v1, s[8:9]
.LBB453_21:
	s_or_b64 exec, exec, s[4:5]
	v_lshlrev_b32_e32 v1, 3, v0
	s_waitcnt vmcnt(0)
	ds_write2st64_b64 v1, v[2:3], v[4:5] offset1:8
	ds_write2st64_b64 v1, v[6:7], v[8:9] offset0:16 offset1:24
	ds_write2st64_b64 v1, v[10:11], v[12:13] offset0:32 offset1:40
	ds_write_b64 v1, v[14:15] offset:24576
	s_waitcnt lgkmcnt(0)
	s_barrier
.LBB453_22:
	v_mul_u32_u24_e32 v1, 7, v0
	v_lshlrev_b32_e32 v32, 3, v1
	ds_read2_b64 v[10:13], v32 offset1:1
	ds_read2_b64 v[6:9], v32 offset0:2 offset1:3
	ds_read2_b64 v[2:5], v32 offset0:4 offset1:5
	ds_read_b64 v[14:15], v32 offset:48
	s_cmp_lg_u32 s33, 0
	s_cselect_b64 s[16:17], -1, 0
	s_cmp_lg_u64 s[6:7], 0
	s_cselect_b64 s[4:5], -1, 0
	s_or_b64 s[4:5], s[4:5], s[16:17]
	v_mad_u32_u24 v27, v0, 7, 1
	v_mad_u32_u24 v26, v0, 7, 2
	;; [unrolled: 1-line block ×6, first 2 shown]
	s_mov_b64 s[8:9], 0
	s_and_b64 vcc, exec, s[4:5]
	v_cmp_gt_i64_e64 s[4:5], s[26:27], 0
	s_waitcnt lgkmcnt(0)
	s_barrier
	s_cbranch_vccz .LBB453_31
; %bb.23:
	global_load_dwordx2 v[16:17], v[18:19], off offset:-8
	v_cndmask_b32_e64 v18, 0, 1, s[4:5]
	v_lshlrev_b32_e32 v33, 3, v0
	s_mov_b64 s[6:7], 0
	s_and_b64 vcc, exec, s[36:37]
	v_cmp_ne_u32_e64 s[4:5], 1, v18
	ds_write_b64 v33, v[14:15]
	s_cbranch_vccz .LBB453_33
; %bb.24:
	v_mul_lo_u32 v20, v5, s26
	v_mul_lo_u32 v21, v4, s27
	v_mad_u64_u32 v[18:19], s[8:9], v4, s26, 0
	v_add3_u32 v19, v19, v21, v20
	s_and_b64 vcc, exec, s[4:5]
	v_lshl_add_u64 v[18:19], v[18:19], 2, s[28:29]
	s_cbranch_vccnz .LBB453_36
; %bb.25:
	v_mul_lo_u32 v22, v15, s26
	v_mul_lo_u32 v23, v14, s27
	v_mad_u64_u32 v[20:21], s[6:7], v14, s26, 0
	v_add3_u32 v21, v21, v23, v22
	v_lshl_add_u64 v[20:21], v[20:21], 2, s[28:29]
	global_load_dword v22, v[18:19], off
	global_load_dword v23, v[20:21], off
	s_mov_b64 s[6:7], -1
	s_waitcnt vmcnt(0)
	v_cmp_eq_u32_e32 vcc, v22, v23
	s_and_saveexec_b64 s[8:9], vcc
	s_cbranch_execz .LBB453_35
; %bb.26:
	s_add_u32 s6, s26, -1
	v_lshl_add_u64 v[20:21], v[20:21], 0, 4
	v_lshl_add_u64 v[22:23], v[18:19], 0, 4
	s_addc_u32 s7, s27, -1
	s_mov_b64 s[10:11], 0
	s_mov_b64 s[14:15], 0
                                        ; implicit-def: $sgpr12_sgpr13
	s_branch .LBB453_29
.LBB453_27:                             ;   in Loop: Header=BB453_29 Depth=1
	global_load_dword v24, v[22:23], off
	global_load_dword v25, v[20:21], off
	s_add_u32 s14, s14, 1
	s_addc_u32 s15, s15, 0
	s_andn2_b64 s[12:13], s[12:13], exec
	v_lshl_add_u64 v[20:21], v[20:21], 0, 4
	v_lshl_add_u64 v[22:23], v[22:23], 0, 4
	s_waitcnt vmcnt(0)
	v_cmp_ne_u32_e32 vcc, v24, v25
	s_and_b64 s[38:39], vcc, exec
	s_or_b64 s[12:13], s[12:13], s[38:39]
.LBB453_28:                             ;   in Loop: Header=BB453_29 Depth=1
	s_and_b64 s[38:39], exec, s[12:13]
	s_or_b64 s[10:11], s[38:39], s[10:11]
	v_mov_b64_e32 v[24:25], s[14:15]
	s_andn2_b64 exec, exec, s[10:11]
	s_cbranch_execz .LBB453_34
.LBB453_29:                             ; =>This Inner Loop Header: Depth=1
	s_or_b64 s[12:13], s[12:13], exec
	s_cmp_eq_u64 s[6:7], s[14:15]
	s_cbranch_scc0 .LBB453_27
; %bb.30:                               ;   in Loop: Header=BB453_29 Depth=1
                                        ; implicit-def: $vgpr20_vgpr21
                                        ; implicit-def: $vgpr22_vgpr23
	s_mov_b64 s[14:15], s[26:27]
	s_branch .LBB453_28
.LBB453_31:
                                        ; implicit-def: $sgpr12_sgpr13
                                        ; implicit-def: $vgpr35
                                        ; implicit-def: $vgpr34
                                        ; implicit-def: $vgpr25
                                        ; implicit-def: $vgpr20
	s_branch .LBB453_174
.LBB453_32:
                                        ; implicit-def: $vgpr16_vgpr17
	s_branch .LBB453_322
.LBB453_33:
                                        ; implicit-def: $sgpr12_sgpr13
                                        ; implicit-def: $vgpr35
                                        ; implicit-def: $vgpr34
                                        ; implicit-def: $vgpr25
                                        ; implicit-def: $vgpr20
	s_cbranch_execnz .LBB453_93
	s_branch .LBB453_173
.LBB453_34:
	s_or_b64 exec, exec, s[10:11]
	v_cmp_gt_i64_e32 vcc, s[26:27], v[24:25]
	s_orn2_b64 s[6:7], vcc, exec
.LBB453_35:
	s_or_b64 exec, exec, s[8:9]
.LBB453_36:
	v_mul_lo_u32 v22, v3, s26
	v_mul_lo_u32 v23, v2, s27
	v_mad_u64_u32 v[20:21], s[8:9], v2, s26, 0
	v_add3_u32 v21, v21, v23, v22
	s_mov_b64 s[8:9], 0
	s_and_b64 vcc, exec, s[4:5]
	v_lshl_add_u64 v[20:21], v[20:21], 2, s[28:29]
	s_mov_b64 s[10:11], 0
	s_cbranch_vccnz .LBB453_45
; %bb.37:
	global_load_dword v22, v[20:21], off
	global_load_dword v23, v[18:19], off
	s_mov_b64 s[10:11], -1
	s_waitcnt vmcnt(0)
	v_cmp_eq_u32_e32 vcc, v22, v23
	s_and_saveexec_b64 s[12:13], vcc
	s_cbranch_execz .LBB453_44
; %bb.38:
	s_add_u32 s10, s26, -1
	v_lshl_add_u64 v[18:19], v[18:19], 0, 4
	v_lshl_add_u64 v[22:23], v[20:21], 0, 4
	s_addc_u32 s11, s27, -1
	s_mov_b64 s[14:15], 0
	s_mov_b64 s[40:41], 0
                                        ; implicit-def: $sgpr38_sgpr39
	s_branch .LBB453_41
.LBB453_39:                             ;   in Loop: Header=BB453_41 Depth=1
	global_load_dword v24, v[22:23], off
	global_load_dword v25, v[18:19], off
	s_add_u32 s40, s40, 1
	s_addc_u32 s41, s41, 0
	s_andn2_b64 s[38:39], s[38:39], exec
	v_lshl_add_u64 v[18:19], v[18:19], 0, 4
	v_lshl_add_u64 v[22:23], v[22:23], 0, 4
	s_waitcnt vmcnt(0)
	v_cmp_ne_u32_e32 vcc, v24, v25
	s_and_b64 s[42:43], vcc, exec
	s_or_b64 s[38:39], s[38:39], s[42:43]
.LBB453_40:                             ;   in Loop: Header=BB453_41 Depth=1
	s_and_b64 s[42:43], exec, s[38:39]
	s_or_b64 s[14:15], s[42:43], s[14:15]
	v_mov_b64_e32 v[24:25], s[40:41]
	s_andn2_b64 exec, exec, s[14:15]
	s_cbranch_execz .LBB453_43
.LBB453_41:                             ; =>This Inner Loop Header: Depth=1
	s_or_b64 s[38:39], s[38:39], exec
	s_cmp_eq_u64 s[10:11], s[40:41]
	s_cbranch_scc0 .LBB453_39
; %bb.42:                               ;   in Loop: Header=BB453_41 Depth=1
                                        ; implicit-def: $vgpr18_vgpr19
                                        ; implicit-def: $vgpr22_vgpr23
	s_mov_b64 s[40:41], s[26:27]
	s_branch .LBB453_40
.LBB453_43:
	s_or_b64 exec, exec, s[14:15]
	v_cmp_gt_i64_e32 vcc, s[26:27], v[24:25]
	s_orn2_b64 s[10:11], vcc, exec
.LBB453_44:
	s_or_b64 exec, exec, s[12:13]
.LBB453_45:
	v_mul_lo_u32 v22, v9, s26
	v_mul_lo_u32 v23, v8, s27
	v_mad_u64_u32 v[18:19], s[12:13], v8, s26, 0
	v_add3_u32 v19, v19, v23, v22
	s_and_b64 vcc, exec, s[4:5]
	v_lshl_add_u64 v[18:19], v[18:19], 2, s[28:29]
	s_cbranch_vccnz .LBB453_54
; %bb.46:
	global_load_dword v22, v[18:19], off
	global_load_dword v23, v[20:21], off
	s_mov_b64 s[8:9], -1
	s_waitcnt vmcnt(0)
	v_cmp_eq_u32_e32 vcc, v22, v23
	s_and_saveexec_b64 s[12:13], vcc
	s_cbranch_execz .LBB453_53
; %bb.47:
	s_add_u32 s8, s26, -1
	v_lshl_add_u64 v[20:21], v[20:21], 0, 4
	v_lshl_add_u64 v[22:23], v[18:19], 0, 4
	s_addc_u32 s9, s27, -1
	s_mov_b64 s[14:15], 0
	s_mov_b64 s[40:41], 0
                                        ; implicit-def: $sgpr38_sgpr39
	s_branch .LBB453_50
.LBB453_48:                             ;   in Loop: Header=BB453_50 Depth=1
	global_load_dword v24, v[22:23], off
	global_load_dword v25, v[20:21], off
	s_add_u32 s40, s40, 1
	s_addc_u32 s41, s41, 0
	s_andn2_b64 s[38:39], s[38:39], exec
	v_lshl_add_u64 v[20:21], v[20:21], 0, 4
	v_lshl_add_u64 v[22:23], v[22:23], 0, 4
	s_waitcnt vmcnt(0)
	v_cmp_ne_u32_e32 vcc, v24, v25
	s_and_b64 s[42:43], vcc, exec
	s_or_b64 s[38:39], s[38:39], s[42:43]
.LBB453_49:                             ;   in Loop: Header=BB453_50 Depth=1
	s_and_b64 s[42:43], exec, s[38:39]
	s_or_b64 s[14:15], s[42:43], s[14:15]
	v_mov_b64_e32 v[24:25], s[40:41]
	s_andn2_b64 exec, exec, s[14:15]
	s_cbranch_execz .LBB453_52
.LBB453_50:                             ; =>This Inner Loop Header: Depth=1
	s_or_b64 s[38:39], s[38:39], exec
	s_cmp_eq_u64 s[8:9], s[40:41]
	s_cbranch_scc0 .LBB453_48
; %bb.51:                               ;   in Loop: Header=BB453_50 Depth=1
                                        ; implicit-def: $vgpr20_vgpr21
                                        ; implicit-def: $vgpr22_vgpr23
	s_mov_b64 s[40:41], s[26:27]
	s_branch .LBB453_49
.LBB453_52:
	s_or_b64 exec, exec, s[14:15]
	v_cmp_gt_i64_e32 vcc, s[26:27], v[24:25]
	s_orn2_b64 s[8:9], vcc, exec
.LBB453_53:
	s_or_b64 exec, exec, s[12:13]
.LBB453_54:
	v_mul_lo_u32 v22, v7, s26
	v_mul_lo_u32 v23, v6, s27
	v_mad_u64_u32 v[20:21], s[12:13], v6, s26, 0
	v_add3_u32 v21, v21, v23, v22
	s_mov_b64 s[12:13], 0
	s_and_b64 vcc, exec, s[4:5]
	v_lshl_add_u64 v[22:23], v[20:21], 2, s[28:29]
	s_mov_b64 s[14:15], 0
	s_cbranch_vccnz .LBB453_63
; %bb.55:
	global_load_dword v20, v[22:23], off
	global_load_dword v21, v[18:19], off
	s_mov_b64 s[14:15], -1
	s_waitcnt vmcnt(0)
	v_cmp_eq_u32_e32 vcc, v20, v21
	s_and_saveexec_b64 s[38:39], vcc
	s_cbranch_execz .LBB453_62
; %bb.56:
	s_add_u32 s14, s26, -1
	v_lshl_add_u64 v[18:19], v[18:19], 0, 4
	v_lshl_add_u64 v[20:21], v[22:23], 0, 4
	s_addc_u32 s15, s27, -1
	s_mov_b64 s[40:41], 0
	s_mov_b64 s[44:45], 0
                                        ; implicit-def: $sgpr42_sgpr43
	s_branch .LBB453_59
.LBB453_57:                             ;   in Loop: Header=BB453_59 Depth=1
	global_load_dword v24, v[20:21], off
	global_load_dword v25, v[18:19], off
	s_add_u32 s44, s44, 1
	s_addc_u32 s45, s45, 0
	s_andn2_b64 s[42:43], s[42:43], exec
	v_lshl_add_u64 v[18:19], v[18:19], 0, 4
	v_lshl_add_u64 v[20:21], v[20:21], 0, 4
	s_waitcnt vmcnt(0)
	v_cmp_ne_u32_e32 vcc, v24, v25
	s_and_b64 s[46:47], vcc, exec
	s_or_b64 s[42:43], s[42:43], s[46:47]
.LBB453_58:                             ;   in Loop: Header=BB453_59 Depth=1
	s_and_b64 s[46:47], exec, s[42:43]
	s_or_b64 s[40:41], s[46:47], s[40:41]
	v_mov_b64_e32 v[24:25], s[44:45]
	s_andn2_b64 exec, exec, s[40:41]
	s_cbranch_execz .LBB453_61
.LBB453_59:                             ; =>This Inner Loop Header: Depth=1
	s_or_b64 s[42:43], s[42:43], exec
	s_cmp_eq_u64 s[14:15], s[44:45]
	s_cbranch_scc0 .LBB453_57
; %bb.60:                               ;   in Loop: Header=BB453_59 Depth=1
                                        ; implicit-def: $vgpr18_vgpr19
                                        ; implicit-def: $vgpr20_vgpr21
	s_mov_b64 s[44:45], s[26:27]
	s_branch .LBB453_58
.LBB453_61:
	s_or_b64 exec, exec, s[40:41]
	v_cmp_gt_i64_e32 vcc, s[26:27], v[24:25]
	s_orn2_b64 s[14:15], vcc, exec
.LBB453_62:
	s_or_b64 exec, exec, s[38:39]
.LBB453_63:
	v_mul_lo_u32 v20, v13, s26
	v_mul_lo_u32 v21, v12, s27
	v_mad_u64_u32 v[18:19], s[38:39], v12, s26, 0
	v_add3_u32 v19, v19, v21, v20
	s_and_b64 vcc, exec, s[4:5]
	v_lshl_add_u64 v[20:21], v[18:19], 2, s[28:29]
	s_cbranch_vccnz .LBB453_72
; %bb.64:
	global_load_dword v18, v[20:21], off
	global_load_dword v19, v[22:23], off
	s_mov_b64 s[12:13], -1
	s_waitcnt vmcnt(0)
	v_cmp_eq_u32_e32 vcc, v18, v19
	s_and_saveexec_b64 s[38:39], vcc
	s_cbranch_execz .LBB453_71
; %bb.65:
	s_add_u32 s12, s26, -1
	v_lshl_add_u64 v[18:19], v[22:23], 0, 4
	v_lshl_add_u64 v[22:23], v[20:21], 0, 4
	s_addc_u32 s13, s27, -1
	s_mov_b64 s[40:41], 0
	s_mov_b64 s[44:45], 0
                                        ; implicit-def: $sgpr42_sgpr43
	s_branch .LBB453_68
.LBB453_66:                             ;   in Loop: Header=BB453_68 Depth=1
	global_load_dword v24, v[22:23], off
	global_load_dword v25, v[18:19], off
	s_add_u32 s44, s44, 1
	s_addc_u32 s45, s45, 0
	s_andn2_b64 s[42:43], s[42:43], exec
	v_lshl_add_u64 v[18:19], v[18:19], 0, 4
	v_lshl_add_u64 v[22:23], v[22:23], 0, 4
	s_waitcnt vmcnt(0)
	v_cmp_ne_u32_e32 vcc, v24, v25
	s_and_b64 s[46:47], vcc, exec
	s_or_b64 s[42:43], s[42:43], s[46:47]
.LBB453_67:                             ;   in Loop: Header=BB453_68 Depth=1
	s_and_b64 s[46:47], exec, s[42:43]
	s_or_b64 s[40:41], s[46:47], s[40:41]
	v_mov_b64_e32 v[24:25], s[44:45]
	s_andn2_b64 exec, exec, s[40:41]
	s_cbranch_execz .LBB453_70
.LBB453_68:                             ; =>This Inner Loop Header: Depth=1
	s_or_b64 s[42:43], s[42:43], exec
	s_cmp_eq_u64 s[12:13], s[44:45]
	s_cbranch_scc0 .LBB453_66
; %bb.69:                               ;   in Loop: Header=BB453_68 Depth=1
                                        ; implicit-def: $vgpr18_vgpr19
                                        ; implicit-def: $vgpr22_vgpr23
	s_mov_b64 s[44:45], s[26:27]
	s_branch .LBB453_67
.LBB453_70:
	s_or_b64 exec, exec, s[40:41]
	v_cmp_gt_i64_e32 vcc, s[26:27], v[24:25]
	s_orn2_b64 s[12:13], vcc, exec
.LBB453_71:
	s_or_b64 exec, exec, s[38:39]
.LBB453_72:
	v_mul_lo_u32 v22, v11, s26
	v_mul_lo_u32 v23, v10, s27
	v_mad_u64_u32 v[18:19], s[38:39], v10, s26, 0
	v_add3_u32 v19, v19, v23, v22
	s_mov_b64 s[40:41], 0
	s_and_b64 vcc, exec, s[4:5]
	v_lshl_add_u64 v[18:19], v[18:19], 2, s[28:29]
	s_cbranch_vccnz .LBB453_81
; %bb.73:
	global_load_dword v22, v[18:19], off
	global_load_dword v23, v[20:21], off
	s_mov_b64 s[40:41], -1
	s_waitcnt vmcnt(0)
	v_cmp_eq_u32_e32 vcc, v22, v23
	s_and_saveexec_b64 s[38:39], vcc
	s_cbranch_execz .LBB453_80
; %bb.74:
	s_add_u32 s40, s26, -1
	v_lshl_add_u64 v[20:21], v[20:21], 0, 4
	v_lshl_add_u64 v[22:23], v[18:19], 0, 4
	s_addc_u32 s41, s27, -1
	s_mov_b64 s[42:43], 0
	s_mov_b64 s[46:47], 0
                                        ; implicit-def: $sgpr44_sgpr45
	s_branch .LBB453_77
.LBB453_75:                             ;   in Loop: Header=BB453_77 Depth=1
	global_load_dword v24, v[22:23], off
	global_load_dword v25, v[20:21], off
	s_add_u32 s46, s46, 1
	s_addc_u32 s47, s47, 0
	s_andn2_b64 s[44:45], s[44:45], exec
	v_lshl_add_u64 v[20:21], v[20:21], 0, 4
	v_lshl_add_u64 v[22:23], v[22:23], 0, 4
	s_waitcnt vmcnt(0)
	v_cmp_ne_u32_e32 vcc, v24, v25
	s_and_b64 s[48:49], vcc, exec
	s_or_b64 s[44:45], s[44:45], s[48:49]
.LBB453_76:                             ;   in Loop: Header=BB453_77 Depth=1
	s_and_b64 s[48:49], exec, s[44:45]
	s_or_b64 s[42:43], s[48:49], s[42:43]
	v_mov_b64_e32 v[24:25], s[46:47]
	s_andn2_b64 exec, exec, s[42:43]
	s_cbranch_execz .LBB453_79
.LBB453_77:                             ; =>This Inner Loop Header: Depth=1
	s_or_b64 s[44:45], s[44:45], exec
	s_cmp_eq_u64 s[40:41], s[46:47]
	s_cbranch_scc0 .LBB453_75
; %bb.78:                               ;   in Loop: Header=BB453_77 Depth=1
                                        ; implicit-def: $vgpr20_vgpr21
                                        ; implicit-def: $vgpr22_vgpr23
	s_mov_b64 s[46:47], s[26:27]
	s_branch .LBB453_76
.LBB453_79:
	s_or_b64 exec, exec, s[42:43]
	v_cmp_gt_i64_e32 vcc, s[26:27], v[24:25]
	s_orn2_b64 s[40:41], vcc, exec
.LBB453_80:
	s_or_b64 exec, exec, s[38:39]
.LBB453_81:
	s_waitcnt vmcnt(0)
	v_mov_b64_e32 v[20:21], v[16:17]
	s_waitcnt lgkmcnt(0)
	s_barrier
	s_and_saveexec_b64 s[38:39], s[2:3]
	s_cbranch_execz .LBB453_83
; %bb.82:
	v_add_u32_e32 v20, -8, v33
	ds_read_b64 v[20:21], v20
.LBB453_83:
	s_or_b64 exec, exec, s[38:39]
	v_cndmask_b32_e64 v23, 0, 1, s[14:15]
	v_cndmask_b32_e64 v22, 0, 1, s[12:13]
	;; [unrolled: 1-line block ×3, first 2 shown]
	v_lshlrev_b16_e32 v23, 8, v23
	v_lshlrev_b16_e32 v24, 8, v24
	v_or_b32_sdwa v36, v22, v23 dst_sel:WORD_1 dst_unused:UNUSED_PAD src0_sel:DWORD src1_sel:DWORD
	s_mov_b64 s[14:15], 0
	s_and_b64 vcc, exec, s[4:5]
	s_mov_b64 s[12:13], 0
	s_cbranch_vccnz .LBB453_92
; %bb.84:
	s_waitcnt lgkmcnt(0)
	v_mul_lo_u32 v22, v21, s26
	v_mul_lo_u32 v23, v20, s27
	v_mad_u64_u32 v[20:21], s[12:13], v20, s26, 0
	v_add3_u32 v21, v21, v23, v22
	v_lshl_add_u64 v[20:21], v[20:21], 2, s[28:29]
	global_load_dword v22, v[20:21], off
	global_load_dword v23, v[18:19], off
	s_mov_b64 s[12:13], -1
	s_waitcnt vmcnt(0)
	v_cmp_eq_u32_e32 vcc, v22, v23
	s_and_saveexec_b64 s[38:39], vcc
	s_cbranch_execz .LBB453_91
; %bb.85:
	s_add_u32 s12, s26, -1
	v_lshl_add_u64 v[18:19], v[18:19], 0, 4
	v_lshl_add_u64 v[20:21], v[20:21], 0, 4
	s_addc_u32 s13, s27, -1
	s_mov_b64 s[40:41], 0
	s_mov_b64 s[44:45], 0
                                        ; implicit-def: $sgpr42_sgpr43
	s_branch .LBB453_88
.LBB453_86:                             ;   in Loop: Header=BB453_88 Depth=1
	global_load_dword v22, v[20:21], off
	global_load_dword v23, v[18:19], off
	s_add_u32 s44, s44, 1
	s_addc_u32 s45, s45, 0
	s_andn2_b64 s[42:43], s[42:43], exec
	v_lshl_add_u64 v[18:19], v[18:19], 0, 4
	v_lshl_add_u64 v[20:21], v[20:21], 0, 4
	s_waitcnt vmcnt(0)
	v_cmp_ne_u32_e32 vcc, v22, v23
	s_and_b64 s[46:47], vcc, exec
	s_or_b64 s[42:43], s[42:43], s[46:47]
.LBB453_87:                             ;   in Loop: Header=BB453_88 Depth=1
	s_and_b64 s[46:47], exec, s[42:43]
	s_or_b64 s[40:41], s[46:47], s[40:41]
	v_mov_b64_e32 v[22:23], s[44:45]
	s_andn2_b64 exec, exec, s[40:41]
	s_cbranch_execz .LBB453_90
.LBB453_88:                             ; =>This Inner Loop Header: Depth=1
	s_or_b64 s[42:43], s[42:43], exec
	s_cmp_eq_u64 s[12:13], s[44:45]
	s_cbranch_scc0 .LBB453_86
; %bb.89:                               ;   in Loop: Header=BB453_88 Depth=1
                                        ; implicit-def: $vgpr18_vgpr19
                                        ; implicit-def: $vgpr20_vgpr21
	s_mov_b64 s[44:45], s[26:27]
	s_branch .LBB453_87
.LBB453_90:
	s_or_b64 exec, exec, s[40:41]
	v_cmp_gt_i64_e32 vcc, s[26:27], v[22:23]
	s_orn2_b64 s[12:13], vcc, exec
.LBB453_91:
	s_or_b64 exec, exec, s[38:39]
.LBB453_92:
	v_cndmask_b32_e64 v25, 0, 1, s[8:9]
	v_cndmask_b32_e64 v34, 0, 1, s[10:11]
	;; [unrolled: 1-line block ×3, first 2 shown]
	s_waitcnt lgkmcnt(0)
	v_or_b32_e32 v20, v24, v36
	s_and_b64 vcc, exec, s[14:15]
	s_cbranch_vccz .LBB453_173
.LBB453_93:
	v_cmp_gt_u32_e32 vcc, s52, v29
	s_mov_b64 s[8:9], 0
	s_mov_b64 s[6:7], 0
	s_and_saveexec_b64 s[10:11], vcc
	s_cbranch_execz .LBB453_104
; %bb.94:
	s_and_b64 vcc, exec, s[4:5]
	s_mov_b64 s[12:13], 0
	s_cbranch_vccnz .LBB453_103
; %bb.95:
	v_mul_lo_u32 v20, v5, s26
	v_mul_lo_u32 v21, v4, s27
	v_mad_u64_u32 v[18:19], s[6:7], v4, s26, 0
	v_add3_u32 v19, v19, v21, v20
	v_mul_lo_u32 v20, v15, s26
	v_mul_lo_u32 v21, v14, s27
	v_mad_u64_u32 v[22:23], s[6:7], v14, s26, 0
	v_add3_u32 v23, v23, v21, v20
	v_lshl_add_u64 v[20:21], v[18:19], 2, s[28:29]
	v_lshl_add_u64 v[18:19], v[22:23], 2, s[28:29]
	global_load_dword v22, v[20:21], off
	global_load_dword v23, v[18:19], off
	s_mov_b64 s[12:13], -1
	s_waitcnt vmcnt(0)
	v_cmp_eq_u32_e32 vcc, v22, v23
	s_and_saveexec_b64 s[6:7], vcc
	s_cbranch_execz .LBB453_102
; %bb.96:
	s_add_u32 s12, s26, -1
	v_lshl_add_u64 v[18:19], v[18:19], 0, 4
	v_lshl_add_u64 v[20:21], v[20:21], 0, 4
	s_addc_u32 s13, s27, -1
	s_mov_b64 s[14:15], 0
	s_mov_b64 s[40:41], 0
                                        ; implicit-def: $sgpr38_sgpr39
	s_branch .LBB453_99
.LBB453_97:                             ;   in Loop: Header=BB453_99 Depth=1
	global_load_dword v22, v[20:21], off
	global_load_dword v23, v[18:19], off
	s_add_u32 s40, s40, 1
	s_addc_u32 s41, s41, 0
	s_andn2_b64 s[38:39], s[38:39], exec
	v_lshl_add_u64 v[18:19], v[18:19], 0, 4
	v_lshl_add_u64 v[20:21], v[20:21], 0, 4
	s_waitcnt vmcnt(0)
	v_cmp_ne_u32_e32 vcc, v22, v23
	s_and_b64 s[42:43], vcc, exec
	s_or_b64 s[38:39], s[38:39], s[42:43]
.LBB453_98:                             ;   in Loop: Header=BB453_99 Depth=1
	s_and_b64 s[42:43], exec, s[38:39]
	s_or_b64 s[14:15], s[42:43], s[14:15]
	v_mov_b64_e32 v[22:23], s[40:41]
	s_andn2_b64 exec, exec, s[14:15]
	s_cbranch_execz .LBB453_101
.LBB453_99:                             ; =>This Inner Loop Header: Depth=1
	s_or_b64 s[38:39], s[38:39], exec
	s_cmp_eq_u64 s[12:13], s[40:41]
	s_cbranch_scc0 .LBB453_97
; %bb.100:                              ;   in Loop: Header=BB453_99 Depth=1
                                        ; implicit-def: $vgpr18_vgpr19
                                        ; implicit-def: $vgpr20_vgpr21
	s_mov_b64 s[40:41], s[26:27]
	s_branch .LBB453_98
.LBB453_101:
	s_or_b64 exec, exec, s[14:15]
	v_cmp_gt_i64_e32 vcc, s[26:27], v[22:23]
	s_orn2_b64 s[12:13], vcc, exec
.LBB453_102:
	s_or_b64 exec, exec, s[6:7]
.LBB453_103:
	s_and_b64 s[6:7], s[12:13], exec
.LBB453_104:
	s_or_b64 exec, exec, s[10:11]
	v_cmp_gt_u32_e32 vcc, s52, v31
	s_and_saveexec_b64 s[10:11], vcc
	s_cbranch_execz .LBB453_115
; %bb.105:
	s_and_b64 vcc, exec, s[4:5]
	s_mov_b64 s[12:13], 0
	s_cbranch_vccnz .LBB453_114
; %bb.106:
	v_mul_lo_u32 v20, v3, s26
	v_mul_lo_u32 v21, v2, s27
	v_mad_u64_u32 v[18:19], s[8:9], v2, s26, 0
	v_add3_u32 v19, v19, v21, v20
	v_mul_lo_u32 v20, v5, s26
	v_mul_lo_u32 v21, v4, s27
	v_mad_u64_u32 v[22:23], s[8:9], v4, s26, 0
	v_add3_u32 v23, v23, v21, v20
	v_lshl_add_u64 v[20:21], v[18:19], 2, s[28:29]
	v_lshl_add_u64 v[18:19], v[22:23], 2, s[28:29]
	global_load_dword v22, v[20:21], off
	global_load_dword v23, v[18:19], off
	s_mov_b64 s[12:13], -1
	s_waitcnt vmcnt(0)
	v_cmp_eq_u32_e32 vcc, v22, v23
	s_and_saveexec_b64 s[8:9], vcc
	s_cbranch_execz .LBB453_113
; %bb.107:
	s_add_u32 s12, s26, -1
	v_lshl_add_u64 v[18:19], v[18:19], 0, 4
	v_lshl_add_u64 v[20:21], v[20:21], 0, 4
	s_addc_u32 s13, s27, -1
	s_mov_b64 s[14:15], 0
	s_mov_b64 s[40:41], 0
                                        ; implicit-def: $sgpr38_sgpr39
	s_branch .LBB453_110
.LBB453_108:                            ;   in Loop: Header=BB453_110 Depth=1
	global_load_dword v22, v[20:21], off
	global_load_dword v23, v[18:19], off
	s_add_u32 s40, s40, 1
	s_addc_u32 s41, s41, 0
	s_andn2_b64 s[38:39], s[38:39], exec
	v_lshl_add_u64 v[18:19], v[18:19], 0, 4
	v_lshl_add_u64 v[20:21], v[20:21], 0, 4
	s_waitcnt vmcnt(0)
	v_cmp_ne_u32_e32 vcc, v22, v23
	s_and_b64 s[42:43], vcc, exec
	s_or_b64 s[38:39], s[38:39], s[42:43]
.LBB453_109:                            ;   in Loop: Header=BB453_110 Depth=1
	s_and_b64 s[42:43], exec, s[38:39]
	s_or_b64 s[14:15], s[42:43], s[14:15]
	v_mov_b64_e32 v[22:23], s[40:41]
	s_andn2_b64 exec, exec, s[14:15]
	s_cbranch_execz .LBB453_112
.LBB453_110:                            ; =>This Inner Loop Header: Depth=1
	s_or_b64 s[38:39], s[38:39], exec
	s_cmp_eq_u64 s[12:13], s[40:41]
	s_cbranch_scc0 .LBB453_108
; %bb.111:                              ;   in Loop: Header=BB453_110 Depth=1
                                        ; implicit-def: $vgpr18_vgpr19
                                        ; implicit-def: $vgpr20_vgpr21
	s_mov_b64 s[40:41], s[26:27]
	s_branch .LBB453_109
.LBB453_112:
	s_or_b64 exec, exec, s[14:15]
	v_cmp_gt_i64_e32 vcc, s[26:27], v[22:23]
	s_orn2_b64 s[12:13], vcc, exec
.LBB453_113:
	s_or_b64 exec, exec, s[8:9]
.LBB453_114:
	s_and_b64 s[8:9], s[12:13], exec
.LBB453_115:
	s_or_b64 exec, exec, s[10:11]
	v_cmp_gt_u32_e32 vcc, s52, v28
	s_mov_b64 s[12:13], 0
	s_mov_b64 s[10:11], 0
	s_and_saveexec_b64 s[14:15], vcc
	s_cbranch_execz .LBB453_126
; %bb.116:
	s_and_b64 vcc, exec, s[4:5]
	s_mov_b64 s[38:39], 0
	s_cbranch_vccnz .LBB453_125
; %bb.117:
	v_mul_lo_u32 v20, v9, s26
	v_mul_lo_u32 v21, v8, s27
	v_mad_u64_u32 v[18:19], s[10:11], v8, s26, 0
	v_add3_u32 v19, v19, v21, v20
	v_mul_lo_u32 v20, v3, s26
	v_mul_lo_u32 v21, v2, s27
	v_mad_u64_u32 v[22:23], s[10:11], v2, s26, 0
	v_add3_u32 v23, v23, v21, v20
	v_lshl_add_u64 v[20:21], v[18:19], 2, s[28:29]
	v_lshl_add_u64 v[18:19], v[22:23], 2, s[28:29]
	global_load_dword v22, v[20:21], off
	global_load_dword v23, v[18:19], off
	s_mov_b64 s[38:39], -1
	s_waitcnt vmcnt(0)
	v_cmp_eq_u32_e32 vcc, v22, v23
	s_and_saveexec_b64 s[10:11], vcc
	s_cbranch_execz .LBB453_124
; %bb.118:
	s_add_u32 s38, s26, -1
	v_lshl_add_u64 v[18:19], v[18:19], 0, 4
	v_lshl_add_u64 v[20:21], v[20:21], 0, 4
	s_addc_u32 s39, s27, -1
	s_mov_b64 s[40:41], 0
	s_mov_b64 s[44:45], 0
                                        ; implicit-def: $sgpr42_sgpr43
	s_branch .LBB453_121
.LBB453_119:                            ;   in Loop: Header=BB453_121 Depth=1
	global_load_dword v22, v[20:21], off
	global_load_dword v23, v[18:19], off
	s_add_u32 s44, s44, 1
	s_addc_u32 s45, s45, 0
	s_andn2_b64 s[42:43], s[42:43], exec
	v_lshl_add_u64 v[18:19], v[18:19], 0, 4
	v_lshl_add_u64 v[20:21], v[20:21], 0, 4
	s_waitcnt vmcnt(0)
	v_cmp_ne_u32_e32 vcc, v22, v23
	s_and_b64 s[46:47], vcc, exec
	s_or_b64 s[42:43], s[42:43], s[46:47]
.LBB453_120:                            ;   in Loop: Header=BB453_121 Depth=1
	s_and_b64 s[46:47], exec, s[42:43]
	s_or_b64 s[40:41], s[46:47], s[40:41]
	v_mov_b64_e32 v[22:23], s[44:45]
	s_andn2_b64 exec, exec, s[40:41]
	s_cbranch_execz .LBB453_123
.LBB453_121:                            ; =>This Inner Loop Header: Depth=1
	s_or_b64 s[42:43], s[42:43], exec
	s_cmp_eq_u64 s[38:39], s[44:45]
	s_cbranch_scc0 .LBB453_119
; %bb.122:                              ;   in Loop: Header=BB453_121 Depth=1
                                        ; implicit-def: $vgpr18_vgpr19
                                        ; implicit-def: $vgpr20_vgpr21
	s_mov_b64 s[44:45], s[26:27]
	s_branch .LBB453_120
.LBB453_123:
	s_or_b64 exec, exec, s[40:41]
	v_cmp_gt_i64_e32 vcc, s[26:27], v[22:23]
	s_orn2_b64 s[38:39], vcc, exec
.LBB453_124:
	s_or_b64 exec, exec, s[10:11]
.LBB453_125:
	s_and_b64 s[10:11], s[38:39], exec
.LBB453_126:
	s_or_b64 exec, exec, s[14:15]
	v_cmp_gt_u32_e32 vcc, s52, v30
	s_and_saveexec_b64 s[14:15], vcc
	s_cbranch_execz .LBB453_137
; %bb.127:
	s_and_b64 vcc, exec, s[4:5]
	s_mov_b64 s[38:39], 0
	s_cbranch_vccnz .LBB453_136
; %bb.128:
	v_mul_lo_u32 v20, v7, s26
	v_mul_lo_u32 v21, v6, s27
	v_mad_u64_u32 v[18:19], s[12:13], v6, s26, 0
	v_add3_u32 v19, v19, v21, v20
	v_mul_lo_u32 v20, v9, s26
	v_mul_lo_u32 v21, v8, s27
	v_mad_u64_u32 v[22:23], s[12:13], v8, s26, 0
	v_add3_u32 v23, v23, v21, v20
	v_lshl_add_u64 v[20:21], v[18:19], 2, s[28:29]
	v_lshl_add_u64 v[18:19], v[22:23], 2, s[28:29]
	global_load_dword v22, v[20:21], off
	global_load_dword v23, v[18:19], off
	s_mov_b64 s[38:39], -1
	s_waitcnt vmcnt(0)
	v_cmp_eq_u32_e32 vcc, v22, v23
	s_and_saveexec_b64 s[12:13], vcc
	s_cbranch_execz .LBB453_135
; %bb.129:
	s_add_u32 s38, s26, -1
	v_lshl_add_u64 v[18:19], v[18:19], 0, 4
	v_lshl_add_u64 v[20:21], v[20:21], 0, 4
	s_addc_u32 s39, s27, -1
	s_mov_b64 s[40:41], 0
	s_mov_b64 s[44:45], 0
                                        ; implicit-def: $sgpr42_sgpr43
	s_branch .LBB453_132
.LBB453_130:                            ;   in Loop: Header=BB453_132 Depth=1
	global_load_dword v22, v[20:21], off
	global_load_dword v23, v[18:19], off
	s_add_u32 s44, s44, 1
	s_addc_u32 s45, s45, 0
	s_andn2_b64 s[42:43], s[42:43], exec
	v_lshl_add_u64 v[18:19], v[18:19], 0, 4
	v_lshl_add_u64 v[20:21], v[20:21], 0, 4
	s_waitcnt vmcnt(0)
	v_cmp_ne_u32_e32 vcc, v22, v23
	s_and_b64 s[46:47], vcc, exec
	s_or_b64 s[42:43], s[42:43], s[46:47]
.LBB453_131:                            ;   in Loop: Header=BB453_132 Depth=1
	s_and_b64 s[46:47], exec, s[42:43]
	s_or_b64 s[40:41], s[46:47], s[40:41]
	v_mov_b64_e32 v[22:23], s[44:45]
	s_andn2_b64 exec, exec, s[40:41]
	s_cbranch_execz .LBB453_134
.LBB453_132:                            ; =>This Inner Loop Header: Depth=1
	s_or_b64 s[42:43], s[42:43], exec
	s_cmp_eq_u64 s[38:39], s[44:45]
	s_cbranch_scc0 .LBB453_130
; %bb.133:                              ;   in Loop: Header=BB453_132 Depth=1
                                        ; implicit-def: $vgpr18_vgpr19
                                        ; implicit-def: $vgpr20_vgpr21
	s_mov_b64 s[44:45], s[26:27]
	s_branch .LBB453_131
.LBB453_134:
	s_or_b64 exec, exec, s[40:41]
	v_cmp_gt_i64_e32 vcc, s[26:27], v[22:23]
	s_orn2_b64 s[38:39], vcc, exec
.LBB453_135:
	s_or_b64 exec, exec, s[12:13]
.LBB453_136:
	s_and_b64 s[12:13], s[38:39], exec
.LBB453_137:
	s_or_b64 exec, exec, s[14:15]
	v_cmp_gt_u32_e32 vcc, s52, v26
	s_mov_b64 s[14:15], 0
	s_mov_b64 s[38:39], 0
	s_and_saveexec_b64 s[40:41], vcc
	s_cbranch_execz .LBB453_148
; %bb.138:
	s_and_b64 vcc, exec, s[4:5]
	s_mov_b64 s[42:43], 0
	s_cbranch_vccnz .LBB453_147
; %bb.139:
	v_mul_lo_u32 v20, v13, s26
	v_mul_lo_u32 v21, v12, s27
	v_mad_u64_u32 v[18:19], s[38:39], v12, s26, 0
	v_add3_u32 v19, v19, v21, v20
	v_mul_lo_u32 v20, v7, s26
	v_mul_lo_u32 v21, v6, s27
	v_mad_u64_u32 v[22:23], s[38:39], v6, s26, 0
	v_add3_u32 v23, v23, v21, v20
	v_lshl_add_u64 v[20:21], v[18:19], 2, s[28:29]
	v_lshl_add_u64 v[18:19], v[22:23], 2, s[28:29]
	global_load_dword v22, v[20:21], off
	global_load_dword v23, v[18:19], off
	s_mov_b64 s[42:43], -1
	s_waitcnt vmcnt(0)
	v_cmp_eq_u32_e32 vcc, v22, v23
	s_and_saveexec_b64 s[38:39], vcc
	s_cbranch_execz .LBB453_146
; %bb.140:
	s_add_u32 s42, s26, -1
	v_lshl_add_u64 v[18:19], v[18:19], 0, 4
	v_lshl_add_u64 v[20:21], v[20:21], 0, 4
	s_addc_u32 s43, s27, -1
	s_mov_b64 s[44:45], 0
	s_mov_b64 s[48:49], 0
                                        ; implicit-def: $sgpr46_sgpr47
	s_branch .LBB453_143
.LBB453_141:                            ;   in Loop: Header=BB453_143 Depth=1
	global_load_dword v22, v[20:21], off
	global_load_dword v23, v[18:19], off
	s_add_u32 s48, s48, 1
	s_addc_u32 s49, s49, 0
	s_andn2_b64 s[46:47], s[46:47], exec
	v_lshl_add_u64 v[18:19], v[18:19], 0, 4
	v_lshl_add_u64 v[20:21], v[20:21], 0, 4
	s_waitcnt vmcnt(0)
	v_cmp_ne_u32_e32 vcc, v22, v23
	s_and_b64 s[50:51], vcc, exec
	s_or_b64 s[46:47], s[46:47], s[50:51]
.LBB453_142:                            ;   in Loop: Header=BB453_143 Depth=1
	s_and_b64 s[50:51], exec, s[46:47]
	s_or_b64 s[44:45], s[50:51], s[44:45]
	v_mov_b64_e32 v[22:23], s[48:49]
	s_andn2_b64 exec, exec, s[44:45]
	s_cbranch_execz .LBB453_145
.LBB453_143:                            ; =>This Inner Loop Header: Depth=1
	s_or_b64 s[46:47], s[46:47], exec
	s_cmp_eq_u64 s[42:43], s[48:49]
	s_cbranch_scc0 .LBB453_141
; %bb.144:                              ;   in Loop: Header=BB453_143 Depth=1
                                        ; implicit-def: $vgpr18_vgpr19
                                        ; implicit-def: $vgpr20_vgpr21
	s_mov_b64 s[48:49], s[26:27]
	s_branch .LBB453_142
.LBB453_145:
	s_or_b64 exec, exec, s[44:45]
	v_cmp_gt_i64_e32 vcc, s[26:27], v[22:23]
	s_orn2_b64 s[42:43], vcc, exec
.LBB453_146:
	s_or_b64 exec, exec, s[38:39]
.LBB453_147:
	s_and_b64 s[38:39], s[42:43], exec
.LBB453_148:
	s_or_b64 exec, exec, s[40:41]
	v_cmp_gt_u32_e32 vcc, s52, v27
	s_and_saveexec_b64 s[40:41], vcc
	s_cbranch_execz .LBB453_159
; %bb.149:
	s_and_b64 vcc, exec, s[4:5]
	s_mov_b64 s[42:43], 0
	s_cbranch_vccnz .LBB453_158
; %bb.150:
	v_mul_lo_u32 v20, v11, s26
	v_mul_lo_u32 v21, v10, s27
	v_mad_u64_u32 v[18:19], s[14:15], v10, s26, 0
	v_add3_u32 v19, v19, v21, v20
	v_mul_lo_u32 v20, v13, s26
	v_mul_lo_u32 v21, v12, s27
	v_mad_u64_u32 v[22:23], s[14:15], v12, s26, 0
	v_add3_u32 v23, v23, v21, v20
	v_lshl_add_u64 v[20:21], v[18:19], 2, s[28:29]
	v_lshl_add_u64 v[18:19], v[22:23], 2, s[28:29]
	global_load_dword v22, v[20:21], off
	global_load_dword v23, v[18:19], off
	s_mov_b64 s[42:43], -1
	s_waitcnt vmcnt(0)
	v_cmp_eq_u32_e32 vcc, v22, v23
	s_and_saveexec_b64 s[14:15], vcc
	s_cbranch_execz .LBB453_157
; %bb.151:
	s_add_u32 s42, s26, -1
	v_lshl_add_u64 v[18:19], v[18:19], 0, 4
	v_lshl_add_u64 v[20:21], v[20:21], 0, 4
	s_addc_u32 s43, s27, -1
	s_mov_b64 s[44:45], 0
	s_mov_b64 s[48:49], 0
                                        ; implicit-def: $sgpr46_sgpr47
	s_branch .LBB453_154
.LBB453_152:                            ;   in Loop: Header=BB453_154 Depth=1
	global_load_dword v22, v[20:21], off
	global_load_dword v23, v[18:19], off
	s_add_u32 s48, s48, 1
	s_addc_u32 s49, s49, 0
	s_andn2_b64 s[46:47], s[46:47], exec
	v_lshl_add_u64 v[18:19], v[18:19], 0, 4
	v_lshl_add_u64 v[20:21], v[20:21], 0, 4
	s_waitcnt vmcnt(0)
	v_cmp_ne_u32_e32 vcc, v22, v23
	s_and_b64 s[50:51], vcc, exec
	s_or_b64 s[46:47], s[46:47], s[50:51]
.LBB453_153:                            ;   in Loop: Header=BB453_154 Depth=1
	s_and_b64 s[50:51], exec, s[46:47]
	s_or_b64 s[44:45], s[50:51], s[44:45]
	v_mov_b64_e32 v[22:23], s[48:49]
	s_andn2_b64 exec, exec, s[44:45]
	s_cbranch_execz .LBB453_156
.LBB453_154:                            ; =>This Inner Loop Header: Depth=1
	s_or_b64 s[46:47], s[46:47], exec
	s_cmp_eq_u64 s[42:43], s[48:49]
	s_cbranch_scc0 .LBB453_152
; %bb.155:                              ;   in Loop: Header=BB453_154 Depth=1
                                        ; implicit-def: $vgpr18_vgpr19
                                        ; implicit-def: $vgpr20_vgpr21
	s_mov_b64 s[48:49], s[26:27]
	s_branch .LBB453_153
.LBB453_156:
	s_or_b64 exec, exec, s[44:45]
	v_cmp_gt_i64_e32 vcc, s[26:27], v[22:23]
	s_orn2_b64 s[42:43], vcc, exec
.LBB453_157:
	s_or_b64 exec, exec, s[14:15]
.LBB453_158:
	s_and_b64 s[14:15], s[42:43], exec
.LBB453_159:
	s_or_b64 exec, exec, s[40:41]
	s_waitcnt lgkmcnt(0)
	s_barrier
	s_and_saveexec_b64 s[40:41], s[2:3]
	s_cbranch_execz .LBB453_161
; %bb.160:
	s_waitcnt vmcnt(0)
	v_add_u32_e32 v16, -8, v33
	ds_read_b64 v[16:17], v16
.LBB453_161:
	s_or_b64 exec, exec, s[40:41]
	v_cndmask_b32_e64 v19, 0, 1, s[12:13]
	v_cndmask_b32_e64 v18, 0, 1, s[38:39]
	;; [unrolled: 1-line block ×3, first 2 shown]
	v_lshlrev_b16_e32 v19, 8, v19
	v_cmp_gt_u32_e32 vcc, s52, v1
	v_lshlrev_b16_e32 v22, 8, v20
	v_or_b32_sdwa v23, v18, v19 dst_sel:WORD_1 dst_unused:UNUSED_PAD src0_sel:DWORD src1_sel:DWORD
	s_mov_b64 s[12:13], 0
	s_and_saveexec_b64 s[14:15], vcc
	s_cbranch_execz .LBB453_172
; %bb.162:
	s_and_b64 vcc, exec, s[4:5]
	s_cbranch_vccnz .LBB453_171
; %bb.163:
	s_waitcnt vmcnt(0) lgkmcnt(0)
	v_mul_lo_u32 v18, v17, s26
	v_mul_lo_u32 v19, v16, s27
	v_mad_u64_u32 v[16:17], s[4:5], v16, s26, 0
	v_add3_u32 v17, v17, v19, v18
	v_mul_lo_u32 v18, v11, s26
	v_mul_lo_u32 v19, v10, s27
	v_mad_u64_u32 v[20:21], s[4:5], v10, s26, 0
	v_add3_u32 v21, v21, v19, v18
	v_lshl_add_u64 v[18:19], v[16:17], 2, s[28:29]
	v_lshl_add_u64 v[16:17], v[20:21], 2, s[28:29]
	global_load_dword v20, v[18:19], off
	global_load_dword v21, v[16:17], off
	s_mov_b64 s[12:13], -1
	s_waitcnt vmcnt(0)
	v_cmp_eq_u32_e32 vcc, v20, v21
	s_and_saveexec_b64 s[4:5], vcc
	s_cbranch_execz .LBB453_170
; %bb.164:
	s_add_u32 s12, s26, -1
	v_lshl_add_u64 v[16:17], v[16:17], 0, 4
	v_lshl_add_u64 v[18:19], v[18:19], 0, 4
	s_addc_u32 s13, s27, -1
	s_mov_b64 s[38:39], 0
	s_mov_b64 s[42:43], 0
                                        ; implicit-def: $sgpr40_sgpr41
	s_branch .LBB453_167
.LBB453_165:                            ;   in Loop: Header=BB453_167 Depth=1
	global_load_dword v20, v[18:19], off
	global_load_dword v21, v[16:17], off
	s_add_u32 s42, s42, 1
	s_addc_u32 s43, s43, 0
	s_andn2_b64 s[40:41], s[40:41], exec
	v_lshl_add_u64 v[16:17], v[16:17], 0, 4
	v_lshl_add_u64 v[18:19], v[18:19], 0, 4
	s_waitcnt vmcnt(0)
	v_cmp_ne_u32_e32 vcc, v20, v21
	s_and_b64 s[44:45], vcc, exec
	s_or_b64 s[40:41], s[40:41], s[44:45]
.LBB453_166:                            ;   in Loop: Header=BB453_167 Depth=1
	s_and_b64 s[44:45], exec, s[40:41]
	s_or_b64 s[38:39], s[44:45], s[38:39]
	v_mov_b64_e32 v[20:21], s[42:43]
	s_andn2_b64 exec, exec, s[38:39]
	s_cbranch_execz .LBB453_169
.LBB453_167:                            ; =>This Inner Loop Header: Depth=1
	s_or_b64 s[40:41], s[40:41], exec
	s_cmp_eq_u64 s[12:13], s[42:43]
	s_cbranch_scc0 .LBB453_165
; %bb.168:                              ;   in Loop: Header=BB453_167 Depth=1
                                        ; implicit-def: $vgpr16_vgpr17
                                        ; implicit-def: $vgpr18_vgpr19
	s_mov_b64 s[42:43], s[26:27]
	s_branch .LBB453_166
.LBB453_169:
	s_or_b64 exec, exec, s[38:39]
	v_cmp_gt_i64_e32 vcc, s[26:27], v[20:21]
	s_orn2_b64 s[12:13], vcc, exec
.LBB453_170:
	s_or_b64 exec, exec, s[4:5]
.LBB453_171:
	s_and_b64 s[12:13], s[12:13], exec
.LBB453_172:
	s_or_b64 exec, exec, s[14:15]
	v_cndmask_b32_e64 v25, 0, 1, s[10:11]
	v_cndmask_b32_e64 v34, 0, 1, s[8:9]
	;; [unrolled: 1-line block ×3, first 2 shown]
	v_or_b32_e32 v20, v22, v23
.LBB453_173:
	s_mov_b64 s[8:9], -1
	s_cbranch_execnz .LBB453_32
.LBB453_174:
	s_movk_i32 s4, 0xffd0
	v_mad_i32_i24 v24, v0, s4, v32
	s_mov_b64 s[10:11], 0
	v_cmp_gt_i64_e64 s[6:7], s[26:27], 0
	s_and_b64 vcc, exec, s[36:37]
	ds_write_b64 v24, v[14:15]
	s_cbranch_vccz .LBB453_182
; %bb.175:
	v_mul_lo_u32 v18, v5, s26
	v_mul_lo_u32 v19, v4, s27
	s_waitcnt vmcnt(0) lgkmcnt(1)
	v_mad_u64_u32 v[16:17], s[4:5], v4, s26, 0
	v_add3_u32 v17, v17, v19, v18
	v_cndmask_b32_e64 v18, 0, 1, s[6:7]
	v_cmp_ne_u32_e64 s[4:5], 1, v18
	s_andn2_b64 vcc, exec, s[6:7]
	v_lshl_add_u64 v[16:17], v[16:17], 2, s[28:29]
	s_cbranch_vccnz .LBB453_185
; %bb.176:
	v_mul_lo_u32 v20, v15, s26
	v_mul_lo_u32 v21, v14, s27
	v_mad_u64_u32 v[18:19], s[10:11], v14, s26, 0
	v_add3_u32 v19, v19, v21, v20
	v_lshl_add_u64 v[18:19], v[18:19], 2, s[28:29]
	global_load_dword v20, v[16:17], off
	global_load_dword v21, v[18:19], off
	s_mov_b64 s[10:11], -1
	s_waitcnt vmcnt(0)
	v_cmp_eq_u32_e32 vcc, v20, v21
	s_and_saveexec_b64 s[12:13], vcc
	s_cbranch_execz .LBB453_184
; %bb.177:
	s_add_u32 s10, s26, -1
	v_lshl_add_u64 v[18:19], v[18:19], 0, 4
	v_lshl_add_u64 v[20:21], v[16:17], 0, 4
	s_addc_u32 s11, s27, -1
	s_mov_b64 s[14:15], 0
	s_mov_b64 s[40:41], 0
                                        ; implicit-def: $sgpr38_sgpr39
	s_branch .LBB453_180
.LBB453_178:                            ;   in Loop: Header=BB453_180 Depth=1
	global_load_dword v22, v[20:21], off
	global_load_dword v23, v[18:19], off
	s_add_u32 s40, s40, 1
	s_addc_u32 s41, s41, 0
	s_andn2_b64 s[38:39], s[38:39], exec
	v_lshl_add_u64 v[18:19], v[18:19], 0, 4
	v_lshl_add_u64 v[20:21], v[20:21], 0, 4
	s_waitcnt vmcnt(0)
	v_cmp_ne_u32_e32 vcc, v22, v23
	s_and_b64 s[42:43], vcc, exec
	s_or_b64 s[38:39], s[38:39], s[42:43]
.LBB453_179:                            ;   in Loop: Header=BB453_180 Depth=1
	s_and_b64 s[42:43], exec, s[38:39]
	s_or_b64 s[14:15], s[42:43], s[14:15]
	v_mov_b64_e32 v[22:23], s[40:41]
	s_andn2_b64 exec, exec, s[14:15]
	s_cbranch_execz .LBB453_183
.LBB453_180:                            ; =>This Inner Loop Header: Depth=1
	s_or_b64 s[38:39], s[38:39], exec
	s_cmp_eq_u64 s[10:11], s[40:41]
	s_cbranch_scc0 .LBB453_178
; %bb.181:                              ;   in Loop: Header=BB453_180 Depth=1
                                        ; implicit-def: $vgpr18_vgpr19
                                        ; implicit-def: $vgpr20_vgpr21
	s_mov_b64 s[40:41], s[26:27]
	s_branch .LBB453_179
.LBB453_182:
                                        ; implicit-def: $sgpr12_sgpr13
                                        ; implicit-def: $vgpr35
                                        ; implicit-def: $vgpr34
                                        ; implicit-def: $vgpr25
                                        ; implicit-def: $vgpr20
                                        ; implicit-def: $vgpr16_vgpr17
	s_cbranch_execnz .LBB453_242
	s_branch .LBB453_322
.LBB453_183:
	s_or_b64 exec, exec, s[14:15]
	v_cmp_gt_i64_e32 vcc, s[26:27], v[22:23]
	s_orn2_b64 s[10:11], vcc, exec
.LBB453_184:
	s_or_b64 exec, exec, s[12:13]
.LBB453_185:
	v_mul_lo_u32 v20, v3, s26
	v_mul_lo_u32 v21, v2, s27
	v_mad_u64_u32 v[18:19], s[12:13], v2, s26, 0
	v_add3_u32 v19, v19, v21, v20
	s_mov_b64 s[12:13], 0
	s_and_b64 vcc, exec, s[4:5]
	v_lshl_add_u64 v[18:19], v[18:19], 2, s[28:29]
	s_mov_b64 s[14:15], 0
	s_cbranch_vccnz .LBB453_194
; %bb.186:
	global_load_dword v20, v[18:19], off
	global_load_dword v21, v[16:17], off
	s_mov_b64 s[14:15], -1
	s_waitcnt vmcnt(0)
	v_cmp_eq_u32_e32 vcc, v20, v21
	s_and_saveexec_b64 s[38:39], vcc
	s_cbranch_execz .LBB453_193
; %bb.187:
	s_add_u32 s14, s26, -1
	v_lshl_add_u64 v[16:17], v[16:17], 0, 4
	v_lshl_add_u64 v[20:21], v[18:19], 0, 4
	s_addc_u32 s15, s27, -1
	s_mov_b64 s[40:41], 0
	s_mov_b64 s[44:45], 0
                                        ; implicit-def: $sgpr42_sgpr43
	s_branch .LBB453_190
.LBB453_188:                            ;   in Loop: Header=BB453_190 Depth=1
	global_load_dword v22, v[20:21], off
	global_load_dword v23, v[16:17], off
	s_add_u32 s44, s44, 1
	s_addc_u32 s45, s45, 0
	s_andn2_b64 s[42:43], s[42:43], exec
	v_lshl_add_u64 v[16:17], v[16:17], 0, 4
	v_lshl_add_u64 v[20:21], v[20:21], 0, 4
	s_waitcnt vmcnt(0)
	v_cmp_ne_u32_e32 vcc, v22, v23
	s_and_b64 s[46:47], vcc, exec
	s_or_b64 s[42:43], s[42:43], s[46:47]
.LBB453_189:                            ;   in Loop: Header=BB453_190 Depth=1
	s_and_b64 s[46:47], exec, s[42:43]
	s_or_b64 s[40:41], s[46:47], s[40:41]
	v_mov_b64_e32 v[22:23], s[44:45]
	s_andn2_b64 exec, exec, s[40:41]
	s_cbranch_execz .LBB453_192
.LBB453_190:                            ; =>This Inner Loop Header: Depth=1
	s_or_b64 s[42:43], s[42:43], exec
	s_cmp_eq_u64 s[14:15], s[44:45]
	s_cbranch_scc0 .LBB453_188
; %bb.191:                              ;   in Loop: Header=BB453_190 Depth=1
                                        ; implicit-def: $vgpr16_vgpr17
                                        ; implicit-def: $vgpr20_vgpr21
	s_mov_b64 s[44:45], s[26:27]
	s_branch .LBB453_189
.LBB453_192:
	s_or_b64 exec, exec, s[40:41]
	v_cmp_gt_i64_e32 vcc, s[26:27], v[22:23]
	s_orn2_b64 s[14:15], vcc, exec
.LBB453_193:
	s_or_b64 exec, exec, s[38:39]
.LBB453_194:
	v_mul_lo_u32 v20, v9, s26
	v_mul_lo_u32 v21, v8, s27
	v_mad_u64_u32 v[16:17], s[38:39], v8, s26, 0
	v_add3_u32 v17, v17, v21, v20
	s_and_b64 vcc, exec, s[4:5]
	v_lshl_add_u64 v[16:17], v[16:17], 2, s[28:29]
	s_cbranch_vccnz .LBB453_203
; %bb.195:
	global_load_dword v20, v[16:17], off
	global_load_dword v21, v[18:19], off
	s_mov_b64 s[12:13], -1
	s_waitcnt vmcnt(0)
	v_cmp_eq_u32_e32 vcc, v20, v21
	s_and_saveexec_b64 s[38:39], vcc
	s_cbranch_execz .LBB453_202
; %bb.196:
	s_add_u32 s12, s26, -1
	v_lshl_add_u64 v[18:19], v[18:19], 0, 4
	v_lshl_add_u64 v[20:21], v[16:17], 0, 4
	s_addc_u32 s13, s27, -1
	s_mov_b64 s[40:41], 0
	s_mov_b64 s[44:45], 0
                                        ; implicit-def: $sgpr42_sgpr43
	s_branch .LBB453_199
.LBB453_197:                            ;   in Loop: Header=BB453_199 Depth=1
	global_load_dword v22, v[20:21], off
	global_load_dword v23, v[18:19], off
	s_add_u32 s44, s44, 1
	s_addc_u32 s45, s45, 0
	s_andn2_b64 s[42:43], s[42:43], exec
	v_lshl_add_u64 v[18:19], v[18:19], 0, 4
	v_lshl_add_u64 v[20:21], v[20:21], 0, 4
	s_waitcnt vmcnt(0)
	v_cmp_ne_u32_e32 vcc, v22, v23
	s_and_b64 s[46:47], vcc, exec
	s_or_b64 s[42:43], s[42:43], s[46:47]
.LBB453_198:                            ;   in Loop: Header=BB453_199 Depth=1
	s_and_b64 s[46:47], exec, s[42:43]
	s_or_b64 s[40:41], s[46:47], s[40:41]
	v_mov_b64_e32 v[22:23], s[44:45]
	s_andn2_b64 exec, exec, s[40:41]
	s_cbranch_execz .LBB453_201
.LBB453_199:                            ; =>This Inner Loop Header: Depth=1
	s_or_b64 s[42:43], s[42:43], exec
	s_cmp_eq_u64 s[12:13], s[44:45]
	s_cbranch_scc0 .LBB453_197
; %bb.200:                              ;   in Loop: Header=BB453_199 Depth=1
                                        ; implicit-def: $vgpr18_vgpr19
                                        ; implicit-def: $vgpr20_vgpr21
	s_mov_b64 s[44:45], s[26:27]
	s_branch .LBB453_198
.LBB453_201:
	s_or_b64 exec, exec, s[40:41]
	v_cmp_gt_i64_e32 vcc, s[26:27], v[22:23]
	s_orn2_b64 s[12:13], vcc, exec
.LBB453_202:
	s_or_b64 exec, exec, s[38:39]
.LBB453_203:
	v_mul_lo_u32 v20, v7, s26
	v_mul_lo_u32 v21, v6, s27
	v_mad_u64_u32 v[18:19], s[38:39], v6, s26, 0
	v_add3_u32 v19, v19, v21, v20
	s_mov_b64 s[38:39], 0
	s_and_b64 vcc, exec, s[4:5]
	v_lshl_add_u64 v[18:19], v[18:19], 2, s[28:29]
	s_mov_b64 s[40:41], 0
	s_cbranch_vccnz .LBB453_212
; %bb.204:
	global_load_dword v20, v[18:19], off
	global_load_dword v21, v[16:17], off
	s_mov_b64 s[40:41], -1
	s_waitcnt vmcnt(0)
	v_cmp_eq_u32_e32 vcc, v20, v21
	s_and_saveexec_b64 s[42:43], vcc
	s_cbranch_execz .LBB453_211
; %bb.205:
	s_add_u32 s40, s26, -1
	v_lshl_add_u64 v[16:17], v[16:17], 0, 4
	v_lshl_add_u64 v[20:21], v[18:19], 0, 4
	s_addc_u32 s41, s27, -1
	s_mov_b64 s[44:45], 0
	s_mov_b64 s[48:49], 0
                                        ; implicit-def: $sgpr46_sgpr47
	s_branch .LBB453_208
.LBB453_206:                            ;   in Loop: Header=BB453_208 Depth=1
	global_load_dword v22, v[20:21], off
	global_load_dword v23, v[16:17], off
	s_add_u32 s48, s48, 1
	s_addc_u32 s49, s49, 0
	s_andn2_b64 s[46:47], s[46:47], exec
	v_lshl_add_u64 v[16:17], v[16:17], 0, 4
	v_lshl_add_u64 v[20:21], v[20:21], 0, 4
	s_waitcnt vmcnt(0)
	v_cmp_ne_u32_e32 vcc, v22, v23
	s_and_b64 s[50:51], vcc, exec
	s_or_b64 s[46:47], s[46:47], s[50:51]
.LBB453_207:                            ;   in Loop: Header=BB453_208 Depth=1
	s_and_b64 s[50:51], exec, s[46:47]
	s_or_b64 s[44:45], s[50:51], s[44:45]
	v_mov_b64_e32 v[22:23], s[48:49]
	s_andn2_b64 exec, exec, s[44:45]
	s_cbranch_execz .LBB453_210
.LBB453_208:                            ; =>This Inner Loop Header: Depth=1
	s_or_b64 s[46:47], s[46:47], exec
	s_cmp_eq_u64 s[40:41], s[48:49]
	s_cbranch_scc0 .LBB453_206
; %bb.209:                              ;   in Loop: Header=BB453_208 Depth=1
                                        ; implicit-def: $vgpr16_vgpr17
                                        ; implicit-def: $vgpr20_vgpr21
	s_mov_b64 s[48:49], s[26:27]
	s_branch .LBB453_207
.LBB453_210:
	s_or_b64 exec, exec, s[44:45]
	v_cmp_gt_i64_e32 vcc, s[26:27], v[22:23]
	s_orn2_b64 s[40:41], vcc, exec
.LBB453_211:
	s_or_b64 exec, exec, s[42:43]
.LBB453_212:
	v_mul_lo_u32 v20, v13, s26
	v_mul_lo_u32 v21, v12, s27
	v_mad_u64_u32 v[16:17], s[42:43], v12, s26, 0
	v_add3_u32 v17, v17, v21, v20
	s_and_b64 vcc, exec, s[4:5]
	v_lshl_add_u64 v[16:17], v[16:17], 2, s[28:29]
	s_cbranch_vccnz .LBB453_221
; %bb.213:
	global_load_dword v20, v[16:17], off
	global_load_dword v21, v[18:19], off
	s_mov_b64 s[38:39], -1
	s_waitcnt vmcnt(0)
	v_cmp_eq_u32_e32 vcc, v20, v21
	s_and_saveexec_b64 s[42:43], vcc
	s_cbranch_execz .LBB453_220
; %bb.214:
	s_add_u32 s38, s26, -1
	v_lshl_add_u64 v[18:19], v[18:19], 0, 4
	v_lshl_add_u64 v[20:21], v[16:17], 0, 4
	s_addc_u32 s39, s27, -1
	s_mov_b64 s[44:45], 0
	s_mov_b64 s[48:49], 0
                                        ; implicit-def: $sgpr46_sgpr47
	s_branch .LBB453_217
.LBB453_215:                            ;   in Loop: Header=BB453_217 Depth=1
	global_load_dword v22, v[20:21], off
	global_load_dword v23, v[18:19], off
	s_add_u32 s48, s48, 1
	s_addc_u32 s49, s49, 0
	s_andn2_b64 s[46:47], s[46:47], exec
	v_lshl_add_u64 v[18:19], v[18:19], 0, 4
	v_lshl_add_u64 v[20:21], v[20:21], 0, 4
	s_waitcnt vmcnt(0)
	v_cmp_ne_u32_e32 vcc, v22, v23
	s_and_b64 s[50:51], vcc, exec
	s_or_b64 s[46:47], s[46:47], s[50:51]
.LBB453_216:                            ;   in Loop: Header=BB453_217 Depth=1
	s_and_b64 s[50:51], exec, s[46:47]
	s_or_b64 s[44:45], s[50:51], s[44:45]
	v_mov_b64_e32 v[22:23], s[48:49]
	s_andn2_b64 exec, exec, s[44:45]
	s_cbranch_execz .LBB453_219
.LBB453_217:                            ; =>This Inner Loop Header: Depth=1
	s_or_b64 s[46:47], s[46:47], exec
	s_cmp_eq_u64 s[38:39], s[48:49]
	s_cbranch_scc0 .LBB453_215
; %bb.218:                              ;   in Loop: Header=BB453_217 Depth=1
                                        ; implicit-def: $vgpr18_vgpr19
                                        ; implicit-def: $vgpr20_vgpr21
	s_mov_b64 s[48:49], s[26:27]
	s_branch .LBB453_216
.LBB453_219:
	s_or_b64 exec, exec, s[44:45]
	v_cmp_gt_i64_e32 vcc, s[26:27], v[22:23]
	s_orn2_b64 s[38:39], vcc, exec
.LBB453_220:
	s_or_b64 exec, exec, s[42:43]
.LBB453_221:
	v_mul_lo_u32 v20, v11, s26
	v_mul_lo_u32 v21, v10, s27
	v_mad_u64_u32 v[18:19], s[42:43], v10, s26, 0
	v_add3_u32 v19, v19, v21, v20
	s_and_b64 vcc, exec, s[4:5]
	s_mov_b64 s[44:45], 0
	s_cbranch_vccnz .LBB453_230
; %bb.222:
	v_lshl_add_u64 v[20:21], v[18:19], 2, s[28:29]
	global_load_dword v22, v[20:21], off
	global_load_dword v23, v[16:17], off
	s_mov_b64 s[44:45], -1
	s_waitcnt vmcnt(0)
	v_cmp_eq_u32_e32 vcc, v22, v23
	s_and_saveexec_b64 s[42:43], vcc
	s_cbranch_execz .LBB453_229
; %bb.223:
	s_add_u32 s44, s26, -1
	v_lshl_add_u64 v[16:17], v[16:17], 0, 4
	v_lshl_add_u64 v[20:21], v[20:21], 0, 4
	s_addc_u32 s45, s27, -1
	s_mov_b64 s[46:47], 0
	s_mov_b64 s[50:51], 0
                                        ; implicit-def: $sgpr48_sgpr49
	s_branch .LBB453_226
.LBB453_224:                            ;   in Loop: Header=BB453_226 Depth=1
	global_load_dword v22, v[20:21], off
	global_load_dword v23, v[16:17], off
	s_add_u32 s50, s50, 1
	s_addc_u32 s51, s51, 0
	s_andn2_b64 s[48:49], s[48:49], exec
	v_lshl_add_u64 v[16:17], v[16:17], 0, 4
	v_lshl_add_u64 v[20:21], v[20:21], 0, 4
	s_waitcnt vmcnt(0)
	v_cmp_ne_u32_e32 vcc, v22, v23
	s_and_b64 s[54:55], vcc, exec
	s_or_b64 s[48:49], s[48:49], s[54:55]
.LBB453_225:                            ;   in Loop: Header=BB453_226 Depth=1
	s_and_b64 s[54:55], exec, s[48:49]
	s_or_b64 s[46:47], s[54:55], s[46:47]
	v_mov_b64_e32 v[22:23], s[50:51]
	s_andn2_b64 exec, exec, s[46:47]
	s_cbranch_execz .LBB453_228
.LBB453_226:                            ; =>This Inner Loop Header: Depth=1
	s_or_b64 s[48:49], s[48:49], exec
	s_cmp_eq_u64 s[44:45], s[50:51]
	s_cbranch_scc0 .LBB453_224
; %bb.227:                              ;   in Loop: Header=BB453_226 Depth=1
                                        ; implicit-def: $vgpr16_vgpr17
                                        ; implicit-def: $vgpr20_vgpr21
	s_mov_b64 s[50:51], s[26:27]
	s_branch .LBB453_225
.LBB453_228:
	s_or_b64 exec, exec, s[46:47]
	v_cmp_gt_i64_e32 vcc, s[26:27], v[22:23]
	s_orn2_b64 s[44:45], vcc, exec
.LBB453_229:
	s_or_b64 exec, exec, s[42:43]
.LBB453_230:
	v_cndmask_b32_e64 v17, 0, 1, s[40:41]
	v_cndmask_b32_e64 v16, 0, 1, s[38:39]
	;; [unrolled: 1-line block ×3, first 2 shown]
	v_lshlrev_b16_e32 v17, 8, v17
	v_cndmask_b32_e64 v25, 0, 1, s[12:13]
	v_cndmask_b32_e64 v20, 0, 1, s[44:45]
	v_or_b32_sdwa v16, v16, v17 dst_sel:WORD_1 dst_unused:UNUSED_PAD src0_sel:DWORD src1_sel:DWORD
	v_lshlrev_b16_e32 v17, 8, v34
	v_lshlrev_b16_e32 v20, 8, v20
	v_or_b32_e32 v17, v25, v17
	v_or_b32_e32 v20, 1, v20
	v_and_b32_e32 v17, 0xffff, v17
	v_cndmask_b32_e64 v35, 0, 1, s[10:11]
	v_or_b32_sdwa v16, v20, v16 dst_sel:DWORD dst_unused:UNUSED_PAD src0_sel:WORD_0 src1_sel:DWORD
	v_lshl_or_b32 v17, v35, 16, v17
	s_waitcnt lgkmcnt(0)
	s_barrier
	s_waitcnt lgkmcnt(0)
                                        ; implicit-def: $sgpr12_sgpr13
                                        ; implicit-def: $vgpr20
	s_and_saveexec_b64 s[10:11], s[2:3]
	s_xor_b64 s[10:11], exec, s[10:11]
	s_cbranch_execz .LBB453_241
; %bb.231:
	s_mov_b32 s42, 0x3020104
	s_and_b64 vcc, exec, s[4:5]
	s_mov_b64 s[12:13], 0
	s_cbranch_vccnz .LBB453_240
; %bb.232:
	v_add_u32_e32 v17, -8, v24
	ds_read_b64 v[20:21], v17
	v_lshl_add_u64 v[18:19], v[18:19], 2, s[28:29]
	s_mov_b64 s[12:13], -1
	s_waitcnt lgkmcnt(0)
	v_mul_lo_u32 v17, v21, s26
	v_mul_lo_u32 v22, v20, s27
	v_mad_u64_u32 v[20:21], s[4:5], v20, s26, 0
	v_add3_u32 v21, v21, v22, v17
	v_lshl_add_u64 v[20:21], v[20:21], 2, s[28:29]
	global_load_dword v17, v[20:21], off
	global_load_dword v22, v[18:19], off
	s_waitcnt vmcnt(0)
	v_cmp_eq_u32_e32 vcc, v17, v22
	s_and_saveexec_b64 s[4:5], vcc
	s_cbranch_execz .LBB453_239
; %bb.233:
	s_add_u32 s12, s26, -1
	v_lshl_add_u64 v[18:19], v[18:19], 0, 4
	v_lshl_add_u64 v[20:21], v[20:21], 0, 4
	s_addc_u32 s13, s27, -1
	s_mov_b64 s[14:15], 0
	s_mov_b64 s[40:41], 0
                                        ; implicit-def: $sgpr38_sgpr39
	s_branch .LBB453_236
.LBB453_234:                            ;   in Loop: Header=BB453_236 Depth=1
	global_load_dword v17, v[20:21], off
	global_load_dword v22, v[18:19], off
	s_add_u32 s40, s40, 1
	s_addc_u32 s41, s41, 0
	s_andn2_b64 s[38:39], s[38:39], exec
	v_lshl_add_u64 v[18:19], v[18:19], 0, 4
	v_lshl_add_u64 v[20:21], v[20:21], 0, 4
	s_waitcnt vmcnt(0)
	v_cmp_ne_u32_e32 vcc, v17, v22
	s_and_b64 s[44:45], vcc, exec
	s_or_b64 s[38:39], s[38:39], s[44:45]
.LBB453_235:                            ;   in Loop: Header=BB453_236 Depth=1
	s_and_b64 s[44:45], exec, s[38:39]
	s_or_b64 s[14:15], s[44:45], s[14:15]
	v_mov_b64_e32 v[22:23], s[40:41]
	s_andn2_b64 exec, exec, s[14:15]
	s_cbranch_execz .LBB453_238
.LBB453_236:                            ; =>This Inner Loop Header: Depth=1
	s_or_b64 s[38:39], s[38:39], exec
	s_cmp_eq_u64 s[12:13], s[40:41]
	s_cbranch_scc0 .LBB453_234
; %bb.237:                              ;   in Loop: Header=BB453_236 Depth=1
                                        ; implicit-def: $vgpr18_vgpr19
                                        ; implicit-def: $vgpr20_vgpr21
	s_mov_b64 s[40:41], s[26:27]
	s_branch .LBB453_235
.LBB453_238:
	s_or_b64 exec, exec, s[14:15]
	v_cmp_gt_i64_e32 vcc, s[26:27], v[22:23]
	s_orn2_b64 s[12:13], vcc, exec
.LBB453_239:
	s_or_b64 exec, exec, s[4:5]
.LBB453_240:
	v_perm_b32 v20, v16, v16, s42
	s_and_b64 s[12:13], s[12:13], exec
	s_or_b64 s[8:9], s[8:9], exec
                                        ; implicit-def: $vgpr16_vgpr17
.LBB453_241:
	s_or_b64 exec, exec, s[10:11]
	s_branch .LBB453_322
.LBB453_242:
	v_cmp_gt_u32_e32 vcc, s52, v29
	s_mov_b64 s[10:11], 0
	s_mov_b64 s[4:5], 0
	s_and_saveexec_b64 s[12:13], vcc
	s_cbranch_execz .LBB453_253
; %bb.243:
	s_andn2_b64 vcc, exec, s[6:7]
	s_mov_b64 s[14:15], 0
	s_cbranch_vccnz .LBB453_252
; %bb.244:
	v_mul_lo_u32 v18, v5, s26
	v_mul_lo_u32 v19, v4, s27
	s_waitcnt vmcnt(0) lgkmcnt(1)
	v_mad_u64_u32 v[16:17], s[4:5], v4, s26, 0
	v_add3_u32 v17, v17, v19, v18
	v_mul_lo_u32 v18, v15, s26
	v_mul_lo_u32 v19, v14, s27
	v_mad_u64_u32 v[20:21], s[4:5], v14, s26, 0
	v_add3_u32 v21, v21, v19, v18
	v_lshl_add_u64 v[18:19], v[16:17], 2, s[28:29]
	v_lshl_add_u64 v[16:17], v[20:21], 2, s[28:29]
	global_load_dword v20, v[18:19], off
	global_load_dword v21, v[16:17], off
	s_mov_b64 s[14:15], -1
	s_waitcnt vmcnt(0)
	v_cmp_eq_u32_e32 vcc, v20, v21
	s_and_saveexec_b64 s[4:5], vcc
	s_cbranch_execz .LBB453_251
; %bb.245:
	s_add_u32 s14, s26, -1
	v_lshl_add_u64 v[16:17], v[16:17], 0, 4
	v_lshl_add_u64 v[18:19], v[18:19], 0, 4
	s_addc_u32 s15, s27, -1
	s_mov_b64 s[38:39], 0
	s_mov_b64 s[42:43], 0
                                        ; implicit-def: $sgpr40_sgpr41
	s_branch .LBB453_248
.LBB453_246:                            ;   in Loop: Header=BB453_248 Depth=1
	global_load_dword v20, v[18:19], off
	global_load_dword v21, v[16:17], off
	s_add_u32 s42, s42, 1
	s_addc_u32 s43, s43, 0
	s_andn2_b64 s[40:41], s[40:41], exec
	v_lshl_add_u64 v[16:17], v[16:17], 0, 4
	v_lshl_add_u64 v[18:19], v[18:19], 0, 4
	s_waitcnt vmcnt(0)
	v_cmp_ne_u32_e32 vcc, v20, v21
	s_and_b64 s[44:45], vcc, exec
	s_or_b64 s[40:41], s[40:41], s[44:45]
.LBB453_247:                            ;   in Loop: Header=BB453_248 Depth=1
	s_and_b64 s[44:45], exec, s[40:41]
	s_or_b64 s[38:39], s[44:45], s[38:39]
	v_mov_b64_e32 v[20:21], s[42:43]
	s_andn2_b64 exec, exec, s[38:39]
	s_cbranch_execz .LBB453_250
.LBB453_248:                            ; =>This Inner Loop Header: Depth=1
	s_or_b64 s[40:41], s[40:41], exec
	s_cmp_eq_u64 s[14:15], s[42:43]
	s_cbranch_scc0 .LBB453_246
; %bb.249:                              ;   in Loop: Header=BB453_248 Depth=1
                                        ; implicit-def: $vgpr16_vgpr17
                                        ; implicit-def: $vgpr18_vgpr19
	s_mov_b64 s[42:43], s[26:27]
	s_branch .LBB453_247
.LBB453_250:
	s_or_b64 exec, exec, s[38:39]
	v_cmp_gt_i64_e32 vcc, s[26:27], v[20:21]
	s_orn2_b64 s[14:15], vcc, exec
.LBB453_251:
	s_or_b64 exec, exec, s[4:5]
.LBB453_252:
	s_and_b64 s[4:5], s[14:15], exec
.LBB453_253:
	s_or_b64 exec, exec, s[12:13]
	v_cmp_gt_u32_e32 vcc, s52, v31
	s_and_saveexec_b64 s[12:13], vcc
	s_cbranch_execz .LBB453_264
; %bb.254:
	s_andn2_b64 vcc, exec, s[6:7]
	s_mov_b64 s[14:15], 0
	s_cbranch_vccnz .LBB453_263
; %bb.255:
	v_mul_lo_u32 v18, v3, s26
	v_mul_lo_u32 v19, v2, s27
	s_waitcnt vmcnt(0) lgkmcnt(1)
	v_mad_u64_u32 v[16:17], s[10:11], v2, s26, 0
	v_add3_u32 v17, v17, v19, v18
	v_mul_lo_u32 v18, v5, s26
	v_mul_lo_u32 v19, v4, s27
	v_mad_u64_u32 v[20:21], s[10:11], v4, s26, 0
	v_add3_u32 v21, v21, v19, v18
	v_lshl_add_u64 v[18:19], v[16:17], 2, s[28:29]
	v_lshl_add_u64 v[16:17], v[20:21], 2, s[28:29]
	global_load_dword v20, v[18:19], off
	global_load_dword v21, v[16:17], off
	s_mov_b64 s[14:15], -1
	s_waitcnt vmcnt(0)
	v_cmp_eq_u32_e32 vcc, v20, v21
	s_and_saveexec_b64 s[10:11], vcc
	s_cbranch_execz .LBB453_262
; %bb.256:
	s_add_u32 s14, s26, -1
	v_lshl_add_u64 v[16:17], v[16:17], 0, 4
	v_lshl_add_u64 v[18:19], v[18:19], 0, 4
	s_addc_u32 s15, s27, -1
	s_mov_b64 s[38:39], 0
	s_mov_b64 s[42:43], 0
                                        ; implicit-def: $sgpr40_sgpr41
	s_branch .LBB453_259
.LBB453_257:                            ;   in Loop: Header=BB453_259 Depth=1
	global_load_dword v20, v[18:19], off
	global_load_dword v21, v[16:17], off
	s_add_u32 s42, s42, 1
	s_addc_u32 s43, s43, 0
	s_andn2_b64 s[40:41], s[40:41], exec
	v_lshl_add_u64 v[16:17], v[16:17], 0, 4
	v_lshl_add_u64 v[18:19], v[18:19], 0, 4
	s_waitcnt vmcnt(0)
	v_cmp_ne_u32_e32 vcc, v20, v21
	s_and_b64 s[44:45], vcc, exec
	s_or_b64 s[40:41], s[40:41], s[44:45]
.LBB453_258:                            ;   in Loop: Header=BB453_259 Depth=1
	s_and_b64 s[44:45], exec, s[40:41]
	s_or_b64 s[38:39], s[44:45], s[38:39]
	v_mov_b64_e32 v[20:21], s[42:43]
	s_andn2_b64 exec, exec, s[38:39]
	s_cbranch_execz .LBB453_261
.LBB453_259:                            ; =>This Inner Loop Header: Depth=1
	s_or_b64 s[40:41], s[40:41], exec
	s_cmp_eq_u64 s[14:15], s[42:43]
	s_cbranch_scc0 .LBB453_257
; %bb.260:                              ;   in Loop: Header=BB453_259 Depth=1
                                        ; implicit-def: $vgpr16_vgpr17
                                        ; implicit-def: $vgpr18_vgpr19
	s_mov_b64 s[42:43], s[26:27]
	s_branch .LBB453_258
.LBB453_261:
	s_or_b64 exec, exec, s[38:39]
	v_cmp_gt_i64_e32 vcc, s[26:27], v[20:21]
	s_orn2_b64 s[14:15], vcc, exec
.LBB453_262:
	s_or_b64 exec, exec, s[10:11]
.LBB453_263:
	s_and_b64 s[10:11], s[14:15], exec
.LBB453_264:
	s_or_b64 exec, exec, s[12:13]
	v_cmp_gt_u32_e32 vcc, s52, v28
	s_mov_b64 s[14:15], 0
	s_mov_b64 s[12:13], 0
	s_and_saveexec_b64 s[38:39], vcc
	s_cbranch_execz .LBB453_275
; %bb.265:
	s_andn2_b64 vcc, exec, s[6:7]
	s_mov_b64 s[40:41], 0
	s_cbranch_vccnz .LBB453_274
; %bb.266:
	v_mul_lo_u32 v18, v9, s26
	v_mul_lo_u32 v19, v8, s27
	s_waitcnt vmcnt(0) lgkmcnt(1)
	v_mad_u64_u32 v[16:17], s[12:13], v8, s26, 0
	v_add3_u32 v17, v17, v19, v18
	v_mul_lo_u32 v18, v3, s26
	v_mul_lo_u32 v19, v2, s27
	v_mad_u64_u32 v[20:21], s[12:13], v2, s26, 0
	v_add3_u32 v21, v21, v19, v18
	v_lshl_add_u64 v[18:19], v[16:17], 2, s[28:29]
	v_lshl_add_u64 v[16:17], v[20:21], 2, s[28:29]
	global_load_dword v20, v[18:19], off
	global_load_dword v21, v[16:17], off
	s_mov_b64 s[40:41], -1
	s_waitcnt vmcnt(0)
	v_cmp_eq_u32_e32 vcc, v20, v21
	s_and_saveexec_b64 s[12:13], vcc
	s_cbranch_execz .LBB453_273
; %bb.267:
	s_add_u32 s40, s26, -1
	v_lshl_add_u64 v[16:17], v[16:17], 0, 4
	v_lshl_add_u64 v[18:19], v[18:19], 0, 4
	s_addc_u32 s41, s27, -1
	s_mov_b64 s[42:43], 0
	s_mov_b64 s[46:47], 0
                                        ; implicit-def: $sgpr44_sgpr45
	s_branch .LBB453_270
.LBB453_268:                            ;   in Loop: Header=BB453_270 Depth=1
	global_load_dword v20, v[18:19], off
	global_load_dword v21, v[16:17], off
	s_add_u32 s46, s46, 1
	s_addc_u32 s47, s47, 0
	s_andn2_b64 s[44:45], s[44:45], exec
	v_lshl_add_u64 v[16:17], v[16:17], 0, 4
	v_lshl_add_u64 v[18:19], v[18:19], 0, 4
	s_waitcnt vmcnt(0)
	v_cmp_ne_u32_e32 vcc, v20, v21
	s_and_b64 s[48:49], vcc, exec
	s_or_b64 s[44:45], s[44:45], s[48:49]
.LBB453_269:                            ;   in Loop: Header=BB453_270 Depth=1
	s_and_b64 s[48:49], exec, s[44:45]
	s_or_b64 s[42:43], s[48:49], s[42:43]
	v_mov_b64_e32 v[20:21], s[46:47]
	s_andn2_b64 exec, exec, s[42:43]
	s_cbranch_execz .LBB453_272
.LBB453_270:                            ; =>This Inner Loop Header: Depth=1
	s_or_b64 s[44:45], s[44:45], exec
	s_cmp_eq_u64 s[40:41], s[46:47]
	s_cbranch_scc0 .LBB453_268
; %bb.271:                              ;   in Loop: Header=BB453_270 Depth=1
                                        ; implicit-def: $vgpr16_vgpr17
                                        ; implicit-def: $vgpr18_vgpr19
	s_mov_b64 s[46:47], s[26:27]
	s_branch .LBB453_269
.LBB453_272:
	s_or_b64 exec, exec, s[42:43]
	v_cmp_gt_i64_e32 vcc, s[26:27], v[20:21]
	s_orn2_b64 s[40:41], vcc, exec
.LBB453_273:
	s_or_b64 exec, exec, s[12:13]
.LBB453_274:
	s_and_b64 s[12:13], s[40:41], exec
.LBB453_275:
	s_or_b64 exec, exec, s[38:39]
	v_cmp_gt_u32_e32 vcc, s52, v30
	s_and_saveexec_b64 s[38:39], vcc
	s_cbranch_execz .LBB453_286
; %bb.276:
	s_andn2_b64 vcc, exec, s[6:7]
	s_mov_b64 s[40:41], 0
	s_cbranch_vccnz .LBB453_285
; %bb.277:
	v_mul_lo_u32 v18, v7, s26
	v_mul_lo_u32 v19, v6, s27
	s_waitcnt vmcnt(0) lgkmcnt(1)
	v_mad_u64_u32 v[16:17], s[14:15], v6, s26, 0
	v_add3_u32 v17, v17, v19, v18
	v_mul_lo_u32 v18, v9, s26
	v_mul_lo_u32 v19, v8, s27
	v_mad_u64_u32 v[20:21], s[14:15], v8, s26, 0
	v_add3_u32 v21, v21, v19, v18
	v_lshl_add_u64 v[18:19], v[16:17], 2, s[28:29]
	v_lshl_add_u64 v[16:17], v[20:21], 2, s[28:29]
	global_load_dword v20, v[18:19], off
	global_load_dword v21, v[16:17], off
	s_mov_b64 s[40:41], -1
	s_waitcnt vmcnt(0)
	v_cmp_eq_u32_e32 vcc, v20, v21
	s_and_saveexec_b64 s[14:15], vcc
	s_cbranch_execz .LBB453_284
; %bb.278:
	s_add_u32 s40, s26, -1
	v_lshl_add_u64 v[16:17], v[16:17], 0, 4
	v_lshl_add_u64 v[18:19], v[18:19], 0, 4
	s_addc_u32 s41, s27, -1
	s_mov_b64 s[42:43], 0
	s_mov_b64 s[46:47], 0
                                        ; implicit-def: $sgpr44_sgpr45
	s_branch .LBB453_281
.LBB453_279:                            ;   in Loop: Header=BB453_281 Depth=1
	global_load_dword v20, v[18:19], off
	global_load_dword v21, v[16:17], off
	s_add_u32 s46, s46, 1
	s_addc_u32 s47, s47, 0
	s_andn2_b64 s[44:45], s[44:45], exec
	v_lshl_add_u64 v[16:17], v[16:17], 0, 4
	v_lshl_add_u64 v[18:19], v[18:19], 0, 4
	s_waitcnt vmcnt(0)
	v_cmp_ne_u32_e32 vcc, v20, v21
	s_and_b64 s[48:49], vcc, exec
	s_or_b64 s[44:45], s[44:45], s[48:49]
.LBB453_280:                            ;   in Loop: Header=BB453_281 Depth=1
	s_and_b64 s[48:49], exec, s[44:45]
	s_or_b64 s[42:43], s[48:49], s[42:43]
	v_mov_b64_e32 v[20:21], s[46:47]
	s_andn2_b64 exec, exec, s[42:43]
	s_cbranch_execz .LBB453_283
.LBB453_281:                            ; =>This Inner Loop Header: Depth=1
	s_or_b64 s[44:45], s[44:45], exec
	s_cmp_eq_u64 s[40:41], s[46:47]
	s_cbranch_scc0 .LBB453_279
; %bb.282:                              ;   in Loop: Header=BB453_281 Depth=1
                                        ; implicit-def: $vgpr16_vgpr17
                                        ; implicit-def: $vgpr18_vgpr19
	s_mov_b64 s[46:47], s[26:27]
	s_branch .LBB453_280
.LBB453_283:
	s_or_b64 exec, exec, s[42:43]
	v_cmp_gt_i64_e32 vcc, s[26:27], v[20:21]
	s_orn2_b64 s[40:41], vcc, exec
.LBB453_284:
	s_or_b64 exec, exec, s[14:15]
.LBB453_285:
	s_and_b64 s[14:15], s[40:41], exec
.LBB453_286:
	s_or_b64 exec, exec, s[38:39]
	v_cmp_gt_u32_e32 vcc, s52, v26
	s_mov_b64 s[38:39], 0
	s_mov_b64 s[40:41], 0
	s_and_saveexec_b64 s[42:43], vcc
	s_cbranch_execz .LBB453_297
; %bb.287:
	s_andn2_b64 vcc, exec, s[6:7]
	s_mov_b64 s[44:45], 0
	s_cbranch_vccnz .LBB453_296
; %bb.288:
	v_mul_lo_u32 v18, v13, s26
	v_mul_lo_u32 v19, v12, s27
	s_waitcnt vmcnt(0) lgkmcnt(1)
	v_mad_u64_u32 v[16:17], s[40:41], v12, s26, 0
	v_add3_u32 v17, v17, v19, v18
	v_mul_lo_u32 v18, v7, s26
	v_mul_lo_u32 v19, v6, s27
	v_mad_u64_u32 v[20:21], s[40:41], v6, s26, 0
	v_add3_u32 v21, v21, v19, v18
	v_lshl_add_u64 v[18:19], v[16:17], 2, s[28:29]
	v_lshl_add_u64 v[16:17], v[20:21], 2, s[28:29]
	global_load_dword v20, v[18:19], off
	global_load_dword v21, v[16:17], off
	s_mov_b64 s[44:45], -1
	s_waitcnt vmcnt(0)
	v_cmp_eq_u32_e32 vcc, v20, v21
	s_and_saveexec_b64 s[40:41], vcc
	s_cbranch_execz .LBB453_295
; %bb.289:
	s_add_u32 s44, s26, -1
	v_lshl_add_u64 v[16:17], v[16:17], 0, 4
	v_lshl_add_u64 v[18:19], v[18:19], 0, 4
	s_addc_u32 s45, s27, -1
	s_mov_b64 s[46:47], 0
	s_mov_b64 s[50:51], 0
                                        ; implicit-def: $sgpr48_sgpr49
	s_branch .LBB453_292
.LBB453_290:                            ;   in Loop: Header=BB453_292 Depth=1
	global_load_dword v20, v[18:19], off
	global_load_dword v21, v[16:17], off
	s_add_u32 s50, s50, 1
	s_addc_u32 s51, s51, 0
	s_andn2_b64 s[48:49], s[48:49], exec
	v_lshl_add_u64 v[16:17], v[16:17], 0, 4
	v_lshl_add_u64 v[18:19], v[18:19], 0, 4
	s_waitcnt vmcnt(0)
	v_cmp_ne_u32_e32 vcc, v20, v21
	s_and_b64 s[54:55], vcc, exec
	s_or_b64 s[48:49], s[48:49], s[54:55]
.LBB453_291:                            ;   in Loop: Header=BB453_292 Depth=1
	s_and_b64 s[54:55], exec, s[48:49]
	s_or_b64 s[46:47], s[54:55], s[46:47]
	v_mov_b64_e32 v[20:21], s[50:51]
	s_andn2_b64 exec, exec, s[46:47]
	s_cbranch_execz .LBB453_294
.LBB453_292:                            ; =>This Inner Loop Header: Depth=1
	s_or_b64 s[48:49], s[48:49], exec
	s_cmp_eq_u64 s[44:45], s[50:51]
	s_cbranch_scc0 .LBB453_290
; %bb.293:                              ;   in Loop: Header=BB453_292 Depth=1
                                        ; implicit-def: $vgpr16_vgpr17
                                        ; implicit-def: $vgpr18_vgpr19
	s_mov_b64 s[50:51], s[26:27]
	s_branch .LBB453_291
.LBB453_294:
	s_or_b64 exec, exec, s[46:47]
	v_cmp_gt_i64_e32 vcc, s[26:27], v[20:21]
	s_orn2_b64 s[44:45], vcc, exec
.LBB453_295:
	s_or_b64 exec, exec, s[40:41]
.LBB453_296:
	s_and_b64 s[40:41], s[44:45], exec
.LBB453_297:
	s_or_b64 exec, exec, s[42:43]
	v_cmp_gt_u32_e32 vcc, s52, v27
	s_and_saveexec_b64 s[42:43], vcc
	s_cbranch_execz .LBB453_308
; %bb.298:
	s_andn2_b64 vcc, exec, s[6:7]
	s_mov_b64 s[44:45], 0
	s_cbranch_vccnz .LBB453_307
; %bb.299:
	v_mul_lo_u32 v18, v11, s26
	v_mul_lo_u32 v19, v10, s27
	s_waitcnt vmcnt(0) lgkmcnt(1)
	v_mad_u64_u32 v[16:17], s[38:39], v10, s26, 0
	v_add3_u32 v17, v17, v19, v18
	v_mul_lo_u32 v18, v13, s26
	v_mul_lo_u32 v19, v12, s27
	v_mad_u64_u32 v[20:21], s[38:39], v12, s26, 0
	v_add3_u32 v21, v21, v19, v18
	v_lshl_add_u64 v[18:19], v[16:17], 2, s[28:29]
	v_lshl_add_u64 v[16:17], v[20:21], 2, s[28:29]
	global_load_dword v20, v[18:19], off
	global_load_dword v21, v[16:17], off
	s_mov_b64 s[44:45], -1
	s_waitcnt vmcnt(0)
	v_cmp_eq_u32_e32 vcc, v20, v21
	s_and_saveexec_b64 s[38:39], vcc
	s_cbranch_execz .LBB453_306
; %bb.300:
	s_add_u32 s44, s26, -1
	v_lshl_add_u64 v[16:17], v[16:17], 0, 4
	v_lshl_add_u64 v[18:19], v[18:19], 0, 4
	s_addc_u32 s45, s27, -1
	s_mov_b64 s[46:47], 0
	s_mov_b64 s[50:51], 0
                                        ; implicit-def: $sgpr48_sgpr49
	s_branch .LBB453_303
.LBB453_301:                            ;   in Loop: Header=BB453_303 Depth=1
	global_load_dword v20, v[18:19], off
	global_load_dword v21, v[16:17], off
	s_add_u32 s50, s50, 1
	s_addc_u32 s51, s51, 0
	s_andn2_b64 s[48:49], s[48:49], exec
	v_lshl_add_u64 v[16:17], v[16:17], 0, 4
	v_lshl_add_u64 v[18:19], v[18:19], 0, 4
	s_waitcnt vmcnt(0)
	v_cmp_ne_u32_e32 vcc, v20, v21
	s_and_b64 s[54:55], vcc, exec
	s_or_b64 s[48:49], s[48:49], s[54:55]
.LBB453_302:                            ;   in Loop: Header=BB453_303 Depth=1
	s_and_b64 s[54:55], exec, s[48:49]
	s_or_b64 s[46:47], s[54:55], s[46:47]
	v_mov_b64_e32 v[20:21], s[50:51]
	s_andn2_b64 exec, exec, s[46:47]
	s_cbranch_execz .LBB453_305
.LBB453_303:                            ; =>This Inner Loop Header: Depth=1
	s_or_b64 s[48:49], s[48:49], exec
	s_cmp_eq_u64 s[44:45], s[50:51]
	s_cbranch_scc0 .LBB453_301
; %bb.304:                              ;   in Loop: Header=BB453_303 Depth=1
                                        ; implicit-def: $vgpr16_vgpr17
                                        ; implicit-def: $vgpr18_vgpr19
	s_mov_b64 s[50:51], s[26:27]
	s_branch .LBB453_302
.LBB453_305:
	s_or_b64 exec, exec, s[46:47]
	v_cmp_gt_i64_e32 vcc, s[26:27], v[20:21]
	s_orn2_b64 s[44:45], vcc, exec
.LBB453_306:
	s_or_b64 exec, exec, s[38:39]
.LBB453_307:
	s_and_b64 s[38:39], s[44:45], exec
.LBB453_308:
	s_or_b64 exec, exec, s[42:43]
	s_waitcnt vmcnt(0) lgkmcnt(1)
	v_cndmask_b32_e64 v17, 0, 1, s[14:15]
	v_cndmask_b32_e64 v16, 0, 1, s[40:41]
	;; [unrolled: 1-line block ×3, first 2 shown]
	v_lshlrev_b16_e32 v17, 8, v17
	v_cndmask_b32_e64 v25, 0, 1, s[12:13]
	v_cndmask_b32_e64 v18, 0, 1, s[38:39]
	v_or_b32_sdwa v16, v16, v17 dst_sel:WORD_1 dst_unused:UNUSED_PAD src0_sel:DWORD src1_sel:DWORD
	v_lshlrev_b16_e32 v17, 8, v34
	v_lshlrev_b16_e32 v18, 8, v18
	v_or_b32_e32 v17, v25, v17
	v_or_b32_e32 v18, 1, v18
	v_and_b32_e32 v17, 0xffff, v17
	v_cndmask_b32_e64 v35, 0, 1, s[4:5]
	v_or_b32_sdwa v16, v18, v16 dst_sel:DWORD dst_unused:UNUSED_PAD src0_sel:WORD_0 src1_sel:DWORD
	v_lshl_or_b32 v17, v35, 16, v17
	s_waitcnt lgkmcnt(0)
	s_barrier
	s_waitcnt lgkmcnt(0)
                                        ; implicit-def: $sgpr12_sgpr13
                                        ; implicit-def: $vgpr20
	s_and_saveexec_b64 s[4:5], s[2:3]
	s_cbranch_execz .LBB453_321
; %bb.309:
	v_cmp_gt_u32_e32 vcc, s52, v1
	s_mov_b32 s38, 0x3020104
	s_mov_b64 s[10:11], 0
	s_and_saveexec_b64 s[2:3], vcc
	s_cbranch_execz .LBB453_320
; %bb.310:
	s_andn2_b64 vcc, exec, s[6:7]
	s_cbranch_vccnz .LBB453_319
; %bb.311:
	v_add_u32_e32 v17, -8, v24
	ds_read_b64 v[18:19], v17
	v_mul_lo_u32 v17, v11, s26
	v_mad_u64_u32 v[22:23], s[6:7], v10, s26, 0
	s_mov_b64 s[10:11], -1
	s_waitcnt lgkmcnt(0)
	v_mul_lo_u32 v20, v19, s26
	v_mul_lo_u32 v21, v18, s27
	v_mad_u64_u32 v[18:19], s[6:7], v18, s26, 0
	v_add3_u32 v19, v19, v21, v20
	v_mul_lo_u32 v20, v10, s27
	v_add3_u32 v23, v23, v20, v17
	v_lshl_add_u64 v[20:21], v[18:19], 2, s[28:29]
	v_lshl_add_u64 v[18:19], v[22:23], 2, s[28:29]
	global_load_dword v17, v[20:21], off
	global_load_dword v22, v[18:19], off
	s_waitcnt vmcnt(0)
	v_cmp_eq_u32_e32 vcc, v17, v22
	s_and_saveexec_b64 s[6:7], vcc
	s_cbranch_execz .LBB453_318
; %bb.312:
	s_add_u32 s10, s26, -1
	v_lshl_add_u64 v[18:19], v[18:19], 0, 4
	v_lshl_add_u64 v[20:21], v[20:21], 0, 4
	s_addc_u32 s11, s27, -1
	s_mov_b64 s[12:13], 0
	s_mov_b64 s[28:29], 0
                                        ; implicit-def: $sgpr14_sgpr15
	s_branch .LBB453_315
.LBB453_313:                            ;   in Loop: Header=BB453_315 Depth=1
	global_load_dword v17, v[20:21], off
	global_load_dword v22, v[18:19], off
	s_add_u32 s28, s28, 1
	s_addc_u32 s29, s29, 0
	s_andn2_b64 s[14:15], s[14:15], exec
	v_lshl_add_u64 v[18:19], v[18:19], 0, 4
	v_lshl_add_u64 v[20:21], v[20:21], 0, 4
	s_waitcnt vmcnt(0)
	v_cmp_ne_u32_e32 vcc, v17, v22
	s_and_b64 s[40:41], vcc, exec
	s_or_b64 s[14:15], s[14:15], s[40:41]
.LBB453_314:                            ;   in Loop: Header=BB453_315 Depth=1
	s_and_b64 s[40:41], exec, s[14:15]
	s_or_b64 s[12:13], s[40:41], s[12:13]
	v_mov_b64_e32 v[22:23], s[28:29]
	s_andn2_b64 exec, exec, s[12:13]
	s_cbranch_execz .LBB453_317
.LBB453_315:                            ; =>This Inner Loop Header: Depth=1
	s_or_b64 s[14:15], s[14:15], exec
	s_cmp_eq_u64 s[10:11], s[28:29]
	s_cbranch_scc0 .LBB453_313
; %bb.316:                              ;   in Loop: Header=BB453_315 Depth=1
                                        ; implicit-def: $vgpr18_vgpr19
                                        ; implicit-def: $vgpr20_vgpr21
	s_mov_b64 s[28:29], s[26:27]
	s_branch .LBB453_314
.LBB453_317:
	s_or_b64 exec, exec, s[12:13]
	v_cmp_gt_i64_e32 vcc, s[26:27], v[22:23]
	s_orn2_b64 s[10:11], vcc, exec
.LBB453_318:
	s_or_b64 exec, exec, s[6:7]
.LBB453_319:
	s_and_b64 s[10:11], s[10:11], exec
.LBB453_320:
	s_or_b64 exec, exec, s[2:3]
	v_perm_b32 v20, v16, v16, s38
	s_and_b64 s[12:13], s[10:11], exec
	s_or_b64 s[8:9], s[8:9], exec
                                        ; implicit-def: $vgpr16_vgpr17
.LBB453_321:
	s_or_b64 exec, exec, s[4:5]
.LBB453_322:
	s_and_saveexec_b64 s[2:3], s[8:9]
	s_cbranch_execz .LBB453_324
; %bb.323:
	s_waitcnt vmcnt(0) lgkmcnt(0)
	v_lshlrev_b16_e32 v17, 8, v34
	v_and_b32_e32 v18, 0xff, v35
	v_or_b32_sdwa v17, v25, v17 dst_sel:DWORD dst_unused:UNUSED_PAD src0_sel:BYTE_0 src1_sel:DWORD
	v_lshlrev_b32_e32 v18, 16, v18
	s_movk_i32 s4, 0xff
	v_or_b32_sdwa v17, v17, v18 dst_sel:DWORD dst_unused:UNUSED_PAD src0_sel:WORD_0 src1_sel:DWORD
	v_lshrrev_b32_e32 v18, 24, v20
	v_lshlrev_b16_e32 v18, 8, v18
	v_and_b32_sdwa v19, v20, s4 dst_sel:DWORD dst_unused:UNUSED_PAD src0_sel:WORD_1 src1_sel:DWORD
	v_or_b32_sdwa v18, v19, v18 dst_sel:WORD_1 dst_unused:UNUSED_PAD src0_sel:DWORD src1_sel:DWORD
	v_mov_b32_e32 v19, 8
	v_cndmask_b32_e64 v16, 0, 1, s[12:13]
	v_lshrrev_b32_sdwa v19, v19, v20 dst_sel:BYTE_1 dst_unused:UNUSED_PAD src0_sel:DWORD src1_sel:DWORD
	s_nop 0
	v_or_b32_e32 v16, v16, v19
	v_or_b32_sdwa v16, v16, v18 dst_sel:DWORD dst_unused:UNUSED_PAD src0_sel:WORD_0 src1_sel:DWORD
.LBB453_324:
	s_or_b64 exec, exec, s[2:3]
	s_andn2_b64 vcc, exec, s[0:1]
	s_cbranch_vccnz .LBB453_326
; %bb.325:
	s_waitcnt vmcnt(0) lgkmcnt(0)
	v_and_b32_e32 v18, 0xffff0000, v16
	v_cmp_gt_u32_e32 vcc, s52, v1
	s_mov_b32 s0, 0x40c0100
	s_nop 0
	v_cndmask_b32_e32 v1, v18, v16, vcc
	v_and_b32_e32 v1, 0xffff00ff, v1
	v_cmp_gt_u32_e32 vcc, s52, v27
	s_nop 1
	v_cndmask_b32_e32 v1, v1, v16, vcc
	v_lshrrev_b32_e32 v18, 24, v1
	v_perm_b32 v1, v18, v1, s0
	v_cmp_gt_u32_e32 vcc, s52, v26
	v_and_b32_e32 v18, 0xffffff00, v17
	s_nop 0
	v_cndmask_b32_e32 v1, v1, v16, vcc
	v_and_b32_e32 v1, 0xffffff, v1
	v_cmp_gt_u32_e32 vcc, s52, v30
	s_nop 1
	v_cndmask_b32_e32 v1, v1, v16, vcc
	v_cmp_gt_u32_e32 vcc, s52, v28
	s_nop 1
	v_cndmask_b32_e32 v18, v18, v17, vcc
	v_and_b32_e32 v18, 0xffff00ff, v18
	v_cndmask_b32_e32 v1, v1, v16, vcc
	v_cmp_gt_u32_e32 vcc, s52, v31
	s_nop 1
	v_cndmask_b32_e32 v18, v18, v17, vcc
	v_lshrrev_b32_e32 v19, 24, v18
	v_cndmask_b32_e32 v1, v1, v16, vcc
	v_perm_b32 v18, v19, v18, s0
	v_cmp_gt_u32_e32 vcc, s52, v29
	s_mov_b32 s0, 0x3020104
	s_nop 0
	v_cndmask_b32_e32 v1, v1, v16, vcc
	v_cndmask_b32_e32 v16, v18, v17, vcc
	v_mov_b32_e32 v17, 8
	v_lshrrev_b32_sdwa v17, v17, v16 dst_sel:BYTE_1 dst_unused:UNUSED_PAD src0_sel:DWORD src1_sel:DWORD
	s_nop 0
	v_or_b32_sdwa v17, v16, v17 dst_sel:DWORD dst_unused:UNUSED_PAD src0_sel:BYTE_0 src1_sel:DWORD
	v_and_b32_e32 v17, 0xffff, v17
	v_bfe_u32 v16, v16, 16, 8
	v_lshl_or_b32 v17, v16, 16, v17
	v_perm_b32 v16, v1, v1, s0
.LBB453_326:
	s_waitcnt vmcnt(0) lgkmcnt(0)
	v_and_b32_e32 v1, 0xff, v16
	v_bfe_u32 v29, v16, 8, 8
	v_bfe_u32 v31, v16, 16, 8
	v_alignbit_b32 v18, v17, v16, 24
	v_and_b32_e32 v33, 0xff, v18
	v_and_b32_e32 v35, 0xff, v17
	v_add3_u32 v19, v29, v1, v31
	v_bfe_u32 v36, v17, 8, 8
	v_bfe_u32 v18, v17, 16, 8
	v_add3_u32 v19, v19, v33, v35
	v_add3_u32 v39, v19, v36, v18
	v_mbcnt_lo_u32_b32 v18, -1, 0
	v_mbcnt_hi_u32_b32 v37, -1, v18
	v_and_b32_e32 v18, 15, v37
	v_cmp_eq_u32_e64 s[14:15], 0, v18
	v_cmp_lt_u32_e64 s[12:13], 1, v18
	v_cmp_lt_u32_e64 s[10:11], 3, v18
	;; [unrolled: 1-line block ×3, first 2 shown]
	v_and_b32_e32 v18, 16, v37
	v_cmp_eq_u32_e64 s[6:7], 0, v18
	v_or_b32_e32 v18, 63, v0
	v_cmp_lt_u32_e64 s[2:3], 31, v37
	v_lshrrev_b32_e32 v38, 6, v0
	v_cmp_eq_u32_e64 s[4:5], v18, v0
	s_and_b64 vcc, exec, s[16:17]
	s_barrier
	s_cbranch_vccz .LBB453_357
; %bb.327:
	v_mov_b32_dpp v18, v39 row_shr:1 row_mask:0xf bank_mask:0xf
	v_cndmask_b32_e64 v18, v18, 0, s[14:15]
	v_add_u32_e32 v18, v18, v39
	s_nop 1
	v_mov_b32_dpp v19, v18 row_shr:2 row_mask:0xf bank_mask:0xf
	v_cndmask_b32_e64 v19, 0, v19, s[12:13]
	v_add_u32_e32 v18, v18, v19
	s_nop 1
	;; [unrolled: 4-line block ×4, first 2 shown]
	v_mov_b32_dpp v19, v18 row_bcast:15 row_mask:0xf bank_mask:0xf
	v_cndmask_b32_e64 v19, v19, 0, s[6:7]
	v_add_u32_e32 v18, v18, v19
	s_nop 1
	v_mov_b32_dpp v19, v18 row_bcast:31 row_mask:0xf bank_mask:0xf
	v_cndmask_b32_e64 v19, 0, v19, s[2:3]
	v_add_u32_e32 v18, v18, v19
	s_and_saveexec_b64 s[0:1], s[4:5]
	s_cbranch_execz .LBB453_329
; %bb.328:
	v_lshlrev_b32_e32 v19, 2, v38
	ds_write_b32 v19, v18
.LBB453_329:
	s_or_b64 exec, exec, s[0:1]
	v_cmp_gt_u32_e32 vcc, 8, v0
	s_waitcnt lgkmcnt(0)
	s_barrier
	s_and_saveexec_b64 s[0:1], vcc
	s_cbranch_execz .LBB453_331
; %bb.330:
	v_lshlrev_b32_e32 v19, 2, v0
	ds_read_b32 v20, v19
	v_and_b32_e32 v21, 7, v37
	v_cmp_ne_u32_e32 vcc, 0, v21
	s_waitcnt lgkmcnt(0)
	v_mov_b32_dpp v22, v20 row_shr:1 row_mask:0xf bank_mask:0xf
	v_cndmask_b32_e32 v22, 0, v22, vcc
	v_add_u32_e32 v20, v22, v20
	v_cmp_lt_u32_e32 vcc, 1, v21
	s_nop 0
	v_mov_b32_dpp v22, v20 row_shr:2 row_mask:0xf bank_mask:0xf
	v_cndmask_b32_e32 v22, 0, v22, vcc
	v_add_u32_e32 v20, v20, v22
	v_cmp_lt_u32_e32 vcc, 3, v21
	s_nop 0
	v_mov_b32_dpp v22, v20 row_shr:4 row_mask:0xf bank_mask:0xf
	v_cndmask_b32_e32 v21, 0, v22, vcc
	v_add_u32_e32 v20, v20, v21
	ds_write_b32 v19, v20
.LBB453_331:
	s_or_b64 exec, exec, s[0:1]
	v_cmp_gt_u32_e32 vcc, 64, v0
	v_cmp_lt_u32_e64 s[0:1], 63, v0
	s_waitcnt lgkmcnt(0)
	s_barrier
	s_waitcnt lgkmcnt(0)
                                        ; implicit-def: $vgpr28
	s_and_saveexec_b64 s[16:17], s[0:1]
	s_cbranch_execz .LBB453_333
; %bb.332:
	v_lshl_add_u32 v19, v38, 2, -4
	ds_read_b32 v28, v19
	s_waitcnt lgkmcnt(0)
	v_add_u32_e32 v18, v28, v18
.LBB453_333:
	s_or_b64 exec, exec, s[16:17]
	v_add_u32_e32 v19, -1, v37
	v_and_b32_e32 v20, 64, v37
	v_cmp_lt_i32_e64 s[0:1], v19, v20
	v_cmp_eq_u32_e64 s[16:17], 0, v37
	s_nop 0
	v_cndmask_b32_e64 v19, v19, v37, s[0:1]
	v_lshlrev_b32_e32 v19, 2, v19
	ds_bpermute_b32 v30, v19, v18
	s_and_saveexec_b64 s[0:1], vcc
	s_cbranch_execz .LBB453_356
; %bb.334:
	v_mov_b32_e32 v27, 0
	ds_read_b32 v18, v27 offset:28
	s_and_saveexec_b64 s[26:27], s[16:17]
	s_cbranch_execz .LBB453_336
; %bb.335:
	s_add_i32 s28, s33, 64
	s_mov_b32 s29, 0
	s_lshl_b64 s[28:29], s[28:29], 3
	s_add_u32 s28, s30, s28
	v_mov_b32_e32 v19, 1
	s_addc_u32 s29, s31, s29
	s_waitcnt lgkmcnt(0)
	global_store_dwordx2 v27, v[18:19], s[28:29] sc1
.LBB453_336:
	s_or_b64 exec, exec, s[26:27]
	v_xad_u32 v20, v37, -1, s33
	v_add_u32_e32 v26, 64, v20
	v_lshl_add_u64 v[22:23], v[26:27], 3, s[30:31]
	global_load_dwordx2 v[24:25], v[22:23], off sc1
	s_waitcnt vmcnt(0)
	v_cmp_eq_u16_sdwa s[28:29], v25, v27 src0_sel:BYTE_0 src1_sel:DWORD
	s_and_saveexec_b64 s[26:27], s[28:29]
	s_cbranch_execz .LBB453_342
; %bb.337:
	s_mov_b32 s38, 1
	s_mov_b64 s[28:29], 0
	v_mov_b32_e32 v19, 0
.LBB453_338:                            ; =>This Loop Header: Depth=1
                                        ;     Child Loop BB453_339 Depth 2
	s_max_u32 s39, s38, 1
.LBB453_339:                            ;   Parent Loop BB453_338 Depth=1
                                        ; =>  This Inner Loop Header: Depth=2
	s_add_i32 s39, s39, -1
	s_cmp_eq_u32 s39, 0
	s_sleep 1
	s_cbranch_scc0 .LBB453_339
; %bb.340:                              ;   in Loop: Header=BB453_338 Depth=1
	global_load_dwordx2 v[24:25], v[22:23], off sc1
	s_cmp_lt_u32 s38, 32
	s_cselect_b64 s[40:41], -1, 0
	s_cmp_lg_u64 s[40:41], 0
	s_addc_u32 s38, s38, 0
	s_waitcnt vmcnt(0)
	v_cmp_ne_u16_sdwa s[40:41], v25, v19 src0_sel:BYTE_0 src1_sel:DWORD
	s_or_b64 s[28:29], s[40:41], s[28:29]
	s_andn2_b64 exec, exec, s[28:29]
	s_cbranch_execnz .LBB453_338
; %bb.341:
	s_or_b64 exec, exec, s[28:29]
.LBB453_342:
	s_or_b64 exec, exec, s[26:27]
	v_and_b32_e32 v32, 63, v37
	v_mov_b32_e32 v19, 2
	v_cmp_ne_u32_e32 vcc, 63, v32
	v_cmp_eq_u16_sdwa s[26:27], v25, v19 src0_sel:BYTE_0 src1_sel:DWORD
	v_lshlrev_b64 v[22:23], v37, -1
	v_addc_co_u32_e32 v27, vcc, 0, v37, vcc
	v_and_b32_e32 v21, s27, v23
	v_lshlrev_b32_e32 v34, 2, v27
	v_or_b32_e32 v21, 0x80000000, v21
	ds_bpermute_b32 v27, v34, v24
	v_and_b32_e32 v26, s26, v22
	v_ffbl_b32_e32 v21, v21
	v_add_u32_e32 v21, 32, v21
	v_ffbl_b32_e32 v26, v26
	v_min_u32_e32 v21, v26, v21
	v_cmp_lt_u32_e32 vcc, v32, v21
	v_add_u32_e32 v41, 2, v32
	v_add_u32_e32 v43, 4, v32
	s_waitcnt lgkmcnt(0)
	v_cndmask_b32_e32 v26, 0, v27, vcc
	v_cmp_gt_u32_e32 vcc, 62, v32
	v_add_u32_e32 v24, v26, v24
	v_add_u32_e32 v45, 8, v32
	v_cndmask_b32_e64 v26, 0, 1, vcc
	v_lshlrev_b32_e32 v26, 1, v26
	v_add_lshl_u32 v40, v26, v37, 2
	ds_bpermute_b32 v26, v40, v24
	v_cmp_le_u32_e32 vcc, v41, v21
	v_add_u32_e32 v48, 16, v32
	v_add_u32_e32 v50, 32, v32
	s_waitcnt lgkmcnt(0)
	v_cndmask_b32_e32 v26, 0, v26, vcc
	v_cmp_gt_u32_e32 vcc, 60, v32
	v_add_u32_e32 v24, v24, v26
	s_nop 0
	v_cndmask_b32_e64 v26, 0, 1, vcc
	v_lshlrev_b32_e32 v26, 2, v26
	v_add_lshl_u32 v42, v26, v37, 2
	ds_bpermute_b32 v26, v42, v24
	v_cmp_le_u32_e32 vcc, v43, v21
	s_waitcnt lgkmcnt(0)
	s_nop 0
	v_cndmask_b32_e32 v26, 0, v26, vcc
	v_cmp_gt_u32_e32 vcc, 56, v32
	v_add_u32_e32 v24, v24, v26
	s_nop 0
	v_cndmask_b32_e64 v26, 0, 1, vcc
	v_lshlrev_b32_e32 v26, 3, v26
	v_add_lshl_u32 v44, v26, v37, 2
	ds_bpermute_b32 v26, v44, v24
	v_cmp_le_u32_e32 vcc, v45, v21
	s_waitcnt lgkmcnt(0)
	s_nop 0
	;; [unrolled: 11-line block ×4, first 2 shown]
	v_cndmask_b32_e32 v21, 0, v26, vcc
	v_add_u32_e32 v24, v24, v21
	v_mov_b32_e32 v21, 0
	s_branch .LBB453_344
.LBB453_343:                            ;   in Loop: Header=BB453_344 Depth=1
	s_or_b64 exec, exec, s[26:27]
	v_cmp_eq_u16_sdwa s[26:27], v25, v19 src0_sel:BYTE_0 src1_sel:DWORD
	ds_bpermute_b32 v51, v34, v24
	v_subrev_u32_e32 v20, 64, v20
	v_and_b32_e32 v26, s27, v23
	v_or_b32_e32 v26, 0x80000000, v26
	v_and_b32_e32 v27, s26, v22
	v_ffbl_b32_e32 v26, v26
	v_add_u32_e32 v26, 32, v26
	v_ffbl_b32_e32 v27, v27
	v_min_u32_e32 v26, v27, v26
	v_cmp_lt_u32_e32 vcc, v32, v26
	s_waitcnt lgkmcnt(0)
	s_nop 0
	v_cndmask_b32_e32 v27, 0, v51, vcc
	v_add_u32_e32 v24, v27, v24
	ds_bpermute_b32 v27, v40, v24
	v_cmp_le_u32_e32 vcc, v41, v26
	s_waitcnt lgkmcnt(0)
	s_nop 0
	v_cndmask_b32_e32 v27, 0, v27, vcc
	v_add_u32_e32 v24, v24, v27
	ds_bpermute_b32 v27, v42, v24
	v_cmp_le_u32_e32 vcc, v43, v26
	s_waitcnt lgkmcnt(0)
	s_nop 0
	v_cndmask_b32_e32 v27, 0, v27, vcc
	v_add_u32_e32 v24, v24, v27
	ds_bpermute_b32 v27, v44, v24
	v_cmp_le_u32_e32 vcc, v45, v26
	s_waitcnt lgkmcnt(0)
	s_nop 0
	v_cndmask_b32_e32 v27, 0, v27, vcc
	v_add_u32_e32 v24, v24, v27
	ds_bpermute_b32 v27, v47, v24
	v_cmp_le_u32_e32 vcc, v48, v26
	s_waitcnt lgkmcnt(0)
	s_nop 0
	v_cndmask_b32_e32 v27, 0, v27, vcc
	v_add_u32_e32 v24, v24, v27
	ds_bpermute_b32 v27, v49, v24
	v_cmp_le_u32_e32 vcc, v50, v26
	s_waitcnt lgkmcnt(0)
	s_nop 0
	v_cndmask_b32_e32 v26, 0, v27, vcc
	v_add3_u32 v24, v26, v46, v24
.LBB453_344:                            ; =>This Loop Header: Depth=1
                                        ;     Child Loop BB453_347 Depth 2
                                        ;       Child Loop BB453_348 Depth 3
	v_cmp_ne_u16_sdwa s[26:27], v25, v19 src0_sel:BYTE_0 src1_sel:DWORD
	v_mov_b32_e32 v46, v24
	s_nop 0
	v_cndmask_b32_e64 v25, 0, 1, s[26:27]
	;;#ASMSTART
	;;#ASMEND
	s_nop 0
	v_cmp_ne_u32_e32 vcc, 0, v25
	s_cmp_lg_u64 vcc, exec
	s_cbranch_scc1 .LBB453_351
; %bb.345:                              ;   in Loop: Header=BB453_344 Depth=1
	v_lshl_add_u64 v[26:27], v[20:21], 3, s[30:31]
	global_load_dwordx2 v[24:25], v[26:27], off sc1
	s_waitcnt vmcnt(0)
	v_cmp_eq_u16_sdwa s[28:29], v25, v21 src0_sel:BYTE_0 src1_sel:DWORD
	s_and_saveexec_b64 s[26:27], s[28:29]
	s_cbranch_execz .LBB453_343
; %bb.346:                              ;   in Loop: Header=BB453_344 Depth=1
	s_mov_b32 s38, 1
	s_mov_b64 s[28:29], 0
.LBB453_347:                            ;   Parent Loop BB453_344 Depth=1
                                        ; =>  This Loop Header: Depth=2
                                        ;       Child Loop BB453_348 Depth 3
	s_max_u32 s39, s38, 1
.LBB453_348:                            ;   Parent Loop BB453_344 Depth=1
                                        ;     Parent Loop BB453_347 Depth=2
                                        ; =>    This Inner Loop Header: Depth=3
	s_add_i32 s39, s39, -1
	s_cmp_eq_u32 s39, 0
	s_sleep 1
	s_cbranch_scc0 .LBB453_348
; %bb.349:                              ;   in Loop: Header=BB453_347 Depth=2
	global_load_dwordx2 v[24:25], v[26:27], off sc1
	s_cmp_lt_u32 s38, 32
	s_cselect_b64 s[40:41], -1, 0
	s_cmp_lg_u64 s[40:41], 0
	s_addc_u32 s38, s38, 0
	s_waitcnt vmcnt(0)
	v_cmp_ne_u16_sdwa s[40:41], v25, v21 src0_sel:BYTE_0 src1_sel:DWORD
	s_or_b64 s[28:29], s[40:41], s[28:29]
	s_andn2_b64 exec, exec, s[28:29]
	s_cbranch_execnz .LBB453_347
; %bb.350:                              ;   in Loop: Header=BB453_344 Depth=1
	s_or_b64 exec, exec, s[28:29]
	s_branch .LBB453_343
.LBB453_351:                            ;   in Loop: Header=BB453_344 Depth=1
                                        ; implicit-def: $vgpr24
                                        ; implicit-def: $vgpr25
	s_cbranch_execz .LBB453_344
; %bb.352:
	s_and_saveexec_b64 s[26:27], s[16:17]
	s_cbranch_execz .LBB453_354
; %bb.353:
	s_add_i32 s28, s33, 64
	s_mov_b32 s29, 0
	s_lshl_b64 s[28:29], s[28:29], 3
	s_add_u32 s28, s30, s28
	v_add_u32_e32 v20, v46, v18
	v_mov_b32_e32 v21, 2
	s_addc_u32 s29, s31, s29
	v_mov_b32_e32 v19, 0
	global_store_dwordx2 v19, v[20:21], s[28:29] sc1
	s_movk_i32 s28, 0x7000
	v_add_u32_e64 v19, s28, 0
	ds_write2_b32 v19, v18, v46 offset1:2
.LBB453_354:
	s_or_b64 exec, exec, s[26:27]
	s_and_b64 exec, exec, s[18:19]
	s_cbranch_execz .LBB453_356
; %bb.355:
	v_mov_b32_e32 v18, 0
	ds_write_b32 v18, v46 offset:28
.LBB453_356:
	s_or_b64 exec, exec, s[0:1]
	v_mov_b32_e32 v18, 0
	s_waitcnt lgkmcnt(0)
	s_barrier
	ds_read_b32 v18, v18 offset:28
	v_cndmask_b32_e64 v19, v30, v28, s[16:17]
	v_cndmask_b32_e64 v19, v19, 0, s[18:19]
	s_movk_i32 s0, 0x7000
	s_waitcnt lgkmcnt(0)
	v_add_u32_e32 v34, v18, v19
	v_add_u32_e32 v32, v34, v1
	v_add_u32_e64 v18, s0, 0
	v_add_u32_e32 v30, v32, v29
	s_barrier
	ds_read2_b32 v[18:19], v18 offset1:2
	v_add_u32_e32 v28, v30, v31
	v_add_u32_e32 v26, v28, v33
	;; [unrolled: 1-line block ×4, first 2 shown]
	v_lshrrev_b64 v[20:21], 24, v[16:17]
	s_branch .LBB453_367
.LBB453_357:
                                        ; implicit-def: $vgpr22
                                        ; implicit-def: $vgpr24
                                        ; implicit-def: $vgpr26
                                        ; implicit-def: $vgpr28
                                        ; implicit-def: $vgpr30
                                        ; implicit-def: $vgpr32
                                        ; implicit-def: $vgpr34
                                        ; implicit-def: $vgpr19
	v_lshrrev_b64 v[20:21], 24, v[16:17]
	s_cbranch_execz .LBB453_367
; %bb.358:
	s_waitcnt lgkmcnt(0)
	v_mov_b32_dpp v18, v39 row_shr:1 row_mask:0xf bank_mask:0xf
	v_cndmask_b32_e64 v18, v18, 0, s[14:15]
	v_add_u32_e32 v18, v18, v39
	s_nop 1
	v_mov_b32_dpp v19, v18 row_shr:2 row_mask:0xf bank_mask:0xf
	v_cndmask_b32_e64 v19, 0, v19, s[12:13]
	v_add_u32_e32 v18, v18, v19
	s_nop 1
	v_mov_b32_dpp v19, v18 row_shr:4 row_mask:0xf bank_mask:0xf
	v_cndmask_b32_e64 v19, 0, v19, s[10:11]
	v_add_u32_e32 v18, v18, v19
	s_nop 1
	v_mov_b32_dpp v19, v18 row_shr:8 row_mask:0xf bank_mask:0xf
	v_cndmask_b32_e64 v19, 0, v19, s[8:9]
	v_add_u32_e32 v18, v18, v19
	s_nop 1
	v_mov_b32_dpp v19, v18 row_bcast:15 row_mask:0xf bank_mask:0xf
	v_cndmask_b32_e64 v19, v19, 0, s[6:7]
	v_add_u32_e32 v18, v18, v19
	s_nop 1
	v_mov_b32_dpp v19, v18 row_bcast:31 row_mask:0xf bank_mask:0xf
	v_cndmask_b32_e64 v19, 0, v19, s[2:3]
	v_add_u32_e32 v18, v18, v19
	s_and_saveexec_b64 s[0:1], s[4:5]
	s_cbranch_execz .LBB453_360
; %bb.359:
	v_lshlrev_b32_e32 v19, 2, v38
	ds_write_b32 v19, v18
.LBB453_360:
	s_or_b64 exec, exec, s[0:1]
	v_cmp_gt_u32_e32 vcc, 8, v0
	s_waitcnt lgkmcnt(0)
	s_barrier
	s_and_saveexec_b64 s[0:1], vcc
	s_cbranch_execz .LBB453_362
; %bb.361:
	v_lshlrev_b32_e32 v19, 2, v0
	ds_read_b32 v21, v19
	v_and_b32_e32 v22, 7, v37
	v_cmp_ne_u32_e32 vcc, 0, v22
	s_waitcnt lgkmcnt(0)
	v_mov_b32_dpp v23, v21 row_shr:1 row_mask:0xf bank_mask:0xf
	v_cndmask_b32_e32 v23, 0, v23, vcc
	v_add_u32_e32 v21, v23, v21
	v_cmp_lt_u32_e32 vcc, 1, v22
	s_nop 0
	v_mov_b32_dpp v23, v21 row_shr:2 row_mask:0xf bank_mask:0xf
	v_cndmask_b32_e32 v23, 0, v23, vcc
	v_add_u32_e32 v21, v21, v23
	v_cmp_lt_u32_e32 vcc, 3, v22
	s_nop 0
	v_mov_b32_dpp v23, v21 row_shr:4 row_mask:0xf bank_mask:0xf
	v_cndmask_b32_e32 v22, 0, v23, vcc
	v_add_u32_e32 v21, v21, v22
	ds_write_b32 v19, v21
.LBB453_362:
	s_or_b64 exec, exec, s[0:1]
	v_cmp_lt_u32_e32 vcc, 63, v0
	v_mov_b32_e32 v19, 0
	v_mov_b32_e32 v21, 0
	s_waitcnt lgkmcnt(0)
	s_barrier
	s_and_saveexec_b64 s[0:1], vcc
	s_cbranch_execz .LBB453_364
; %bb.363:
	v_lshl_add_u32 v21, v38, 2, -4
	ds_read_b32 v21, v21
.LBB453_364:
	s_or_b64 exec, exec, s[0:1]
	v_add_u32_e32 v22, -1, v37
	v_and_b32_e32 v23, 64, v37
	v_cmp_lt_i32_e32 vcc, v22, v23
	s_waitcnt lgkmcnt(0)
	v_add_u32_e32 v18, v21, v18
	v_cndmask_b32_e32 v22, v22, v37, vcc
	v_lshlrev_b32_e32 v22, 2, v22
	ds_bpermute_b32 v22, v22, v18
	ds_read_b32 v18, v19 offset:28
	s_and_saveexec_b64 s[0:1], s[18:19]
	s_cbranch_execz .LBB453_366
; %bb.365:
	v_mov_b32_e32 v23, 0
	v_mov_b32_e32 v19, 2
	s_waitcnt lgkmcnt(0)
	global_store_dwordx2 v23, v[18:19], s[30:31] offset:512 sc1
.LBB453_366:
	s_or_b64 exec, exec, s[0:1]
	v_cmp_eq_u32_e32 vcc, 0, v37
	v_mov_b32_e32 v19, 0
	s_waitcnt lgkmcnt(0)
	v_cndmask_b32_e32 v21, v22, v21, vcc
	v_cndmask_b32_e64 v34, v21, 0, s[18:19]
	v_add_u32_e32 v32, v34, v1
	v_add_u32_e32 v30, v32, v29
	;; [unrolled: 1-line block ×6, first 2 shown]
	s_barrier
.LBB453_367:
	s_movk_i32 s0, 0x201
	s_waitcnt lgkmcnt(0)
	v_cmp_gt_u32_e32 vcc, s0, v18
	v_lshrrev_b32_e32 v21, 8, v16
	v_lshrrev_b32_e32 v1, 8, v17
	s_mov_b64 s[0:1], -1
	s_cbranch_vccnz .LBB453_371
; %bb.368:
	s_and_b64 vcc, exec, s[0:1]
	s_cbranch_vccnz .LBB453_393
.LBB453_369:
	s_and_b64 s[0:1], s[18:19], s[24:25]
	s_and_saveexec_b64 s[2:3], s[0:1]
	s_cbranch_execnz .LBB453_411
.LBB453_370:
	s_endpgm
.LBB453_371:
	v_add_u32_e32 v23, v19, v18
	v_cmp_lt_u32_e32 vcc, v34, v23
	s_or_b64 s[2:3], s[36:37], vcc
	s_and_saveexec_b64 s[0:1], s[2:3]
	s_cbranch_execz .LBB453_374
; %bb.372:
	v_and_b32_e32 v25, 1, v16
	v_cmp_eq_u32_e32 vcc, 1, v25
	s_and_b64 exec, exec, vcc
	s_cbranch_execz .LBB453_374
; %bb.373:
	s_lshl_b64 s[2:3], s[22:23], 3
	s_add_u32 s2, s34, s2
	s_addc_u32 s3, s35, s3
	v_mov_b32_e32 v35, 0
	v_lshl_add_u64 v[36:37], v[34:35], 3, s[2:3]
	global_store_dwordx2 v[36:37], v[10:11], off
.LBB453_374:
	s_or_b64 exec, exec, s[0:1]
	v_cmp_lt_u32_e32 vcc, v32, v23
	s_or_b64 s[2:3], s[36:37], vcc
	s_and_saveexec_b64 s[0:1], s[2:3]
	s_cbranch_execz .LBB453_377
; %bb.375:
	v_and_b32_e32 v25, 1, v21
	v_cmp_eq_u32_e32 vcc, 1, v25
	s_and_b64 exec, exec, vcc
	s_cbranch_execz .LBB453_377
; %bb.376:
	s_lshl_b64 s[2:3], s[22:23], 3
	s_add_u32 s2, s34, s2
	s_addc_u32 s3, s35, s3
	v_mov_b32_e32 v33, 0
	v_lshl_add_u64 v[36:37], v[32:33], 3, s[2:3]
	global_store_dwordx2 v[36:37], v[12:13], off
.LBB453_377:
	s_or_b64 exec, exec, s[0:1]
	v_cmp_lt_u32_e32 vcc, v30, v23
	s_or_b64 s[2:3], s[36:37], vcc
	s_and_saveexec_b64 s[0:1], s[2:3]
	s_cbranch_execz .LBB453_380
; %bb.378:
	v_mov_b32_e32 v25, 1
	v_and_b32_sdwa v25, v25, v16 dst_sel:DWORD dst_unused:UNUSED_PAD src0_sel:DWORD src1_sel:WORD_1
	v_cmp_eq_u32_e32 vcc, 1, v25
	s_and_b64 exec, exec, vcc
	s_cbranch_execz .LBB453_380
; %bb.379:
	s_lshl_b64 s[2:3], s[22:23], 3
	s_add_u32 s2, s34, s2
	s_addc_u32 s3, s35, s3
	v_mov_b32_e32 v31, 0
	v_lshl_add_u64 v[36:37], v[30:31], 3, s[2:3]
	global_store_dwordx2 v[36:37], v[6:7], off
.LBB453_380:
	s_or_b64 exec, exec, s[0:1]
	v_cmp_lt_u32_e32 vcc, v28, v23
	s_or_b64 s[2:3], s[36:37], vcc
	s_and_saveexec_b64 s[0:1], s[2:3]
	s_cbranch_execz .LBB453_383
; %bb.381:
	v_and_b32_e32 v25, 1, v20
	v_cmp_eq_u32_e32 vcc, 1, v25
	s_and_b64 exec, exec, vcc
	s_cbranch_execz .LBB453_383
; %bb.382:
	s_lshl_b64 s[2:3], s[22:23], 3
	s_add_u32 s2, s34, s2
	s_addc_u32 s3, s35, s3
	v_mov_b32_e32 v29, 0
	v_lshl_add_u64 v[36:37], v[28:29], 3, s[2:3]
	global_store_dwordx2 v[36:37], v[8:9], off
.LBB453_383:
	s_or_b64 exec, exec, s[0:1]
	v_cmp_lt_u32_e32 vcc, v26, v23
	s_or_b64 s[2:3], s[36:37], vcc
	s_and_saveexec_b64 s[0:1], s[2:3]
	s_cbranch_execz .LBB453_386
; %bb.384:
	v_and_b32_e32 v25, 1, v17
	v_cmp_eq_u32_e32 vcc, 1, v25
	s_and_b64 exec, exec, vcc
	s_cbranch_execz .LBB453_386
; %bb.385:
	s_lshl_b64 s[2:3], s[22:23], 3
	s_add_u32 s2, s34, s2
	s_addc_u32 s3, s35, s3
	v_mov_b32_e32 v27, 0
	v_lshl_add_u64 v[36:37], v[26:27], 3, s[2:3]
	global_store_dwordx2 v[36:37], v[2:3], off
.LBB453_386:
	s_or_b64 exec, exec, s[0:1]
	v_cmp_lt_u32_e32 vcc, v24, v23
	s_or_b64 s[2:3], s[36:37], vcc
	s_and_saveexec_b64 s[0:1], s[2:3]
	s_cbranch_execz .LBB453_389
; %bb.387:
	v_and_b32_e32 v25, 1, v1
	v_cmp_eq_u32_e32 vcc, 1, v25
	s_and_b64 exec, exec, vcc
	s_cbranch_execz .LBB453_389
; %bb.388:
	s_lshl_b64 s[2:3], s[22:23], 3
	s_add_u32 s2, s34, s2
	s_addc_u32 s3, s35, s3
	v_mov_b32_e32 v25, 0
	v_lshl_add_u64 v[36:37], v[24:25], 3, s[2:3]
	global_store_dwordx2 v[36:37], v[4:5], off
.LBB453_389:
	s_or_b64 exec, exec, s[0:1]
	v_cmp_lt_u32_e32 vcc, v22, v23
	s_or_b64 s[2:3], s[36:37], vcc
	s_and_saveexec_b64 s[0:1], s[2:3]
	s_cbranch_execz .LBB453_392
; %bb.390:
	v_mov_b32_e32 v23, 1
	v_and_b32_sdwa v23, v23, v17 dst_sel:DWORD dst_unused:UNUSED_PAD src0_sel:DWORD src1_sel:WORD_1
	v_cmp_eq_u32_e32 vcc, 1, v23
	s_and_b64 exec, exec, vcc
	s_cbranch_execz .LBB453_392
; %bb.391:
	s_lshl_b64 s[2:3], s[22:23], 3
	s_add_u32 s2, s34, s2
	s_addc_u32 s3, s35, s3
	v_mov_b32_e32 v23, 0
	v_lshl_add_u64 v[36:37], v[22:23], 3, s[2:3]
	global_store_dwordx2 v[36:37], v[14:15], off
.LBB453_392:
	s_or_b64 exec, exec, s[0:1]
	s_branch .LBB453_369
.LBB453_393:
	v_and_b32_e32 v23, 1, v16
	v_cmp_eq_u32_e32 vcc, 1, v23
	s_and_saveexec_b64 s[0:1], vcc
	s_cbranch_execz .LBB453_395
; %bb.394:
	v_sub_u32_e32 v23, v34, v19
	v_lshlrev_b32_e32 v23, 3, v23
	ds_write_b64 v23, v[10:11]
.LBB453_395:
	s_or_b64 exec, exec, s[0:1]
	v_and_b32_e32 v10, 1, v21
	v_cmp_eq_u32_e32 vcc, 1, v10
	s_and_saveexec_b64 s[0:1], vcc
	s_cbranch_execz .LBB453_397
; %bb.396:
	v_sub_u32_e32 v10, v32, v19
	v_lshlrev_b32_e32 v10, 3, v10
	ds_write_b64 v10, v[12:13]
.LBB453_397:
	s_or_b64 exec, exec, s[0:1]
	v_mov_b32_e32 v10, 1
	v_and_b32_sdwa v10, v10, v16 dst_sel:DWORD dst_unused:UNUSED_PAD src0_sel:DWORD src1_sel:WORD_1
	v_cmp_eq_u32_e32 vcc, 1, v10
	s_and_saveexec_b64 s[0:1], vcc
	s_cbranch_execz .LBB453_399
; %bb.398:
	v_sub_u32_e32 v10, v30, v19
	v_lshlrev_b32_e32 v10, 3, v10
	ds_write_b64 v10, v[6:7]
.LBB453_399:
	s_or_b64 exec, exec, s[0:1]
	v_and_b32_e32 v6, 1, v20
	v_cmp_eq_u32_e32 vcc, 1, v6
	s_and_saveexec_b64 s[0:1], vcc
	s_cbranch_execz .LBB453_401
; %bb.400:
	v_sub_u32_e32 v6, v28, v19
	v_lshlrev_b32_e32 v6, 3, v6
	ds_write_b64 v6, v[8:9]
.LBB453_401:
	s_or_b64 exec, exec, s[0:1]
	v_and_b32_e32 v6, 1, v17
	;; [unrolled: 10-line block ×3, first 2 shown]
	v_cmp_eq_u32_e32 vcc, 1, v1
	s_and_saveexec_b64 s[0:1], vcc
	s_cbranch_execz .LBB453_405
; %bb.404:
	v_sub_u32_e32 v1, v24, v19
	v_lshlrev_b32_e32 v1, 3, v1
	ds_write_b64 v1, v[4:5]
.LBB453_405:
	s_or_b64 exec, exec, s[0:1]
	v_mov_b32_e32 v1, 1
	v_and_b32_sdwa v1, v1, v17 dst_sel:DWORD dst_unused:UNUSED_PAD src0_sel:DWORD src1_sel:WORD_1
	v_cmp_eq_u32_e32 vcc, 1, v1
	s_and_saveexec_b64 s[0:1], vcc
	s_cbranch_execz .LBB453_407
; %bb.406:
	v_sub_u32_e32 v1, v22, v19
	v_lshlrev_b32_e32 v1, 3, v1
	ds_write_b64 v1, v[14:15]
.LBB453_407:
	s_or_b64 exec, exec, s[0:1]
	v_cmp_lt_u32_e32 vcc, v0, v18
	s_waitcnt lgkmcnt(0)
	s_barrier
	s_and_saveexec_b64 s[0:1], vcc
	s_cbranch_execz .LBB453_410
; %bb.408:
	v_mov_b32_e32 v5, 0
	v_mov_b32_e32 v4, v19
	s_lshl_b64 s[2:3], s[22:23], 3
	v_lshlrev_b64 v[6:7], 3, v[4:5]
	v_lshl_add_u64 v[6:7], s[2:3], 0, v[6:7]
	v_lshlrev_b32_e32 v2, 3, v0
	v_mov_b32_e32 v3, v5
	v_lshl_add_u64 v[4:5], s[34:35], 0, v[6:7]
	v_lshl_add_u64 v[4:5], v[4:5], 0, v[2:3]
	s_mov_b64 s[2:3], 0
	s_mov_b64 s[4:5], 0x1000
.LBB453_409:                            ; =>This Inner Loop Header: Depth=1
	ds_read_b64 v[6:7], v2
	v_add_u32_e32 v0, 0x200, v0
	v_cmp_ge_u32_e32 vcc, v0, v18
	v_add_u32_e32 v2, 0x1000, v2
	s_or_b64 s[2:3], vcc, s[2:3]
	s_waitcnt lgkmcnt(0)
	global_store_dwordx2 v[4:5], v[6:7], off
	v_lshl_add_u64 v[4:5], v[4:5], 0, s[4:5]
	s_andn2_b64 exec, exec, s[2:3]
	s_cbranch_execnz .LBB453_409
.LBB453_410:
	s_or_b64 exec, exec, s[0:1]
	s_and_b64 s[0:1], s[18:19], s[24:25]
	s_and_saveexec_b64 s[2:3], s[0:1]
	s_cbranch_execz .LBB453_370
.LBB453_411:
	v_mov_b32_e32 v1, 0
	v_mov_b32_e32 v0, v18
	v_lshl_add_u64 v[2:3], s[22:23], 0, v[0:1]
	v_mov_b32_e32 v0, v19
	v_lshl_add_u64 v[2:3], v[2:3], 0, v[0:1]
	global_store_dwordx2 v1, v[2:3], s[20:21]
	s_endpgm
	.section	.rodata,"a",@progbits
	.p2align	6, 0x0
	.amdhsa_kernel _ZN7rocprim17ROCPRIM_400000_NS6detail17trampoline_kernelINS0_14default_configENS1_25partition_config_selectorILNS1_17partition_subalgoE8ElNS0_10empty_typeEbEEZZNS1_14partition_implILS5_8ELb0ES3_jPlPS6_PKS6_NS0_5tupleIJS9_S6_EEENSD_IJSA_SA_EEENS0_18inequality_wrapperIZN2at6native12_GLOBAL__N_124unique_dim_cuda_templateIiEESt5tupleIJNSH_6TensorESM_SM_EERKSM_lbbbEUlllE0_EEPmJS6_EEE10hipError_tPvRmT3_T4_T5_T6_T7_T9_mT8_P12ihipStream_tbDpT10_ENKUlT_T0_E_clISt17integral_constantIbLb1EES1C_EEDaS17_S18_EUlS17_E_NS1_11comp_targetILNS1_3genE5ELNS1_11target_archE942ELNS1_3gpuE9ELNS1_3repE0EEENS1_30default_config_static_selectorELNS0_4arch9wavefront6targetE1EEEvT1_
		.amdhsa_group_segment_fixed_size 28684
		.amdhsa_private_segment_fixed_size 0
		.amdhsa_kernarg_size 136
		.amdhsa_user_sgpr_count 2
		.amdhsa_user_sgpr_dispatch_ptr 0
		.amdhsa_user_sgpr_queue_ptr 0
		.amdhsa_user_sgpr_kernarg_segment_ptr 1
		.amdhsa_user_sgpr_dispatch_id 0
		.amdhsa_user_sgpr_kernarg_preload_length 0
		.amdhsa_user_sgpr_kernarg_preload_offset 0
		.amdhsa_user_sgpr_private_segment_size 0
		.amdhsa_uses_dynamic_stack 0
		.amdhsa_enable_private_segment 0
		.amdhsa_system_sgpr_workgroup_id_x 1
		.amdhsa_system_sgpr_workgroup_id_y 0
		.amdhsa_system_sgpr_workgroup_id_z 0
		.amdhsa_system_sgpr_workgroup_info 0
		.amdhsa_system_vgpr_workitem_id 0
		.amdhsa_next_free_vgpr 52
		.amdhsa_next_free_sgpr 56
		.amdhsa_accum_offset 52
		.amdhsa_reserve_vcc 1
		.amdhsa_float_round_mode_32 0
		.amdhsa_float_round_mode_16_64 0
		.amdhsa_float_denorm_mode_32 3
		.amdhsa_float_denorm_mode_16_64 3
		.amdhsa_dx10_clamp 1
		.amdhsa_ieee_mode 1
		.amdhsa_fp16_overflow 0
		.amdhsa_tg_split 0
		.amdhsa_exception_fp_ieee_invalid_op 0
		.amdhsa_exception_fp_denorm_src 0
		.amdhsa_exception_fp_ieee_div_zero 0
		.amdhsa_exception_fp_ieee_overflow 0
		.amdhsa_exception_fp_ieee_underflow 0
		.amdhsa_exception_fp_ieee_inexact 0
		.amdhsa_exception_int_div_zero 0
	.end_amdhsa_kernel
	.section	.text._ZN7rocprim17ROCPRIM_400000_NS6detail17trampoline_kernelINS0_14default_configENS1_25partition_config_selectorILNS1_17partition_subalgoE8ElNS0_10empty_typeEbEEZZNS1_14partition_implILS5_8ELb0ES3_jPlPS6_PKS6_NS0_5tupleIJS9_S6_EEENSD_IJSA_SA_EEENS0_18inequality_wrapperIZN2at6native12_GLOBAL__N_124unique_dim_cuda_templateIiEESt5tupleIJNSH_6TensorESM_SM_EERKSM_lbbbEUlllE0_EEPmJS6_EEE10hipError_tPvRmT3_T4_T5_T6_T7_T9_mT8_P12ihipStream_tbDpT10_ENKUlT_T0_E_clISt17integral_constantIbLb1EES1C_EEDaS17_S18_EUlS17_E_NS1_11comp_targetILNS1_3genE5ELNS1_11target_archE942ELNS1_3gpuE9ELNS1_3repE0EEENS1_30default_config_static_selectorELNS0_4arch9wavefront6targetE1EEEvT1_,"axG",@progbits,_ZN7rocprim17ROCPRIM_400000_NS6detail17trampoline_kernelINS0_14default_configENS1_25partition_config_selectorILNS1_17partition_subalgoE8ElNS0_10empty_typeEbEEZZNS1_14partition_implILS5_8ELb0ES3_jPlPS6_PKS6_NS0_5tupleIJS9_S6_EEENSD_IJSA_SA_EEENS0_18inequality_wrapperIZN2at6native12_GLOBAL__N_124unique_dim_cuda_templateIiEESt5tupleIJNSH_6TensorESM_SM_EERKSM_lbbbEUlllE0_EEPmJS6_EEE10hipError_tPvRmT3_T4_T5_T6_T7_T9_mT8_P12ihipStream_tbDpT10_ENKUlT_T0_E_clISt17integral_constantIbLb1EES1C_EEDaS17_S18_EUlS17_E_NS1_11comp_targetILNS1_3genE5ELNS1_11target_archE942ELNS1_3gpuE9ELNS1_3repE0EEENS1_30default_config_static_selectorELNS0_4arch9wavefront6targetE1EEEvT1_,comdat
.Lfunc_end453:
	.size	_ZN7rocprim17ROCPRIM_400000_NS6detail17trampoline_kernelINS0_14default_configENS1_25partition_config_selectorILNS1_17partition_subalgoE8ElNS0_10empty_typeEbEEZZNS1_14partition_implILS5_8ELb0ES3_jPlPS6_PKS6_NS0_5tupleIJS9_S6_EEENSD_IJSA_SA_EEENS0_18inequality_wrapperIZN2at6native12_GLOBAL__N_124unique_dim_cuda_templateIiEESt5tupleIJNSH_6TensorESM_SM_EERKSM_lbbbEUlllE0_EEPmJS6_EEE10hipError_tPvRmT3_T4_T5_T6_T7_T9_mT8_P12ihipStream_tbDpT10_ENKUlT_T0_E_clISt17integral_constantIbLb1EES1C_EEDaS17_S18_EUlS17_E_NS1_11comp_targetILNS1_3genE5ELNS1_11target_archE942ELNS1_3gpuE9ELNS1_3repE0EEENS1_30default_config_static_selectorELNS0_4arch9wavefront6targetE1EEEvT1_, .Lfunc_end453-_ZN7rocprim17ROCPRIM_400000_NS6detail17trampoline_kernelINS0_14default_configENS1_25partition_config_selectorILNS1_17partition_subalgoE8ElNS0_10empty_typeEbEEZZNS1_14partition_implILS5_8ELb0ES3_jPlPS6_PKS6_NS0_5tupleIJS9_S6_EEENSD_IJSA_SA_EEENS0_18inequality_wrapperIZN2at6native12_GLOBAL__N_124unique_dim_cuda_templateIiEESt5tupleIJNSH_6TensorESM_SM_EERKSM_lbbbEUlllE0_EEPmJS6_EEE10hipError_tPvRmT3_T4_T5_T6_T7_T9_mT8_P12ihipStream_tbDpT10_ENKUlT_T0_E_clISt17integral_constantIbLb1EES1C_EEDaS17_S18_EUlS17_E_NS1_11comp_targetILNS1_3genE5ELNS1_11target_archE942ELNS1_3gpuE9ELNS1_3repE0EEENS1_30default_config_static_selectorELNS0_4arch9wavefront6targetE1EEEvT1_
                                        ; -- End function
	.section	.AMDGPU.csdata,"",@progbits
; Kernel info:
; codeLenInByte = 13124
; NumSgprs: 62
; NumVgprs: 52
; NumAgprs: 0
; TotalNumVgprs: 52
; ScratchSize: 0
; MemoryBound: 0
; FloatMode: 240
; IeeeMode: 1
; LDSByteSize: 28684 bytes/workgroup (compile time only)
; SGPRBlocks: 7
; VGPRBlocks: 6
; NumSGPRsForWavesPerEU: 62
; NumVGPRsForWavesPerEU: 52
; AccumOffset: 52
; Occupancy: 4
; WaveLimiterHint : 1
; COMPUTE_PGM_RSRC2:SCRATCH_EN: 0
; COMPUTE_PGM_RSRC2:USER_SGPR: 2
; COMPUTE_PGM_RSRC2:TRAP_HANDLER: 0
; COMPUTE_PGM_RSRC2:TGID_X_EN: 1
; COMPUTE_PGM_RSRC2:TGID_Y_EN: 0
; COMPUTE_PGM_RSRC2:TGID_Z_EN: 0
; COMPUTE_PGM_RSRC2:TIDIG_COMP_CNT: 0
; COMPUTE_PGM_RSRC3_GFX90A:ACCUM_OFFSET: 12
; COMPUTE_PGM_RSRC3_GFX90A:TG_SPLIT: 0
	.section	.text._ZN7rocprim17ROCPRIM_400000_NS6detail17trampoline_kernelINS0_14default_configENS1_25partition_config_selectorILNS1_17partition_subalgoE8ElNS0_10empty_typeEbEEZZNS1_14partition_implILS5_8ELb0ES3_jPlPS6_PKS6_NS0_5tupleIJS9_S6_EEENSD_IJSA_SA_EEENS0_18inequality_wrapperIZN2at6native12_GLOBAL__N_124unique_dim_cuda_templateIiEESt5tupleIJNSH_6TensorESM_SM_EERKSM_lbbbEUlllE0_EEPmJS6_EEE10hipError_tPvRmT3_T4_T5_T6_T7_T9_mT8_P12ihipStream_tbDpT10_ENKUlT_T0_E_clISt17integral_constantIbLb1EES1C_EEDaS17_S18_EUlS17_E_NS1_11comp_targetILNS1_3genE4ELNS1_11target_archE910ELNS1_3gpuE8ELNS1_3repE0EEENS1_30default_config_static_selectorELNS0_4arch9wavefront6targetE1EEEvT1_,"axG",@progbits,_ZN7rocprim17ROCPRIM_400000_NS6detail17trampoline_kernelINS0_14default_configENS1_25partition_config_selectorILNS1_17partition_subalgoE8ElNS0_10empty_typeEbEEZZNS1_14partition_implILS5_8ELb0ES3_jPlPS6_PKS6_NS0_5tupleIJS9_S6_EEENSD_IJSA_SA_EEENS0_18inequality_wrapperIZN2at6native12_GLOBAL__N_124unique_dim_cuda_templateIiEESt5tupleIJNSH_6TensorESM_SM_EERKSM_lbbbEUlllE0_EEPmJS6_EEE10hipError_tPvRmT3_T4_T5_T6_T7_T9_mT8_P12ihipStream_tbDpT10_ENKUlT_T0_E_clISt17integral_constantIbLb1EES1C_EEDaS17_S18_EUlS17_E_NS1_11comp_targetILNS1_3genE4ELNS1_11target_archE910ELNS1_3gpuE8ELNS1_3repE0EEENS1_30default_config_static_selectorELNS0_4arch9wavefront6targetE1EEEvT1_,comdat
	.globl	_ZN7rocprim17ROCPRIM_400000_NS6detail17trampoline_kernelINS0_14default_configENS1_25partition_config_selectorILNS1_17partition_subalgoE8ElNS0_10empty_typeEbEEZZNS1_14partition_implILS5_8ELb0ES3_jPlPS6_PKS6_NS0_5tupleIJS9_S6_EEENSD_IJSA_SA_EEENS0_18inequality_wrapperIZN2at6native12_GLOBAL__N_124unique_dim_cuda_templateIiEESt5tupleIJNSH_6TensorESM_SM_EERKSM_lbbbEUlllE0_EEPmJS6_EEE10hipError_tPvRmT3_T4_T5_T6_T7_T9_mT8_P12ihipStream_tbDpT10_ENKUlT_T0_E_clISt17integral_constantIbLb1EES1C_EEDaS17_S18_EUlS17_E_NS1_11comp_targetILNS1_3genE4ELNS1_11target_archE910ELNS1_3gpuE8ELNS1_3repE0EEENS1_30default_config_static_selectorELNS0_4arch9wavefront6targetE1EEEvT1_ ; -- Begin function _ZN7rocprim17ROCPRIM_400000_NS6detail17trampoline_kernelINS0_14default_configENS1_25partition_config_selectorILNS1_17partition_subalgoE8ElNS0_10empty_typeEbEEZZNS1_14partition_implILS5_8ELb0ES3_jPlPS6_PKS6_NS0_5tupleIJS9_S6_EEENSD_IJSA_SA_EEENS0_18inequality_wrapperIZN2at6native12_GLOBAL__N_124unique_dim_cuda_templateIiEESt5tupleIJNSH_6TensorESM_SM_EERKSM_lbbbEUlllE0_EEPmJS6_EEE10hipError_tPvRmT3_T4_T5_T6_T7_T9_mT8_P12ihipStream_tbDpT10_ENKUlT_T0_E_clISt17integral_constantIbLb1EES1C_EEDaS17_S18_EUlS17_E_NS1_11comp_targetILNS1_3genE4ELNS1_11target_archE910ELNS1_3gpuE8ELNS1_3repE0EEENS1_30default_config_static_selectorELNS0_4arch9wavefront6targetE1EEEvT1_
	.p2align	8
	.type	_ZN7rocprim17ROCPRIM_400000_NS6detail17trampoline_kernelINS0_14default_configENS1_25partition_config_selectorILNS1_17partition_subalgoE8ElNS0_10empty_typeEbEEZZNS1_14partition_implILS5_8ELb0ES3_jPlPS6_PKS6_NS0_5tupleIJS9_S6_EEENSD_IJSA_SA_EEENS0_18inequality_wrapperIZN2at6native12_GLOBAL__N_124unique_dim_cuda_templateIiEESt5tupleIJNSH_6TensorESM_SM_EERKSM_lbbbEUlllE0_EEPmJS6_EEE10hipError_tPvRmT3_T4_T5_T6_T7_T9_mT8_P12ihipStream_tbDpT10_ENKUlT_T0_E_clISt17integral_constantIbLb1EES1C_EEDaS17_S18_EUlS17_E_NS1_11comp_targetILNS1_3genE4ELNS1_11target_archE910ELNS1_3gpuE8ELNS1_3repE0EEENS1_30default_config_static_selectorELNS0_4arch9wavefront6targetE1EEEvT1_,@function
_ZN7rocprim17ROCPRIM_400000_NS6detail17trampoline_kernelINS0_14default_configENS1_25partition_config_selectorILNS1_17partition_subalgoE8ElNS0_10empty_typeEbEEZZNS1_14partition_implILS5_8ELb0ES3_jPlPS6_PKS6_NS0_5tupleIJS9_S6_EEENSD_IJSA_SA_EEENS0_18inequality_wrapperIZN2at6native12_GLOBAL__N_124unique_dim_cuda_templateIiEESt5tupleIJNSH_6TensorESM_SM_EERKSM_lbbbEUlllE0_EEPmJS6_EEE10hipError_tPvRmT3_T4_T5_T6_T7_T9_mT8_P12ihipStream_tbDpT10_ENKUlT_T0_E_clISt17integral_constantIbLb1EES1C_EEDaS17_S18_EUlS17_E_NS1_11comp_targetILNS1_3genE4ELNS1_11target_archE910ELNS1_3gpuE8ELNS1_3repE0EEENS1_30default_config_static_selectorELNS0_4arch9wavefront6targetE1EEEvT1_: ; @_ZN7rocprim17ROCPRIM_400000_NS6detail17trampoline_kernelINS0_14default_configENS1_25partition_config_selectorILNS1_17partition_subalgoE8ElNS0_10empty_typeEbEEZZNS1_14partition_implILS5_8ELb0ES3_jPlPS6_PKS6_NS0_5tupleIJS9_S6_EEENSD_IJSA_SA_EEENS0_18inequality_wrapperIZN2at6native12_GLOBAL__N_124unique_dim_cuda_templateIiEESt5tupleIJNSH_6TensorESM_SM_EERKSM_lbbbEUlllE0_EEPmJS6_EEE10hipError_tPvRmT3_T4_T5_T6_T7_T9_mT8_P12ihipStream_tbDpT10_ENKUlT_T0_E_clISt17integral_constantIbLb1EES1C_EEDaS17_S18_EUlS17_E_NS1_11comp_targetILNS1_3genE4ELNS1_11target_archE910ELNS1_3gpuE8ELNS1_3repE0EEENS1_30default_config_static_selectorELNS0_4arch9wavefront6targetE1EEEvT1_
; %bb.0:
	.section	.rodata,"a",@progbits
	.p2align	6, 0x0
	.amdhsa_kernel _ZN7rocprim17ROCPRIM_400000_NS6detail17trampoline_kernelINS0_14default_configENS1_25partition_config_selectorILNS1_17partition_subalgoE8ElNS0_10empty_typeEbEEZZNS1_14partition_implILS5_8ELb0ES3_jPlPS6_PKS6_NS0_5tupleIJS9_S6_EEENSD_IJSA_SA_EEENS0_18inequality_wrapperIZN2at6native12_GLOBAL__N_124unique_dim_cuda_templateIiEESt5tupleIJNSH_6TensorESM_SM_EERKSM_lbbbEUlllE0_EEPmJS6_EEE10hipError_tPvRmT3_T4_T5_T6_T7_T9_mT8_P12ihipStream_tbDpT10_ENKUlT_T0_E_clISt17integral_constantIbLb1EES1C_EEDaS17_S18_EUlS17_E_NS1_11comp_targetILNS1_3genE4ELNS1_11target_archE910ELNS1_3gpuE8ELNS1_3repE0EEENS1_30default_config_static_selectorELNS0_4arch9wavefront6targetE1EEEvT1_
		.amdhsa_group_segment_fixed_size 0
		.amdhsa_private_segment_fixed_size 0
		.amdhsa_kernarg_size 136
		.amdhsa_user_sgpr_count 2
		.amdhsa_user_sgpr_dispatch_ptr 0
		.amdhsa_user_sgpr_queue_ptr 0
		.amdhsa_user_sgpr_kernarg_segment_ptr 1
		.amdhsa_user_sgpr_dispatch_id 0
		.amdhsa_user_sgpr_kernarg_preload_length 0
		.amdhsa_user_sgpr_kernarg_preload_offset 0
		.amdhsa_user_sgpr_private_segment_size 0
		.amdhsa_uses_dynamic_stack 0
		.amdhsa_enable_private_segment 0
		.amdhsa_system_sgpr_workgroup_id_x 1
		.amdhsa_system_sgpr_workgroup_id_y 0
		.amdhsa_system_sgpr_workgroup_id_z 0
		.amdhsa_system_sgpr_workgroup_info 0
		.amdhsa_system_vgpr_workitem_id 0
		.amdhsa_next_free_vgpr 1
		.amdhsa_next_free_sgpr 0
		.amdhsa_accum_offset 4
		.amdhsa_reserve_vcc 0
		.amdhsa_float_round_mode_32 0
		.amdhsa_float_round_mode_16_64 0
		.amdhsa_float_denorm_mode_32 3
		.amdhsa_float_denorm_mode_16_64 3
		.amdhsa_dx10_clamp 1
		.amdhsa_ieee_mode 1
		.amdhsa_fp16_overflow 0
		.amdhsa_tg_split 0
		.amdhsa_exception_fp_ieee_invalid_op 0
		.amdhsa_exception_fp_denorm_src 0
		.amdhsa_exception_fp_ieee_div_zero 0
		.amdhsa_exception_fp_ieee_overflow 0
		.amdhsa_exception_fp_ieee_underflow 0
		.amdhsa_exception_fp_ieee_inexact 0
		.amdhsa_exception_int_div_zero 0
	.end_amdhsa_kernel
	.section	.text._ZN7rocprim17ROCPRIM_400000_NS6detail17trampoline_kernelINS0_14default_configENS1_25partition_config_selectorILNS1_17partition_subalgoE8ElNS0_10empty_typeEbEEZZNS1_14partition_implILS5_8ELb0ES3_jPlPS6_PKS6_NS0_5tupleIJS9_S6_EEENSD_IJSA_SA_EEENS0_18inequality_wrapperIZN2at6native12_GLOBAL__N_124unique_dim_cuda_templateIiEESt5tupleIJNSH_6TensorESM_SM_EERKSM_lbbbEUlllE0_EEPmJS6_EEE10hipError_tPvRmT3_T4_T5_T6_T7_T9_mT8_P12ihipStream_tbDpT10_ENKUlT_T0_E_clISt17integral_constantIbLb1EES1C_EEDaS17_S18_EUlS17_E_NS1_11comp_targetILNS1_3genE4ELNS1_11target_archE910ELNS1_3gpuE8ELNS1_3repE0EEENS1_30default_config_static_selectorELNS0_4arch9wavefront6targetE1EEEvT1_,"axG",@progbits,_ZN7rocprim17ROCPRIM_400000_NS6detail17trampoline_kernelINS0_14default_configENS1_25partition_config_selectorILNS1_17partition_subalgoE8ElNS0_10empty_typeEbEEZZNS1_14partition_implILS5_8ELb0ES3_jPlPS6_PKS6_NS0_5tupleIJS9_S6_EEENSD_IJSA_SA_EEENS0_18inequality_wrapperIZN2at6native12_GLOBAL__N_124unique_dim_cuda_templateIiEESt5tupleIJNSH_6TensorESM_SM_EERKSM_lbbbEUlllE0_EEPmJS6_EEE10hipError_tPvRmT3_T4_T5_T6_T7_T9_mT8_P12ihipStream_tbDpT10_ENKUlT_T0_E_clISt17integral_constantIbLb1EES1C_EEDaS17_S18_EUlS17_E_NS1_11comp_targetILNS1_3genE4ELNS1_11target_archE910ELNS1_3gpuE8ELNS1_3repE0EEENS1_30default_config_static_selectorELNS0_4arch9wavefront6targetE1EEEvT1_,comdat
.Lfunc_end454:
	.size	_ZN7rocprim17ROCPRIM_400000_NS6detail17trampoline_kernelINS0_14default_configENS1_25partition_config_selectorILNS1_17partition_subalgoE8ElNS0_10empty_typeEbEEZZNS1_14partition_implILS5_8ELb0ES3_jPlPS6_PKS6_NS0_5tupleIJS9_S6_EEENSD_IJSA_SA_EEENS0_18inequality_wrapperIZN2at6native12_GLOBAL__N_124unique_dim_cuda_templateIiEESt5tupleIJNSH_6TensorESM_SM_EERKSM_lbbbEUlllE0_EEPmJS6_EEE10hipError_tPvRmT3_T4_T5_T6_T7_T9_mT8_P12ihipStream_tbDpT10_ENKUlT_T0_E_clISt17integral_constantIbLb1EES1C_EEDaS17_S18_EUlS17_E_NS1_11comp_targetILNS1_3genE4ELNS1_11target_archE910ELNS1_3gpuE8ELNS1_3repE0EEENS1_30default_config_static_selectorELNS0_4arch9wavefront6targetE1EEEvT1_, .Lfunc_end454-_ZN7rocprim17ROCPRIM_400000_NS6detail17trampoline_kernelINS0_14default_configENS1_25partition_config_selectorILNS1_17partition_subalgoE8ElNS0_10empty_typeEbEEZZNS1_14partition_implILS5_8ELb0ES3_jPlPS6_PKS6_NS0_5tupleIJS9_S6_EEENSD_IJSA_SA_EEENS0_18inequality_wrapperIZN2at6native12_GLOBAL__N_124unique_dim_cuda_templateIiEESt5tupleIJNSH_6TensorESM_SM_EERKSM_lbbbEUlllE0_EEPmJS6_EEE10hipError_tPvRmT3_T4_T5_T6_T7_T9_mT8_P12ihipStream_tbDpT10_ENKUlT_T0_E_clISt17integral_constantIbLb1EES1C_EEDaS17_S18_EUlS17_E_NS1_11comp_targetILNS1_3genE4ELNS1_11target_archE910ELNS1_3gpuE8ELNS1_3repE0EEENS1_30default_config_static_selectorELNS0_4arch9wavefront6targetE1EEEvT1_
                                        ; -- End function
	.section	.AMDGPU.csdata,"",@progbits
; Kernel info:
; codeLenInByte = 0
; NumSgprs: 6
; NumVgprs: 0
; NumAgprs: 0
; TotalNumVgprs: 0
; ScratchSize: 0
; MemoryBound: 0
; FloatMode: 240
; IeeeMode: 1
; LDSByteSize: 0 bytes/workgroup (compile time only)
; SGPRBlocks: 0
; VGPRBlocks: 0
; NumSGPRsForWavesPerEU: 6
; NumVGPRsForWavesPerEU: 1
; AccumOffset: 4
; Occupancy: 8
; WaveLimiterHint : 0
; COMPUTE_PGM_RSRC2:SCRATCH_EN: 0
; COMPUTE_PGM_RSRC2:USER_SGPR: 2
; COMPUTE_PGM_RSRC2:TRAP_HANDLER: 0
; COMPUTE_PGM_RSRC2:TGID_X_EN: 1
; COMPUTE_PGM_RSRC2:TGID_Y_EN: 0
; COMPUTE_PGM_RSRC2:TGID_Z_EN: 0
; COMPUTE_PGM_RSRC2:TIDIG_COMP_CNT: 0
; COMPUTE_PGM_RSRC3_GFX90A:ACCUM_OFFSET: 0
; COMPUTE_PGM_RSRC3_GFX90A:TG_SPLIT: 0
	.section	.text._ZN7rocprim17ROCPRIM_400000_NS6detail17trampoline_kernelINS0_14default_configENS1_25partition_config_selectorILNS1_17partition_subalgoE8ElNS0_10empty_typeEbEEZZNS1_14partition_implILS5_8ELb0ES3_jPlPS6_PKS6_NS0_5tupleIJS9_S6_EEENSD_IJSA_SA_EEENS0_18inequality_wrapperIZN2at6native12_GLOBAL__N_124unique_dim_cuda_templateIiEESt5tupleIJNSH_6TensorESM_SM_EERKSM_lbbbEUlllE0_EEPmJS6_EEE10hipError_tPvRmT3_T4_T5_T6_T7_T9_mT8_P12ihipStream_tbDpT10_ENKUlT_T0_E_clISt17integral_constantIbLb1EES1C_EEDaS17_S18_EUlS17_E_NS1_11comp_targetILNS1_3genE3ELNS1_11target_archE908ELNS1_3gpuE7ELNS1_3repE0EEENS1_30default_config_static_selectorELNS0_4arch9wavefront6targetE1EEEvT1_,"axG",@progbits,_ZN7rocprim17ROCPRIM_400000_NS6detail17trampoline_kernelINS0_14default_configENS1_25partition_config_selectorILNS1_17partition_subalgoE8ElNS0_10empty_typeEbEEZZNS1_14partition_implILS5_8ELb0ES3_jPlPS6_PKS6_NS0_5tupleIJS9_S6_EEENSD_IJSA_SA_EEENS0_18inequality_wrapperIZN2at6native12_GLOBAL__N_124unique_dim_cuda_templateIiEESt5tupleIJNSH_6TensorESM_SM_EERKSM_lbbbEUlllE0_EEPmJS6_EEE10hipError_tPvRmT3_T4_T5_T6_T7_T9_mT8_P12ihipStream_tbDpT10_ENKUlT_T0_E_clISt17integral_constantIbLb1EES1C_EEDaS17_S18_EUlS17_E_NS1_11comp_targetILNS1_3genE3ELNS1_11target_archE908ELNS1_3gpuE7ELNS1_3repE0EEENS1_30default_config_static_selectorELNS0_4arch9wavefront6targetE1EEEvT1_,comdat
	.globl	_ZN7rocprim17ROCPRIM_400000_NS6detail17trampoline_kernelINS0_14default_configENS1_25partition_config_selectorILNS1_17partition_subalgoE8ElNS0_10empty_typeEbEEZZNS1_14partition_implILS5_8ELb0ES3_jPlPS6_PKS6_NS0_5tupleIJS9_S6_EEENSD_IJSA_SA_EEENS0_18inequality_wrapperIZN2at6native12_GLOBAL__N_124unique_dim_cuda_templateIiEESt5tupleIJNSH_6TensorESM_SM_EERKSM_lbbbEUlllE0_EEPmJS6_EEE10hipError_tPvRmT3_T4_T5_T6_T7_T9_mT8_P12ihipStream_tbDpT10_ENKUlT_T0_E_clISt17integral_constantIbLb1EES1C_EEDaS17_S18_EUlS17_E_NS1_11comp_targetILNS1_3genE3ELNS1_11target_archE908ELNS1_3gpuE7ELNS1_3repE0EEENS1_30default_config_static_selectorELNS0_4arch9wavefront6targetE1EEEvT1_ ; -- Begin function _ZN7rocprim17ROCPRIM_400000_NS6detail17trampoline_kernelINS0_14default_configENS1_25partition_config_selectorILNS1_17partition_subalgoE8ElNS0_10empty_typeEbEEZZNS1_14partition_implILS5_8ELb0ES3_jPlPS6_PKS6_NS0_5tupleIJS9_S6_EEENSD_IJSA_SA_EEENS0_18inequality_wrapperIZN2at6native12_GLOBAL__N_124unique_dim_cuda_templateIiEESt5tupleIJNSH_6TensorESM_SM_EERKSM_lbbbEUlllE0_EEPmJS6_EEE10hipError_tPvRmT3_T4_T5_T6_T7_T9_mT8_P12ihipStream_tbDpT10_ENKUlT_T0_E_clISt17integral_constantIbLb1EES1C_EEDaS17_S18_EUlS17_E_NS1_11comp_targetILNS1_3genE3ELNS1_11target_archE908ELNS1_3gpuE7ELNS1_3repE0EEENS1_30default_config_static_selectorELNS0_4arch9wavefront6targetE1EEEvT1_
	.p2align	8
	.type	_ZN7rocprim17ROCPRIM_400000_NS6detail17trampoline_kernelINS0_14default_configENS1_25partition_config_selectorILNS1_17partition_subalgoE8ElNS0_10empty_typeEbEEZZNS1_14partition_implILS5_8ELb0ES3_jPlPS6_PKS6_NS0_5tupleIJS9_S6_EEENSD_IJSA_SA_EEENS0_18inequality_wrapperIZN2at6native12_GLOBAL__N_124unique_dim_cuda_templateIiEESt5tupleIJNSH_6TensorESM_SM_EERKSM_lbbbEUlllE0_EEPmJS6_EEE10hipError_tPvRmT3_T4_T5_T6_T7_T9_mT8_P12ihipStream_tbDpT10_ENKUlT_T0_E_clISt17integral_constantIbLb1EES1C_EEDaS17_S18_EUlS17_E_NS1_11comp_targetILNS1_3genE3ELNS1_11target_archE908ELNS1_3gpuE7ELNS1_3repE0EEENS1_30default_config_static_selectorELNS0_4arch9wavefront6targetE1EEEvT1_,@function
_ZN7rocprim17ROCPRIM_400000_NS6detail17trampoline_kernelINS0_14default_configENS1_25partition_config_selectorILNS1_17partition_subalgoE8ElNS0_10empty_typeEbEEZZNS1_14partition_implILS5_8ELb0ES3_jPlPS6_PKS6_NS0_5tupleIJS9_S6_EEENSD_IJSA_SA_EEENS0_18inequality_wrapperIZN2at6native12_GLOBAL__N_124unique_dim_cuda_templateIiEESt5tupleIJNSH_6TensorESM_SM_EERKSM_lbbbEUlllE0_EEPmJS6_EEE10hipError_tPvRmT3_T4_T5_T6_T7_T9_mT8_P12ihipStream_tbDpT10_ENKUlT_T0_E_clISt17integral_constantIbLb1EES1C_EEDaS17_S18_EUlS17_E_NS1_11comp_targetILNS1_3genE3ELNS1_11target_archE908ELNS1_3gpuE7ELNS1_3repE0EEENS1_30default_config_static_selectorELNS0_4arch9wavefront6targetE1EEEvT1_: ; @_ZN7rocprim17ROCPRIM_400000_NS6detail17trampoline_kernelINS0_14default_configENS1_25partition_config_selectorILNS1_17partition_subalgoE8ElNS0_10empty_typeEbEEZZNS1_14partition_implILS5_8ELb0ES3_jPlPS6_PKS6_NS0_5tupleIJS9_S6_EEENSD_IJSA_SA_EEENS0_18inequality_wrapperIZN2at6native12_GLOBAL__N_124unique_dim_cuda_templateIiEESt5tupleIJNSH_6TensorESM_SM_EERKSM_lbbbEUlllE0_EEPmJS6_EEE10hipError_tPvRmT3_T4_T5_T6_T7_T9_mT8_P12ihipStream_tbDpT10_ENKUlT_T0_E_clISt17integral_constantIbLb1EES1C_EEDaS17_S18_EUlS17_E_NS1_11comp_targetILNS1_3genE3ELNS1_11target_archE908ELNS1_3gpuE7ELNS1_3repE0EEENS1_30default_config_static_selectorELNS0_4arch9wavefront6targetE1EEEvT1_
; %bb.0:
	.section	.rodata,"a",@progbits
	.p2align	6, 0x0
	.amdhsa_kernel _ZN7rocprim17ROCPRIM_400000_NS6detail17trampoline_kernelINS0_14default_configENS1_25partition_config_selectorILNS1_17partition_subalgoE8ElNS0_10empty_typeEbEEZZNS1_14partition_implILS5_8ELb0ES3_jPlPS6_PKS6_NS0_5tupleIJS9_S6_EEENSD_IJSA_SA_EEENS0_18inequality_wrapperIZN2at6native12_GLOBAL__N_124unique_dim_cuda_templateIiEESt5tupleIJNSH_6TensorESM_SM_EERKSM_lbbbEUlllE0_EEPmJS6_EEE10hipError_tPvRmT3_T4_T5_T6_T7_T9_mT8_P12ihipStream_tbDpT10_ENKUlT_T0_E_clISt17integral_constantIbLb1EES1C_EEDaS17_S18_EUlS17_E_NS1_11comp_targetILNS1_3genE3ELNS1_11target_archE908ELNS1_3gpuE7ELNS1_3repE0EEENS1_30default_config_static_selectorELNS0_4arch9wavefront6targetE1EEEvT1_
		.amdhsa_group_segment_fixed_size 0
		.amdhsa_private_segment_fixed_size 0
		.amdhsa_kernarg_size 136
		.amdhsa_user_sgpr_count 2
		.amdhsa_user_sgpr_dispatch_ptr 0
		.amdhsa_user_sgpr_queue_ptr 0
		.amdhsa_user_sgpr_kernarg_segment_ptr 1
		.amdhsa_user_sgpr_dispatch_id 0
		.amdhsa_user_sgpr_kernarg_preload_length 0
		.amdhsa_user_sgpr_kernarg_preload_offset 0
		.amdhsa_user_sgpr_private_segment_size 0
		.amdhsa_uses_dynamic_stack 0
		.amdhsa_enable_private_segment 0
		.amdhsa_system_sgpr_workgroup_id_x 1
		.amdhsa_system_sgpr_workgroup_id_y 0
		.amdhsa_system_sgpr_workgroup_id_z 0
		.amdhsa_system_sgpr_workgroup_info 0
		.amdhsa_system_vgpr_workitem_id 0
		.amdhsa_next_free_vgpr 1
		.amdhsa_next_free_sgpr 0
		.amdhsa_accum_offset 4
		.amdhsa_reserve_vcc 0
		.amdhsa_float_round_mode_32 0
		.amdhsa_float_round_mode_16_64 0
		.amdhsa_float_denorm_mode_32 3
		.amdhsa_float_denorm_mode_16_64 3
		.amdhsa_dx10_clamp 1
		.amdhsa_ieee_mode 1
		.amdhsa_fp16_overflow 0
		.amdhsa_tg_split 0
		.amdhsa_exception_fp_ieee_invalid_op 0
		.amdhsa_exception_fp_denorm_src 0
		.amdhsa_exception_fp_ieee_div_zero 0
		.amdhsa_exception_fp_ieee_overflow 0
		.amdhsa_exception_fp_ieee_underflow 0
		.amdhsa_exception_fp_ieee_inexact 0
		.amdhsa_exception_int_div_zero 0
	.end_amdhsa_kernel
	.section	.text._ZN7rocprim17ROCPRIM_400000_NS6detail17trampoline_kernelINS0_14default_configENS1_25partition_config_selectorILNS1_17partition_subalgoE8ElNS0_10empty_typeEbEEZZNS1_14partition_implILS5_8ELb0ES3_jPlPS6_PKS6_NS0_5tupleIJS9_S6_EEENSD_IJSA_SA_EEENS0_18inequality_wrapperIZN2at6native12_GLOBAL__N_124unique_dim_cuda_templateIiEESt5tupleIJNSH_6TensorESM_SM_EERKSM_lbbbEUlllE0_EEPmJS6_EEE10hipError_tPvRmT3_T4_T5_T6_T7_T9_mT8_P12ihipStream_tbDpT10_ENKUlT_T0_E_clISt17integral_constantIbLb1EES1C_EEDaS17_S18_EUlS17_E_NS1_11comp_targetILNS1_3genE3ELNS1_11target_archE908ELNS1_3gpuE7ELNS1_3repE0EEENS1_30default_config_static_selectorELNS0_4arch9wavefront6targetE1EEEvT1_,"axG",@progbits,_ZN7rocprim17ROCPRIM_400000_NS6detail17trampoline_kernelINS0_14default_configENS1_25partition_config_selectorILNS1_17partition_subalgoE8ElNS0_10empty_typeEbEEZZNS1_14partition_implILS5_8ELb0ES3_jPlPS6_PKS6_NS0_5tupleIJS9_S6_EEENSD_IJSA_SA_EEENS0_18inequality_wrapperIZN2at6native12_GLOBAL__N_124unique_dim_cuda_templateIiEESt5tupleIJNSH_6TensorESM_SM_EERKSM_lbbbEUlllE0_EEPmJS6_EEE10hipError_tPvRmT3_T4_T5_T6_T7_T9_mT8_P12ihipStream_tbDpT10_ENKUlT_T0_E_clISt17integral_constantIbLb1EES1C_EEDaS17_S18_EUlS17_E_NS1_11comp_targetILNS1_3genE3ELNS1_11target_archE908ELNS1_3gpuE7ELNS1_3repE0EEENS1_30default_config_static_selectorELNS0_4arch9wavefront6targetE1EEEvT1_,comdat
.Lfunc_end455:
	.size	_ZN7rocprim17ROCPRIM_400000_NS6detail17trampoline_kernelINS0_14default_configENS1_25partition_config_selectorILNS1_17partition_subalgoE8ElNS0_10empty_typeEbEEZZNS1_14partition_implILS5_8ELb0ES3_jPlPS6_PKS6_NS0_5tupleIJS9_S6_EEENSD_IJSA_SA_EEENS0_18inequality_wrapperIZN2at6native12_GLOBAL__N_124unique_dim_cuda_templateIiEESt5tupleIJNSH_6TensorESM_SM_EERKSM_lbbbEUlllE0_EEPmJS6_EEE10hipError_tPvRmT3_T4_T5_T6_T7_T9_mT8_P12ihipStream_tbDpT10_ENKUlT_T0_E_clISt17integral_constantIbLb1EES1C_EEDaS17_S18_EUlS17_E_NS1_11comp_targetILNS1_3genE3ELNS1_11target_archE908ELNS1_3gpuE7ELNS1_3repE0EEENS1_30default_config_static_selectorELNS0_4arch9wavefront6targetE1EEEvT1_, .Lfunc_end455-_ZN7rocprim17ROCPRIM_400000_NS6detail17trampoline_kernelINS0_14default_configENS1_25partition_config_selectorILNS1_17partition_subalgoE8ElNS0_10empty_typeEbEEZZNS1_14partition_implILS5_8ELb0ES3_jPlPS6_PKS6_NS0_5tupleIJS9_S6_EEENSD_IJSA_SA_EEENS0_18inequality_wrapperIZN2at6native12_GLOBAL__N_124unique_dim_cuda_templateIiEESt5tupleIJNSH_6TensorESM_SM_EERKSM_lbbbEUlllE0_EEPmJS6_EEE10hipError_tPvRmT3_T4_T5_T6_T7_T9_mT8_P12ihipStream_tbDpT10_ENKUlT_T0_E_clISt17integral_constantIbLb1EES1C_EEDaS17_S18_EUlS17_E_NS1_11comp_targetILNS1_3genE3ELNS1_11target_archE908ELNS1_3gpuE7ELNS1_3repE0EEENS1_30default_config_static_selectorELNS0_4arch9wavefront6targetE1EEEvT1_
                                        ; -- End function
	.section	.AMDGPU.csdata,"",@progbits
; Kernel info:
; codeLenInByte = 0
; NumSgprs: 6
; NumVgprs: 0
; NumAgprs: 0
; TotalNumVgprs: 0
; ScratchSize: 0
; MemoryBound: 0
; FloatMode: 240
; IeeeMode: 1
; LDSByteSize: 0 bytes/workgroup (compile time only)
; SGPRBlocks: 0
; VGPRBlocks: 0
; NumSGPRsForWavesPerEU: 6
; NumVGPRsForWavesPerEU: 1
; AccumOffset: 4
; Occupancy: 8
; WaveLimiterHint : 0
; COMPUTE_PGM_RSRC2:SCRATCH_EN: 0
; COMPUTE_PGM_RSRC2:USER_SGPR: 2
; COMPUTE_PGM_RSRC2:TRAP_HANDLER: 0
; COMPUTE_PGM_RSRC2:TGID_X_EN: 1
; COMPUTE_PGM_RSRC2:TGID_Y_EN: 0
; COMPUTE_PGM_RSRC2:TGID_Z_EN: 0
; COMPUTE_PGM_RSRC2:TIDIG_COMP_CNT: 0
; COMPUTE_PGM_RSRC3_GFX90A:ACCUM_OFFSET: 0
; COMPUTE_PGM_RSRC3_GFX90A:TG_SPLIT: 0
	.section	.text._ZN7rocprim17ROCPRIM_400000_NS6detail17trampoline_kernelINS0_14default_configENS1_25partition_config_selectorILNS1_17partition_subalgoE8ElNS0_10empty_typeEbEEZZNS1_14partition_implILS5_8ELb0ES3_jPlPS6_PKS6_NS0_5tupleIJS9_S6_EEENSD_IJSA_SA_EEENS0_18inequality_wrapperIZN2at6native12_GLOBAL__N_124unique_dim_cuda_templateIiEESt5tupleIJNSH_6TensorESM_SM_EERKSM_lbbbEUlllE0_EEPmJS6_EEE10hipError_tPvRmT3_T4_T5_T6_T7_T9_mT8_P12ihipStream_tbDpT10_ENKUlT_T0_E_clISt17integral_constantIbLb1EES1C_EEDaS17_S18_EUlS17_E_NS1_11comp_targetILNS1_3genE2ELNS1_11target_archE906ELNS1_3gpuE6ELNS1_3repE0EEENS1_30default_config_static_selectorELNS0_4arch9wavefront6targetE1EEEvT1_,"axG",@progbits,_ZN7rocprim17ROCPRIM_400000_NS6detail17trampoline_kernelINS0_14default_configENS1_25partition_config_selectorILNS1_17partition_subalgoE8ElNS0_10empty_typeEbEEZZNS1_14partition_implILS5_8ELb0ES3_jPlPS6_PKS6_NS0_5tupleIJS9_S6_EEENSD_IJSA_SA_EEENS0_18inequality_wrapperIZN2at6native12_GLOBAL__N_124unique_dim_cuda_templateIiEESt5tupleIJNSH_6TensorESM_SM_EERKSM_lbbbEUlllE0_EEPmJS6_EEE10hipError_tPvRmT3_T4_T5_T6_T7_T9_mT8_P12ihipStream_tbDpT10_ENKUlT_T0_E_clISt17integral_constantIbLb1EES1C_EEDaS17_S18_EUlS17_E_NS1_11comp_targetILNS1_3genE2ELNS1_11target_archE906ELNS1_3gpuE6ELNS1_3repE0EEENS1_30default_config_static_selectorELNS0_4arch9wavefront6targetE1EEEvT1_,comdat
	.globl	_ZN7rocprim17ROCPRIM_400000_NS6detail17trampoline_kernelINS0_14default_configENS1_25partition_config_selectorILNS1_17partition_subalgoE8ElNS0_10empty_typeEbEEZZNS1_14partition_implILS5_8ELb0ES3_jPlPS6_PKS6_NS0_5tupleIJS9_S6_EEENSD_IJSA_SA_EEENS0_18inequality_wrapperIZN2at6native12_GLOBAL__N_124unique_dim_cuda_templateIiEESt5tupleIJNSH_6TensorESM_SM_EERKSM_lbbbEUlllE0_EEPmJS6_EEE10hipError_tPvRmT3_T4_T5_T6_T7_T9_mT8_P12ihipStream_tbDpT10_ENKUlT_T0_E_clISt17integral_constantIbLb1EES1C_EEDaS17_S18_EUlS17_E_NS1_11comp_targetILNS1_3genE2ELNS1_11target_archE906ELNS1_3gpuE6ELNS1_3repE0EEENS1_30default_config_static_selectorELNS0_4arch9wavefront6targetE1EEEvT1_ ; -- Begin function _ZN7rocprim17ROCPRIM_400000_NS6detail17trampoline_kernelINS0_14default_configENS1_25partition_config_selectorILNS1_17partition_subalgoE8ElNS0_10empty_typeEbEEZZNS1_14partition_implILS5_8ELb0ES3_jPlPS6_PKS6_NS0_5tupleIJS9_S6_EEENSD_IJSA_SA_EEENS0_18inequality_wrapperIZN2at6native12_GLOBAL__N_124unique_dim_cuda_templateIiEESt5tupleIJNSH_6TensorESM_SM_EERKSM_lbbbEUlllE0_EEPmJS6_EEE10hipError_tPvRmT3_T4_T5_T6_T7_T9_mT8_P12ihipStream_tbDpT10_ENKUlT_T0_E_clISt17integral_constantIbLb1EES1C_EEDaS17_S18_EUlS17_E_NS1_11comp_targetILNS1_3genE2ELNS1_11target_archE906ELNS1_3gpuE6ELNS1_3repE0EEENS1_30default_config_static_selectorELNS0_4arch9wavefront6targetE1EEEvT1_
	.p2align	8
	.type	_ZN7rocprim17ROCPRIM_400000_NS6detail17trampoline_kernelINS0_14default_configENS1_25partition_config_selectorILNS1_17partition_subalgoE8ElNS0_10empty_typeEbEEZZNS1_14partition_implILS5_8ELb0ES3_jPlPS6_PKS6_NS0_5tupleIJS9_S6_EEENSD_IJSA_SA_EEENS0_18inequality_wrapperIZN2at6native12_GLOBAL__N_124unique_dim_cuda_templateIiEESt5tupleIJNSH_6TensorESM_SM_EERKSM_lbbbEUlllE0_EEPmJS6_EEE10hipError_tPvRmT3_T4_T5_T6_T7_T9_mT8_P12ihipStream_tbDpT10_ENKUlT_T0_E_clISt17integral_constantIbLb1EES1C_EEDaS17_S18_EUlS17_E_NS1_11comp_targetILNS1_3genE2ELNS1_11target_archE906ELNS1_3gpuE6ELNS1_3repE0EEENS1_30default_config_static_selectorELNS0_4arch9wavefront6targetE1EEEvT1_,@function
_ZN7rocprim17ROCPRIM_400000_NS6detail17trampoline_kernelINS0_14default_configENS1_25partition_config_selectorILNS1_17partition_subalgoE8ElNS0_10empty_typeEbEEZZNS1_14partition_implILS5_8ELb0ES3_jPlPS6_PKS6_NS0_5tupleIJS9_S6_EEENSD_IJSA_SA_EEENS0_18inequality_wrapperIZN2at6native12_GLOBAL__N_124unique_dim_cuda_templateIiEESt5tupleIJNSH_6TensorESM_SM_EERKSM_lbbbEUlllE0_EEPmJS6_EEE10hipError_tPvRmT3_T4_T5_T6_T7_T9_mT8_P12ihipStream_tbDpT10_ENKUlT_T0_E_clISt17integral_constantIbLb1EES1C_EEDaS17_S18_EUlS17_E_NS1_11comp_targetILNS1_3genE2ELNS1_11target_archE906ELNS1_3gpuE6ELNS1_3repE0EEENS1_30default_config_static_selectorELNS0_4arch9wavefront6targetE1EEEvT1_: ; @_ZN7rocprim17ROCPRIM_400000_NS6detail17trampoline_kernelINS0_14default_configENS1_25partition_config_selectorILNS1_17partition_subalgoE8ElNS0_10empty_typeEbEEZZNS1_14partition_implILS5_8ELb0ES3_jPlPS6_PKS6_NS0_5tupleIJS9_S6_EEENSD_IJSA_SA_EEENS0_18inequality_wrapperIZN2at6native12_GLOBAL__N_124unique_dim_cuda_templateIiEESt5tupleIJNSH_6TensorESM_SM_EERKSM_lbbbEUlllE0_EEPmJS6_EEE10hipError_tPvRmT3_T4_T5_T6_T7_T9_mT8_P12ihipStream_tbDpT10_ENKUlT_T0_E_clISt17integral_constantIbLb1EES1C_EEDaS17_S18_EUlS17_E_NS1_11comp_targetILNS1_3genE2ELNS1_11target_archE906ELNS1_3gpuE6ELNS1_3repE0EEENS1_30default_config_static_selectorELNS0_4arch9wavefront6targetE1EEEvT1_
; %bb.0:
	.section	.rodata,"a",@progbits
	.p2align	6, 0x0
	.amdhsa_kernel _ZN7rocprim17ROCPRIM_400000_NS6detail17trampoline_kernelINS0_14default_configENS1_25partition_config_selectorILNS1_17partition_subalgoE8ElNS0_10empty_typeEbEEZZNS1_14partition_implILS5_8ELb0ES3_jPlPS6_PKS6_NS0_5tupleIJS9_S6_EEENSD_IJSA_SA_EEENS0_18inequality_wrapperIZN2at6native12_GLOBAL__N_124unique_dim_cuda_templateIiEESt5tupleIJNSH_6TensorESM_SM_EERKSM_lbbbEUlllE0_EEPmJS6_EEE10hipError_tPvRmT3_T4_T5_T6_T7_T9_mT8_P12ihipStream_tbDpT10_ENKUlT_T0_E_clISt17integral_constantIbLb1EES1C_EEDaS17_S18_EUlS17_E_NS1_11comp_targetILNS1_3genE2ELNS1_11target_archE906ELNS1_3gpuE6ELNS1_3repE0EEENS1_30default_config_static_selectorELNS0_4arch9wavefront6targetE1EEEvT1_
		.amdhsa_group_segment_fixed_size 0
		.amdhsa_private_segment_fixed_size 0
		.amdhsa_kernarg_size 136
		.amdhsa_user_sgpr_count 2
		.amdhsa_user_sgpr_dispatch_ptr 0
		.amdhsa_user_sgpr_queue_ptr 0
		.amdhsa_user_sgpr_kernarg_segment_ptr 1
		.amdhsa_user_sgpr_dispatch_id 0
		.amdhsa_user_sgpr_kernarg_preload_length 0
		.amdhsa_user_sgpr_kernarg_preload_offset 0
		.amdhsa_user_sgpr_private_segment_size 0
		.amdhsa_uses_dynamic_stack 0
		.amdhsa_enable_private_segment 0
		.amdhsa_system_sgpr_workgroup_id_x 1
		.amdhsa_system_sgpr_workgroup_id_y 0
		.amdhsa_system_sgpr_workgroup_id_z 0
		.amdhsa_system_sgpr_workgroup_info 0
		.amdhsa_system_vgpr_workitem_id 0
		.amdhsa_next_free_vgpr 1
		.amdhsa_next_free_sgpr 0
		.amdhsa_accum_offset 4
		.amdhsa_reserve_vcc 0
		.amdhsa_float_round_mode_32 0
		.amdhsa_float_round_mode_16_64 0
		.amdhsa_float_denorm_mode_32 3
		.amdhsa_float_denorm_mode_16_64 3
		.amdhsa_dx10_clamp 1
		.amdhsa_ieee_mode 1
		.amdhsa_fp16_overflow 0
		.amdhsa_tg_split 0
		.amdhsa_exception_fp_ieee_invalid_op 0
		.amdhsa_exception_fp_denorm_src 0
		.amdhsa_exception_fp_ieee_div_zero 0
		.amdhsa_exception_fp_ieee_overflow 0
		.amdhsa_exception_fp_ieee_underflow 0
		.amdhsa_exception_fp_ieee_inexact 0
		.amdhsa_exception_int_div_zero 0
	.end_amdhsa_kernel
	.section	.text._ZN7rocprim17ROCPRIM_400000_NS6detail17trampoline_kernelINS0_14default_configENS1_25partition_config_selectorILNS1_17partition_subalgoE8ElNS0_10empty_typeEbEEZZNS1_14partition_implILS5_8ELb0ES3_jPlPS6_PKS6_NS0_5tupleIJS9_S6_EEENSD_IJSA_SA_EEENS0_18inequality_wrapperIZN2at6native12_GLOBAL__N_124unique_dim_cuda_templateIiEESt5tupleIJNSH_6TensorESM_SM_EERKSM_lbbbEUlllE0_EEPmJS6_EEE10hipError_tPvRmT3_T4_T5_T6_T7_T9_mT8_P12ihipStream_tbDpT10_ENKUlT_T0_E_clISt17integral_constantIbLb1EES1C_EEDaS17_S18_EUlS17_E_NS1_11comp_targetILNS1_3genE2ELNS1_11target_archE906ELNS1_3gpuE6ELNS1_3repE0EEENS1_30default_config_static_selectorELNS0_4arch9wavefront6targetE1EEEvT1_,"axG",@progbits,_ZN7rocprim17ROCPRIM_400000_NS6detail17trampoline_kernelINS0_14default_configENS1_25partition_config_selectorILNS1_17partition_subalgoE8ElNS0_10empty_typeEbEEZZNS1_14partition_implILS5_8ELb0ES3_jPlPS6_PKS6_NS0_5tupleIJS9_S6_EEENSD_IJSA_SA_EEENS0_18inequality_wrapperIZN2at6native12_GLOBAL__N_124unique_dim_cuda_templateIiEESt5tupleIJNSH_6TensorESM_SM_EERKSM_lbbbEUlllE0_EEPmJS6_EEE10hipError_tPvRmT3_T4_T5_T6_T7_T9_mT8_P12ihipStream_tbDpT10_ENKUlT_T0_E_clISt17integral_constantIbLb1EES1C_EEDaS17_S18_EUlS17_E_NS1_11comp_targetILNS1_3genE2ELNS1_11target_archE906ELNS1_3gpuE6ELNS1_3repE0EEENS1_30default_config_static_selectorELNS0_4arch9wavefront6targetE1EEEvT1_,comdat
.Lfunc_end456:
	.size	_ZN7rocprim17ROCPRIM_400000_NS6detail17trampoline_kernelINS0_14default_configENS1_25partition_config_selectorILNS1_17partition_subalgoE8ElNS0_10empty_typeEbEEZZNS1_14partition_implILS5_8ELb0ES3_jPlPS6_PKS6_NS0_5tupleIJS9_S6_EEENSD_IJSA_SA_EEENS0_18inequality_wrapperIZN2at6native12_GLOBAL__N_124unique_dim_cuda_templateIiEESt5tupleIJNSH_6TensorESM_SM_EERKSM_lbbbEUlllE0_EEPmJS6_EEE10hipError_tPvRmT3_T4_T5_T6_T7_T9_mT8_P12ihipStream_tbDpT10_ENKUlT_T0_E_clISt17integral_constantIbLb1EES1C_EEDaS17_S18_EUlS17_E_NS1_11comp_targetILNS1_3genE2ELNS1_11target_archE906ELNS1_3gpuE6ELNS1_3repE0EEENS1_30default_config_static_selectorELNS0_4arch9wavefront6targetE1EEEvT1_, .Lfunc_end456-_ZN7rocprim17ROCPRIM_400000_NS6detail17trampoline_kernelINS0_14default_configENS1_25partition_config_selectorILNS1_17partition_subalgoE8ElNS0_10empty_typeEbEEZZNS1_14partition_implILS5_8ELb0ES3_jPlPS6_PKS6_NS0_5tupleIJS9_S6_EEENSD_IJSA_SA_EEENS0_18inequality_wrapperIZN2at6native12_GLOBAL__N_124unique_dim_cuda_templateIiEESt5tupleIJNSH_6TensorESM_SM_EERKSM_lbbbEUlllE0_EEPmJS6_EEE10hipError_tPvRmT3_T4_T5_T6_T7_T9_mT8_P12ihipStream_tbDpT10_ENKUlT_T0_E_clISt17integral_constantIbLb1EES1C_EEDaS17_S18_EUlS17_E_NS1_11comp_targetILNS1_3genE2ELNS1_11target_archE906ELNS1_3gpuE6ELNS1_3repE0EEENS1_30default_config_static_selectorELNS0_4arch9wavefront6targetE1EEEvT1_
                                        ; -- End function
	.section	.AMDGPU.csdata,"",@progbits
; Kernel info:
; codeLenInByte = 0
; NumSgprs: 6
; NumVgprs: 0
; NumAgprs: 0
; TotalNumVgprs: 0
; ScratchSize: 0
; MemoryBound: 0
; FloatMode: 240
; IeeeMode: 1
; LDSByteSize: 0 bytes/workgroup (compile time only)
; SGPRBlocks: 0
; VGPRBlocks: 0
; NumSGPRsForWavesPerEU: 6
; NumVGPRsForWavesPerEU: 1
; AccumOffset: 4
; Occupancy: 8
; WaveLimiterHint : 0
; COMPUTE_PGM_RSRC2:SCRATCH_EN: 0
; COMPUTE_PGM_RSRC2:USER_SGPR: 2
; COMPUTE_PGM_RSRC2:TRAP_HANDLER: 0
; COMPUTE_PGM_RSRC2:TGID_X_EN: 1
; COMPUTE_PGM_RSRC2:TGID_Y_EN: 0
; COMPUTE_PGM_RSRC2:TGID_Z_EN: 0
; COMPUTE_PGM_RSRC2:TIDIG_COMP_CNT: 0
; COMPUTE_PGM_RSRC3_GFX90A:ACCUM_OFFSET: 0
; COMPUTE_PGM_RSRC3_GFX90A:TG_SPLIT: 0
	.section	.text._ZN7rocprim17ROCPRIM_400000_NS6detail17trampoline_kernelINS0_14default_configENS1_25partition_config_selectorILNS1_17partition_subalgoE8ElNS0_10empty_typeEbEEZZNS1_14partition_implILS5_8ELb0ES3_jPlPS6_PKS6_NS0_5tupleIJS9_S6_EEENSD_IJSA_SA_EEENS0_18inequality_wrapperIZN2at6native12_GLOBAL__N_124unique_dim_cuda_templateIiEESt5tupleIJNSH_6TensorESM_SM_EERKSM_lbbbEUlllE0_EEPmJS6_EEE10hipError_tPvRmT3_T4_T5_T6_T7_T9_mT8_P12ihipStream_tbDpT10_ENKUlT_T0_E_clISt17integral_constantIbLb1EES1C_EEDaS17_S18_EUlS17_E_NS1_11comp_targetILNS1_3genE10ELNS1_11target_archE1200ELNS1_3gpuE4ELNS1_3repE0EEENS1_30default_config_static_selectorELNS0_4arch9wavefront6targetE1EEEvT1_,"axG",@progbits,_ZN7rocprim17ROCPRIM_400000_NS6detail17trampoline_kernelINS0_14default_configENS1_25partition_config_selectorILNS1_17partition_subalgoE8ElNS0_10empty_typeEbEEZZNS1_14partition_implILS5_8ELb0ES3_jPlPS6_PKS6_NS0_5tupleIJS9_S6_EEENSD_IJSA_SA_EEENS0_18inequality_wrapperIZN2at6native12_GLOBAL__N_124unique_dim_cuda_templateIiEESt5tupleIJNSH_6TensorESM_SM_EERKSM_lbbbEUlllE0_EEPmJS6_EEE10hipError_tPvRmT3_T4_T5_T6_T7_T9_mT8_P12ihipStream_tbDpT10_ENKUlT_T0_E_clISt17integral_constantIbLb1EES1C_EEDaS17_S18_EUlS17_E_NS1_11comp_targetILNS1_3genE10ELNS1_11target_archE1200ELNS1_3gpuE4ELNS1_3repE0EEENS1_30default_config_static_selectorELNS0_4arch9wavefront6targetE1EEEvT1_,comdat
	.globl	_ZN7rocprim17ROCPRIM_400000_NS6detail17trampoline_kernelINS0_14default_configENS1_25partition_config_selectorILNS1_17partition_subalgoE8ElNS0_10empty_typeEbEEZZNS1_14partition_implILS5_8ELb0ES3_jPlPS6_PKS6_NS0_5tupleIJS9_S6_EEENSD_IJSA_SA_EEENS0_18inequality_wrapperIZN2at6native12_GLOBAL__N_124unique_dim_cuda_templateIiEESt5tupleIJNSH_6TensorESM_SM_EERKSM_lbbbEUlllE0_EEPmJS6_EEE10hipError_tPvRmT3_T4_T5_T6_T7_T9_mT8_P12ihipStream_tbDpT10_ENKUlT_T0_E_clISt17integral_constantIbLb1EES1C_EEDaS17_S18_EUlS17_E_NS1_11comp_targetILNS1_3genE10ELNS1_11target_archE1200ELNS1_3gpuE4ELNS1_3repE0EEENS1_30default_config_static_selectorELNS0_4arch9wavefront6targetE1EEEvT1_ ; -- Begin function _ZN7rocprim17ROCPRIM_400000_NS6detail17trampoline_kernelINS0_14default_configENS1_25partition_config_selectorILNS1_17partition_subalgoE8ElNS0_10empty_typeEbEEZZNS1_14partition_implILS5_8ELb0ES3_jPlPS6_PKS6_NS0_5tupleIJS9_S6_EEENSD_IJSA_SA_EEENS0_18inequality_wrapperIZN2at6native12_GLOBAL__N_124unique_dim_cuda_templateIiEESt5tupleIJNSH_6TensorESM_SM_EERKSM_lbbbEUlllE0_EEPmJS6_EEE10hipError_tPvRmT3_T4_T5_T6_T7_T9_mT8_P12ihipStream_tbDpT10_ENKUlT_T0_E_clISt17integral_constantIbLb1EES1C_EEDaS17_S18_EUlS17_E_NS1_11comp_targetILNS1_3genE10ELNS1_11target_archE1200ELNS1_3gpuE4ELNS1_3repE0EEENS1_30default_config_static_selectorELNS0_4arch9wavefront6targetE1EEEvT1_
	.p2align	8
	.type	_ZN7rocprim17ROCPRIM_400000_NS6detail17trampoline_kernelINS0_14default_configENS1_25partition_config_selectorILNS1_17partition_subalgoE8ElNS0_10empty_typeEbEEZZNS1_14partition_implILS5_8ELb0ES3_jPlPS6_PKS6_NS0_5tupleIJS9_S6_EEENSD_IJSA_SA_EEENS0_18inequality_wrapperIZN2at6native12_GLOBAL__N_124unique_dim_cuda_templateIiEESt5tupleIJNSH_6TensorESM_SM_EERKSM_lbbbEUlllE0_EEPmJS6_EEE10hipError_tPvRmT3_T4_T5_T6_T7_T9_mT8_P12ihipStream_tbDpT10_ENKUlT_T0_E_clISt17integral_constantIbLb1EES1C_EEDaS17_S18_EUlS17_E_NS1_11comp_targetILNS1_3genE10ELNS1_11target_archE1200ELNS1_3gpuE4ELNS1_3repE0EEENS1_30default_config_static_selectorELNS0_4arch9wavefront6targetE1EEEvT1_,@function
_ZN7rocprim17ROCPRIM_400000_NS6detail17trampoline_kernelINS0_14default_configENS1_25partition_config_selectorILNS1_17partition_subalgoE8ElNS0_10empty_typeEbEEZZNS1_14partition_implILS5_8ELb0ES3_jPlPS6_PKS6_NS0_5tupleIJS9_S6_EEENSD_IJSA_SA_EEENS0_18inequality_wrapperIZN2at6native12_GLOBAL__N_124unique_dim_cuda_templateIiEESt5tupleIJNSH_6TensorESM_SM_EERKSM_lbbbEUlllE0_EEPmJS6_EEE10hipError_tPvRmT3_T4_T5_T6_T7_T9_mT8_P12ihipStream_tbDpT10_ENKUlT_T0_E_clISt17integral_constantIbLb1EES1C_EEDaS17_S18_EUlS17_E_NS1_11comp_targetILNS1_3genE10ELNS1_11target_archE1200ELNS1_3gpuE4ELNS1_3repE0EEENS1_30default_config_static_selectorELNS0_4arch9wavefront6targetE1EEEvT1_: ; @_ZN7rocprim17ROCPRIM_400000_NS6detail17trampoline_kernelINS0_14default_configENS1_25partition_config_selectorILNS1_17partition_subalgoE8ElNS0_10empty_typeEbEEZZNS1_14partition_implILS5_8ELb0ES3_jPlPS6_PKS6_NS0_5tupleIJS9_S6_EEENSD_IJSA_SA_EEENS0_18inequality_wrapperIZN2at6native12_GLOBAL__N_124unique_dim_cuda_templateIiEESt5tupleIJNSH_6TensorESM_SM_EERKSM_lbbbEUlllE0_EEPmJS6_EEE10hipError_tPvRmT3_T4_T5_T6_T7_T9_mT8_P12ihipStream_tbDpT10_ENKUlT_T0_E_clISt17integral_constantIbLb1EES1C_EEDaS17_S18_EUlS17_E_NS1_11comp_targetILNS1_3genE10ELNS1_11target_archE1200ELNS1_3gpuE4ELNS1_3repE0EEENS1_30default_config_static_selectorELNS0_4arch9wavefront6targetE1EEEvT1_
; %bb.0:
	.section	.rodata,"a",@progbits
	.p2align	6, 0x0
	.amdhsa_kernel _ZN7rocprim17ROCPRIM_400000_NS6detail17trampoline_kernelINS0_14default_configENS1_25partition_config_selectorILNS1_17partition_subalgoE8ElNS0_10empty_typeEbEEZZNS1_14partition_implILS5_8ELb0ES3_jPlPS6_PKS6_NS0_5tupleIJS9_S6_EEENSD_IJSA_SA_EEENS0_18inequality_wrapperIZN2at6native12_GLOBAL__N_124unique_dim_cuda_templateIiEESt5tupleIJNSH_6TensorESM_SM_EERKSM_lbbbEUlllE0_EEPmJS6_EEE10hipError_tPvRmT3_T4_T5_T6_T7_T9_mT8_P12ihipStream_tbDpT10_ENKUlT_T0_E_clISt17integral_constantIbLb1EES1C_EEDaS17_S18_EUlS17_E_NS1_11comp_targetILNS1_3genE10ELNS1_11target_archE1200ELNS1_3gpuE4ELNS1_3repE0EEENS1_30default_config_static_selectorELNS0_4arch9wavefront6targetE1EEEvT1_
		.amdhsa_group_segment_fixed_size 0
		.amdhsa_private_segment_fixed_size 0
		.amdhsa_kernarg_size 136
		.amdhsa_user_sgpr_count 2
		.amdhsa_user_sgpr_dispatch_ptr 0
		.amdhsa_user_sgpr_queue_ptr 0
		.amdhsa_user_sgpr_kernarg_segment_ptr 1
		.amdhsa_user_sgpr_dispatch_id 0
		.amdhsa_user_sgpr_kernarg_preload_length 0
		.amdhsa_user_sgpr_kernarg_preload_offset 0
		.amdhsa_user_sgpr_private_segment_size 0
		.amdhsa_uses_dynamic_stack 0
		.amdhsa_enable_private_segment 0
		.amdhsa_system_sgpr_workgroup_id_x 1
		.amdhsa_system_sgpr_workgroup_id_y 0
		.amdhsa_system_sgpr_workgroup_id_z 0
		.amdhsa_system_sgpr_workgroup_info 0
		.amdhsa_system_vgpr_workitem_id 0
		.amdhsa_next_free_vgpr 1
		.amdhsa_next_free_sgpr 0
		.amdhsa_accum_offset 4
		.amdhsa_reserve_vcc 0
		.amdhsa_float_round_mode_32 0
		.amdhsa_float_round_mode_16_64 0
		.amdhsa_float_denorm_mode_32 3
		.amdhsa_float_denorm_mode_16_64 3
		.amdhsa_dx10_clamp 1
		.amdhsa_ieee_mode 1
		.amdhsa_fp16_overflow 0
		.amdhsa_tg_split 0
		.amdhsa_exception_fp_ieee_invalid_op 0
		.amdhsa_exception_fp_denorm_src 0
		.amdhsa_exception_fp_ieee_div_zero 0
		.amdhsa_exception_fp_ieee_overflow 0
		.amdhsa_exception_fp_ieee_underflow 0
		.amdhsa_exception_fp_ieee_inexact 0
		.amdhsa_exception_int_div_zero 0
	.end_amdhsa_kernel
	.section	.text._ZN7rocprim17ROCPRIM_400000_NS6detail17trampoline_kernelINS0_14default_configENS1_25partition_config_selectorILNS1_17partition_subalgoE8ElNS0_10empty_typeEbEEZZNS1_14partition_implILS5_8ELb0ES3_jPlPS6_PKS6_NS0_5tupleIJS9_S6_EEENSD_IJSA_SA_EEENS0_18inequality_wrapperIZN2at6native12_GLOBAL__N_124unique_dim_cuda_templateIiEESt5tupleIJNSH_6TensorESM_SM_EERKSM_lbbbEUlllE0_EEPmJS6_EEE10hipError_tPvRmT3_T4_T5_T6_T7_T9_mT8_P12ihipStream_tbDpT10_ENKUlT_T0_E_clISt17integral_constantIbLb1EES1C_EEDaS17_S18_EUlS17_E_NS1_11comp_targetILNS1_3genE10ELNS1_11target_archE1200ELNS1_3gpuE4ELNS1_3repE0EEENS1_30default_config_static_selectorELNS0_4arch9wavefront6targetE1EEEvT1_,"axG",@progbits,_ZN7rocprim17ROCPRIM_400000_NS6detail17trampoline_kernelINS0_14default_configENS1_25partition_config_selectorILNS1_17partition_subalgoE8ElNS0_10empty_typeEbEEZZNS1_14partition_implILS5_8ELb0ES3_jPlPS6_PKS6_NS0_5tupleIJS9_S6_EEENSD_IJSA_SA_EEENS0_18inequality_wrapperIZN2at6native12_GLOBAL__N_124unique_dim_cuda_templateIiEESt5tupleIJNSH_6TensorESM_SM_EERKSM_lbbbEUlllE0_EEPmJS6_EEE10hipError_tPvRmT3_T4_T5_T6_T7_T9_mT8_P12ihipStream_tbDpT10_ENKUlT_T0_E_clISt17integral_constantIbLb1EES1C_EEDaS17_S18_EUlS17_E_NS1_11comp_targetILNS1_3genE10ELNS1_11target_archE1200ELNS1_3gpuE4ELNS1_3repE0EEENS1_30default_config_static_selectorELNS0_4arch9wavefront6targetE1EEEvT1_,comdat
.Lfunc_end457:
	.size	_ZN7rocprim17ROCPRIM_400000_NS6detail17trampoline_kernelINS0_14default_configENS1_25partition_config_selectorILNS1_17partition_subalgoE8ElNS0_10empty_typeEbEEZZNS1_14partition_implILS5_8ELb0ES3_jPlPS6_PKS6_NS0_5tupleIJS9_S6_EEENSD_IJSA_SA_EEENS0_18inequality_wrapperIZN2at6native12_GLOBAL__N_124unique_dim_cuda_templateIiEESt5tupleIJNSH_6TensorESM_SM_EERKSM_lbbbEUlllE0_EEPmJS6_EEE10hipError_tPvRmT3_T4_T5_T6_T7_T9_mT8_P12ihipStream_tbDpT10_ENKUlT_T0_E_clISt17integral_constantIbLb1EES1C_EEDaS17_S18_EUlS17_E_NS1_11comp_targetILNS1_3genE10ELNS1_11target_archE1200ELNS1_3gpuE4ELNS1_3repE0EEENS1_30default_config_static_selectorELNS0_4arch9wavefront6targetE1EEEvT1_, .Lfunc_end457-_ZN7rocprim17ROCPRIM_400000_NS6detail17trampoline_kernelINS0_14default_configENS1_25partition_config_selectorILNS1_17partition_subalgoE8ElNS0_10empty_typeEbEEZZNS1_14partition_implILS5_8ELb0ES3_jPlPS6_PKS6_NS0_5tupleIJS9_S6_EEENSD_IJSA_SA_EEENS0_18inequality_wrapperIZN2at6native12_GLOBAL__N_124unique_dim_cuda_templateIiEESt5tupleIJNSH_6TensorESM_SM_EERKSM_lbbbEUlllE0_EEPmJS6_EEE10hipError_tPvRmT3_T4_T5_T6_T7_T9_mT8_P12ihipStream_tbDpT10_ENKUlT_T0_E_clISt17integral_constantIbLb1EES1C_EEDaS17_S18_EUlS17_E_NS1_11comp_targetILNS1_3genE10ELNS1_11target_archE1200ELNS1_3gpuE4ELNS1_3repE0EEENS1_30default_config_static_selectorELNS0_4arch9wavefront6targetE1EEEvT1_
                                        ; -- End function
	.section	.AMDGPU.csdata,"",@progbits
; Kernel info:
; codeLenInByte = 0
; NumSgprs: 6
; NumVgprs: 0
; NumAgprs: 0
; TotalNumVgprs: 0
; ScratchSize: 0
; MemoryBound: 0
; FloatMode: 240
; IeeeMode: 1
; LDSByteSize: 0 bytes/workgroup (compile time only)
; SGPRBlocks: 0
; VGPRBlocks: 0
; NumSGPRsForWavesPerEU: 6
; NumVGPRsForWavesPerEU: 1
; AccumOffset: 4
; Occupancy: 8
; WaveLimiterHint : 0
; COMPUTE_PGM_RSRC2:SCRATCH_EN: 0
; COMPUTE_PGM_RSRC2:USER_SGPR: 2
; COMPUTE_PGM_RSRC2:TRAP_HANDLER: 0
; COMPUTE_PGM_RSRC2:TGID_X_EN: 1
; COMPUTE_PGM_RSRC2:TGID_Y_EN: 0
; COMPUTE_PGM_RSRC2:TGID_Z_EN: 0
; COMPUTE_PGM_RSRC2:TIDIG_COMP_CNT: 0
; COMPUTE_PGM_RSRC3_GFX90A:ACCUM_OFFSET: 0
; COMPUTE_PGM_RSRC3_GFX90A:TG_SPLIT: 0
	.section	.text._ZN7rocprim17ROCPRIM_400000_NS6detail17trampoline_kernelINS0_14default_configENS1_25partition_config_selectorILNS1_17partition_subalgoE8ElNS0_10empty_typeEbEEZZNS1_14partition_implILS5_8ELb0ES3_jPlPS6_PKS6_NS0_5tupleIJS9_S6_EEENSD_IJSA_SA_EEENS0_18inequality_wrapperIZN2at6native12_GLOBAL__N_124unique_dim_cuda_templateIiEESt5tupleIJNSH_6TensorESM_SM_EERKSM_lbbbEUlllE0_EEPmJS6_EEE10hipError_tPvRmT3_T4_T5_T6_T7_T9_mT8_P12ihipStream_tbDpT10_ENKUlT_T0_E_clISt17integral_constantIbLb1EES1C_EEDaS17_S18_EUlS17_E_NS1_11comp_targetILNS1_3genE9ELNS1_11target_archE1100ELNS1_3gpuE3ELNS1_3repE0EEENS1_30default_config_static_selectorELNS0_4arch9wavefront6targetE1EEEvT1_,"axG",@progbits,_ZN7rocprim17ROCPRIM_400000_NS6detail17trampoline_kernelINS0_14default_configENS1_25partition_config_selectorILNS1_17partition_subalgoE8ElNS0_10empty_typeEbEEZZNS1_14partition_implILS5_8ELb0ES3_jPlPS6_PKS6_NS0_5tupleIJS9_S6_EEENSD_IJSA_SA_EEENS0_18inequality_wrapperIZN2at6native12_GLOBAL__N_124unique_dim_cuda_templateIiEESt5tupleIJNSH_6TensorESM_SM_EERKSM_lbbbEUlllE0_EEPmJS6_EEE10hipError_tPvRmT3_T4_T5_T6_T7_T9_mT8_P12ihipStream_tbDpT10_ENKUlT_T0_E_clISt17integral_constantIbLb1EES1C_EEDaS17_S18_EUlS17_E_NS1_11comp_targetILNS1_3genE9ELNS1_11target_archE1100ELNS1_3gpuE3ELNS1_3repE0EEENS1_30default_config_static_selectorELNS0_4arch9wavefront6targetE1EEEvT1_,comdat
	.globl	_ZN7rocprim17ROCPRIM_400000_NS6detail17trampoline_kernelINS0_14default_configENS1_25partition_config_selectorILNS1_17partition_subalgoE8ElNS0_10empty_typeEbEEZZNS1_14partition_implILS5_8ELb0ES3_jPlPS6_PKS6_NS0_5tupleIJS9_S6_EEENSD_IJSA_SA_EEENS0_18inequality_wrapperIZN2at6native12_GLOBAL__N_124unique_dim_cuda_templateIiEESt5tupleIJNSH_6TensorESM_SM_EERKSM_lbbbEUlllE0_EEPmJS6_EEE10hipError_tPvRmT3_T4_T5_T6_T7_T9_mT8_P12ihipStream_tbDpT10_ENKUlT_T0_E_clISt17integral_constantIbLb1EES1C_EEDaS17_S18_EUlS17_E_NS1_11comp_targetILNS1_3genE9ELNS1_11target_archE1100ELNS1_3gpuE3ELNS1_3repE0EEENS1_30default_config_static_selectorELNS0_4arch9wavefront6targetE1EEEvT1_ ; -- Begin function _ZN7rocprim17ROCPRIM_400000_NS6detail17trampoline_kernelINS0_14default_configENS1_25partition_config_selectorILNS1_17partition_subalgoE8ElNS0_10empty_typeEbEEZZNS1_14partition_implILS5_8ELb0ES3_jPlPS6_PKS6_NS0_5tupleIJS9_S6_EEENSD_IJSA_SA_EEENS0_18inequality_wrapperIZN2at6native12_GLOBAL__N_124unique_dim_cuda_templateIiEESt5tupleIJNSH_6TensorESM_SM_EERKSM_lbbbEUlllE0_EEPmJS6_EEE10hipError_tPvRmT3_T4_T5_T6_T7_T9_mT8_P12ihipStream_tbDpT10_ENKUlT_T0_E_clISt17integral_constantIbLb1EES1C_EEDaS17_S18_EUlS17_E_NS1_11comp_targetILNS1_3genE9ELNS1_11target_archE1100ELNS1_3gpuE3ELNS1_3repE0EEENS1_30default_config_static_selectorELNS0_4arch9wavefront6targetE1EEEvT1_
	.p2align	8
	.type	_ZN7rocprim17ROCPRIM_400000_NS6detail17trampoline_kernelINS0_14default_configENS1_25partition_config_selectorILNS1_17partition_subalgoE8ElNS0_10empty_typeEbEEZZNS1_14partition_implILS5_8ELb0ES3_jPlPS6_PKS6_NS0_5tupleIJS9_S6_EEENSD_IJSA_SA_EEENS0_18inequality_wrapperIZN2at6native12_GLOBAL__N_124unique_dim_cuda_templateIiEESt5tupleIJNSH_6TensorESM_SM_EERKSM_lbbbEUlllE0_EEPmJS6_EEE10hipError_tPvRmT3_T4_T5_T6_T7_T9_mT8_P12ihipStream_tbDpT10_ENKUlT_T0_E_clISt17integral_constantIbLb1EES1C_EEDaS17_S18_EUlS17_E_NS1_11comp_targetILNS1_3genE9ELNS1_11target_archE1100ELNS1_3gpuE3ELNS1_3repE0EEENS1_30default_config_static_selectorELNS0_4arch9wavefront6targetE1EEEvT1_,@function
_ZN7rocprim17ROCPRIM_400000_NS6detail17trampoline_kernelINS0_14default_configENS1_25partition_config_selectorILNS1_17partition_subalgoE8ElNS0_10empty_typeEbEEZZNS1_14partition_implILS5_8ELb0ES3_jPlPS6_PKS6_NS0_5tupleIJS9_S6_EEENSD_IJSA_SA_EEENS0_18inequality_wrapperIZN2at6native12_GLOBAL__N_124unique_dim_cuda_templateIiEESt5tupleIJNSH_6TensorESM_SM_EERKSM_lbbbEUlllE0_EEPmJS6_EEE10hipError_tPvRmT3_T4_T5_T6_T7_T9_mT8_P12ihipStream_tbDpT10_ENKUlT_T0_E_clISt17integral_constantIbLb1EES1C_EEDaS17_S18_EUlS17_E_NS1_11comp_targetILNS1_3genE9ELNS1_11target_archE1100ELNS1_3gpuE3ELNS1_3repE0EEENS1_30default_config_static_selectorELNS0_4arch9wavefront6targetE1EEEvT1_: ; @_ZN7rocprim17ROCPRIM_400000_NS6detail17trampoline_kernelINS0_14default_configENS1_25partition_config_selectorILNS1_17partition_subalgoE8ElNS0_10empty_typeEbEEZZNS1_14partition_implILS5_8ELb0ES3_jPlPS6_PKS6_NS0_5tupleIJS9_S6_EEENSD_IJSA_SA_EEENS0_18inequality_wrapperIZN2at6native12_GLOBAL__N_124unique_dim_cuda_templateIiEESt5tupleIJNSH_6TensorESM_SM_EERKSM_lbbbEUlllE0_EEPmJS6_EEE10hipError_tPvRmT3_T4_T5_T6_T7_T9_mT8_P12ihipStream_tbDpT10_ENKUlT_T0_E_clISt17integral_constantIbLb1EES1C_EEDaS17_S18_EUlS17_E_NS1_11comp_targetILNS1_3genE9ELNS1_11target_archE1100ELNS1_3gpuE3ELNS1_3repE0EEENS1_30default_config_static_selectorELNS0_4arch9wavefront6targetE1EEEvT1_
; %bb.0:
	.section	.rodata,"a",@progbits
	.p2align	6, 0x0
	.amdhsa_kernel _ZN7rocprim17ROCPRIM_400000_NS6detail17trampoline_kernelINS0_14default_configENS1_25partition_config_selectorILNS1_17partition_subalgoE8ElNS0_10empty_typeEbEEZZNS1_14partition_implILS5_8ELb0ES3_jPlPS6_PKS6_NS0_5tupleIJS9_S6_EEENSD_IJSA_SA_EEENS0_18inequality_wrapperIZN2at6native12_GLOBAL__N_124unique_dim_cuda_templateIiEESt5tupleIJNSH_6TensorESM_SM_EERKSM_lbbbEUlllE0_EEPmJS6_EEE10hipError_tPvRmT3_T4_T5_T6_T7_T9_mT8_P12ihipStream_tbDpT10_ENKUlT_T0_E_clISt17integral_constantIbLb1EES1C_EEDaS17_S18_EUlS17_E_NS1_11comp_targetILNS1_3genE9ELNS1_11target_archE1100ELNS1_3gpuE3ELNS1_3repE0EEENS1_30default_config_static_selectorELNS0_4arch9wavefront6targetE1EEEvT1_
		.amdhsa_group_segment_fixed_size 0
		.amdhsa_private_segment_fixed_size 0
		.amdhsa_kernarg_size 136
		.amdhsa_user_sgpr_count 2
		.amdhsa_user_sgpr_dispatch_ptr 0
		.amdhsa_user_sgpr_queue_ptr 0
		.amdhsa_user_sgpr_kernarg_segment_ptr 1
		.amdhsa_user_sgpr_dispatch_id 0
		.amdhsa_user_sgpr_kernarg_preload_length 0
		.amdhsa_user_sgpr_kernarg_preload_offset 0
		.amdhsa_user_sgpr_private_segment_size 0
		.amdhsa_uses_dynamic_stack 0
		.amdhsa_enable_private_segment 0
		.amdhsa_system_sgpr_workgroup_id_x 1
		.amdhsa_system_sgpr_workgroup_id_y 0
		.amdhsa_system_sgpr_workgroup_id_z 0
		.amdhsa_system_sgpr_workgroup_info 0
		.amdhsa_system_vgpr_workitem_id 0
		.amdhsa_next_free_vgpr 1
		.amdhsa_next_free_sgpr 0
		.amdhsa_accum_offset 4
		.amdhsa_reserve_vcc 0
		.amdhsa_float_round_mode_32 0
		.amdhsa_float_round_mode_16_64 0
		.amdhsa_float_denorm_mode_32 3
		.amdhsa_float_denorm_mode_16_64 3
		.amdhsa_dx10_clamp 1
		.amdhsa_ieee_mode 1
		.amdhsa_fp16_overflow 0
		.amdhsa_tg_split 0
		.amdhsa_exception_fp_ieee_invalid_op 0
		.amdhsa_exception_fp_denorm_src 0
		.amdhsa_exception_fp_ieee_div_zero 0
		.amdhsa_exception_fp_ieee_overflow 0
		.amdhsa_exception_fp_ieee_underflow 0
		.amdhsa_exception_fp_ieee_inexact 0
		.amdhsa_exception_int_div_zero 0
	.end_amdhsa_kernel
	.section	.text._ZN7rocprim17ROCPRIM_400000_NS6detail17trampoline_kernelINS0_14default_configENS1_25partition_config_selectorILNS1_17partition_subalgoE8ElNS0_10empty_typeEbEEZZNS1_14partition_implILS5_8ELb0ES3_jPlPS6_PKS6_NS0_5tupleIJS9_S6_EEENSD_IJSA_SA_EEENS0_18inequality_wrapperIZN2at6native12_GLOBAL__N_124unique_dim_cuda_templateIiEESt5tupleIJNSH_6TensorESM_SM_EERKSM_lbbbEUlllE0_EEPmJS6_EEE10hipError_tPvRmT3_T4_T5_T6_T7_T9_mT8_P12ihipStream_tbDpT10_ENKUlT_T0_E_clISt17integral_constantIbLb1EES1C_EEDaS17_S18_EUlS17_E_NS1_11comp_targetILNS1_3genE9ELNS1_11target_archE1100ELNS1_3gpuE3ELNS1_3repE0EEENS1_30default_config_static_selectorELNS0_4arch9wavefront6targetE1EEEvT1_,"axG",@progbits,_ZN7rocprim17ROCPRIM_400000_NS6detail17trampoline_kernelINS0_14default_configENS1_25partition_config_selectorILNS1_17partition_subalgoE8ElNS0_10empty_typeEbEEZZNS1_14partition_implILS5_8ELb0ES3_jPlPS6_PKS6_NS0_5tupleIJS9_S6_EEENSD_IJSA_SA_EEENS0_18inequality_wrapperIZN2at6native12_GLOBAL__N_124unique_dim_cuda_templateIiEESt5tupleIJNSH_6TensorESM_SM_EERKSM_lbbbEUlllE0_EEPmJS6_EEE10hipError_tPvRmT3_T4_T5_T6_T7_T9_mT8_P12ihipStream_tbDpT10_ENKUlT_T0_E_clISt17integral_constantIbLb1EES1C_EEDaS17_S18_EUlS17_E_NS1_11comp_targetILNS1_3genE9ELNS1_11target_archE1100ELNS1_3gpuE3ELNS1_3repE0EEENS1_30default_config_static_selectorELNS0_4arch9wavefront6targetE1EEEvT1_,comdat
.Lfunc_end458:
	.size	_ZN7rocprim17ROCPRIM_400000_NS6detail17trampoline_kernelINS0_14default_configENS1_25partition_config_selectorILNS1_17partition_subalgoE8ElNS0_10empty_typeEbEEZZNS1_14partition_implILS5_8ELb0ES3_jPlPS6_PKS6_NS0_5tupleIJS9_S6_EEENSD_IJSA_SA_EEENS0_18inequality_wrapperIZN2at6native12_GLOBAL__N_124unique_dim_cuda_templateIiEESt5tupleIJNSH_6TensorESM_SM_EERKSM_lbbbEUlllE0_EEPmJS6_EEE10hipError_tPvRmT3_T4_T5_T6_T7_T9_mT8_P12ihipStream_tbDpT10_ENKUlT_T0_E_clISt17integral_constantIbLb1EES1C_EEDaS17_S18_EUlS17_E_NS1_11comp_targetILNS1_3genE9ELNS1_11target_archE1100ELNS1_3gpuE3ELNS1_3repE0EEENS1_30default_config_static_selectorELNS0_4arch9wavefront6targetE1EEEvT1_, .Lfunc_end458-_ZN7rocprim17ROCPRIM_400000_NS6detail17trampoline_kernelINS0_14default_configENS1_25partition_config_selectorILNS1_17partition_subalgoE8ElNS0_10empty_typeEbEEZZNS1_14partition_implILS5_8ELb0ES3_jPlPS6_PKS6_NS0_5tupleIJS9_S6_EEENSD_IJSA_SA_EEENS0_18inequality_wrapperIZN2at6native12_GLOBAL__N_124unique_dim_cuda_templateIiEESt5tupleIJNSH_6TensorESM_SM_EERKSM_lbbbEUlllE0_EEPmJS6_EEE10hipError_tPvRmT3_T4_T5_T6_T7_T9_mT8_P12ihipStream_tbDpT10_ENKUlT_T0_E_clISt17integral_constantIbLb1EES1C_EEDaS17_S18_EUlS17_E_NS1_11comp_targetILNS1_3genE9ELNS1_11target_archE1100ELNS1_3gpuE3ELNS1_3repE0EEENS1_30default_config_static_selectorELNS0_4arch9wavefront6targetE1EEEvT1_
                                        ; -- End function
	.section	.AMDGPU.csdata,"",@progbits
; Kernel info:
; codeLenInByte = 0
; NumSgprs: 6
; NumVgprs: 0
; NumAgprs: 0
; TotalNumVgprs: 0
; ScratchSize: 0
; MemoryBound: 0
; FloatMode: 240
; IeeeMode: 1
; LDSByteSize: 0 bytes/workgroup (compile time only)
; SGPRBlocks: 0
; VGPRBlocks: 0
; NumSGPRsForWavesPerEU: 6
; NumVGPRsForWavesPerEU: 1
; AccumOffset: 4
; Occupancy: 8
; WaveLimiterHint : 0
; COMPUTE_PGM_RSRC2:SCRATCH_EN: 0
; COMPUTE_PGM_RSRC2:USER_SGPR: 2
; COMPUTE_PGM_RSRC2:TRAP_HANDLER: 0
; COMPUTE_PGM_RSRC2:TGID_X_EN: 1
; COMPUTE_PGM_RSRC2:TGID_Y_EN: 0
; COMPUTE_PGM_RSRC2:TGID_Z_EN: 0
; COMPUTE_PGM_RSRC2:TIDIG_COMP_CNT: 0
; COMPUTE_PGM_RSRC3_GFX90A:ACCUM_OFFSET: 0
; COMPUTE_PGM_RSRC3_GFX90A:TG_SPLIT: 0
	.section	.text._ZN7rocprim17ROCPRIM_400000_NS6detail17trampoline_kernelINS0_14default_configENS1_25partition_config_selectorILNS1_17partition_subalgoE8ElNS0_10empty_typeEbEEZZNS1_14partition_implILS5_8ELb0ES3_jPlPS6_PKS6_NS0_5tupleIJS9_S6_EEENSD_IJSA_SA_EEENS0_18inequality_wrapperIZN2at6native12_GLOBAL__N_124unique_dim_cuda_templateIiEESt5tupleIJNSH_6TensorESM_SM_EERKSM_lbbbEUlllE0_EEPmJS6_EEE10hipError_tPvRmT3_T4_T5_T6_T7_T9_mT8_P12ihipStream_tbDpT10_ENKUlT_T0_E_clISt17integral_constantIbLb1EES1C_EEDaS17_S18_EUlS17_E_NS1_11comp_targetILNS1_3genE8ELNS1_11target_archE1030ELNS1_3gpuE2ELNS1_3repE0EEENS1_30default_config_static_selectorELNS0_4arch9wavefront6targetE1EEEvT1_,"axG",@progbits,_ZN7rocprim17ROCPRIM_400000_NS6detail17trampoline_kernelINS0_14default_configENS1_25partition_config_selectorILNS1_17partition_subalgoE8ElNS0_10empty_typeEbEEZZNS1_14partition_implILS5_8ELb0ES3_jPlPS6_PKS6_NS0_5tupleIJS9_S6_EEENSD_IJSA_SA_EEENS0_18inequality_wrapperIZN2at6native12_GLOBAL__N_124unique_dim_cuda_templateIiEESt5tupleIJNSH_6TensorESM_SM_EERKSM_lbbbEUlllE0_EEPmJS6_EEE10hipError_tPvRmT3_T4_T5_T6_T7_T9_mT8_P12ihipStream_tbDpT10_ENKUlT_T0_E_clISt17integral_constantIbLb1EES1C_EEDaS17_S18_EUlS17_E_NS1_11comp_targetILNS1_3genE8ELNS1_11target_archE1030ELNS1_3gpuE2ELNS1_3repE0EEENS1_30default_config_static_selectorELNS0_4arch9wavefront6targetE1EEEvT1_,comdat
	.globl	_ZN7rocprim17ROCPRIM_400000_NS6detail17trampoline_kernelINS0_14default_configENS1_25partition_config_selectorILNS1_17partition_subalgoE8ElNS0_10empty_typeEbEEZZNS1_14partition_implILS5_8ELb0ES3_jPlPS6_PKS6_NS0_5tupleIJS9_S6_EEENSD_IJSA_SA_EEENS0_18inequality_wrapperIZN2at6native12_GLOBAL__N_124unique_dim_cuda_templateIiEESt5tupleIJNSH_6TensorESM_SM_EERKSM_lbbbEUlllE0_EEPmJS6_EEE10hipError_tPvRmT3_T4_T5_T6_T7_T9_mT8_P12ihipStream_tbDpT10_ENKUlT_T0_E_clISt17integral_constantIbLb1EES1C_EEDaS17_S18_EUlS17_E_NS1_11comp_targetILNS1_3genE8ELNS1_11target_archE1030ELNS1_3gpuE2ELNS1_3repE0EEENS1_30default_config_static_selectorELNS0_4arch9wavefront6targetE1EEEvT1_ ; -- Begin function _ZN7rocprim17ROCPRIM_400000_NS6detail17trampoline_kernelINS0_14default_configENS1_25partition_config_selectorILNS1_17partition_subalgoE8ElNS0_10empty_typeEbEEZZNS1_14partition_implILS5_8ELb0ES3_jPlPS6_PKS6_NS0_5tupleIJS9_S6_EEENSD_IJSA_SA_EEENS0_18inequality_wrapperIZN2at6native12_GLOBAL__N_124unique_dim_cuda_templateIiEESt5tupleIJNSH_6TensorESM_SM_EERKSM_lbbbEUlllE0_EEPmJS6_EEE10hipError_tPvRmT3_T4_T5_T6_T7_T9_mT8_P12ihipStream_tbDpT10_ENKUlT_T0_E_clISt17integral_constantIbLb1EES1C_EEDaS17_S18_EUlS17_E_NS1_11comp_targetILNS1_3genE8ELNS1_11target_archE1030ELNS1_3gpuE2ELNS1_3repE0EEENS1_30default_config_static_selectorELNS0_4arch9wavefront6targetE1EEEvT1_
	.p2align	8
	.type	_ZN7rocprim17ROCPRIM_400000_NS6detail17trampoline_kernelINS0_14default_configENS1_25partition_config_selectorILNS1_17partition_subalgoE8ElNS0_10empty_typeEbEEZZNS1_14partition_implILS5_8ELb0ES3_jPlPS6_PKS6_NS0_5tupleIJS9_S6_EEENSD_IJSA_SA_EEENS0_18inequality_wrapperIZN2at6native12_GLOBAL__N_124unique_dim_cuda_templateIiEESt5tupleIJNSH_6TensorESM_SM_EERKSM_lbbbEUlllE0_EEPmJS6_EEE10hipError_tPvRmT3_T4_T5_T6_T7_T9_mT8_P12ihipStream_tbDpT10_ENKUlT_T0_E_clISt17integral_constantIbLb1EES1C_EEDaS17_S18_EUlS17_E_NS1_11comp_targetILNS1_3genE8ELNS1_11target_archE1030ELNS1_3gpuE2ELNS1_3repE0EEENS1_30default_config_static_selectorELNS0_4arch9wavefront6targetE1EEEvT1_,@function
_ZN7rocprim17ROCPRIM_400000_NS6detail17trampoline_kernelINS0_14default_configENS1_25partition_config_selectorILNS1_17partition_subalgoE8ElNS0_10empty_typeEbEEZZNS1_14partition_implILS5_8ELb0ES3_jPlPS6_PKS6_NS0_5tupleIJS9_S6_EEENSD_IJSA_SA_EEENS0_18inequality_wrapperIZN2at6native12_GLOBAL__N_124unique_dim_cuda_templateIiEESt5tupleIJNSH_6TensorESM_SM_EERKSM_lbbbEUlllE0_EEPmJS6_EEE10hipError_tPvRmT3_T4_T5_T6_T7_T9_mT8_P12ihipStream_tbDpT10_ENKUlT_T0_E_clISt17integral_constantIbLb1EES1C_EEDaS17_S18_EUlS17_E_NS1_11comp_targetILNS1_3genE8ELNS1_11target_archE1030ELNS1_3gpuE2ELNS1_3repE0EEENS1_30default_config_static_selectorELNS0_4arch9wavefront6targetE1EEEvT1_: ; @_ZN7rocprim17ROCPRIM_400000_NS6detail17trampoline_kernelINS0_14default_configENS1_25partition_config_selectorILNS1_17partition_subalgoE8ElNS0_10empty_typeEbEEZZNS1_14partition_implILS5_8ELb0ES3_jPlPS6_PKS6_NS0_5tupleIJS9_S6_EEENSD_IJSA_SA_EEENS0_18inequality_wrapperIZN2at6native12_GLOBAL__N_124unique_dim_cuda_templateIiEESt5tupleIJNSH_6TensorESM_SM_EERKSM_lbbbEUlllE0_EEPmJS6_EEE10hipError_tPvRmT3_T4_T5_T6_T7_T9_mT8_P12ihipStream_tbDpT10_ENKUlT_T0_E_clISt17integral_constantIbLb1EES1C_EEDaS17_S18_EUlS17_E_NS1_11comp_targetILNS1_3genE8ELNS1_11target_archE1030ELNS1_3gpuE2ELNS1_3repE0EEENS1_30default_config_static_selectorELNS0_4arch9wavefront6targetE1EEEvT1_
; %bb.0:
	.section	.rodata,"a",@progbits
	.p2align	6, 0x0
	.amdhsa_kernel _ZN7rocprim17ROCPRIM_400000_NS6detail17trampoline_kernelINS0_14default_configENS1_25partition_config_selectorILNS1_17partition_subalgoE8ElNS0_10empty_typeEbEEZZNS1_14partition_implILS5_8ELb0ES3_jPlPS6_PKS6_NS0_5tupleIJS9_S6_EEENSD_IJSA_SA_EEENS0_18inequality_wrapperIZN2at6native12_GLOBAL__N_124unique_dim_cuda_templateIiEESt5tupleIJNSH_6TensorESM_SM_EERKSM_lbbbEUlllE0_EEPmJS6_EEE10hipError_tPvRmT3_T4_T5_T6_T7_T9_mT8_P12ihipStream_tbDpT10_ENKUlT_T0_E_clISt17integral_constantIbLb1EES1C_EEDaS17_S18_EUlS17_E_NS1_11comp_targetILNS1_3genE8ELNS1_11target_archE1030ELNS1_3gpuE2ELNS1_3repE0EEENS1_30default_config_static_selectorELNS0_4arch9wavefront6targetE1EEEvT1_
		.amdhsa_group_segment_fixed_size 0
		.amdhsa_private_segment_fixed_size 0
		.amdhsa_kernarg_size 136
		.amdhsa_user_sgpr_count 2
		.amdhsa_user_sgpr_dispatch_ptr 0
		.amdhsa_user_sgpr_queue_ptr 0
		.amdhsa_user_sgpr_kernarg_segment_ptr 1
		.amdhsa_user_sgpr_dispatch_id 0
		.amdhsa_user_sgpr_kernarg_preload_length 0
		.amdhsa_user_sgpr_kernarg_preload_offset 0
		.amdhsa_user_sgpr_private_segment_size 0
		.amdhsa_uses_dynamic_stack 0
		.amdhsa_enable_private_segment 0
		.amdhsa_system_sgpr_workgroup_id_x 1
		.amdhsa_system_sgpr_workgroup_id_y 0
		.amdhsa_system_sgpr_workgroup_id_z 0
		.amdhsa_system_sgpr_workgroup_info 0
		.amdhsa_system_vgpr_workitem_id 0
		.amdhsa_next_free_vgpr 1
		.amdhsa_next_free_sgpr 0
		.amdhsa_accum_offset 4
		.amdhsa_reserve_vcc 0
		.amdhsa_float_round_mode_32 0
		.amdhsa_float_round_mode_16_64 0
		.amdhsa_float_denorm_mode_32 3
		.amdhsa_float_denorm_mode_16_64 3
		.amdhsa_dx10_clamp 1
		.amdhsa_ieee_mode 1
		.amdhsa_fp16_overflow 0
		.amdhsa_tg_split 0
		.amdhsa_exception_fp_ieee_invalid_op 0
		.amdhsa_exception_fp_denorm_src 0
		.amdhsa_exception_fp_ieee_div_zero 0
		.amdhsa_exception_fp_ieee_overflow 0
		.amdhsa_exception_fp_ieee_underflow 0
		.amdhsa_exception_fp_ieee_inexact 0
		.amdhsa_exception_int_div_zero 0
	.end_amdhsa_kernel
	.section	.text._ZN7rocprim17ROCPRIM_400000_NS6detail17trampoline_kernelINS0_14default_configENS1_25partition_config_selectorILNS1_17partition_subalgoE8ElNS0_10empty_typeEbEEZZNS1_14partition_implILS5_8ELb0ES3_jPlPS6_PKS6_NS0_5tupleIJS9_S6_EEENSD_IJSA_SA_EEENS0_18inequality_wrapperIZN2at6native12_GLOBAL__N_124unique_dim_cuda_templateIiEESt5tupleIJNSH_6TensorESM_SM_EERKSM_lbbbEUlllE0_EEPmJS6_EEE10hipError_tPvRmT3_T4_T5_T6_T7_T9_mT8_P12ihipStream_tbDpT10_ENKUlT_T0_E_clISt17integral_constantIbLb1EES1C_EEDaS17_S18_EUlS17_E_NS1_11comp_targetILNS1_3genE8ELNS1_11target_archE1030ELNS1_3gpuE2ELNS1_3repE0EEENS1_30default_config_static_selectorELNS0_4arch9wavefront6targetE1EEEvT1_,"axG",@progbits,_ZN7rocprim17ROCPRIM_400000_NS6detail17trampoline_kernelINS0_14default_configENS1_25partition_config_selectorILNS1_17partition_subalgoE8ElNS0_10empty_typeEbEEZZNS1_14partition_implILS5_8ELb0ES3_jPlPS6_PKS6_NS0_5tupleIJS9_S6_EEENSD_IJSA_SA_EEENS0_18inequality_wrapperIZN2at6native12_GLOBAL__N_124unique_dim_cuda_templateIiEESt5tupleIJNSH_6TensorESM_SM_EERKSM_lbbbEUlllE0_EEPmJS6_EEE10hipError_tPvRmT3_T4_T5_T6_T7_T9_mT8_P12ihipStream_tbDpT10_ENKUlT_T0_E_clISt17integral_constantIbLb1EES1C_EEDaS17_S18_EUlS17_E_NS1_11comp_targetILNS1_3genE8ELNS1_11target_archE1030ELNS1_3gpuE2ELNS1_3repE0EEENS1_30default_config_static_selectorELNS0_4arch9wavefront6targetE1EEEvT1_,comdat
.Lfunc_end459:
	.size	_ZN7rocprim17ROCPRIM_400000_NS6detail17trampoline_kernelINS0_14default_configENS1_25partition_config_selectorILNS1_17partition_subalgoE8ElNS0_10empty_typeEbEEZZNS1_14partition_implILS5_8ELb0ES3_jPlPS6_PKS6_NS0_5tupleIJS9_S6_EEENSD_IJSA_SA_EEENS0_18inequality_wrapperIZN2at6native12_GLOBAL__N_124unique_dim_cuda_templateIiEESt5tupleIJNSH_6TensorESM_SM_EERKSM_lbbbEUlllE0_EEPmJS6_EEE10hipError_tPvRmT3_T4_T5_T6_T7_T9_mT8_P12ihipStream_tbDpT10_ENKUlT_T0_E_clISt17integral_constantIbLb1EES1C_EEDaS17_S18_EUlS17_E_NS1_11comp_targetILNS1_3genE8ELNS1_11target_archE1030ELNS1_3gpuE2ELNS1_3repE0EEENS1_30default_config_static_selectorELNS0_4arch9wavefront6targetE1EEEvT1_, .Lfunc_end459-_ZN7rocprim17ROCPRIM_400000_NS6detail17trampoline_kernelINS0_14default_configENS1_25partition_config_selectorILNS1_17partition_subalgoE8ElNS0_10empty_typeEbEEZZNS1_14partition_implILS5_8ELb0ES3_jPlPS6_PKS6_NS0_5tupleIJS9_S6_EEENSD_IJSA_SA_EEENS0_18inequality_wrapperIZN2at6native12_GLOBAL__N_124unique_dim_cuda_templateIiEESt5tupleIJNSH_6TensorESM_SM_EERKSM_lbbbEUlllE0_EEPmJS6_EEE10hipError_tPvRmT3_T4_T5_T6_T7_T9_mT8_P12ihipStream_tbDpT10_ENKUlT_T0_E_clISt17integral_constantIbLb1EES1C_EEDaS17_S18_EUlS17_E_NS1_11comp_targetILNS1_3genE8ELNS1_11target_archE1030ELNS1_3gpuE2ELNS1_3repE0EEENS1_30default_config_static_selectorELNS0_4arch9wavefront6targetE1EEEvT1_
                                        ; -- End function
	.section	.AMDGPU.csdata,"",@progbits
; Kernel info:
; codeLenInByte = 0
; NumSgprs: 6
; NumVgprs: 0
; NumAgprs: 0
; TotalNumVgprs: 0
; ScratchSize: 0
; MemoryBound: 0
; FloatMode: 240
; IeeeMode: 1
; LDSByteSize: 0 bytes/workgroup (compile time only)
; SGPRBlocks: 0
; VGPRBlocks: 0
; NumSGPRsForWavesPerEU: 6
; NumVGPRsForWavesPerEU: 1
; AccumOffset: 4
; Occupancy: 8
; WaveLimiterHint : 0
; COMPUTE_PGM_RSRC2:SCRATCH_EN: 0
; COMPUTE_PGM_RSRC2:USER_SGPR: 2
; COMPUTE_PGM_RSRC2:TRAP_HANDLER: 0
; COMPUTE_PGM_RSRC2:TGID_X_EN: 1
; COMPUTE_PGM_RSRC2:TGID_Y_EN: 0
; COMPUTE_PGM_RSRC2:TGID_Z_EN: 0
; COMPUTE_PGM_RSRC2:TIDIG_COMP_CNT: 0
; COMPUTE_PGM_RSRC3_GFX90A:ACCUM_OFFSET: 0
; COMPUTE_PGM_RSRC3_GFX90A:TG_SPLIT: 0
	.section	.text._ZN7rocprim17ROCPRIM_400000_NS6detail17trampoline_kernelINS0_14default_configENS1_25partition_config_selectorILNS1_17partition_subalgoE8ElNS0_10empty_typeEbEEZZNS1_14partition_implILS5_8ELb0ES3_jPlPS6_PKS6_NS0_5tupleIJS9_S6_EEENSD_IJSA_SA_EEENS0_18inequality_wrapperIZN2at6native12_GLOBAL__N_124unique_dim_cuda_templateIiEESt5tupleIJNSH_6TensorESM_SM_EERKSM_lbbbEUlllE0_EEPmJS6_EEE10hipError_tPvRmT3_T4_T5_T6_T7_T9_mT8_P12ihipStream_tbDpT10_ENKUlT_T0_E_clISt17integral_constantIbLb1EES1B_IbLb0EEEEDaS17_S18_EUlS17_E_NS1_11comp_targetILNS1_3genE0ELNS1_11target_archE4294967295ELNS1_3gpuE0ELNS1_3repE0EEENS1_30default_config_static_selectorELNS0_4arch9wavefront6targetE1EEEvT1_,"axG",@progbits,_ZN7rocprim17ROCPRIM_400000_NS6detail17trampoline_kernelINS0_14default_configENS1_25partition_config_selectorILNS1_17partition_subalgoE8ElNS0_10empty_typeEbEEZZNS1_14partition_implILS5_8ELb0ES3_jPlPS6_PKS6_NS0_5tupleIJS9_S6_EEENSD_IJSA_SA_EEENS0_18inequality_wrapperIZN2at6native12_GLOBAL__N_124unique_dim_cuda_templateIiEESt5tupleIJNSH_6TensorESM_SM_EERKSM_lbbbEUlllE0_EEPmJS6_EEE10hipError_tPvRmT3_T4_T5_T6_T7_T9_mT8_P12ihipStream_tbDpT10_ENKUlT_T0_E_clISt17integral_constantIbLb1EES1B_IbLb0EEEEDaS17_S18_EUlS17_E_NS1_11comp_targetILNS1_3genE0ELNS1_11target_archE4294967295ELNS1_3gpuE0ELNS1_3repE0EEENS1_30default_config_static_selectorELNS0_4arch9wavefront6targetE1EEEvT1_,comdat
	.globl	_ZN7rocprim17ROCPRIM_400000_NS6detail17trampoline_kernelINS0_14default_configENS1_25partition_config_selectorILNS1_17partition_subalgoE8ElNS0_10empty_typeEbEEZZNS1_14partition_implILS5_8ELb0ES3_jPlPS6_PKS6_NS0_5tupleIJS9_S6_EEENSD_IJSA_SA_EEENS0_18inequality_wrapperIZN2at6native12_GLOBAL__N_124unique_dim_cuda_templateIiEESt5tupleIJNSH_6TensorESM_SM_EERKSM_lbbbEUlllE0_EEPmJS6_EEE10hipError_tPvRmT3_T4_T5_T6_T7_T9_mT8_P12ihipStream_tbDpT10_ENKUlT_T0_E_clISt17integral_constantIbLb1EES1B_IbLb0EEEEDaS17_S18_EUlS17_E_NS1_11comp_targetILNS1_3genE0ELNS1_11target_archE4294967295ELNS1_3gpuE0ELNS1_3repE0EEENS1_30default_config_static_selectorELNS0_4arch9wavefront6targetE1EEEvT1_ ; -- Begin function _ZN7rocprim17ROCPRIM_400000_NS6detail17trampoline_kernelINS0_14default_configENS1_25partition_config_selectorILNS1_17partition_subalgoE8ElNS0_10empty_typeEbEEZZNS1_14partition_implILS5_8ELb0ES3_jPlPS6_PKS6_NS0_5tupleIJS9_S6_EEENSD_IJSA_SA_EEENS0_18inequality_wrapperIZN2at6native12_GLOBAL__N_124unique_dim_cuda_templateIiEESt5tupleIJNSH_6TensorESM_SM_EERKSM_lbbbEUlllE0_EEPmJS6_EEE10hipError_tPvRmT3_T4_T5_T6_T7_T9_mT8_P12ihipStream_tbDpT10_ENKUlT_T0_E_clISt17integral_constantIbLb1EES1B_IbLb0EEEEDaS17_S18_EUlS17_E_NS1_11comp_targetILNS1_3genE0ELNS1_11target_archE4294967295ELNS1_3gpuE0ELNS1_3repE0EEENS1_30default_config_static_selectorELNS0_4arch9wavefront6targetE1EEEvT1_
	.p2align	8
	.type	_ZN7rocprim17ROCPRIM_400000_NS6detail17trampoline_kernelINS0_14default_configENS1_25partition_config_selectorILNS1_17partition_subalgoE8ElNS0_10empty_typeEbEEZZNS1_14partition_implILS5_8ELb0ES3_jPlPS6_PKS6_NS0_5tupleIJS9_S6_EEENSD_IJSA_SA_EEENS0_18inequality_wrapperIZN2at6native12_GLOBAL__N_124unique_dim_cuda_templateIiEESt5tupleIJNSH_6TensorESM_SM_EERKSM_lbbbEUlllE0_EEPmJS6_EEE10hipError_tPvRmT3_T4_T5_T6_T7_T9_mT8_P12ihipStream_tbDpT10_ENKUlT_T0_E_clISt17integral_constantIbLb1EES1B_IbLb0EEEEDaS17_S18_EUlS17_E_NS1_11comp_targetILNS1_3genE0ELNS1_11target_archE4294967295ELNS1_3gpuE0ELNS1_3repE0EEENS1_30default_config_static_selectorELNS0_4arch9wavefront6targetE1EEEvT1_,@function
_ZN7rocprim17ROCPRIM_400000_NS6detail17trampoline_kernelINS0_14default_configENS1_25partition_config_selectorILNS1_17partition_subalgoE8ElNS0_10empty_typeEbEEZZNS1_14partition_implILS5_8ELb0ES3_jPlPS6_PKS6_NS0_5tupleIJS9_S6_EEENSD_IJSA_SA_EEENS0_18inequality_wrapperIZN2at6native12_GLOBAL__N_124unique_dim_cuda_templateIiEESt5tupleIJNSH_6TensorESM_SM_EERKSM_lbbbEUlllE0_EEPmJS6_EEE10hipError_tPvRmT3_T4_T5_T6_T7_T9_mT8_P12ihipStream_tbDpT10_ENKUlT_T0_E_clISt17integral_constantIbLb1EES1B_IbLb0EEEEDaS17_S18_EUlS17_E_NS1_11comp_targetILNS1_3genE0ELNS1_11target_archE4294967295ELNS1_3gpuE0ELNS1_3repE0EEENS1_30default_config_static_selectorELNS0_4arch9wavefront6targetE1EEEvT1_: ; @_ZN7rocprim17ROCPRIM_400000_NS6detail17trampoline_kernelINS0_14default_configENS1_25partition_config_selectorILNS1_17partition_subalgoE8ElNS0_10empty_typeEbEEZZNS1_14partition_implILS5_8ELb0ES3_jPlPS6_PKS6_NS0_5tupleIJS9_S6_EEENSD_IJSA_SA_EEENS0_18inequality_wrapperIZN2at6native12_GLOBAL__N_124unique_dim_cuda_templateIiEESt5tupleIJNSH_6TensorESM_SM_EERKSM_lbbbEUlllE0_EEPmJS6_EEE10hipError_tPvRmT3_T4_T5_T6_T7_T9_mT8_P12ihipStream_tbDpT10_ENKUlT_T0_E_clISt17integral_constantIbLb1EES1B_IbLb0EEEEDaS17_S18_EUlS17_E_NS1_11comp_targetILNS1_3genE0ELNS1_11target_archE4294967295ELNS1_3gpuE0ELNS1_3repE0EEENS1_30default_config_static_selectorELNS0_4arch9wavefront6targetE1EEEvT1_
; %bb.0:
	.section	.rodata,"a",@progbits
	.p2align	6, 0x0
	.amdhsa_kernel _ZN7rocprim17ROCPRIM_400000_NS6detail17trampoline_kernelINS0_14default_configENS1_25partition_config_selectorILNS1_17partition_subalgoE8ElNS0_10empty_typeEbEEZZNS1_14partition_implILS5_8ELb0ES3_jPlPS6_PKS6_NS0_5tupleIJS9_S6_EEENSD_IJSA_SA_EEENS0_18inequality_wrapperIZN2at6native12_GLOBAL__N_124unique_dim_cuda_templateIiEESt5tupleIJNSH_6TensorESM_SM_EERKSM_lbbbEUlllE0_EEPmJS6_EEE10hipError_tPvRmT3_T4_T5_T6_T7_T9_mT8_P12ihipStream_tbDpT10_ENKUlT_T0_E_clISt17integral_constantIbLb1EES1B_IbLb0EEEEDaS17_S18_EUlS17_E_NS1_11comp_targetILNS1_3genE0ELNS1_11target_archE4294967295ELNS1_3gpuE0ELNS1_3repE0EEENS1_30default_config_static_selectorELNS0_4arch9wavefront6targetE1EEEvT1_
		.amdhsa_group_segment_fixed_size 0
		.amdhsa_private_segment_fixed_size 0
		.amdhsa_kernarg_size 120
		.amdhsa_user_sgpr_count 2
		.amdhsa_user_sgpr_dispatch_ptr 0
		.amdhsa_user_sgpr_queue_ptr 0
		.amdhsa_user_sgpr_kernarg_segment_ptr 1
		.amdhsa_user_sgpr_dispatch_id 0
		.amdhsa_user_sgpr_kernarg_preload_length 0
		.amdhsa_user_sgpr_kernarg_preload_offset 0
		.amdhsa_user_sgpr_private_segment_size 0
		.amdhsa_uses_dynamic_stack 0
		.amdhsa_enable_private_segment 0
		.amdhsa_system_sgpr_workgroup_id_x 1
		.amdhsa_system_sgpr_workgroup_id_y 0
		.amdhsa_system_sgpr_workgroup_id_z 0
		.amdhsa_system_sgpr_workgroup_info 0
		.amdhsa_system_vgpr_workitem_id 0
		.amdhsa_next_free_vgpr 1
		.amdhsa_next_free_sgpr 0
		.amdhsa_accum_offset 4
		.amdhsa_reserve_vcc 0
		.amdhsa_float_round_mode_32 0
		.amdhsa_float_round_mode_16_64 0
		.amdhsa_float_denorm_mode_32 3
		.amdhsa_float_denorm_mode_16_64 3
		.amdhsa_dx10_clamp 1
		.amdhsa_ieee_mode 1
		.amdhsa_fp16_overflow 0
		.amdhsa_tg_split 0
		.amdhsa_exception_fp_ieee_invalid_op 0
		.amdhsa_exception_fp_denorm_src 0
		.amdhsa_exception_fp_ieee_div_zero 0
		.amdhsa_exception_fp_ieee_overflow 0
		.amdhsa_exception_fp_ieee_underflow 0
		.amdhsa_exception_fp_ieee_inexact 0
		.amdhsa_exception_int_div_zero 0
	.end_amdhsa_kernel
	.section	.text._ZN7rocprim17ROCPRIM_400000_NS6detail17trampoline_kernelINS0_14default_configENS1_25partition_config_selectorILNS1_17partition_subalgoE8ElNS0_10empty_typeEbEEZZNS1_14partition_implILS5_8ELb0ES3_jPlPS6_PKS6_NS0_5tupleIJS9_S6_EEENSD_IJSA_SA_EEENS0_18inequality_wrapperIZN2at6native12_GLOBAL__N_124unique_dim_cuda_templateIiEESt5tupleIJNSH_6TensorESM_SM_EERKSM_lbbbEUlllE0_EEPmJS6_EEE10hipError_tPvRmT3_T4_T5_T6_T7_T9_mT8_P12ihipStream_tbDpT10_ENKUlT_T0_E_clISt17integral_constantIbLb1EES1B_IbLb0EEEEDaS17_S18_EUlS17_E_NS1_11comp_targetILNS1_3genE0ELNS1_11target_archE4294967295ELNS1_3gpuE0ELNS1_3repE0EEENS1_30default_config_static_selectorELNS0_4arch9wavefront6targetE1EEEvT1_,"axG",@progbits,_ZN7rocprim17ROCPRIM_400000_NS6detail17trampoline_kernelINS0_14default_configENS1_25partition_config_selectorILNS1_17partition_subalgoE8ElNS0_10empty_typeEbEEZZNS1_14partition_implILS5_8ELb0ES3_jPlPS6_PKS6_NS0_5tupleIJS9_S6_EEENSD_IJSA_SA_EEENS0_18inequality_wrapperIZN2at6native12_GLOBAL__N_124unique_dim_cuda_templateIiEESt5tupleIJNSH_6TensorESM_SM_EERKSM_lbbbEUlllE0_EEPmJS6_EEE10hipError_tPvRmT3_T4_T5_T6_T7_T9_mT8_P12ihipStream_tbDpT10_ENKUlT_T0_E_clISt17integral_constantIbLb1EES1B_IbLb0EEEEDaS17_S18_EUlS17_E_NS1_11comp_targetILNS1_3genE0ELNS1_11target_archE4294967295ELNS1_3gpuE0ELNS1_3repE0EEENS1_30default_config_static_selectorELNS0_4arch9wavefront6targetE1EEEvT1_,comdat
.Lfunc_end460:
	.size	_ZN7rocprim17ROCPRIM_400000_NS6detail17trampoline_kernelINS0_14default_configENS1_25partition_config_selectorILNS1_17partition_subalgoE8ElNS0_10empty_typeEbEEZZNS1_14partition_implILS5_8ELb0ES3_jPlPS6_PKS6_NS0_5tupleIJS9_S6_EEENSD_IJSA_SA_EEENS0_18inequality_wrapperIZN2at6native12_GLOBAL__N_124unique_dim_cuda_templateIiEESt5tupleIJNSH_6TensorESM_SM_EERKSM_lbbbEUlllE0_EEPmJS6_EEE10hipError_tPvRmT3_T4_T5_T6_T7_T9_mT8_P12ihipStream_tbDpT10_ENKUlT_T0_E_clISt17integral_constantIbLb1EES1B_IbLb0EEEEDaS17_S18_EUlS17_E_NS1_11comp_targetILNS1_3genE0ELNS1_11target_archE4294967295ELNS1_3gpuE0ELNS1_3repE0EEENS1_30default_config_static_selectorELNS0_4arch9wavefront6targetE1EEEvT1_, .Lfunc_end460-_ZN7rocprim17ROCPRIM_400000_NS6detail17trampoline_kernelINS0_14default_configENS1_25partition_config_selectorILNS1_17partition_subalgoE8ElNS0_10empty_typeEbEEZZNS1_14partition_implILS5_8ELb0ES3_jPlPS6_PKS6_NS0_5tupleIJS9_S6_EEENSD_IJSA_SA_EEENS0_18inequality_wrapperIZN2at6native12_GLOBAL__N_124unique_dim_cuda_templateIiEESt5tupleIJNSH_6TensorESM_SM_EERKSM_lbbbEUlllE0_EEPmJS6_EEE10hipError_tPvRmT3_T4_T5_T6_T7_T9_mT8_P12ihipStream_tbDpT10_ENKUlT_T0_E_clISt17integral_constantIbLb1EES1B_IbLb0EEEEDaS17_S18_EUlS17_E_NS1_11comp_targetILNS1_3genE0ELNS1_11target_archE4294967295ELNS1_3gpuE0ELNS1_3repE0EEENS1_30default_config_static_selectorELNS0_4arch9wavefront6targetE1EEEvT1_
                                        ; -- End function
	.section	.AMDGPU.csdata,"",@progbits
; Kernel info:
; codeLenInByte = 0
; NumSgprs: 6
; NumVgprs: 0
; NumAgprs: 0
; TotalNumVgprs: 0
; ScratchSize: 0
; MemoryBound: 0
; FloatMode: 240
; IeeeMode: 1
; LDSByteSize: 0 bytes/workgroup (compile time only)
; SGPRBlocks: 0
; VGPRBlocks: 0
; NumSGPRsForWavesPerEU: 6
; NumVGPRsForWavesPerEU: 1
; AccumOffset: 4
; Occupancy: 8
; WaveLimiterHint : 0
; COMPUTE_PGM_RSRC2:SCRATCH_EN: 0
; COMPUTE_PGM_RSRC2:USER_SGPR: 2
; COMPUTE_PGM_RSRC2:TRAP_HANDLER: 0
; COMPUTE_PGM_RSRC2:TGID_X_EN: 1
; COMPUTE_PGM_RSRC2:TGID_Y_EN: 0
; COMPUTE_PGM_RSRC2:TGID_Z_EN: 0
; COMPUTE_PGM_RSRC2:TIDIG_COMP_CNT: 0
; COMPUTE_PGM_RSRC3_GFX90A:ACCUM_OFFSET: 0
; COMPUTE_PGM_RSRC3_GFX90A:TG_SPLIT: 0
	.section	.text._ZN7rocprim17ROCPRIM_400000_NS6detail17trampoline_kernelINS0_14default_configENS1_25partition_config_selectorILNS1_17partition_subalgoE8ElNS0_10empty_typeEbEEZZNS1_14partition_implILS5_8ELb0ES3_jPlPS6_PKS6_NS0_5tupleIJS9_S6_EEENSD_IJSA_SA_EEENS0_18inequality_wrapperIZN2at6native12_GLOBAL__N_124unique_dim_cuda_templateIiEESt5tupleIJNSH_6TensorESM_SM_EERKSM_lbbbEUlllE0_EEPmJS6_EEE10hipError_tPvRmT3_T4_T5_T6_T7_T9_mT8_P12ihipStream_tbDpT10_ENKUlT_T0_E_clISt17integral_constantIbLb1EES1B_IbLb0EEEEDaS17_S18_EUlS17_E_NS1_11comp_targetILNS1_3genE5ELNS1_11target_archE942ELNS1_3gpuE9ELNS1_3repE0EEENS1_30default_config_static_selectorELNS0_4arch9wavefront6targetE1EEEvT1_,"axG",@progbits,_ZN7rocprim17ROCPRIM_400000_NS6detail17trampoline_kernelINS0_14default_configENS1_25partition_config_selectorILNS1_17partition_subalgoE8ElNS0_10empty_typeEbEEZZNS1_14partition_implILS5_8ELb0ES3_jPlPS6_PKS6_NS0_5tupleIJS9_S6_EEENSD_IJSA_SA_EEENS0_18inequality_wrapperIZN2at6native12_GLOBAL__N_124unique_dim_cuda_templateIiEESt5tupleIJNSH_6TensorESM_SM_EERKSM_lbbbEUlllE0_EEPmJS6_EEE10hipError_tPvRmT3_T4_T5_T6_T7_T9_mT8_P12ihipStream_tbDpT10_ENKUlT_T0_E_clISt17integral_constantIbLb1EES1B_IbLb0EEEEDaS17_S18_EUlS17_E_NS1_11comp_targetILNS1_3genE5ELNS1_11target_archE942ELNS1_3gpuE9ELNS1_3repE0EEENS1_30default_config_static_selectorELNS0_4arch9wavefront6targetE1EEEvT1_,comdat
	.globl	_ZN7rocprim17ROCPRIM_400000_NS6detail17trampoline_kernelINS0_14default_configENS1_25partition_config_selectorILNS1_17partition_subalgoE8ElNS0_10empty_typeEbEEZZNS1_14partition_implILS5_8ELb0ES3_jPlPS6_PKS6_NS0_5tupleIJS9_S6_EEENSD_IJSA_SA_EEENS0_18inequality_wrapperIZN2at6native12_GLOBAL__N_124unique_dim_cuda_templateIiEESt5tupleIJNSH_6TensorESM_SM_EERKSM_lbbbEUlllE0_EEPmJS6_EEE10hipError_tPvRmT3_T4_T5_T6_T7_T9_mT8_P12ihipStream_tbDpT10_ENKUlT_T0_E_clISt17integral_constantIbLb1EES1B_IbLb0EEEEDaS17_S18_EUlS17_E_NS1_11comp_targetILNS1_3genE5ELNS1_11target_archE942ELNS1_3gpuE9ELNS1_3repE0EEENS1_30default_config_static_selectorELNS0_4arch9wavefront6targetE1EEEvT1_ ; -- Begin function _ZN7rocprim17ROCPRIM_400000_NS6detail17trampoline_kernelINS0_14default_configENS1_25partition_config_selectorILNS1_17partition_subalgoE8ElNS0_10empty_typeEbEEZZNS1_14partition_implILS5_8ELb0ES3_jPlPS6_PKS6_NS0_5tupleIJS9_S6_EEENSD_IJSA_SA_EEENS0_18inequality_wrapperIZN2at6native12_GLOBAL__N_124unique_dim_cuda_templateIiEESt5tupleIJNSH_6TensorESM_SM_EERKSM_lbbbEUlllE0_EEPmJS6_EEE10hipError_tPvRmT3_T4_T5_T6_T7_T9_mT8_P12ihipStream_tbDpT10_ENKUlT_T0_E_clISt17integral_constantIbLb1EES1B_IbLb0EEEEDaS17_S18_EUlS17_E_NS1_11comp_targetILNS1_3genE5ELNS1_11target_archE942ELNS1_3gpuE9ELNS1_3repE0EEENS1_30default_config_static_selectorELNS0_4arch9wavefront6targetE1EEEvT1_
	.p2align	8
	.type	_ZN7rocprim17ROCPRIM_400000_NS6detail17trampoline_kernelINS0_14default_configENS1_25partition_config_selectorILNS1_17partition_subalgoE8ElNS0_10empty_typeEbEEZZNS1_14partition_implILS5_8ELb0ES3_jPlPS6_PKS6_NS0_5tupleIJS9_S6_EEENSD_IJSA_SA_EEENS0_18inequality_wrapperIZN2at6native12_GLOBAL__N_124unique_dim_cuda_templateIiEESt5tupleIJNSH_6TensorESM_SM_EERKSM_lbbbEUlllE0_EEPmJS6_EEE10hipError_tPvRmT3_T4_T5_T6_T7_T9_mT8_P12ihipStream_tbDpT10_ENKUlT_T0_E_clISt17integral_constantIbLb1EES1B_IbLb0EEEEDaS17_S18_EUlS17_E_NS1_11comp_targetILNS1_3genE5ELNS1_11target_archE942ELNS1_3gpuE9ELNS1_3repE0EEENS1_30default_config_static_selectorELNS0_4arch9wavefront6targetE1EEEvT1_,@function
_ZN7rocprim17ROCPRIM_400000_NS6detail17trampoline_kernelINS0_14default_configENS1_25partition_config_selectorILNS1_17partition_subalgoE8ElNS0_10empty_typeEbEEZZNS1_14partition_implILS5_8ELb0ES3_jPlPS6_PKS6_NS0_5tupleIJS9_S6_EEENSD_IJSA_SA_EEENS0_18inequality_wrapperIZN2at6native12_GLOBAL__N_124unique_dim_cuda_templateIiEESt5tupleIJNSH_6TensorESM_SM_EERKSM_lbbbEUlllE0_EEPmJS6_EEE10hipError_tPvRmT3_T4_T5_T6_T7_T9_mT8_P12ihipStream_tbDpT10_ENKUlT_T0_E_clISt17integral_constantIbLb1EES1B_IbLb0EEEEDaS17_S18_EUlS17_E_NS1_11comp_targetILNS1_3genE5ELNS1_11target_archE942ELNS1_3gpuE9ELNS1_3repE0EEENS1_30default_config_static_selectorELNS0_4arch9wavefront6targetE1EEEvT1_: ; @_ZN7rocprim17ROCPRIM_400000_NS6detail17trampoline_kernelINS0_14default_configENS1_25partition_config_selectorILNS1_17partition_subalgoE8ElNS0_10empty_typeEbEEZZNS1_14partition_implILS5_8ELb0ES3_jPlPS6_PKS6_NS0_5tupleIJS9_S6_EEENSD_IJSA_SA_EEENS0_18inequality_wrapperIZN2at6native12_GLOBAL__N_124unique_dim_cuda_templateIiEESt5tupleIJNSH_6TensorESM_SM_EERKSM_lbbbEUlllE0_EEPmJS6_EEE10hipError_tPvRmT3_T4_T5_T6_T7_T9_mT8_P12ihipStream_tbDpT10_ENKUlT_T0_E_clISt17integral_constantIbLb1EES1B_IbLb0EEEEDaS17_S18_EUlS17_E_NS1_11comp_targetILNS1_3genE5ELNS1_11target_archE942ELNS1_3gpuE9ELNS1_3repE0EEENS1_30default_config_static_selectorELNS0_4arch9wavefront6targetE1EEEvT1_
; %bb.0:
	s_load_dwordx8 s[20:27], s[0:1], 0x40
	s_load_dwordx4 s[4:7], s[0:1], 0x8
	s_load_dwordx4 s[28:31], s[0:1], 0x60
	s_load_dword s3, s[0:1], 0x70
	s_waitcnt lgkmcnt(0)
	v_mov_b32_e32 v2, s24
	s_lshl_b64 s[8:9], s[6:7], 3
	s_add_u32 s12, s4, s8
	s_mul_i32 s8, s3, 0xe00
	s_addc_u32 s13, s5, s9
	s_add_i32 s10, s3, -1
	s_add_i32 s3, s8, s6
	s_sub_i32 s3, s24, s3
	s_add_u32 s8, s6, s8
	s_addc_u32 s9, s7, 0
	v_mov_b32_e32 v3, s25
	s_cmp_eq_u32 s2, s10
	s_load_dwordx2 s[22:23], s[22:23], 0x0
	v_cmp_ge_u64_e32 vcc, s[8:9], v[2:3]
	s_cselect_b64 s[24:25], -1, 0
	s_mul_i32 s4, s2, 0xe00
	s_mov_b32 s5, 0
	s_and_b64 s[8:9], s[24:25], vcc
	s_xor_b64 s[34:35], s[8:9], -1
	s_lshl_b64 s[4:5], s[4:5], 3
	s_add_u32 s4, s12, s4
	s_mov_b64 s[10:11], -1
	s_addc_u32 s5, s13, s5
	s_and_b64 vcc, exec, s[34:35]
	s_cbranch_vccz .LBB461_2
; %bb.1:
	v_lshlrev_b32_e32 v2, 3, v0
	v_mov_b32_e32 v3, 0
	v_lshl_add_u64 v[4:5], s[4:5], 0, v[2:3]
	v_add_co_u32_e32 v8, vcc, 0x1000, v4
	global_load_dwordx2 v[6:7], v2, s[4:5]
	s_nop 0
	v_addc_co_u32_e32 v9, vcc, 0, v5, vcc
	v_add_co_u32_e32 v10, vcc, 0x2000, v4
	s_mov_b64 s[10:11], 0
	s_nop 0
	v_addc_co_u32_e32 v11, vcc, 0, v5, vcc
	v_add_co_u32_e32 v12, vcc, 0x3000, v4
	s_nop 1
	v_addc_co_u32_e32 v13, vcc, 0, v5, vcc
	v_add_co_u32_e32 v14, vcc, 0x4000, v4
	s_nop 1
	v_addc_co_u32_e32 v15, vcc, 0, v5, vcc
	global_load_dwordx2 v[16:17], v[8:9], off
	global_load_dwordx2 v[18:19], v[10:11], off
	;; [unrolled: 1-line block ×4, first 2 shown]
	v_add_co_u32_e32 v8, vcc, 0x5000, v4
	s_nop 1
	v_addc_co_u32_e32 v9, vcc, 0, v5, vcc
	v_add_co_u32_e32 v4, vcc, 0x6000, v4
	global_load_dwordx2 v[8:9], v[8:9], off
	s_nop 0
	v_addc_co_u32_e32 v5, vcc, 0, v5, vcc
	global_load_dwordx2 v[4:5], v[4:5], off
	s_waitcnt vmcnt(5)
	ds_write2st64_b64 v2, v[6:7], v[16:17] offset1:8
	s_waitcnt vmcnt(3)
	ds_write2st64_b64 v2, v[18:19], v[20:21] offset0:16 offset1:24
	s_waitcnt vmcnt(1)
	ds_write2st64_b64 v2, v[22:23], v[8:9] offset0:32 offset1:40
	s_waitcnt vmcnt(0)
	ds_write_b64 v2, v[4:5] offset:24576
	s_waitcnt lgkmcnt(0)
	s_barrier
.LBB461_2:
	s_andn2_b64 vcc, exec, s[10:11]
	s_addk_i32 s3, 0xe00
	s_cbranch_vccnz .LBB461_18
; %bb.3:
	v_cmp_gt_u32_e32 vcc, s3, v0
                                        ; implicit-def: $vgpr2_vgpr3_vgpr4_vgpr5_vgpr6_vgpr7_vgpr8_vgpr9_vgpr10_vgpr11_vgpr12_vgpr13_vgpr14_vgpr15_vgpr16_vgpr17
	s_and_saveexec_b64 s[10:11], vcc
	s_cbranch_execz .LBB461_5
; %bb.4:
	v_lshlrev_b32_e32 v1, 3, v0
	global_load_dwordx2 v[2:3], v1, s[4:5]
.LBB461_5:
	s_or_b64 exec, exec, s[10:11]
	v_or_b32_e32 v1, 0x200, v0
	v_cmp_gt_u32_e32 vcc, s3, v1
	s_and_saveexec_b64 s[10:11], vcc
	s_cbranch_execz .LBB461_7
; %bb.6:
	v_lshlrev_b32_e32 v1, 3, v1
	global_load_dwordx2 v[4:5], v1, s[4:5]
.LBB461_7:
	s_or_b64 exec, exec, s[10:11]
	v_or_b32_e32 v1, 0x400, v0
	v_cmp_gt_u32_e32 vcc, s3, v1
	;; [unrolled: 9-line block ×6, first 2 shown]
	s_and_saveexec_b64 s[10:11], vcc
	s_cbranch_execz .LBB461_17
; %bb.16:
	v_lshlrev_b32_e32 v1, 3, v1
	global_load_dwordx2 v[14:15], v1, s[4:5]
.LBB461_17:
	s_or_b64 exec, exec, s[10:11]
	v_lshlrev_b32_e32 v1, 3, v0
	s_waitcnt vmcnt(0)
	ds_write2st64_b64 v1, v[2:3], v[4:5] offset1:8
	ds_write2st64_b64 v1, v[6:7], v[8:9] offset0:16 offset1:24
	ds_write2st64_b64 v1, v[10:11], v[12:13] offset0:32 offset1:40
	ds_write_b64 v1, v[14:15] offset:24576
	s_waitcnt lgkmcnt(0)
	s_barrier
.LBB461_18:
	v_mul_u32_u24_e32 v1, 7, v0
	v_lshlrev_b32_e32 v30, 3, v1
	s_waitcnt lgkmcnt(0)
	ds_read2_b64 v[10:13], v30 offset1:1
	ds_read2_b64 v[6:9], v30 offset0:2 offset1:3
	ds_read2_b64 v[2:5], v30 offset0:4 offset1:5
	ds_read_b64 v[14:15], v30 offset:48
	s_cmp_lg_u32 s2, 0
	s_cselect_b64 s[16:17], -1, 0
	s_cmp_lg_u64 s[6:7], 0
	s_cselect_b64 s[6:7], -1, 0
	s_or_b64 s[6:7], s[16:17], s[6:7]
	v_mad_u32_u24 v25, v0, 7, 1
	v_mad_u32_u24 v24, v0, 7, 2
	;; [unrolled: 1-line block ×6, first 2 shown]
	s_mov_b64 s[10:11], 0
	s_and_b64 vcc, exec, s[6:7]
	v_cmp_gt_i64_e64 s[12:13], s[26:27], 0
	s_waitcnt lgkmcnt(0)
	s_barrier
	s_cbranch_vccz .LBB461_27
; %bb.19:
	s_add_u32 s4, s4, -8
	s_addc_u32 s5, s5, -1
	s_load_dwordx2 s[6:7], s[4:5], 0x0
	v_cndmask_b32_e64 v16, 0, 1, s[12:13]
	v_lshlrev_b32_e32 v31, 3, v0
	s_and_b64 vcc, exec, s[34:35]
	v_cmp_ne_u32_e64 s[4:5], 1, v16
	ds_write_b64 v31, v[14:15]
	s_cbranch_vccz .LBB461_29
; %bb.20:
	v_mul_lo_u32 v18, v5, s26
	v_mul_lo_u32 v19, v4, s27
	v_mad_u64_u32 v[16:17], s[12:13], v4, s26, 0
	v_add3_u32 v17, v17, v19, v18
	s_and_b64 vcc, exec, s[4:5]
	v_lshl_add_u64 v[16:17], v[16:17], 2, s[28:29]
	s_cbranch_vccnz .LBB461_32
; %bb.21:
	v_mul_lo_u32 v20, v15, s26
	v_mul_lo_u32 v21, v14, s27
	v_mad_u64_u32 v[18:19], s[10:11], v14, s26, 0
	v_add3_u32 v19, v19, v21, v20
	v_lshl_add_u64 v[18:19], v[18:19], 2, s[28:29]
	global_load_dword v20, v[16:17], off
	global_load_dword v21, v[18:19], off
	s_mov_b64 s[10:11], -1
	s_waitcnt vmcnt(0)
	v_cmp_eq_u32_e32 vcc, v20, v21
	s_and_saveexec_b64 s[12:13], vcc
	s_cbranch_execz .LBB461_31
; %bb.22:
	s_add_u32 s10, s26, -1
	v_lshl_add_u64 v[18:19], v[18:19], 0, 4
	v_lshl_add_u64 v[20:21], v[16:17], 0, 4
	s_addc_u32 s11, s27, -1
	s_mov_b64 s[14:15], 0
	s_mov_b64 s[36:37], 0
                                        ; implicit-def: $sgpr18_sgpr19
	s_branch .LBB461_25
.LBB461_23:                             ;   in Loop: Header=BB461_25 Depth=1
	global_load_dword v22, v[20:21], off
	global_load_dword v23, v[18:19], off
	s_add_u32 s36, s36, 1
	s_addc_u32 s37, s37, 0
	s_andn2_b64 s[18:19], s[18:19], exec
	v_lshl_add_u64 v[18:19], v[18:19], 0, 4
	v_lshl_add_u64 v[20:21], v[20:21], 0, 4
	s_waitcnt vmcnt(0)
	v_cmp_ne_u32_e32 vcc, v22, v23
	s_and_b64 s[38:39], vcc, exec
	s_or_b64 s[18:19], s[18:19], s[38:39]
.LBB461_24:                             ;   in Loop: Header=BB461_25 Depth=1
	s_and_b64 s[38:39], exec, s[18:19]
	s_or_b64 s[14:15], s[38:39], s[14:15]
	v_mov_b64_e32 v[22:23], s[36:37]
	s_andn2_b64 exec, exec, s[14:15]
	s_cbranch_execz .LBB461_30
.LBB461_25:                             ; =>This Inner Loop Header: Depth=1
	s_or_b64 s[18:19], s[18:19], exec
	s_cmp_eq_u64 s[10:11], s[36:37]
	s_cbranch_scc0 .LBB461_23
; %bb.26:                               ;   in Loop: Header=BB461_25 Depth=1
                                        ; implicit-def: $vgpr18_vgpr19
                                        ; implicit-def: $vgpr20_vgpr21
	s_mov_b64 s[36:37], s[26:27]
	s_branch .LBB461_24
.LBB461_27:
                                        ; implicit-def: $sgpr18_sgpr19
                                        ; implicit-def: $vgpr34
                                        ; implicit-def: $vgpr33
                                        ; implicit-def: $vgpr32
                                        ; implicit-def: $vgpr20
	s_branch .LBB461_170
.LBB461_28:
                                        ; implicit-def: $vgpr16_vgpr17
	s_branch .LBB461_318
.LBB461_29:
                                        ; implicit-def: $sgpr18_sgpr19
                                        ; implicit-def: $vgpr34
                                        ; implicit-def: $vgpr33
                                        ; implicit-def: $vgpr32
                                        ; implicit-def: $vgpr20
	s_cbranch_execnz .LBB461_89
	s_branch .LBB461_169
.LBB461_30:
	s_or_b64 exec, exec, s[14:15]
	v_cmp_gt_i64_e32 vcc, s[26:27], v[22:23]
	s_orn2_b64 s[10:11], vcc, exec
.LBB461_31:
	s_or_b64 exec, exec, s[12:13]
.LBB461_32:
	v_mul_lo_u32 v20, v3, s26
	v_mul_lo_u32 v21, v2, s27
	v_mad_u64_u32 v[18:19], s[12:13], v2, s26, 0
	v_add3_u32 v19, v19, v21, v20
	s_mov_b64 s[12:13], 0
	s_and_b64 vcc, exec, s[4:5]
	v_lshl_add_u64 v[18:19], v[18:19], 2, s[28:29]
	s_mov_b64 s[14:15], 0
	s_cbranch_vccnz .LBB461_41
; %bb.33:
	global_load_dword v20, v[18:19], off
	global_load_dword v21, v[16:17], off
	s_mov_b64 s[14:15], -1
	s_waitcnt vmcnt(0)
	v_cmp_eq_u32_e32 vcc, v20, v21
	s_and_saveexec_b64 s[18:19], vcc
	s_cbranch_execz .LBB461_40
; %bb.34:
	s_add_u32 s14, s26, -1
	v_lshl_add_u64 v[16:17], v[16:17], 0, 4
	v_lshl_add_u64 v[20:21], v[18:19], 0, 4
	s_addc_u32 s15, s27, -1
	s_mov_b64 s[36:37], 0
	s_mov_b64 s[40:41], 0
                                        ; implicit-def: $sgpr38_sgpr39
	s_branch .LBB461_37
.LBB461_35:                             ;   in Loop: Header=BB461_37 Depth=1
	global_load_dword v22, v[20:21], off
	global_load_dword v23, v[16:17], off
	s_add_u32 s40, s40, 1
	s_addc_u32 s41, s41, 0
	s_andn2_b64 s[38:39], s[38:39], exec
	v_lshl_add_u64 v[16:17], v[16:17], 0, 4
	v_lshl_add_u64 v[20:21], v[20:21], 0, 4
	s_waitcnt vmcnt(0)
	v_cmp_ne_u32_e32 vcc, v22, v23
	s_and_b64 s[42:43], vcc, exec
	s_or_b64 s[38:39], s[38:39], s[42:43]
.LBB461_36:                             ;   in Loop: Header=BB461_37 Depth=1
	s_and_b64 s[42:43], exec, s[38:39]
	s_or_b64 s[36:37], s[42:43], s[36:37]
	v_mov_b64_e32 v[22:23], s[40:41]
	s_andn2_b64 exec, exec, s[36:37]
	s_cbranch_execz .LBB461_39
.LBB461_37:                             ; =>This Inner Loop Header: Depth=1
	s_or_b64 s[38:39], s[38:39], exec
	s_cmp_eq_u64 s[14:15], s[40:41]
	s_cbranch_scc0 .LBB461_35
; %bb.38:                               ;   in Loop: Header=BB461_37 Depth=1
                                        ; implicit-def: $vgpr16_vgpr17
                                        ; implicit-def: $vgpr20_vgpr21
	s_mov_b64 s[40:41], s[26:27]
	s_branch .LBB461_36
.LBB461_39:
	s_or_b64 exec, exec, s[36:37]
	v_cmp_gt_i64_e32 vcc, s[26:27], v[22:23]
	s_orn2_b64 s[14:15], vcc, exec
.LBB461_40:
	s_or_b64 exec, exec, s[18:19]
.LBB461_41:
	v_mul_lo_u32 v20, v9, s26
	v_mul_lo_u32 v21, v8, s27
	v_mad_u64_u32 v[16:17], s[18:19], v8, s26, 0
	v_add3_u32 v17, v17, v21, v20
	s_and_b64 vcc, exec, s[4:5]
	v_lshl_add_u64 v[16:17], v[16:17], 2, s[28:29]
	s_cbranch_vccnz .LBB461_50
; %bb.42:
	global_load_dword v20, v[16:17], off
	global_load_dword v21, v[18:19], off
	s_mov_b64 s[12:13], -1
	s_waitcnt vmcnt(0)
	v_cmp_eq_u32_e32 vcc, v20, v21
	s_and_saveexec_b64 s[18:19], vcc
	s_cbranch_execz .LBB461_49
; %bb.43:
	s_add_u32 s12, s26, -1
	v_lshl_add_u64 v[18:19], v[18:19], 0, 4
	v_lshl_add_u64 v[20:21], v[16:17], 0, 4
	s_addc_u32 s13, s27, -1
	s_mov_b64 s[36:37], 0
	s_mov_b64 s[40:41], 0
                                        ; implicit-def: $sgpr38_sgpr39
	s_branch .LBB461_46
.LBB461_44:                             ;   in Loop: Header=BB461_46 Depth=1
	global_load_dword v22, v[20:21], off
	global_load_dword v23, v[18:19], off
	s_add_u32 s40, s40, 1
	s_addc_u32 s41, s41, 0
	s_andn2_b64 s[38:39], s[38:39], exec
	v_lshl_add_u64 v[18:19], v[18:19], 0, 4
	v_lshl_add_u64 v[20:21], v[20:21], 0, 4
	s_waitcnt vmcnt(0)
	v_cmp_ne_u32_e32 vcc, v22, v23
	s_and_b64 s[42:43], vcc, exec
	s_or_b64 s[38:39], s[38:39], s[42:43]
.LBB461_45:                             ;   in Loop: Header=BB461_46 Depth=1
	s_and_b64 s[42:43], exec, s[38:39]
	s_or_b64 s[36:37], s[42:43], s[36:37]
	v_mov_b64_e32 v[22:23], s[40:41]
	s_andn2_b64 exec, exec, s[36:37]
	s_cbranch_execz .LBB461_48
.LBB461_46:                             ; =>This Inner Loop Header: Depth=1
	s_or_b64 s[38:39], s[38:39], exec
	s_cmp_eq_u64 s[12:13], s[40:41]
	s_cbranch_scc0 .LBB461_44
; %bb.47:                               ;   in Loop: Header=BB461_46 Depth=1
                                        ; implicit-def: $vgpr18_vgpr19
                                        ; implicit-def: $vgpr20_vgpr21
	s_mov_b64 s[40:41], s[26:27]
	s_branch .LBB461_45
.LBB461_48:
	s_or_b64 exec, exec, s[36:37]
	v_cmp_gt_i64_e32 vcc, s[26:27], v[22:23]
	s_orn2_b64 s[12:13], vcc, exec
.LBB461_49:
	s_or_b64 exec, exec, s[18:19]
.LBB461_50:
	v_mul_lo_u32 v20, v7, s26
	v_mul_lo_u32 v21, v6, s27
	v_mad_u64_u32 v[18:19], s[18:19], v6, s26, 0
	v_add3_u32 v19, v19, v21, v20
	s_mov_b64 s[18:19], 0
	s_and_b64 vcc, exec, s[4:5]
	v_lshl_add_u64 v[20:21], v[18:19], 2, s[28:29]
	s_mov_b64 s[36:37], 0
	s_cbranch_vccnz .LBB461_59
; %bb.51:
	global_load_dword v18, v[20:21], off
	global_load_dword v19, v[16:17], off
	s_mov_b64 s[36:37], -1
	s_waitcnt vmcnt(0)
	v_cmp_eq_u32_e32 vcc, v18, v19
	s_and_saveexec_b64 s[38:39], vcc
	s_cbranch_execz .LBB461_58
; %bb.52:
	s_add_u32 s36, s26, -1
	v_lshl_add_u64 v[16:17], v[16:17], 0, 4
	v_lshl_add_u64 v[18:19], v[20:21], 0, 4
	s_addc_u32 s37, s27, -1
	s_mov_b64 s[40:41], 0
	s_mov_b64 s[44:45], 0
                                        ; implicit-def: $sgpr42_sgpr43
	s_branch .LBB461_55
.LBB461_53:                             ;   in Loop: Header=BB461_55 Depth=1
	global_load_dword v22, v[18:19], off
	global_load_dword v23, v[16:17], off
	s_add_u32 s44, s44, 1
	s_addc_u32 s45, s45, 0
	s_andn2_b64 s[42:43], s[42:43], exec
	v_lshl_add_u64 v[16:17], v[16:17], 0, 4
	v_lshl_add_u64 v[18:19], v[18:19], 0, 4
	s_waitcnt vmcnt(0)
	v_cmp_ne_u32_e32 vcc, v22, v23
	s_and_b64 s[46:47], vcc, exec
	s_or_b64 s[42:43], s[42:43], s[46:47]
.LBB461_54:                             ;   in Loop: Header=BB461_55 Depth=1
	s_and_b64 s[46:47], exec, s[42:43]
	s_or_b64 s[40:41], s[46:47], s[40:41]
	v_mov_b64_e32 v[22:23], s[44:45]
	s_andn2_b64 exec, exec, s[40:41]
	s_cbranch_execz .LBB461_57
.LBB461_55:                             ; =>This Inner Loop Header: Depth=1
	s_or_b64 s[42:43], s[42:43], exec
	s_cmp_eq_u64 s[36:37], s[44:45]
	s_cbranch_scc0 .LBB461_53
; %bb.56:                               ;   in Loop: Header=BB461_55 Depth=1
                                        ; implicit-def: $vgpr16_vgpr17
                                        ; implicit-def: $vgpr18_vgpr19
	s_mov_b64 s[44:45], s[26:27]
	s_branch .LBB461_54
.LBB461_57:
	s_or_b64 exec, exec, s[40:41]
	v_cmp_gt_i64_e32 vcc, s[26:27], v[22:23]
	s_orn2_b64 s[36:37], vcc, exec
.LBB461_58:
	s_or_b64 exec, exec, s[38:39]
.LBB461_59:
	v_mul_lo_u32 v18, v13, s26
	v_mul_lo_u32 v19, v12, s27
	v_mad_u64_u32 v[16:17], s[38:39], v12, s26, 0
	v_add3_u32 v17, v17, v19, v18
	s_and_b64 vcc, exec, s[4:5]
	v_lshl_add_u64 v[18:19], v[16:17], 2, s[28:29]
	s_cbranch_vccnz .LBB461_68
; %bb.60:
	global_load_dword v16, v[18:19], off
	global_load_dword v17, v[20:21], off
	s_mov_b64 s[18:19], -1
	s_waitcnt vmcnt(0)
	v_cmp_eq_u32_e32 vcc, v16, v17
	s_and_saveexec_b64 s[38:39], vcc
	s_cbranch_execz .LBB461_67
; %bb.61:
	s_add_u32 s18, s26, -1
	v_lshl_add_u64 v[16:17], v[20:21], 0, 4
	v_lshl_add_u64 v[20:21], v[18:19], 0, 4
	s_addc_u32 s19, s27, -1
	s_mov_b64 s[40:41], 0
	s_mov_b64 s[44:45], 0
                                        ; implicit-def: $sgpr42_sgpr43
	s_branch .LBB461_64
.LBB461_62:                             ;   in Loop: Header=BB461_64 Depth=1
	global_load_dword v22, v[20:21], off
	global_load_dword v23, v[16:17], off
	s_add_u32 s44, s44, 1
	s_addc_u32 s45, s45, 0
	s_andn2_b64 s[42:43], s[42:43], exec
	v_lshl_add_u64 v[16:17], v[16:17], 0, 4
	v_lshl_add_u64 v[20:21], v[20:21], 0, 4
	s_waitcnt vmcnt(0)
	v_cmp_ne_u32_e32 vcc, v22, v23
	s_and_b64 s[46:47], vcc, exec
	s_or_b64 s[42:43], s[42:43], s[46:47]
.LBB461_63:                             ;   in Loop: Header=BB461_64 Depth=1
	s_and_b64 s[46:47], exec, s[42:43]
	s_or_b64 s[40:41], s[46:47], s[40:41]
	v_mov_b64_e32 v[22:23], s[44:45]
	s_andn2_b64 exec, exec, s[40:41]
	s_cbranch_execz .LBB461_66
.LBB461_64:                             ; =>This Inner Loop Header: Depth=1
	s_or_b64 s[42:43], s[42:43], exec
	s_cmp_eq_u64 s[18:19], s[44:45]
	s_cbranch_scc0 .LBB461_62
; %bb.65:                               ;   in Loop: Header=BB461_64 Depth=1
                                        ; implicit-def: $vgpr16_vgpr17
                                        ; implicit-def: $vgpr20_vgpr21
	s_mov_b64 s[44:45], s[26:27]
	s_branch .LBB461_63
.LBB461_66:
	s_or_b64 exec, exec, s[40:41]
	v_cmp_gt_i64_e32 vcc, s[26:27], v[22:23]
	s_orn2_b64 s[18:19], vcc, exec
.LBB461_67:
	s_or_b64 exec, exec, s[38:39]
.LBB461_68:
	v_mul_lo_u32 v20, v11, s26
	v_mul_lo_u32 v21, v10, s27
	v_mad_u64_u32 v[16:17], s[38:39], v10, s26, 0
	v_add3_u32 v17, v17, v21, v20
	s_mov_b64 s[40:41], 0
	s_and_b64 vcc, exec, s[4:5]
	v_lshl_add_u64 v[16:17], v[16:17], 2, s[28:29]
	s_cbranch_vccnz .LBB461_77
; %bb.69:
	global_load_dword v20, v[16:17], off
	global_load_dword v21, v[18:19], off
	s_mov_b64 s[40:41], -1
	s_waitcnt vmcnt(0)
	v_cmp_eq_u32_e32 vcc, v20, v21
	s_and_saveexec_b64 s[38:39], vcc
	s_cbranch_execz .LBB461_76
; %bb.70:
	s_add_u32 s40, s26, -1
	v_lshl_add_u64 v[18:19], v[18:19], 0, 4
	v_lshl_add_u64 v[20:21], v[16:17], 0, 4
	s_addc_u32 s41, s27, -1
	s_mov_b64 s[42:43], 0
	s_mov_b64 s[46:47], 0
                                        ; implicit-def: $sgpr44_sgpr45
	s_branch .LBB461_73
.LBB461_71:                             ;   in Loop: Header=BB461_73 Depth=1
	global_load_dword v22, v[20:21], off
	global_load_dword v23, v[18:19], off
	s_add_u32 s46, s46, 1
	s_addc_u32 s47, s47, 0
	s_andn2_b64 s[44:45], s[44:45], exec
	v_lshl_add_u64 v[18:19], v[18:19], 0, 4
	v_lshl_add_u64 v[20:21], v[20:21], 0, 4
	s_waitcnt vmcnt(0)
	v_cmp_ne_u32_e32 vcc, v22, v23
	s_and_b64 s[48:49], vcc, exec
	s_or_b64 s[44:45], s[44:45], s[48:49]
.LBB461_72:                             ;   in Loop: Header=BB461_73 Depth=1
	s_and_b64 s[48:49], exec, s[44:45]
	s_or_b64 s[42:43], s[48:49], s[42:43]
	v_mov_b64_e32 v[22:23], s[46:47]
	s_andn2_b64 exec, exec, s[42:43]
	s_cbranch_execz .LBB461_75
.LBB461_73:                             ; =>This Inner Loop Header: Depth=1
	s_or_b64 s[44:45], s[44:45], exec
	s_cmp_eq_u64 s[40:41], s[46:47]
	s_cbranch_scc0 .LBB461_71
; %bb.74:                               ;   in Loop: Header=BB461_73 Depth=1
                                        ; implicit-def: $vgpr18_vgpr19
                                        ; implicit-def: $vgpr20_vgpr21
	s_mov_b64 s[46:47], s[26:27]
	s_branch .LBB461_72
.LBB461_75:
	s_or_b64 exec, exec, s[42:43]
	v_cmp_gt_i64_e32 vcc, s[26:27], v[22:23]
	s_orn2_b64 s[40:41], vcc, exec
.LBB461_76:
	s_or_b64 exec, exec, s[38:39]
.LBB461_77:
	v_cmp_ne_u32_e32 vcc, 0, v0
	s_waitcnt lgkmcnt(0)
	v_mov_b64_e32 v[18:19], s[6:7]
	s_barrier
	s_and_saveexec_b64 s[38:39], vcc
	s_cbranch_execz .LBB461_79
; %bb.78:
	v_add_u32_e32 v18, -8, v31
	ds_read_b64 v[18:19], v18
.LBB461_79:
	s_or_b64 exec, exec, s[38:39]
	v_cndmask_b32_e64 v21, 0, 1, s[36:37]
	v_cndmask_b32_e64 v20, 0, 1, s[18:19]
	;; [unrolled: 1-line block ×3, first 2 shown]
	v_lshlrev_b16_e32 v21, 8, v21
	v_lshlrev_b16_e32 v22, 8, v22
	v_or_b32_sdwa v23, v20, v21 dst_sel:WORD_1 dst_unused:UNUSED_PAD src0_sel:DWORD src1_sel:DWORD
	s_mov_b64 s[36:37], 0
	s_and_b64 vcc, exec, s[4:5]
	s_mov_b64 s[18:19], 0
	s_cbranch_vccnz .LBB461_88
; %bb.80:
	s_waitcnt lgkmcnt(0)
	v_mul_lo_u32 v20, v19, s26
	v_mul_lo_u32 v21, v18, s27
	v_mad_u64_u32 v[18:19], s[18:19], v18, s26, 0
	v_add3_u32 v19, v19, v21, v20
	v_lshl_add_u64 v[18:19], v[18:19], 2, s[28:29]
	global_load_dword v20, v[18:19], off
	global_load_dword v21, v[16:17], off
	s_mov_b64 s[18:19], -1
	s_waitcnt vmcnt(0)
	v_cmp_eq_u32_e32 vcc, v20, v21
	s_and_saveexec_b64 s[38:39], vcc
	s_cbranch_execz .LBB461_87
; %bb.81:
	s_add_u32 s18, s26, -1
	v_lshl_add_u64 v[16:17], v[16:17], 0, 4
	v_lshl_add_u64 v[18:19], v[18:19], 0, 4
	s_addc_u32 s19, s27, -1
	s_mov_b64 s[40:41], 0
	s_mov_b64 s[44:45], 0
                                        ; implicit-def: $sgpr42_sgpr43
	s_branch .LBB461_84
.LBB461_82:                             ;   in Loop: Header=BB461_84 Depth=1
	global_load_dword v20, v[18:19], off
	global_load_dword v21, v[16:17], off
	s_add_u32 s44, s44, 1
	s_addc_u32 s45, s45, 0
	s_andn2_b64 s[42:43], s[42:43], exec
	v_lshl_add_u64 v[16:17], v[16:17], 0, 4
	v_lshl_add_u64 v[18:19], v[18:19], 0, 4
	s_waitcnt vmcnt(0)
	v_cmp_ne_u32_e32 vcc, v20, v21
	s_and_b64 s[46:47], vcc, exec
	s_or_b64 s[42:43], s[42:43], s[46:47]
.LBB461_83:                             ;   in Loop: Header=BB461_84 Depth=1
	s_and_b64 s[46:47], exec, s[42:43]
	s_or_b64 s[40:41], s[46:47], s[40:41]
	v_mov_b64_e32 v[20:21], s[44:45]
	s_andn2_b64 exec, exec, s[40:41]
	s_cbranch_execz .LBB461_86
.LBB461_84:                             ; =>This Inner Loop Header: Depth=1
	s_or_b64 s[42:43], s[42:43], exec
	s_cmp_eq_u64 s[18:19], s[44:45]
	s_cbranch_scc0 .LBB461_82
; %bb.85:                               ;   in Loop: Header=BB461_84 Depth=1
                                        ; implicit-def: $vgpr16_vgpr17
                                        ; implicit-def: $vgpr18_vgpr19
	s_mov_b64 s[44:45], s[26:27]
	s_branch .LBB461_83
.LBB461_86:
	s_or_b64 exec, exec, s[40:41]
	v_cmp_gt_i64_e32 vcc, s[26:27], v[20:21]
	s_orn2_b64 s[18:19], vcc, exec
.LBB461_87:
	s_or_b64 exec, exec, s[38:39]
.LBB461_88:
	v_cndmask_b32_e64 v32, 0, 1, s[12:13]
	v_cndmask_b32_e64 v33, 0, 1, s[14:15]
	;; [unrolled: 1-line block ×3, first 2 shown]
	v_or_b32_e32 v20, v22, v23
	s_and_b64 vcc, exec, s[36:37]
	s_cbranch_vccz .LBB461_169
.LBB461_89:
	v_cmp_gt_u32_e32 vcc, s3, v27
	s_mov_b64 s[12:13], 0
	s_mov_b64 s[10:11], 0
	s_and_saveexec_b64 s[14:15], vcc
	s_cbranch_execz .LBB461_100
; %bb.90:
	s_and_b64 vcc, exec, s[4:5]
	s_mov_b64 s[18:19], 0
	s_cbranch_vccnz .LBB461_99
; %bb.91:
	s_waitcnt lgkmcnt(0)
	v_mul_lo_u32 v18, v5, s26
	v_mul_lo_u32 v19, v4, s27
	v_mad_u64_u32 v[16:17], s[10:11], v4, s26, 0
	v_add3_u32 v17, v17, v19, v18
	v_mul_lo_u32 v18, v15, s26
	v_mul_lo_u32 v19, v14, s27
	v_mad_u64_u32 v[20:21], s[10:11], v14, s26, 0
	v_add3_u32 v21, v21, v19, v18
	v_lshl_add_u64 v[18:19], v[16:17], 2, s[28:29]
	v_lshl_add_u64 v[16:17], v[20:21], 2, s[28:29]
	global_load_dword v20, v[18:19], off
	global_load_dword v21, v[16:17], off
	s_mov_b64 s[18:19], -1
	s_waitcnt vmcnt(0)
	v_cmp_eq_u32_e32 vcc, v20, v21
	s_and_saveexec_b64 s[10:11], vcc
	s_cbranch_execz .LBB461_98
; %bb.92:
	s_add_u32 s18, s26, -1
	v_lshl_add_u64 v[16:17], v[16:17], 0, 4
	v_lshl_add_u64 v[18:19], v[18:19], 0, 4
	s_addc_u32 s19, s27, -1
	s_mov_b64 s[36:37], 0
	s_mov_b64 s[40:41], 0
                                        ; implicit-def: $sgpr38_sgpr39
	s_branch .LBB461_95
.LBB461_93:                             ;   in Loop: Header=BB461_95 Depth=1
	global_load_dword v20, v[18:19], off
	global_load_dword v21, v[16:17], off
	s_add_u32 s40, s40, 1
	s_addc_u32 s41, s41, 0
	s_andn2_b64 s[38:39], s[38:39], exec
	v_lshl_add_u64 v[16:17], v[16:17], 0, 4
	v_lshl_add_u64 v[18:19], v[18:19], 0, 4
	s_waitcnt vmcnt(0)
	v_cmp_ne_u32_e32 vcc, v20, v21
	s_and_b64 s[42:43], vcc, exec
	s_or_b64 s[38:39], s[38:39], s[42:43]
.LBB461_94:                             ;   in Loop: Header=BB461_95 Depth=1
	s_and_b64 s[42:43], exec, s[38:39]
	s_or_b64 s[36:37], s[42:43], s[36:37]
	v_mov_b64_e32 v[20:21], s[40:41]
	s_andn2_b64 exec, exec, s[36:37]
	s_cbranch_execz .LBB461_97
.LBB461_95:                             ; =>This Inner Loop Header: Depth=1
	s_or_b64 s[38:39], s[38:39], exec
	s_cmp_eq_u64 s[18:19], s[40:41]
	s_cbranch_scc0 .LBB461_93
; %bb.96:                               ;   in Loop: Header=BB461_95 Depth=1
                                        ; implicit-def: $vgpr16_vgpr17
                                        ; implicit-def: $vgpr18_vgpr19
	s_mov_b64 s[40:41], s[26:27]
	s_branch .LBB461_94
.LBB461_97:
	s_or_b64 exec, exec, s[36:37]
	v_cmp_gt_i64_e32 vcc, s[26:27], v[20:21]
	s_orn2_b64 s[18:19], vcc, exec
.LBB461_98:
	s_or_b64 exec, exec, s[10:11]
.LBB461_99:
	s_and_b64 s[10:11], s[18:19], exec
.LBB461_100:
	s_or_b64 exec, exec, s[14:15]
	v_cmp_gt_u32_e32 vcc, s3, v29
	s_and_saveexec_b64 s[14:15], vcc
	s_cbranch_execz .LBB461_111
; %bb.101:
	s_and_b64 vcc, exec, s[4:5]
	s_mov_b64 s[18:19], 0
	s_cbranch_vccnz .LBB461_110
; %bb.102:
	s_waitcnt lgkmcnt(0)
	v_mul_lo_u32 v18, v3, s26
	v_mul_lo_u32 v19, v2, s27
	v_mad_u64_u32 v[16:17], s[12:13], v2, s26, 0
	v_add3_u32 v17, v17, v19, v18
	v_mul_lo_u32 v18, v5, s26
	v_mul_lo_u32 v19, v4, s27
	v_mad_u64_u32 v[20:21], s[12:13], v4, s26, 0
	v_add3_u32 v21, v21, v19, v18
	v_lshl_add_u64 v[18:19], v[16:17], 2, s[28:29]
	v_lshl_add_u64 v[16:17], v[20:21], 2, s[28:29]
	global_load_dword v20, v[18:19], off
	global_load_dword v21, v[16:17], off
	s_mov_b64 s[18:19], -1
	s_waitcnt vmcnt(0)
	v_cmp_eq_u32_e32 vcc, v20, v21
	s_and_saveexec_b64 s[12:13], vcc
	s_cbranch_execz .LBB461_109
; %bb.103:
	s_add_u32 s18, s26, -1
	v_lshl_add_u64 v[16:17], v[16:17], 0, 4
	v_lshl_add_u64 v[18:19], v[18:19], 0, 4
	s_addc_u32 s19, s27, -1
	s_mov_b64 s[36:37], 0
	s_mov_b64 s[40:41], 0
                                        ; implicit-def: $sgpr38_sgpr39
	s_branch .LBB461_106
.LBB461_104:                            ;   in Loop: Header=BB461_106 Depth=1
	global_load_dword v20, v[18:19], off
	global_load_dword v21, v[16:17], off
	s_add_u32 s40, s40, 1
	s_addc_u32 s41, s41, 0
	s_andn2_b64 s[38:39], s[38:39], exec
	v_lshl_add_u64 v[16:17], v[16:17], 0, 4
	v_lshl_add_u64 v[18:19], v[18:19], 0, 4
	s_waitcnt vmcnt(0)
	v_cmp_ne_u32_e32 vcc, v20, v21
	s_and_b64 s[42:43], vcc, exec
	s_or_b64 s[38:39], s[38:39], s[42:43]
.LBB461_105:                            ;   in Loop: Header=BB461_106 Depth=1
	s_and_b64 s[42:43], exec, s[38:39]
	s_or_b64 s[36:37], s[42:43], s[36:37]
	v_mov_b64_e32 v[20:21], s[40:41]
	s_andn2_b64 exec, exec, s[36:37]
	s_cbranch_execz .LBB461_108
.LBB461_106:                            ; =>This Inner Loop Header: Depth=1
	s_or_b64 s[38:39], s[38:39], exec
	s_cmp_eq_u64 s[18:19], s[40:41]
	s_cbranch_scc0 .LBB461_104
; %bb.107:                              ;   in Loop: Header=BB461_106 Depth=1
                                        ; implicit-def: $vgpr16_vgpr17
                                        ; implicit-def: $vgpr18_vgpr19
	s_mov_b64 s[40:41], s[26:27]
	s_branch .LBB461_105
.LBB461_108:
	s_or_b64 exec, exec, s[36:37]
	v_cmp_gt_i64_e32 vcc, s[26:27], v[20:21]
	s_orn2_b64 s[18:19], vcc, exec
.LBB461_109:
	s_or_b64 exec, exec, s[12:13]
.LBB461_110:
	s_and_b64 s[12:13], s[18:19], exec
.LBB461_111:
	s_or_b64 exec, exec, s[14:15]
	v_cmp_gt_u32_e32 vcc, s3, v26
	s_mov_b64 s[18:19], 0
	s_mov_b64 s[14:15], 0
	s_and_saveexec_b64 s[36:37], vcc
	s_cbranch_execz .LBB461_122
; %bb.112:
	s_and_b64 vcc, exec, s[4:5]
	s_mov_b64 s[38:39], 0
	s_cbranch_vccnz .LBB461_121
; %bb.113:
	s_waitcnt lgkmcnt(0)
	v_mul_lo_u32 v18, v9, s26
	v_mul_lo_u32 v19, v8, s27
	v_mad_u64_u32 v[16:17], s[14:15], v8, s26, 0
	v_add3_u32 v17, v17, v19, v18
	v_mul_lo_u32 v18, v3, s26
	v_mul_lo_u32 v19, v2, s27
	v_mad_u64_u32 v[20:21], s[14:15], v2, s26, 0
	v_add3_u32 v21, v21, v19, v18
	v_lshl_add_u64 v[18:19], v[16:17], 2, s[28:29]
	v_lshl_add_u64 v[16:17], v[20:21], 2, s[28:29]
	global_load_dword v20, v[18:19], off
	global_load_dword v21, v[16:17], off
	s_mov_b64 s[38:39], -1
	s_waitcnt vmcnt(0)
	v_cmp_eq_u32_e32 vcc, v20, v21
	s_and_saveexec_b64 s[14:15], vcc
	s_cbranch_execz .LBB461_120
; %bb.114:
	s_add_u32 s38, s26, -1
	v_lshl_add_u64 v[16:17], v[16:17], 0, 4
	v_lshl_add_u64 v[18:19], v[18:19], 0, 4
	s_addc_u32 s39, s27, -1
	s_mov_b64 s[40:41], 0
	s_mov_b64 s[44:45], 0
                                        ; implicit-def: $sgpr42_sgpr43
	s_branch .LBB461_117
.LBB461_115:                            ;   in Loop: Header=BB461_117 Depth=1
	global_load_dword v20, v[18:19], off
	global_load_dword v21, v[16:17], off
	s_add_u32 s44, s44, 1
	s_addc_u32 s45, s45, 0
	s_andn2_b64 s[42:43], s[42:43], exec
	v_lshl_add_u64 v[16:17], v[16:17], 0, 4
	v_lshl_add_u64 v[18:19], v[18:19], 0, 4
	s_waitcnt vmcnt(0)
	v_cmp_ne_u32_e32 vcc, v20, v21
	s_and_b64 s[46:47], vcc, exec
	s_or_b64 s[42:43], s[42:43], s[46:47]
.LBB461_116:                            ;   in Loop: Header=BB461_117 Depth=1
	s_and_b64 s[46:47], exec, s[42:43]
	s_or_b64 s[40:41], s[46:47], s[40:41]
	v_mov_b64_e32 v[20:21], s[44:45]
	s_andn2_b64 exec, exec, s[40:41]
	s_cbranch_execz .LBB461_119
.LBB461_117:                            ; =>This Inner Loop Header: Depth=1
	s_or_b64 s[42:43], s[42:43], exec
	s_cmp_eq_u64 s[38:39], s[44:45]
	s_cbranch_scc0 .LBB461_115
; %bb.118:                              ;   in Loop: Header=BB461_117 Depth=1
                                        ; implicit-def: $vgpr16_vgpr17
                                        ; implicit-def: $vgpr18_vgpr19
	s_mov_b64 s[44:45], s[26:27]
	s_branch .LBB461_116
.LBB461_119:
	s_or_b64 exec, exec, s[40:41]
	v_cmp_gt_i64_e32 vcc, s[26:27], v[20:21]
	s_orn2_b64 s[38:39], vcc, exec
.LBB461_120:
	s_or_b64 exec, exec, s[14:15]
.LBB461_121:
	s_and_b64 s[14:15], s[38:39], exec
.LBB461_122:
	s_or_b64 exec, exec, s[36:37]
	v_cmp_gt_u32_e32 vcc, s3, v28
	s_and_saveexec_b64 s[36:37], vcc
	s_cbranch_execz .LBB461_133
; %bb.123:
	s_and_b64 vcc, exec, s[4:5]
	s_mov_b64 s[38:39], 0
	s_cbranch_vccnz .LBB461_132
; %bb.124:
	s_waitcnt lgkmcnt(0)
	v_mul_lo_u32 v18, v7, s26
	v_mul_lo_u32 v19, v6, s27
	v_mad_u64_u32 v[16:17], s[18:19], v6, s26, 0
	v_add3_u32 v17, v17, v19, v18
	v_mul_lo_u32 v18, v9, s26
	v_mul_lo_u32 v19, v8, s27
	v_mad_u64_u32 v[20:21], s[18:19], v8, s26, 0
	v_add3_u32 v21, v21, v19, v18
	v_lshl_add_u64 v[18:19], v[16:17], 2, s[28:29]
	v_lshl_add_u64 v[16:17], v[20:21], 2, s[28:29]
	global_load_dword v20, v[18:19], off
	global_load_dword v21, v[16:17], off
	s_mov_b64 s[38:39], -1
	s_waitcnt vmcnt(0)
	v_cmp_eq_u32_e32 vcc, v20, v21
	s_and_saveexec_b64 s[18:19], vcc
	s_cbranch_execz .LBB461_131
; %bb.125:
	s_add_u32 s38, s26, -1
	v_lshl_add_u64 v[16:17], v[16:17], 0, 4
	v_lshl_add_u64 v[18:19], v[18:19], 0, 4
	s_addc_u32 s39, s27, -1
	s_mov_b64 s[40:41], 0
	s_mov_b64 s[44:45], 0
                                        ; implicit-def: $sgpr42_sgpr43
	s_branch .LBB461_128
.LBB461_126:                            ;   in Loop: Header=BB461_128 Depth=1
	global_load_dword v20, v[18:19], off
	global_load_dword v21, v[16:17], off
	s_add_u32 s44, s44, 1
	s_addc_u32 s45, s45, 0
	s_andn2_b64 s[42:43], s[42:43], exec
	v_lshl_add_u64 v[16:17], v[16:17], 0, 4
	v_lshl_add_u64 v[18:19], v[18:19], 0, 4
	s_waitcnt vmcnt(0)
	v_cmp_ne_u32_e32 vcc, v20, v21
	s_and_b64 s[46:47], vcc, exec
	s_or_b64 s[42:43], s[42:43], s[46:47]
.LBB461_127:                            ;   in Loop: Header=BB461_128 Depth=1
	s_and_b64 s[46:47], exec, s[42:43]
	s_or_b64 s[40:41], s[46:47], s[40:41]
	v_mov_b64_e32 v[20:21], s[44:45]
	s_andn2_b64 exec, exec, s[40:41]
	s_cbranch_execz .LBB461_130
.LBB461_128:                            ; =>This Inner Loop Header: Depth=1
	s_or_b64 s[42:43], s[42:43], exec
	s_cmp_eq_u64 s[38:39], s[44:45]
	s_cbranch_scc0 .LBB461_126
; %bb.129:                              ;   in Loop: Header=BB461_128 Depth=1
                                        ; implicit-def: $vgpr16_vgpr17
                                        ; implicit-def: $vgpr18_vgpr19
	s_mov_b64 s[44:45], s[26:27]
	s_branch .LBB461_127
.LBB461_130:
	s_or_b64 exec, exec, s[40:41]
	v_cmp_gt_i64_e32 vcc, s[26:27], v[20:21]
	s_orn2_b64 s[38:39], vcc, exec
.LBB461_131:
	s_or_b64 exec, exec, s[18:19]
.LBB461_132:
	s_and_b64 s[18:19], s[38:39], exec
.LBB461_133:
	s_or_b64 exec, exec, s[36:37]
	v_cmp_gt_u32_e32 vcc, s3, v24
	s_mov_b64 s[36:37], 0
	s_mov_b64 s[38:39], 0
	s_and_saveexec_b64 s[40:41], vcc
	s_cbranch_execz .LBB461_144
; %bb.134:
	s_and_b64 vcc, exec, s[4:5]
	s_mov_b64 s[42:43], 0
	s_cbranch_vccnz .LBB461_143
; %bb.135:
	s_waitcnt lgkmcnt(0)
	v_mul_lo_u32 v18, v13, s26
	v_mul_lo_u32 v19, v12, s27
	v_mad_u64_u32 v[16:17], s[38:39], v12, s26, 0
	v_add3_u32 v17, v17, v19, v18
	v_mul_lo_u32 v18, v7, s26
	v_mul_lo_u32 v19, v6, s27
	v_mad_u64_u32 v[20:21], s[38:39], v6, s26, 0
	v_add3_u32 v21, v21, v19, v18
	v_lshl_add_u64 v[18:19], v[16:17], 2, s[28:29]
	v_lshl_add_u64 v[16:17], v[20:21], 2, s[28:29]
	global_load_dword v20, v[18:19], off
	global_load_dword v21, v[16:17], off
	s_mov_b64 s[42:43], -1
	s_waitcnt vmcnt(0)
	v_cmp_eq_u32_e32 vcc, v20, v21
	s_and_saveexec_b64 s[38:39], vcc
	s_cbranch_execz .LBB461_142
; %bb.136:
	s_add_u32 s42, s26, -1
	v_lshl_add_u64 v[16:17], v[16:17], 0, 4
	v_lshl_add_u64 v[18:19], v[18:19], 0, 4
	s_addc_u32 s43, s27, -1
	s_mov_b64 s[44:45], 0
	s_mov_b64 s[48:49], 0
                                        ; implicit-def: $sgpr46_sgpr47
	s_branch .LBB461_139
.LBB461_137:                            ;   in Loop: Header=BB461_139 Depth=1
	global_load_dword v20, v[18:19], off
	global_load_dword v21, v[16:17], off
	s_add_u32 s48, s48, 1
	s_addc_u32 s49, s49, 0
	s_andn2_b64 s[46:47], s[46:47], exec
	v_lshl_add_u64 v[16:17], v[16:17], 0, 4
	v_lshl_add_u64 v[18:19], v[18:19], 0, 4
	s_waitcnt vmcnt(0)
	v_cmp_ne_u32_e32 vcc, v20, v21
	s_and_b64 s[50:51], vcc, exec
	s_or_b64 s[46:47], s[46:47], s[50:51]
.LBB461_138:                            ;   in Loop: Header=BB461_139 Depth=1
	s_and_b64 s[50:51], exec, s[46:47]
	s_or_b64 s[44:45], s[50:51], s[44:45]
	v_mov_b64_e32 v[20:21], s[48:49]
	s_andn2_b64 exec, exec, s[44:45]
	s_cbranch_execz .LBB461_141
.LBB461_139:                            ; =>This Inner Loop Header: Depth=1
	s_or_b64 s[46:47], s[46:47], exec
	s_cmp_eq_u64 s[42:43], s[48:49]
	s_cbranch_scc0 .LBB461_137
; %bb.140:                              ;   in Loop: Header=BB461_139 Depth=1
                                        ; implicit-def: $vgpr16_vgpr17
                                        ; implicit-def: $vgpr18_vgpr19
	s_mov_b64 s[48:49], s[26:27]
	s_branch .LBB461_138
.LBB461_141:
	s_or_b64 exec, exec, s[44:45]
	v_cmp_gt_i64_e32 vcc, s[26:27], v[20:21]
	s_orn2_b64 s[42:43], vcc, exec
.LBB461_142:
	s_or_b64 exec, exec, s[38:39]
.LBB461_143:
	s_and_b64 s[38:39], s[42:43], exec
.LBB461_144:
	s_or_b64 exec, exec, s[40:41]
	v_cmp_gt_u32_e32 vcc, s3, v25
	s_and_saveexec_b64 s[40:41], vcc
	s_cbranch_execz .LBB461_155
; %bb.145:
	s_and_b64 vcc, exec, s[4:5]
	s_mov_b64 s[42:43], 0
	s_cbranch_vccnz .LBB461_154
; %bb.146:
	s_waitcnt lgkmcnt(0)
	v_mul_lo_u32 v18, v11, s26
	v_mul_lo_u32 v19, v10, s27
	v_mad_u64_u32 v[16:17], s[36:37], v10, s26, 0
	v_add3_u32 v17, v17, v19, v18
	v_mul_lo_u32 v18, v13, s26
	v_mul_lo_u32 v19, v12, s27
	v_mad_u64_u32 v[20:21], s[36:37], v12, s26, 0
	v_add3_u32 v21, v21, v19, v18
	v_lshl_add_u64 v[18:19], v[16:17], 2, s[28:29]
	v_lshl_add_u64 v[16:17], v[20:21], 2, s[28:29]
	global_load_dword v20, v[18:19], off
	global_load_dword v21, v[16:17], off
	s_mov_b64 s[42:43], -1
	s_waitcnt vmcnt(0)
	v_cmp_eq_u32_e32 vcc, v20, v21
	s_and_saveexec_b64 s[36:37], vcc
	s_cbranch_execz .LBB461_153
; %bb.147:
	s_add_u32 s42, s26, -1
	v_lshl_add_u64 v[16:17], v[16:17], 0, 4
	v_lshl_add_u64 v[18:19], v[18:19], 0, 4
	s_addc_u32 s43, s27, -1
	s_mov_b64 s[44:45], 0
	s_mov_b64 s[48:49], 0
                                        ; implicit-def: $sgpr46_sgpr47
	s_branch .LBB461_150
.LBB461_148:                            ;   in Loop: Header=BB461_150 Depth=1
	global_load_dword v20, v[18:19], off
	global_load_dword v21, v[16:17], off
	s_add_u32 s48, s48, 1
	s_addc_u32 s49, s49, 0
	s_andn2_b64 s[46:47], s[46:47], exec
	v_lshl_add_u64 v[16:17], v[16:17], 0, 4
	v_lshl_add_u64 v[18:19], v[18:19], 0, 4
	s_waitcnt vmcnt(0)
	v_cmp_ne_u32_e32 vcc, v20, v21
	s_and_b64 s[50:51], vcc, exec
	s_or_b64 s[46:47], s[46:47], s[50:51]
.LBB461_149:                            ;   in Loop: Header=BB461_150 Depth=1
	s_and_b64 s[50:51], exec, s[46:47]
	s_or_b64 s[44:45], s[50:51], s[44:45]
	v_mov_b64_e32 v[20:21], s[48:49]
	s_andn2_b64 exec, exec, s[44:45]
	s_cbranch_execz .LBB461_152
.LBB461_150:                            ; =>This Inner Loop Header: Depth=1
	s_or_b64 s[46:47], s[46:47], exec
	s_cmp_eq_u64 s[42:43], s[48:49]
	s_cbranch_scc0 .LBB461_148
; %bb.151:                              ;   in Loop: Header=BB461_150 Depth=1
                                        ; implicit-def: $vgpr16_vgpr17
                                        ; implicit-def: $vgpr18_vgpr19
	s_mov_b64 s[48:49], s[26:27]
	s_branch .LBB461_149
.LBB461_152:
	s_or_b64 exec, exec, s[44:45]
	v_cmp_gt_i64_e32 vcc, s[26:27], v[20:21]
	s_orn2_b64 s[42:43], vcc, exec
.LBB461_153:
	s_or_b64 exec, exec, s[36:37]
.LBB461_154:
	s_and_b64 s[36:37], s[42:43], exec
.LBB461_155:
	s_or_b64 exec, exec, s[40:41]
	v_cmp_ne_u32_e32 vcc, 0, v0
	s_waitcnt lgkmcnt(0)
	v_mov_b64_e32 v[16:17], s[6:7]
	s_barrier
	s_and_saveexec_b64 s[6:7], vcc
	s_cbranch_execz .LBB461_157
; %bb.156:
	v_add_u32_e32 v16, -8, v31
	ds_read_b64 v[16:17], v16
.LBB461_157:
	s_or_b64 exec, exec, s[6:7]
	v_cndmask_b32_e64 v19, 0, 1, s[18:19]
	v_cndmask_b32_e64 v18, 0, 1, s[38:39]
	;; [unrolled: 1-line block ×3, first 2 shown]
	v_lshlrev_b16_e32 v19, 8, v19
	v_cmp_gt_u32_e32 vcc, s3, v1
	v_lshlrev_b16_e32 v22, 8, v20
	v_or_b32_sdwa v23, v18, v19 dst_sel:WORD_1 dst_unused:UNUSED_PAD src0_sel:DWORD src1_sel:DWORD
	s_mov_b64 s[18:19], 0
	s_and_saveexec_b64 s[6:7], vcc
	s_cbranch_execz .LBB461_168
; %bb.158:
	s_and_b64 vcc, exec, s[4:5]
	s_cbranch_vccnz .LBB461_167
; %bb.159:
	s_waitcnt lgkmcnt(0)
	v_mul_lo_u32 v18, v17, s26
	v_mul_lo_u32 v19, v16, s27
	v_mad_u64_u32 v[16:17], s[4:5], v16, s26, 0
	v_add3_u32 v17, v17, v19, v18
	v_mul_lo_u32 v18, v11, s26
	v_mul_lo_u32 v19, v10, s27
	v_mad_u64_u32 v[20:21], s[4:5], v10, s26, 0
	v_add3_u32 v21, v21, v19, v18
	v_lshl_add_u64 v[18:19], v[16:17], 2, s[28:29]
	v_lshl_add_u64 v[16:17], v[20:21], 2, s[28:29]
	global_load_dword v20, v[18:19], off
	global_load_dword v21, v[16:17], off
	s_mov_b64 s[18:19], -1
	s_waitcnt vmcnt(0)
	v_cmp_eq_u32_e32 vcc, v20, v21
	s_and_saveexec_b64 s[4:5], vcc
	s_cbranch_execz .LBB461_166
; %bb.160:
	s_add_u32 s18, s26, -1
	v_lshl_add_u64 v[16:17], v[16:17], 0, 4
	v_lshl_add_u64 v[18:19], v[18:19], 0, 4
	s_addc_u32 s19, s27, -1
	s_mov_b64 s[36:37], 0
	s_mov_b64 s[40:41], 0
                                        ; implicit-def: $sgpr38_sgpr39
	s_branch .LBB461_163
.LBB461_161:                            ;   in Loop: Header=BB461_163 Depth=1
	global_load_dword v20, v[18:19], off
	global_load_dword v21, v[16:17], off
	s_add_u32 s40, s40, 1
	s_addc_u32 s41, s41, 0
	s_andn2_b64 s[38:39], s[38:39], exec
	v_lshl_add_u64 v[16:17], v[16:17], 0, 4
	v_lshl_add_u64 v[18:19], v[18:19], 0, 4
	s_waitcnt vmcnt(0)
	v_cmp_ne_u32_e32 vcc, v20, v21
	s_and_b64 s[42:43], vcc, exec
	s_or_b64 s[38:39], s[38:39], s[42:43]
.LBB461_162:                            ;   in Loop: Header=BB461_163 Depth=1
	s_and_b64 s[42:43], exec, s[38:39]
	s_or_b64 s[36:37], s[42:43], s[36:37]
	v_mov_b64_e32 v[20:21], s[40:41]
	s_andn2_b64 exec, exec, s[36:37]
	s_cbranch_execz .LBB461_165
.LBB461_163:                            ; =>This Inner Loop Header: Depth=1
	s_or_b64 s[38:39], s[38:39], exec
	s_cmp_eq_u64 s[18:19], s[40:41]
	s_cbranch_scc0 .LBB461_161
; %bb.164:                              ;   in Loop: Header=BB461_163 Depth=1
                                        ; implicit-def: $vgpr16_vgpr17
                                        ; implicit-def: $vgpr18_vgpr19
	s_mov_b64 s[40:41], s[26:27]
	s_branch .LBB461_162
.LBB461_165:
	s_or_b64 exec, exec, s[36:37]
	v_cmp_gt_i64_e32 vcc, s[26:27], v[20:21]
	s_orn2_b64 s[18:19], vcc, exec
.LBB461_166:
	s_or_b64 exec, exec, s[4:5]
.LBB461_167:
	s_and_b64 s[18:19], s[18:19], exec
.LBB461_168:
	s_or_b64 exec, exec, s[6:7]
	v_cndmask_b32_e64 v32, 0, 1, s[14:15]
	v_cndmask_b32_e64 v33, 0, 1, s[12:13]
	;; [unrolled: 1-line block ×3, first 2 shown]
	v_or_b32_e32 v20, v22, v23
.LBB461_169:
	s_mov_b64 s[10:11], -1
	s_cbranch_execnz .LBB461_28
.LBB461_170:
	s_movk_i32 s4, 0xffd0
	v_mad_i32_i24 v30, v0, s4, v30
	s_mov_b64 s[12:13], 0
	s_waitcnt lgkmcnt(0)
	v_cmp_gt_i64_e64 s[6:7], s[26:27], 0
	s_and_b64 vcc, exec, s[34:35]
	ds_write_b64 v30, v[14:15]
	s_cbranch_vccz .LBB461_178
; %bb.171:
	v_mul_lo_u32 v18, v5, s26
	v_mul_lo_u32 v19, v4, s27
	v_mad_u64_u32 v[16:17], s[4:5], v4, s26, 0
	v_add3_u32 v17, v17, v19, v18
	v_cndmask_b32_e64 v18, 0, 1, s[6:7]
	v_cmp_ne_u32_e64 s[4:5], 1, v18
	s_andn2_b64 vcc, exec, s[6:7]
	v_lshl_add_u64 v[16:17], v[16:17], 2, s[28:29]
	s_cbranch_vccnz .LBB461_181
; %bb.172:
	v_mul_lo_u32 v20, v15, s26
	v_mul_lo_u32 v21, v14, s27
	v_mad_u64_u32 v[18:19], s[12:13], v14, s26, 0
	v_add3_u32 v19, v19, v21, v20
	v_lshl_add_u64 v[18:19], v[18:19], 2, s[28:29]
	global_load_dword v20, v[16:17], off
	global_load_dword v21, v[18:19], off
	s_mov_b64 s[12:13], -1
	s_waitcnt vmcnt(0)
	v_cmp_eq_u32_e32 vcc, v20, v21
	s_and_saveexec_b64 s[14:15], vcc
	s_cbranch_execz .LBB461_180
; %bb.173:
	s_add_u32 s12, s26, -1
	v_lshl_add_u64 v[18:19], v[18:19], 0, 4
	v_lshl_add_u64 v[20:21], v[16:17], 0, 4
	s_addc_u32 s13, s27, -1
	s_mov_b64 s[18:19], 0
	s_mov_b64 s[38:39], 0
                                        ; implicit-def: $sgpr36_sgpr37
	s_branch .LBB461_176
.LBB461_174:                            ;   in Loop: Header=BB461_176 Depth=1
	global_load_dword v22, v[20:21], off
	global_load_dword v23, v[18:19], off
	s_add_u32 s38, s38, 1
	s_addc_u32 s39, s39, 0
	s_andn2_b64 s[36:37], s[36:37], exec
	v_lshl_add_u64 v[18:19], v[18:19], 0, 4
	v_lshl_add_u64 v[20:21], v[20:21], 0, 4
	s_waitcnt vmcnt(0)
	v_cmp_ne_u32_e32 vcc, v22, v23
	s_and_b64 s[40:41], vcc, exec
	s_or_b64 s[36:37], s[36:37], s[40:41]
.LBB461_175:                            ;   in Loop: Header=BB461_176 Depth=1
	s_and_b64 s[40:41], exec, s[36:37]
	s_or_b64 s[18:19], s[40:41], s[18:19]
	v_mov_b64_e32 v[22:23], s[38:39]
	s_andn2_b64 exec, exec, s[18:19]
	s_cbranch_execz .LBB461_179
.LBB461_176:                            ; =>This Inner Loop Header: Depth=1
	s_or_b64 s[36:37], s[36:37], exec
	s_cmp_eq_u64 s[12:13], s[38:39]
	s_cbranch_scc0 .LBB461_174
; %bb.177:                              ;   in Loop: Header=BB461_176 Depth=1
                                        ; implicit-def: $vgpr18_vgpr19
                                        ; implicit-def: $vgpr20_vgpr21
	s_mov_b64 s[38:39], s[26:27]
	s_branch .LBB461_175
.LBB461_178:
                                        ; implicit-def: $sgpr18_sgpr19
                                        ; implicit-def: $vgpr34
                                        ; implicit-def: $vgpr33
                                        ; implicit-def: $vgpr32
                                        ; implicit-def: $vgpr20
                                        ; implicit-def: $vgpr16_vgpr17
	s_cbranch_execnz .LBB461_238
	s_branch .LBB461_318
.LBB461_179:
	s_or_b64 exec, exec, s[18:19]
	v_cmp_gt_i64_e32 vcc, s[26:27], v[22:23]
	s_orn2_b64 s[12:13], vcc, exec
.LBB461_180:
	s_or_b64 exec, exec, s[14:15]
.LBB461_181:
	v_mul_lo_u32 v20, v3, s26
	v_mul_lo_u32 v21, v2, s27
	v_mad_u64_u32 v[18:19], s[14:15], v2, s26, 0
	v_add3_u32 v19, v19, v21, v20
	s_mov_b64 s[14:15], 0
	s_and_b64 vcc, exec, s[4:5]
	v_lshl_add_u64 v[18:19], v[18:19], 2, s[28:29]
	s_mov_b64 s[18:19], 0
	s_cbranch_vccnz .LBB461_190
; %bb.182:
	global_load_dword v20, v[18:19], off
	global_load_dword v21, v[16:17], off
	s_mov_b64 s[18:19], -1
	s_waitcnt vmcnt(0)
	v_cmp_eq_u32_e32 vcc, v20, v21
	s_and_saveexec_b64 s[36:37], vcc
	s_cbranch_execz .LBB461_189
; %bb.183:
	s_add_u32 s18, s26, -1
	v_lshl_add_u64 v[16:17], v[16:17], 0, 4
	v_lshl_add_u64 v[20:21], v[18:19], 0, 4
	s_addc_u32 s19, s27, -1
	s_mov_b64 s[38:39], 0
	s_mov_b64 s[42:43], 0
                                        ; implicit-def: $sgpr40_sgpr41
	s_branch .LBB461_186
.LBB461_184:                            ;   in Loop: Header=BB461_186 Depth=1
	global_load_dword v22, v[20:21], off
	global_load_dword v23, v[16:17], off
	s_add_u32 s42, s42, 1
	s_addc_u32 s43, s43, 0
	s_andn2_b64 s[40:41], s[40:41], exec
	v_lshl_add_u64 v[16:17], v[16:17], 0, 4
	v_lshl_add_u64 v[20:21], v[20:21], 0, 4
	s_waitcnt vmcnt(0)
	v_cmp_ne_u32_e32 vcc, v22, v23
	s_and_b64 s[44:45], vcc, exec
	s_or_b64 s[40:41], s[40:41], s[44:45]
.LBB461_185:                            ;   in Loop: Header=BB461_186 Depth=1
	s_and_b64 s[44:45], exec, s[40:41]
	s_or_b64 s[38:39], s[44:45], s[38:39]
	v_mov_b64_e32 v[22:23], s[42:43]
	s_andn2_b64 exec, exec, s[38:39]
	s_cbranch_execz .LBB461_188
.LBB461_186:                            ; =>This Inner Loop Header: Depth=1
	s_or_b64 s[40:41], s[40:41], exec
	s_cmp_eq_u64 s[18:19], s[42:43]
	s_cbranch_scc0 .LBB461_184
; %bb.187:                              ;   in Loop: Header=BB461_186 Depth=1
                                        ; implicit-def: $vgpr16_vgpr17
                                        ; implicit-def: $vgpr20_vgpr21
	s_mov_b64 s[42:43], s[26:27]
	s_branch .LBB461_185
.LBB461_188:
	s_or_b64 exec, exec, s[38:39]
	v_cmp_gt_i64_e32 vcc, s[26:27], v[22:23]
	s_orn2_b64 s[18:19], vcc, exec
.LBB461_189:
	s_or_b64 exec, exec, s[36:37]
.LBB461_190:
	v_mul_lo_u32 v20, v9, s26
	v_mul_lo_u32 v21, v8, s27
	v_mad_u64_u32 v[16:17], s[36:37], v8, s26, 0
	v_add3_u32 v17, v17, v21, v20
	s_and_b64 vcc, exec, s[4:5]
	v_lshl_add_u64 v[16:17], v[16:17], 2, s[28:29]
	s_cbranch_vccnz .LBB461_199
; %bb.191:
	global_load_dword v20, v[16:17], off
	global_load_dword v21, v[18:19], off
	s_mov_b64 s[14:15], -1
	s_waitcnt vmcnt(0)
	v_cmp_eq_u32_e32 vcc, v20, v21
	s_and_saveexec_b64 s[36:37], vcc
	s_cbranch_execz .LBB461_198
; %bb.192:
	s_add_u32 s14, s26, -1
	v_lshl_add_u64 v[18:19], v[18:19], 0, 4
	v_lshl_add_u64 v[20:21], v[16:17], 0, 4
	s_addc_u32 s15, s27, -1
	s_mov_b64 s[38:39], 0
	s_mov_b64 s[42:43], 0
                                        ; implicit-def: $sgpr40_sgpr41
	s_branch .LBB461_195
.LBB461_193:                            ;   in Loop: Header=BB461_195 Depth=1
	global_load_dword v22, v[20:21], off
	global_load_dword v23, v[18:19], off
	s_add_u32 s42, s42, 1
	s_addc_u32 s43, s43, 0
	s_andn2_b64 s[40:41], s[40:41], exec
	v_lshl_add_u64 v[18:19], v[18:19], 0, 4
	v_lshl_add_u64 v[20:21], v[20:21], 0, 4
	s_waitcnt vmcnt(0)
	v_cmp_ne_u32_e32 vcc, v22, v23
	s_and_b64 s[44:45], vcc, exec
	s_or_b64 s[40:41], s[40:41], s[44:45]
.LBB461_194:                            ;   in Loop: Header=BB461_195 Depth=1
	s_and_b64 s[44:45], exec, s[40:41]
	s_or_b64 s[38:39], s[44:45], s[38:39]
	v_mov_b64_e32 v[22:23], s[42:43]
	s_andn2_b64 exec, exec, s[38:39]
	s_cbranch_execz .LBB461_197
.LBB461_195:                            ; =>This Inner Loop Header: Depth=1
	s_or_b64 s[40:41], s[40:41], exec
	s_cmp_eq_u64 s[14:15], s[42:43]
	s_cbranch_scc0 .LBB461_193
; %bb.196:                              ;   in Loop: Header=BB461_195 Depth=1
                                        ; implicit-def: $vgpr18_vgpr19
                                        ; implicit-def: $vgpr20_vgpr21
	s_mov_b64 s[42:43], s[26:27]
	s_branch .LBB461_194
.LBB461_197:
	s_or_b64 exec, exec, s[38:39]
	v_cmp_gt_i64_e32 vcc, s[26:27], v[22:23]
	s_orn2_b64 s[14:15], vcc, exec
.LBB461_198:
	s_or_b64 exec, exec, s[36:37]
.LBB461_199:
	v_mul_lo_u32 v20, v7, s26
	v_mul_lo_u32 v21, v6, s27
	v_mad_u64_u32 v[18:19], s[36:37], v6, s26, 0
	v_add3_u32 v19, v19, v21, v20
	s_mov_b64 s[36:37], 0
	s_and_b64 vcc, exec, s[4:5]
	v_lshl_add_u64 v[18:19], v[18:19], 2, s[28:29]
	s_mov_b64 s[38:39], 0
	s_cbranch_vccnz .LBB461_208
; %bb.200:
	global_load_dword v20, v[18:19], off
	global_load_dword v21, v[16:17], off
	s_mov_b64 s[38:39], -1
	s_waitcnt vmcnt(0)
	v_cmp_eq_u32_e32 vcc, v20, v21
	s_and_saveexec_b64 s[40:41], vcc
	s_cbranch_execz .LBB461_207
; %bb.201:
	s_add_u32 s38, s26, -1
	v_lshl_add_u64 v[16:17], v[16:17], 0, 4
	v_lshl_add_u64 v[20:21], v[18:19], 0, 4
	s_addc_u32 s39, s27, -1
	s_mov_b64 s[42:43], 0
	s_mov_b64 s[46:47], 0
                                        ; implicit-def: $sgpr44_sgpr45
	s_branch .LBB461_204
.LBB461_202:                            ;   in Loop: Header=BB461_204 Depth=1
	global_load_dword v22, v[20:21], off
	global_load_dword v23, v[16:17], off
	s_add_u32 s46, s46, 1
	s_addc_u32 s47, s47, 0
	s_andn2_b64 s[44:45], s[44:45], exec
	v_lshl_add_u64 v[16:17], v[16:17], 0, 4
	v_lshl_add_u64 v[20:21], v[20:21], 0, 4
	s_waitcnt vmcnt(0)
	v_cmp_ne_u32_e32 vcc, v22, v23
	s_and_b64 s[48:49], vcc, exec
	s_or_b64 s[44:45], s[44:45], s[48:49]
.LBB461_203:                            ;   in Loop: Header=BB461_204 Depth=1
	s_and_b64 s[48:49], exec, s[44:45]
	s_or_b64 s[42:43], s[48:49], s[42:43]
	v_mov_b64_e32 v[22:23], s[46:47]
	s_andn2_b64 exec, exec, s[42:43]
	s_cbranch_execz .LBB461_206
.LBB461_204:                            ; =>This Inner Loop Header: Depth=1
	s_or_b64 s[44:45], s[44:45], exec
	s_cmp_eq_u64 s[38:39], s[46:47]
	s_cbranch_scc0 .LBB461_202
; %bb.205:                              ;   in Loop: Header=BB461_204 Depth=1
                                        ; implicit-def: $vgpr16_vgpr17
                                        ; implicit-def: $vgpr20_vgpr21
	s_mov_b64 s[46:47], s[26:27]
	s_branch .LBB461_203
.LBB461_206:
	s_or_b64 exec, exec, s[42:43]
	v_cmp_gt_i64_e32 vcc, s[26:27], v[22:23]
	s_orn2_b64 s[38:39], vcc, exec
.LBB461_207:
	s_or_b64 exec, exec, s[40:41]
.LBB461_208:
	v_mul_lo_u32 v20, v13, s26
	v_mul_lo_u32 v21, v12, s27
	v_mad_u64_u32 v[16:17], s[40:41], v12, s26, 0
	v_add3_u32 v17, v17, v21, v20
	s_and_b64 vcc, exec, s[4:5]
	v_lshl_add_u64 v[16:17], v[16:17], 2, s[28:29]
	s_cbranch_vccnz .LBB461_217
; %bb.209:
	global_load_dword v20, v[16:17], off
	global_load_dword v21, v[18:19], off
	s_mov_b64 s[36:37], -1
	s_waitcnt vmcnt(0)
	v_cmp_eq_u32_e32 vcc, v20, v21
	s_and_saveexec_b64 s[40:41], vcc
	s_cbranch_execz .LBB461_216
; %bb.210:
	s_add_u32 s36, s26, -1
	v_lshl_add_u64 v[18:19], v[18:19], 0, 4
	v_lshl_add_u64 v[20:21], v[16:17], 0, 4
	s_addc_u32 s37, s27, -1
	s_mov_b64 s[42:43], 0
	s_mov_b64 s[46:47], 0
                                        ; implicit-def: $sgpr44_sgpr45
	s_branch .LBB461_213
.LBB461_211:                            ;   in Loop: Header=BB461_213 Depth=1
	global_load_dword v22, v[20:21], off
	global_load_dword v23, v[18:19], off
	s_add_u32 s46, s46, 1
	s_addc_u32 s47, s47, 0
	s_andn2_b64 s[44:45], s[44:45], exec
	v_lshl_add_u64 v[18:19], v[18:19], 0, 4
	v_lshl_add_u64 v[20:21], v[20:21], 0, 4
	s_waitcnt vmcnt(0)
	v_cmp_ne_u32_e32 vcc, v22, v23
	s_and_b64 s[48:49], vcc, exec
	s_or_b64 s[44:45], s[44:45], s[48:49]
.LBB461_212:                            ;   in Loop: Header=BB461_213 Depth=1
	s_and_b64 s[48:49], exec, s[44:45]
	s_or_b64 s[42:43], s[48:49], s[42:43]
	v_mov_b64_e32 v[22:23], s[46:47]
	s_andn2_b64 exec, exec, s[42:43]
	s_cbranch_execz .LBB461_215
.LBB461_213:                            ; =>This Inner Loop Header: Depth=1
	s_or_b64 s[44:45], s[44:45], exec
	s_cmp_eq_u64 s[36:37], s[46:47]
	s_cbranch_scc0 .LBB461_211
; %bb.214:                              ;   in Loop: Header=BB461_213 Depth=1
                                        ; implicit-def: $vgpr18_vgpr19
                                        ; implicit-def: $vgpr20_vgpr21
	s_mov_b64 s[46:47], s[26:27]
	s_branch .LBB461_212
.LBB461_215:
	s_or_b64 exec, exec, s[42:43]
	v_cmp_gt_i64_e32 vcc, s[26:27], v[22:23]
	s_orn2_b64 s[36:37], vcc, exec
.LBB461_216:
	s_or_b64 exec, exec, s[40:41]
.LBB461_217:
	v_mul_lo_u32 v20, v11, s26
	v_mul_lo_u32 v21, v10, s27
	v_mad_u64_u32 v[18:19], s[40:41], v10, s26, 0
	v_add3_u32 v19, v19, v21, v20
	s_and_b64 vcc, exec, s[4:5]
	s_mov_b64 s[42:43], 0
	s_cbranch_vccnz .LBB461_226
; %bb.218:
	v_lshl_add_u64 v[20:21], v[18:19], 2, s[28:29]
	global_load_dword v22, v[20:21], off
	global_load_dword v23, v[16:17], off
	s_mov_b64 s[42:43], -1
	s_waitcnt vmcnt(0)
	v_cmp_eq_u32_e32 vcc, v22, v23
	s_and_saveexec_b64 s[40:41], vcc
	s_cbranch_execz .LBB461_225
; %bb.219:
	s_add_u32 s42, s26, -1
	v_lshl_add_u64 v[16:17], v[16:17], 0, 4
	v_lshl_add_u64 v[20:21], v[20:21], 0, 4
	s_addc_u32 s43, s27, -1
	s_mov_b64 s[44:45], 0
	s_mov_b64 s[48:49], 0
                                        ; implicit-def: $sgpr46_sgpr47
	s_branch .LBB461_222
.LBB461_220:                            ;   in Loop: Header=BB461_222 Depth=1
	global_load_dword v22, v[20:21], off
	global_load_dword v23, v[16:17], off
	s_add_u32 s48, s48, 1
	s_addc_u32 s49, s49, 0
	s_andn2_b64 s[46:47], s[46:47], exec
	v_lshl_add_u64 v[16:17], v[16:17], 0, 4
	v_lshl_add_u64 v[20:21], v[20:21], 0, 4
	s_waitcnt vmcnt(0)
	v_cmp_ne_u32_e32 vcc, v22, v23
	s_and_b64 s[50:51], vcc, exec
	s_or_b64 s[46:47], s[46:47], s[50:51]
.LBB461_221:                            ;   in Loop: Header=BB461_222 Depth=1
	s_and_b64 s[50:51], exec, s[46:47]
	s_or_b64 s[44:45], s[50:51], s[44:45]
	v_mov_b64_e32 v[22:23], s[48:49]
	s_andn2_b64 exec, exec, s[44:45]
	s_cbranch_execz .LBB461_224
.LBB461_222:                            ; =>This Inner Loop Header: Depth=1
	s_or_b64 s[46:47], s[46:47], exec
	s_cmp_eq_u64 s[42:43], s[48:49]
	s_cbranch_scc0 .LBB461_220
; %bb.223:                              ;   in Loop: Header=BB461_222 Depth=1
                                        ; implicit-def: $vgpr16_vgpr17
                                        ; implicit-def: $vgpr20_vgpr21
	s_mov_b64 s[48:49], s[26:27]
	s_branch .LBB461_221
.LBB461_224:
	s_or_b64 exec, exec, s[44:45]
	v_cmp_gt_i64_e32 vcc, s[26:27], v[22:23]
	s_orn2_b64 s[42:43], vcc, exec
.LBB461_225:
	s_or_b64 exec, exec, s[40:41]
.LBB461_226:
	v_cndmask_b32_e64 v17, 0, 1, s[38:39]
	v_cndmask_b32_e64 v16, 0, 1, s[36:37]
	;; [unrolled: 1-line block ×3, first 2 shown]
	v_lshlrev_b16_e32 v17, 8, v17
	v_cndmask_b32_e64 v32, 0, 1, s[14:15]
	v_cndmask_b32_e64 v20, 0, 1, s[42:43]
	v_or_b32_sdwa v16, v16, v17 dst_sel:WORD_1 dst_unused:UNUSED_PAD src0_sel:DWORD src1_sel:DWORD
	v_lshlrev_b16_e32 v17, 8, v33
	v_lshlrev_b16_e32 v20, 8, v20
	v_or_b32_e32 v17, v32, v17
	v_or_b32_e32 v20, 1, v20
	v_and_b32_e32 v17, 0xffff, v17
	v_cndmask_b32_e64 v34, 0, 1, s[12:13]
	v_or_b32_sdwa v16, v20, v16 dst_sel:DWORD dst_unused:UNUSED_PAD src0_sel:WORD_0 src1_sel:DWORD
	v_lshl_or_b32 v17, v34, 16, v17
	v_cmp_ne_u32_e32 vcc, 0, v0
	s_waitcnt lgkmcnt(0)
	s_barrier
	s_waitcnt lgkmcnt(0)
                                        ; implicit-def: $sgpr18_sgpr19
                                        ; implicit-def: $vgpr20
	s_and_saveexec_b64 s[12:13], vcc
	s_xor_b64 s[12:13], exec, s[12:13]
	s_cbranch_execz .LBB461_237
; %bb.227:
	s_mov_b32 s33, 0x3020104
	s_and_b64 vcc, exec, s[4:5]
	s_mov_b64 s[14:15], 0
	s_cbranch_vccnz .LBB461_236
; %bb.228:
	v_add_u32_e32 v17, -8, v30
	ds_read_b64 v[20:21], v17
	v_lshl_add_u64 v[18:19], v[18:19], 2, s[28:29]
	s_mov_b64 s[14:15], -1
	s_waitcnt lgkmcnt(0)
	v_mul_lo_u32 v17, v21, s26
	v_mul_lo_u32 v22, v20, s27
	v_mad_u64_u32 v[20:21], s[4:5], v20, s26, 0
	v_add3_u32 v21, v21, v22, v17
	v_lshl_add_u64 v[20:21], v[20:21], 2, s[28:29]
	global_load_dword v17, v[20:21], off
	global_load_dword v22, v[18:19], off
	s_waitcnt vmcnt(0)
	v_cmp_eq_u32_e32 vcc, v17, v22
	s_and_saveexec_b64 s[4:5], vcc
	s_cbranch_execz .LBB461_235
; %bb.229:
	s_add_u32 s14, s26, -1
	v_lshl_add_u64 v[18:19], v[18:19], 0, 4
	v_lshl_add_u64 v[20:21], v[20:21], 0, 4
	s_addc_u32 s15, s27, -1
	s_mov_b64 s[18:19], 0
	s_mov_b64 s[38:39], 0
                                        ; implicit-def: $sgpr36_sgpr37
	s_branch .LBB461_232
.LBB461_230:                            ;   in Loop: Header=BB461_232 Depth=1
	global_load_dword v17, v[20:21], off
	global_load_dword v22, v[18:19], off
	s_add_u32 s38, s38, 1
	s_addc_u32 s39, s39, 0
	s_andn2_b64 s[36:37], s[36:37], exec
	v_lshl_add_u64 v[18:19], v[18:19], 0, 4
	v_lshl_add_u64 v[20:21], v[20:21], 0, 4
	s_waitcnt vmcnt(0)
	v_cmp_ne_u32_e32 vcc, v17, v22
	s_and_b64 s[40:41], vcc, exec
	s_or_b64 s[36:37], s[36:37], s[40:41]
.LBB461_231:                            ;   in Loop: Header=BB461_232 Depth=1
	s_and_b64 s[40:41], exec, s[36:37]
	s_or_b64 s[18:19], s[40:41], s[18:19]
	v_mov_b64_e32 v[22:23], s[38:39]
	s_andn2_b64 exec, exec, s[18:19]
	s_cbranch_execz .LBB461_234
.LBB461_232:                            ; =>This Inner Loop Header: Depth=1
	s_or_b64 s[36:37], s[36:37], exec
	s_cmp_eq_u64 s[14:15], s[38:39]
	s_cbranch_scc0 .LBB461_230
; %bb.233:                              ;   in Loop: Header=BB461_232 Depth=1
                                        ; implicit-def: $vgpr18_vgpr19
                                        ; implicit-def: $vgpr20_vgpr21
	s_mov_b64 s[38:39], s[26:27]
	s_branch .LBB461_231
.LBB461_234:
	s_or_b64 exec, exec, s[18:19]
	v_cmp_gt_i64_e32 vcc, s[26:27], v[22:23]
	s_orn2_b64 s[14:15], vcc, exec
.LBB461_235:
	s_or_b64 exec, exec, s[4:5]
.LBB461_236:
	v_perm_b32 v20, v16, v16, s33
	s_and_b64 s[18:19], s[14:15], exec
	s_or_b64 s[10:11], s[10:11], exec
                                        ; implicit-def: $vgpr16_vgpr17
.LBB461_237:
	s_or_b64 exec, exec, s[12:13]
	s_branch .LBB461_318
.LBB461_238:
	v_cmp_gt_u32_e32 vcc, s3, v27
	s_mov_b64 s[12:13], 0
	s_mov_b64 s[4:5], 0
	s_and_saveexec_b64 s[14:15], vcc
	s_cbranch_execz .LBB461_249
; %bb.239:
	s_andn2_b64 vcc, exec, s[6:7]
	s_mov_b64 s[18:19], 0
	s_cbranch_vccnz .LBB461_248
; %bb.240:
	v_mul_lo_u32 v18, v5, s26
	v_mul_lo_u32 v19, v4, s27
	v_mad_u64_u32 v[16:17], s[4:5], v4, s26, 0
	v_add3_u32 v17, v17, v19, v18
	v_mul_lo_u32 v18, v15, s26
	v_mul_lo_u32 v19, v14, s27
	v_mad_u64_u32 v[20:21], s[4:5], v14, s26, 0
	v_add3_u32 v21, v21, v19, v18
	v_lshl_add_u64 v[18:19], v[16:17], 2, s[28:29]
	v_lshl_add_u64 v[16:17], v[20:21], 2, s[28:29]
	global_load_dword v20, v[18:19], off
	global_load_dword v21, v[16:17], off
	s_mov_b64 s[18:19], -1
	s_waitcnt vmcnt(0)
	v_cmp_eq_u32_e32 vcc, v20, v21
	s_and_saveexec_b64 s[4:5], vcc
	s_cbranch_execz .LBB461_247
; %bb.241:
	s_add_u32 s18, s26, -1
	v_lshl_add_u64 v[16:17], v[16:17], 0, 4
	v_lshl_add_u64 v[18:19], v[18:19], 0, 4
	s_addc_u32 s19, s27, -1
	s_mov_b64 s[36:37], 0
	s_mov_b64 s[40:41], 0
                                        ; implicit-def: $sgpr38_sgpr39
	s_branch .LBB461_244
.LBB461_242:                            ;   in Loop: Header=BB461_244 Depth=1
	global_load_dword v20, v[18:19], off
	global_load_dword v21, v[16:17], off
	s_add_u32 s40, s40, 1
	s_addc_u32 s41, s41, 0
	s_andn2_b64 s[38:39], s[38:39], exec
	v_lshl_add_u64 v[16:17], v[16:17], 0, 4
	v_lshl_add_u64 v[18:19], v[18:19], 0, 4
	s_waitcnt vmcnt(0)
	v_cmp_ne_u32_e32 vcc, v20, v21
	s_and_b64 s[42:43], vcc, exec
	s_or_b64 s[38:39], s[38:39], s[42:43]
.LBB461_243:                            ;   in Loop: Header=BB461_244 Depth=1
	s_and_b64 s[42:43], exec, s[38:39]
	s_or_b64 s[36:37], s[42:43], s[36:37]
	v_mov_b64_e32 v[20:21], s[40:41]
	s_andn2_b64 exec, exec, s[36:37]
	s_cbranch_execz .LBB461_246
.LBB461_244:                            ; =>This Inner Loop Header: Depth=1
	s_or_b64 s[38:39], s[38:39], exec
	s_cmp_eq_u64 s[18:19], s[40:41]
	s_cbranch_scc0 .LBB461_242
; %bb.245:                              ;   in Loop: Header=BB461_244 Depth=1
                                        ; implicit-def: $vgpr16_vgpr17
                                        ; implicit-def: $vgpr18_vgpr19
	s_mov_b64 s[40:41], s[26:27]
	s_branch .LBB461_243
.LBB461_246:
	s_or_b64 exec, exec, s[36:37]
	v_cmp_gt_i64_e32 vcc, s[26:27], v[20:21]
	s_orn2_b64 s[18:19], vcc, exec
.LBB461_247:
	s_or_b64 exec, exec, s[4:5]
.LBB461_248:
	s_and_b64 s[4:5], s[18:19], exec
.LBB461_249:
	s_or_b64 exec, exec, s[14:15]
	v_cmp_gt_u32_e32 vcc, s3, v29
	s_and_saveexec_b64 s[14:15], vcc
	s_cbranch_execz .LBB461_260
; %bb.250:
	s_andn2_b64 vcc, exec, s[6:7]
	s_mov_b64 s[18:19], 0
	s_cbranch_vccnz .LBB461_259
; %bb.251:
	v_mul_lo_u32 v18, v3, s26
	v_mul_lo_u32 v19, v2, s27
	v_mad_u64_u32 v[16:17], s[12:13], v2, s26, 0
	v_add3_u32 v17, v17, v19, v18
	v_mul_lo_u32 v18, v5, s26
	v_mul_lo_u32 v19, v4, s27
	v_mad_u64_u32 v[20:21], s[12:13], v4, s26, 0
	v_add3_u32 v21, v21, v19, v18
	v_lshl_add_u64 v[18:19], v[16:17], 2, s[28:29]
	v_lshl_add_u64 v[16:17], v[20:21], 2, s[28:29]
	global_load_dword v20, v[18:19], off
	global_load_dword v21, v[16:17], off
	s_mov_b64 s[18:19], -1
	s_waitcnt vmcnt(0)
	v_cmp_eq_u32_e32 vcc, v20, v21
	s_and_saveexec_b64 s[12:13], vcc
	s_cbranch_execz .LBB461_258
; %bb.252:
	s_add_u32 s18, s26, -1
	v_lshl_add_u64 v[16:17], v[16:17], 0, 4
	v_lshl_add_u64 v[18:19], v[18:19], 0, 4
	s_addc_u32 s19, s27, -1
	s_mov_b64 s[36:37], 0
	s_mov_b64 s[40:41], 0
                                        ; implicit-def: $sgpr38_sgpr39
	s_branch .LBB461_255
.LBB461_253:                            ;   in Loop: Header=BB461_255 Depth=1
	global_load_dword v20, v[18:19], off
	global_load_dword v21, v[16:17], off
	s_add_u32 s40, s40, 1
	s_addc_u32 s41, s41, 0
	s_andn2_b64 s[38:39], s[38:39], exec
	v_lshl_add_u64 v[16:17], v[16:17], 0, 4
	v_lshl_add_u64 v[18:19], v[18:19], 0, 4
	s_waitcnt vmcnt(0)
	v_cmp_ne_u32_e32 vcc, v20, v21
	s_and_b64 s[42:43], vcc, exec
	s_or_b64 s[38:39], s[38:39], s[42:43]
.LBB461_254:                            ;   in Loop: Header=BB461_255 Depth=1
	s_and_b64 s[42:43], exec, s[38:39]
	s_or_b64 s[36:37], s[42:43], s[36:37]
	v_mov_b64_e32 v[20:21], s[40:41]
	s_andn2_b64 exec, exec, s[36:37]
	s_cbranch_execz .LBB461_257
.LBB461_255:                            ; =>This Inner Loop Header: Depth=1
	s_or_b64 s[38:39], s[38:39], exec
	s_cmp_eq_u64 s[18:19], s[40:41]
	s_cbranch_scc0 .LBB461_253
; %bb.256:                              ;   in Loop: Header=BB461_255 Depth=1
                                        ; implicit-def: $vgpr16_vgpr17
                                        ; implicit-def: $vgpr18_vgpr19
	s_mov_b64 s[40:41], s[26:27]
	s_branch .LBB461_254
.LBB461_257:
	s_or_b64 exec, exec, s[36:37]
	v_cmp_gt_i64_e32 vcc, s[26:27], v[20:21]
	s_orn2_b64 s[18:19], vcc, exec
.LBB461_258:
	s_or_b64 exec, exec, s[12:13]
.LBB461_259:
	s_and_b64 s[12:13], s[18:19], exec
.LBB461_260:
	s_or_b64 exec, exec, s[14:15]
	v_cmp_gt_u32_e32 vcc, s3, v26
	s_mov_b64 s[18:19], 0
	s_mov_b64 s[14:15], 0
	s_and_saveexec_b64 s[36:37], vcc
	s_cbranch_execz .LBB461_271
; %bb.261:
	s_andn2_b64 vcc, exec, s[6:7]
	s_mov_b64 s[38:39], 0
	s_cbranch_vccnz .LBB461_270
; %bb.262:
	v_mul_lo_u32 v18, v9, s26
	v_mul_lo_u32 v19, v8, s27
	v_mad_u64_u32 v[16:17], s[14:15], v8, s26, 0
	v_add3_u32 v17, v17, v19, v18
	v_mul_lo_u32 v18, v3, s26
	v_mul_lo_u32 v19, v2, s27
	v_mad_u64_u32 v[20:21], s[14:15], v2, s26, 0
	v_add3_u32 v21, v21, v19, v18
	v_lshl_add_u64 v[18:19], v[16:17], 2, s[28:29]
	v_lshl_add_u64 v[16:17], v[20:21], 2, s[28:29]
	global_load_dword v20, v[18:19], off
	global_load_dword v21, v[16:17], off
	s_mov_b64 s[38:39], -1
	s_waitcnt vmcnt(0)
	v_cmp_eq_u32_e32 vcc, v20, v21
	s_and_saveexec_b64 s[14:15], vcc
	s_cbranch_execz .LBB461_269
; %bb.263:
	s_add_u32 s38, s26, -1
	v_lshl_add_u64 v[16:17], v[16:17], 0, 4
	v_lshl_add_u64 v[18:19], v[18:19], 0, 4
	s_addc_u32 s39, s27, -1
	s_mov_b64 s[40:41], 0
	s_mov_b64 s[44:45], 0
                                        ; implicit-def: $sgpr42_sgpr43
	s_branch .LBB461_266
.LBB461_264:                            ;   in Loop: Header=BB461_266 Depth=1
	global_load_dword v20, v[18:19], off
	global_load_dword v21, v[16:17], off
	s_add_u32 s44, s44, 1
	s_addc_u32 s45, s45, 0
	s_andn2_b64 s[42:43], s[42:43], exec
	v_lshl_add_u64 v[16:17], v[16:17], 0, 4
	v_lshl_add_u64 v[18:19], v[18:19], 0, 4
	s_waitcnt vmcnt(0)
	v_cmp_ne_u32_e32 vcc, v20, v21
	s_and_b64 s[46:47], vcc, exec
	s_or_b64 s[42:43], s[42:43], s[46:47]
.LBB461_265:                            ;   in Loop: Header=BB461_266 Depth=1
	s_and_b64 s[46:47], exec, s[42:43]
	s_or_b64 s[40:41], s[46:47], s[40:41]
	v_mov_b64_e32 v[20:21], s[44:45]
	s_andn2_b64 exec, exec, s[40:41]
	s_cbranch_execz .LBB461_268
.LBB461_266:                            ; =>This Inner Loop Header: Depth=1
	s_or_b64 s[42:43], s[42:43], exec
	s_cmp_eq_u64 s[38:39], s[44:45]
	s_cbranch_scc0 .LBB461_264
; %bb.267:                              ;   in Loop: Header=BB461_266 Depth=1
                                        ; implicit-def: $vgpr16_vgpr17
                                        ; implicit-def: $vgpr18_vgpr19
	s_mov_b64 s[44:45], s[26:27]
	s_branch .LBB461_265
.LBB461_268:
	s_or_b64 exec, exec, s[40:41]
	v_cmp_gt_i64_e32 vcc, s[26:27], v[20:21]
	s_orn2_b64 s[38:39], vcc, exec
.LBB461_269:
	s_or_b64 exec, exec, s[14:15]
.LBB461_270:
	s_and_b64 s[14:15], s[38:39], exec
.LBB461_271:
	s_or_b64 exec, exec, s[36:37]
	v_cmp_gt_u32_e32 vcc, s3, v28
	s_and_saveexec_b64 s[36:37], vcc
	s_cbranch_execz .LBB461_282
; %bb.272:
	s_andn2_b64 vcc, exec, s[6:7]
	s_mov_b64 s[38:39], 0
	s_cbranch_vccnz .LBB461_281
; %bb.273:
	v_mul_lo_u32 v18, v7, s26
	v_mul_lo_u32 v19, v6, s27
	v_mad_u64_u32 v[16:17], s[18:19], v6, s26, 0
	v_add3_u32 v17, v17, v19, v18
	v_mul_lo_u32 v18, v9, s26
	v_mul_lo_u32 v19, v8, s27
	v_mad_u64_u32 v[20:21], s[18:19], v8, s26, 0
	v_add3_u32 v21, v21, v19, v18
	v_lshl_add_u64 v[18:19], v[16:17], 2, s[28:29]
	v_lshl_add_u64 v[16:17], v[20:21], 2, s[28:29]
	global_load_dword v20, v[18:19], off
	global_load_dword v21, v[16:17], off
	s_mov_b64 s[38:39], -1
	s_waitcnt vmcnt(0)
	v_cmp_eq_u32_e32 vcc, v20, v21
	s_and_saveexec_b64 s[18:19], vcc
	s_cbranch_execz .LBB461_280
; %bb.274:
	s_add_u32 s38, s26, -1
	v_lshl_add_u64 v[16:17], v[16:17], 0, 4
	v_lshl_add_u64 v[18:19], v[18:19], 0, 4
	s_addc_u32 s39, s27, -1
	s_mov_b64 s[40:41], 0
	s_mov_b64 s[44:45], 0
                                        ; implicit-def: $sgpr42_sgpr43
	s_branch .LBB461_277
.LBB461_275:                            ;   in Loop: Header=BB461_277 Depth=1
	global_load_dword v20, v[18:19], off
	global_load_dword v21, v[16:17], off
	s_add_u32 s44, s44, 1
	s_addc_u32 s45, s45, 0
	s_andn2_b64 s[42:43], s[42:43], exec
	v_lshl_add_u64 v[16:17], v[16:17], 0, 4
	v_lshl_add_u64 v[18:19], v[18:19], 0, 4
	s_waitcnt vmcnt(0)
	v_cmp_ne_u32_e32 vcc, v20, v21
	s_and_b64 s[46:47], vcc, exec
	s_or_b64 s[42:43], s[42:43], s[46:47]
.LBB461_276:                            ;   in Loop: Header=BB461_277 Depth=1
	s_and_b64 s[46:47], exec, s[42:43]
	s_or_b64 s[40:41], s[46:47], s[40:41]
	v_mov_b64_e32 v[20:21], s[44:45]
	s_andn2_b64 exec, exec, s[40:41]
	s_cbranch_execz .LBB461_279
.LBB461_277:                            ; =>This Inner Loop Header: Depth=1
	s_or_b64 s[42:43], s[42:43], exec
	s_cmp_eq_u64 s[38:39], s[44:45]
	s_cbranch_scc0 .LBB461_275
; %bb.278:                              ;   in Loop: Header=BB461_277 Depth=1
                                        ; implicit-def: $vgpr16_vgpr17
                                        ; implicit-def: $vgpr18_vgpr19
	s_mov_b64 s[44:45], s[26:27]
	s_branch .LBB461_276
.LBB461_279:
	s_or_b64 exec, exec, s[40:41]
	v_cmp_gt_i64_e32 vcc, s[26:27], v[20:21]
	s_orn2_b64 s[38:39], vcc, exec
.LBB461_280:
	s_or_b64 exec, exec, s[18:19]
.LBB461_281:
	s_and_b64 s[18:19], s[38:39], exec
.LBB461_282:
	s_or_b64 exec, exec, s[36:37]
	v_cmp_gt_u32_e32 vcc, s3, v24
	s_mov_b64 s[36:37], 0
	s_mov_b64 s[38:39], 0
	s_and_saveexec_b64 s[40:41], vcc
	s_cbranch_execz .LBB461_293
; %bb.283:
	s_andn2_b64 vcc, exec, s[6:7]
	s_mov_b64 s[42:43], 0
	s_cbranch_vccnz .LBB461_292
; %bb.284:
	v_mul_lo_u32 v18, v13, s26
	v_mul_lo_u32 v19, v12, s27
	v_mad_u64_u32 v[16:17], s[38:39], v12, s26, 0
	v_add3_u32 v17, v17, v19, v18
	v_mul_lo_u32 v18, v7, s26
	v_mul_lo_u32 v19, v6, s27
	v_mad_u64_u32 v[20:21], s[38:39], v6, s26, 0
	v_add3_u32 v21, v21, v19, v18
	v_lshl_add_u64 v[18:19], v[16:17], 2, s[28:29]
	v_lshl_add_u64 v[16:17], v[20:21], 2, s[28:29]
	global_load_dword v20, v[18:19], off
	global_load_dword v21, v[16:17], off
	s_mov_b64 s[42:43], -1
	s_waitcnt vmcnt(0)
	v_cmp_eq_u32_e32 vcc, v20, v21
	s_and_saveexec_b64 s[38:39], vcc
	s_cbranch_execz .LBB461_291
; %bb.285:
	s_add_u32 s42, s26, -1
	v_lshl_add_u64 v[16:17], v[16:17], 0, 4
	v_lshl_add_u64 v[18:19], v[18:19], 0, 4
	s_addc_u32 s43, s27, -1
	s_mov_b64 s[44:45], 0
	s_mov_b64 s[48:49], 0
                                        ; implicit-def: $sgpr46_sgpr47
	s_branch .LBB461_288
.LBB461_286:                            ;   in Loop: Header=BB461_288 Depth=1
	global_load_dword v20, v[18:19], off
	global_load_dword v21, v[16:17], off
	s_add_u32 s48, s48, 1
	s_addc_u32 s49, s49, 0
	s_andn2_b64 s[46:47], s[46:47], exec
	v_lshl_add_u64 v[16:17], v[16:17], 0, 4
	v_lshl_add_u64 v[18:19], v[18:19], 0, 4
	s_waitcnt vmcnt(0)
	v_cmp_ne_u32_e32 vcc, v20, v21
	s_and_b64 s[50:51], vcc, exec
	s_or_b64 s[46:47], s[46:47], s[50:51]
.LBB461_287:                            ;   in Loop: Header=BB461_288 Depth=1
	s_and_b64 s[50:51], exec, s[46:47]
	s_or_b64 s[44:45], s[50:51], s[44:45]
	v_mov_b64_e32 v[20:21], s[48:49]
	s_andn2_b64 exec, exec, s[44:45]
	s_cbranch_execz .LBB461_290
.LBB461_288:                            ; =>This Inner Loop Header: Depth=1
	s_or_b64 s[46:47], s[46:47], exec
	s_cmp_eq_u64 s[42:43], s[48:49]
	s_cbranch_scc0 .LBB461_286
; %bb.289:                              ;   in Loop: Header=BB461_288 Depth=1
                                        ; implicit-def: $vgpr16_vgpr17
                                        ; implicit-def: $vgpr18_vgpr19
	s_mov_b64 s[48:49], s[26:27]
	s_branch .LBB461_287
.LBB461_290:
	s_or_b64 exec, exec, s[44:45]
	v_cmp_gt_i64_e32 vcc, s[26:27], v[20:21]
	s_orn2_b64 s[42:43], vcc, exec
.LBB461_291:
	s_or_b64 exec, exec, s[38:39]
.LBB461_292:
	s_and_b64 s[38:39], s[42:43], exec
.LBB461_293:
	s_or_b64 exec, exec, s[40:41]
	v_cmp_gt_u32_e32 vcc, s3, v25
	s_and_saveexec_b64 s[40:41], vcc
	s_cbranch_execz .LBB461_304
; %bb.294:
	s_andn2_b64 vcc, exec, s[6:7]
	s_mov_b64 s[42:43], 0
	s_cbranch_vccnz .LBB461_303
; %bb.295:
	v_mul_lo_u32 v18, v11, s26
	v_mul_lo_u32 v19, v10, s27
	v_mad_u64_u32 v[16:17], s[36:37], v10, s26, 0
	v_add3_u32 v17, v17, v19, v18
	v_mul_lo_u32 v18, v13, s26
	v_mul_lo_u32 v19, v12, s27
	v_mad_u64_u32 v[20:21], s[36:37], v12, s26, 0
	v_add3_u32 v21, v21, v19, v18
	v_lshl_add_u64 v[18:19], v[16:17], 2, s[28:29]
	v_lshl_add_u64 v[16:17], v[20:21], 2, s[28:29]
	global_load_dword v20, v[18:19], off
	global_load_dword v21, v[16:17], off
	s_mov_b64 s[42:43], -1
	s_waitcnt vmcnt(0)
	v_cmp_eq_u32_e32 vcc, v20, v21
	s_and_saveexec_b64 s[36:37], vcc
	s_cbranch_execz .LBB461_302
; %bb.296:
	s_add_u32 s42, s26, -1
	v_lshl_add_u64 v[16:17], v[16:17], 0, 4
	v_lshl_add_u64 v[18:19], v[18:19], 0, 4
	s_addc_u32 s43, s27, -1
	s_mov_b64 s[44:45], 0
	s_mov_b64 s[48:49], 0
                                        ; implicit-def: $sgpr46_sgpr47
	s_branch .LBB461_299
.LBB461_297:                            ;   in Loop: Header=BB461_299 Depth=1
	global_load_dword v20, v[18:19], off
	global_load_dword v21, v[16:17], off
	s_add_u32 s48, s48, 1
	s_addc_u32 s49, s49, 0
	s_andn2_b64 s[46:47], s[46:47], exec
	v_lshl_add_u64 v[16:17], v[16:17], 0, 4
	v_lshl_add_u64 v[18:19], v[18:19], 0, 4
	s_waitcnt vmcnt(0)
	v_cmp_ne_u32_e32 vcc, v20, v21
	s_and_b64 s[50:51], vcc, exec
	s_or_b64 s[46:47], s[46:47], s[50:51]
.LBB461_298:                            ;   in Loop: Header=BB461_299 Depth=1
	s_and_b64 s[50:51], exec, s[46:47]
	s_or_b64 s[44:45], s[50:51], s[44:45]
	v_mov_b64_e32 v[20:21], s[48:49]
	s_andn2_b64 exec, exec, s[44:45]
	s_cbranch_execz .LBB461_301
.LBB461_299:                            ; =>This Inner Loop Header: Depth=1
	s_or_b64 s[46:47], s[46:47], exec
	s_cmp_eq_u64 s[42:43], s[48:49]
	s_cbranch_scc0 .LBB461_297
; %bb.300:                              ;   in Loop: Header=BB461_299 Depth=1
                                        ; implicit-def: $vgpr16_vgpr17
                                        ; implicit-def: $vgpr18_vgpr19
	s_mov_b64 s[48:49], s[26:27]
	s_branch .LBB461_298
.LBB461_301:
	s_or_b64 exec, exec, s[44:45]
	v_cmp_gt_i64_e32 vcc, s[26:27], v[20:21]
	s_orn2_b64 s[42:43], vcc, exec
.LBB461_302:
	s_or_b64 exec, exec, s[36:37]
.LBB461_303:
	s_and_b64 s[36:37], s[42:43], exec
.LBB461_304:
	s_or_b64 exec, exec, s[40:41]
	v_cndmask_b32_e64 v17, 0, 1, s[18:19]
	v_cndmask_b32_e64 v16, 0, 1, s[38:39]
	;; [unrolled: 1-line block ×3, first 2 shown]
	v_lshlrev_b16_e32 v17, 8, v17
	v_cndmask_b32_e64 v32, 0, 1, s[14:15]
	v_cndmask_b32_e64 v18, 0, 1, s[36:37]
	v_or_b32_sdwa v16, v16, v17 dst_sel:WORD_1 dst_unused:UNUSED_PAD src0_sel:DWORD src1_sel:DWORD
	v_lshlrev_b16_e32 v17, 8, v33
	v_lshlrev_b16_e32 v18, 8, v18
	v_or_b32_e32 v17, v32, v17
	v_or_b32_e32 v18, 1, v18
	v_and_b32_e32 v17, 0xffff, v17
	v_cndmask_b32_e64 v34, 0, 1, s[4:5]
	v_or_b32_sdwa v16, v18, v16 dst_sel:DWORD dst_unused:UNUSED_PAD src0_sel:WORD_0 src1_sel:DWORD
	v_lshl_or_b32 v17, v34, 16, v17
	v_cmp_ne_u32_e32 vcc, 0, v0
	s_waitcnt lgkmcnt(0)
	s_barrier
	s_waitcnt lgkmcnt(0)
                                        ; implicit-def: $sgpr18_sgpr19
                                        ; implicit-def: $vgpr20
	s_and_saveexec_b64 s[4:5], vcc
	s_cbranch_execz .LBB461_317
; %bb.305:
	v_cmp_gt_u32_e32 vcc, s3, v1
	s_mov_b32 s33, 0x3020104
	s_mov_b64 s[14:15], 0
	s_and_saveexec_b64 s[12:13], vcc
	s_cbranch_execz .LBB461_316
; %bb.306:
	s_andn2_b64 vcc, exec, s[6:7]
	s_cbranch_vccnz .LBB461_315
; %bb.307:
	v_add_u32_e32 v17, -8, v30
	ds_read_b64 v[18:19], v17
	v_mul_lo_u32 v17, v11, s26
	v_mad_u64_u32 v[22:23], s[6:7], v10, s26, 0
	s_mov_b64 s[14:15], -1
	s_waitcnt lgkmcnt(0)
	v_mul_lo_u32 v20, v19, s26
	v_mul_lo_u32 v21, v18, s27
	v_mad_u64_u32 v[18:19], s[6:7], v18, s26, 0
	v_add3_u32 v19, v19, v21, v20
	v_mul_lo_u32 v20, v10, s27
	v_add3_u32 v23, v23, v20, v17
	v_lshl_add_u64 v[20:21], v[18:19], 2, s[28:29]
	v_lshl_add_u64 v[18:19], v[22:23], 2, s[28:29]
	global_load_dword v17, v[20:21], off
	global_load_dword v22, v[18:19], off
	s_waitcnt vmcnt(0)
	v_cmp_eq_u32_e32 vcc, v17, v22
	s_and_saveexec_b64 s[6:7], vcc
	s_cbranch_execz .LBB461_314
; %bb.308:
	s_add_u32 s14, s26, -1
	v_lshl_add_u64 v[18:19], v[18:19], 0, 4
	v_lshl_add_u64 v[20:21], v[20:21], 0, 4
	s_addc_u32 s15, s27, -1
	s_mov_b64 s[18:19], 0
	s_mov_b64 s[36:37], 0
                                        ; implicit-def: $sgpr28_sgpr29
	s_branch .LBB461_311
.LBB461_309:                            ;   in Loop: Header=BB461_311 Depth=1
	global_load_dword v17, v[20:21], off
	global_load_dword v22, v[18:19], off
	s_add_u32 s36, s36, 1
	s_addc_u32 s37, s37, 0
	s_andn2_b64 s[28:29], s[28:29], exec
	v_lshl_add_u64 v[18:19], v[18:19], 0, 4
	v_lshl_add_u64 v[20:21], v[20:21], 0, 4
	s_waitcnt vmcnt(0)
	v_cmp_ne_u32_e32 vcc, v17, v22
	s_and_b64 s[38:39], vcc, exec
	s_or_b64 s[28:29], s[28:29], s[38:39]
.LBB461_310:                            ;   in Loop: Header=BB461_311 Depth=1
	s_and_b64 s[38:39], exec, s[28:29]
	s_or_b64 s[18:19], s[38:39], s[18:19]
	v_mov_b64_e32 v[22:23], s[36:37]
	s_andn2_b64 exec, exec, s[18:19]
	s_cbranch_execz .LBB461_313
.LBB461_311:                            ; =>This Inner Loop Header: Depth=1
	s_or_b64 s[28:29], s[28:29], exec
	s_cmp_eq_u64 s[14:15], s[36:37]
	s_cbranch_scc0 .LBB461_309
; %bb.312:                              ;   in Loop: Header=BB461_311 Depth=1
                                        ; implicit-def: $vgpr18_vgpr19
                                        ; implicit-def: $vgpr20_vgpr21
	s_mov_b64 s[36:37], s[26:27]
	s_branch .LBB461_310
.LBB461_313:
	s_or_b64 exec, exec, s[18:19]
	v_cmp_gt_i64_e32 vcc, s[26:27], v[22:23]
	s_orn2_b64 s[14:15], vcc, exec
.LBB461_314:
	s_or_b64 exec, exec, s[6:7]
.LBB461_315:
	s_and_b64 s[14:15], s[14:15], exec
.LBB461_316:
	s_or_b64 exec, exec, s[12:13]
	v_perm_b32 v20, v16, v16, s33
	s_and_b64 s[18:19], s[14:15], exec
	s_or_b64 s[10:11], s[10:11], exec
                                        ; implicit-def: $vgpr16_vgpr17
.LBB461_317:
	s_or_b64 exec, exec, s[4:5]
.LBB461_318:
	s_and_saveexec_b64 s[4:5], s[10:11]
	s_cbranch_execz .LBB461_320
; %bb.319:
	s_waitcnt lgkmcnt(0)
	v_lshlrev_b16_e32 v17, 8, v33
	v_and_b32_e32 v18, 0xff, v34
	v_or_b32_sdwa v17, v32, v17 dst_sel:DWORD dst_unused:UNUSED_PAD src0_sel:BYTE_0 src1_sel:DWORD
	v_lshlrev_b32_e32 v18, 16, v18
	s_movk_i32 s6, 0xff
	v_or_b32_sdwa v17, v17, v18 dst_sel:DWORD dst_unused:UNUSED_PAD src0_sel:WORD_0 src1_sel:DWORD
	v_lshrrev_b32_e32 v18, 24, v20
	v_lshlrev_b16_e32 v18, 8, v18
	v_and_b32_sdwa v19, v20, s6 dst_sel:DWORD dst_unused:UNUSED_PAD src0_sel:WORD_1 src1_sel:DWORD
	v_or_b32_sdwa v18, v19, v18 dst_sel:WORD_1 dst_unused:UNUSED_PAD src0_sel:DWORD src1_sel:DWORD
	v_mov_b32_e32 v19, 8
	v_cndmask_b32_e64 v16, 0, 1, s[18:19]
	v_lshrrev_b32_sdwa v19, v19, v20 dst_sel:BYTE_1 dst_unused:UNUSED_PAD src0_sel:DWORD src1_sel:DWORD
	s_nop 0
	v_or_b32_e32 v16, v16, v19
	v_or_b32_sdwa v16, v16, v18 dst_sel:DWORD dst_unused:UNUSED_PAD src0_sel:WORD_0 src1_sel:DWORD
.LBB461_320:
	s_or_b64 exec, exec, s[4:5]
	s_andn2_b64 vcc, exec, s[8:9]
	s_cbranch_vccnz .LBB461_322
; %bb.321:
	s_waitcnt lgkmcnt(0)
	v_and_b32_e32 v18, 0xffff0000, v16
	v_cmp_gt_u32_e32 vcc, s3, v1
	s_mov_b32 s4, 0x40c0100
	s_nop 0
	v_cndmask_b32_e32 v1, v18, v16, vcc
	v_and_b32_e32 v1, 0xffff00ff, v1
	v_cmp_gt_u32_e32 vcc, s3, v25
	s_nop 1
	v_cndmask_b32_e32 v1, v1, v16, vcc
	v_lshrrev_b32_e32 v18, 24, v1
	v_perm_b32 v1, v18, v1, s4
	v_cmp_gt_u32_e32 vcc, s3, v24
	v_and_b32_e32 v18, 0xffffff00, v17
	s_nop 0
	v_cndmask_b32_e32 v1, v1, v16, vcc
	v_and_b32_e32 v1, 0xffffff, v1
	v_cmp_gt_u32_e32 vcc, s3, v28
	s_nop 1
	v_cndmask_b32_e32 v1, v1, v16, vcc
	v_cmp_gt_u32_e32 vcc, s3, v26
	s_nop 1
	v_cndmask_b32_e32 v18, v18, v17, vcc
	v_and_b32_e32 v18, 0xffff00ff, v18
	v_cndmask_b32_e32 v1, v1, v16, vcc
	v_cmp_gt_u32_e32 vcc, s3, v29
	s_nop 1
	v_cndmask_b32_e32 v18, v18, v17, vcc
	v_lshrrev_b32_e32 v19, 24, v18
	v_cndmask_b32_e32 v1, v1, v16, vcc
	v_perm_b32 v18, v19, v18, s4
	v_cmp_gt_u32_e32 vcc, s3, v27
	s_mov_b32 s3, 0x3020104
	s_nop 0
	v_cndmask_b32_e32 v1, v1, v16, vcc
	v_cndmask_b32_e32 v16, v18, v17, vcc
	v_mov_b32_e32 v17, 8
	v_lshrrev_b32_sdwa v17, v17, v16 dst_sel:BYTE_1 dst_unused:UNUSED_PAD src0_sel:DWORD src1_sel:DWORD
	s_nop 0
	v_or_b32_sdwa v17, v16, v17 dst_sel:DWORD dst_unused:UNUSED_PAD src0_sel:BYTE_0 src1_sel:DWORD
	v_and_b32_e32 v17, 0xffff, v17
	v_bfe_u32 v16, v16, 16, 8
	v_lshl_or_b32 v17, v16, 16, v17
	v_perm_b32 v16, v1, v1, s3
.LBB461_322:
	s_waitcnt lgkmcnt(0)
	v_and_b32_e32 v1, 0xff, v16
	v_bfe_u32 v29, v16, 8, 8
	v_bfe_u32 v31, v16, 16, 8
	v_alignbit_b32 v18, v17, v16, 24
	v_and_b32_e32 v33, 0xff, v18
	v_and_b32_e32 v35, 0xff, v17
	v_add3_u32 v19, v29, v1, v31
	v_bfe_u32 v36, v17, 8, 8
	v_bfe_u32 v18, v17, 16, 8
	v_add3_u32 v19, v19, v33, v35
	v_add3_u32 v39, v19, v36, v18
	v_mbcnt_lo_u32_b32 v18, -1, 0
	v_mbcnt_hi_u32_b32 v37, -1, v18
	v_and_b32_e32 v18, 15, v37
	v_cmp_eq_u32_e64 s[14:15], 0, v18
	v_cmp_lt_u32_e64 s[12:13], 1, v18
	v_cmp_lt_u32_e64 s[10:11], 3, v18
	;; [unrolled: 1-line block ×3, first 2 shown]
	v_and_b32_e32 v18, 16, v37
	v_cmp_eq_u32_e64 s[6:7], 0, v18
	v_or_b32_e32 v18, 63, v0
	v_cmp_lt_u32_e64 s[18:19], 31, v37
	v_lshrrev_b32_e32 v38, 6, v0
	v_cmp_eq_u32_e64 s[4:5], v18, v0
	s_and_b64 vcc, exec, s[16:17]
	s_barrier
	s_cbranch_vccz .LBB461_353
; %bb.323:
	v_mov_b32_dpp v18, v39 row_shr:1 row_mask:0xf bank_mask:0xf
	v_cndmask_b32_e64 v18, v18, 0, s[14:15]
	v_add_u32_e32 v18, v18, v39
	s_nop 1
	v_mov_b32_dpp v19, v18 row_shr:2 row_mask:0xf bank_mask:0xf
	v_cndmask_b32_e64 v19, 0, v19, s[12:13]
	v_add_u32_e32 v18, v18, v19
	s_nop 1
	;; [unrolled: 4-line block ×4, first 2 shown]
	v_mov_b32_dpp v19, v18 row_bcast:15 row_mask:0xf bank_mask:0xf
	v_cndmask_b32_e64 v19, v19, 0, s[6:7]
	v_add_u32_e32 v18, v18, v19
	s_nop 1
	v_mov_b32_dpp v19, v18 row_bcast:31 row_mask:0xf bank_mask:0xf
	v_cndmask_b32_e64 v19, 0, v19, s[18:19]
	v_add_u32_e32 v18, v18, v19
	s_and_saveexec_b64 s[16:17], s[4:5]
	s_cbranch_execz .LBB461_325
; %bb.324:
	v_lshlrev_b32_e32 v19, 2, v38
	ds_write_b32 v19, v18
.LBB461_325:
	s_or_b64 exec, exec, s[16:17]
	v_cmp_gt_u32_e32 vcc, 8, v0
	s_waitcnt lgkmcnt(0)
	s_barrier
	s_and_saveexec_b64 s[16:17], vcc
	s_cbranch_execz .LBB461_327
; %bb.326:
	v_lshlrev_b32_e32 v19, 2, v0
	ds_read_b32 v20, v19
	v_and_b32_e32 v21, 7, v37
	v_cmp_ne_u32_e32 vcc, 0, v21
	s_waitcnt lgkmcnt(0)
	v_mov_b32_dpp v22, v20 row_shr:1 row_mask:0xf bank_mask:0xf
	v_cndmask_b32_e32 v22, 0, v22, vcc
	v_add_u32_e32 v20, v22, v20
	v_cmp_lt_u32_e32 vcc, 1, v21
	s_nop 0
	v_mov_b32_dpp v22, v20 row_shr:2 row_mask:0xf bank_mask:0xf
	v_cndmask_b32_e32 v22, 0, v22, vcc
	v_add_u32_e32 v20, v20, v22
	v_cmp_lt_u32_e32 vcc, 3, v21
	s_nop 0
	v_mov_b32_dpp v22, v20 row_shr:4 row_mask:0xf bank_mask:0xf
	v_cndmask_b32_e32 v21, 0, v22, vcc
	v_add_u32_e32 v20, v20, v21
	ds_write_b32 v19, v20
.LBB461_327:
	s_or_b64 exec, exec, s[16:17]
	v_cmp_gt_u32_e32 vcc, 64, v0
	v_cmp_lt_u32_e64 s[16:17], 63, v0
	s_waitcnt lgkmcnt(0)
	s_barrier
	s_waitcnt lgkmcnt(0)
                                        ; implicit-def: $vgpr28
	s_and_saveexec_b64 s[26:27], s[16:17]
	s_cbranch_execz .LBB461_329
; %bb.328:
	v_lshl_add_u32 v19, v38, 2, -4
	ds_read_b32 v28, v19
	s_waitcnt lgkmcnt(0)
	v_add_u32_e32 v18, v28, v18
.LBB461_329:
	s_or_b64 exec, exec, s[26:27]
	v_add_u32_e32 v19, -1, v37
	v_and_b32_e32 v20, 64, v37
	v_cmp_lt_i32_e64 s[16:17], v19, v20
	s_nop 1
	v_cndmask_b32_e64 v19, v19, v37, s[16:17]
	v_lshlrev_b32_e32 v19, 2, v19
	ds_bpermute_b32 v30, v19, v18
	v_cmp_eq_u32_e64 s[16:17], 0, v37
	s_and_saveexec_b64 s[26:27], vcc
	s_cbranch_execz .LBB461_352
; %bb.330:
	v_mov_b32_e32 v27, 0
	ds_read_b32 v18, v27 offset:28
	s_and_saveexec_b64 s[28:29], s[16:17]
	s_cbranch_execz .LBB461_332
; %bb.331:
	s_add_i32 s36, s2, 64
	s_mov_b32 s37, 0
	s_lshl_b64 s[36:37], s[36:37], 3
	s_add_u32 s36, s30, s36
	v_mov_b32_e32 v19, 1
	s_addc_u32 s37, s31, s37
	s_waitcnt lgkmcnt(0)
	global_store_dwordx2 v27, v[18:19], s[36:37] sc1
.LBB461_332:
	s_or_b64 exec, exec, s[28:29]
	v_xad_u32 v20, v37, -1, s2
	v_add_u32_e32 v26, 64, v20
	v_lshl_add_u64 v[22:23], v[26:27], 3, s[30:31]
	global_load_dwordx2 v[24:25], v[22:23], off sc1
	s_waitcnt vmcnt(0)
	v_cmp_eq_u16_sdwa s[36:37], v25, v27 src0_sel:BYTE_0 src1_sel:DWORD
	s_and_saveexec_b64 s[28:29], s[36:37]
	s_cbranch_execz .LBB461_338
; %bb.333:
	s_mov_b32 s3, 1
	s_mov_b64 s[36:37], 0
	v_mov_b32_e32 v19, 0
.LBB461_334:                            ; =>This Loop Header: Depth=1
                                        ;     Child Loop BB461_335 Depth 2
	s_max_u32 s33, s3, 1
.LBB461_335:                            ;   Parent Loop BB461_334 Depth=1
                                        ; =>  This Inner Loop Header: Depth=2
	s_add_i32 s33, s33, -1
	s_cmp_eq_u32 s33, 0
	s_sleep 1
	s_cbranch_scc0 .LBB461_335
; %bb.336:                              ;   in Loop: Header=BB461_334 Depth=1
	global_load_dwordx2 v[24:25], v[22:23], off sc1
	s_cmp_lt_u32 s3, 32
	s_cselect_b64 s[38:39], -1, 0
	s_cmp_lg_u64 s[38:39], 0
	s_addc_u32 s3, s3, 0
	s_waitcnt vmcnt(0)
	v_cmp_ne_u16_sdwa s[38:39], v25, v19 src0_sel:BYTE_0 src1_sel:DWORD
	s_or_b64 s[36:37], s[38:39], s[36:37]
	s_andn2_b64 exec, exec, s[36:37]
	s_cbranch_execnz .LBB461_334
; %bb.337:
	s_or_b64 exec, exec, s[36:37]
.LBB461_338:
	s_or_b64 exec, exec, s[28:29]
	v_and_b32_e32 v32, 63, v37
	v_mov_b32_e32 v19, 2
	v_cmp_ne_u32_e32 vcc, 63, v32
	v_cmp_eq_u16_sdwa s[28:29], v25, v19 src0_sel:BYTE_0 src1_sel:DWORD
	v_lshlrev_b64 v[22:23], v37, -1
	v_addc_co_u32_e32 v27, vcc, 0, v37, vcc
	v_and_b32_e32 v21, s29, v23
	v_lshlrev_b32_e32 v34, 2, v27
	v_or_b32_e32 v21, 0x80000000, v21
	ds_bpermute_b32 v27, v34, v24
	v_and_b32_e32 v26, s28, v22
	v_ffbl_b32_e32 v21, v21
	v_add_u32_e32 v21, 32, v21
	v_ffbl_b32_e32 v26, v26
	v_min_u32_e32 v21, v26, v21
	v_cmp_lt_u32_e32 vcc, v32, v21
	v_add_u32_e32 v41, 2, v32
	v_add_u32_e32 v43, 4, v32
	s_waitcnt lgkmcnt(0)
	v_cndmask_b32_e32 v26, 0, v27, vcc
	v_cmp_gt_u32_e32 vcc, 62, v32
	v_add_u32_e32 v24, v26, v24
	v_add_u32_e32 v45, 8, v32
	v_cndmask_b32_e64 v26, 0, 1, vcc
	v_lshlrev_b32_e32 v26, 1, v26
	v_add_lshl_u32 v40, v26, v37, 2
	ds_bpermute_b32 v26, v40, v24
	v_cmp_le_u32_e32 vcc, v41, v21
	v_add_u32_e32 v48, 16, v32
	v_add_u32_e32 v50, 32, v32
	s_waitcnt lgkmcnt(0)
	v_cndmask_b32_e32 v26, 0, v26, vcc
	v_cmp_gt_u32_e32 vcc, 60, v32
	v_add_u32_e32 v24, v24, v26
	s_nop 0
	v_cndmask_b32_e64 v26, 0, 1, vcc
	v_lshlrev_b32_e32 v26, 2, v26
	v_add_lshl_u32 v42, v26, v37, 2
	ds_bpermute_b32 v26, v42, v24
	v_cmp_le_u32_e32 vcc, v43, v21
	s_waitcnt lgkmcnt(0)
	s_nop 0
	v_cndmask_b32_e32 v26, 0, v26, vcc
	v_cmp_gt_u32_e32 vcc, 56, v32
	v_add_u32_e32 v24, v24, v26
	s_nop 0
	v_cndmask_b32_e64 v26, 0, 1, vcc
	v_lshlrev_b32_e32 v26, 3, v26
	v_add_lshl_u32 v44, v26, v37, 2
	ds_bpermute_b32 v26, v44, v24
	v_cmp_le_u32_e32 vcc, v45, v21
	s_waitcnt lgkmcnt(0)
	s_nop 0
	;; [unrolled: 11-line block ×4, first 2 shown]
	v_cndmask_b32_e32 v21, 0, v26, vcc
	v_add_u32_e32 v24, v24, v21
	v_mov_b32_e32 v21, 0
	s_branch .LBB461_340
.LBB461_339:                            ;   in Loop: Header=BB461_340 Depth=1
	s_or_b64 exec, exec, s[28:29]
	v_cmp_eq_u16_sdwa s[28:29], v25, v19 src0_sel:BYTE_0 src1_sel:DWORD
	ds_bpermute_b32 v51, v34, v24
	v_subrev_u32_e32 v20, 64, v20
	v_and_b32_e32 v26, s29, v23
	v_or_b32_e32 v26, 0x80000000, v26
	v_and_b32_e32 v27, s28, v22
	v_ffbl_b32_e32 v26, v26
	v_add_u32_e32 v26, 32, v26
	v_ffbl_b32_e32 v27, v27
	v_min_u32_e32 v26, v27, v26
	v_cmp_lt_u32_e32 vcc, v32, v26
	s_waitcnt lgkmcnt(0)
	s_nop 0
	v_cndmask_b32_e32 v27, 0, v51, vcc
	v_add_u32_e32 v24, v27, v24
	ds_bpermute_b32 v27, v40, v24
	v_cmp_le_u32_e32 vcc, v41, v26
	s_waitcnt lgkmcnt(0)
	s_nop 0
	v_cndmask_b32_e32 v27, 0, v27, vcc
	v_add_u32_e32 v24, v24, v27
	ds_bpermute_b32 v27, v42, v24
	v_cmp_le_u32_e32 vcc, v43, v26
	;; [unrolled: 6-line block ×5, first 2 shown]
	s_waitcnt lgkmcnt(0)
	s_nop 0
	v_cndmask_b32_e32 v26, 0, v27, vcc
	v_add3_u32 v24, v26, v46, v24
.LBB461_340:                            ; =>This Loop Header: Depth=1
                                        ;     Child Loop BB461_343 Depth 2
                                        ;       Child Loop BB461_344 Depth 3
	v_cmp_ne_u16_sdwa s[28:29], v25, v19 src0_sel:BYTE_0 src1_sel:DWORD
	v_mov_b32_e32 v46, v24
	s_nop 0
	v_cndmask_b32_e64 v25, 0, 1, s[28:29]
	;;#ASMSTART
	;;#ASMEND
	s_nop 0
	v_cmp_ne_u32_e32 vcc, 0, v25
	s_cmp_lg_u64 vcc, exec
	s_cbranch_scc1 .LBB461_347
; %bb.341:                              ;   in Loop: Header=BB461_340 Depth=1
	v_lshl_add_u64 v[26:27], v[20:21], 3, s[30:31]
	global_load_dwordx2 v[24:25], v[26:27], off sc1
	s_waitcnt vmcnt(0)
	v_cmp_eq_u16_sdwa s[36:37], v25, v21 src0_sel:BYTE_0 src1_sel:DWORD
	s_and_saveexec_b64 s[28:29], s[36:37]
	s_cbranch_execz .LBB461_339
; %bb.342:                              ;   in Loop: Header=BB461_340 Depth=1
	s_mov_b32 s3, 1
	s_mov_b64 s[36:37], 0
.LBB461_343:                            ;   Parent Loop BB461_340 Depth=1
                                        ; =>  This Loop Header: Depth=2
                                        ;       Child Loop BB461_344 Depth 3
	s_max_u32 s33, s3, 1
.LBB461_344:                            ;   Parent Loop BB461_340 Depth=1
                                        ;     Parent Loop BB461_343 Depth=2
                                        ; =>    This Inner Loop Header: Depth=3
	s_add_i32 s33, s33, -1
	s_cmp_eq_u32 s33, 0
	s_sleep 1
	s_cbranch_scc0 .LBB461_344
; %bb.345:                              ;   in Loop: Header=BB461_343 Depth=2
	global_load_dwordx2 v[24:25], v[26:27], off sc1
	s_cmp_lt_u32 s3, 32
	s_cselect_b64 s[38:39], -1, 0
	s_cmp_lg_u64 s[38:39], 0
	s_addc_u32 s3, s3, 0
	s_waitcnt vmcnt(0)
	v_cmp_ne_u16_sdwa s[38:39], v25, v21 src0_sel:BYTE_0 src1_sel:DWORD
	s_or_b64 s[36:37], s[38:39], s[36:37]
	s_andn2_b64 exec, exec, s[36:37]
	s_cbranch_execnz .LBB461_343
; %bb.346:                              ;   in Loop: Header=BB461_340 Depth=1
	s_or_b64 exec, exec, s[36:37]
	s_branch .LBB461_339
.LBB461_347:                            ;   in Loop: Header=BB461_340 Depth=1
                                        ; implicit-def: $vgpr24
                                        ; implicit-def: $vgpr25
	s_cbranch_execz .LBB461_340
; %bb.348:
	s_and_saveexec_b64 s[28:29], s[16:17]
	s_cbranch_execz .LBB461_350
; %bb.349:
	s_add_i32 s2, s2, 64
	s_mov_b32 s3, 0
	s_lshl_b64 s[2:3], s[2:3], 3
	s_add_u32 s2, s30, s2
	v_add_u32_e32 v20, v46, v18
	v_mov_b32_e32 v21, 2
	s_addc_u32 s3, s31, s3
	v_mov_b32_e32 v19, 0
	global_store_dwordx2 v19, v[20:21], s[2:3] sc1
	s_movk_i32 s2, 0x7000
	v_add_u32_e64 v19, s2, 0
	ds_write2_b32 v19, v18, v46 offset1:2
.LBB461_350:
	s_or_b64 exec, exec, s[28:29]
	v_cmp_eq_u32_e32 vcc, 0, v0
	s_and_b64 exec, exec, vcc
	s_cbranch_execz .LBB461_352
; %bb.351:
	v_mov_b32_e32 v18, 0
	ds_write_b32 v18, v46 offset:28
.LBB461_352:
	s_or_b64 exec, exec, s[26:27]
	v_mov_b32_e32 v18, 0
	s_waitcnt lgkmcnt(0)
	s_barrier
	ds_read_b32 v18, v18 offset:28
	v_cndmask_b32_e64 v19, v30, v28, s[16:17]
	v_cmp_ne_u32_e32 vcc, 0, v0
	s_movk_i32 s2, 0x7000
	s_waitcnt lgkmcnt(0)
	v_cndmask_b32_e32 v19, 0, v19, vcc
	v_add_u32_e32 v34, v18, v19
	v_add_u32_e32 v32, v34, v1
	v_add_u32_e64 v18, s2, 0
	v_add_u32_e32 v30, v32, v29
	s_barrier
	ds_read2_b32 v[18:19], v18 offset1:2
	v_add_u32_e32 v28, v30, v31
	v_add_u32_e32 v26, v28, v33
	;; [unrolled: 1-line block ×4, first 2 shown]
	s_load_dwordx2 s[2:3], s[0:1], 0x28
	v_lshrrev_b64 v[20:21], 24, v[16:17]
	s_branch .LBB461_363
.LBB461_353:
                                        ; implicit-def: $vgpr22
                                        ; implicit-def: $vgpr24
                                        ; implicit-def: $vgpr26
                                        ; implicit-def: $vgpr28
                                        ; implicit-def: $vgpr30
                                        ; implicit-def: $vgpr32
                                        ; implicit-def: $vgpr34
                                        ; implicit-def: $vgpr19
	s_load_dwordx2 s[2:3], s[0:1], 0x28
	v_lshrrev_b64 v[20:21], 24, v[16:17]
	s_cbranch_execz .LBB461_363
; %bb.354:
	s_waitcnt lgkmcnt(0)
	v_mov_b32_dpp v18, v39 row_shr:1 row_mask:0xf bank_mask:0xf
	v_cndmask_b32_e64 v18, v18, 0, s[14:15]
	v_add_u32_e32 v18, v18, v39
	s_nop 1
	v_mov_b32_dpp v19, v18 row_shr:2 row_mask:0xf bank_mask:0xf
	v_cndmask_b32_e64 v19, 0, v19, s[12:13]
	v_add_u32_e32 v18, v18, v19
	s_nop 1
	;; [unrolled: 4-line block ×4, first 2 shown]
	v_mov_b32_dpp v19, v18 row_bcast:15 row_mask:0xf bank_mask:0xf
	v_cndmask_b32_e64 v19, v19, 0, s[6:7]
	v_add_u32_e32 v18, v18, v19
	s_nop 1
	v_mov_b32_dpp v19, v18 row_bcast:31 row_mask:0xf bank_mask:0xf
	v_cndmask_b32_e64 v19, 0, v19, s[18:19]
	v_add_u32_e32 v18, v18, v19
	s_and_saveexec_b64 s[0:1], s[4:5]
	s_cbranch_execz .LBB461_356
; %bb.355:
	v_lshlrev_b32_e32 v19, 2, v38
	ds_write_b32 v19, v18
.LBB461_356:
	s_or_b64 exec, exec, s[0:1]
	v_cmp_gt_u32_e32 vcc, 8, v0
	s_waitcnt lgkmcnt(0)
	s_barrier
	s_and_saveexec_b64 s[0:1], vcc
	s_cbranch_execz .LBB461_358
; %bb.357:
	v_lshlrev_b32_e32 v19, 2, v0
	ds_read_b32 v21, v19
	v_and_b32_e32 v22, 7, v37
	v_cmp_ne_u32_e32 vcc, 0, v22
	s_waitcnt lgkmcnt(0)
	v_mov_b32_dpp v23, v21 row_shr:1 row_mask:0xf bank_mask:0xf
	v_cndmask_b32_e32 v23, 0, v23, vcc
	v_add_u32_e32 v21, v23, v21
	v_cmp_lt_u32_e32 vcc, 1, v22
	s_nop 0
	v_mov_b32_dpp v23, v21 row_shr:2 row_mask:0xf bank_mask:0xf
	v_cndmask_b32_e32 v23, 0, v23, vcc
	v_add_u32_e32 v21, v21, v23
	v_cmp_lt_u32_e32 vcc, 3, v22
	s_nop 0
	v_mov_b32_dpp v23, v21 row_shr:4 row_mask:0xf bank_mask:0xf
	v_cndmask_b32_e32 v22, 0, v23, vcc
	v_add_u32_e32 v21, v21, v22
	ds_write_b32 v19, v21
.LBB461_358:
	s_or_b64 exec, exec, s[0:1]
	v_cmp_lt_u32_e32 vcc, 63, v0
	v_mov_b32_e32 v19, 0
	v_mov_b32_e32 v21, 0
	s_waitcnt lgkmcnt(0)
	s_barrier
	s_and_saveexec_b64 s[0:1], vcc
	s_cbranch_execz .LBB461_360
; %bb.359:
	v_lshl_add_u32 v21, v38, 2, -4
	ds_read_b32 v21, v21
.LBB461_360:
	s_or_b64 exec, exec, s[0:1]
	v_add_u32_e32 v22, -1, v37
	v_and_b32_e32 v23, 64, v37
	v_cmp_lt_i32_e32 vcc, v22, v23
	s_waitcnt lgkmcnt(0)
	v_add_u32_e32 v18, v21, v18
	v_cndmask_b32_e32 v22, v22, v37, vcc
	v_lshlrev_b32_e32 v22, 2, v22
	ds_bpermute_b32 v22, v22, v18
	ds_read_b32 v18, v19 offset:28
	v_cmp_eq_u32_e32 vcc, 0, v0
	s_and_saveexec_b64 s[0:1], vcc
	s_cbranch_execz .LBB461_362
; %bb.361:
	v_mov_b32_e32 v23, 0
	v_mov_b32_e32 v19, 2
	s_waitcnt lgkmcnt(0)
	global_store_dwordx2 v23, v[18:19], s[30:31] offset:512 sc1
.LBB461_362:
	s_or_b64 exec, exec, s[0:1]
	v_cmp_eq_u32_e64 s[0:1], 0, v37
	v_mov_b32_e32 v19, 0
	s_waitcnt lgkmcnt(0)
	v_cndmask_b32_e64 v21, v22, v21, s[0:1]
	v_cndmask_b32_e64 v34, v21, 0, vcc
	v_add_u32_e32 v32, v34, v1
	v_add_u32_e32 v30, v32, v29
	;; [unrolled: 1-line block ×6, first 2 shown]
	s_barrier
.LBB461_363:
	s_movk_i32 s0, 0x201
	s_waitcnt lgkmcnt(0)
	v_cmp_gt_u32_e32 vcc, s0, v18
	v_lshrrev_b32_e32 v21, 8, v16
	v_lshrrev_b32_e32 v1, 8, v17
	s_mov_b64 s[0:1], -1
	s_cbranch_vccnz .LBB461_367
; %bb.364:
	s_and_b64 vcc, exec, s[0:1]
	s_cbranch_vccnz .LBB461_389
.LBB461_365:
	v_cmp_eq_u32_e32 vcc, 0, v0
	s_and_b64 s[0:1], vcc, s[24:25]
	s_and_saveexec_b64 s[2:3], s[0:1]
	s_cbranch_execnz .LBB461_407
.LBB461_366:
	s_endpgm
.LBB461_367:
	v_add_u32_e32 v23, v19, v18
	v_cmp_lt_u32_e32 vcc, v34, v23
	s_or_b64 s[4:5], s[34:35], vcc
	s_and_saveexec_b64 s[0:1], s[4:5]
	s_cbranch_execz .LBB461_370
; %bb.368:
	v_and_b32_e32 v25, 1, v16
	v_cmp_eq_u32_e32 vcc, 1, v25
	s_and_b64 exec, exec, vcc
	s_cbranch_execz .LBB461_370
; %bb.369:
	s_lshl_b64 s[4:5], s[22:23], 3
	s_add_u32 s4, s2, s4
	s_addc_u32 s5, s3, s5
	v_mov_b32_e32 v35, 0
	v_lshl_add_u64 v[36:37], v[34:35], 3, s[4:5]
	global_store_dwordx2 v[36:37], v[10:11], off
.LBB461_370:
	s_or_b64 exec, exec, s[0:1]
	v_cmp_lt_u32_e32 vcc, v32, v23
	s_or_b64 s[4:5], s[34:35], vcc
	s_and_saveexec_b64 s[0:1], s[4:5]
	s_cbranch_execz .LBB461_373
; %bb.371:
	v_and_b32_e32 v25, 1, v21
	v_cmp_eq_u32_e32 vcc, 1, v25
	s_and_b64 exec, exec, vcc
	s_cbranch_execz .LBB461_373
; %bb.372:
	s_lshl_b64 s[4:5], s[22:23], 3
	s_add_u32 s4, s2, s4
	s_addc_u32 s5, s3, s5
	v_mov_b32_e32 v33, 0
	v_lshl_add_u64 v[36:37], v[32:33], 3, s[4:5]
	global_store_dwordx2 v[36:37], v[12:13], off
.LBB461_373:
	s_or_b64 exec, exec, s[0:1]
	v_cmp_lt_u32_e32 vcc, v30, v23
	s_or_b64 s[4:5], s[34:35], vcc
	s_and_saveexec_b64 s[0:1], s[4:5]
	s_cbranch_execz .LBB461_376
; %bb.374:
	v_mov_b32_e32 v25, 1
	v_and_b32_sdwa v25, v25, v16 dst_sel:DWORD dst_unused:UNUSED_PAD src0_sel:DWORD src1_sel:WORD_1
	v_cmp_eq_u32_e32 vcc, 1, v25
	s_and_b64 exec, exec, vcc
	s_cbranch_execz .LBB461_376
; %bb.375:
	s_lshl_b64 s[4:5], s[22:23], 3
	s_add_u32 s4, s2, s4
	s_addc_u32 s5, s3, s5
	v_mov_b32_e32 v31, 0
	v_lshl_add_u64 v[36:37], v[30:31], 3, s[4:5]
	global_store_dwordx2 v[36:37], v[6:7], off
.LBB461_376:
	s_or_b64 exec, exec, s[0:1]
	v_cmp_lt_u32_e32 vcc, v28, v23
	s_or_b64 s[4:5], s[34:35], vcc
	s_and_saveexec_b64 s[0:1], s[4:5]
	s_cbranch_execz .LBB461_379
; %bb.377:
	v_and_b32_e32 v25, 1, v20
	v_cmp_eq_u32_e32 vcc, 1, v25
	s_and_b64 exec, exec, vcc
	s_cbranch_execz .LBB461_379
; %bb.378:
	s_lshl_b64 s[4:5], s[22:23], 3
	s_add_u32 s4, s2, s4
	s_addc_u32 s5, s3, s5
	v_mov_b32_e32 v29, 0
	v_lshl_add_u64 v[36:37], v[28:29], 3, s[4:5]
	global_store_dwordx2 v[36:37], v[8:9], off
.LBB461_379:
	s_or_b64 exec, exec, s[0:1]
	v_cmp_lt_u32_e32 vcc, v26, v23
	s_or_b64 s[4:5], s[34:35], vcc
	s_and_saveexec_b64 s[0:1], s[4:5]
	s_cbranch_execz .LBB461_382
; %bb.380:
	v_and_b32_e32 v25, 1, v17
	v_cmp_eq_u32_e32 vcc, 1, v25
	s_and_b64 exec, exec, vcc
	s_cbranch_execz .LBB461_382
; %bb.381:
	s_lshl_b64 s[4:5], s[22:23], 3
	s_add_u32 s4, s2, s4
	s_addc_u32 s5, s3, s5
	v_mov_b32_e32 v27, 0
	v_lshl_add_u64 v[36:37], v[26:27], 3, s[4:5]
	global_store_dwordx2 v[36:37], v[2:3], off
.LBB461_382:
	s_or_b64 exec, exec, s[0:1]
	v_cmp_lt_u32_e32 vcc, v24, v23
	s_or_b64 s[4:5], s[34:35], vcc
	s_and_saveexec_b64 s[0:1], s[4:5]
	s_cbranch_execz .LBB461_385
; %bb.383:
	v_and_b32_e32 v25, 1, v1
	v_cmp_eq_u32_e32 vcc, 1, v25
	s_and_b64 exec, exec, vcc
	s_cbranch_execz .LBB461_385
; %bb.384:
	s_lshl_b64 s[4:5], s[22:23], 3
	s_add_u32 s4, s2, s4
	s_addc_u32 s5, s3, s5
	v_mov_b32_e32 v25, 0
	v_lshl_add_u64 v[36:37], v[24:25], 3, s[4:5]
	global_store_dwordx2 v[36:37], v[4:5], off
.LBB461_385:
	s_or_b64 exec, exec, s[0:1]
	v_cmp_lt_u32_e32 vcc, v22, v23
	s_or_b64 s[4:5], s[34:35], vcc
	s_and_saveexec_b64 s[0:1], s[4:5]
	s_cbranch_execz .LBB461_388
; %bb.386:
	v_mov_b32_e32 v23, 1
	v_and_b32_sdwa v23, v23, v17 dst_sel:DWORD dst_unused:UNUSED_PAD src0_sel:DWORD src1_sel:WORD_1
	v_cmp_eq_u32_e32 vcc, 1, v23
	s_and_b64 exec, exec, vcc
	s_cbranch_execz .LBB461_388
; %bb.387:
	s_lshl_b64 s[4:5], s[22:23], 3
	s_add_u32 s4, s2, s4
	s_addc_u32 s5, s3, s5
	v_mov_b32_e32 v23, 0
	v_lshl_add_u64 v[36:37], v[22:23], 3, s[4:5]
	global_store_dwordx2 v[36:37], v[14:15], off
.LBB461_388:
	s_or_b64 exec, exec, s[0:1]
	s_branch .LBB461_365
.LBB461_389:
	v_and_b32_e32 v23, 1, v16
	v_cmp_eq_u32_e32 vcc, 1, v23
	s_and_saveexec_b64 s[0:1], vcc
	s_cbranch_execz .LBB461_391
; %bb.390:
	v_sub_u32_e32 v23, v34, v19
	v_lshlrev_b32_e32 v23, 3, v23
	ds_write_b64 v23, v[10:11]
.LBB461_391:
	s_or_b64 exec, exec, s[0:1]
	v_and_b32_e32 v10, 1, v21
	v_cmp_eq_u32_e32 vcc, 1, v10
	s_and_saveexec_b64 s[0:1], vcc
	s_cbranch_execz .LBB461_393
; %bb.392:
	v_sub_u32_e32 v10, v32, v19
	v_lshlrev_b32_e32 v10, 3, v10
	ds_write_b64 v10, v[12:13]
.LBB461_393:
	s_or_b64 exec, exec, s[0:1]
	v_mov_b32_e32 v10, 1
	v_and_b32_sdwa v10, v10, v16 dst_sel:DWORD dst_unused:UNUSED_PAD src0_sel:DWORD src1_sel:WORD_1
	v_cmp_eq_u32_e32 vcc, 1, v10
	s_and_saveexec_b64 s[0:1], vcc
	s_cbranch_execz .LBB461_395
; %bb.394:
	v_sub_u32_e32 v10, v30, v19
	v_lshlrev_b32_e32 v10, 3, v10
	ds_write_b64 v10, v[6:7]
.LBB461_395:
	s_or_b64 exec, exec, s[0:1]
	v_and_b32_e32 v6, 1, v20
	v_cmp_eq_u32_e32 vcc, 1, v6
	s_and_saveexec_b64 s[0:1], vcc
	s_cbranch_execz .LBB461_397
; %bb.396:
	v_sub_u32_e32 v6, v28, v19
	v_lshlrev_b32_e32 v6, 3, v6
	ds_write_b64 v6, v[8:9]
.LBB461_397:
	s_or_b64 exec, exec, s[0:1]
	v_and_b32_e32 v6, 1, v17
	;; [unrolled: 10-line block ×3, first 2 shown]
	v_cmp_eq_u32_e32 vcc, 1, v1
	s_and_saveexec_b64 s[0:1], vcc
	s_cbranch_execz .LBB461_401
; %bb.400:
	v_sub_u32_e32 v1, v24, v19
	v_lshlrev_b32_e32 v1, 3, v1
	ds_write_b64 v1, v[4:5]
.LBB461_401:
	s_or_b64 exec, exec, s[0:1]
	v_mov_b32_e32 v1, 1
	v_and_b32_sdwa v1, v1, v17 dst_sel:DWORD dst_unused:UNUSED_PAD src0_sel:DWORD src1_sel:WORD_1
	v_cmp_eq_u32_e32 vcc, 1, v1
	s_and_saveexec_b64 s[0:1], vcc
	s_cbranch_execz .LBB461_403
; %bb.402:
	v_sub_u32_e32 v1, v22, v19
	v_lshlrev_b32_e32 v1, 3, v1
	ds_write_b64 v1, v[14:15]
.LBB461_403:
	s_or_b64 exec, exec, s[0:1]
	v_cmp_lt_u32_e32 vcc, v0, v18
	s_waitcnt lgkmcnt(0)
	s_barrier
	s_and_saveexec_b64 s[0:1], vcc
	s_cbranch_execz .LBB461_406
; %bb.404:
	v_mov_b32_e32 v5, 0
	v_mov_b32_e32 v4, v19
	s_lshl_b64 s[4:5], s[22:23], 3
	v_lshlrev_b64 v[6:7], 3, v[4:5]
	v_lshl_add_u64 v[6:7], s[4:5], 0, v[6:7]
	v_lshlrev_b32_e32 v2, 3, v0
	v_mov_b32_e32 v3, v5
	v_lshl_add_u64 v[4:5], s[2:3], 0, v[6:7]
	v_lshl_add_u64 v[4:5], v[4:5], 0, v[2:3]
	s_mov_b64 s[2:3], 0
	s_mov_b64 s[4:5], 0x1000
	v_mov_b32_e32 v1, v0
.LBB461_405:                            ; =>This Inner Loop Header: Depth=1
	ds_read_b64 v[6:7], v2
	v_add_u32_e32 v1, 0x200, v1
	v_cmp_ge_u32_e32 vcc, v1, v18
	v_add_u32_e32 v2, 0x1000, v2
	s_or_b64 s[2:3], vcc, s[2:3]
	s_waitcnt lgkmcnt(0)
	global_store_dwordx2 v[4:5], v[6:7], off
	v_lshl_add_u64 v[4:5], v[4:5], 0, s[4:5]
	s_andn2_b64 exec, exec, s[2:3]
	s_cbranch_execnz .LBB461_405
.LBB461_406:
	s_or_b64 exec, exec, s[0:1]
	v_cmp_eq_u32_e32 vcc, 0, v0
	s_and_b64 s[0:1], vcc, s[24:25]
	s_and_saveexec_b64 s[2:3], s[0:1]
	s_cbranch_execz .LBB461_366
.LBB461_407:
	v_mov_b32_e32 v1, 0
	v_mov_b32_e32 v0, v18
	v_lshl_add_u64 v[2:3], s[22:23], 0, v[0:1]
	v_mov_b32_e32 v0, v19
	v_lshl_add_u64 v[2:3], v[2:3], 0, v[0:1]
	global_store_dwordx2 v1, v[2:3], s[20:21]
	s_endpgm
	.section	.rodata,"a",@progbits
	.p2align	6, 0x0
	.amdhsa_kernel _ZN7rocprim17ROCPRIM_400000_NS6detail17trampoline_kernelINS0_14default_configENS1_25partition_config_selectorILNS1_17partition_subalgoE8ElNS0_10empty_typeEbEEZZNS1_14partition_implILS5_8ELb0ES3_jPlPS6_PKS6_NS0_5tupleIJS9_S6_EEENSD_IJSA_SA_EEENS0_18inequality_wrapperIZN2at6native12_GLOBAL__N_124unique_dim_cuda_templateIiEESt5tupleIJNSH_6TensorESM_SM_EERKSM_lbbbEUlllE0_EEPmJS6_EEE10hipError_tPvRmT3_T4_T5_T6_T7_T9_mT8_P12ihipStream_tbDpT10_ENKUlT_T0_E_clISt17integral_constantIbLb1EES1B_IbLb0EEEEDaS17_S18_EUlS17_E_NS1_11comp_targetILNS1_3genE5ELNS1_11target_archE942ELNS1_3gpuE9ELNS1_3repE0EEENS1_30default_config_static_selectorELNS0_4arch9wavefront6targetE1EEEvT1_
		.amdhsa_group_segment_fixed_size 28684
		.amdhsa_private_segment_fixed_size 0
		.amdhsa_kernarg_size 120
		.amdhsa_user_sgpr_count 2
		.amdhsa_user_sgpr_dispatch_ptr 0
		.amdhsa_user_sgpr_queue_ptr 0
		.amdhsa_user_sgpr_kernarg_segment_ptr 1
		.amdhsa_user_sgpr_dispatch_id 0
		.amdhsa_user_sgpr_kernarg_preload_length 0
		.amdhsa_user_sgpr_kernarg_preload_offset 0
		.amdhsa_user_sgpr_private_segment_size 0
		.amdhsa_uses_dynamic_stack 0
		.amdhsa_enable_private_segment 0
		.amdhsa_system_sgpr_workgroup_id_x 1
		.amdhsa_system_sgpr_workgroup_id_y 0
		.amdhsa_system_sgpr_workgroup_id_z 0
		.amdhsa_system_sgpr_workgroup_info 0
		.amdhsa_system_vgpr_workitem_id 0
		.amdhsa_next_free_vgpr 52
		.amdhsa_next_free_sgpr 52
		.amdhsa_accum_offset 52
		.amdhsa_reserve_vcc 1
		.amdhsa_float_round_mode_32 0
		.amdhsa_float_round_mode_16_64 0
		.amdhsa_float_denorm_mode_32 3
		.amdhsa_float_denorm_mode_16_64 3
		.amdhsa_dx10_clamp 1
		.amdhsa_ieee_mode 1
		.amdhsa_fp16_overflow 0
		.amdhsa_tg_split 0
		.amdhsa_exception_fp_ieee_invalid_op 0
		.amdhsa_exception_fp_denorm_src 0
		.amdhsa_exception_fp_ieee_div_zero 0
		.amdhsa_exception_fp_ieee_overflow 0
		.amdhsa_exception_fp_ieee_underflow 0
		.amdhsa_exception_fp_ieee_inexact 0
		.amdhsa_exception_int_div_zero 0
	.end_amdhsa_kernel
	.section	.text._ZN7rocprim17ROCPRIM_400000_NS6detail17trampoline_kernelINS0_14default_configENS1_25partition_config_selectorILNS1_17partition_subalgoE8ElNS0_10empty_typeEbEEZZNS1_14partition_implILS5_8ELb0ES3_jPlPS6_PKS6_NS0_5tupleIJS9_S6_EEENSD_IJSA_SA_EEENS0_18inequality_wrapperIZN2at6native12_GLOBAL__N_124unique_dim_cuda_templateIiEESt5tupleIJNSH_6TensorESM_SM_EERKSM_lbbbEUlllE0_EEPmJS6_EEE10hipError_tPvRmT3_T4_T5_T6_T7_T9_mT8_P12ihipStream_tbDpT10_ENKUlT_T0_E_clISt17integral_constantIbLb1EES1B_IbLb0EEEEDaS17_S18_EUlS17_E_NS1_11comp_targetILNS1_3genE5ELNS1_11target_archE942ELNS1_3gpuE9ELNS1_3repE0EEENS1_30default_config_static_selectorELNS0_4arch9wavefront6targetE1EEEvT1_,"axG",@progbits,_ZN7rocprim17ROCPRIM_400000_NS6detail17trampoline_kernelINS0_14default_configENS1_25partition_config_selectorILNS1_17partition_subalgoE8ElNS0_10empty_typeEbEEZZNS1_14partition_implILS5_8ELb0ES3_jPlPS6_PKS6_NS0_5tupleIJS9_S6_EEENSD_IJSA_SA_EEENS0_18inequality_wrapperIZN2at6native12_GLOBAL__N_124unique_dim_cuda_templateIiEESt5tupleIJNSH_6TensorESM_SM_EERKSM_lbbbEUlllE0_EEPmJS6_EEE10hipError_tPvRmT3_T4_T5_T6_T7_T9_mT8_P12ihipStream_tbDpT10_ENKUlT_T0_E_clISt17integral_constantIbLb1EES1B_IbLb0EEEEDaS17_S18_EUlS17_E_NS1_11comp_targetILNS1_3genE5ELNS1_11target_archE942ELNS1_3gpuE9ELNS1_3repE0EEENS1_30default_config_static_selectorELNS0_4arch9wavefront6targetE1EEEvT1_,comdat
.Lfunc_end461:
	.size	_ZN7rocprim17ROCPRIM_400000_NS6detail17trampoline_kernelINS0_14default_configENS1_25partition_config_selectorILNS1_17partition_subalgoE8ElNS0_10empty_typeEbEEZZNS1_14partition_implILS5_8ELb0ES3_jPlPS6_PKS6_NS0_5tupleIJS9_S6_EEENSD_IJSA_SA_EEENS0_18inequality_wrapperIZN2at6native12_GLOBAL__N_124unique_dim_cuda_templateIiEESt5tupleIJNSH_6TensorESM_SM_EERKSM_lbbbEUlllE0_EEPmJS6_EEE10hipError_tPvRmT3_T4_T5_T6_T7_T9_mT8_P12ihipStream_tbDpT10_ENKUlT_T0_E_clISt17integral_constantIbLb1EES1B_IbLb0EEEEDaS17_S18_EUlS17_E_NS1_11comp_targetILNS1_3genE5ELNS1_11target_archE942ELNS1_3gpuE9ELNS1_3repE0EEENS1_30default_config_static_selectorELNS0_4arch9wavefront6targetE1EEEvT1_, .Lfunc_end461-_ZN7rocprim17ROCPRIM_400000_NS6detail17trampoline_kernelINS0_14default_configENS1_25partition_config_selectorILNS1_17partition_subalgoE8ElNS0_10empty_typeEbEEZZNS1_14partition_implILS5_8ELb0ES3_jPlPS6_PKS6_NS0_5tupleIJS9_S6_EEENSD_IJSA_SA_EEENS0_18inequality_wrapperIZN2at6native12_GLOBAL__N_124unique_dim_cuda_templateIiEESt5tupleIJNSH_6TensorESM_SM_EERKSM_lbbbEUlllE0_EEPmJS6_EEE10hipError_tPvRmT3_T4_T5_T6_T7_T9_mT8_P12ihipStream_tbDpT10_ENKUlT_T0_E_clISt17integral_constantIbLb1EES1B_IbLb0EEEEDaS17_S18_EUlS17_E_NS1_11comp_targetILNS1_3genE5ELNS1_11target_archE942ELNS1_3gpuE9ELNS1_3repE0EEENS1_30default_config_static_selectorELNS0_4arch9wavefront6targetE1EEEvT1_
                                        ; -- End function
	.section	.AMDGPU.csdata,"",@progbits
; Kernel info:
; codeLenInByte = 12916
; NumSgprs: 58
; NumVgprs: 52
; NumAgprs: 0
; TotalNumVgprs: 52
; ScratchSize: 0
; MemoryBound: 0
; FloatMode: 240
; IeeeMode: 1
; LDSByteSize: 28684 bytes/workgroup (compile time only)
; SGPRBlocks: 7
; VGPRBlocks: 6
; NumSGPRsForWavesPerEU: 58
; NumVGPRsForWavesPerEU: 52
; AccumOffset: 52
; Occupancy: 4
; WaveLimiterHint : 1
; COMPUTE_PGM_RSRC2:SCRATCH_EN: 0
; COMPUTE_PGM_RSRC2:USER_SGPR: 2
; COMPUTE_PGM_RSRC2:TRAP_HANDLER: 0
; COMPUTE_PGM_RSRC2:TGID_X_EN: 1
; COMPUTE_PGM_RSRC2:TGID_Y_EN: 0
; COMPUTE_PGM_RSRC2:TGID_Z_EN: 0
; COMPUTE_PGM_RSRC2:TIDIG_COMP_CNT: 0
; COMPUTE_PGM_RSRC3_GFX90A:ACCUM_OFFSET: 12
; COMPUTE_PGM_RSRC3_GFX90A:TG_SPLIT: 0
	.section	.text._ZN7rocprim17ROCPRIM_400000_NS6detail17trampoline_kernelINS0_14default_configENS1_25partition_config_selectorILNS1_17partition_subalgoE8ElNS0_10empty_typeEbEEZZNS1_14partition_implILS5_8ELb0ES3_jPlPS6_PKS6_NS0_5tupleIJS9_S6_EEENSD_IJSA_SA_EEENS0_18inequality_wrapperIZN2at6native12_GLOBAL__N_124unique_dim_cuda_templateIiEESt5tupleIJNSH_6TensorESM_SM_EERKSM_lbbbEUlllE0_EEPmJS6_EEE10hipError_tPvRmT3_T4_T5_T6_T7_T9_mT8_P12ihipStream_tbDpT10_ENKUlT_T0_E_clISt17integral_constantIbLb1EES1B_IbLb0EEEEDaS17_S18_EUlS17_E_NS1_11comp_targetILNS1_3genE4ELNS1_11target_archE910ELNS1_3gpuE8ELNS1_3repE0EEENS1_30default_config_static_selectorELNS0_4arch9wavefront6targetE1EEEvT1_,"axG",@progbits,_ZN7rocprim17ROCPRIM_400000_NS6detail17trampoline_kernelINS0_14default_configENS1_25partition_config_selectorILNS1_17partition_subalgoE8ElNS0_10empty_typeEbEEZZNS1_14partition_implILS5_8ELb0ES3_jPlPS6_PKS6_NS0_5tupleIJS9_S6_EEENSD_IJSA_SA_EEENS0_18inequality_wrapperIZN2at6native12_GLOBAL__N_124unique_dim_cuda_templateIiEESt5tupleIJNSH_6TensorESM_SM_EERKSM_lbbbEUlllE0_EEPmJS6_EEE10hipError_tPvRmT3_T4_T5_T6_T7_T9_mT8_P12ihipStream_tbDpT10_ENKUlT_T0_E_clISt17integral_constantIbLb1EES1B_IbLb0EEEEDaS17_S18_EUlS17_E_NS1_11comp_targetILNS1_3genE4ELNS1_11target_archE910ELNS1_3gpuE8ELNS1_3repE0EEENS1_30default_config_static_selectorELNS0_4arch9wavefront6targetE1EEEvT1_,comdat
	.globl	_ZN7rocprim17ROCPRIM_400000_NS6detail17trampoline_kernelINS0_14default_configENS1_25partition_config_selectorILNS1_17partition_subalgoE8ElNS0_10empty_typeEbEEZZNS1_14partition_implILS5_8ELb0ES3_jPlPS6_PKS6_NS0_5tupleIJS9_S6_EEENSD_IJSA_SA_EEENS0_18inequality_wrapperIZN2at6native12_GLOBAL__N_124unique_dim_cuda_templateIiEESt5tupleIJNSH_6TensorESM_SM_EERKSM_lbbbEUlllE0_EEPmJS6_EEE10hipError_tPvRmT3_T4_T5_T6_T7_T9_mT8_P12ihipStream_tbDpT10_ENKUlT_T0_E_clISt17integral_constantIbLb1EES1B_IbLb0EEEEDaS17_S18_EUlS17_E_NS1_11comp_targetILNS1_3genE4ELNS1_11target_archE910ELNS1_3gpuE8ELNS1_3repE0EEENS1_30default_config_static_selectorELNS0_4arch9wavefront6targetE1EEEvT1_ ; -- Begin function _ZN7rocprim17ROCPRIM_400000_NS6detail17trampoline_kernelINS0_14default_configENS1_25partition_config_selectorILNS1_17partition_subalgoE8ElNS0_10empty_typeEbEEZZNS1_14partition_implILS5_8ELb0ES3_jPlPS6_PKS6_NS0_5tupleIJS9_S6_EEENSD_IJSA_SA_EEENS0_18inequality_wrapperIZN2at6native12_GLOBAL__N_124unique_dim_cuda_templateIiEESt5tupleIJNSH_6TensorESM_SM_EERKSM_lbbbEUlllE0_EEPmJS6_EEE10hipError_tPvRmT3_T4_T5_T6_T7_T9_mT8_P12ihipStream_tbDpT10_ENKUlT_T0_E_clISt17integral_constantIbLb1EES1B_IbLb0EEEEDaS17_S18_EUlS17_E_NS1_11comp_targetILNS1_3genE4ELNS1_11target_archE910ELNS1_3gpuE8ELNS1_3repE0EEENS1_30default_config_static_selectorELNS0_4arch9wavefront6targetE1EEEvT1_
	.p2align	8
	.type	_ZN7rocprim17ROCPRIM_400000_NS6detail17trampoline_kernelINS0_14default_configENS1_25partition_config_selectorILNS1_17partition_subalgoE8ElNS0_10empty_typeEbEEZZNS1_14partition_implILS5_8ELb0ES3_jPlPS6_PKS6_NS0_5tupleIJS9_S6_EEENSD_IJSA_SA_EEENS0_18inequality_wrapperIZN2at6native12_GLOBAL__N_124unique_dim_cuda_templateIiEESt5tupleIJNSH_6TensorESM_SM_EERKSM_lbbbEUlllE0_EEPmJS6_EEE10hipError_tPvRmT3_T4_T5_T6_T7_T9_mT8_P12ihipStream_tbDpT10_ENKUlT_T0_E_clISt17integral_constantIbLb1EES1B_IbLb0EEEEDaS17_S18_EUlS17_E_NS1_11comp_targetILNS1_3genE4ELNS1_11target_archE910ELNS1_3gpuE8ELNS1_3repE0EEENS1_30default_config_static_selectorELNS0_4arch9wavefront6targetE1EEEvT1_,@function
_ZN7rocprim17ROCPRIM_400000_NS6detail17trampoline_kernelINS0_14default_configENS1_25partition_config_selectorILNS1_17partition_subalgoE8ElNS0_10empty_typeEbEEZZNS1_14partition_implILS5_8ELb0ES3_jPlPS6_PKS6_NS0_5tupleIJS9_S6_EEENSD_IJSA_SA_EEENS0_18inequality_wrapperIZN2at6native12_GLOBAL__N_124unique_dim_cuda_templateIiEESt5tupleIJNSH_6TensorESM_SM_EERKSM_lbbbEUlllE0_EEPmJS6_EEE10hipError_tPvRmT3_T4_T5_T6_T7_T9_mT8_P12ihipStream_tbDpT10_ENKUlT_T0_E_clISt17integral_constantIbLb1EES1B_IbLb0EEEEDaS17_S18_EUlS17_E_NS1_11comp_targetILNS1_3genE4ELNS1_11target_archE910ELNS1_3gpuE8ELNS1_3repE0EEENS1_30default_config_static_selectorELNS0_4arch9wavefront6targetE1EEEvT1_: ; @_ZN7rocprim17ROCPRIM_400000_NS6detail17trampoline_kernelINS0_14default_configENS1_25partition_config_selectorILNS1_17partition_subalgoE8ElNS0_10empty_typeEbEEZZNS1_14partition_implILS5_8ELb0ES3_jPlPS6_PKS6_NS0_5tupleIJS9_S6_EEENSD_IJSA_SA_EEENS0_18inequality_wrapperIZN2at6native12_GLOBAL__N_124unique_dim_cuda_templateIiEESt5tupleIJNSH_6TensorESM_SM_EERKSM_lbbbEUlllE0_EEPmJS6_EEE10hipError_tPvRmT3_T4_T5_T6_T7_T9_mT8_P12ihipStream_tbDpT10_ENKUlT_T0_E_clISt17integral_constantIbLb1EES1B_IbLb0EEEEDaS17_S18_EUlS17_E_NS1_11comp_targetILNS1_3genE4ELNS1_11target_archE910ELNS1_3gpuE8ELNS1_3repE0EEENS1_30default_config_static_selectorELNS0_4arch9wavefront6targetE1EEEvT1_
; %bb.0:
	.section	.rodata,"a",@progbits
	.p2align	6, 0x0
	.amdhsa_kernel _ZN7rocprim17ROCPRIM_400000_NS6detail17trampoline_kernelINS0_14default_configENS1_25partition_config_selectorILNS1_17partition_subalgoE8ElNS0_10empty_typeEbEEZZNS1_14partition_implILS5_8ELb0ES3_jPlPS6_PKS6_NS0_5tupleIJS9_S6_EEENSD_IJSA_SA_EEENS0_18inequality_wrapperIZN2at6native12_GLOBAL__N_124unique_dim_cuda_templateIiEESt5tupleIJNSH_6TensorESM_SM_EERKSM_lbbbEUlllE0_EEPmJS6_EEE10hipError_tPvRmT3_T4_T5_T6_T7_T9_mT8_P12ihipStream_tbDpT10_ENKUlT_T0_E_clISt17integral_constantIbLb1EES1B_IbLb0EEEEDaS17_S18_EUlS17_E_NS1_11comp_targetILNS1_3genE4ELNS1_11target_archE910ELNS1_3gpuE8ELNS1_3repE0EEENS1_30default_config_static_selectorELNS0_4arch9wavefront6targetE1EEEvT1_
		.amdhsa_group_segment_fixed_size 0
		.amdhsa_private_segment_fixed_size 0
		.amdhsa_kernarg_size 120
		.amdhsa_user_sgpr_count 2
		.amdhsa_user_sgpr_dispatch_ptr 0
		.amdhsa_user_sgpr_queue_ptr 0
		.amdhsa_user_sgpr_kernarg_segment_ptr 1
		.amdhsa_user_sgpr_dispatch_id 0
		.amdhsa_user_sgpr_kernarg_preload_length 0
		.amdhsa_user_sgpr_kernarg_preload_offset 0
		.amdhsa_user_sgpr_private_segment_size 0
		.amdhsa_uses_dynamic_stack 0
		.amdhsa_enable_private_segment 0
		.amdhsa_system_sgpr_workgroup_id_x 1
		.amdhsa_system_sgpr_workgroup_id_y 0
		.amdhsa_system_sgpr_workgroup_id_z 0
		.amdhsa_system_sgpr_workgroup_info 0
		.amdhsa_system_vgpr_workitem_id 0
		.amdhsa_next_free_vgpr 1
		.amdhsa_next_free_sgpr 0
		.amdhsa_accum_offset 4
		.amdhsa_reserve_vcc 0
		.amdhsa_float_round_mode_32 0
		.amdhsa_float_round_mode_16_64 0
		.amdhsa_float_denorm_mode_32 3
		.amdhsa_float_denorm_mode_16_64 3
		.amdhsa_dx10_clamp 1
		.amdhsa_ieee_mode 1
		.amdhsa_fp16_overflow 0
		.amdhsa_tg_split 0
		.amdhsa_exception_fp_ieee_invalid_op 0
		.amdhsa_exception_fp_denorm_src 0
		.amdhsa_exception_fp_ieee_div_zero 0
		.amdhsa_exception_fp_ieee_overflow 0
		.amdhsa_exception_fp_ieee_underflow 0
		.amdhsa_exception_fp_ieee_inexact 0
		.amdhsa_exception_int_div_zero 0
	.end_amdhsa_kernel
	.section	.text._ZN7rocprim17ROCPRIM_400000_NS6detail17trampoline_kernelINS0_14default_configENS1_25partition_config_selectorILNS1_17partition_subalgoE8ElNS0_10empty_typeEbEEZZNS1_14partition_implILS5_8ELb0ES3_jPlPS6_PKS6_NS0_5tupleIJS9_S6_EEENSD_IJSA_SA_EEENS0_18inequality_wrapperIZN2at6native12_GLOBAL__N_124unique_dim_cuda_templateIiEESt5tupleIJNSH_6TensorESM_SM_EERKSM_lbbbEUlllE0_EEPmJS6_EEE10hipError_tPvRmT3_T4_T5_T6_T7_T9_mT8_P12ihipStream_tbDpT10_ENKUlT_T0_E_clISt17integral_constantIbLb1EES1B_IbLb0EEEEDaS17_S18_EUlS17_E_NS1_11comp_targetILNS1_3genE4ELNS1_11target_archE910ELNS1_3gpuE8ELNS1_3repE0EEENS1_30default_config_static_selectorELNS0_4arch9wavefront6targetE1EEEvT1_,"axG",@progbits,_ZN7rocprim17ROCPRIM_400000_NS6detail17trampoline_kernelINS0_14default_configENS1_25partition_config_selectorILNS1_17partition_subalgoE8ElNS0_10empty_typeEbEEZZNS1_14partition_implILS5_8ELb0ES3_jPlPS6_PKS6_NS0_5tupleIJS9_S6_EEENSD_IJSA_SA_EEENS0_18inequality_wrapperIZN2at6native12_GLOBAL__N_124unique_dim_cuda_templateIiEESt5tupleIJNSH_6TensorESM_SM_EERKSM_lbbbEUlllE0_EEPmJS6_EEE10hipError_tPvRmT3_T4_T5_T6_T7_T9_mT8_P12ihipStream_tbDpT10_ENKUlT_T0_E_clISt17integral_constantIbLb1EES1B_IbLb0EEEEDaS17_S18_EUlS17_E_NS1_11comp_targetILNS1_3genE4ELNS1_11target_archE910ELNS1_3gpuE8ELNS1_3repE0EEENS1_30default_config_static_selectorELNS0_4arch9wavefront6targetE1EEEvT1_,comdat
.Lfunc_end462:
	.size	_ZN7rocprim17ROCPRIM_400000_NS6detail17trampoline_kernelINS0_14default_configENS1_25partition_config_selectorILNS1_17partition_subalgoE8ElNS0_10empty_typeEbEEZZNS1_14partition_implILS5_8ELb0ES3_jPlPS6_PKS6_NS0_5tupleIJS9_S6_EEENSD_IJSA_SA_EEENS0_18inequality_wrapperIZN2at6native12_GLOBAL__N_124unique_dim_cuda_templateIiEESt5tupleIJNSH_6TensorESM_SM_EERKSM_lbbbEUlllE0_EEPmJS6_EEE10hipError_tPvRmT3_T4_T5_T6_T7_T9_mT8_P12ihipStream_tbDpT10_ENKUlT_T0_E_clISt17integral_constantIbLb1EES1B_IbLb0EEEEDaS17_S18_EUlS17_E_NS1_11comp_targetILNS1_3genE4ELNS1_11target_archE910ELNS1_3gpuE8ELNS1_3repE0EEENS1_30default_config_static_selectorELNS0_4arch9wavefront6targetE1EEEvT1_, .Lfunc_end462-_ZN7rocprim17ROCPRIM_400000_NS6detail17trampoline_kernelINS0_14default_configENS1_25partition_config_selectorILNS1_17partition_subalgoE8ElNS0_10empty_typeEbEEZZNS1_14partition_implILS5_8ELb0ES3_jPlPS6_PKS6_NS0_5tupleIJS9_S6_EEENSD_IJSA_SA_EEENS0_18inequality_wrapperIZN2at6native12_GLOBAL__N_124unique_dim_cuda_templateIiEESt5tupleIJNSH_6TensorESM_SM_EERKSM_lbbbEUlllE0_EEPmJS6_EEE10hipError_tPvRmT3_T4_T5_T6_T7_T9_mT8_P12ihipStream_tbDpT10_ENKUlT_T0_E_clISt17integral_constantIbLb1EES1B_IbLb0EEEEDaS17_S18_EUlS17_E_NS1_11comp_targetILNS1_3genE4ELNS1_11target_archE910ELNS1_3gpuE8ELNS1_3repE0EEENS1_30default_config_static_selectorELNS0_4arch9wavefront6targetE1EEEvT1_
                                        ; -- End function
	.section	.AMDGPU.csdata,"",@progbits
; Kernel info:
; codeLenInByte = 0
; NumSgprs: 6
; NumVgprs: 0
; NumAgprs: 0
; TotalNumVgprs: 0
; ScratchSize: 0
; MemoryBound: 0
; FloatMode: 240
; IeeeMode: 1
; LDSByteSize: 0 bytes/workgroup (compile time only)
; SGPRBlocks: 0
; VGPRBlocks: 0
; NumSGPRsForWavesPerEU: 6
; NumVGPRsForWavesPerEU: 1
; AccumOffset: 4
; Occupancy: 8
; WaveLimiterHint : 0
; COMPUTE_PGM_RSRC2:SCRATCH_EN: 0
; COMPUTE_PGM_RSRC2:USER_SGPR: 2
; COMPUTE_PGM_RSRC2:TRAP_HANDLER: 0
; COMPUTE_PGM_RSRC2:TGID_X_EN: 1
; COMPUTE_PGM_RSRC2:TGID_Y_EN: 0
; COMPUTE_PGM_RSRC2:TGID_Z_EN: 0
; COMPUTE_PGM_RSRC2:TIDIG_COMP_CNT: 0
; COMPUTE_PGM_RSRC3_GFX90A:ACCUM_OFFSET: 0
; COMPUTE_PGM_RSRC3_GFX90A:TG_SPLIT: 0
	.section	.text._ZN7rocprim17ROCPRIM_400000_NS6detail17trampoline_kernelINS0_14default_configENS1_25partition_config_selectorILNS1_17partition_subalgoE8ElNS0_10empty_typeEbEEZZNS1_14partition_implILS5_8ELb0ES3_jPlPS6_PKS6_NS0_5tupleIJS9_S6_EEENSD_IJSA_SA_EEENS0_18inequality_wrapperIZN2at6native12_GLOBAL__N_124unique_dim_cuda_templateIiEESt5tupleIJNSH_6TensorESM_SM_EERKSM_lbbbEUlllE0_EEPmJS6_EEE10hipError_tPvRmT3_T4_T5_T6_T7_T9_mT8_P12ihipStream_tbDpT10_ENKUlT_T0_E_clISt17integral_constantIbLb1EES1B_IbLb0EEEEDaS17_S18_EUlS17_E_NS1_11comp_targetILNS1_3genE3ELNS1_11target_archE908ELNS1_3gpuE7ELNS1_3repE0EEENS1_30default_config_static_selectorELNS0_4arch9wavefront6targetE1EEEvT1_,"axG",@progbits,_ZN7rocprim17ROCPRIM_400000_NS6detail17trampoline_kernelINS0_14default_configENS1_25partition_config_selectorILNS1_17partition_subalgoE8ElNS0_10empty_typeEbEEZZNS1_14partition_implILS5_8ELb0ES3_jPlPS6_PKS6_NS0_5tupleIJS9_S6_EEENSD_IJSA_SA_EEENS0_18inequality_wrapperIZN2at6native12_GLOBAL__N_124unique_dim_cuda_templateIiEESt5tupleIJNSH_6TensorESM_SM_EERKSM_lbbbEUlllE0_EEPmJS6_EEE10hipError_tPvRmT3_T4_T5_T6_T7_T9_mT8_P12ihipStream_tbDpT10_ENKUlT_T0_E_clISt17integral_constantIbLb1EES1B_IbLb0EEEEDaS17_S18_EUlS17_E_NS1_11comp_targetILNS1_3genE3ELNS1_11target_archE908ELNS1_3gpuE7ELNS1_3repE0EEENS1_30default_config_static_selectorELNS0_4arch9wavefront6targetE1EEEvT1_,comdat
	.globl	_ZN7rocprim17ROCPRIM_400000_NS6detail17trampoline_kernelINS0_14default_configENS1_25partition_config_selectorILNS1_17partition_subalgoE8ElNS0_10empty_typeEbEEZZNS1_14partition_implILS5_8ELb0ES3_jPlPS6_PKS6_NS0_5tupleIJS9_S6_EEENSD_IJSA_SA_EEENS0_18inequality_wrapperIZN2at6native12_GLOBAL__N_124unique_dim_cuda_templateIiEESt5tupleIJNSH_6TensorESM_SM_EERKSM_lbbbEUlllE0_EEPmJS6_EEE10hipError_tPvRmT3_T4_T5_T6_T7_T9_mT8_P12ihipStream_tbDpT10_ENKUlT_T0_E_clISt17integral_constantIbLb1EES1B_IbLb0EEEEDaS17_S18_EUlS17_E_NS1_11comp_targetILNS1_3genE3ELNS1_11target_archE908ELNS1_3gpuE7ELNS1_3repE0EEENS1_30default_config_static_selectorELNS0_4arch9wavefront6targetE1EEEvT1_ ; -- Begin function _ZN7rocprim17ROCPRIM_400000_NS6detail17trampoline_kernelINS0_14default_configENS1_25partition_config_selectorILNS1_17partition_subalgoE8ElNS0_10empty_typeEbEEZZNS1_14partition_implILS5_8ELb0ES3_jPlPS6_PKS6_NS0_5tupleIJS9_S6_EEENSD_IJSA_SA_EEENS0_18inequality_wrapperIZN2at6native12_GLOBAL__N_124unique_dim_cuda_templateIiEESt5tupleIJNSH_6TensorESM_SM_EERKSM_lbbbEUlllE0_EEPmJS6_EEE10hipError_tPvRmT3_T4_T5_T6_T7_T9_mT8_P12ihipStream_tbDpT10_ENKUlT_T0_E_clISt17integral_constantIbLb1EES1B_IbLb0EEEEDaS17_S18_EUlS17_E_NS1_11comp_targetILNS1_3genE3ELNS1_11target_archE908ELNS1_3gpuE7ELNS1_3repE0EEENS1_30default_config_static_selectorELNS0_4arch9wavefront6targetE1EEEvT1_
	.p2align	8
	.type	_ZN7rocprim17ROCPRIM_400000_NS6detail17trampoline_kernelINS0_14default_configENS1_25partition_config_selectorILNS1_17partition_subalgoE8ElNS0_10empty_typeEbEEZZNS1_14partition_implILS5_8ELb0ES3_jPlPS6_PKS6_NS0_5tupleIJS9_S6_EEENSD_IJSA_SA_EEENS0_18inequality_wrapperIZN2at6native12_GLOBAL__N_124unique_dim_cuda_templateIiEESt5tupleIJNSH_6TensorESM_SM_EERKSM_lbbbEUlllE0_EEPmJS6_EEE10hipError_tPvRmT3_T4_T5_T6_T7_T9_mT8_P12ihipStream_tbDpT10_ENKUlT_T0_E_clISt17integral_constantIbLb1EES1B_IbLb0EEEEDaS17_S18_EUlS17_E_NS1_11comp_targetILNS1_3genE3ELNS1_11target_archE908ELNS1_3gpuE7ELNS1_3repE0EEENS1_30default_config_static_selectorELNS0_4arch9wavefront6targetE1EEEvT1_,@function
_ZN7rocprim17ROCPRIM_400000_NS6detail17trampoline_kernelINS0_14default_configENS1_25partition_config_selectorILNS1_17partition_subalgoE8ElNS0_10empty_typeEbEEZZNS1_14partition_implILS5_8ELb0ES3_jPlPS6_PKS6_NS0_5tupleIJS9_S6_EEENSD_IJSA_SA_EEENS0_18inequality_wrapperIZN2at6native12_GLOBAL__N_124unique_dim_cuda_templateIiEESt5tupleIJNSH_6TensorESM_SM_EERKSM_lbbbEUlllE0_EEPmJS6_EEE10hipError_tPvRmT3_T4_T5_T6_T7_T9_mT8_P12ihipStream_tbDpT10_ENKUlT_T0_E_clISt17integral_constantIbLb1EES1B_IbLb0EEEEDaS17_S18_EUlS17_E_NS1_11comp_targetILNS1_3genE3ELNS1_11target_archE908ELNS1_3gpuE7ELNS1_3repE0EEENS1_30default_config_static_selectorELNS0_4arch9wavefront6targetE1EEEvT1_: ; @_ZN7rocprim17ROCPRIM_400000_NS6detail17trampoline_kernelINS0_14default_configENS1_25partition_config_selectorILNS1_17partition_subalgoE8ElNS0_10empty_typeEbEEZZNS1_14partition_implILS5_8ELb0ES3_jPlPS6_PKS6_NS0_5tupleIJS9_S6_EEENSD_IJSA_SA_EEENS0_18inequality_wrapperIZN2at6native12_GLOBAL__N_124unique_dim_cuda_templateIiEESt5tupleIJNSH_6TensorESM_SM_EERKSM_lbbbEUlllE0_EEPmJS6_EEE10hipError_tPvRmT3_T4_T5_T6_T7_T9_mT8_P12ihipStream_tbDpT10_ENKUlT_T0_E_clISt17integral_constantIbLb1EES1B_IbLb0EEEEDaS17_S18_EUlS17_E_NS1_11comp_targetILNS1_3genE3ELNS1_11target_archE908ELNS1_3gpuE7ELNS1_3repE0EEENS1_30default_config_static_selectorELNS0_4arch9wavefront6targetE1EEEvT1_
; %bb.0:
	.section	.rodata,"a",@progbits
	.p2align	6, 0x0
	.amdhsa_kernel _ZN7rocprim17ROCPRIM_400000_NS6detail17trampoline_kernelINS0_14default_configENS1_25partition_config_selectorILNS1_17partition_subalgoE8ElNS0_10empty_typeEbEEZZNS1_14partition_implILS5_8ELb0ES3_jPlPS6_PKS6_NS0_5tupleIJS9_S6_EEENSD_IJSA_SA_EEENS0_18inequality_wrapperIZN2at6native12_GLOBAL__N_124unique_dim_cuda_templateIiEESt5tupleIJNSH_6TensorESM_SM_EERKSM_lbbbEUlllE0_EEPmJS6_EEE10hipError_tPvRmT3_T4_T5_T6_T7_T9_mT8_P12ihipStream_tbDpT10_ENKUlT_T0_E_clISt17integral_constantIbLb1EES1B_IbLb0EEEEDaS17_S18_EUlS17_E_NS1_11comp_targetILNS1_3genE3ELNS1_11target_archE908ELNS1_3gpuE7ELNS1_3repE0EEENS1_30default_config_static_selectorELNS0_4arch9wavefront6targetE1EEEvT1_
		.amdhsa_group_segment_fixed_size 0
		.amdhsa_private_segment_fixed_size 0
		.amdhsa_kernarg_size 120
		.amdhsa_user_sgpr_count 2
		.amdhsa_user_sgpr_dispatch_ptr 0
		.amdhsa_user_sgpr_queue_ptr 0
		.amdhsa_user_sgpr_kernarg_segment_ptr 1
		.amdhsa_user_sgpr_dispatch_id 0
		.amdhsa_user_sgpr_kernarg_preload_length 0
		.amdhsa_user_sgpr_kernarg_preload_offset 0
		.amdhsa_user_sgpr_private_segment_size 0
		.amdhsa_uses_dynamic_stack 0
		.amdhsa_enable_private_segment 0
		.amdhsa_system_sgpr_workgroup_id_x 1
		.amdhsa_system_sgpr_workgroup_id_y 0
		.amdhsa_system_sgpr_workgroup_id_z 0
		.amdhsa_system_sgpr_workgroup_info 0
		.amdhsa_system_vgpr_workitem_id 0
		.amdhsa_next_free_vgpr 1
		.amdhsa_next_free_sgpr 0
		.amdhsa_accum_offset 4
		.amdhsa_reserve_vcc 0
		.amdhsa_float_round_mode_32 0
		.amdhsa_float_round_mode_16_64 0
		.amdhsa_float_denorm_mode_32 3
		.amdhsa_float_denorm_mode_16_64 3
		.amdhsa_dx10_clamp 1
		.amdhsa_ieee_mode 1
		.amdhsa_fp16_overflow 0
		.amdhsa_tg_split 0
		.amdhsa_exception_fp_ieee_invalid_op 0
		.amdhsa_exception_fp_denorm_src 0
		.amdhsa_exception_fp_ieee_div_zero 0
		.amdhsa_exception_fp_ieee_overflow 0
		.amdhsa_exception_fp_ieee_underflow 0
		.amdhsa_exception_fp_ieee_inexact 0
		.amdhsa_exception_int_div_zero 0
	.end_amdhsa_kernel
	.section	.text._ZN7rocprim17ROCPRIM_400000_NS6detail17trampoline_kernelINS0_14default_configENS1_25partition_config_selectorILNS1_17partition_subalgoE8ElNS0_10empty_typeEbEEZZNS1_14partition_implILS5_8ELb0ES3_jPlPS6_PKS6_NS0_5tupleIJS9_S6_EEENSD_IJSA_SA_EEENS0_18inequality_wrapperIZN2at6native12_GLOBAL__N_124unique_dim_cuda_templateIiEESt5tupleIJNSH_6TensorESM_SM_EERKSM_lbbbEUlllE0_EEPmJS6_EEE10hipError_tPvRmT3_T4_T5_T6_T7_T9_mT8_P12ihipStream_tbDpT10_ENKUlT_T0_E_clISt17integral_constantIbLb1EES1B_IbLb0EEEEDaS17_S18_EUlS17_E_NS1_11comp_targetILNS1_3genE3ELNS1_11target_archE908ELNS1_3gpuE7ELNS1_3repE0EEENS1_30default_config_static_selectorELNS0_4arch9wavefront6targetE1EEEvT1_,"axG",@progbits,_ZN7rocprim17ROCPRIM_400000_NS6detail17trampoline_kernelINS0_14default_configENS1_25partition_config_selectorILNS1_17partition_subalgoE8ElNS0_10empty_typeEbEEZZNS1_14partition_implILS5_8ELb0ES3_jPlPS6_PKS6_NS0_5tupleIJS9_S6_EEENSD_IJSA_SA_EEENS0_18inequality_wrapperIZN2at6native12_GLOBAL__N_124unique_dim_cuda_templateIiEESt5tupleIJNSH_6TensorESM_SM_EERKSM_lbbbEUlllE0_EEPmJS6_EEE10hipError_tPvRmT3_T4_T5_T6_T7_T9_mT8_P12ihipStream_tbDpT10_ENKUlT_T0_E_clISt17integral_constantIbLb1EES1B_IbLb0EEEEDaS17_S18_EUlS17_E_NS1_11comp_targetILNS1_3genE3ELNS1_11target_archE908ELNS1_3gpuE7ELNS1_3repE0EEENS1_30default_config_static_selectorELNS0_4arch9wavefront6targetE1EEEvT1_,comdat
.Lfunc_end463:
	.size	_ZN7rocprim17ROCPRIM_400000_NS6detail17trampoline_kernelINS0_14default_configENS1_25partition_config_selectorILNS1_17partition_subalgoE8ElNS0_10empty_typeEbEEZZNS1_14partition_implILS5_8ELb0ES3_jPlPS6_PKS6_NS0_5tupleIJS9_S6_EEENSD_IJSA_SA_EEENS0_18inequality_wrapperIZN2at6native12_GLOBAL__N_124unique_dim_cuda_templateIiEESt5tupleIJNSH_6TensorESM_SM_EERKSM_lbbbEUlllE0_EEPmJS6_EEE10hipError_tPvRmT3_T4_T5_T6_T7_T9_mT8_P12ihipStream_tbDpT10_ENKUlT_T0_E_clISt17integral_constantIbLb1EES1B_IbLb0EEEEDaS17_S18_EUlS17_E_NS1_11comp_targetILNS1_3genE3ELNS1_11target_archE908ELNS1_3gpuE7ELNS1_3repE0EEENS1_30default_config_static_selectorELNS0_4arch9wavefront6targetE1EEEvT1_, .Lfunc_end463-_ZN7rocprim17ROCPRIM_400000_NS6detail17trampoline_kernelINS0_14default_configENS1_25partition_config_selectorILNS1_17partition_subalgoE8ElNS0_10empty_typeEbEEZZNS1_14partition_implILS5_8ELb0ES3_jPlPS6_PKS6_NS0_5tupleIJS9_S6_EEENSD_IJSA_SA_EEENS0_18inequality_wrapperIZN2at6native12_GLOBAL__N_124unique_dim_cuda_templateIiEESt5tupleIJNSH_6TensorESM_SM_EERKSM_lbbbEUlllE0_EEPmJS6_EEE10hipError_tPvRmT3_T4_T5_T6_T7_T9_mT8_P12ihipStream_tbDpT10_ENKUlT_T0_E_clISt17integral_constantIbLb1EES1B_IbLb0EEEEDaS17_S18_EUlS17_E_NS1_11comp_targetILNS1_3genE3ELNS1_11target_archE908ELNS1_3gpuE7ELNS1_3repE0EEENS1_30default_config_static_selectorELNS0_4arch9wavefront6targetE1EEEvT1_
                                        ; -- End function
	.section	.AMDGPU.csdata,"",@progbits
; Kernel info:
; codeLenInByte = 0
; NumSgprs: 6
; NumVgprs: 0
; NumAgprs: 0
; TotalNumVgprs: 0
; ScratchSize: 0
; MemoryBound: 0
; FloatMode: 240
; IeeeMode: 1
; LDSByteSize: 0 bytes/workgroup (compile time only)
; SGPRBlocks: 0
; VGPRBlocks: 0
; NumSGPRsForWavesPerEU: 6
; NumVGPRsForWavesPerEU: 1
; AccumOffset: 4
; Occupancy: 8
; WaveLimiterHint : 0
; COMPUTE_PGM_RSRC2:SCRATCH_EN: 0
; COMPUTE_PGM_RSRC2:USER_SGPR: 2
; COMPUTE_PGM_RSRC2:TRAP_HANDLER: 0
; COMPUTE_PGM_RSRC2:TGID_X_EN: 1
; COMPUTE_PGM_RSRC2:TGID_Y_EN: 0
; COMPUTE_PGM_RSRC2:TGID_Z_EN: 0
; COMPUTE_PGM_RSRC2:TIDIG_COMP_CNT: 0
; COMPUTE_PGM_RSRC3_GFX90A:ACCUM_OFFSET: 0
; COMPUTE_PGM_RSRC3_GFX90A:TG_SPLIT: 0
	.section	.text._ZN7rocprim17ROCPRIM_400000_NS6detail17trampoline_kernelINS0_14default_configENS1_25partition_config_selectorILNS1_17partition_subalgoE8ElNS0_10empty_typeEbEEZZNS1_14partition_implILS5_8ELb0ES3_jPlPS6_PKS6_NS0_5tupleIJS9_S6_EEENSD_IJSA_SA_EEENS0_18inequality_wrapperIZN2at6native12_GLOBAL__N_124unique_dim_cuda_templateIiEESt5tupleIJNSH_6TensorESM_SM_EERKSM_lbbbEUlllE0_EEPmJS6_EEE10hipError_tPvRmT3_T4_T5_T6_T7_T9_mT8_P12ihipStream_tbDpT10_ENKUlT_T0_E_clISt17integral_constantIbLb1EES1B_IbLb0EEEEDaS17_S18_EUlS17_E_NS1_11comp_targetILNS1_3genE2ELNS1_11target_archE906ELNS1_3gpuE6ELNS1_3repE0EEENS1_30default_config_static_selectorELNS0_4arch9wavefront6targetE1EEEvT1_,"axG",@progbits,_ZN7rocprim17ROCPRIM_400000_NS6detail17trampoline_kernelINS0_14default_configENS1_25partition_config_selectorILNS1_17partition_subalgoE8ElNS0_10empty_typeEbEEZZNS1_14partition_implILS5_8ELb0ES3_jPlPS6_PKS6_NS0_5tupleIJS9_S6_EEENSD_IJSA_SA_EEENS0_18inequality_wrapperIZN2at6native12_GLOBAL__N_124unique_dim_cuda_templateIiEESt5tupleIJNSH_6TensorESM_SM_EERKSM_lbbbEUlllE0_EEPmJS6_EEE10hipError_tPvRmT3_T4_T5_T6_T7_T9_mT8_P12ihipStream_tbDpT10_ENKUlT_T0_E_clISt17integral_constantIbLb1EES1B_IbLb0EEEEDaS17_S18_EUlS17_E_NS1_11comp_targetILNS1_3genE2ELNS1_11target_archE906ELNS1_3gpuE6ELNS1_3repE0EEENS1_30default_config_static_selectorELNS0_4arch9wavefront6targetE1EEEvT1_,comdat
	.globl	_ZN7rocprim17ROCPRIM_400000_NS6detail17trampoline_kernelINS0_14default_configENS1_25partition_config_selectorILNS1_17partition_subalgoE8ElNS0_10empty_typeEbEEZZNS1_14partition_implILS5_8ELb0ES3_jPlPS6_PKS6_NS0_5tupleIJS9_S6_EEENSD_IJSA_SA_EEENS0_18inequality_wrapperIZN2at6native12_GLOBAL__N_124unique_dim_cuda_templateIiEESt5tupleIJNSH_6TensorESM_SM_EERKSM_lbbbEUlllE0_EEPmJS6_EEE10hipError_tPvRmT3_T4_T5_T6_T7_T9_mT8_P12ihipStream_tbDpT10_ENKUlT_T0_E_clISt17integral_constantIbLb1EES1B_IbLb0EEEEDaS17_S18_EUlS17_E_NS1_11comp_targetILNS1_3genE2ELNS1_11target_archE906ELNS1_3gpuE6ELNS1_3repE0EEENS1_30default_config_static_selectorELNS0_4arch9wavefront6targetE1EEEvT1_ ; -- Begin function _ZN7rocprim17ROCPRIM_400000_NS6detail17trampoline_kernelINS0_14default_configENS1_25partition_config_selectorILNS1_17partition_subalgoE8ElNS0_10empty_typeEbEEZZNS1_14partition_implILS5_8ELb0ES3_jPlPS6_PKS6_NS0_5tupleIJS9_S6_EEENSD_IJSA_SA_EEENS0_18inequality_wrapperIZN2at6native12_GLOBAL__N_124unique_dim_cuda_templateIiEESt5tupleIJNSH_6TensorESM_SM_EERKSM_lbbbEUlllE0_EEPmJS6_EEE10hipError_tPvRmT3_T4_T5_T6_T7_T9_mT8_P12ihipStream_tbDpT10_ENKUlT_T0_E_clISt17integral_constantIbLb1EES1B_IbLb0EEEEDaS17_S18_EUlS17_E_NS1_11comp_targetILNS1_3genE2ELNS1_11target_archE906ELNS1_3gpuE6ELNS1_3repE0EEENS1_30default_config_static_selectorELNS0_4arch9wavefront6targetE1EEEvT1_
	.p2align	8
	.type	_ZN7rocprim17ROCPRIM_400000_NS6detail17trampoline_kernelINS0_14default_configENS1_25partition_config_selectorILNS1_17partition_subalgoE8ElNS0_10empty_typeEbEEZZNS1_14partition_implILS5_8ELb0ES3_jPlPS6_PKS6_NS0_5tupleIJS9_S6_EEENSD_IJSA_SA_EEENS0_18inequality_wrapperIZN2at6native12_GLOBAL__N_124unique_dim_cuda_templateIiEESt5tupleIJNSH_6TensorESM_SM_EERKSM_lbbbEUlllE0_EEPmJS6_EEE10hipError_tPvRmT3_T4_T5_T6_T7_T9_mT8_P12ihipStream_tbDpT10_ENKUlT_T0_E_clISt17integral_constantIbLb1EES1B_IbLb0EEEEDaS17_S18_EUlS17_E_NS1_11comp_targetILNS1_3genE2ELNS1_11target_archE906ELNS1_3gpuE6ELNS1_3repE0EEENS1_30default_config_static_selectorELNS0_4arch9wavefront6targetE1EEEvT1_,@function
_ZN7rocprim17ROCPRIM_400000_NS6detail17trampoline_kernelINS0_14default_configENS1_25partition_config_selectorILNS1_17partition_subalgoE8ElNS0_10empty_typeEbEEZZNS1_14partition_implILS5_8ELb0ES3_jPlPS6_PKS6_NS0_5tupleIJS9_S6_EEENSD_IJSA_SA_EEENS0_18inequality_wrapperIZN2at6native12_GLOBAL__N_124unique_dim_cuda_templateIiEESt5tupleIJNSH_6TensorESM_SM_EERKSM_lbbbEUlllE0_EEPmJS6_EEE10hipError_tPvRmT3_T4_T5_T6_T7_T9_mT8_P12ihipStream_tbDpT10_ENKUlT_T0_E_clISt17integral_constantIbLb1EES1B_IbLb0EEEEDaS17_S18_EUlS17_E_NS1_11comp_targetILNS1_3genE2ELNS1_11target_archE906ELNS1_3gpuE6ELNS1_3repE0EEENS1_30default_config_static_selectorELNS0_4arch9wavefront6targetE1EEEvT1_: ; @_ZN7rocprim17ROCPRIM_400000_NS6detail17trampoline_kernelINS0_14default_configENS1_25partition_config_selectorILNS1_17partition_subalgoE8ElNS0_10empty_typeEbEEZZNS1_14partition_implILS5_8ELb0ES3_jPlPS6_PKS6_NS0_5tupleIJS9_S6_EEENSD_IJSA_SA_EEENS0_18inequality_wrapperIZN2at6native12_GLOBAL__N_124unique_dim_cuda_templateIiEESt5tupleIJNSH_6TensorESM_SM_EERKSM_lbbbEUlllE0_EEPmJS6_EEE10hipError_tPvRmT3_T4_T5_T6_T7_T9_mT8_P12ihipStream_tbDpT10_ENKUlT_T0_E_clISt17integral_constantIbLb1EES1B_IbLb0EEEEDaS17_S18_EUlS17_E_NS1_11comp_targetILNS1_3genE2ELNS1_11target_archE906ELNS1_3gpuE6ELNS1_3repE0EEENS1_30default_config_static_selectorELNS0_4arch9wavefront6targetE1EEEvT1_
; %bb.0:
	.section	.rodata,"a",@progbits
	.p2align	6, 0x0
	.amdhsa_kernel _ZN7rocprim17ROCPRIM_400000_NS6detail17trampoline_kernelINS0_14default_configENS1_25partition_config_selectorILNS1_17partition_subalgoE8ElNS0_10empty_typeEbEEZZNS1_14partition_implILS5_8ELb0ES3_jPlPS6_PKS6_NS0_5tupleIJS9_S6_EEENSD_IJSA_SA_EEENS0_18inequality_wrapperIZN2at6native12_GLOBAL__N_124unique_dim_cuda_templateIiEESt5tupleIJNSH_6TensorESM_SM_EERKSM_lbbbEUlllE0_EEPmJS6_EEE10hipError_tPvRmT3_T4_T5_T6_T7_T9_mT8_P12ihipStream_tbDpT10_ENKUlT_T0_E_clISt17integral_constantIbLb1EES1B_IbLb0EEEEDaS17_S18_EUlS17_E_NS1_11comp_targetILNS1_3genE2ELNS1_11target_archE906ELNS1_3gpuE6ELNS1_3repE0EEENS1_30default_config_static_selectorELNS0_4arch9wavefront6targetE1EEEvT1_
		.amdhsa_group_segment_fixed_size 0
		.amdhsa_private_segment_fixed_size 0
		.amdhsa_kernarg_size 120
		.amdhsa_user_sgpr_count 2
		.amdhsa_user_sgpr_dispatch_ptr 0
		.amdhsa_user_sgpr_queue_ptr 0
		.amdhsa_user_sgpr_kernarg_segment_ptr 1
		.amdhsa_user_sgpr_dispatch_id 0
		.amdhsa_user_sgpr_kernarg_preload_length 0
		.amdhsa_user_sgpr_kernarg_preload_offset 0
		.amdhsa_user_sgpr_private_segment_size 0
		.amdhsa_uses_dynamic_stack 0
		.amdhsa_enable_private_segment 0
		.amdhsa_system_sgpr_workgroup_id_x 1
		.amdhsa_system_sgpr_workgroup_id_y 0
		.amdhsa_system_sgpr_workgroup_id_z 0
		.amdhsa_system_sgpr_workgroup_info 0
		.amdhsa_system_vgpr_workitem_id 0
		.amdhsa_next_free_vgpr 1
		.amdhsa_next_free_sgpr 0
		.amdhsa_accum_offset 4
		.amdhsa_reserve_vcc 0
		.amdhsa_float_round_mode_32 0
		.amdhsa_float_round_mode_16_64 0
		.amdhsa_float_denorm_mode_32 3
		.amdhsa_float_denorm_mode_16_64 3
		.amdhsa_dx10_clamp 1
		.amdhsa_ieee_mode 1
		.amdhsa_fp16_overflow 0
		.amdhsa_tg_split 0
		.amdhsa_exception_fp_ieee_invalid_op 0
		.amdhsa_exception_fp_denorm_src 0
		.amdhsa_exception_fp_ieee_div_zero 0
		.amdhsa_exception_fp_ieee_overflow 0
		.amdhsa_exception_fp_ieee_underflow 0
		.amdhsa_exception_fp_ieee_inexact 0
		.amdhsa_exception_int_div_zero 0
	.end_amdhsa_kernel
	.section	.text._ZN7rocprim17ROCPRIM_400000_NS6detail17trampoline_kernelINS0_14default_configENS1_25partition_config_selectorILNS1_17partition_subalgoE8ElNS0_10empty_typeEbEEZZNS1_14partition_implILS5_8ELb0ES3_jPlPS6_PKS6_NS0_5tupleIJS9_S6_EEENSD_IJSA_SA_EEENS0_18inequality_wrapperIZN2at6native12_GLOBAL__N_124unique_dim_cuda_templateIiEESt5tupleIJNSH_6TensorESM_SM_EERKSM_lbbbEUlllE0_EEPmJS6_EEE10hipError_tPvRmT3_T4_T5_T6_T7_T9_mT8_P12ihipStream_tbDpT10_ENKUlT_T0_E_clISt17integral_constantIbLb1EES1B_IbLb0EEEEDaS17_S18_EUlS17_E_NS1_11comp_targetILNS1_3genE2ELNS1_11target_archE906ELNS1_3gpuE6ELNS1_3repE0EEENS1_30default_config_static_selectorELNS0_4arch9wavefront6targetE1EEEvT1_,"axG",@progbits,_ZN7rocprim17ROCPRIM_400000_NS6detail17trampoline_kernelINS0_14default_configENS1_25partition_config_selectorILNS1_17partition_subalgoE8ElNS0_10empty_typeEbEEZZNS1_14partition_implILS5_8ELb0ES3_jPlPS6_PKS6_NS0_5tupleIJS9_S6_EEENSD_IJSA_SA_EEENS0_18inequality_wrapperIZN2at6native12_GLOBAL__N_124unique_dim_cuda_templateIiEESt5tupleIJNSH_6TensorESM_SM_EERKSM_lbbbEUlllE0_EEPmJS6_EEE10hipError_tPvRmT3_T4_T5_T6_T7_T9_mT8_P12ihipStream_tbDpT10_ENKUlT_T0_E_clISt17integral_constantIbLb1EES1B_IbLb0EEEEDaS17_S18_EUlS17_E_NS1_11comp_targetILNS1_3genE2ELNS1_11target_archE906ELNS1_3gpuE6ELNS1_3repE0EEENS1_30default_config_static_selectorELNS0_4arch9wavefront6targetE1EEEvT1_,comdat
.Lfunc_end464:
	.size	_ZN7rocprim17ROCPRIM_400000_NS6detail17trampoline_kernelINS0_14default_configENS1_25partition_config_selectorILNS1_17partition_subalgoE8ElNS0_10empty_typeEbEEZZNS1_14partition_implILS5_8ELb0ES3_jPlPS6_PKS6_NS0_5tupleIJS9_S6_EEENSD_IJSA_SA_EEENS0_18inequality_wrapperIZN2at6native12_GLOBAL__N_124unique_dim_cuda_templateIiEESt5tupleIJNSH_6TensorESM_SM_EERKSM_lbbbEUlllE0_EEPmJS6_EEE10hipError_tPvRmT3_T4_T5_T6_T7_T9_mT8_P12ihipStream_tbDpT10_ENKUlT_T0_E_clISt17integral_constantIbLb1EES1B_IbLb0EEEEDaS17_S18_EUlS17_E_NS1_11comp_targetILNS1_3genE2ELNS1_11target_archE906ELNS1_3gpuE6ELNS1_3repE0EEENS1_30default_config_static_selectorELNS0_4arch9wavefront6targetE1EEEvT1_, .Lfunc_end464-_ZN7rocprim17ROCPRIM_400000_NS6detail17trampoline_kernelINS0_14default_configENS1_25partition_config_selectorILNS1_17partition_subalgoE8ElNS0_10empty_typeEbEEZZNS1_14partition_implILS5_8ELb0ES3_jPlPS6_PKS6_NS0_5tupleIJS9_S6_EEENSD_IJSA_SA_EEENS0_18inequality_wrapperIZN2at6native12_GLOBAL__N_124unique_dim_cuda_templateIiEESt5tupleIJNSH_6TensorESM_SM_EERKSM_lbbbEUlllE0_EEPmJS6_EEE10hipError_tPvRmT3_T4_T5_T6_T7_T9_mT8_P12ihipStream_tbDpT10_ENKUlT_T0_E_clISt17integral_constantIbLb1EES1B_IbLb0EEEEDaS17_S18_EUlS17_E_NS1_11comp_targetILNS1_3genE2ELNS1_11target_archE906ELNS1_3gpuE6ELNS1_3repE0EEENS1_30default_config_static_selectorELNS0_4arch9wavefront6targetE1EEEvT1_
                                        ; -- End function
	.section	.AMDGPU.csdata,"",@progbits
; Kernel info:
; codeLenInByte = 0
; NumSgprs: 6
; NumVgprs: 0
; NumAgprs: 0
; TotalNumVgprs: 0
; ScratchSize: 0
; MemoryBound: 0
; FloatMode: 240
; IeeeMode: 1
; LDSByteSize: 0 bytes/workgroup (compile time only)
; SGPRBlocks: 0
; VGPRBlocks: 0
; NumSGPRsForWavesPerEU: 6
; NumVGPRsForWavesPerEU: 1
; AccumOffset: 4
; Occupancy: 8
; WaveLimiterHint : 0
; COMPUTE_PGM_RSRC2:SCRATCH_EN: 0
; COMPUTE_PGM_RSRC2:USER_SGPR: 2
; COMPUTE_PGM_RSRC2:TRAP_HANDLER: 0
; COMPUTE_PGM_RSRC2:TGID_X_EN: 1
; COMPUTE_PGM_RSRC2:TGID_Y_EN: 0
; COMPUTE_PGM_RSRC2:TGID_Z_EN: 0
; COMPUTE_PGM_RSRC2:TIDIG_COMP_CNT: 0
; COMPUTE_PGM_RSRC3_GFX90A:ACCUM_OFFSET: 0
; COMPUTE_PGM_RSRC3_GFX90A:TG_SPLIT: 0
	.section	.text._ZN7rocprim17ROCPRIM_400000_NS6detail17trampoline_kernelINS0_14default_configENS1_25partition_config_selectorILNS1_17partition_subalgoE8ElNS0_10empty_typeEbEEZZNS1_14partition_implILS5_8ELb0ES3_jPlPS6_PKS6_NS0_5tupleIJS9_S6_EEENSD_IJSA_SA_EEENS0_18inequality_wrapperIZN2at6native12_GLOBAL__N_124unique_dim_cuda_templateIiEESt5tupleIJNSH_6TensorESM_SM_EERKSM_lbbbEUlllE0_EEPmJS6_EEE10hipError_tPvRmT3_T4_T5_T6_T7_T9_mT8_P12ihipStream_tbDpT10_ENKUlT_T0_E_clISt17integral_constantIbLb1EES1B_IbLb0EEEEDaS17_S18_EUlS17_E_NS1_11comp_targetILNS1_3genE10ELNS1_11target_archE1200ELNS1_3gpuE4ELNS1_3repE0EEENS1_30default_config_static_selectorELNS0_4arch9wavefront6targetE1EEEvT1_,"axG",@progbits,_ZN7rocprim17ROCPRIM_400000_NS6detail17trampoline_kernelINS0_14default_configENS1_25partition_config_selectorILNS1_17partition_subalgoE8ElNS0_10empty_typeEbEEZZNS1_14partition_implILS5_8ELb0ES3_jPlPS6_PKS6_NS0_5tupleIJS9_S6_EEENSD_IJSA_SA_EEENS0_18inequality_wrapperIZN2at6native12_GLOBAL__N_124unique_dim_cuda_templateIiEESt5tupleIJNSH_6TensorESM_SM_EERKSM_lbbbEUlllE0_EEPmJS6_EEE10hipError_tPvRmT3_T4_T5_T6_T7_T9_mT8_P12ihipStream_tbDpT10_ENKUlT_T0_E_clISt17integral_constantIbLb1EES1B_IbLb0EEEEDaS17_S18_EUlS17_E_NS1_11comp_targetILNS1_3genE10ELNS1_11target_archE1200ELNS1_3gpuE4ELNS1_3repE0EEENS1_30default_config_static_selectorELNS0_4arch9wavefront6targetE1EEEvT1_,comdat
	.globl	_ZN7rocprim17ROCPRIM_400000_NS6detail17trampoline_kernelINS0_14default_configENS1_25partition_config_selectorILNS1_17partition_subalgoE8ElNS0_10empty_typeEbEEZZNS1_14partition_implILS5_8ELb0ES3_jPlPS6_PKS6_NS0_5tupleIJS9_S6_EEENSD_IJSA_SA_EEENS0_18inequality_wrapperIZN2at6native12_GLOBAL__N_124unique_dim_cuda_templateIiEESt5tupleIJNSH_6TensorESM_SM_EERKSM_lbbbEUlllE0_EEPmJS6_EEE10hipError_tPvRmT3_T4_T5_T6_T7_T9_mT8_P12ihipStream_tbDpT10_ENKUlT_T0_E_clISt17integral_constantIbLb1EES1B_IbLb0EEEEDaS17_S18_EUlS17_E_NS1_11comp_targetILNS1_3genE10ELNS1_11target_archE1200ELNS1_3gpuE4ELNS1_3repE0EEENS1_30default_config_static_selectorELNS0_4arch9wavefront6targetE1EEEvT1_ ; -- Begin function _ZN7rocprim17ROCPRIM_400000_NS6detail17trampoline_kernelINS0_14default_configENS1_25partition_config_selectorILNS1_17partition_subalgoE8ElNS0_10empty_typeEbEEZZNS1_14partition_implILS5_8ELb0ES3_jPlPS6_PKS6_NS0_5tupleIJS9_S6_EEENSD_IJSA_SA_EEENS0_18inequality_wrapperIZN2at6native12_GLOBAL__N_124unique_dim_cuda_templateIiEESt5tupleIJNSH_6TensorESM_SM_EERKSM_lbbbEUlllE0_EEPmJS6_EEE10hipError_tPvRmT3_T4_T5_T6_T7_T9_mT8_P12ihipStream_tbDpT10_ENKUlT_T0_E_clISt17integral_constantIbLb1EES1B_IbLb0EEEEDaS17_S18_EUlS17_E_NS1_11comp_targetILNS1_3genE10ELNS1_11target_archE1200ELNS1_3gpuE4ELNS1_3repE0EEENS1_30default_config_static_selectorELNS0_4arch9wavefront6targetE1EEEvT1_
	.p2align	8
	.type	_ZN7rocprim17ROCPRIM_400000_NS6detail17trampoline_kernelINS0_14default_configENS1_25partition_config_selectorILNS1_17partition_subalgoE8ElNS0_10empty_typeEbEEZZNS1_14partition_implILS5_8ELb0ES3_jPlPS6_PKS6_NS0_5tupleIJS9_S6_EEENSD_IJSA_SA_EEENS0_18inequality_wrapperIZN2at6native12_GLOBAL__N_124unique_dim_cuda_templateIiEESt5tupleIJNSH_6TensorESM_SM_EERKSM_lbbbEUlllE0_EEPmJS6_EEE10hipError_tPvRmT3_T4_T5_T6_T7_T9_mT8_P12ihipStream_tbDpT10_ENKUlT_T0_E_clISt17integral_constantIbLb1EES1B_IbLb0EEEEDaS17_S18_EUlS17_E_NS1_11comp_targetILNS1_3genE10ELNS1_11target_archE1200ELNS1_3gpuE4ELNS1_3repE0EEENS1_30default_config_static_selectorELNS0_4arch9wavefront6targetE1EEEvT1_,@function
_ZN7rocprim17ROCPRIM_400000_NS6detail17trampoline_kernelINS0_14default_configENS1_25partition_config_selectorILNS1_17partition_subalgoE8ElNS0_10empty_typeEbEEZZNS1_14partition_implILS5_8ELb0ES3_jPlPS6_PKS6_NS0_5tupleIJS9_S6_EEENSD_IJSA_SA_EEENS0_18inequality_wrapperIZN2at6native12_GLOBAL__N_124unique_dim_cuda_templateIiEESt5tupleIJNSH_6TensorESM_SM_EERKSM_lbbbEUlllE0_EEPmJS6_EEE10hipError_tPvRmT3_T4_T5_T6_T7_T9_mT8_P12ihipStream_tbDpT10_ENKUlT_T0_E_clISt17integral_constantIbLb1EES1B_IbLb0EEEEDaS17_S18_EUlS17_E_NS1_11comp_targetILNS1_3genE10ELNS1_11target_archE1200ELNS1_3gpuE4ELNS1_3repE0EEENS1_30default_config_static_selectorELNS0_4arch9wavefront6targetE1EEEvT1_: ; @_ZN7rocprim17ROCPRIM_400000_NS6detail17trampoline_kernelINS0_14default_configENS1_25partition_config_selectorILNS1_17partition_subalgoE8ElNS0_10empty_typeEbEEZZNS1_14partition_implILS5_8ELb0ES3_jPlPS6_PKS6_NS0_5tupleIJS9_S6_EEENSD_IJSA_SA_EEENS0_18inequality_wrapperIZN2at6native12_GLOBAL__N_124unique_dim_cuda_templateIiEESt5tupleIJNSH_6TensorESM_SM_EERKSM_lbbbEUlllE0_EEPmJS6_EEE10hipError_tPvRmT3_T4_T5_T6_T7_T9_mT8_P12ihipStream_tbDpT10_ENKUlT_T0_E_clISt17integral_constantIbLb1EES1B_IbLb0EEEEDaS17_S18_EUlS17_E_NS1_11comp_targetILNS1_3genE10ELNS1_11target_archE1200ELNS1_3gpuE4ELNS1_3repE0EEENS1_30default_config_static_selectorELNS0_4arch9wavefront6targetE1EEEvT1_
; %bb.0:
	.section	.rodata,"a",@progbits
	.p2align	6, 0x0
	.amdhsa_kernel _ZN7rocprim17ROCPRIM_400000_NS6detail17trampoline_kernelINS0_14default_configENS1_25partition_config_selectorILNS1_17partition_subalgoE8ElNS0_10empty_typeEbEEZZNS1_14partition_implILS5_8ELb0ES3_jPlPS6_PKS6_NS0_5tupleIJS9_S6_EEENSD_IJSA_SA_EEENS0_18inequality_wrapperIZN2at6native12_GLOBAL__N_124unique_dim_cuda_templateIiEESt5tupleIJNSH_6TensorESM_SM_EERKSM_lbbbEUlllE0_EEPmJS6_EEE10hipError_tPvRmT3_T4_T5_T6_T7_T9_mT8_P12ihipStream_tbDpT10_ENKUlT_T0_E_clISt17integral_constantIbLb1EES1B_IbLb0EEEEDaS17_S18_EUlS17_E_NS1_11comp_targetILNS1_3genE10ELNS1_11target_archE1200ELNS1_3gpuE4ELNS1_3repE0EEENS1_30default_config_static_selectorELNS0_4arch9wavefront6targetE1EEEvT1_
		.amdhsa_group_segment_fixed_size 0
		.amdhsa_private_segment_fixed_size 0
		.amdhsa_kernarg_size 120
		.amdhsa_user_sgpr_count 2
		.amdhsa_user_sgpr_dispatch_ptr 0
		.amdhsa_user_sgpr_queue_ptr 0
		.amdhsa_user_sgpr_kernarg_segment_ptr 1
		.amdhsa_user_sgpr_dispatch_id 0
		.amdhsa_user_sgpr_kernarg_preload_length 0
		.amdhsa_user_sgpr_kernarg_preload_offset 0
		.amdhsa_user_sgpr_private_segment_size 0
		.amdhsa_uses_dynamic_stack 0
		.amdhsa_enable_private_segment 0
		.amdhsa_system_sgpr_workgroup_id_x 1
		.amdhsa_system_sgpr_workgroup_id_y 0
		.amdhsa_system_sgpr_workgroup_id_z 0
		.amdhsa_system_sgpr_workgroup_info 0
		.amdhsa_system_vgpr_workitem_id 0
		.amdhsa_next_free_vgpr 1
		.amdhsa_next_free_sgpr 0
		.amdhsa_accum_offset 4
		.amdhsa_reserve_vcc 0
		.amdhsa_float_round_mode_32 0
		.amdhsa_float_round_mode_16_64 0
		.amdhsa_float_denorm_mode_32 3
		.amdhsa_float_denorm_mode_16_64 3
		.amdhsa_dx10_clamp 1
		.amdhsa_ieee_mode 1
		.amdhsa_fp16_overflow 0
		.amdhsa_tg_split 0
		.amdhsa_exception_fp_ieee_invalid_op 0
		.amdhsa_exception_fp_denorm_src 0
		.amdhsa_exception_fp_ieee_div_zero 0
		.amdhsa_exception_fp_ieee_overflow 0
		.amdhsa_exception_fp_ieee_underflow 0
		.amdhsa_exception_fp_ieee_inexact 0
		.amdhsa_exception_int_div_zero 0
	.end_amdhsa_kernel
	.section	.text._ZN7rocprim17ROCPRIM_400000_NS6detail17trampoline_kernelINS0_14default_configENS1_25partition_config_selectorILNS1_17partition_subalgoE8ElNS0_10empty_typeEbEEZZNS1_14partition_implILS5_8ELb0ES3_jPlPS6_PKS6_NS0_5tupleIJS9_S6_EEENSD_IJSA_SA_EEENS0_18inequality_wrapperIZN2at6native12_GLOBAL__N_124unique_dim_cuda_templateIiEESt5tupleIJNSH_6TensorESM_SM_EERKSM_lbbbEUlllE0_EEPmJS6_EEE10hipError_tPvRmT3_T4_T5_T6_T7_T9_mT8_P12ihipStream_tbDpT10_ENKUlT_T0_E_clISt17integral_constantIbLb1EES1B_IbLb0EEEEDaS17_S18_EUlS17_E_NS1_11comp_targetILNS1_3genE10ELNS1_11target_archE1200ELNS1_3gpuE4ELNS1_3repE0EEENS1_30default_config_static_selectorELNS0_4arch9wavefront6targetE1EEEvT1_,"axG",@progbits,_ZN7rocprim17ROCPRIM_400000_NS6detail17trampoline_kernelINS0_14default_configENS1_25partition_config_selectorILNS1_17partition_subalgoE8ElNS0_10empty_typeEbEEZZNS1_14partition_implILS5_8ELb0ES3_jPlPS6_PKS6_NS0_5tupleIJS9_S6_EEENSD_IJSA_SA_EEENS0_18inequality_wrapperIZN2at6native12_GLOBAL__N_124unique_dim_cuda_templateIiEESt5tupleIJNSH_6TensorESM_SM_EERKSM_lbbbEUlllE0_EEPmJS6_EEE10hipError_tPvRmT3_T4_T5_T6_T7_T9_mT8_P12ihipStream_tbDpT10_ENKUlT_T0_E_clISt17integral_constantIbLb1EES1B_IbLb0EEEEDaS17_S18_EUlS17_E_NS1_11comp_targetILNS1_3genE10ELNS1_11target_archE1200ELNS1_3gpuE4ELNS1_3repE0EEENS1_30default_config_static_selectorELNS0_4arch9wavefront6targetE1EEEvT1_,comdat
.Lfunc_end465:
	.size	_ZN7rocprim17ROCPRIM_400000_NS6detail17trampoline_kernelINS0_14default_configENS1_25partition_config_selectorILNS1_17partition_subalgoE8ElNS0_10empty_typeEbEEZZNS1_14partition_implILS5_8ELb0ES3_jPlPS6_PKS6_NS0_5tupleIJS9_S6_EEENSD_IJSA_SA_EEENS0_18inequality_wrapperIZN2at6native12_GLOBAL__N_124unique_dim_cuda_templateIiEESt5tupleIJNSH_6TensorESM_SM_EERKSM_lbbbEUlllE0_EEPmJS6_EEE10hipError_tPvRmT3_T4_T5_T6_T7_T9_mT8_P12ihipStream_tbDpT10_ENKUlT_T0_E_clISt17integral_constantIbLb1EES1B_IbLb0EEEEDaS17_S18_EUlS17_E_NS1_11comp_targetILNS1_3genE10ELNS1_11target_archE1200ELNS1_3gpuE4ELNS1_3repE0EEENS1_30default_config_static_selectorELNS0_4arch9wavefront6targetE1EEEvT1_, .Lfunc_end465-_ZN7rocprim17ROCPRIM_400000_NS6detail17trampoline_kernelINS0_14default_configENS1_25partition_config_selectorILNS1_17partition_subalgoE8ElNS0_10empty_typeEbEEZZNS1_14partition_implILS5_8ELb0ES3_jPlPS6_PKS6_NS0_5tupleIJS9_S6_EEENSD_IJSA_SA_EEENS0_18inequality_wrapperIZN2at6native12_GLOBAL__N_124unique_dim_cuda_templateIiEESt5tupleIJNSH_6TensorESM_SM_EERKSM_lbbbEUlllE0_EEPmJS6_EEE10hipError_tPvRmT3_T4_T5_T6_T7_T9_mT8_P12ihipStream_tbDpT10_ENKUlT_T0_E_clISt17integral_constantIbLb1EES1B_IbLb0EEEEDaS17_S18_EUlS17_E_NS1_11comp_targetILNS1_3genE10ELNS1_11target_archE1200ELNS1_3gpuE4ELNS1_3repE0EEENS1_30default_config_static_selectorELNS0_4arch9wavefront6targetE1EEEvT1_
                                        ; -- End function
	.section	.AMDGPU.csdata,"",@progbits
; Kernel info:
; codeLenInByte = 0
; NumSgprs: 6
; NumVgprs: 0
; NumAgprs: 0
; TotalNumVgprs: 0
; ScratchSize: 0
; MemoryBound: 0
; FloatMode: 240
; IeeeMode: 1
; LDSByteSize: 0 bytes/workgroup (compile time only)
; SGPRBlocks: 0
; VGPRBlocks: 0
; NumSGPRsForWavesPerEU: 6
; NumVGPRsForWavesPerEU: 1
; AccumOffset: 4
; Occupancy: 8
; WaveLimiterHint : 0
; COMPUTE_PGM_RSRC2:SCRATCH_EN: 0
; COMPUTE_PGM_RSRC2:USER_SGPR: 2
; COMPUTE_PGM_RSRC2:TRAP_HANDLER: 0
; COMPUTE_PGM_RSRC2:TGID_X_EN: 1
; COMPUTE_PGM_RSRC2:TGID_Y_EN: 0
; COMPUTE_PGM_RSRC2:TGID_Z_EN: 0
; COMPUTE_PGM_RSRC2:TIDIG_COMP_CNT: 0
; COMPUTE_PGM_RSRC3_GFX90A:ACCUM_OFFSET: 0
; COMPUTE_PGM_RSRC3_GFX90A:TG_SPLIT: 0
	.section	.text._ZN7rocprim17ROCPRIM_400000_NS6detail17trampoline_kernelINS0_14default_configENS1_25partition_config_selectorILNS1_17partition_subalgoE8ElNS0_10empty_typeEbEEZZNS1_14partition_implILS5_8ELb0ES3_jPlPS6_PKS6_NS0_5tupleIJS9_S6_EEENSD_IJSA_SA_EEENS0_18inequality_wrapperIZN2at6native12_GLOBAL__N_124unique_dim_cuda_templateIiEESt5tupleIJNSH_6TensorESM_SM_EERKSM_lbbbEUlllE0_EEPmJS6_EEE10hipError_tPvRmT3_T4_T5_T6_T7_T9_mT8_P12ihipStream_tbDpT10_ENKUlT_T0_E_clISt17integral_constantIbLb1EES1B_IbLb0EEEEDaS17_S18_EUlS17_E_NS1_11comp_targetILNS1_3genE9ELNS1_11target_archE1100ELNS1_3gpuE3ELNS1_3repE0EEENS1_30default_config_static_selectorELNS0_4arch9wavefront6targetE1EEEvT1_,"axG",@progbits,_ZN7rocprim17ROCPRIM_400000_NS6detail17trampoline_kernelINS0_14default_configENS1_25partition_config_selectorILNS1_17partition_subalgoE8ElNS0_10empty_typeEbEEZZNS1_14partition_implILS5_8ELb0ES3_jPlPS6_PKS6_NS0_5tupleIJS9_S6_EEENSD_IJSA_SA_EEENS0_18inequality_wrapperIZN2at6native12_GLOBAL__N_124unique_dim_cuda_templateIiEESt5tupleIJNSH_6TensorESM_SM_EERKSM_lbbbEUlllE0_EEPmJS6_EEE10hipError_tPvRmT3_T4_T5_T6_T7_T9_mT8_P12ihipStream_tbDpT10_ENKUlT_T0_E_clISt17integral_constantIbLb1EES1B_IbLb0EEEEDaS17_S18_EUlS17_E_NS1_11comp_targetILNS1_3genE9ELNS1_11target_archE1100ELNS1_3gpuE3ELNS1_3repE0EEENS1_30default_config_static_selectorELNS0_4arch9wavefront6targetE1EEEvT1_,comdat
	.globl	_ZN7rocprim17ROCPRIM_400000_NS6detail17trampoline_kernelINS0_14default_configENS1_25partition_config_selectorILNS1_17partition_subalgoE8ElNS0_10empty_typeEbEEZZNS1_14partition_implILS5_8ELb0ES3_jPlPS6_PKS6_NS0_5tupleIJS9_S6_EEENSD_IJSA_SA_EEENS0_18inequality_wrapperIZN2at6native12_GLOBAL__N_124unique_dim_cuda_templateIiEESt5tupleIJNSH_6TensorESM_SM_EERKSM_lbbbEUlllE0_EEPmJS6_EEE10hipError_tPvRmT3_T4_T5_T6_T7_T9_mT8_P12ihipStream_tbDpT10_ENKUlT_T0_E_clISt17integral_constantIbLb1EES1B_IbLb0EEEEDaS17_S18_EUlS17_E_NS1_11comp_targetILNS1_3genE9ELNS1_11target_archE1100ELNS1_3gpuE3ELNS1_3repE0EEENS1_30default_config_static_selectorELNS0_4arch9wavefront6targetE1EEEvT1_ ; -- Begin function _ZN7rocprim17ROCPRIM_400000_NS6detail17trampoline_kernelINS0_14default_configENS1_25partition_config_selectorILNS1_17partition_subalgoE8ElNS0_10empty_typeEbEEZZNS1_14partition_implILS5_8ELb0ES3_jPlPS6_PKS6_NS0_5tupleIJS9_S6_EEENSD_IJSA_SA_EEENS0_18inequality_wrapperIZN2at6native12_GLOBAL__N_124unique_dim_cuda_templateIiEESt5tupleIJNSH_6TensorESM_SM_EERKSM_lbbbEUlllE0_EEPmJS6_EEE10hipError_tPvRmT3_T4_T5_T6_T7_T9_mT8_P12ihipStream_tbDpT10_ENKUlT_T0_E_clISt17integral_constantIbLb1EES1B_IbLb0EEEEDaS17_S18_EUlS17_E_NS1_11comp_targetILNS1_3genE9ELNS1_11target_archE1100ELNS1_3gpuE3ELNS1_3repE0EEENS1_30default_config_static_selectorELNS0_4arch9wavefront6targetE1EEEvT1_
	.p2align	8
	.type	_ZN7rocprim17ROCPRIM_400000_NS6detail17trampoline_kernelINS0_14default_configENS1_25partition_config_selectorILNS1_17partition_subalgoE8ElNS0_10empty_typeEbEEZZNS1_14partition_implILS5_8ELb0ES3_jPlPS6_PKS6_NS0_5tupleIJS9_S6_EEENSD_IJSA_SA_EEENS0_18inequality_wrapperIZN2at6native12_GLOBAL__N_124unique_dim_cuda_templateIiEESt5tupleIJNSH_6TensorESM_SM_EERKSM_lbbbEUlllE0_EEPmJS6_EEE10hipError_tPvRmT3_T4_T5_T6_T7_T9_mT8_P12ihipStream_tbDpT10_ENKUlT_T0_E_clISt17integral_constantIbLb1EES1B_IbLb0EEEEDaS17_S18_EUlS17_E_NS1_11comp_targetILNS1_3genE9ELNS1_11target_archE1100ELNS1_3gpuE3ELNS1_3repE0EEENS1_30default_config_static_selectorELNS0_4arch9wavefront6targetE1EEEvT1_,@function
_ZN7rocprim17ROCPRIM_400000_NS6detail17trampoline_kernelINS0_14default_configENS1_25partition_config_selectorILNS1_17partition_subalgoE8ElNS0_10empty_typeEbEEZZNS1_14partition_implILS5_8ELb0ES3_jPlPS6_PKS6_NS0_5tupleIJS9_S6_EEENSD_IJSA_SA_EEENS0_18inequality_wrapperIZN2at6native12_GLOBAL__N_124unique_dim_cuda_templateIiEESt5tupleIJNSH_6TensorESM_SM_EERKSM_lbbbEUlllE0_EEPmJS6_EEE10hipError_tPvRmT3_T4_T5_T6_T7_T9_mT8_P12ihipStream_tbDpT10_ENKUlT_T0_E_clISt17integral_constantIbLb1EES1B_IbLb0EEEEDaS17_S18_EUlS17_E_NS1_11comp_targetILNS1_3genE9ELNS1_11target_archE1100ELNS1_3gpuE3ELNS1_3repE0EEENS1_30default_config_static_selectorELNS0_4arch9wavefront6targetE1EEEvT1_: ; @_ZN7rocprim17ROCPRIM_400000_NS6detail17trampoline_kernelINS0_14default_configENS1_25partition_config_selectorILNS1_17partition_subalgoE8ElNS0_10empty_typeEbEEZZNS1_14partition_implILS5_8ELb0ES3_jPlPS6_PKS6_NS0_5tupleIJS9_S6_EEENSD_IJSA_SA_EEENS0_18inequality_wrapperIZN2at6native12_GLOBAL__N_124unique_dim_cuda_templateIiEESt5tupleIJNSH_6TensorESM_SM_EERKSM_lbbbEUlllE0_EEPmJS6_EEE10hipError_tPvRmT3_T4_T5_T6_T7_T9_mT8_P12ihipStream_tbDpT10_ENKUlT_T0_E_clISt17integral_constantIbLb1EES1B_IbLb0EEEEDaS17_S18_EUlS17_E_NS1_11comp_targetILNS1_3genE9ELNS1_11target_archE1100ELNS1_3gpuE3ELNS1_3repE0EEENS1_30default_config_static_selectorELNS0_4arch9wavefront6targetE1EEEvT1_
; %bb.0:
	.section	.rodata,"a",@progbits
	.p2align	6, 0x0
	.amdhsa_kernel _ZN7rocprim17ROCPRIM_400000_NS6detail17trampoline_kernelINS0_14default_configENS1_25partition_config_selectorILNS1_17partition_subalgoE8ElNS0_10empty_typeEbEEZZNS1_14partition_implILS5_8ELb0ES3_jPlPS6_PKS6_NS0_5tupleIJS9_S6_EEENSD_IJSA_SA_EEENS0_18inequality_wrapperIZN2at6native12_GLOBAL__N_124unique_dim_cuda_templateIiEESt5tupleIJNSH_6TensorESM_SM_EERKSM_lbbbEUlllE0_EEPmJS6_EEE10hipError_tPvRmT3_T4_T5_T6_T7_T9_mT8_P12ihipStream_tbDpT10_ENKUlT_T0_E_clISt17integral_constantIbLb1EES1B_IbLb0EEEEDaS17_S18_EUlS17_E_NS1_11comp_targetILNS1_3genE9ELNS1_11target_archE1100ELNS1_3gpuE3ELNS1_3repE0EEENS1_30default_config_static_selectorELNS0_4arch9wavefront6targetE1EEEvT1_
		.amdhsa_group_segment_fixed_size 0
		.amdhsa_private_segment_fixed_size 0
		.amdhsa_kernarg_size 120
		.amdhsa_user_sgpr_count 2
		.amdhsa_user_sgpr_dispatch_ptr 0
		.amdhsa_user_sgpr_queue_ptr 0
		.amdhsa_user_sgpr_kernarg_segment_ptr 1
		.amdhsa_user_sgpr_dispatch_id 0
		.amdhsa_user_sgpr_kernarg_preload_length 0
		.amdhsa_user_sgpr_kernarg_preload_offset 0
		.amdhsa_user_sgpr_private_segment_size 0
		.amdhsa_uses_dynamic_stack 0
		.amdhsa_enable_private_segment 0
		.amdhsa_system_sgpr_workgroup_id_x 1
		.amdhsa_system_sgpr_workgroup_id_y 0
		.amdhsa_system_sgpr_workgroup_id_z 0
		.amdhsa_system_sgpr_workgroup_info 0
		.amdhsa_system_vgpr_workitem_id 0
		.amdhsa_next_free_vgpr 1
		.amdhsa_next_free_sgpr 0
		.amdhsa_accum_offset 4
		.amdhsa_reserve_vcc 0
		.amdhsa_float_round_mode_32 0
		.amdhsa_float_round_mode_16_64 0
		.amdhsa_float_denorm_mode_32 3
		.amdhsa_float_denorm_mode_16_64 3
		.amdhsa_dx10_clamp 1
		.amdhsa_ieee_mode 1
		.amdhsa_fp16_overflow 0
		.amdhsa_tg_split 0
		.amdhsa_exception_fp_ieee_invalid_op 0
		.amdhsa_exception_fp_denorm_src 0
		.amdhsa_exception_fp_ieee_div_zero 0
		.amdhsa_exception_fp_ieee_overflow 0
		.amdhsa_exception_fp_ieee_underflow 0
		.amdhsa_exception_fp_ieee_inexact 0
		.amdhsa_exception_int_div_zero 0
	.end_amdhsa_kernel
	.section	.text._ZN7rocprim17ROCPRIM_400000_NS6detail17trampoline_kernelINS0_14default_configENS1_25partition_config_selectorILNS1_17partition_subalgoE8ElNS0_10empty_typeEbEEZZNS1_14partition_implILS5_8ELb0ES3_jPlPS6_PKS6_NS0_5tupleIJS9_S6_EEENSD_IJSA_SA_EEENS0_18inequality_wrapperIZN2at6native12_GLOBAL__N_124unique_dim_cuda_templateIiEESt5tupleIJNSH_6TensorESM_SM_EERKSM_lbbbEUlllE0_EEPmJS6_EEE10hipError_tPvRmT3_T4_T5_T6_T7_T9_mT8_P12ihipStream_tbDpT10_ENKUlT_T0_E_clISt17integral_constantIbLb1EES1B_IbLb0EEEEDaS17_S18_EUlS17_E_NS1_11comp_targetILNS1_3genE9ELNS1_11target_archE1100ELNS1_3gpuE3ELNS1_3repE0EEENS1_30default_config_static_selectorELNS0_4arch9wavefront6targetE1EEEvT1_,"axG",@progbits,_ZN7rocprim17ROCPRIM_400000_NS6detail17trampoline_kernelINS0_14default_configENS1_25partition_config_selectorILNS1_17partition_subalgoE8ElNS0_10empty_typeEbEEZZNS1_14partition_implILS5_8ELb0ES3_jPlPS6_PKS6_NS0_5tupleIJS9_S6_EEENSD_IJSA_SA_EEENS0_18inequality_wrapperIZN2at6native12_GLOBAL__N_124unique_dim_cuda_templateIiEESt5tupleIJNSH_6TensorESM_SM_EERKSM_lbbbEUlllE0_EEPmJS6_EEE10hipError_tPvRmT3_T4_T5_T6_T7_T9_mT8_P12ihipStream_tbDpT10_ENKUlT_T0_E_clISt17integral_constantIbLb1EES1B_IbLb0EEEEDaS17_S18_EUlS17_E_NS1_11comp_targetILNS1_3genE9ELNS1_11target_archE1100ELNS1_3gpuE3ELNS1_3repE0EEENS1_30default_config_static_selectorELNS0_4arch9wavefront6targetE1EEEvT1_,comdat
.Lfunc_end466:
	.size	_ZN7rocprim17ROCPRIM_400000_NS6detail17trampoline_kernelINS0_14default_configENS1_25partition_config_selectorILNS1_17partition_subalgoE8ElNS0_10empty_typeEbEEZZNS1_14partition_implILS5_8ELb0ES3_jPlPS6_PKS6_NS0_5tupleIJS9_S6_EEENSD_IJSA_SA_EEENS0_18inequality_wrapperIZN2at6native12_GLOBAL__N_124unique_dim_cuda_templateIiEESt5tupleIJNSH_6TensorESM_SM_EERKSM_lbbbEUlllE0_EEPmJS6_EEE10hipError_tPvRmT3_T4_T5_T6_T7_T9_mT8_P12ihipStream_tbDpT10_ENKUlT_T0_E_clISt17integral_constantIbLb1EES1B_IbLb0EEEEDaS17_S18_EUlS17_E_NS1_11comp_targetILNS1_3genE9ELNS1_11target_archE1100ELNS1_3gpuE3ELNS1_3repE0EEENS1_30default_config_static_selectorELNS0_4arch9wavefront6targetE1EEEvT1_, .Lfunc_end466-_ZN7rocprim17ROCPRIM_400000_NS6detail17trampoline_kernelINS0_14default_configENS1_25partition_config_selectorILNS1_17partition_subalgoE8ElNS0_10empty_typeEbEEZZNS1_14partition_implILS5_8ELb0ES3_jPlPS6_PKS6_NS0_5tupleIJS9_S6_EEENSD_IJSA_SA_EEENS0_18inequality_wrapperIZN2at6native12_GLOBAL__N_124unique_dim_cuda_templateIiEESt5tupleIJNSH_6TensorESM_SM_EERKSM_lbbbEUlllE0_EEPmJS6_EEE10hipError_tPvRmT3_T4_T5_T6_T7_T9_mT8_P12ihipStream_tbDpT10_ENKUlT_T0_E_clISt17integral_constantIbLb1EES1B_IbLb0EEEEDaS17_S18_EUlS17_E_NS1_11comp_targetILNS1_3genE9ELNS1_11target_archE1100ELNS1_3gpuE3ELNS1_3repE0EEENS1_30default_config_static_selectorELNS0_4arch9wavefront6targetE1EEEvT1_
                                        ; -- End function
	.section	.AMDGPU.csdata,"",@progbits
; Kernel info:
; codeLenInByte = 0
; NumSgprs: 6
; NumVgprs: 0
; NumAgprs: 0
; TotalNumVgprs: 0
; ScratchSize: 0
; MemoryBound: 0
; FloatMode: 240
; IeeeMode: 1
; LDSByteSize: 0 bytes/workgroup (compile time only)
; SGPRBlocks: 0
; VGPRBlocks: 0
; NumSGPRsForWavesPerEU: 6
; NumVGPRsForWavesPerEU: 1
; AccumOffset: 4
; Occupancy: 8
; WaveLimiterHint : 0
; COMPUTE_PGM_RSRC2:SCRATCH_EN: 0
; COMPUTE_PGM_RSRC2:USER_SGPR: 2
; COMPUTE_PGM_RSRC2:TRAP_HANDLER: 0
; COMPUTE_PGM_RSRC2:TGID_X_EN: 1
; COMPUTE_PGM_RSRC2:TGID_Y_EN: 0
; COMPUTE_PGM_RSRC2:TGID_Z_EN: 0
; COMPUTE_PGM_RSRC2:TIDIG_COMP_CNT: 0
; COMPUTE_PGM_RSRC3_GFX90A:ACCUM_OFFSET: 0
; COMPUTE_PGM_RSRC3_GFX90A:TG_SPLIT: 0
	.section	.text._ZN7rocprim17ROCPRIM_400000_NS6detail17trampoline_kernelINS0_14default_configENS1_25partition_config_selectorILNS1_17partition_subalgoE8ElNS0_10empty_typeEbEEZZNS1_14partition_implILS5_8ELb0ES3_jPlPS6_PKS6_NS0_5tupleIJS9_S6_EEENSD_IJSA_SA_EEENS0_18inequality_wrapperIZN2at6native12_GLOBAL__N_124unique_dim_cuda_templateIiEESt5tupleIJNSH_6TensorESM_SM_EERKSM_lbbbEUlllE0_EEPmJS6_EEE10hipError_tPvRmT3_T4_T5_T6_T7_T9_mT8_P12ihipStream_tbDpT10_ENKUlT_T0_E_clISt17integral_constantIbLb1EES1B_IbLb0EEEEDaS17_S18_EUlS17_E_NS1_11comp_targetILNS1_3genE8ELNS1_11target_archE1030ELNS1_3gpuE2ELNS1_3repE0EEENS1_30default_config_static_selectorELNS0_4arch9wavefront6targetE1EEEvT1_,"axG",@progbits,_ZN7rocprim17ROCPRIM_400000_NS6detail17trampoline_kernelINS0_14default_configENS1_25partition_config_selectorILNS1_17partition_subalgoE8ElNS0_10empty_typeEbEEZZNS1_14partition_implILS5_8ELb0ES3_jPlPS6_PKS6_NS0_5tupleIJS9_S6_EEENSD_IJSA_SA_EEENS0_18inequality_wrapperIZN2at6native12_GLOBAL__N_124unique_dim_cuda_templateIiEESt5tupleIJNSH_6TensorESM_SM_EERKSM_lbbbEUlllE0_EEPmJS6_EEE10hipError_tPvRmT3_T4_T5_T6_T7_T9_mT8_P12ihipStream_tbDpT10_ENKUlT_T0_E_clISt17integral_constantIbLb1EES1B_IbLb0EEEEDaS17_S18_EUlS17_E_NS1_11comp_targetILNS1_3genE8ELNS1_11target_archE1030ELNS1_3gpuE2ELNS1_3repE0EEENS1_30default_config_static_selectorELNS0_4arch9wavefront6targetE1EEEvT1_,comdat
	.globl	_ZN7rocprim17ROCPRIM_400000_NS6detail17trampoline_kernelINS0_14default_configENS1_25partition_config_selectorILNS1_17partition_subalgoE8ElNS0_10empty_typeEbEEZZNS1_14partition_implILS5_8ELb0ES3_jPlPS6_PKS6_NS0_5tupleIJS9_S6_EEENSD_IJSA_SA_EEENS0_18inequality_wrapperIZN2at6native12_GLOBAL__N_124unique_dim_cuda_templateIiEESt5tupleIJNSH_6TensorESM_SM_EERKSM_lbbbEUlllE0_EEPmJS6_EEE10hipError_tPvRmT3_T4_T5_T6_T7_T9_mT8_P12ihipStream_tbDpT10_ENKUlT_T0_E_clISt17integral_constantIbLb1EES1B_IbLb0EEEEDaS17_S18_EUlS17_E_NS1_11comp_targetILNS1_3genE8ELNS1_11target_archE1030ELNS1_3gpuE2ELNS1_3repE0EEENS1_30default_config_static_selectorELNS0_4arch9wavefront6targetE1EEEvT1_ ; -- Begin function _ZN7rocprim17ROCPRIM_400000_NS6detail17trampoline_kernelINS0_14default_configENS1_25partition_config_selectorILNS1_17partition_subalgoE8ElNS0_10empty_typeEbEEZZNS1_14partition_implILS5_8ELb0ES3_jPlPS6_PKS6_NS0_5tupleIJS9_S6_EEENSD_IJSA_SA_EEENS0_18inequality_wrapperIZN2at6native12_GLOBAL__N_124unique_dim_cuda_templateIiEESt5tupleIJNSH_6TensorESM_SM_EERKSM_lbbbEUlllE0_EEPmJS6_EEE10hipError_tPvRmT3_T4_T5_T6_T7_T9_mT8_P12ihipStream_tbDpT10_ENKUlT_T0_E_clISt17integral_constantIbLb1EES1B_IbLb0EEEEDaS17_S18_EUlS17_E_NS1_11comp_targetILNS1_3genE8ELNS1_11target_archE1030ELNS1_3gpuE2ELNS1_3repE0EEENS1_30default_config_static_selectorELNS0_4arch9wavefront6targetE1EEEvT1_
	.p2align	8
	.type	_ZN7rocprim17ROCPRIM_400000_NS6detail17trampoline_kernelINS0_14default_configENS1_25partition_config_selectorILNS1_17partition_subalgoE8ElNS0_10empty_typeEbEEZZNS1_14partition_implILS5_8ELb0ES3_jPlPS6_PKS6_NS0_5tupleIJS9_S6_EEENSD_IJSA_SA_EEENS0_18inequality_wrapperIZN2at6native12_GLOBAL__N_124unique_dim_cuda_templateIiEESt5tupleIJNSH_6TensorESM_SM_EERKSM_lbbbEUlllE0_EEPmJS6_EEE10hipError_tPvRmT3_T4_T5_T6_T7_T9_mT8_P12ihipStream_tbDpT10_ENKUlT_T0_E_clISt17integral_constantIbLb1EES1B_IbLb0EEEEDaS17_S18_EUlS17_E_NS1_11comp_targetILNS1_3genE8ELNS1_11target_archE1030ELNS1_3gpuE2ELNS1_3repE0EEENS1_30default_config_static_selectorELNS0_4arch9wavefront6targetE1EEEvT1_,@function
_ZN7rocprim17ROCPRIM_400000_NS6detail17trampoline_kernelINS0_14default_configENS1_25partition_config_selectorILNS1_17partition_subalgoE8ElNS0_10empty_typeEbEEZZNS1_14partition_implILS5_8ELb0ES3_jPlPS6_PKS6_NS0_5tupleIJS9_S6_EEENSD_IJSA_SA_EEENS0_18inequality_wrapperIZN2at6native12_GLOBAL__N_124unique_dim_cuda_templateIiEESt5tupleIJNSH_6TensorESM_SM_EERKSM_lbbbEUlllE0_EEPmJS6_EEE10hipError_tPvRmT3_T4_T5_T6_T7_T9_mT8_P12ihipStream_tbDpT10_ENKUlT_T0_E_clISt17integral_constantIbLb1EES1B_IbLb0EEEEDaS17_S18_EUlS17_E_NS1_11comp_targetILNS1_3genE8ELNS1_11target_archE1030ELNS1_3gpuE2ELNS1_3repE0EEENS1_30default_config_static_selectorELNS0_4arch9wavefront6targetE1EEEvT1_: ; @_ZN7rocprim17ROCPRIM_400000_NS6detail17trampoline_kernelINS0_14default_configENS1_25partition_config_selectorILNS1_17partition_subalgoE8ElNS0_10empty_typeEbEEZZNS1_14partition_implILS5_8ELb0ES3_jPlPS6_PKS6_NS0_5tupleIJS9_S6_EEENSD_IJSA_SA_EEENS0_18inequality_wrapperIZN2at6native12_GLOBAL__N_124unique_dim_cuda_templateIiEESt5tupleIJNSH_6TensorESM_SM_EERKSM_lbbbEUlllE0_EEPmJS6_EEE10hipError_tPvRmT3_T4_T5_T6_T7_T9_mT8_P12ihipStream_tbDpT10_ENKUlT_T0_E_clISt17integral_constantIbLb1EES1B_IbLb0EEEEDaS17_S18_EUlS17_E_NS1_11comp_targetILNS1_3genE8ELNS1_11target_archE1030ELNS1_3gpuE2ELNS1_3repE0EEENS1_30default_config_static_selectorELNS0_4arch9wavefront6targetE1EEEvT1_
; %bb.0:
	.section	.rodata,"a",@progbits
	.p2align	6, 0x0
	.amdhsa_kernel _ZN7rocprim17ROCPRIM_400000_NS6detail17trampoline_kernelINS0_14default_configENS1_25partition_config_selectorILNS1_17partition_subalgoE8ElNS0_10empty_typeEbEEZZNS1_14partition_implILS5_8ELb0ES3_jPlPS6_PKS6_NS0_5tupleIJS9_S6_EEENSD_IJSA_SA_EEENS0_18inequality_wrapperIZN2at6native12_GLOBAL__N_124unique_dim_cuda_templateIiEESt5tupleIJNSH_6TensorESM_SM_EERKSM_lbbbEUlllE0_EEPmJS6_EEE10hipError_tPvRmT3_T4_T5_T6_T7_T9_mT8_P12ihipStream_tbDpT10_ENKUlT_T0_E_clISt17integral_constantIbLb1EES1B_IbLb0EEEEDaS17_S18_EUlS17_E_NS1_11comp_targetILNS1_3genE8ELNS1_11target_archE1030ELNS1_3gpuE2ELNS1_3repE0EEENS1_30default_config_static_selectorELNS0_4arch9wavefront6targetE1EEEvT1_
		.amdhsa_group_segment_fixed_size 0
		.amdhsa_private_segment_fixed_size 0
		.amdhsa_kernarg_size 120
		.amdhsa_user_sgpr_count 2
		.amdhsa_user_sgpr_dispatch_ptr 0
		.amdhsa_user_sgpr_queue_ptr 0
		.amdhsa_user_sgpr_kernarg_segment_ptr 1
		.amdhsa_user_sgpr_dispatch_id 0
		.amdhsa_user_sgpr_kernarg_preload_length 0
		.amdhsa_user_sgpr_kernarg_preload_offset 0
		.amdhsa_user_sgpr_private_segment_size 0
		.amdhsa_uses_dynamic_stack 0
		.amdhsa_enable_private_segment 0
		.amdhsa_system_sgpr_workgroup_id_x 1
		.amdhsa_system_sgpr_workgroup_id_y 0
		.amdhsa_system_sgpr_workgroup_id_z 0
		.amdhsa_system_sgpr_workgroup_info 0
		.amdhsa_system_vgpr_workitem_id 0
		.amdhsa_next_free_vgpr 1
		.amdhsa_next_free_sgpr 0
		.amdhsa_accum_offset 4
		.amdhsa_reserve_vcc 0
		.amdhsa_float_round_mode_32 0
		.amdhsa_float_round_mode_16_64 0
		.amdhsa_float_denorm_mode_32 3
		.amdhsa_float_denorm_mode_16_64 3
		.amdhsa_dx10_clamp 1
		.amdhsa_ieee_mode 1
		.amdhsa_fp16_overflow 0
		.amdhsa_tg_split 0
		.amdhsa_exception_fp_ieee_invalid_op 0
		.amdhsa_exception_fp_denorm_src 0
		.amdhsa_exception_fp_ieee_div_zero 0
		.amdhsa_exception_fp_ieee_overflow 0
		.amdhsa_exception_fp_ieee_underflow 0
		.amdhsa_exception_fp_ieee_inexact 0
		.amdhsa_exception_int_div_zero 0
	.end_amdhsa_kernel
	.section	.text._ZN7rocprim17ROCPRIM_400000_NS6detail17trampoline_kernelINS0_14default_configENS1_25partition_config_selectorILNS1_17partition_subalgoE8ElNS0_10empty_typeEbEEZZNS1_14partition_implILS5_8ELb0ES3_jPlPS6_PKS6_NS0_5tupleIJS9_S6_EEENSD_IJSA_SA_EEENS0_18inequality_wrapperIZN2at6native12_GLOBAL__N_124unique_dim_cuda_templateIiEESt5tupleIJNSH_6TensorESM_SM_EERKSM_lbbbEUlllE0_EEPmJS6_EEE10hipError_tPvRmT3_T4_T5_T6_T7_T9_mT8_P12ihipStream_tbDpT10_ENKUlT_T0_E_clISt17integral_constantIbLb1EES1B_IbLb0EEEEDaS17_S18_EUlS17_E_NS1_11comp_targetILNS1_3genE8ELNS1_11target_archE1030ELNS1_3gpuE2ELNS1_3repE0EEENS1_30default_config_static_selectorELNS0_4arch9wavefront6targetE1EEEvT1_,"axG",@progbits,_ZN7rocprim17ROCPRIM_400000_NS6detail17trampoline_kernelINS0_14default_configENS1_25partition_config_selectorILNS1_17partition_subalgoE8ElNS0_10empty_typeEbEEZZNS1_14partition_implILS5_8ELb0ES3_jPlPS6_PKS6_NS0_5tupleIJS9_S6_EEENSD_IJSA_SA_EEENS0_18inequality_wrapperIZN2at6native12_GLOBAL__N_124unique_dim_cuda_templateIiEESt5tupleIJNSH_6TensorESM_SM_EERKSM_lbbbEUlllE0_EEPmJS6_EEE10hipError_tPvRmT3_T4_T5_T6_T7_T9_mT8_P12ihipStream_tbDpT10_ENKUlT_T0_E_clISt17integral_constantIbLb1EES1B_IbLb0EEEEDaS17_S18_EUlS17_E_NS1_11comp_targetILNS1_3genE8ELNS1_11target_archE1030ELNS1_3gpuE2ELNS1_3repE0EEENS1_30default_config_static_selectorELNS0_4arch9wavefront6targetE1EEEvT1_,comdat
.Lfunc_end467:
	.size	_ZN7rocprim17ROCPRIM_400000_NS6detail17trampoline_kernelINS0_14default_configENS1_25partition_config_selectorILNS1_17partition_subalgoE8ElNS0_10empty_typeEbEEZZNS1_14partition_implILS5_8ELb0ES3_jPlPS6_PKS6_NS0_5tupleIJS9_S6_EEENSD_IJSA_SA_EEENS0_18inequality_wrapperIZN2at6native12_GLOBAL__N_124unique_dim_cuda_templateIiEESt5tupleIJNSH_6TensorESM_SM_EERKSM_lbbbEUlllE0_EEPmJS6_EEE10hipError_tPvRmT3_T4_T5_T6_T7_T9_mT8_P12ihipStream_tbDpT10_ENKUlT_T0_E_clISt17integral_constantIbLb1EES1B_IbLb0EEEEDaS17_S18_EUlS17_E_NS1_11comp_targetILNS1_3genE8ELNS1_11target_archE1030ELNS1_3gpuE2ELNS1_3repE0EEENS1_30default_config_static_selectorELNS0_4arch9wavefront6targetE1EEEvT1_, .Lfunc_end467-_ZN7rocprim17ROCPRIM_400000_NS6detail17trampoline_kernelINS0_14default_configENS1_25partition_config_selectorILNS1_17partition_subalgoE8ElNS0_10empty_typeEbEEZZNS1_14partition_implILS5_8ELb0ES3_jPlPS6_PKS6_NS0_5tupleIJS9_S6_EEENSD_IJSA_SA_EEENS0_18inequality_wrapperIZN2at6native12_GLOBAL__N_124unique_dim_cuda_templateIiEESt5tupleIJNSH_6TensorESM_SM_EERKSM_lbbbEUlllE0_EEPmJS6_EEE10hipError_tPvRmT3_T4_T5_T6_T7_T9_mT8_P12ihipStream_tbDpT10_ENKUlT_T0_E_clISt17integral_constantIbLb1EES1B_IbLb0EEEEDaS17_S18_EUlS17_E_NS1_11comp_targetILNS1_3genE8ELNS1_11target_archE1030ELNS1_3gpuE2ELNS1_3repE0EEENS1_30default_config_static_selectorELNS0_4arch9wavefront6targetE1EEEvT1_
                                        ; -- End function
	.section	.AMDGPU.csdata,"",@progbits
; Kernel info:
; codeLenInByte = 0
; NumSgprs: 6
; NumVgprs: 0
; NumAgprs: 0
; TotalNumVgprs: 0
; ScratchSize: 0
; MemoryBound: 0
; FloatMode: 240
; IeeeMode: 1
; LDSByteSize: 0 bytes/workgroup (compile time only)
; SGPRBlocks: 0
; VGPRBlocks: 0
; NumSGPRsForWavesPerEU: 6
; NumVGPRsForWavesPerEU: 1
; AccumOffset: 4
; Occupancy: 8
; WaveLimiterHint : 0
; COMPUTE_PGM_RSRC2:SCRATCH_EN: 0
; COMPUTE_PGM_RSRC2:USER_SGPR: 2
; COMPUTE_PGM_RSRC2:TRAP_HANDLER: 0
; COMPUTE_PGM_RSRC2:TGID_X_EN: 1
; COMPUTE_PGM_RSRC2:TGID_Y_EN: 0
; COMPUTE_PGM_RSRC2:TGID_Z_EN: 0
; COMPUTE_PGM_RSRC2:TIDIG_COMP_CNT: 0
; COMPUTE_PGM_RSRC3_GFX90A:ACCUM_OFFSET: 0
; COMPUTE_PGM_RSRC3_GFX90A:TG_SPLIT: 0
	.section	.text._ZN7rocprim17ROCPRIM_400000_NS6detail17trampoline_kernelINS0_14default_configENS1_25partition_config_selectorILNS1_17partition_subalgoE8ElNS0_10empty_typeEbEEZZNS1_14partition_implILS5_8ELb0ES3_jPlPS6_PKS6_NS0_5tupleIJS9_S6_EEENSD_IJSA_SA_EEENS0_18inequality_wrapperIZN2at6native12_GLOBAL__N_124unique_dim_cuda_templateIiEESt5tupleIJNSH_6TensorESM_SM_EERKSM_lbbbEUlllE0_EEPmJS6_EEE10hipError_tPvRmT3_T4_T5_T6_T7_T9_mT8_P12ihipStream_tbDpT10_ENKUlT_T0_E_clISt17integral_constantIbLb0EES1B_IbLb1EEEEDaS17_S18_EUlS17_E_NS1_11comp_targetILNS1_3genE0ELNS1_11target_archE4294967295ELNS1_3gpuE0ELNS1_3repE0EEENS1_30default_config_static_selectorELNS0_4arch9wavefront6targetE1EEEvT1_,"axG",@progbits,_ZN7rocprim17ROCPRIM_400000_NS6detail17trampoline_kernelINS0_14default_configENS1_25partition_config_selectorILNS1_17partition_subalgoE8ElNS0_10empty_typeEbEEZZNS1_14partition_implILS5_8ELb0ES3_jPlPS6_PKS6_NS0_5tupleIJS9_S6_EEENSD_IJSA_SA_EEENS0_18inequality_wrapperIZN2at6native12_GLOBAL__N_124unique_dim_cuda_templateIiEESt5tupleIJNSH_6TensorESM_SM_EERKSM_lbbbEUlllE0_EEPmJS6_EEE10hipError_tPvRmT3_T4_T5_T6_T7_T9_mT8_P12ihipStream_tbDpT10_ENKUlT_T0_E_clISt17integral_constantIbLb0EES1B_IbLb1EEEEDaS17_S18_EUlS17_E_NS1_11comp_targetILNS1_3genE0ELNS1_11target_archE4294967295ELNS1_3gpuE0ELNS1_3repE0EEENS1_30default_config_static_selectorELNS0_4arch9wavefront6targetE1EEEvT1_,comdat
	.globl	_ZN7rocprim17ROCPRIM_400000_NS6detail17trampoline_kernelINS0_14default_configENS1_25partition_config_selectorILNS1_17partition_subalgoE8ElNS0_10empty_typeEbEEZZNS1_14partition_implILS5_8ELb0ES3_jPlPS6_PKS6_NS0_5tupleIJS9_S6_EEENSD_IJSA_SA_EEENS0_18inequality_wrapperIZN2at6native12_GLOBAL__N_124unique_dim_cuda_templateIiEESt5tupleIJNSH_6TensorESM_SM_EERKSM_lbbbEUlllE0_EEPmJS6_EEE10hipError_tPvRmT3_T4_T5_T6_T7_T9_mT8_P12ihipStream_tbDpT10_ENKUlT_T0_E_clISt17integral_constantIbLb0EES1B_IbLb1EEEEDaS17_S18_EUlS17_E_NS1_11comp_targetILNS1_3genE0ELNS1_11target_archE4294967295ELNS1_3gpuE0ELNS1_3repE0EEENS1_30default_config_static_selectorELNS0_4arch9wavefront6targetE1EEEvT1_ ; -- Begin function _ZN7rocprim17ROCPRIM_400000_NS6detail17trampoline_kernelINS0_14default_configENS1_25partition_config_selectorILNS1_17partition_subalgoE8ElNS0_10empty_typeEbEEZZNS1_14partition_implILS5_8ELb0ES3_jPlPS6_PKS6_NS0_5tupleIJS9_S6_EEENSD_IJSA_SA_EEENS0_18inequality_wrapperIZN2at6native12_GLOBAL__N_124unique_dim_cuda_templateIiEESt5tupleIJNSH_6TensorESM_SM_EERKSM_lbbbEUlllE0_EEPmJS6_EEE10hipError_tPvRmT3_T4_T5_T6_T7_T9_mT8_P12ihipStream_tbDpT10_ENKUlT_T0_E_clISt17integral_constantIbLb0EES1B_IbLb1EEEEDaS17_S18_EUlS17_E_NS1_11comp_targetILNS1_3genE0ELNS1_11target_archE4294967295ELNS1_3gpuE0ELNS1_3repE0EEENS1_30default_config_static_selectorELNS0_4arch9wavefront6targetE1EEEvT1_
	.p2align	8
	.type	_ZN7rocprim17ROCPRIM_400000_NS6detail17trampoline_kernelINS0_14default_configENS1_25partition_config_selectorILNS1_17partition_subalgoE8ElNS0_10empty_typeEbEEZZNS1_14partition_implILS5_8ELb0ES3_jPlPS6_PKS6_NS0_5tupleIJS9_S6_EEENSD_IJSA_SA_EEENS0_18inequality_wrapperIZN2at6native12_GLOBAL__N_124unique_dim_cuda_templateIiEESt5tupleIJNSH_6TensorESM_SM_EERKSM_lbbbEUlllE0_EEPmJS6_EEE10hipError_tPvRmT3_T4_T5_T6_T7_T9_mT8_P12ihipStream_tbDpT10_ENKUlT_T0_E_clISt17integral_constantIbLb0EES1B_IbLb1EEEEDaS17_S18_EUlS17_E_NS1_11comp_targetILNS1_3genE0ELNS1_11target_archE4294967295ELNS1_3gpuE0ELNS1_3repE0EEENS1_30default_config_static_selectorELNS0_4arch9wavefront6targetE1EEEvT1_,@function
_ZN7rocprim17ROCPRIM_400000_NS6detail17trampoline_kernelINS0_14default_configENS1_25partition_config_selectorILNS1_17partition_subalgoE8ElNS0_10empty_typeEbEEZZNS1_14partition_implILS5_8ELb0ES3_jPlPS6_PKS6_NS0_5tupleIJS9_S6_EEENSD_IJSA_SA_EEENS0_18inequality_wrapperIZN2at6native12_GLOBAL__N_124unique_dim_cuda_templateIiEESt5tupleIJNSH_6TensorESM_SM_EERKSM_lbbbEUlllE0_EEPmJS6_EEE10hipError_tPvRmT3_T4_T5_T6_T7_T9_mT8_P12ihipStream_tbDpT10_ENKUlT_T0_E_clISt17integral_constantIbLb0EES1B_IbLb1EEEEDaS17_S18_EUlS17_E_NS1_11comp_targetILNS1_3genE0ELNS1_11target_archE4294967295ELNS1_3gpuE0ELNS1_3repE0EEENS1_30default_config_static_selectorELNS0_4arch9wavefront6targetE1EEEvT1_: ; @_ZN7rocprim17ROCPRIM_400000_NS6detail17trampoline_kernelINS0_14default_configENS1_25partition_config_selectorILNS1_17partition_subalgoE8ElNS0_10empty_typeEbEEZZNS1_14partition_implILS5_8ELb0ES3_jPlPS6_PKS6_NS0_5tupleIJS9_S6_EEENSD_IJSA_SA_EEENS0_18inequality_wrapperIZN2at6native12_GLOBAL__N_124unique_dim_cuda_templateIiEESt5tupleIJNSH_6TensorESM_SM_EERKSM_lbbbEUlllE0_EEPmJS6_EEE10hipError_tPvRmT3_T4_T5_T6_T7_T9_mT8_P12ihipStream_tbDpT10_ENKUlT_T0_E_clISt17integral_constantIbLb0EES1B_IbLb1EEEEDaS17_S18_EUlS17_E_NS1_11comp_targetILNS1_3genE0ELNS1_11target_archE4294967295ELNS1_3gpuE0ELNS1_3repE0EEENS1_30default_config_static_selectorELNS0_4arch9wavefront6targetE1EEEvT1_
; %bb.0:
	.section	.rodata,"a",@progbits
	.p2align	6, 0x0
	.amdhsa_kernel _ZN7rocprim17ROCPRIM_400000_NS6detail17trampoline_kernelINS0_14default_configENS1_25partition_config_selectorILNS1_17partition_subalgoE8ElNS0_10empty_typeEbEEZZNS1_14partition_implILS5_8ELb0ES3_jPlPS6_PKS6_NS0_5tupleIJS9_S6_EEENSD_IJSA_SA_EEENS0_18inequality_wrapperIZN2at6native12_GLOBAL__N_124unique_dim_cuda_templateIiEESt5tupleIJNSH_6TensorESM_SM_EERKSM_lbbbEUlllE0_EEPmJS6_EEE10hipError_tPvRmT3_T4_T5_T6_T7_T9_mT8_P12ihipStream_tbDpT10_ENKUlT_T0_E_clISt17integral_constantIbLb0EES1B_IbLb1EEEEDaS17_S18_EUlS17_E_NS1_11comp_targetILNS1_3genE0ELNS1_11target_archE4294967295ELNS1_3gpuE0ELNS1_3repE0EEENS1_30default_config_static_selectorELNS0_4arch9wavefront6targetE1EEEvT1_
		.amdhsa_group_segment_fixed_size 0
		.amdhsa_private_segment_fixed_size 0
		.amdhsa_kernarg_size 136
		.amdhsa_user_sgpr_count 2
		.amdhsa_user_sgpr_dispatch_ptr 0
		.amdhsa_user_sgpr_queue_ptr 0
		.amdhsa_user_sgpr_kernarg_segment_ptr 1
		.amdhsa_user_sgpr_dispatch_id 0
		.amdhsa_user_sgpr_kernarg_preload_length 0
		.amdhsa_user_sgpr_kernarg_preload_offset 0
		.amdhsa_user_sgpr_private_segment_size 0
		.amdhsa_uses_dynamic_stack 0
		.amdhsa_enable_private_segment 0
		.amdhsa_system_sgpr_workgroup_id_x 1
		.amdhsa_system_sgpr_workgroup_id_y 0
		.amdhsa_system_sgpr_workgroup_id_z 0
		.amdhsa_system_sgpr_workgroup_info 0
		.amdhsa_system_vgpr_workitem_id 0
		.amdhsa_next_free_vgpr 1
		.amdhsa_next_free_sgpr 0
		.amdhsa_accum_offset 4
		.amdhsa_reserve_vcc 0
		.amdhsa_float_round_mode_32 0
		.amdhsa_float_round_mode_16_64 0
		.amdhsa_float_denorm_mode_32 3
		.amdhsa_float_denorm_mode_16_64 3
		.amdhsa_dx10_clamp 1
		.amdhsa_ieee_mode 1
		.amdhsa_fp16_overflow 0
		.amdhsa_tg_split 0
		.amdhsa_exception_fp_ieee_invalid_op 0
		.amdhsa_exception_fp_denorm_src 0
		.amdhsa_exception_fp_ieee_div_zero 0
		.amdhsa_exception_fp_ieee_overflow 0
		.amdhsa_exception_fp_ieee_underflow 0
		.amdhsa_exception_fp_ieee_inexact 0
		.amdhsa_exception_int_div_zero 0
	.end_amdhsa_kernel
	.section	.text._ZN7rocprim17ROCPRIM_400000_NS6detail17trampoline_kernelINS0_14default_configENS1_25partition_config_selectorILNS1_17partition_subalgoE8ElNS0_10empty_typeEbEEZZNS1_14partition_implILS5_8ELb0ES3_jPlPS6_PKS6_NS0_5tupleIJS9_S6_EEENSD_IJSA_SA_EEENS0_18inequality_wrapperIZN2at6native12_GLOBAL__N_124unique_dim_cuda_templateIiEESt5tupleIJNSH_6TensorESM_SM_EERKSM_lbbbEUlllE0_EEPmJS6_EEE10hipError_tPvRmT3_T4_T5_T6_T7_T9_mT8_P12ihipStream_tbDpT10_ENKUlT_T0_E_clISt17integral_constantIbLb0EES1B_IbLb1EEEEDaS17_S18_EUlS17_E_NS1_11comp_targetILNS1_3genE0ELNS1_11target_archE4294967295ELNS1_3gpuE0ELNS1_3repE0EEENS1_30default_config_static_selectorELNS0_4arch9wavefront6targetE1EEEvT1_,"axG",@progbits,_ZN7rocprim17ROCPRIM_400000_NS6detail17trampoline_kernelINS0_14default_configENS1_25partition_config_selectorILNS1_17partition_subalgoE8ElNS0_10empty_typeEbEEZZNS1_14partition_implILS5_8ELb0ES3_jPlPS6_PKS6_NS0_5tupleIJS9_S6_EEENSD_IJSA_SA_EEENS0_18inequality_wrapperIZN2at6native12_GLOBAL__N_124unique_dim_cuda_templateIiEESt5tupleIJNSH_6TensorESM_SM_EERKSM_lbbbEUlllE0_EEPmJS6_EEE10hipError_tPvRmT3_T4_T5_T6_T7_T9_mT8_P12ihipStream_tbDpT10_ENKUlT_T0_E_clISt17integral_constantIbLb0EES1B_IbLb1EEEEDaS17_S18_EUlS17_E_NS1_11comp_targetILNS1_3genE0ELNS1_11target_archE4294967295ELNS1_3gpuE0ELNS1_3repE0EEENS1_30default_config_static_selectorELNS0_4arch9wavefront6targetE1EEEvT1_,comdat
.Lfunc_end468:
	.size	_ZN7rocprim17ROCPRIM_400000_NS6detail17trampoline_kernelINS0_14default_configENS1_25partition_config_selectorILNS1_17partition_subalgoE8ElNS0_10empty_typeEbEEZZNS1_14partition_implILS5_8ELb0ES3_jPlPS6_PKS6_NS0_5tupleIJS9_S6_EEENSD_IJSA_SA_EEENS0_18inequality_wrapperIZN2at6native12_GLOBAL__N_124unique_dim_cuda_templateIiEESt5tupleIJNSH_6TensorESM_SM_EERKSM_lbbbEUlllE0_EEPmJS6_EEE10hipError_tPvRmT3_T4_T5_T6_T7_T9_mT8_P12ihipStream_tbDpT10_ENKUlT_T0_E_clISt17integral_constantIbLb0EES1B_IbLb1EEEEDaS17_S18_EUlS17_E_NS1_11comp_targetILNS1_3genE0ELNS1_11target_archE4294967295ELNS1_3gpuE0ELNS1_3repE0EEENS1_30default_config_static_selectorELNS0_4arch9wavefront6targetE1EEEvT1_, .Lfunc_end468-_ZN7rocprim17ROCPRIM_400000_NS6detail17trampoline_kernelINS0_14default_configENS1_25partition_config_selectorILNS1_17partition_subalgoE8ElNS0_10empty_typeEbEEZZNS1_14partition_implILS5_8ELb0ES3_jPlPS6_PKS6_NS0_5tupleIJS9_S6_EEENSD_IJSA_SA_EEENS0_18inequality_wrapperIZN2at6native12_GLOBAL__N_124unique_dim_cuda_templateIiEESt5tupleIJNSH_6TensorESM_SM_EERKSM_lbbbEUlllE0_EEPmJS6_EEE10hipError_tPvRmT3_T4_T5_T6_T7_T9_mT8_P12ihipStream_tbDpT10_ENKUlT_T0_E_clISt17integral_constantIbLb0EES1B_IbLb1EEEEDaS17_S18_EUlS17_E_NS1_11comp_targetILNS1_3genE0ELNS1_11target_archE4294967295ELNS1_3gpuE0ELNS1_3repE0EEENS1_30default_config_static_selectorELNS0_4arch9wavefront6targetE1EEEvT1_
                                        ; -- End function
	.section	.AMDGPU.csdata,"",@progbits
; Kernel info:
; codeLenInByte = 0
; NumSgprs: 6
; NumVgprs: 0
; NumAgprs: 0
; TotalNumVgprs: 0
; ScratchSize: 0
; MemoryBound: 0
; FloatMode: 240
; IeeeMode: 1
; LDSByteSize: 0 bytes/workgroup (compile time only)
; SGPRBlocks: 0
; VGPRBlocks: 0
; NumSGPRsForWavesPerEU: 6
; NumVGPRsForWavesPerEU: 1
; AccumOffset: 4
; Occupancy: 8
; WaveLimiterHint : 0
; COMPUTE_PGM_RSRC2:SCRATCH_EN: 0
; COMPUTE_PGM_RSRC2:USER_SGPR: 2
; COMPUTE_PGM_RSRC2:TRAP_HANDLER: 0
; COMPUTE_PGM_RSRC2:TGID_X_EN: 1
; COMPUTE_PGM_RSRC2:TGID_Y_EN: 0
; COMPUTE_PGM_RSRC2:TGID_Z_EN: 0
; COMPUTE_PGM_RSRC2:TIDIG_COMP_CNT: 0
; COMPUTE_PGM_RSRC3_GFX90A:ACCUM_OFFSET: 0
; COMPUTE_PGM_RSRC3_GFX90A:TG_SPLIT: 0
	.section	.text._ZN7rocprim17ROCPRIM_400000_NS6detail17trampoline_kernelINS0_14default_configENS1_25partition_config_selectorILNS1_17partition_subalgoE8ElNS0_10empty_typeEbEEZZNS1_14partition_implILS5_8ELb0ES3_jPlPS6_PKS6_NS0_5tupleIJS9_S6_EEENSD_IJSA_SA_EEENS0_18inequality_wrapperIZN2at6native12_GLOBAL__N_124unique_dim_cuda_templateIiEESt5tupleIJNSH_6TensorESM_SM_EERKSM_lbbbEUlllE0_EEPmJS6_EEE10hipError_tPvRmT3_T4_T5_T6_T7_T9_mT8_P12ihipStream_tbDpT10_ENKUlT_T0_E_clISt17integral_constantIbLb0EES1B_IbLb1EEEEDaS17_S18_EUlS17_E_NS1_11comp_targetILNS1_3genE5ELNS1_11target_archE942ELNS1_3gpuE9ELNS1_3repE0EEENS1_30default_config_static_selectorELNS0_4arch9wavefront6targetE1EEEvT1_,"axG",@progbits,_ZN7rocprim17ROCPRIM_400000_NS6detail17trampoline_kernelINS0_14default_configENS1_25partition_config_selectorILNS1_17partition_subalgoE8ElNS0_10empty_typeEbEEZZNS1_14partition_implILS5_8ELb0ES3_jPlPS6_PKS6_NS0_5tupleIJS9_S6_EEENSD_IJSA_SA_EEENS0_18inequality_wrapperIZN2at6native12_GLOBAL__N_124unique_dim_cuda_templateIiEESt5tupleIJNSH_6TensorESM_SM_EERKSM_lbbbEUlllE0_EEPmJS6_EEE10hipError_tPvRmT3_T4_T5_T6_T7_T9_mT8_P12ihipStream_tbDpT10_ENKUlT_T0_E_clISt17integral_constantIbLb0EES1B_IbLb1EEEEDaS17_S18_EUlS17_E_NS1_11comp_targetILNS1_3genE5ELNS1_11target_archE942ELNS1_3gpuE9ELNS1_3repE0EEENS1_30default_config_static_selectorELNS0_4arch9wavefront6targetE1EEEvT1_,comdat
	.globl	_ZN7rocprim17ROCPRIM_400000_NS6detail17trampoline_kernelINS0_14default_configENS1_25partition_config_selectorILNS1_17partition_subalgoE8ElNS0_10empty_typeEbEEZZNS1_14partition_implILS5_8ELb0ES3_jPlPS6_PKS6_NS0_5tupleIJS9_S6_EEENSD_IJSA_SA_EEENS0_18inequality_wrapperIZN2at6native12_GLOBAL__N_124unique_dim_cuda_templateIiEESt5tupleIJNSH_6TensorESM_SM_EERKSM_lbbbEUlllE0_EEPmJS6_EEE10hipError_tPvRmT3_T4_T5_T6_T7_T9_mT8_P12ihipStream_tbDpT10_ENKUlT_T0_E_clISt17integral_constantIbLb0EES1B_IbLb1EEEEDaS17_S18_EUlS17_E_NS1_11comp_targetILNS1_3genE5ELNS1_11target_archE942ELNS1_3gpuE9ELNS1_3repE0EEENS1_30default_config_static_selectorELNS0_4arch9wavefront6targetE1EEEvT1_ ; -- Begin function _ZN7rocprim17ROCPRIM_400000_NS6detail17trampoline_kernelINS0_14default_configENS1_25partition_config_selectorILNS1_17partition_subalgoE8ElNS0_10empty_typeEbEEZZNS1_14partition_implILS5_8ELb0ES3_jPlPS6_PKS6_NS0_5tupleIJS9_S6_EEENSD_IJSA_SA_EEENS0_18inequality_wrapperIZN2at6native12_GLOBAL__N_124unique_dim_cuda_templateIiEESt5tupleIJNSH_6TensorESM_SM_EERKSM_lbbbEUlllE0_EEPmJS6_EEE10hipError_tPvRmT3_T4_T5_T6_T7_T9_mT8_P12ihipStream_tbDpT10_ENKUlT_T0_E_clISt17integral_constantIbLb0EES1B_IbLb1EEEEDaS17_S18_EUlS17_E_NS1_11comp_targetILNS1_3genE5ELNS1_11target_archE942ELNS1_3gpuE9ELNS1_3repE0EEENS1_30default_config_static_selectorELNS0_4arch9wavefront6targetE1EEEvT1_
	.p2align	8
	.type	_ZN7rocprim17ROCPRIM_400000_NS6detail17trampoline_kernelINS0_14default_configENS1_25partition_config_selectorILNS1_17partition_subalgoE8ElNS0_10empty_typeEbEEZZNS1_14partition_implILS5_8ELb0ES3_jPlPS6_PKS6_NS0_5tupleIJS9_S6_EEENSD_IJSA_SA_EEENS0_18inequality_wrapperIZN2at6native12_GLOBAL__N_124unique_dim_cuda_templateIiEESt5tupleIJNSH_6TensorESM_SM_EERKSM_lbbbEUlllE0_EEPmJS6_EEE10hipError_tPvRmT3_T4_T5_T6_T7_T9_mT8_P12ihipStream_tbDpT10_ENKUlT_T0_E_clISt17integral_constantIbLb0EES1B_IbLb1EEEEDaS17_S18_EUlS17_E_NS1_11comp_targetILNS1_3genE5ELNS1_11target_archE942ELNS1_3gpuE9ELNS1_3repE0EEENS1_30default_config_static_selectorELNS0_4arch9wavefront6targetE1EEEvT1_,@function
_ZN7rocprim17ROCPRIM_400000_NS6detail17trampoline_kernelINS0_14default_configENS1_25partition_config_selectorILNS1_17partition_subalgoE8ElNS0_10empty_typeEbEEZZNS1_14partition_implILS5_8ELb0ES3_jPlPS6_PKS6_NS0_5tupleIJS9_S6_EEENSD_IJSA_SA_EEENS0_18inequality_wrapperIZN2at6native12_GLOBAL__N_124unique_dim_cuda_templateIiEESt5tupleIJNSH_6TensorESM_SM_EERKSM_lbbbEUlllE0_EEPmJS6_EEE10hipError_tPvRmT3_T4_T5_T6_T7_T9_mT8_P12ihipStream_tbDpT10_ENKUlT_T0_E_clISt17integral_constantIbLb0EES1B_IbLb1EEEEDaS17_S18_EUlS17_E_NS1_11comp_targetILNS1_3genE5ELNS1_11target_archE942ELNS1_3gpuE9ELNS1_3repE0EEENS1_30default_config_static_selectorELNS0_4arch9wavefront6targetE1EEEvT1_: ; @_ZN7rocprim17ROCPRIM_400000_NS6detail17trampoline_kernelINS0_14default_configENS1_25partition_config_selectorILNS1_17partition_subalgoE8ElNS0_10empty_typeEbEEZZNS1_14partition_implILS5_8ELb0ES3_jPlPS6_PKS6_NS0_5tupleIJS9_S6_EEENSD_IJSA_SA_EEENS0_18inequality_wrapperIZN2at6native12_GLOBAL__N_124unique_dim_cuda_templateIiEESt5tupleIJNSH_6TensorESM_SM_EERKSM_lbbbEUlllE0_EEPmJS6_EEE10hipError_tPvRmT3_T4_T5_T6_T7_T9_mT8_P12ihipStream_tbDpT10_ENKUlT_T0_E_clISt17integral_constantIbLb0EES1B_IbLb1EEEEDaS17_S18_EUlS17_E_NS1_11comp_targetILNS1_3genE5ELNS1_11target_archE942ELNS1_3gpuE9ELNS1_3repE0EEENS1_30default_config_static_selectorELNS0_4arch9wavefront6targetE1EEEvT1_
; %bb.0:
	s_load_dwordx2 s[34:35], s[0:1], 0x28
	s_load_dwordx8 s[20:27], s[0:1], 0x40
	s_load_dwordx4 s[28:31], s[0:1], 0x60
	v_cmp_ne_u32_e64 s[2:3], 0, v0
	v_cmp_eq_u32_e64 s[18:19], 0, v0
	s_and_saveexec_b64 s[4:5], s[18:19]
	s_cbranch_execz .LBB469_4
; %bb.1:
	s_mov_b64 s[8:9], exec
	v_mbcnt_lo_u32_b32 v1, s8, 0
	v_mbcnt_hi_u32_b32 v1, s9, v1
	v_cmp_eq_u32_e32 vcc, 0, v1
                                        ; implicit-def: $vgpr2
	s_and_saveexec_b64 s[6:7], vcc
	s_cbranch_execz .LBB469_3
; %bb.2:
	s_load_dwordx2 s[10:11], s[0:1], 0x78
	s_bcnt1_i32_b64 s8, s[8:9]
	v_mov_b32_e32 v2, 0
	v_mov_b32_e32 v3, s8
	s_waitcnt lgkmcnt(0)
	global_atomic_add v2, v2, v3, s[10:11] sc0
.LBB469_3:
	s_or_b64 exec, exec, s[6:7]
	s_waitcnt vmcnt(0)
	v_readfirstlane_b32 s6, v2
	v_mov_b32_e32 v2, 0
	s_nop 0
	v_add_u32_e32 v1, s6, v1
	ds_write_b32 v2, v1
.LBB469_4:
	s_or_b64 exec, exec, s[4:5]
	v_mov_b32_e32 v3, 0
	s_load_dwordx4 s[4:7], s[0:1], 0x8
	s_load_dword s10, s[0:1], 0x70
	s_waitcnt lgkmcnt(0)
	s_barrier
	ds_read_b32 v1, v3
	s_waitcnt lgkmcnt(0)
	s_barrier
	global_load_dwordx2 v[4:5], v3, s[22:23]
	s_lshl_b64 s[0:1], s[6:7], 3
	s_mul_i32 s12, s10, 0xe00
	s_add_u32 s0, s4, s0
	s_addc_u32 s1, s5, s1
	s_add_i32 s4, s12, s6
	s_add_i32 s10, s10, -1
	s_sub_i32 s52, s24, s4
	s_add_u32 s4, s6, s12
	s_movk_i32 s11, 0xe00
	s_addc_u32 s5, s7, 0
	v_readfirstlane_b32 s33, v1
	v_mov_b32_e32 v6, s24
	v_mov_b32_e32 v7, s25
	v_mul_lo_u32 v2, v1, s11
	s_cmp_eq_u32 s33, s10
	v_cmp_ge_u64_e32 vcc, s[4:5], v[6:7]
	v_lshlrev_b64 v[6:7], 3, v[2:3]
	s_cselect_b64 s[24:25], -1, 0
	v_lshl_add_u64 v[18:19], s[0:1], 0, v[6:7]
	s_and_b64 s[0:1], vcc, s[24:25]
	s_xor_b64 s[36:37], s[0:1], -1
	s_mov_b64 s[8:9], -1
	s_and_b64 vcc, exec, s[36:37]
	s_waitcnt vmcnt(0)
	v_readfirstlane_b32 s22, v4
	v_readfirstlane_b32 s23, v5
	s_cbranch_vccz .LBB469_6
; %bb.5:
	v_lshlrev_b32_e32 v2, 3, v0
	v_lshl_add_u64 v[4:5], v[18:19], 0, v[2:3]
	v_add_co_u32_e32 v8, vcc, 0x1000, v4
	v_readfirstlane_b32 s4, v18
	s_nop 0
	v_addc_co_u32_e32 v9, vcc, 0, v5, vcc
	v_add_co_u32_e32 v10, vcc, 0x2000, v4
	v_readfirstlane_b32 s5, v19
	s_nop 0
	v_addc_co_u32_e32 v11, vcc, 0, v5, vcc
	v_add_co_u32_e32 v12, vcc, 0x3000, v4
	s_mov_b64 s[8:9], 0
	s_nop 0
	v_addc_co_u32_e32 v13, vcc, 0, v5, vcc
	v_add_co_u32_e32 v14, vcc, 0x4000, v4
	global_load_dwordx2 v[6:7], v2, s[4:5]
	s_nop 0
	v_addc_co_u32_e32 v15, vcc, 0, v5, vcc
	global_load_dwordx2 v[16:17], v[8:9], off
	global_load_dwordx2 v[20:21], v[10:11], off
	global_load_dwordx2 v[22:23], v[12:13], off
	global_load_dwordx2 v[24:25], v[14:15], off
	v_add_co_u32_e32 v8, vcc, 0x5000, v4
	s_nop 1
	v_addc_co_u32_e32 v9, vcc, 0, v5, vcc
	v_add_co_u32_e32 v4, vcc, 0x6000, v4
	global_load_dwordx2 v[8:9], v[8:9], off
	s_nop 0
	v_addc_co_u32_e32 v5, vcc, 0, v5, vcc
	global_load_dwordx2 v[4:5], v[4:5], off
	s_waitcnt vmcnt(5)
	ds_write2st64_b64 v2, v[6:7], v[16:17] offset1:8
	s_waitcnt vmcnt(3)
	ds_write2st64_b64 v2, v[20:21], v[22:23] offset0:16 offset1:24
	s_waitcnt vmcnt(1)
	ds_write2st64_b64 v2, v[24:25], v[8:9] offset0:32 offset1:40
	s_waitcnt vmcnt(0)
	ds_write_b64 v2, v[4:5] offset:24576
	s_waitcnt lgkmcnt(0)
	s_barrier
.LBB469_6:
	s_andn2_b64 vcc, exec, s[8:9]
	s_addk_i32 s52, 0xe00
	s_cbranch_vccnz .LBB469_22
; %bb.7:
	v_cmp_gt_u32_e32 vcc, s52, v0
                                        ; implicit-def: $vgpr2_vgpr3_vgpr4_vgpr5_vgpr6_vgpr7_vgpr8_vgpr9_vgpr10_vgpr11_vgpr12_vgpr13_vgpr14_vgpr15_vgpr16_vgpr17
	s_and_saveexec_b64 s[4:5], vcc
	s_cbranch_execz .LBB469_9
; %bb.8:
	v_lshlrev_b32_e32 v1, 3, v0
	v_readfirstlane_b32 s8, v18
	v_readfirstlane_b32 s9, v19
	s_nop 4
	global_load_dwordx2 v[2:3], v1, s[8:9]
.LBB469_9:
	s_or_b64 exec, exec, s[4:5]
	v_or_b32_e32 v1, 0x200, v0
	v_cmp_gt_u32_e32 vcc, s52, v1
	s_and_saveexec_b64 s[4:5], vcc
	s_cbranch_execz .LBB469_11
; %bb.10:
	v_lshlrev_b32_e32 v1, 3, v1
	v_readfirstlane_b32 s8, v18
	v_readfirstlane_b32 s9, v19
	s_nop 4
	global_load_dwordx2 v[4:5], v1, s[8:9]
.LBB469_11:
	s_or_b64 exec, exec, s[4:5]
	v_or_b32_e32 v1, 0x400, v0
	v_cmp_gt_u32_e32 vcc, s52, v1
	;; [unrolled: 12-line block ×6, first 2 shown]
	s_and_saveexec_b64 s[4:5], vcc
	s_cbranch_execz .LBB469_21
; %bb.20:
	v_lshlrev_b32_e32 v1, 3, v1
	v_readfirstlane_b32 s8, v18
	v_readfirstlane_b32 s9, v19
	s_nop 4
	global_load_dwordx2 v[14:15], v1, s[8:9]
.LBB469_21:
	s_or_b64 exec, exec, s[4:5]
	v_lshlrev_b32_e32 v1, 3, v0
	s_waitcnt vmcnt(0)
	ds_write2st64_b64 v1, v[2:3], v[4:5] offset1:8
	ds_write2st64_b64 v1, v[6:7], v[8:9] offset0:16 offset1:24
	ds_write2st64_b64 v1, v[10:11], v[12:13] offset0:32 offset1:40
	ds_write_b64 v1, v[14:15] offset:24576
	s_waitcnt lgkmcnt(0)
	s_barrier
.LBB469_22:
	v_mul_u32_u24_e32 v1, 7, v0
	v_lshlrev_b32_e32 v32, 3, v1
	ds_read2_b64 v[10:13], v32 offset1:1
	ds_read2_b64 v[6:9], v32 offset0:2 offset1:3
	ds_read2_b64 v[2:5], v32 offset0:4 offset1:5
	ds_read_b64 v[14:15], v32 offset:48
	s_cmp_lg_u32 s33, 0
	s_cselect_b64 s[16:17], -1, 0
	s_cmp_lg_u64 s[6:7], 0
	s_cselect_b64 s[4:5], -1, 0
	s_or_b64 s[4:5], s[4:5], s[16:17]
	v_mad_u32_u24 v27, v0, 7, 1
	v_mad_u32_u24 v26, v0, 7, 2
	;; [unrolled: 1-line block ×6, first 2 shown]
	s_mov_b64 s[8:9], 0
	s_and_b64 vcc, exec, s[4:5]
	v_cmp_gt_i64_e64 s[4:5], s[26:27], 0
	s_waitcnt lgkmcnt(0)
	s_barrier
	s_cbranch_vccz .LBB469_31
; %bb.23:
	global_load_dwordx2 v[16:17], v[18:19], off offset:-8
	v_cndmask_b32_e64 v18, 0, 1, s[4:5]
	v_lshlrev_b32_e32 v33, 3, v0
	s_mov_b64 s[6:7], 0
	s_and_b64 vcc, exec, s[36:37]
	v_cmp_ne_u32_e64 s[4:5], 1, v18
	ds_write_b64 v33, v[14:15]
	s_cbranch_vccz .LBB469_33
; %bb.24:
	v_mul_lo_u32 v20, v5, s26
	v_mul_lo_u32 v21, v4, s27
	v_mad_u64_u32 v[18:19], s[8:9], v4, s26, 0
	v_add3_u32 v19, v19, v21, v20
	s_and_b64 vcc, exec, s[4:5]
	v_lshl_add_u64 v[18:19], v[18:19], 2, s[28:29]
	s_cbranch_vccnz .LBB469_36
; %bb.25:
	v_mul_lo_u32 v22, v15, s26
	v_mul_lo_u32 v23, v14, s27
	v_mad_u64_u32 v[20:21], s[6:7], v14, s26, 0
	v_add3_u32 v21, v21, v23, v22
	v_lshl_add_u64 v[20:21], v[20:21], 2, s[28:29]
	global_load_dword v22, v[18:19], off
	global_load_dword v23, v[20:21], off
	s_mov_b64 s[6:7], -1
	s_waitcnt vmcnt(0)
	v_cmp_eq_u32_e32 vcc, v22, v23
	s_and_saveexec_b64 s[8:9], vcc
	s_cbranch_execz .LBB469_35
; %bb.26:
	s_add_u32 s6, s26, -1
	v_lshl_add_u64 v[20:21], v[20:21], 0, 4
	v_lshl_add_u64 v[22:23], v[18:19], 0, 4
	s_addc_u32 s7, s27, -1
	s_mov_b64 s[10:11], 0
	s_mov_b64 s[14:15], 0
                                        ; implicit-def: $sgpr12_sgpr13
	s_branch .LBB469_29
.LBB469_27:                             ;   in Loop: Header=BB469_29 Depth=1
	global_load_dword v24, v[22:23], off
	global_load_dword v25, v[20:21], off
	s_add_u32 s14, s14, 1
	s_addc_u32 s15, s15, 0
	s_andn2_b64 s[12:13], s[12:13], exec
	v_lshl_add_u64 v[20:21], v[20:21], 0, 4
	v_lshl_add_u64 v[22:23], v[22:23], 0, 4
	s_waitcnt vmcnt(0)
	v_cmp_ne_u32_e32 vcc, v24, v25
	s_and_b64 s[38:39], vcc, exec
	s_or_b64 s[12:13], s[12:13], s[38:39]
.LBB469_28:                             ;   in Loop: Header=BB469_29 Depth=1
	s_and_b64 s[38:39], exec, s[12:13]
	s_or_b64 s[10:11], s[38:39], s[10:11]
	v_mov_b64_e32 v[24:25], s[14:15]
	s_andn2_b64 exec, exec, s[10:11]
	s_cbranch_execz .LBB469_34
.LBB469_29:                             ; =>This Inner Loop Header: Depth=1
	s_or_b64 s[12:13], s[12:13], exec
	s_cmp_eq_u64 s[6:7], s[14:15]
	s_cbranch_scc0 .LBB469_27
; %bb.30:                               ;   in Loop: Header=BB469_29 Depth=1
                                        ; implicit-def: $vgpr20_vgpr21
                                        ; implicit-def: $vgpr22_vgpr23
	s_mov_b64 s[14:15], s[26:27]
	s_branch .LBB469_28
.LBB469_31:
                                        ; implicit-def: $sgpr12_sgpr13
                                        ; implicit-def: $vgpr35
                                        ; implicit-def: $vgpr34
                                        ; implicit-def: $vgpr25
                                        ; implicit-def: $vgpr20
	s_branch .LBB469_174
.LBB469_32:
                                        ; implicit-def: $vgpr16_vgpr17
	s_branch .LBB469_322
.LBB469_33:
                                        ; implicit-def: $sgpr12_sgpr13
                                        ; implicit-def: $vgpr35
                                        ; implicit-def: $vgpr34
                                        ; implicit-def: $vgpr25
                                        ; implicit-def: $vgpr20
	s_cbranch_execnz .LBB469_93
	s_branch .LBB469_173
.LBB469_34:
	s_or_b64 exec, exec, s[10:11]
	v_cmp_gt_i64_e32 vcc, s[26:27], v[24:25]
	s_orn2_b64 s[6:7], vcc, exec
.LBB469_35:
	s_or_b64 exec, exec, s[8:9]
.LBB469_36:
	v_mul_lo_u32 v22, v3, s26
	v_mul_lo_u32 v23, v2, s27
	v_mad_u64_u32 v[20:21], s[8:9], v2, s26, 0
	v_add3_u32 v21, v21, v23, v22
	s_mov_b64 s[8:9], 0
	s_and_b64 vcc, exec, s[4:5]
	v_lshl_add_u64 v[20:21], v[20:21], 2, s[28:29]
	s_mov_b64 s[10:11], 0
	s_cbranch_vccnz .LBB469_45
; %bb.37:
	global_load_dword v22, v[20:21], off
	global_load_dword v23, v[18:19], off
	s_mov_b64 s[10:11], -1
	s_waitcnt vmcnt(0)
	v_cmp_eq_u32_e32 vcc, v22, v23
	s_and_saveexec_b64 s[12:13], vcc
	s_cbranch_execz .LBB469_44
; %bb.38:
	s_add_u32 s10, s26, -1
	v_lshl_add_u64 v[18:19], v[18:19], 0, 4
	v_lshl_add_u64 v[22:23], v[20:21], 0, 4
	s_addc_u32 s11, s27, -1
	s_mov_b64 s[14:15], 0
	s_mov_b64 s[40:41], 0
                                        ; implicit-def: $sgpr38_sgpr39
	s_branch .LBB469_41
.LBB469_39:                             ;   in Loop: Header=BB469_41 Depth=1
	global_load_dword v24, v[22:23], off
	global_load_dword v25, v[18:19], off
	s_add_u32 s40, s40, 1
	s_addc_u32 s41, s41, 0
	s_andn2_b64 s[38:39], s[38:39], exec
	v_lshl_add_u64 v[18:19], v[18:19], 0, 4
	v_lshl_add_u64 v[22:23], v[22:23], 0, 4
	s_waitcnt vmcnt(0)
	v_cmp_ne_u32_e32 vcc, v24, v25
	s_and_b64 s[42:43], vcc, exec
	s_or_b64 s[38:39], s[38:39], s[42:43]
.LBB469_40:                             ;   in Loop: Header=BB469_41 Depth=1
	s_and_b64 s[42:43], exec, s[38:39]
	s_or_b64 s[14:15], s[42:43], s[14:15]
	v_mov_b64_e32 v[24:25], s[40:41]
	s_andn2_b64 exec, exec, s[14:15]
	s_cbranch_execz .LBB469_43
.LBB469_41:                             ; =>This Inner Loop Header: Depth=1
	s_or_b64 s[38:39], s[38:39], exec
	s_cmp_eq_u64 s[10:11], s[40:41]
	s_cbranch_scc0 .LBB469_39
; %bb.42:                               ;   in Loop: Header=BB469_41 Depth=1
                                        ; implicit-def: $vgpr18_vgpr19
                                        ; implicit-def: $vgpr22_vgpr23
	s_mov_b64 s[40:41], s[26:27]
	s_branch .LBB469_40
.LBB469_43:
	s_or_b64 exec, exec, s[14:15]
	v_cmp_gt_i64_e32 vcc, s[26:27], v[24:25]
	s_orn2_b64 s[10:11], vcc, exec
.LBB469_44:
	s_or_b64 exec, exec, s[12:13]
.LBB469_45:
	v_mul_lo_u32 v22, v9, s26
	v_mul_lo_u32 v23, v8, s27
	v_mad_u64_u32 v[18:19], s[12:13], v8, s26, 0
	v_add3_u32 v19, v19, v23, v22
	s_and_b64 vcc, exec, s[4:5]
	v_lshl_add_u64 v[18:19], v[18:19], 2, s[28:29]
	s_cbranch_vccnz .LBB469_54
; %bb.46:
	global_load_dword v22, v[18:19], off
	global_load_dword v23, v[20:21], off
	s_mov_b64 s[8:9], -1
	s_waitcnt vmcnt(0)
	v_cmp_eq_u32_e32 vcc, v22, v23
	s_and_saveexec_b64 s[12:13], vcc
	s_cbranch_execz .LBB469_53
; %bb.47:
	s_add_u32 s8, s26, -1
	v_lshl_add_u64 v[20:21], v[20:21], 0, 4
	v_lshl_add_u64 v[22:23], v[18:19], 0, 4
	s_addc_u32 s9, s27, -1
	s_mov_b64 s[14:15], 0
	s_mov_b64 s[40:41], 0
                                        ; implicit-def: $sgpr38_sgpr39
	s_branch .LBB469_50
.LBB469_48:                             ;   in Loop: Header=BB469_50 Depth=1
	global_load_dword v24, v[22:23], off
	global_load_dword v25, v[20:21], off
	s_add_u32 s40, s40, 1
	s_addc_u32 s41, s41, 0
	s_andn2_b64 s[38:39], s[38:39], exec
	v_lshl_add_u64 v[20:21], v[20:21], 0, 4
	v_lshl_add_u64 v[22:23], v[22:23], 0, 4
	s_waitcnt vmcnt(0)
	v_cmp_ne_u32_e32 vcc, v24, v25
	s_and_b64 s[42:43], vcc, exec
	s_or_b64 s[38:39], s[38:39], s[42:43]
.LBB469_49:                             ;   in Loop: Header=BB469_50 Depth=1
	s_and_b64 s[42:43], exec, s[38:39]
	s_or_b64 s[14:15], s[42:43], s[14:15]
	v_mov_b64_e32 v[24:25], s[40:41]
	s_andn2_b64 exec, exec, s[14:15]
	s_cbranch_execz .LBB469_52
.LBB469_50:                             ; =>This Inner Loop Header: Depth=1
	s_or_b64 s[38:39], s[38:39], exec
	s_cmp_eq_u64 s[8:9], s[40:41]
	s_cbranch_scc0 .LBB469_48
; %bb.51:                               ;   in Loop: Header=BB469_50 Depth=1
                                        ; implicit-def: $vgpr20_vgpr21
                                        ; implicit-def: $vgpr22_vgpr23
	s_mov_b64 s[40:41], s[26:27]
	s_branch .LBB469_49
.LBB469_52:
	s_or_b64 exec, exec, s[14:15]
	v_cmp_gt_i64_e32 vcc, s[26:27], v[24:25]
	s_orn2_b64 s[8:9], vcc, exec
.LBB469_53:
	s_or_b64 exec, exec, s[12:13]
.LBB469_54:
	v_mul_lo_u32 v22, v7, s26
	v_mul_lo_u32 v23, v6, s27
	v_mad_u64_u32 v[20:21], s[12:13], v6, s26, 0
	v_add3_u32 v21, v21, v23, v22
	s_mov_b64 s[12:13], 0
	s_and_b64 vcc, exec, s[4:5]
	v_lshl_add_u64 v[22:23], v[20:21], 2, s[28:29]
	s_mov_b64 s[14:15], 0
	s_cbranch_vccnz .LBB469_63
; %bb.55:
	global_load_dword v20, v[22:23], off
	global_load_dword v21, v[18:19], off
	s_mov_b64 s[14:15], -1
	s_waitcnt vmcnt(0)
	v_cmp_eq_u32_e32 vcc, v20, v21
	s_and_saveexec_b64 s[38:39], vcc
	s_cbranch_execz .LBB469_62
; %bb.56:
	s_add_u32 s14, s26, -1
	v_lshl_add_u64 v[18:19], v[18:19], 0, 4
	v_lshl_add_u64 v[20:21], v[22:23], 0, 4
	s_addc_u32 s15, s27, -1
	s_mov_b64 s[40:41], 0
	s_mov_b64 s[44:45], 0
                                        ; implicit-def: $sgpr42_sgpr43
	s_branch .LBB469_59
.LBB469_57:                             ;   in Loop: Header=BB469_59 Depth=1
	global_load_dword v24, v[20:21], off
	global_load_dword v25, v[18:19], off
	s_add_u32 s44, s44, 1
	s_addc_u32 s45, s45, 0
	s_andn2_b64 s[42:43], s[42:43], exec
	v_lshl_add_u64 v[18:19], v[18:19], 0, 4
	v_lshl_add_u64 v[20:21], v[20:21], 0, 4
	s_waitcnt vmcnt(0)
	v_cmp_ne_u32_e32 vcc, v24, v25
	s_and_b64 s[46:47], vcc, exec
	s_or_b64 s[42:43], s[42:43], s[46:47]
.LBB469_58:                             ;   in Loop: Header=BB469_59 Depth=1
	s_and_b64 s[46:47], exec, s[42:43]
	s_or_b64 s[40:41], s[46:47], s[40:41]
	v_mov_b64_e32 v[24:25], s[44:45]
	s_andn2_b64 exec, exec, s[40:41]
	s_cbranch_execz .LBB469_61
.LBB469_59:                             ; =>This Inner Loop Header: Depth=1
	s_or_b64 s[42:43], s[42:43], exec
	s_cmp_eq_u64 s[14:15], s[44:45]
	s_cbranch_scc0 .LBB469_57
; %bb.60:                               ;   in Loop: Header=BB469_59 Depth=1
                                        ; implicit-def: $vgpr18_vgpr19
                                        ; implicit-def: $vgpr20_vgpr21
	s_mov_b64 s[44:45], s[26:27]
	s_branch .LBB469_58
.LBB469_61:
	s_or_b64 exec, exec, s[40:41]
	v_cmp_gt_i64_e32 vcc, s[26:27], v[24:25]
	s_orn2_b64 s[14:15], vcc, exec
.LBB469_62:
	s_or_b64 exec, exec, s[38:39]
.LBB469_63:
	v_mul_lo_u32 v20, v13, s26
	v_mul_lo_u32 v21, v12, s27
	v_mad_u64_u32 v[18:19], s[38:39], v12, s26, 0
	v_add3_u32 v19, v19, v21, v20
	s_and_b64 vcc, exec, s[4:5]
	v_lshl_add_u64 v[20:21], v[18:19], 2, s[28:29]
	s_cbranch_vccnz .LBB469_72
; %bb.64:
	global_load_dword v18, v[20:21], off
	global_load_dword v19, v[22:23], off
	s_mov_b64 s[12:13], -1
	s_waitcnt vmcnt(0)
	v_cmp_eq_u32_e32 vcc, v18, v19
	s_and_saveexec_b64 s[38:39], vcc
	s_cbranch_execz .LBB469_71
; %bb.65:
	s_add_u32 s12, s26, -1
	v_lshl_add_u64 v[18:19], v[22:23], 0, 4
	v_lshl_add_u64 v[22:23], v[20:21], 0, 4
	s_addc_u32 s13, s27, -1
	s_mov_b64 s[40:41], 0
	s_mov_b64 s[44:45], 0
                                        ; implicit-def: $sgpr42_sgpr43
	s_branch .LBB469_68
.LBB469_66:                             ;   in Loop: Header=BB469_68 Depth=1
	global_load_dword v24, v[22:23], off
	global_load_dword v25, v[18:19], off
	s_add_u32 s44, s44, 1
	s_addc_u32 s45, s45, 0
	s_andn2_b64 s[42:43], s[42:43], exec
	v_lshl_add_u64 v[18:19], v[18:19], 0, 4
	v_lshl_add_u64 v[22:23], v[22:23], 0, 4
	s_waitcnt vmcnt(0)
	v_cmp_ne_u32_e32 vcc, v24, v25
	s_and_b64 s[46:47], vcc, exec
	s_or_b64 s[42:43], s[42:43], s[46:47]
.LBB469_67:                             ;   in Loop: Header=BB469_68 Depth=1
	s_and_b64 s[46:47], exec, s[42:43]
	s_or_b64 s[40:41], s[46:47], s[40:41]
	v_mov_b64_e32 v[24:25], s[44:45]
	s_andn2_b64 exec, exec, s[40:41]
	s_cbranch_execz .LBB469_70
.LBB469_68:                             ; =>This Inner Loop Header: Depth=1
	s_or_b64 s[42:43], s[42:43], exec
	s_cmp_eq_u64 s[12:13], s[44:45]
	s_cbranch_scc0 .LBB469_66
; %bb.69:                               ;   in Loop: Header=BB469_68 Depth=1
                                        ; implicit-def: $vgpr18_vgpr19
                                        ; implicit-def: $vgpr22_vgpr23
	s_mov_b64 s[44:45], s[26:27]
	s_branch .LBB469_67
.LBB469_70:
	s_or_b64 exec, exec, s[40:41]
	v_cmp_gt_i64_e32 vcc, s[26:27], v[24:25]
	s_orn2_b64 s[12:13], vcc, exec
.LBB469_71:
	s_or_b64 exec, exec, s[38:39]
.LBB469_72:
	v_mul_lo_u32 v22, v11, s26
	v_mul_lo_u32 v23, v10, s27
	v_mad_u64_u32 v[18:19], s[38:39], v10, s26, 0
	v_add3_u32 v19, v19, v23, v22
	s_mov_b64 s[40:41], 0
	s_and_b64 vcc, exec, s[4:5]
	v_lshl_add_u64 v[18:19], v[18:19], 2, s[28:29]
	s_cbranch_vccnz .LBB469_81
; %bb.73:
	global_load_dword v22, v[18:19], off
	global_load_dword v23, v[20:21], off
	s_mov_b64 s[40:41], -1
	s_waitcnt vmcnt(0)
	v_cmp_eq_u32_e32 vcc, v22, v23
	s_and_saveexec_b64 s[38:39], vcc
	s_cbranch_execz .LBB469_80
; %bb.74:
	s_add_u32 s40, s26, -1
	v_lshl_add_u64 v[20:21], v[20:21], 0, 4
	v_lshl_add_u64 v[22:23], v[18:19], 0, 4
	s_addc_u32 s41, s27, -1
	s_mov_b64 s[42:43], 0
	s_mov_b64 s[46:47], 0
                                        ; implicit-def: $sgpr44_sgpr45
	s_branch .LBB469_77
.LBB469_75:                             ;   in Loop: Header=BB469_77 Depth=1
	global_load_dword v24, v[22:23], off
	global_load_dword v25, v[20:21], off
	s_add_u32 s46, s46, 1
	s_addc_u32 s47, s47, 0
	s_andn2_b64 s[44:45], s[44:45], exec
	v_lshl_add_u64 v[20:21], v[20:21], 0, 4
	v_lshl_add_u64 v[22:23], v[22:23], 0, 4
	s_waitcnt vmcnt(0)
	v_cmp_ne_u32_e32 vcc, v24, v25
	s_and_b64 s[48:49], vcc, exec
	s_or_b64 s[44:45], s[44:45], s[48:49]
.LBB469_76:                             ;   in Loop: Header=BB469_77 Depth=1
	s_and_b64 s[48:49], exec, s[44:45]
	s_or_b64 s[42:43], s[48:49], s[42:43]
	v_mov_b64_e32 v[24:25], s[46:47]
	s_andn2_b64 exec, exec, s[42:43]
	s_cbranch_execz .LBB469_79
.LBB469_77:                             ; =>This Inner Loop Header: Depth=1
	s_or_b64 s[44:45], s[44:45], exec
	s_cmp_eq_u64 s[40:41], s[46:47]
	s_cbranch_scc0 .LBB469_75
; %bb.78:                               ;   in Loop: Header=BB469_77 Depth=1
                                        ; implicit-def: $vgpr20_vgpr21
                                        ; implicit-def: $vgpr22_vgpr23
	s_mov_b64 s[46:47], s[26:27]
	s_branch .LBB469_76
.LBB469_79:
	s_or_b64 exec, exec, s[42:43]
	v_cmp_gt_i64_e32 vcc, s[26:27], v[24:25]
	s_orn2_b64 s[40:41], vcc, exec
.LBB469_80:
	s_or_b64 exec, exec, s[38:39]
.LBB469_81:
	s_waitcnt vmcnt(0)
	v_mov_b64_e32 v[20:21], v[16:17]
	s_waitcnt lgkmcnt(0)
	s_barrier
	s_and_saveexec_b64 s[38:39], s[2:3]
	s_cbranch_execz .LBB469_83
; %bb.82:
	v_add_u32_e32 v20, -8, v33
	ds_read_b64 v[20:21], v20
.LBB469_83:
	s_or_b64 exec, exec, s[38:39]
	v_cndmask_b32_e64 v23, 0, 1, s[14:15]
	v_cndmask_b32_e64 v22, 0, 1, s[12:13]
	;; [unrolled: 1-line block ×3, first 2 shown]
	v_lshlrev_b16_e32 v23, 8, v23
	v_lshlrev_b16_e32 v24, 8, v24
	v_or_b32_sdwa v36, v22, v23 dst_sel:WORD_1 dst_unused:UNUSED_PAD src0_sel:DWORD src1_sel:DWORD
	s_mov_b64 s[14:15], 0
	s_and_b64 vcc, exec, s[4:5]
	s_mov_b64 s[12:13], 0
	s_cbranch_vccnz .LBB469_92
; %bb.84:
	s_waitcnt lgkmcnt(0)
	v_mul_lo_u32 v22, v21, s26
	v_mul_lo_u32 v23, v20, s27
	v_mad_u64_u32 v[20:21], s[12:13], v20, s26, 0
	v_add3_u32 v21, v21, v23, v22
	v_lshl_add_u64 v[20:21], v[20:21], 2, s[28:29]
	global_load_dword v22, v[20:21], off
	global_load_dword v23, v[18:19], off
	s_mov_b64 s[12:13], -1
	s_waitcnt vmcnt(0)
	v_cmp_eq_u32_e32 vcc, v22, v23
	s_and_saveexec_b64 s[38:39], vcc
	s_cbranch_execz .LBB469_91
; %bb.85:
	s_add_u32 s12, s26, -1
	v_lshl_add_u64 v[18:19], v[18:19], 0, 4
	v_lshl_add_u64 v[20:21], v[20:21], 0, 4
	s_addc_u32 s13, s27, -1
	s_mov_b64 s[40:41], 0
	s_mov_b64 s[44:45], 0
                                        ; implicit-def: $sgpr42_sgpr43
	s_branch .LBB469_88
.LBB469_86:                             ;   in Loop: Header=BB469_88 Depth=1
	global_load_dword v22, v[20:21], off
	global_load_dword v23, v[18:19], off
	s_add_u32 s44, s44, 1
	s_addc_u32 s45, s45, 0
	s_andn2_b64 s[42:43], s[42:43], exec
	v_lshl_add_u64 v[18:19], v[18:19], 0, 4
	v_lshl_add_u64 v[20:21], v[20:21], 0, 4
	s_waitcnt vmcnt(0)
	v_cmp_ne_u32_e32 vcc, v22, v23
	s_and_b64 s[46:47], vcc, exec
	s_or_b64 s[42:43], s[42:43], s[46:47]
.LBB469_87:                             ;   in Loop: Header=BB469_88 Depth=1
	s_and_b64 s[46:47], exec, s[42:43]
	s_or_b64 s[40:41], s[46:47], s[40:41]
	v_mov_b64_e32 v[22:23], s[44:45]
	s_andn2_b64 exec, exec, s[40:41]
	s_cbranch_execz .LBB469_90
.LBB469_88:                             ; =>This Inner Loop Header: Depth=1
	s_or_b64 s[42:43], s[42:43], exec
	s_cmp_eq_u64 s[12:13], s[44:45]
	s_cbranch_scc0 .LBB469_86
; %bb.89:                               ;   in Loop: Header=BB469_88 Depth=1
                                        ; implicit-def: $vgpr18_vgpr19
                                        ; implicit-def: $vgpr20_vgpr21
	s_mov_b64 s[44:45], s[26:27]
	s_branch .LBB469_87
.LBB469_90:
	s_or_b64 exec, exec, s[40:41]
	v_cmp_gt_i64_e32 vcc, s[26:27], v[22:23]
	s_orn2_b64 s[12:13], vcc, exec
.LBB469_91:
	s_or_b64 exec, exec, s[38:39]
.LBB469_92:
	v_cndmask_b32_e64 v25, 0, 1, s[8:9]
	v_cndmask_b32_e64 v34, 0, 1, s[10:11]
	;; [unrolled: 1-line block ×3, first 2 shown]
	s_waitcnt lgkmcnt(0)
	v_or_b32_e32 v20, v24, v36
	s_and_b64 vcc, exec, s[14:15]
	s_cbranch_vccz .LBB469_173
.LBB469_93:
	v_cmp_gt_u32_e32 vcc, s52, v29
	s_mov_b64 s[8:9], 0
	s_mov_b64 s[6:7], 0
	s_and_saveexec_b64 s[10:11], vcc
	s_cbranch_execz .LBB469_104
; %bb.94:
	s_and_b64 vcc, exec, s[4:5]
	s_mov_b64 s[12:13], 0
	s_cbranch_vccnz .LBB469_103
; %bb.95:
	v_mul_lo_u32 v20, v5, s26
	v_mul_lo_u32 v21, v4, s27
	v_mad_u64_u32 v[18:19], s[6:7], v4, s26, 0
	v_add3_u32 v19, v19, v21, v20
	v_mul_lo_u32 v20, v15, s26
	v_mul_lo_u32 v21, v14, s27
	v_mad_u64_u32 v[22:23], s[6:7], v14, s26, 0
	v_add3_u32 v23, v23, v21, v20
	v_lshl_add_u64 v[20:21], v[18:19], 2, s[28:29]
	v_lshl_add_u64 v[18:19], v[22:23], 2, s[28:29]
	global_load_dword v22, v[20:21], off
	global_load_dword v23, v[18:19], off
	s_mov_b64 s[12:13], -1
	s_waitcnt vmcnt(0)
	v_cmp_eq_u32_e32 vcc, v22, v23
	s_and_saveexec_b64 s[6:7], vcc
	s_cbranch_execz .LBB469_102
; %bb.96:
	s_add_u32 s12, s26, -1
	v_lshl_add_u64 v[18:19], v[18:19], 0, 4
	v_lshl_add_u64 v[20:21], v[20:21], 0, 4
	s_addc_u32 s13, s27, -1
	s_mov_b64 s[14:15], 0
	s_mov_b64 s[40:41], 0
                                        ; implicit-def: $sgpr38_sgpr39
	s_branch .LBB469_99
.LBB469_97:                             ;   in Loop: Header=BB469_99 Depth=1
	global_load_dword v22, v[20:21], off
	global_load_dword v23, v[18:19], off
	s_add_u32 s40, s40, 1
	s_addc_u32 s41, s41, 0
	s_andn2_b64 s[38:39], s[38:39], exec
	v_lshl_add_u64 v[18:19], v[18:19], 0, 4
	v_lshl_add_u64 v[20:21], v[20:21], 0, 4
	s_waitcnt vmcnt(0)
	v_cmp_ne_u32_e32 vcc, v22, v23
	s_and_b64 s[42:43], vcc, exec
	s_or_b64 s[38:39], s[38:39], s[42:43]
.LBB469_98:                             ;   in Loop: Header=BB469_99 Depth=1
	s_and_b64 s[42:43], exec, s[38:39]
	s_or_b64 s[14:15], s[42:43], s[14:15]
	v_mov_b64_e32 v[22:23], s[40:41]
	s_andn2_b64 exec, exec, s[14:15]
	s_cbranch_execz .LBB469_101
.LBB469_99:                             ; =>This Inner Loop Header: Depth=1
	s_or_b64 s[38:39], s[38:39], exec
	s_cmp_eq_u64 s[12:13], s[40:41]
	s_cbranch_scc0 .LBB469_97
; %bb.100:                              ;   in Loop: Header=BB469_99 Depth=1
                                        ; implicit-def: $vgpr18_vgpr19
                                        ; implicit-def: $vgpr20_vgpr21
	s_mov_b64 s[40:41], s[26:27]
	s_branch .LBB469_98
.LBB469_101:
	s_or_b64 exec, exec, s[14:15]
	v_cmp_gt_i64_e32 vcc, s[26:27], v[22:23]
	s_orn2_b64 s[12:13], vcc, exec
.LBB469_102:
	s_or_b64 exec, exec, s[6:7]
.LBB469_103:
	s_and_b64 s[6:7], s[12:13], exec
.LBB469_104:
	s_or_b64 exec, exec, s[10:11]
	v_cmp_gt_u32_e32 vcc, s52, v31
	s_and_saveexec_b64 s[10:11], vcc
	s_cbranch_execz .LBB469_115
; %bb.105:
	s_and_b64 vcc, exec, s[4:5]
	s_mov_b64 s[12:13], 0
	s_cbranch_vccnz .LBB469_114
; %bb.106:
	v_mul_lo_u32 v20, v3, s26
	v_mul_lo_u32 v21, v2, s27
	v_mad_u64_u32 v[18:19], s[8:9], v2, s26, 0
	v_add3_u32 v19, v19, v21, v20
	v_mul_lo_u32 v20, v5, s26
	v_mul_lo_u32 v21, v4, s27
	v_mad_u64_u32 v[22:23], s[8:9], v4, s26, 0
	v_add3_u32 v23, v23, v21, v20
	v_lshl_add_u64 v[20:21], v[18:19], 2, s[28:29]
	v_lshl_add_u64 v[18:19], v[22:23], 2, s[28:29]
	global_load_dword v22, v[20:21], off
	global_load_dword v23, v[18:19], off
	s_mov_b64 s[12:13], -1
	s_waitcnt vmcnt(0)
	v_cmp_eq_u32_e32 vcc, v22, v23
	s_and_saveexec_b64 s[8:9], vcc
	s_cbranch_execz .LBB469_113
; %bb.107:
	s_add_u32 s12, s26, -1
	v_lshl_add_u64 v[18:19], v[18:19], 0, 4
	v_lshl_add_u64 v[20:21], v[20:21], 0, 4
	s_addc_u32 s13, s27, -1
	s_mov_b64 s[14:15], 0
	s_mov_b64 s[40:41], 0
                                        ; implicit-def: $sgpr38_sgpr39
	s_branch .LBB469_110
.LBB469_108:                            ;   in Loop: Header=BB469_110 Depth=1
	global_load_dword v22, v[20:21], off
	global_load_dword v23, v[18:19], off
	s_add_u32 s40, s40, 1
	s_addc_u32 s41, s41, 0
	s_andn2_b64 s[38:39], s[38:39], exec
	v_lshl_add_u64 v[18:19], v[18:19], 0, 4
	v_lshl_add_u64 v[20:21], v[20:21], 0, 4
	s_waitcnt vmcnt(0)
	v_cmp_ne_u32_e32 vcc, v22, v23
	s_and_b64 s[42:43], vcc, exec
	s_or_b64 s[38:39], s[38:39], s[42:43]
.LBB469_109:                            ;   in Loop: Header=BB469_110 Depth=1
	s_and_b64 s[42:43], exec, s[38:39]
	s_or_b64 s[14:15], s[42:43], s[14:15]
	v_mov_b64_e32 v[22:23], s[40:41]
	s_andn2_b64 exec, exec, s[14:15]
	s_cbranch_execz .LBB469_112
.LBB469_110:                            ; =>This Inner Loop Header: Depth=1
	s_or_b64 s[38:39], s[38:39], exec
	s_cmp_eq_u64 s[12:13], s[40:41]
	s_cbranch_scc0 .LBB469_108
; %bb.111:                              ;   in Loop: Header=BB469_110 Depth=1
                                        ; implicit-def: $vgpr18_vgpr19
                                        ; implicit-def: $vgpr20_vgpr21
	s_mov_b64 s[40:41], s[26:27]
	s_branch .LBB469_109
.LBB469_112:
	s_or_b64 exec, exec, s[14:15]
	v_cmp_gt_i64_e32 vcc, s[26:27], v[22:23]
	s_orn2_b64 s[12:13], vcc, exec
.LBB469_113:
	s_or_b64 exec, exec, s[8:9]
.LBB469_114:
	s_and_b64 s[8:9], s[12:13], exec
.LBB469_115:
	s_or_b64 exec, exec, s[10:11]
	v_cmp_gt_u32_e32 vcc, s52, v28
	s_mov_b64 s[12:13], 0
	s_mov_b64 s[10:11], 0
	s_and_saveexec_b64 s[14:15], vcc
	s_cbranch_execz .LBB469_126
; %bb.116:
	s_and_b64 vcc, exec, s[4:5]
	s_mov_b64 s[38:39], 0
	s_cbranch_vccnz .LBB469_125
; %bb.117:
	v_mul_lo_u32 v20, v9, s26
	v_mul_lo_u32 v21, v8, s27
	v_mad_u64_u32 v[18:19], s[10:11], v8, s26, 0
	v_add3_u32 v19, v19, v21, v20
	v_mul_lo_u32 v20, v3, s26
	v_mul_lo_u32 v21, v2, s27
	v_mad_u64_u32 v[22:23], s[10:11], v2, s26, 0
	v_add3_u32 v23, v23, v21, v20
	v_lshl_add_u64 v[20:21], v[18:19], 2, s[28:29]
	v_lshl_add_u64 v[18:19], v[22:23], 2, s[28:29]
	global_load_dword v22, v[20:21], off
	global_load_dword v23, v[18:19], off
	s_mov_b64 s[38:39], -1
	s_waitcnt vmcnt(0)
	v_cmp_eq_u32_e32 vcc, v22, v23
	s_and_saveexec_b64 s[10:11], vcc
	s_cbranch_execz .LBB469_124
; %bb.118:
	s_add_u32 s38, s26, -1
	v_lshl_add_u64 v[18:19], v[18:19], 0, 4
	v_lshl_add_u64 v[20:21], v[20:21], 0, 4
	s_addc_u32 s39, s27, -1
	s_mov_b64 s[40:41], 0
	s_mov_b64 s[44:45], 0
                                        ; implicit-def: $sgpr42_sgpr43
	s_branch .LBB469_121
.LBB469_119:                            ;   in Loop: Header=BB469_121 Depth=1
	global_load_dword v22, v[20:21], off
	global_load_dword v23, v[18:19], off
	s_add_u32 s44, s44, 1
	s_addc_u32 s45, s45, 0
	s_andn2_b64 s[42:43], s[42:43], exec
	v_lshl_add_u64 v[18:19], v[18:19], 0, 4
	v_lshl_add_u64 v[20:21], v[20:21], 0, 4
	s_waitcnt vmcnt(0)
	v_cmp_ne_u32_e32 vcc, v22, v23
	s_and_b64 s[46:47], vcc, exec
	s_or_b64 s[42:43], s[42:43], s[46:47]
.LBB469_120:                            ;   in Loop: Header=BB469_121 Depth=1
	s_and_b64 s[46:47], exec, s[42:43]
	s_or_b64 s[40:41], s[46:47], s[40:41]
	v_mov_b64_e32 v[22:23], s[44:45]
	s_andn2_b64 exec, exec, s[40:41]
	s_cbranch_execz .LBB469_123
.LBB469_121:                            ; =>This Inner Loop Header: Depth=1
	s_or_b64 s[42:43], s[42:43], exec
	s_cmp_eq_u64 s[38:39], s[44:45]
	s_cbranch_scc0 .LBB469_119
; %bb.122:                              ;   in Loop: Header=BB469_121 Depth=1
                                        ; implicit-def: $vgpr18_vgpr19
                                        ; implicit-def: $vgpr20_vgpr21
	s_mov_b64 s[44:45], s[26:27]
	s_branch .LBB469_120
.LBB469_123:
	s_or_b64 exec, exec, s[40:41]
	v_cmp_gt_i64_e32 vcc, s[26:27], v[22:23]
	s_orn2_b64 s[38:39], vcc, exec
.LBB469_124:
	s_or_b64 exec, exec, s[10:11]
.LBB469_125:
	s_and_b64 s[10:11], s[38:39], exec
.LBB469_126:
	s_or_b64 exec, exec, s[14:15]
	v_cmp_gt_u32_e32 vcc, s52, v30
	s_and_saveexec_b64 s[14:15], vcc
	s_cbranch_execz .LBB469_137
; %bb.127:
	s_and_b64 vcc, exec, s[4:5]
	s_mov_b64 s[38:39], 0
	s_cbranch_vccnz .LBB469_136
; %bb.128:
	v_mul_lo_u32 v20, v7, s26
	v_mul_lo_u32 v21, v6, s27
	v_mad_u64_u32 v[18:19], s[12:13], v6, s26, 0
	v_add3_u32 v19, v19, v21, v20
	v_mul_lo_u32 v20, v9, s26
	v_mul_lo_u32 v21, v8, s27
	v_mad_u64_u32 v[22:23], s[12:13], v8, s26, 0
	v_add3_u32 v23, v23, v21, v20
	v_lshl_add_u64 v[20:21], v[18:19], 2, s[28:29]
	v_lshl_add_u64 v[18:19], v[22:23], 2, s[28:29]
	global_load_dword v22, v[20:21], off
	global_load_dword v23, v[18:19], off
	s_mov_b64 s[38:39], -1
	s_waitcnt vmcnt(0)
	v_cmp_eq_u32_e32 vcc, v22, v23
	s_and_saveexec_b64 s[12:13], vcc
	s_cbranch_execz .LBB469_135
; %bb.129:
	s_add_u32 s38, s26, -1
	v_lshl_add_u64 v[18:19], v[18:19], 0, 4
	v_lshl_add_u64 v[20:21], v[20:21], 0, 4
	s_addc_u32 s39, s27, -1
	s_mov_b64 s[40:41], 0
	s_mov_b64 s[44:45], 0
                                        ; implicit-def: $sgpr42_sgpr43
	s_branch .LBB469_132
.LBB469_130:                            ;   in Loop: Header=BB469_132 Depth=1
	global_load_dword v22, v[20:21], off
	global_load_dword v23, v[18:19], off
	s_add_u32 s44, s44, 1
	s_addc_u32 s45, s45, 0
	s_andn2_b64 s[42:43], s[42:43], exec
	v_lshl_add_u64 v[18:19], v[18:19], 0, 4
	v_lshl_add_u64 v[20:21], v[20:21], 0, 4
	s_waitcnt vmcnt(0)
	v_cmp_ne_u32_e32 vcc, v22, v23
	s_and_b64 s[46:47], vcc, exec
	s_or_b64 s[42:43], s[42:43], s[46:47]
.LBB469_131:                            ;   in Loop: Header=BB469_132 Depth=1
	s_and_b64 s[46:47], exec, s[42:43]
	s_or_b64 s[40:41], s[46:47], s[40:41]
	v_mov_b64_e32 v[22:23], s[44:45]
	s_andn2_b64 exec, exec, s[40:41]
	s_cbranch_execz .LBB469_134
.LBB469_132:                            ; =>This Inner Loop Header: Depth=1
	s_or_b64 s[42:43], s[42:43], exec
	s_cmp_eq_u64 s[38:39], s[44:45]
	s_cbranch_scc0 .LBB469_130
; %bb.133:                              ;   in Loop: Header=BB469_132 Depth=1
                                        ; implicit-def: $vgpr18_vgpr19
                                        ; implicit-def: $vgpr20_vgpr21
	s_mov_b64 s[44:45], s[26:27]
	s_branch .LBB469_131
.LBB469_134:
	s_or_b64 exec, exec, s[40:41]
	v_cmp_gt_i64_e32 vcc, s[26:27], v[22:23]
	s_orn2_b64 s[38:39], vcc, exec
.LBB469_135:
	s_or_b64 exec, exec, s[12:13]
.LBB469_136:
	s_and_b64 s[12:13], s[38:39], exec
.LBB469_137:
	s_or_b64 exec, exec, s[14:15]
	v_cmp_gt_u32_e32 vcc, s52, v26
	s_mov_b64 s[14:15], 0
	s_mov_b64 s[38:39], 0
	s_and_saveexec_b64 s[40:41], vcc
	s_cbranch_execz .LBB469_148
; %bb.138:
	s_and_b64 vcc, exec, s[4:5]
	s_mov_b64 s[42:43], 0
	s_cbranch_vccnz .LBB469_147
; %bb.139:
	v_mul_lo_u32 v20, v13, s26
	v_mul_lo_u32 v21, v12, s27
	v_mad_u64_u32 v[18:19], s[38:39], v12, s26, 0
	v_add3_u32 v19, v19, v21, v20
	v_mul_lo_u32 v20, v7, s26
	v_mul_lo_u32 v21, v6, s27
	v_mad_u64_u32 v[22:23], s[38:39], v6, s26, 0
	v_add3_u32 v23, v23, v21, v20
	v_lshl_add_u64 v[20:21], v[18:19], 2, s[28:29]
	v_lshl_add_u64 v[18:19], v[22:23], 2, s[28:29]
	global_load_dword v22, v[20:21], off
	global_load_dword v23, v[18:19], off
	s_mov_b64 s[42:43], -1
	s_waitcnt vmcnt(0)
	v_cmp_eq_u32_e32 vcc, v22, v23
	s_and_saveexec_b64 s[38:39], vcc
	s_cbranch_execz .LBB469_146
; %bb.140:
	s_add_u32 s42, s26, -1
	v_lshl_add_u64 v[18:19], v[18:19], 0, 4
	v_lshl_add_u64 v[20:21], v[20:21], 0, 4
	s_addc_u32 s43, s27, -1
	s_mov_b64 s[44:45], 0
	s_mov_b64 s[48:49], 0
                                        ; implicit-def: $sgpr46_sgpr47
	s_branch .LBB469_143
.LBB469_141:                            ;   in Loop: Header=BB469_143 Depth=1
	global_load_dword v22, v[20:21], off
	global_load_dword v23, v[18:19], off
	s_add_u32 s48, s48, 1
	s_addc_u32 s49, s49, 0
	s_andn2_b64 s[46:47], s[46:47], exec
	v_lshl_add_u64 v[18:19], v[18:19], 0, 4
	v_lshl_add_u64 v[20:21], v[20:21], 0, 4
	s_waitcnt vmcnt(0)
	v_cmp_ne_u32_e32 vcc, v22, v23
	s_and_b64 s[50:51], vcc, exec
	s_or_b64 s[46:47], s[46:47], s[50:51]
.LBB469_142:                            ;   in Loop: Header=BB469_143 Depth=1
	s_and_b64 s[50:51], exec, s[46:47]
	s_or_b64 s[44:45], s[50:51], s[44:45]
	v_mov_b64_e32 v[22:23], s[48:49]
	s_andn2_b64 exec, exec, s[44:45]
	s_cbranch_execz .LBB469_145
.LBB469_143:                            ; =>This Inner Loop Header: Depth=1
	s_or_b64 s[46:47], s[46:47], exec
	s_cmp_eq_u64 s[42:43], s[48:49]
	s_cbranch_scc0 .LBB469_141
; %bb.144:                              ;   in Loop: Header=BB469_143 Depth=1
                                        ; implicit-def: $vgpr18_vgpr19
                                        ; implicit-def: $vgpr20_vgpr21
	s_mov_b64 s[48:49], s[26:27]
	s_branch .LBB469_142
.LBB469_145:
	s_or_b64 exec, exec, s[44:45]
	v_cmp_gt_i64_e32 vcc, s[26:27], v[22:23]
	s_orn2_b64 s[42:43], vcc, exec
.LBB469_146:
	s_or_b64 exec, exec, s[38:39]
.LBB469_147:
	s_and_b64 s[38:39], s[42:43], exec
.LBB469_148:
	s_or_b64 exec, exec, s[40:41]
	v_cmp_gt_u32_e32 vcc, s52, v27
	s_and_saveexec_b64 s[40:41], vcc
	s_cbranch_execz .LBB469_159
; %bb.149:
	s_and_b64 vcc, exec, s[4:5]
	s_mov_b64 s[42:43], 0
	s_cbranch_vccnz .LBB469_158
; %bb.150:
	v_mul_lo_u32 v20, v11, s26
	v_mul_lo_u32 v21, v10, s27
	v_mad_u64_u32 v[18:19], s[14:15], v10, s26, 0
	v_add3_u32 v19, v19, v21, v20
	v_mul_lo_u32 v20, v13, s26
	v_mul_lo_u32 v21, v12, s27
	v_mad_u64_u32 v[22:23], s[14:15], v12, s26, 0
	v_add3_u32 v23, v23, v21, v20
	v_lshl_add_u64 v[20:21], v[18:19], 2, s[28:29]
	v_lshl_add_u64 v[18:19], v[22:23], 2, s[28:29]
	global_load_dword v22, v[20:21], off
	global_load_dword v23, v[18:19], off
	s_mov_b64 s[42:43], -1
	s_waitcnt vmcnt(0)
	v_cmp_eq_u32_e32 vcc, v22, v23
	s_and_saveexec_b64 s[14:15], vcc
	s_cbranch_execz .LBB469_157
; %bb.151:
	s_add_u32 s42, s26, -1
	v_lshl_add_u64 v[18:19], v[18:19], 0, 4
	v_lshl_add_u64 v[20:21], v[20:21], 0, 4
	s_addc_u32 s43, s27, -1
	s_mov_b64 s[44:45], 0
	s_mov_b64 s[48:49], 0
                                        ; implicit-def: $sgpr46_sgpr47
	s_branch .LBB469_154
.LBB469_152:                            ;   in Loop: Header=BB469_154 Depth=1
	global_load_dword v22, v[20:21], off
	global_load_dword v23, v[18:19], off
	s_add_u32 s48, s48, 1
	s_addc_u32 s49, s49, 0
	s_andn2_b64 s[46:47], s[46:47], exec
	v_lshl_add_u64 v[18:19], v[18:19], 0, 4
	v_lshl_add_u64 v[20:21], v[20:21], 0, 4
	s_waitcnt vmcnt(0)
	v_cmp_ne_u32_e32 vcc, v22, v23
	s_and_b64 s[50:51], vcc, exec
	s_or_b64 s[46:47], s[46:47], s[50:51]
.LBB469_153:                            ;   in Loop: Header=BB469_154 Depth=1
	s_and_b64 s[50:51], exec, s[46:47]
	s_or_b64 s[44:45], s[50:51], s[44:45]
	v_mov_b64_e32 v[22:23], s[48:49]
	s_andn2_b64 exec, exec, s[44:45]
	s_cbranch_execz .LBB469_156
.LBB469_154:                            ; =>This Inner Loop Header: Depth=1
	s_or_b64 s[46:47], s[46:47], exec
	s_cmp_eq_u64 s[42:43], s[48:49]
	s_cbranch_scc0 .LBB469_152
; %bb.155:                              ;   in Loop: Header=BB469_154 Depth=1
                                        ; implicit-def: $vgpr18_vgpr19
                                        ; implicit-def: $vgpr20_vgpr21
	s_mov_b64 s[48:49], s[26:27]
	s_branch .LBB469_153
.LBB469_156:
	s_or_b64 exec, exec, s[44:45]
	v_cmp_gt_i64_e32 vcc, s[26:27], v[22:23]
	s_orn2_b64 s[42:43], vcc, exec
.LBB469_157:
	s_or_b64 exec, exec, s[14:15]
.LBB469_158:
	s_and_b64 s[14:15], s[42:43], exec
.LBB469_159:
	s_or_b64 exec, exec, s[40:41]
	s_waitcnt lgkmcnt(0)
	s_barrier
	s_and_saveexec_b64 s[40:41], s[2:3]
	s_cbranch_execz .LBB469_161
; %bb.160:
	s_waitcnt vmcnt(0)
	v_add_u32_e32 v16, -8, v33
	ds_read_b64 v[16:17], v16
.LBB469_161:
	s_or_b64 exec, exec, s[40:41]
	v_cndmask_b32_e64 v19, 0, 1, s[12:13]
	v_cndmask_b32_e64 v18, 0, 1, s[38:39]
	;; [unrolled: 1-line block ×3, first 2 shown]
	v_lshlrev_b16_e32 v19, 8, v19
	v_cmp_gt_u32_e32 vcc, s52, v1
	v_lshlrev_b16_e32 v22, 8, v20
	v_or_b32_sdwa v23, v18, v19 dst_sel:WORD_1 dst_unused:UNUSED_PAD src0_sel:DWORD src1_sel:DWORD
	s_mov_b64 s[12:13], 0
	s_and_saveexec_b64 s[14:15], vcc
	s_cbranch_execz .LBB469_172
; %bb.162:
	s_and_b64 vcc, exec, s[4:5]
	s_cbranch_vccnz .LBB469_171
; %bb.163:
	s_waitcnt vmcnt(0) lgkmcnt(0)
	v_mul_lo_u32 v18, v17, s26
	v_mul_lo_u32 v19, v16, s27
	v_mad_u64_u32 v[16:17], s[4:5], v16, s26, 0
	v_add3_u32 v17, v17, v19, v18
	v_mul_lo_u32 v18, v11, s26
	v_mul_lo_u32 v19, v10, s27
	v_mad_u64_u32 v[20:21], s[4:5], v10, s26, 0
	v_add3_u32 v21, v21, v19, v18
	v_lshl_add_u64 v[18:19], v[16:17], 2, s[28:29]
	v_lshl_add_u64 v[16:17], v[20:21], 2, s[28:29]
	global_load_dword v20, v[18:19], off
	global_load_dword v21, v[16:17], off
	s_mov_b64 s[12:13], -1
	s_waitcnt vmcnt(0)
	v_cmp_eq_u32_e32 vcc, v20, v21
	s_and_saveexec_b64 s[4:5], vcc
	s_cbranch_execz .LBB469_170
; %bb.164:
	s_add_u32 s12, s26, -1
	v_lshl_add_u64 v[16:17], v[16:17], 0, 4
	v_lshl_add_u64 v[18:19], v[18:19], 0, 4
	s_addc_u32 s13, s27, -1
	s_mov_b64 s[38:39], 0
	s_mov_b64 s[42:43], 0
                                        ; implicit-def: $sgpr40_sgpr41
	s_branch .LBB469_167
.LBB469_165:                            ;   in Loop: Header=BB469_167 Depth=1
	global_load_dword v20, v[18:19], off
	global_load_dword v21, v[16:17], off
	s_add_u32 s42, s42, 1
	s_addc_u32 s43, s43, 0
	s_andn2_b64 s[40:41], s[40:41], exec
	v_lshl_add_u64 v[16:17], v[16:17], 0, 4
	v_lshl_add_u64 v[18:19], v[18:19], 0, 4
	s_waitcnt vmcnt(0)
	v_cmp_ne_u32_e32 vcc, v20, v21
	s_and_b64 s[44:45], vcc, exec
	s_or_b64 s[40:41], s[40:41], s[44:45]
.LBB469_166:                            ;   in Loop: Header=BB469_167 Depth=1
	s_and_b64 s[44:45], exec, s[40:41]
	s_or_b64 s[38:39], s[44:45], s[38:39]
	v_mov_b64_e32 v[20:21], s[42:43]
	s_andn2_b64 exec, exec, s[38:39]
	s_cbranch_execz .LBB469_169
.LBB469_167:                            ; =>This Inner Loop Header: Depth=1
	s_or_b64 s[40:41], s[40:41], exec
	s_cmp_eq_u64 s[12:13], s[42:43]
	s_cbranch_scc0 .LBB469_165
; %bb.168:                              ;   in Loop: Header=BB469_167 Depth=1
                                        ; implicit-def: $vgpr16_vgpr17
                                        ; implicit-def: $vgpr18_vgpr19
	s_mov_b64 s[42:43], s[26:27]
	s_branch .LBB469_166
.LBB469_169:
	s_or_b64 exec, exec, s[38:39]
	v_cmp_gt_i64_e32 vcc, s[26:27], v[20:21]
	s_orn2_b64 s[12:13], vcc, exec
.LBB469_170:
	s_or_b64 exec, exec, s[4:5]
.LBB469_171:
	s_and_b64 s[12:13], s[12:13], exec
.LBB469_172:
	s_or_b64 exec, exec, s[14:15]
	v_cndmask_b32_e64 v25, 0, 1, s[10:11]
	v_cndmask_b32_e64 v34, 0, 1, s[8:9]
	;; [unrolled: 1-line block ×3, first 2 shown]
	v_or_b32_e32 v20, v22, v23
.LBB469_173:
	s_mov_b64 s[8:9], -1
	s_cbranch_execnz .LBB469_32
.LBB469_174:
	s_movk_i32 s4, 0xffd0
	v_mad_i32_i24 v24, v0, s4, v32
	s_mov_b64 s[10:11], 0
	v_cmp_gt_i64_e64 s[6:7], s[26:27], 0
	s_and_b64 vcc, exec, s[36:37]
	ds_write_b64 v24, v[14:15]
	s_cbranch_vccz .LBB469_182
; %bb.175:
	v_mul_lo_u32 v18, v5, s26
	v_mul_lo_u32 v19, v4, s27
	s_waitcnt vmcnt(0) lgkmcnt(1)
	v_mad_u64_u32 v[16:17], s[4:5], v4, s26, 0
	v_add3_u32 v17, v17, v19, v18
	v_cndmask_b32_e64 v18, 0, 1, s[6:7]
	v_cmp_ne_u32_e64 s[4:5], 1, v18
	s_andn2_b64 vcc, exec, s[6:7]
	v_lshl_add_u64 v[16:17], v[16:17], 2, s[28:29]
	s_cbranch_vccnz .LBB469_185
; %bb.176:
	v_mul_lo_u32 v20, v15, s26
	v_mul_lo_u32 v21, v14, s27
	v_mad_u64_u32 v[18:19], s[10:11], v14, s26, 0
	v_add3_u32 v19, v19, v21, v20
	v_lshl_add_u64 v[18:19], v[18:19], 2, s[28:29]
	global_load_dword v20, v[16:17], off
	global_load_dword v21, v[18:19], off
	s_mov_b64 s[10:11], -1
	s_waitcnt vmcnt(0)
	v_cmp_eq_u32_e32 vcc, v20, v21
	s_and_saveexec_b64 s[12:13], vcc
	s_cbranch_execz .LBB469_184
; %bb.177:
	s_add_u32 s10, s26, -1
	v_lshl_add_u64 v[18:19], v[18:19], 0, 4
	v_lshl_add_u64 v[20:21], v[16:17], 0, 4
	s_addc_u32 s11, s27, -1
	s_mov_b64 s[14:15], 0
	s_mov_b64 s[40:41], 0
                                        ; implicit-def: $sgpr38_sgpr39
	s_branch .LBB469_180
.LBB469_178:                            ;   in Loop: Header=BB469_180 Depth=1
	global_load_dword v22, v[20:21], off
	global_load_dword v23, v[18:19], off
	s_add_u32 s40, s40, 1
	s_addc_u32 s41, s41, 0
	s_andn2_b64 s[38:39], s[38:39], exec
	v_lshl_add_u64 v[18:19], v[18:19], 0, 4
	v_lshl_add_u64 v[20:21], v[20:21], 0, 4
	s_waitcnt vmcnt(0)
	v_cmp_ne_u32_e32 vcc, v22, v23
	s_and_b64 s[42:43], vcc, exec
	s_or_b64 s[38:39], s[38:39], s[42:43]
.LBB469_179:                            ;   in Loop: Header=BB469_180 Depth=1
	s_and_b64 s[42:43], exec, s[38:39]
	s_or_b64 s[14:15], s[42:43], s[14:15]
	v_mov_b64_e32 v[22:23], s[40:41]
	s_andn2_b64 exec, exec, s[14:15]
	s_cbranch_execz .LBB469_183
.LBB469_180:                            ; =>This Inner Loop Header: Depth=1
	s_or_b64 s[38:39], s[38:39], exec
	s_cmp_eq_u64 s[10:11], s[40:41]
	s_cbranch_scc0 .LBB469_178
; %bb.181:                              ;   in Loop: Header=BB469_180 Depth=1
                                        ; implicit-def: $vgpr18_vgpr19
                                        ; implicit-def: $vgpr20_vgpr21
	s_mov_b64 s[40:41], s[26:27]
	s_branch .LBB469_179
.LBB469_182:
                                        ; implicit-def: $sgpr12_sgpr13
                                        ; implicit-def: $vgpr35
                                        ; implicit-def: $vgpr34
                                        ; implicit-def: $vgpr25
                                        ; implicit-def: $vgpr20
                                        ; implicit-def: $vgpr16_vgpr17
	s_cbranch_execnz .LBB469_242
	s_branch .LBB469_322
.LBB469_183:
	s_or_b64 exec, exec, s[14:15]
	v_cmp_gt_i64_e32 vcc, s[26:27], v[22:23]
	s_orn2_b64 s[10:11], vcc, exec
.LBB469_184:
	s_or_b64 exec, exec, s[12:13]
.LBB469_185:
	v_mul_lo_u32 v20, v3, s26
	v_mul_lo_u32 v21, v2, s27
	v_mad_u64_u32 v[18:19], s[12:13], v2, s26, 0
	v_add3_u32 v19, v19, v21, v20
	s_mov_b64 s[12:13], 0
	s_and_b64 vcc, exec, s[4:5]
	v_lshl_add_u64 v[18:19], v[18:19], 2, s[28:29]
	s_mov_b64 s[14:15], 0
	s_cbranch_vccnz .LBB469_194
; %bb.186:
	global_load_dword v20, v[18:19], off
	global_load_dword v21, v[16:17], off
	s_mov_b64 s[14:15], -1
	s_waitcnt vmcnt(0)
	v_cmp_eq_u32_e32 vcc, v20, v21
	s_and_saveexec_b64 s[38:39], vcc
	s_cbranch_execz .LBB469_193
; %bb.187:
	s_add_u32 s14, s26, -1
	v_lshl_add_u64 v[16:17], v[16:17], 0, 4
	v_lshl_add_u64 v[20:21], v[18:19], 0, 4
	s_addc_u32 s15, s27, -1
	s_mov_b64 s[40:41], 0
	s_mov_b64 s[44:45], 0
                                        ; implicit-def: $sgpr42_sgpr43
	s_branch .LBB469_190
.LBB469_188:                            ;   in Loop: Header=BB469_190 Depth=1
	global_load_dword v22, v[20:21], off
	global_load_dword v23, v[16:17], off
	s_add_u32 s44, s44, 1
	s_addc_u32 s45, s45, 0
	s_andn2_b64 s[42:43], s[42:43], exec
	v_lshl_add_u64 v[16:17], v[16:17], 0, 4
	v_lshl_add_u64 v[20:21], v[20:21], 0, 4
	s_waitcnt vmcnt(0)
	v_cmp_ne_u32_e32 vcc, v22, v23
	s_and_b64 s[46:47], vcc, exec
	s_or_b64 s[42:43], s[42:43], s[46:47]
.LBB469_189:                            ;   in Loop: Header=BB469_190 Depth=1
	s_and_b64 s[46:47], exec, s[42:43]
	s_or_b64 s[40:41], s[46:47], s[40:41]
	v_mov_b64_e32 v[22:23], s[44:45]
	s_andn2_b64 exec, exec, s[40:41]
	s_cbranch_execz .LBB469_192
.LBB469_190:                            ; =>This Inner Loop Header: Depth=1
	s_or_b64 s[42:43], s[42:43], exec
	s_cmp_eq_u64 s[14:15], s[44:45]
	s_cbranch_scc0 .LBB469_188
; %bb.191:                              ;   in Loop: Header=BB469_190 Depth=1
                                        ; implicit-def: $vgpr16_vgpr17
                                        ; implicit-def: $vgpr20_vgpr21
	s_mov_b64 s[44:45], s[26:27]
	s_branch .LBB469_189
.LBB469_192:
	s_or_b64 exec, exec, s[40:41]
	v_cmp_gt_i64_e32 vcc, s[26:27], v[22:23]
	s_orn2_b64 s[14:15], vcc, exec
.LBB469_193:
	s_or_b64 exec, exec, s[38:39]
.LBB469_194:
	v_mul_lo_u32 v20, v9, s26
	v_mul_lo_u32 v21, v8, s27
	v_mad_u64_u32 v[16:17], s[38:39], v8, s26, 0
	v_add3_u32 v17, v17, v21, v20
	s_and_b64 vcc, exec, s[4:5]
	v_lshl_add_u64 v[16:17], v[16:17], 2, s[28:29]
	s_cbranch_vccnz .LBB469_203
; %bb.195:
	global_load_dword v20, v[16:17], off
	global_load_dword v21, v[18:19], off
	s_mov_b64 s[12:13], -1
	s_waitcnt vmcnt(0)
	v_cmp_eq_u32_e32 vcc, v20, v21
	s_and_saveexec_b64 s[38:39], vcc
	s_cbranch_execz .LBB469_202
; %bb.196:
	s_add_u32 s12, s26, -1
	v_lshl_add_u64 v[18:19], v[18:19], 0, 4
	v_lshl_add_u64 v[20:21], v[16:17], 0, 4
	s_addc_u32 s13, s27, -1
	s_mov_b64 s[40:41], 0
	s_mov_b64 s[44:45], 0
                                        ; implicit-def: $sgpr42_sgpr43
	s_branch .LBB469_199
.LBB469_197:                            ;   in Loop: Header=BB469_199 Depth=1
	global_load_dword v22, v[20:21], off
	global_load_dword v23, v[18:19], off
	s_add_u32 s44, s44, 1
	s_addc_u32 s45, s45, 0
	s_andn2_b64 s[42:43], s[42:43], exec
	v_lshl_add_u64 v[18:19], v[18:19], 0, 4
	v_lshl_add_u64 v[20:21], v[20:21], 0, 4
	s_waitcnt vmcnt(0)
	v_cmp_ne_u32_e32 vcc, v22, v23
	s_and_b64 s[46:47], vcc, exec
	s_or_b64 s[42:43], s[42:43], s[46:47]
.LBB469_198:                            ;   in Loop: Header=BB469_199 Depth=1
	s_and_b64 s[46:47], exec, s[42:43]
	s_or_b64 s[40:41], s[46:47], s[40:41]
	v_mov_b64_e32 v[22:23], s[44:45]
	s_andn2_b64 exec, exec, s[40:41]
	s_cbranch_execz .LBB469_201
.LBB469_199:                            ; =>This Inner Loop Header: Depth=1
	s_or_b64 s[42:43], s[42:43], exec
	s_cmp_eq_u64 s[12:13], s[44:45]
	s_cbranch_scc0 .LBB469_197
; %bb.200:                              ;   in Loop: Header=BB469_199 Depth=1
                                        ; implicit-def: $vgpr18_vgpr19
                                        ; implicit-def: $vgpr20_vgpr21
	s_mov_b64 s[44:45], s[26:27]
	s_branch .LBB469_198
.LBB469_201:
	s_or_b64 exec, exec, s[40:41]
	v_cmp_gt_i64_e32 vcc, s[26:27], v[22:23]
	s_orn2_b64 s[12:13], vcc, exec
.LBB469_202:
	s_or_b64 exec, exec, s[38:39]
.LBB469_203:
	v_mul_lo_u32 v20, v7, s26
	v_mul_lo_u32 v21, v6, s27
	v_mad_u64_u32 v[18:19], s[38:39], v6, s26, 0
	v_add3_u32 v19, v19, v21, v20
	s_mov_b64 s[38:39], 0
	s_and_b64 vcc, exec, s[4:5]
	v_lshl_add_u64 v[18:19], v[18:19], 2, s[28:29]
	s_mov_b64 s[40:41], 0
	s_cbranch_vccnz .LBB469_212
; %bb.204:
	global_load_dword v20, v[18:19], off
	global_load_dword v21, v[16:17], off
	s_mov_b64 s[40:41], -1
	s_waitcnt vmcnt(0)
	v_cmp_eq_u32_e32 vcc, v20, v21
	s_and_saveexec_b64 s[42:43], vcc
	s_cbranch_execz .LBB469_211
; %bb.205:
	s_add_u32 s40, s26, -1
	v_lshl_add_u64 v[16:17], v[16:17], 0, 4
	v_lshl_add_u64 v[20:21], v[18:19], 0, 4
	s_addc_u32 s41, s27, -1
	s_mov_b64 s[44:45], 0
	s_mov_b64 s[48:49], 0
                                        ; implicit-def: $sgpr46_sgpr47
	s_branch .LBB469_208
.LBB469_206:                            ;   in Loop: Header=BB469_208 Depth=1
	global_load_dword v22, v[20:21], off
	global_load_dword v23, v[16:17], off
	s_add_u32 s48, s48, 1
	s_addc_u32 s49, s49, 0
	s_andn2_b64 s[46:47], s[46:47], exec
	v_lshl_add_u64 v[16:17], v[16:17], 0, 4
	v_lshl_add_u64 v[20:21], v[20:21], 0, 4
	s_waitcnt vmcnt(0)
	v_cmp_ne_u32_e32 vcc, v22, v23
	s_and_b64 s[50:51], vcc, exec
	s_or_b64 s[46:47], s[46:47], s[50:51]
.LBB469_207:                            ;   in Loop: Header=BB469_208 Depth=1
	s_and_b64 s[50:51], exec, s[46:47]
	s_or_b64 s[44:45], s[50:51], s[44:45]
	v_mov_b64_e32 v[22:23], s[48:49]
	s_andn2_b64 exec, exec, s[44:45]
	s_cbranch_execz .LBB469_210
.LBB469_208:                            ; =>This Inner Loop Header: Depth=1
	s_or_b64 s[46:47], s[46:47], exec
	s_cmp_eq_u64 s[40:41], s[48:49]
	s_cbranch_scc0 .LBB469_206
; %bb.209:                              ;   in Loop: Header=BB469_208 Depth=1
                                        ; implicit-def: $vgpr16_vgpr17
                                        ; implicit-def: $vgpr20_vgpr21
	s_mov_b64 s[48:49], s[26:27]
	s_branch .LBB469_207
.LBB469_210:
	s_or_b64 exec, exec, s[44:45]
	v_cmp_gt_i64_e32 vcc, s[26:27], v[22:23]
	s_orn2_b64 s[40:41], vcc, exec
.LBB469_211:
	s_or_b64 exec, exec, s[42:43]
.LBB469_212:
	v_mul_lo_u32 v20, v13, s26
	v_mul_lo_u32 v21, v12, s27
	v_mad_u64_u32 v[16:17], s[42:43], v12, s26, 0
	v_add3_u32 v17, v17, v21, v20
	s_and_b64 vcc, exec, s[4:5]
	v_lshl_add_u64 v[16:17], v[16:17], 2, s[28:29]
	s_cbranch_vccnz .LBB469_221
; %bb.213:
	global_load_dword v20, v[16:17], off
	global_load_dword v21, v[18:19], off
	s_mov_b64 s[38:39], -1
	s_waitcnt vmcnt(0)
	v_cmp_eq_u32_e32 vcc, v20, v21
	s_and_saveexec_b64 s[42:43], vcc
	s_cbranch_execz .LBB469_220
; %bb.214:
	s_add_u32 s38, s26, -1
	v_lshl_add_u64 v[18:19], v[18:19], 0, 4
	v_lshl_add_u64 v[20:21], v[16:17], 0, 4
	s_addc_u32 s39, s27, -1
	s_mov_b64 s[44:45], 0
	s_mov_b64 s[48:49], 0
                                        ; implicit-def: $sgpr46_sgpr47
	s_branch .LBB469_217
.LBB469_215:                            ;   in Loop: Header=BB469_217 Depth=1
	global_load_dword v22, v[20:21], off
	global_load_dword v23, v[18:19], off
	s_add_u32 s48, s48, 1
	s_addc_u32 s49, s49, 0
	s_andn2_b64 s[46:47], s[46:47], exec
	v_lshl_add_u64 v[18:19], v[18:19], 0, 4
	v_lshl_add_u64 v[20:21], v[20:21], 0, 4
	s_waitcnt vmcnt(0)
	v_cmp_ne_u32_e32 vcc, v22, v23
	s_and_b64 s[50:51], vcc, exec
	s_or_b64 s[46:47], s[46:47], s[50:51]
.LBB469_216:                            ;   in Loop: Header=BB469_217 Depth=1
	s_and_b64 s[50:51], exec, s[46:47]
	s_or_b64 s[44:45], s[50:51], s[44:45]
	v_mov_b64_e32 v[22:23], s[48:49]
	s_andn2_b64 exec, exec, s[44:45]
	s_cbranch_execz .LBB469_219
.LBB469_217:                            ; =>This Inner Loop Header: Depth=1
	s_or_b64 s[46:47], s[46:47], exec
	s_cmp_eq_u64 s[38:39], s[48:49]
	s_cbranch_scc0 .LBB469_215
; %bb.218:                              ;   in Loop: Header=BB469_217 Depth=1
                                        ; implicit-def: $vgpr18_vgpr19
                                        ; implicit-def: $vgpr20_vgpr21
	s_mov_b64 s[48:49], s[26:27]
	s_branch .LBB469_216
.LBB469_219:
	s_or_b64 exec, exec, s[44:45]
	v_cmp_gt_i64_e32 vcc, s[26:27], v[22:23]
	s_orn2_b64 s[38:39], vcc, exec
.LBB469_220:
	s_or_b64 exec, exec, s[42:43]
.LBB469_221:
	v_mul_lo_u32 v20, v11, s26
	v_mul_lo_u32 v21, v10, s27
	v_mad_u64_u32 v[18:19], s[42:43], v10, s26, 0
	v_add3_u32 v19, v19, v21, v20
	s_and_b64 vcc, exec, s[4:5]
	s_mov_b64 s[44:45], 0
	s_cbranch_vccnz .LBB469_230
; %bb.222:
	v_lshl_add_u64 v[20:21], v[18:19], 2, s[28:29]
	global_load_dword v22, v[20:21], off
	global_load_dword v23, v[16:17], off
	s_mov_b64 s[44:45], -1
	s_waitcnt vmcnt(0)
	v_cmp_eq_u32_e32 vcc, v22, v23
	s_and_saveexec_b64 s[42:43], vcc
	s_cbranch_execz .LBB469_229
; %bb.223:
	s_add_u32 s44, s26, -1
	v_lshl_add_u64 v[16:17], v[16:17], 0, 4
	v_lshl_add_u64 v[20:21], v[20:21], 0, 4
	s_addc_u32 s45, s27, -1
	s_mov_b64 s[46:47], 0
	s_mov_b64 s[50:51], 0
                                        ; implicit-def: $sgpr48_sgpr49
	s_branch .LBB469_226
.LBB469_224:                            ;   in Loop: Header=BB469_226 Depth=1
	global_load_dword v22, v[20:21], off
	global_load_dword v23, v[16:17], off
	s_add_u32 s50, s50, 1
	s_addc_u32 s51, s51, 0
	s_andn2_b64 s[48:49], s[48:49], exec
	v_lshl_add_u64 v[16:17], v[16:17], 0, 4
	v_lshl_add_u64 v[20:21], v[20:21], 0, 4
	s_waitcnt vmcnt(0)
	v_cmp_ne_u32_e32 vcc, v22, v23
	s_and_b64 s[54:55], vcc, exec
	s_or_b64 s[48:49], s[48:49], s[54:55]
.LBB469_225:                            ;   in Loop: Header=BB469_226 Depth=1
	s_and_b64 s[54:55], exec, s[48:49]
	s_or_b64 s[46:47], s[54:55], s[46:47]
	v_mov_b64_e32 v[22:23], s[50:51]
	s_andn2_b64 exec, exec, s[46:47]
	s_cbranch_execz .LBB469_228
.LBB469_226:                            ; =>This Inner Loop Header: Depth=1
	s_or_b64 s[48:49], s[48:49], exec
	s_cmp_eq_u64 s[44:45], s[50:51]
	s_cbranch_scc0 .LBB469_224
; %bb.227:                              ;   in Loop: Header=BB469_226 Depth=1
                                        ; implicit-def: $vgpr16_vgpr17
                                        ; implicit-def: $vgpr20_vgpr21
	s_mov_b64 s[50:51], s[26:27]
	s_branch .LBB469_225
.LBB469_228:
	s_or_b64 exec, exec, s[46:47]
	v_cmp_gt_i64_e32 vcc, s[26:27], v[22:23]
	s_orn2_b64 s[44:45], vcc, exec
.LBB469_229:
	s_or_b64 exec, exec, s[42:43]
.LBB469_230:
	v_cndmask_b32_e64 v17, 0, 1, s[40:41]
	v_cndmask_b32_e64 v16, 0, 1, s[38:39]
	;; [unrolled: 1-line block ×3, first 2 shown]
	v_lshlrev_b16_e32 v17, 8, v17
	v_cndmask_b32_e64 v25, 0, 1, s[12:13]
	v_cndmask_b32_e64 v20, 0, 1, s[44:45]
	v_or_b32_sdwa v16, v16, v17 dst_sel:WORD_1 dst_unused:UNUSED_PAD src0_sel:DWORD src1_sel:DWORD
	v_lshlrev_b16_e32 v17, 8, v34
	v_lshlrev_b16_e32 v20, 8, v20
	v_or_b32_e32 v17, v25, v17
	v_or_b32_e32 v20, 1, v20
	v_and_b32_e32 v17, 0xffff, v17
	v_cndmask_b32_e64 v35, 0, 1, s[10:11]
	v_or_b32_sdwa v16, v20, v16 dst_sel:DWORD dst_unused:UNUSED_PAD src0_sel:WORD_0 src1_sel:DWORD
	v_lshl_or_b32 v17, v35, 16, v17
	s_waitcnt lgkmcnt(0)
	s_barrier
	s_waitcnt lgkmcnt(0)
                                        ; implicit-def: $sgpr12_sgpr13
                                        ; implicit-def: $vgpr20
	s_and_saveexec_b64 s[10:11], s[2:3]
	s_xor_b64 s[10:11], exec, s[10:11]
	s_cbranch_execz .LBB469_241
; %bb.231:
	s_mov_b32 s42, 0x3020104
	s_and_b64 vcc, exec, s[4:5]
	s_mov_b64 s[12:13], 0
	s_cbranch_vccnz .LBB469_240
; %bb.232:
	v_add_u32_e32 v17, -8, v24
	ds_read_b64 v[20:21], v17
	v_lshl_add_u64 v[18:19], v[18:19], 2, s[28:29]
	s_mov_b64 s[12:13], -1
	s_waitcnt lgkmcnt(0)
	v_mul_lo_u32 v17, v21, s26
	v_mul_lo_u32 v22, v20, s27
	v_mad_u64_u32 v[20:21], s[4:5], v20, s26, 0
	v_add3_u32 v21, v21, v22, v17
	v_lshl_add_u64 v[20:21], v[20:21], 2, s[28:29]
	global_load_dword v17, v[20:21], off
	global_load_dword v22, v[18:19], off
	s_waitcnt vmcnt(0)
	v_cmp_eq_u32_e32 vcc, v17, v22
	s_and_saveexec_b64 s[4:5], vcc
	s_cbranch_execz .LBB469_239
; %bb.233:
	s_add_u32 s12, s26, -1
	v_lshl_add_u64 v[18:19], v[18:19], 0, 4
	v_lshl_add_u64 v[20:21], v[20:21], 0, 4
	s_addc_u32 s13, s27, -1
	s_mov_b64 s[14:15], 0
	s_mov_b64 s[40:41], 0
                                        ; implicit-def: $sgpr38_sgpr39
	s_branch .LBB469_236
.LBB469_234:                            ;   in Loop: Header=BB469_236 Depth=1
	global_load_dword v17, v[20:21], off
	global_load_dword v22, v[18:19], off
	s_add_u32 s40, s40, 1
	s_addc_u32 s41, s41, 0
	s_andn2_b64 s[38:39], s[38:39], exec
	v_lshl_add_u64 v[18:19], v[18:19], 0, 4
	v_lshl_add_u64 v[20:21], v[20:21], 0, 4
	s_waitcnt vmcnt(0)
	v_cmp_ne_u32_e32 vcc, v17, v22
	s_and_b64 s[44:45], vcc, exec
	s_or_b64 s[38:39], s[38:39], s[44:45]
.LBB469_235:                            ;   in Loop: Header=BB469_236 Depth=1
	s_and_b64 s[44:45], exec, s[38:39]
	s_or_b64 s[14:15], s[44:45], s[14:15]
	v_mov_b64_e32 v[22:23], s[40:41]
	s_andn2_b64 exec, exec, s[14:15]
	s_cbranch_execz .LBB469_238
.LBB469_236:                            ; =>This Inner Loop Header: Depth=1
	s_or_b64 s[38:39], s[38:39], exec
	s_cmp_eq_u64 s[12:13], s[40:41]
	s_cbranch_scc0 .LBB469_234
; %bb.237:                              ;   in Loop: Header=BB469_236 Depth=1
                                        ; implicit-def: $vgpr18_vgpr19
                                        ; implicit-def: $vgpr20_vgpr21
	s_mov_b64 s[40:41], s[26:27]
	s_branch .LBB469_235
.LBB469_238:
	s_or_b64 exec, exec, s[14:15]
	v_cmp_gt_i64_e32 vcc, s[26:27], v[22:23]
	s_orn2_b64 s[12:13], vcc, exec
.LBB469_239:
	s_or_b64 exec, exec, s[4:5]
.LBB469_240:
	v_perm_b32 v20, v16, v16, s42
	s_and_b64 s[12:13], s[12:13], exec
	s_or_b64 s[8:9], s[8:9], exec
                                        ; implicit-def: $vgpr16_vgpr17
.LBB469_241:
	s_or_b64 exec, exec, s[10:11]
	s_branch .LBB469_322
.LBB469_242:
	v_cmp_gt_u32_e32 vcc, s52, v29
	s_mov_b64 s[10:11], 0
	s_mov_b64 s[4:5], 0
	s_and_saveexec_b64 s[12:13], vcc
	s_cbranch_execz .LBB469_253
; %bb.243:
	s_andn2_b64 vcc, exec, s[6:7]
	s_mov_b64 s[14:15], 0
	s_cbranch_vccnz .LBB469_252
; %bb.244:
	v_mul_lo_u32 v18, v5, s26
	v_mul_lo_u32 v19, v4, s27
	s_waitcnt vmcnt(0) lgkmcnt(1)
	v_mad_u64_u32 v[16:17], s[4:5], v4, s26, 0
	v_add3_u32 v17, v17, v19, v18
	v_mul_lo_u32 v18, v15, s26
	v_mul_lo_u32 v19, v14, s27
	v_mad_u64_u32 v[20:21], s[4:5], v14, s26, 0
	v_add3_u32 v21, v21, v19, v18
	v_lshl_add_u64 v[18:19], v[16:17], 2, s[28:29]
	v_lshl_add_u64 v[16:17], v[20:21], 2, s[28:29]
	global_load_dword v20, v[18:19], off
	global_load_dword v21, v[16:17], off
	s_mov_b64 s[14:15], -1
	s_waitcnt vmcnt(0)
	v_cmp_eq_u32_e32 vcc, v20, v21
	s_and_saveexec_b64 s[4:5], vcc
	s_cbranch_execz .LBB469_251
; %bb.245:
	s_add_u32 s14, s26, -1
	v_lshl_add_u64 v[16:17], v[16:17], 0, 4
	v_lshl_add_u64 v[18:19], v[18:19], 0, 4
	s_addc_u32 s15, s27, -1
	s_mov_b64 s[38:39], 0
	s_mov_b64 s[42:43], 0
                                        ; implicit-def: $sgpr40_sgpr41
	s_branch .LBB469_248
.LBB469_246:                            ;   in Loop: Header=BB469_248 Depth=1
	global_load_dword v20, v[18:19], off
	global_load_dword v21, v[16:17], off
	s_add_u32 s42, s42, 1
	s_addc_u32 s43, s43, 0
	s_andn2_b64 s[40:41], s[40:41], exec
	v_lshl_add_u64 v[16:17], v[16:17], 0, 4
	v_lshl_add_u64 v[18:19], v[18:19], 0, 4
	s_waitcnt vmcnt(0)
	v_cmp_ne_u32_e32 vcc, v20, v21
	s_and_b64 s[44:45], vcc, exec
	s_or_b64 s[40:41], s[40:41], s[44:45]
.LBB469_247:                            ;   in Loop: Header=BB469_248 Depth=1
	s_and_b64 s[44:45], exec, s[40:41]
	s_or_b64 s[38:39], s[44:45], s[38:39]
	v_mov_b64_e32 v[20:21], s[42:43]
	s_andn2_b64 exec, exec, s[38:39]
	s_cbranch_execz .LBB469_250
.LBB469_248:                            ; =>This Inner Loop Header: Depth=1
	s_or_b64 s[40:41], s[40:41], exec
	s_cmp_eq_u64 s[14:15], s[42:43]
	s_cbranch_scc0 .LBB469_246
; %bb.249:                              ;   in Loop: Header=BB469_248 Depth=1
                                        ; implicit-def: $vgpr16_vgpr17
                                        ; implicit-def: $vgpr18_vgpr19
	s_mov_b64 s[42:43], s[26:27]
	s_branch .LBB469_247
.LBB469_250:
	s_or_b64 exec, exec, s[38:39]
	v_cmp_gt_i64_e32 vcc, s[26:27], v[20:21]
	s_orn2_b64 s[14:15], vcc, exec
.LBB469_251:
	s_or_b64 exec, exec, s[4:5]
.LBB469_252:
	s_and_b64 s[4:5], s[14:15], exec
.LBB469_253:
	s_or_b64 exec, exec, s[12:13]
	v_cmp_gt_u32_e32 vcc, s52, v31
	s_and_saveexec_b64 s[12:13], vcc
	s_cbranch_execz .LBB469_264
; %bb.254:
	s_andn2_b64 vcc, exec, s[6:7]
	s_mov_b64 s[14:15], 0
	s_cbranch_vccnz .LBB469_263
; %bb.255:
	v_mul_lo_u32 v18, v3, s26
	v_mul_lo_u32 v19, v2, s27
	s_waitcnt vmcnt(0) lgkmcnt(1)
	v_mad_u64_u32 v[16:17], s[10:11], v2, s26, 0
	v_add3_u32 v17, v17, v19, v18
	v_mul_lo_u32 v18, v5, s26
	v_mul_lo_u32 v19, v4, s27
	v_mad_u64_u32 v[20:21], s[10:11], v4, s26, 0
	v_add3_u32 v21, v21, v19, v18
	v_lshl_add_u64 v[18:19], v[16:17], 2, s[28:29]
	v_lshl_add_u64 v[16:17], v[20:21], 2, s[28:29]
	global_load_dword v20, v[18:19], off
	global_load_dword v21, v[16:17], off
	s_mov_b64 s[14:15], -1
	s_waitcnt vmcnt(0)
	v_cmp_eq_u32_e32 vcc, v20, v21
	s_and_saveexec_b64 s[10:11], vcc
	s_cbranch_execz .LBB469_262
; %bb.256:
	s_add_u32 s14, s26, -1
	v_lshl_add_u64 v[16:17], v[16:17], 0, 4
	v_lshl_add_u64 v[18:19], v[18:19], 0, 4
	s_addc_u32 s15, s27, -1
	s_mov_b64 s[38:39], 0
	s_mov_b64 s[42:43], 0
                                        ; implicit-def: $sgpr40_sgpr41
	s_branch .LBB469_259
.LBB469_257:                            ;   in Loop: Header=BB469_259 Depth=1
	global_load_dword v20, v[18:19], off
	global_load_dword v21, v[16:17], off
	s_add_u32 s42, s42, 1
	s_addc_u32 s43, s43, 0
	s_andn2_b64 s[40:41], s[40:41], exec
	v_lshl_add_u64 v[16:17], v[16:17], 0, 4
	v_lshl_add_u64 v[18:19], v[18:19], 0, 4
	s_waitcnt vmcnt(0)
	v_cmp_ne_u32_e32 vcc, v20, v21
	s_and_b64 s[44:45], vcc, exec
	s_or_b64 s[40:41], s[40:41], s[44:45]
.LBB469_258:                            ;   in Loop: Header=BB469_259 Depth=1
	s_and_b64 s[44:45], exec, s[40:41]
	s_or_b64 s[38:39], s[44:45], s[38:39]
	v_mov_b64_e32 v[20:21], s[42:43]
	s_andn2_b64 exec, exec, s[38:39]
	s_cbranch_execz .LBB469_261
.LBB469_259:                            ; =>This Inner Loop Header: Depth=1
	s_or_b64 s[40:41], s[40:41], exec
	s_cmp_eq_u64 s[14:15], s[42:43]
	s_cbranch_scc0 .LBB469_257
; %bb.260:                              ;   in Loop: Header=BB469_259 Depth=1
                                        ; implicit-def: $vgpr16_vgpr17
                                        ; implicit-def: $vgpr18_vgpr19
	s_mov_b64 s[42:43], s[26:27]
	s_branch .LBB469_258
.LBB469_261:
	s_or_b64 exec, exec, s[38:39]
	v_cmp_gt_i64_e32 vcc, s[26:27], v[20:21]
	s_orn2_b64 s[14:15], vcc, exec
.LBB469_262:
	s_or_b64 exec, exec, s[10:11]
.LBB469_263:
	s_and_b64 s[10:11], s[14:15], exec
.LBB469_264:
	s_or_b64 exec, exec, s[12:13]
	v_cmp_gt_u32_e32 vcc, s52, v28
	s_mov_b64 s[14:15], 0
	s_mov_b64 s[12:13], 0
	s_and_saveexec_b64 s[38:39], vcc
	s_cbranch_execz .LBB469_275
; %bb.265:
	s_andn2_b64 vcc, exec, s[6:7]
	s_mov_b64 s[40:41], 0
	s_cbranch_vccnz .LBB469_274
; %bb.266:
	v_mul_lo_u32 v18, v9, s26
	v_mul_lo_u32 v19, v8, s27
	s_waitcnt vmcnt(0) lgkmcnt(1)
	v_mad_u64_u32 v[16:17], s[12:13], v8, s26, 0
	v_add3_u32 v17, v17, v19, v18
	v_mul_lo_u32 v18, v3, s26
	v_mul_lo_u32 v19, v2, s27
	v_mad_u64_u32 v[20:21], s[12:13], v2, s26, 0
	v_add3_u32 v21, v21, v19, v18
	v_lshl_add_u64 v[18:19], v[16:17], 2, s[28:29]
	v_lshl_add_u64 v[16:17], v[20:21], 2, s[28:29]
	global_load_dword v20, v[18:19], off
	global_load_dword v21, v[16:17], off
	s_mov_b64 s[40:41], -1
	s_waitcnt vmcnt(0)
	v_cmp_eq_u32_e32 vcc, v20, v21
	s_and_saveexec_b64 s[12:13], vcc
	s_cbranch_execz .LBB469_273
; %bb.267:
	s_add_u32 s40, s26, -1
	v_lshl_add_u64 v[16:17], v[16:17], 0, 4
	v_lshl_add_u64 v[18:19], v[18:19], 0, 4
	s_addc_u32 s41, s27, -1
	s_mov_b64 s[42:43], 0
	s_mov_b64 s[46:47], 0
                                        ; implicit-def: $sgpr44_sgpr45
	s_branch .LBB469_270
.LBB469_268:                            ;   in Loop: Header=BB469_270 Depth=1
	global_load_dword v20, v[18:19], off
	global_load_dword v21, v[16:17], off
	s_add_u32 s46, s46, 1
	s_addc_u32 s47, s47, 0
	s_andn2_b64 s[44:45], s[44:45], exec
	v_lshl_add_u64 v[16:17], v[16:17], 0, 4
	v_lshl_add_u64 v[18:19], v[18:19], 0, 4
	s_waitcnt vmcnt(0)
	v_cmp_ne_u32_e32 vcc, v20, v21
	s_and_b64 s[48:49], vcc, exec
	s_or_b64 s[44:45], s[44:45], s[48:49]
.LBB469_269:                            ;   in Loop: Header=BB469_270 Depth=1
	s_and_b64 s[48:49], exec, s[44:45]
	s_or_b64 s[42:43], s[48:49], s[42:43]
	v_mov_b64_e32 v[20:21], s[46:47]
	s_andn2_b64 exec, exec, s[42:43]
	s_cbranch_execz .LBB469_272
.LBB469_270:                            ; =>This Inner Loop Header: Depth=1
	s_or_b64 s[44:45], s[44:45], exec
	s_cmp_eq_u64 s[40:41], s[46:47]
	s_cbranch_scc0 .LBB469_268
; %bb.271:                              ;   in Loop: Header=BB469_270 Depth=1
                                        ; implicit-def: $vgpr16_vgpr17
                                        ; implicit-def: $vgpr18_vgpr19
	s_mov_b64 s[46:47], s[26:27]
	s_branch .LBB469_269
.LBB469_272:
	s_or_b64 exec, exec, s[42:43]
	v_cmp_gt_i64_e32 vcc, s[26:27], v[20:21]
	s_orn2_b64 s[40:41], vcc, exec
.LBB469_273:
	s_or_b64 exec, exec, s[12:13]
.LBB469_274:
	s_and_b64 s[12:13], s[40:41], exec
.LBB469_275:
	s_or_b64 exec, exec, s[38:39]
	v_cmp_gt_u32_e32 vcc, s52, v30
	s_and_saveexec_b64 s[38:39], vcc
	s_cbranch_execz .LBB469_286
; %bb.276:
	s_andn2_b64 vcc, exec, s[6:7]
	s_mov_b64 s[40:41], 0
	s_cbranch_vccnz .LBB469_285
; %bb.277:
	v_mul_lo_u32 v18, v7, s26
	v_mul_lo_u32 v19, v6, s27
	s_waitcnt vmcnt(0) lgkmcnt(1)
	v_mad_u64_u32 v[16:17], s[14:15], v6, s26, 0
	v_add3_u32 v17, v17, v19, v18
	v_mul_lo_u32 v18, v9, s26
	v_mul_lo_u32 v19, v8, s27
	v_mad_u64_u32 v[20:21], s[14:15], v8, s26, 0
	v_add3_u32 v21, v21, v19, v18
	v_lshl_add_u64 v[18:19], v[16:17], 2, s[28:29]
	v_lshl_add_u64 v[16:17], v[20:21], 2, s[28:29]
	global_load_dword v20, v[18:19], off
	global_load_dword v21, v[16:17], off
	s_mov_b64 s[40:41], -1
	s_waitcnt vmcnt(0)
	v_cmp_eq_u32_e32 vcc, v20, v21
	s_and_saveexec_b64 s[14:15], vcc
	s_cbranch_execz .LBB469_284
; %bb.278:
	s_add_u32 s40, s26, -1
	v_lshl_add_u64 v[16:17], v[16:17], 0, 4
	v_lshl_add_u64 v[18:19], v[18:19], 0, 4
	s_addc_u32 s41, s27, -1
	s_mov_b64 s[42:43], 0
	s_mov_b64 s[46:47], 0
                                        ; implicit-def: $sgpr44_sgpr45
	s_branch .LBB469_281
.LBB469_279:                            ;   in Loop: Header=BB469_281 Depth=1
	global_load_dword v20, v[18:19], off
	global_load_dword v21, v[16:17], off
	s_add_u32 s46, s46, 1
	s_addc_u32 s47, s47, 0
	s_andn2_b64 s[44:45], s[44:45], exec
	v_lshl_add_u64 v[16:17], v[16:17], 0, 4
	v_lshl_add_u64 v[18:19], v[18:19], 0, 4
	s_waitcnt vmcnt(0)
	v_cmp_ne_u32_e32 vcc, v20, v21
	s_and_b64 s[48:49], vcc, exec
	s_or_b64 s[44:45], s[44:45], s[48:49]
.LBB469_280:                            ;   in Loop: Header=BB469_281 Depth=1
	s_and_b64 s[48:49], exec, s[44:45]
	s_or_b64 s[42:43], s[48:49], s[42:43]
	v_mov_b64_e32 v[20:21], s[46:47]
	s_andn2_b64 exec, exec, s[42:43]
	s_cbranch_execz .LBB469_283
.LBB469_281:                            ; =>This Inner Loop Header: Depth=1
	s_or_b64 s[44:45], s[44:45], exec
	s_cmp_eq_u64 s[40:41], s[46:47]
	s_cbranch_scc0 .LBB469_279
; %bb.282:                              ;   in Loop: Header=BB469_281 Depth=1
                                        ; implicit-def: $vgpr16_vgpr17
                                        ; implicit-def: $vgpr18_vgpr19
	s_mov_b64 s[46:47], s[26:27]
	s_branch .LBB469_280
.LBB469_283:
	s_or_b64 exec, exec, s[42:43]
	v_cmp_gt_i64_e32 vcc, s[26:27], v[20:21]
	s_orn2_b64 s[40:41], vcc, exec
.LBB469_284:
	s_or_b64 exec, exec, s[14:15]
.LBB469_285:
	s_and_b64 s[14:15], s[40:41], exec
.LBB469_286:
	s_or_b64 exec, exec, s[38:39]
	v_cmp_gt_u32_e32 vcc, s52, v26
	s_mov_b64 s[38:39], 0
	s_mov_b64 s[40:41], 0
	s_and_saveexec_b64 s[42:43], vcc
	s_cbranch_execz .LBB469_297
; %bb.287:
	s_andn2_b64 vcc, exec, s[6:7]
	s_mov_b64 s[44:45], 0
	s_cbranch_vccnz .LBB469_296
; %bb.288:
	v_mul_lo_u32 v18, v13, s26
	v_mul_lo_u32 v19, v12, s27
	s_waitcnt vmcnt(0) lgkmcnt(1)
	v_mad_u64_u32 v[16:17], s[40:41], v12, s26, 0
	v_add3_u32 v17, v17, v19, v18
	v_mul_lo_u32 v18, v7, s26
	v_mul_lo_u32 v19, v6, s27
	v_mad_u64_u32 v[20:21], s[40:41], v6, s26, 0
	v_add3_u32 v21, v21, v19, v18
	v_lshl_add_u64 v[18:19], v[16:17], 2, s[28:29]
	v_lshl_add_u64 v[16:17], v[20:21], 2, s[28:29]
	global_load_dword v20, v[18:19], off
	global_load_dword v21, v[16:17], off
	s_mov_b64 s[44:45], -1
	s_waitcnt vmcnt(0)
	v_cmp_eq_u32_e32 vcc, v20, v21
	s_and_saveexec_b64 s[40:41], vcc
	s_cbranch_execz .LBB469_295
; %bb.289:
	s_add_u32 s44, s26, -1
	v_lshl_add_u64 v[16:17], v[16:17], 0, 4
	v_lshl_add_u64 v[18:19], v[18:19], 0, 4
	s_addc_u32 s45, s27, -1
	s_mov_b64 s[46:47], 0
	s_mov_b64 s[50:51], 0
                                        ; implicit-def: $sgpr48_sgpr49
	s_branch .LBB469_292
.LBB469_290:                            ;   in Loop: Header=BB469_292 Depth=1
	global_load_dword v20, v[18:19], off
	global_load_dword v21, v[16:17], off
	s_add_u32 s50, s50, 1
	s_addc_u32 s51, s51, 0
	s_andn2_b64 s[48:49], s[48:49], exec
	v_lshl_add_u64 v[16:17], v[16:17], 0, 4
	v_lshl_add_u64 v[18:19], v[18:19], 0, 4
	s_waitcnt vmcnt(0)
	v_cmp_ne_u32_e32 vcc, v20, v21
	s_and_b64 s[54:55], vcc, exec
	s_or_b64 s[48:49], s[48:49], s[54:55]
.LBB469_291:                            ;   in Loop: Header=BB469_292 Depth=1
	s_and_b64 s[54:55], exec, s[48:49]
	s_or_b64 s[46:47], s[54:55], s[46:47]
	v_mov_b64_e32 v[20:21], s[50:51]
	s_andn2_b64 exec, exec, s[46:47]
	s_cbranch_execz .LBB469_294
.LBB469_292:                            ; =>This Inner Loop Header: Depth=1
	s_or_b64 s[48:49], s[48:49], exec
	s_cmp_eq_u64 s[44:45], s[50:51]
	s_cbranch_scc0 .LBB469_290
; %bb.293:                              ;   in Loop: Header=BB469_292 Depth=1
                                        ; implicit-def: $vgpr16_vgpr17
                                        ; implicit-def: $vgpr18_vgpr19
	s_mov_b64 s[50:51], s[26:27]
	s_branch .LBB469_291
.LBB469_294:
	s_or_b64 exec, exec, s[46:47]
	v_cmp_gt_i64_e32 vcc, s[26:27], v[20:21]
	s_orn2_b64 s[44:45], vcc, exec
.LBB469_295:
	s_or_b64 exec, exec, s[40:41]
.LBB469_296:
	s_and_b64 s[40:41], s[44:45], exec
.LBB469_297:
	s_or_b64 exec, exec, s[42:43]
	v_cmp_gt_u32_e32 vcc, s52, v27
	s_and_saveexec_b64 s[42:43], vcc
	s_cbranch_execz .LBB469_308
; %bb.298:
	s_andn2_b64 vcc, exec, s[6:7]
	s_mov_b64 s[44:45], 0
	s_cbranch_vccnz .LBB469_307
; %bb.299:
	v_mul_lo_u32 v18, v11, s26
	v_mul_lo_u32 v19, v10, s27
	s_waitcnt vmcnt(0) lgkmcnt(1)
	v_mad_u64_u32 v[16:17], s[38:39], v10, s26, 0
	v_add3_u32 v17, v17, v19, v18
	v_mul_lo_u32 v18, v13, s26
	v_mul_lo_u32 v19, v12, s27
	v_mad_u64_u32 v[20:21], s[38:39], v12, s26, 0
	v_add3_u32 v21, v21, v19, v18
	v_lshl_add_u64 v[18:19], v[16:17], 2, s[28:29]
	v_lshl_add_u64 v[16:17], v[20:21], 2, s[28:29]
	global_load_dword v20, v[18:19], off
	global_load_dword v21, v[16:17], off
	s_mov_b64 s[44:45], -1
	s_waitcnt vmcnt(0)
	v_cmp_eq_u32_e32 vcc, v20, v21
	s_and_saveexec_b64 s[38:39], vcc
	s_cbranch_execz .LBB469_306
; %bb.300:
	s_add_u32 s44, s26, -1
	v_lshl_add_u64 v[16:17], v[16:17], 0, 4
	v_lshl_add_u64 v[18:19], v[18:19], 0, 4
	s_addc_u32 s45, s27, -1
	s_mov_b64 s[46:47], 0
	s_mov_b64 s[50:51], 0
                                        ; implicit-def: $sgpr48_sgpr49
	s_branch .LBB469_303
.LBB469_301:                            ;   in Loop: Header=BB469_303 Depth=1
	global_load_dword v20, v[18:19], off
	global_load_dword v21, v[16:17], off
	s_add_u32 s50, s50, 1
	s_addc_u32 s51, s51, 0
	s_andn2_b64 s[48:49], s[48:49], exec
	v_lshl_add_u64 v[16:17], v[16:17], 0, 4
	v_lshl_add_u64 v[18:19], v[18:19], 0, 4
	s_waitcnt vmcnt(0)
	v_cmp_ne_u32_e32 vcc, v20, v21
	s_and_b64 s[54:55], vcc, exec
	s_or_b64 s[48:49], s[48:49], s[54:55]
.LBB469_302:                            ;   in Loop: Header=BB469_303 Depth=1
	s_and_b64 s[54:55], exec, s[48:49]
	s_or_b64 s[46:47], s[54:55], s[46:47]
	v_mov_b64_e32 v[20:21], s[50:51]
	s_andn2_b64 exec, exec, s[46:47]
	s_cbranch_execz .LBB469_305
.LBB469_303:                            ; =>This Inner Loop Header: Depth=1
	s_or_b64 s[48:49], s[48:49], exec
	s_cmp_eq_u64 s[44:45], s[50:51]
	s_cbranch_scc0 .LBB469_301
; %bb.304:                              ;   in Loop: Header=BB469_303 Depth=1
                                        ; implicit-def: $vgpr16_vgpr17
                                        ; implicit-def: $vgpr18_vgpr19
	s_mov_b64 s[50:51], s[26:27]
	s_branch .LBB469_302
.LBB469_305:
	s_or_b64 exec, exec, s[46:47]
	v_cmp_gt_i64_e32 vcc, s[26:27], v[20:21]
	s_orn2_b64 s[44:45], vcc, exec
.LBB469_306:
	s_or_b64 exec, exec, s[38:39]
.LBB469_307:
	s_and_b64 s[38:39], s[44:45], exec
.LBB469_308:
	s_or_b64 exec, exec, s[42:43]
	s_waitcnt vmcnt(0) lgkmcnt(1)
	v_cndmask_b32_e64 v17, 0, 1, s[14:15]
	v_cndmask_b32_e64 v16, 0, 1, s[40:41]
	;; [unrolled: 1-line block ×3, first 2 shown]
	v_lshlrev_b16_e32 v17, 8, v17
	v_cndmask_b32_e64 v25, 0, 1, s[12:13]
	v_cndmask_b32_e64 v18, 0, 1, s[38:39]
	v_or_b32_sdwa v16, v16, v17 dst_sel:WORD_1 dst_unused:UNUSED_PAD src0_sel:DWORD src1_sel:DWORD
	v_lshlrev_b16_e32 v17, 8, v34
	v_lshlrev_b16_e32 v18, 8, v18
	v_or_b32_e32 v17, v25, v17
	v_or_b32_e32 v18, 1, v18
	v_and_b32_e32 v17, 0xffff, v17
	v_cndmask_b32_e64 v35, 0, 1, s[4:5]
	v_or_b32_sdwa v16, v18, v16 dst_sel:DWORD dst_unused:UNUSED_PAD src0_sel:WORD_0 src1_sel:DWORD
	v_lshl_or_b32 v17, v35, 16, v17
	s_waitcnt lgkmcnt(0)
	s_barrier
	s_waitcnt lgkmcnt(0)
                                        ; implicit-def: $sgpr12_sgpr13
                                        ; implicit-def: $vgpr20
	s_and_saveexec_b64 s[4:5], s[2:3]
	s_cbranch_execz .LBB469_321
; %bb.309:
	v_cmp_gt_u32_e32 vcc, s52, v1
	s_mov_b32 s38, 0x3020104
	s_mov_b64 s[10:11], 0
	s_and_saveexec_b64 s[2:3], vcc
	s_cbranch_execz .LBB469_320
; %bb.310:
	s_andn2_b64 vcc, exec, s[6:7]
	s_cbranch_vccnz .LBB469_319
; %bb.311:
	v_add_u32_e32 v17, -8, v24
	ds_read_b64 v[18:19], v17
	v_mul_lo_u32 v17, v11, s26
	v_mad_u64_u32 v[22:23], s[6:7], v10, s26, 0
	s_mov_b64 s[10:11], -1
	s_waitcnt lgkmcnt(0)
	v_mul_lo_u32 v20, v19, s26
	v_mul_lo_u32 v21, v18, s27
	v_mad_u64_u32 v[18:19], s[6:7], v18, s26, 0
	v_add3_u32 v19, v19, v21, v20
	v_mul_lo_u32 v20, v10, s27
	v_add3_u32 v23, v23, v20, v17
	v_lshl_add_u64 v[20:21], v[18:19], 2, s[28:29]
	v_lshl_add_u64 v[18:19], v[22:23], 2, s[28:29]
	global_load_dword v17, v[20:21], off
	global_load_dword v22, v[18:19], off
	s_waitcnt vmcnt(0)
	v_cmp_eq_u32_e32 vcc, v17, v22
	s_and_saveexec_b64 s[6:7], vcc
	s_cbranch_execz .LBB469_318
; %bb.312:
	s_add_u32 s10, s26, -1
	v_lshl_add_u64 v[18:19], v[18:19], 0, 4
	v_lshl_add_u64 v[20:21], v[20:21], 0, 4
	s_addc_u32 s11, s27, -1
	s_mov_b64 s[12:13], 0
	s_mov_b64 s[28:29], 0
                                        ; implicit-def: $sgpr14_sgpr15
	s_branch .LBB469_315
.LBB469_313:                            ;   in Loop: Header=BB469_315 Depth=1
	global_load_dword v17, v[20:21], off
	global_load_dword v22, v[18:19], off
	s_add_u32 s28, s28, 1
	s_addc_u32 s29, s29, 0
	s_andn2_b64 s[14:15], s[14:15], exec
	v_lshl_add_u64 v[18:19], v[18:19], 0, 4
	v_lshl_add_u64 v[20:21], v[20:21], 0, 4
	s_waitcnt vmcnt(0)
	v_cmp_ne_u32_e32 vcc, v17, v22
	s_and_b64 s[40:41], vcc, exec
	s_or_b64 s[14:15], s[14:15], s[40:41]
.LBB469_314:                            ;   in Loop: Header=BB469_315 Depth=1
	s_and_b64 s[40:41], exec, s[14:15]
	s_or_b64 s[12:13], s[40:41], s[12:13]
	v_mov_b64_e32 v[22:23], s[28:29]
	s_andn2_b64 exec, exec, s[12:13]
	s_cbranch_execz .LBB469_317
.LBB469_315:                            ; =>This Inner Loop Header: Depth=1
	s_or_b64 s[14:15], s[14:15], exec
	s_cmp_eq_u64 s[10:11], s[28:29]
	s_cbranch_scc0 .LBB469_313
; %bb.316:                              ;   in Loop: Header=BB469_315 Depth=1
                                        ; implicit-def: $vgpr18_vgpr19
                                        ; implicit-def: $vgpr20_vgpr21
	s_mov_b64 s[28:29], s[26:27]
	s_branch .LBB469_314
.LBB469_317:
	s_or_b64 exec, exec, s[12:13]
	v_cmp_gt_i64_e32 vcc, s[26:27], v[22:23]
	s_orn2_b64 s[10:11], vcc, exec
.LBB469_318:
	s_or_b64 exec, exec, s[6:7]
.LBB469_319:
	s_and_b64 s[10:11], s[10:11], exec
.LBB469_320:
	s_or_b64 exec, exec, s[2:3]
	v_perm_b32 v20, v16, v16, s38
	s_and_b64 s[12:13], s[10:11], exec
	s_or_b64 s[8:9], s[8:9], exec
                                        ; implicit-def: $vgpr16_vgpr17
.LBB469_321:
	s_or_b64 exec, exec, s[4:5]
.LBB469_322:
	s_and_saveexec_b64 s[2:3], s[8:9]
	s_cbranch_execz .LBB469_324
; %bb.323:
	s_waitcnt vmcnt(0) lgkmcnt(0)
	v_lshlrev_b16_e32 v17, 8, v34
	v_and_b32_e32 v18, 0xff, v35
	v_or_b32_sdwa v17, v25, v17 dst_sel:DWORD dst_unused:UNUSED_PAD src0_sel:BYTE_0 src1_sel:DWORD
	v_lshlrev_b32_e32 v18, 16, v18
	s_movk_i32 s4, 0xff
	v_or_b32_sdwa v17, v17, v18 dst_sel:DWORD dst_unused:UNUSED_PAD src0_sel:WORD_0 src1_sel:DWORD
	v_lshrrev_b32_e32 v18, 24, v20
	v_lshlrev_b16_e32 v18, 8, v18
	v_and_b32_sdwa v19, v20, s4 dst_sel:DWORD dst_unused:UNUSED_PAD src0_sel:WORD_1 src1_sel:DWORD
	v_or_b32_sdwa v18, v19, v18 dst_sel:WORD_1 dst_unused:UNUSED_PAD src0_sel:DWORD src1_sel:DWORD
	v_mov_b32_e32 v19, 8
	v_cndmask_b32_e64 v16, 0, 1, s[12:13]
	v_lshrrev_b32_sdwa v19, v19, v20 dst_sel:BYTE_1 dst_unused:UNUSED_PAD src0_sel:DWORD src1_sel:DWORD
	s_nop 0
	v_or_b32_e32 v16, v16, v19
	v_or_b32_sdwa v16, v16, v18 dst_sel:DWORD dst_unused:UNUSED_PAD src0_sel:WORD_0 src1_sel:DWORD
.LBB469_324:
	s_or_b64 exec, exec, s[2:3]
	s_andn2_b64 vcc, exec, s[0:1]
	s_cbranch_vccnz .LBB469_326
; %bb.325:
	s_waitcnt vmcnt(0) lgkmcnt(0)
	v_and_b32_e32 v18, 0xffff0000, v16
	v_cmp_gt_u32_e32 vcc, s52, v1
	s_mov_b32 s0, 0x40c0100
	s_nop 0
	v_cndmask_b32_e32 v1, v18, v16, vcc
	v_and_b32_e32 v1, 0xffff00ff, v1
	v_cmp_gt_u32_e32 vcc, s52, v27
	s_nop 1
	v_cndmask_b32_e32 v1, v1, v16, vcc
	v_lshrrev_b32_e32 v18, 24, v1
	v_perm_b32 v1, v18, v1, s0
	v_cmp_gt_u32_e32 vcc, s52, v26
	v_and_b32_e32 v18, 0xffffff00, v17
	s_nop 0
	v_cndmask_b32_e32 v1, v1, v16, vcc
	v_and_b32_e32 v1, 0xffffff, v1
	v_cmp_gt_u32_e32 vcc, s52, v30
	s_nop 1
	v_cndmask_b32_e32 v1, v1, v16, vcc
	v_cmp_gt_u32_e32 vcc, s52, v28
	s_nop 1
	v_cndmask_b32_e32 v18, v18, v17, vcc
	v_and_b32_e32 v18, 0xffff00ff, v18
	v_cndmask_b32_e32 v1, v1, v16, vcc
	v_cmp_gt_u32_e32 vcc, s52, v31
	s_nop 1
	v_cndmask_b32_e32 v18, v18, v17, vcc
	v_lshrrev_b32_e32 v19, 24, v18
	v_cndmask_b32_e32 v1, v1, v16, vcc
	v_perm_b32 v18, v19, v18, s0
	v_cmp_gt_u32_e32 vcc, s52, v29
	s_mov_b32 s0, 0x3020104
	s_nop 0
	v_cndmask_b32_e32 v1, v1, v16, vcc
	v_cndmask_b32_e32 v16, v18, v17, vcc
	v_mov_b32_e32 v17, 8
	v_lshrrev_b32_sdwa v17, v17, v16 dst_sel:BYTE_1 dst_unused:UNUSED_PAD src0_sel:DWORD src1_sel:DWORD
	s_nop 0
	v_or_b32_sdwa v17, v16, v17 dst_sel:DWORD dst_unused:UNUSED_PAD src0_sel:BYTE_0 src1_sel:DWORD
	v_and_b32_e32 v17, 0xffff, v17
	v_bfe_u32 v16, v16, 16, 8
	v_lshl_or_b32 v17, v16, 16, v17
	v_perm_b32 v16, v1, v1, s0
.LBB469_326:
	s_waitcnt vmcnt(0) lgkmcnt(0)
	v_and_b32_e32 v1, 0xff, v16
	v_bfe_u32 v29, v16, 8, 8
	v_bfe_u32 v31, v16, 16, 8
	v_alignbit_b32 v18, v17, v16, 24
	v_and_b32_e32 v33, 0xff, v18
	v_and_b32_e32 v35, 0xff, v17
	v_add3_u32 v19, v29, v1, v31
	v_bfe_u32 v36, v17, 8, 8
	v_bfe_u32 v18, v17, 16, 8
	v_add3_u32 v19, v19, v33, v35
	v_add3_u32 v39, v19, v36, v18
	v_mbcnt_lo_u32_b32 v18, -1, 0
	v_mbcnt_hi_u32_b32 v37, -1, v18
	v_and_b32_e32 v18, 15, v37
	v_cmp_eq_u32_e64 s[14:15], 0, v18
	v_cmp_lt_u32_e64 s[12:13], 1, v18
	v_cmp_lt_u32_e64 s[10:11], 3, v18
	;; [unrolled: 1-line block ×3, first 2 shown]
	v_and_b32_e32 v18, 16, v37
	v_cmp_eq_u32_e64 s[6:7], 0, v18
	v_or_b32_e32 v18, 63, v0
	v_cmp_lt_u32_e64 s[2:3], 31, v37
	v_lshrrev_b32_e32 v38, 6, v0
	v_cmp_eq_u32_e64 s[4:5], v18, v0
	s_and_b64 vcc, exec, s[16:17]
	s_barrier
	s_cbranch_vccz .LBB469_353
; %bb.327:
	v_mov_b32_dpp v18, v39 row_shr:1 row_mask:0xf bank_mask:0xf
	v_cndmask_b32_e64 v18, v18, 0, s[14:15]
	v_add_u32_e32 v18, v18, v39
	s_nop 1
	v_mov_b32_dpp v19, v18 row_shr:2 row_mask:0xf bank_mask:0xf
	v_cndmask_b32_e64 v19, 0, v19, s[12:13]
	v_add_u32_e32 v18, v18, v19
	s_nop 1
	;; [unrolled: 4-line block ×4, first 2 shown]
	v_mov_b32_dpp v19, v18 row_bcast:15 row_mask:0xf bank_mask:0xf
	v_cndmask_b32_e64 v19, v19, 0, s[6:7]
	v_add_u32_e32 v18, v18, v19
	s_nop 1
	v_mov_b32_dpp v19, v18 row_bcast:31 row_mask:0xf bank_mask:0xf
	v_cndmask_b32_e64 v19, 0, v19, s[2:3]
	v_add_u32_e32 v18, v18, v19
	s_and_saveexec_b64 s[0:1], s[4:5]
	s_cbranch_execz .LBB469_329
; %bb.328:
	v_lshlrev_b32_e32 v19, 2, v38
	ds_write_b32 v19, v18
.LBB469_329:
	s_or_b64 exec, exec, s[0:1]
	v_cmp_gt_u32_e32 vcc, 8, v0
	s_waitcnt lgkmcnt(0)
	s_barrier
	s_and_saveexec_b64 s[0:1], vcc
	s_cbranch_execz .LBB469_331
; %bb.330:
	v_lshlrev_b32_e32 v19, 2, v0
	ds_read_b32 v20, v19
	v_and_b32_e32 v21, 7, v37
	v_cmp_ne_u32_e32 vcc, 0, v21
	s_waitcnt lgkmcnt(0)
	v_mov_b32_dpp v22, v20 row_shr:1 row_mask:0xf bank_mask:0xf
	v_cndmask_b32_e32 v22, 0, v22, vcc
	v_add_u32_e32 v20, v22, v20
	v_cmp_lt_u32_e32 vcc, 1, v21
	s_nop 0
	v_mov_b32_dpp v22, v20 row_shr:2 row_mask:0xf bank_mask:0xf
	v_cndmask_b32_e32 v22, 0, v22, vcc
	v_add_u32_e32 v20, v20, v22
	v_cmp_lt_u32_e32 vcc, 3, v21
	s_nop 0
	v_mov_b32_dpp v22, v20 row_shr:4 row_mask:0xf bank_mask:0xf
	v_cndmask_b32_e32 v21, 0, v22, vcc
	v_add_u32_e32 v20, v20, v21
	ds_write_b32 v19, v20
.LBB469_331:
	s_or_b64 exec, exec, s[0:1]
	v_cmp_gt_u32_e32 vcc, 64, v0
	v_cmp_lt_u32_e64 s[0:1], 63, v0
	s_waitcnt lgkmcnt(0)
	s_barrier
	s_waitcnt lgkmcnt(0)
                                        ; implicit-def: $vgpr28
	s_and_saveexec_b64 s[16:17], s[0:1]
	s_cbranch_execz .LBB469_333
; %bb.332:
	v_lshl_add_u32 v19, v38, 2, -4
	ds_read_b32 v28, v19
	s_waitcnt lgkmcnt(0)
	v_add_u32_e32 v18, v28, v18
.LBB469_333:
	s_or_b64 exec, exec, s[16:17]
	v_add_u32_e32 v19, -1, v37
	v_and_b32_e32 v20, 64, v37
	v_cmp_lt_i32_e64 s[0:1], v19, v20
	v_cmp_eq_u32_e64 s[16:17], 0, v37
	s_nop 0
	v_cndmask_b32_e64 v19, v19, v37, s[0:1]
	v_lshlrev_b32_e32 v19, 2, v19
	ds_bpermute_b32 v30, v19, v18
	s_and_saveexec_b64 s[0:1], vcc
	s_cbranch_execz .LBB469_352
; %bb.334:
	v_mov_b32_e32 v25, 0
	ds_read_b32 v18, v25 offset:28
	s_and_saveexec_b64 s[26:27], s[16:17]
	s_cbranch_execz .LBB469_336
; %bb.335:
	s_add_i32 s28, s33, 64
	s_mov_b32 s29, 0
	s_lshl_b64 s[28:29], s[28:29], 3
	s_add_u32 s28, s30, s28
	v_mov_b32_e32 v19, 1
	s_addc_u32 s29, s31, s29
	s_waitcnt lgkmcnt(0)
	global_store_dwordx2 v25, v[18:19], s[28:29] sc1
.LBB469_336:
	s_or_b64 exec, exec, s[26:27]
	v_xad_u32 v20, v37, -1, s33
	v_add_u32_e32 v24, 64, v20
	v_lshl_add_u64 v[26:27], v[24:25], 3, s[30:31]
	global_load_dwordx2 v[22:23], v[26:27], off sc1
	s_waitcnt vmcnt(0)
	v_cmp_eq_u16_sdwa s[28:29], v23, v25 src0_sel:BYTE_0 src1_sel:DWORD
	s_and_saveexec_b64 s[26:27], s[28:29]
	s_cbranch_execz .LBB469_340
; %bb.337:
	s_mov_b64 s[28:29], 0
	v_mov_b32_e32 v19, 0
.LBB469_338:                            ; =>This Inner Loop Header: Depth=1
	global_load_dwordx2 v[22:23], v[26:27], off sc1
	s_waitcnt vmcnt(0)
	v_cmp_ne_u16_sdwa s[38:39], v23, v19 src0_sel:BYTE_0 src1_sel:DWORD
	s_or_b64 s[28:29], s[38:39], s[28:29]
	s_andn2_b64 exec, exec, s[28:29]
	s_cbranch_execnz .LBB469_338
; %bb.339:
	s_or_b64 exec, exec, s[28:29]
.LBB469_340:
	s_or_b64 exec, exec, s[26:27]
	v_and_b32_e32 v32, 63, v37
	v_mov_b32_e32 v19, 2
	v_cmp_ne_u32_e32 vcc, 63, v32
	v_cmp_eq_u16_sdwa s[26:27], v23, v19 src0_sel:BYTE_0 src1_sel:DWORD
	v_lshlrev_b64 v[24:25], v37, -1
	v_addc_co_u32_e32 v27, vcc, 0, v37, vcc
	v_and_b32_e32 v21, s27, v25
	v_lshlrev_b32_e32 v34, 2, v27
	v_or_b32_e32 v21, 0x80000000, v21
	ds_bpermute_b32 v27, v34, v22
	v_and_b32_e32 v26, s26, v24
	v_ffbl_b32_e32 v21, v21
	v_add_u32_e32 v21, 32, v21
	v_ffbl_b32_e32 v26, v26
	v_min_u32_e32 v21, v26, v21
	v_cmp_lt_u32_e32 vcc, v32, v21
	v_add_u32_e32 v41, 2, v32
	v_add_u32_e32 v43, 4, v32
	s_waitcnt lgkmcnt(0)
	v_cndmask_b32_e32 v26, 0, v27, vcc
	v_cmp_gt_u32_e32 vcc, 62, v32
	v_add_u32_e32 v22, v26, v22
	v_add_u32_e32 v45, 8, v32
	v_cndmask_b32_e64 v26, 0, 1, vcc
	v_lshlrev_b32_e32 v26, 1, v26
	v_add_lshl_u32 v40, v26, v37, 2
	ds_bpermute_b32 v26, v40, v22
	v_cmp_le_u32_e32 vcc, v41, v21
	v_add_u32_e32 v48, 16, v32
	v_add_u32_e32 v50, 32, v32
	s_waitcnt lgkmcnt(0)
	v_cndmask_b32_e32 v26, 0, v26, vcc
	v_cmp_gt_u32_e32 vcc, 60, v32
	v_add_u32_e32 v22, v22, v26
	s_nop 0
	v_cndmask_b32_e64 v26, 0, 1, vcc
	v_lshlrev_b32_e32 v26, 2, v26
	v_add_lshl_u32 v42, v26, v37, 2
	ds_bpermute_b32 v26, v42, v22
	v_cmp_le_u32_e32 vcc, v43, v21
	s_waitcnt lgkmcnt(0)
	s_nop 0
	v_cndmask_b32_e32 v26, 0, v26, vcc
	v_cmp_gt_u32_e32 vcc, 56, v32
	v_add_u32_e32 v22, v22, v26
	s_nop 0
	v_cndmask_b32_e64 v26, 0, 1, vcc
	v_lshlrev_b32_e32 v26, 3, v26
	v_add_lshl_u32 v44, v26, v37, 2
	ds_bpermute_b32 v26, v44, v22
	v_cmp_le_u32_e32 vcc, v45, v21
	s_waitcnt lgkmcnt(0)
	s_nop 0
	;; [unrolled: 11-line block ×4, first 2 shown]
	v_cndmask_b32_e32 v21, 0, v26, vcc
	v_add_u32_e32 v22, v22, v21
	v_mov_b32_e32 v21, 0
	s_branch .LBB469_342
.LBB469_341:                            ;   in Loop: Header=BB469_342 Depth=1
	s_or_b64 exec, exec, s[26:27]
	v_cmp_eq_u16_sdwa s[26:27], v23, v19 src0_sel:BYTE_0 src1_sel:DWORD
	ds_bpermute_b32 v51, v34, v22
	v_subrev_u32_e32 v20, 64, v20
	v_and_b32_e32 v26, s27, v25
	v_or_b32_e32 v26, 0x80000000, v26
	v_and_b32_e32 v27, s26, v24
	v_ffbl_b32_e32 v26, v26
	v_add_u32_e32 v26, 32, v26
	v_ffbl_b32_e32 v27, v27
	v_min_u32_e32 v26, v27, v26
	v_cmp_lt_u32_e32 vcc, v32, v26
	s_waitcnt lgkmcnt(0)
	s_nop 0
	v_cndmask_b32_e32 v27, 0, v51, vcc
	v_add_u32_e32 v22, v27, v22
	ds_bpermute_b32 v27, v40, v22
	v_cmp_le_u32_e32 vcc, v41, v26
	s_waitcnt lgkmcnt(0)
	s_nop 0
	v_cndmask_b32_e32 v27, 0, v27, vcc
	v_add_u32_e32 v22, v22, v27
	ds_bpermute_b32 v27, v42, v22
	v_cmp_le_u32_e32 vcc, v43, v26
	;; [unrolled: 6-line block ×5, first 2 shown]
	s_waitcnt lgkmcnt(0)
	s_nop 0
	v_cndmask_b32_e32 v26, 0, v27, vcc
	v_add3_u32 v22, v26, v46, v22
.LBB469_342:                            ; =>This Loop Header: Depth=1
                                        ;     Child Loop BB469_345 Depth 2
	v_cmp_ne_u16_sdwa s[26:27], v23, v19 src0_sel:BYTE_0 src1_sel:DWORD
	v_mov_b32_e32 v46, v22
	s_nop 0
	v_cndmask_b32_e64 v23, 0, 1, s[26:27]
	;;#ASMSTART
	;;#ASMEND
	s_nop 0
	v_cmp_ne_u32_e32 vcc, 0, v23
	s_cmp_lg_u64 vcc, exec
	s_cbranch_scc1 .LBB469_347
; %bb.343:                              ;   in Loop: Header=BB469_342 Depth=1
	v_lshl_add_u64 v[26:27], v[20:21], 3, s[30:31]
	global_load_dwordx2 v[22:23], v[26:27], off sc1
	s_waitcnt vmcnt(0)
	v_cmp_eq_u16_sdwa s[28:29], v23, v21 src0_sel:BYTE_0 src1_sel:DWORD
	s_and_saveexec_b64 s[26:27], s[28:29]
	s_cbranch_execz .LBB469_341
; %bb.344:                              ;   in Loop: Header=BB469_342 Depth=1
	s_mov_b64 s[28:29], 0
.LBB469_345:                            ;   Parent Loop BB469_342 Depth=1
                                        ; =>  This Inner Loop Header: Depth=2
	global_load_dwordx2 v[22:23], v[26:27], off sc1
	s_waitcnt vmcnt(0)
	v_cmp_ne_u16_sdwa s[38:39], v23, v21 src0_sel:BYTE_0 src1_sel:DWORD
	s_or_b64 s[28:29], s[38:39], s[28:29]
	s_andn2_b64 exec, exec, s[28:29]
	s_cbranch_execnz .LBB469_345
; %bb.346:                              ;   in Loop: Header=BB469_342 Depth=1
	s_or_b64 exec, exec, s[28:29]
	s_branch .LBB469_341
.LBB469_347:                            ;   in Loop: Header=BB469_342 Depth=1
                                        ; implicit-def: $vgpr22
                                        ; implicit-def: $vgpr23
	s_cbranch_execz .LBB469_342
; %bb.348:
	s_and_saveexec_b64 s[26:27], s[16:17]
	s_cbranch_execz .LBB469_350
; %bb.349:
	s_add_i32 s28, s33, 64
	s_mov_b32 s29, 0
	s_lshl_b64 s[28:29], s[28:29], 3
	s_add_u32 s28, s30, s28
	v_add_u32_e32 v20, v46, v18
	v_mov_b32_e32 v21, 2
	s_addc_u32 s29, s31, s29
	v_mov_b32_e32 v19, 0
	global_store_dwordx2 v19, v[20:21], s[28:29] sc1
	s_movk_i32 s28, 0x7000
	v_add_u32_e64 v19, s28, 0
	ds_write2_b32 v19, v18, v46 offset1:2
.LBB469_350:
	s_or_b64 exec, exec, s[26:27]
	s_and_b64 exec, exec, s[18:19]
	s_cbranch_execz .LBB469_352
; %bb.351:
	v_mov_b32_e32 v18, 0
	ds_write_b32 v18, v46 offset:28
.LBB469_352:
	s_or_b64 exec, exec, s[0:1]
	v_mov_b32_e32 v18, 0
	s_waitcnt lgkmcnt(0)
	s_barrier
	ds_read_b32 v18, v18 offset:28
	v_cndmask_b32_e64 v19, v30, v28, s[16:17]
	v_cndmask_b32_e64 v19, v19, 0, s[18:19]
	s_movk_i32 s0, 0x7000
	s_waitcnt lgkmcnt(0)
	v_add_u32_e32 v34, v18, v19
	v_add_u32_e32 v32, v34, v1
	v_add_u32_e64 v18, s0, 0
	v_add_u32_e32 v30, v32, v29
	s_barrier
	ds_read2_b32 v[18:19], v18 offset1:2
	v_add_u32_e32 v28, v30, v31
	v_add_u32_e32 v26, v28, v33
	;; [unrolled: 1-line block ×4, first 2 shown]
	v_lshrrev_b64 v[20:21], 24, v[16:17]
	s_branch .LBB469_363
.LBB469_353:
                                        ; implicit-def: $vgpr22
                                        ; implicit-def: $vgpr24
                                        ; implicit-def: $vgpr26
                                        ; implicit-def: $vgpr28
                                        ; implicit-def: $vgpr30
                                        ; implicit-def: $vgpr32
                                        ; implicit-def: $vgpr34
                                        ; implicit-def: $vgpr19
	v_lshrrev_b64 v[20:21], 24, v[16:17]
	s_cbranch_execz .LBB469_363
; %bb.354:
	s_waitcnt lgkmcnt(0)
	v_mov_b32_dpp v18, v39 row_shr:1 row_mask:0xf bank_mask:0xf
	v_cndmask_b32_e64 v18, v18, 0, s[14:15]
	v_add_u32_e32 v18, v18, v39
	s_nop 1
	v_mov_b32_dpp v19, v18 row_shr:2 row_mask:0xf bank_mask:0xf
	v_cndmask_b32_e64 v19, 0, v19, s[12:13]
	v_add_u32_e32 v18, v18, v19
	s_nop 1
	v_mov_b32_dpp v19, v18 row_shr:4 row_mask:0xf bank_mask:0xf
	v_cndmask_b32_e64 v19, 0, v19, s[10:11]
	v_add_u32_e32 v18, v18, v19
	s_nop 1
	v_mov_b32_dpp v19, v18 row_shr:8 row_mask:0xf bank_mask:0xf
	v_cndmask_b32_e64 v19, 0, v19, s[8:9]
	v_add_u32_e32 v18, v18, v19
	s_nop 1
	v_mov_b32_dpp v19, v18 row_bcast:15 row_mask:0xf bank_mask:0xf
	v_cndmask_b32_e64 v19, v19, 0, s[6:7]
	v_add_u32_e32 v18, v18, v19
	s_nop 1
	v_mov_b32_dpp v19, v18 row_bcast:31 row_mask:0xf bank_mask:0xf
	v_cndmask_b32_e64 v19, 0, v19, s[2:3]
	v_add_u32_e32 v18, v18, v19
	s_and_saveexec_b64 s[0:1], s[4:5]
	s_cbranch_execz .LBB469_356
; %bb.355:
	v_lshlrev_b32_e32 v19, 2, v38
	ds_write_b32 v19, v18
.LBB469_356:
	s_or_b64 exec, exec, s[0:1]
	v_cmp_gt_u32_e32 vcc, 8, v0
	s_waitcnt lgkmcnt(0)
	s_barrier
	s_and_saveexec_b64 s[0:1], vcc
	s_cbranch_execz .LBB469_358
; %bb.357:
	v_lshlrev_b32_e32 v19, 2, v0
	ds_read_b32 v21, v19
	v_and_b32_e32 v22, 7, v37
	v_cmp_ne_u32_e32 vcc, 0, v22
	s_waitcnt lgkmcnt(0)
	v_mov_b32_dpp v23, v21 row_shr:1 row_mask:0xf bank_mask:0xf
	v_cndmask_b32_e32 v23, 0, v23, vcc
	v_add_u32_e32 v21, v23, v21
	v_cmp_lt_u32_e32 vcc, 1, v22
	s_nop 0
	v_mov_b32_dpp v23, v21 row_shr:2 row_mask:0xf bank_mask:0xf
	v_cndmask_b32_e32 v23, 0, v23, vcc
	v_add_u32_e32 v21, v21, v23
	v_cmp_lt_u32_e32 vcc, 3, v22
	s_nop 0
	v_mov_b32_dpp v23, v21 row_shr:4 row_mask:0xf bank_mask:0xf
	v_cndmask_b32_e32 v22, 0, v23, vcc
	v_add_u32_e32 v21, v21, v22
	ds_write_b32 v19, v21
.LBB469_358:
	s_or_b64 exec, exec, s[0:1]
	v_cmp_lt_u32_e32 vcc, 63, v0
	v_mov_b32_e32 v19, 0
	v_mov_b32_e32 v21, 0
	s_waitcnt lgkmcnt(0)
	s_barrier
	s_and_saveexec_b64 s[0:1], vcc
	s_cbranch_execz .LBB469_360
; %bb.359:
	v_lshl_add_u32 v21, v38, 2, -4
	ds_read_b32 v21, v21
.LBB469_360:
	s_or_b64 exec, exec, s[0:1]
	v_add_u32_e32 v22, -1, v37
	v_and_b32_e32 v23, 64, v37
	v_cmp_lt_i32_e32 vcc, v22, v23
	s_waitcnt lgkmcnt(0)
	v_add_u32_e32 v18, v21, v18
	v_cndmask_b32_e32 v22, v22, v37, vcc
	v_lshlrev_b32_e32 v22, 2, v22
	ds_bpermute_b32 v22, v22, v18
	ds_read_b32 v18, v19 offset:28
	s_and_saveexec_b64 s[0:1], s[18:19]
	s_cbranch_execz .LBB469_362
; %bb.361:
	v_mov_b32_e32 v23, 0
	v_mov_b32_e32 v19, 2
	s_waitcnt lgkmcnt(0)
	global_store_dwordx2 v23, v[18:19], s[30:31] offset:512 sc1
.LBB469_362:
	s_or_b64 exec, exec, s[0:1]
	v_cmp_eq_u32_e32 vcc, 0, v37
	v_mov_b32_e32 v19, 0
	s_waitcnt lgkmcnt(0)
	v_cndmask_b32_e32 v21, v22, v21, vcc
	v_cndmask_b32_e64 v34, v21, 0, s[18:19]
	v_add_u32_e32 v32, v34, v1
	v_add_u32_e32 v30, v32, v29
	;; [unrolled: 1-line block ×6, first 2 shown]
	s_barrier
.LBB469_363:
	s_movk_i32 s0, 0x201
	s_waitcnt lgkmcnt(0)
	v_cmp_gt_u32_e32 vcc, s0, v18
	v_lshrrev_b32_e32 v21, 8, v16
	v_lshrrev_b32_e32 v1, 8, v17
	s_mov_b64 s[0:1], -1
	s_cbranch_vccnz .LBB469_367
; %bb.364:
	s_and_b64 vcc, exec, s[0:1]
	s_cbranch_vccnz .LBB469_389
.LBB469_365:
	s_and_b64 s[0:1], s[18:19], s[24:25]
	s_and_saveexec_b64 s[2:3], s[0:1]
	s_cbranch_execnz .LBB469_407
.LBB469_366:
	s_endpgm
.LBB469_367:
	v_add_u32_e32 v23, v19, v18
	v_cmp_lt_u32_e32 vcc, v34, v23
	s_or_b64 s[2:3], s[36:37], vcc
	s_and_saveexec_b64 s[0:1], s[2:3]
	s_cbranch_execz .LBB469_370
; %bb.368:
	v_and_b32_e32 v25, 1, v16
	v_cmp_eq_u32_e32 vcc, 1, v25
	s_and_b64 exec, exec, vcc
	s_cbranch_execz .LBB469_370
; %bb.369:
	s_lshl_b64 s[2:3], s[22:23], 3
	s_add_u32 s2, s34, s2
	s_addc_u32 s3, s35, s3
	v_mov_b32_e32 v35, 0
	v_lshl_add_u64 v[36:37], v[34:35], 3, s[2:3]
	global_store_dwordx2 v[36:37], v[10:11], off
.LBB469_370:
	s_or_b64 exec, exec, s[0:1]
	v_cmp_lt_u32_e32 vcc, v32, v23
	s_or_b64 s[2:3], s[36:37], vcc
	s_and_saveexec_b64 s[0:1], s[2:3]
	s_cbranch_execz .LBB469_373
; %bb.371:
	v_and_b32_e32 v25, 1, v21
	v_cmp_eq_u32_e32 vcc, 1, v25
	s_and_b64 exec, exec, vcc
	s_cbranch_execz .LBB469_373
; %bb.372:
	s_lshl_b64 s[2:3], s[22:23], 3
	s_add_u32 s2, s34, s2
	s_addc_u32 s3, s35, s3
	v_mov_b32_e32 v33, 0
	v_lshl_add_u64 v[36:37], v[32:33], 3, s[2:3]
	global_store_dwordx2 v[36:37], v[12:13], off
.LBB469_373:
	s_or_b64 exec, exec, s[0:1]
	v_cmp_lt_u32_e32 vcc, v30, v23
	s_or_b64 s[2:3], s[36:37], vcc
	s_and_saveexec_b64 s[0:1], s[2:3]
	s_cbranch_execz .LBB469_376
; %bb.374:
	v_mov_b32_e32 v25, 1
	v_and_b32_sdwa v25, v25, v16 dst_sel:DWORD dst_unused:UNUSED_PAD src0_sel:DWORD src1_sel:WORD_1
	v_cmp_eq_u32_e32 vcc, 1, v25
	s_and_b64 exec, exec, vcc
	s_cbranch_execz .LBB469_376
; %bb.375:
	s_lshl_b64 s[2:3], s[22:23], 3
	s_add_u32 s2, s34, s2
	s_addc_u32 s3, s35, s3
	v_mov_b32_e32 v31, 0
	v_lshl_add_u64 v[36:37], v[30:31], 3, s[2:3]
	global_store_dwordx2 v[36:37], v[6:7], off
.LBB469_376:
	s_or_b64 exec, exec, s[0:1]
	v_cmp_lt_u32_e32 vcc, v28, v23
	s_or_b64 s[2:3], s[36:37], vcc
	s_and_saveexec_b64 s[0:1], s[2:3]
	s_cbranch_execz .LBB469_379
; %bb.377:
	v_and_b32_e32 v25, 1, v20
	v_cmp_eq_u32_e32 vcc, 1, v25
	s_and_b64 exec, exec, vcc
	s_cbranch_execz .LBB469_379
; %bb.378:
	s_lshl_b64 s[2:3], s[22:23], 3
	s_add_u32 s2, s34, s2
	s_addc_u32 s3, s35, s3
	v_mov_b32_e32 v29, 0
	v_lshl_add_u64 v[36:37], v[28:29], 3, s[2:3]
	global_store_dwordx2 v[36:37], v[8:9], off
.LBB469_379:
	s_or_b64 exec, exec, s[0:1]
	v_cmp_lt_u32_e32 vcc, v26, v23
	s_or_b64 s[2:3], s[36:37], vcc
	s_and_saveexec_b64 s[0:1], s[2:3]
	s_cbranch_execz .LBB469_382
; %bb.380:
	v_and_b32_e32 v25, 1, v17
	v_cmp_eq_u32_e32 vcc, 1, v25
	s_and_b64 exec, exec, vcc
	s_cbranch_execz .LBB469_382
; %bb.381:
	s_lshl_b64 s[2:3], s[22:23], 3
	s_add_u32 s2, s34, s2
	s_addc_u32 s3, s35, s3
	v_mov_b32_e32 v27, 0
	v_lshl_add_u64 v[36:37], v[26:27], 3, s[2:3]
	global_store_dwordx2 v[36:37], v[2:3], off
.LBB469_382:
	;; [unrolled: 18-line block ×3, first 2 shown]
	s_or_b64 exec, exec, s[0:1]
	v_cmp_lt_u32_e32 vcc, v22, v23
	s_or_b64 s[2:3], s[36:37], vcc
	s_and_saveexec_b64 s[0:1], s[2:3]
	s_cbranch_execz .LBB469_388
; %bb.386:
	v_mov_b32_e32 v23, 1
	v_and_b32_sdwa v23, v23, v17 dst_sel:DWORD dst_unused:UNUSED_PAD src0_sel:DWORD src1_sel:WORD_1
	v_cmp_eq_u32_e32 vcc, 1, v23
	s_and_b64 exec, exec, vcc
	s_cbranch_execz .LBB469_388
; %bb.387:
	s_lshl_b64 s[2:3], s[22:23], 3
	s_add_u32 s2, s34, s2
	s_addc_u32 s3, s35, s3
	v_mov_b32_e32 v23, 0
	v_lshl_add_u64 v[36:37], v[22:23], 3, s[2:3]
	global_store_dwordx2 v[36:37], v[14:15], off
.LBB469_388:
	s_or_b64 exec, exec, s[0:1]
	s_branch .LBB469_365
.LBB469_389:
	v_and_b32_e32 v23, 1, v16
	v_cmp_eq_u32_e32 vcc, 1, v23
	s_and_saveexec_b64 s[0:1], vcc
	s_cbranch_execz .LBB469_391
; %bb.390:
	v_sub_u32_e32 v23, v34, v19
	v_lshlrev_b32_e32 v23, 3, v23
	ds_write_b64 v23, v[10:11]
.LBB469_391:
	s_or_b64 exec, exec, s[0:1]
	v_and_b32_e32 v10, 1, v21
	v_cmp_eq_u32_e32 vcc, 1, v10
	s_and_saveexec_b64 s[0:1], vcc
	s_cbranch_execz .LBB469_393
; %bb.392:
	v_sub_u32_e32 v10, v32, v19
	v_lshlrev_b32_e32 v10, 3, v10
	ds_write_b64 v10, v[12:13]
.LBB469_393:
	s_or_b64 exec, exec, s[0:1]
	v_mov_b32_e32 v10, 1
	v_and_b32_sdwa v10, v10, v16 dst_sel:DWORD dst_unused:UNUSED_PAD src0_sel:DWORD src1_sel:WORD_1
	v_cmp_eq_u32_e32 vcc, 1, v10
	s_and_saveexec_b64 s[0:1], vcc
	s_cbranch_execz .LBB469_395
; %bb.394:
	v_sub_u32_e32 v10, v30, v19
	v_lshlrev_b32_e32 v10, 3, v10
	ds_write_b64 v10, v[6:7]
.LBB469_395:
	s_or_b64 exec, exec, s[0:1]
	v_and_b32_e32 v6, 1, v20
	v_cmp_eq_u32_e32 vcc, 1, v6
	s_and_saveexec_b64 s[0:1], vcc
	s_cbranch_execz .LBB469_397
; %bb.396:
	v_sub_u32_e32 v6, v28, v19
	v_lshlrev_b32_e32 v6, 3, v6
	ds_write_b64 v6, v[8:9]
.LBB469_397:
	s_or_b64 exec, exec, s[0:1]
	v_and_b32_e32 v6, 1, v17
	;; [unrolled: 10-line block ×3, first 2 shown]
	v_cmp_eq_u32_e32 vcc, 1, v1
	s_and_saveexec_b64 s[0:1], vcc
	s_cbranch_execz .LBB469_401
; %bb.400:
	v_sub_u32_e32 v1, v24, v19
	v_lshlrev_b32_e32 v1, 3, v1
	ds_write_b64 v1, v[4:5]
.LBB469_401:
	s_or_b64 exec, exec, s[0:1]
	v_mov_b32_e32 v1, 1
	v_and_b32_sdwa v1, v1, v17 dst_sel:DWORD dst_unused:UNUSED_PAD src0_sel:DWORD src1_sel:WORD_1
	v_cmp_eq_u32_e32 vcc, 1, v1
	s_and_saveexec_b64 s[0:1], vcc
	s_cbranch_execz .LBB469_403
; %bb.402:
	v_sub_u32_e32 v1, v22, v19
	v_lshlrev_b32_e32 v1, 3, v1
	ds_write_b64 v1, v[14:15]
.LBB469_403:
	s_or_b64 exec, exec, s[0:1]
	v_cmp_lt_u32_e32 vcc, v0, v18
	s_waitcnt lgkmcnt(0)
	s_barrier
	s_and_saveexec_b64 s[0:1], vcc
	s_cbranch_execz .LBB469_406
; %bb.404:
	v_mov_b32_e32 v5, 0
	v_mov_b32_e32 v4, v19
	s_lshl_b64 s[2:3], s[22:23], 3
	v_lshlrev_b64 v[6:7], 3, v[4:5]
	v_lshl_add_u64 v[6:7], s[2:3], 0, v[6:7]
	v_lshlrev_b32_e32 v2, 3, v0
	v_mov_b32_e32 v3, v5
	v_lshl_add_u64 v[4:5], s[34:35], 0, v[6:7]
	v_lshl_add_u64 v[4:5], v[4:5], 0, v[2:3]
	s_mov_b64 s[2:3], 0
	s_mov_b64 s[4:5], 0x1000
.LBB469_405:                            ; =>This Inner Loop Header: Depth=1
	ds_read_b64 v[6:7], v2
	v_add_u32_e32 v0, 0x200, v0
	v_cmp_ge_u32_e32 vcc, v0, v18
	v_add_u32_e32 v2, 0x1000, v2
	s_or_b64 s[2:3], vcc, s[2:3]
	s_waitcnt lgkmcnt(0)
	global_store_dwordx2 v[4:5], v[6:7], off
	v_lshl_add_u64 v[4:5], v[4:5], 0, s[4:5]
	s_andn2_b64 exec, exec, s[2:3]
	s_cbranch_execnz .LBB469_405
.LBB469_406:
	s_or_b64 exec, exec, s[0:1]
	s_and_b64 s[0:1], s[18:19], s[24:25]
	s_and_saveexec_b64 s[2:3], s[0:1]
	s_cbranch_execz .LBB469_366
.LBB469_407:
	v_mov_b32_e32 v1, 0
	v_mov_b32_e32 v0, v18
	v_lshl_add_u64 v[2:3], s[22:23], 0, v[0:1]
	v_mov_b32_e32 v0, v19
	v_lshl_add_u64 v[2:3], v[2:3], 0, v[0:1]
	global_store_dwordx2 v1, v[2:3], s[20:21]
	s_endpgm
	.section	.rodata,"a",@progbits
	.p2align	6, 0x0
	.amdhsa_kernel _ZN7rocprim17ROCPRIM_400000_NS6detail17trampoline_kernelINS0_14default_configENS1_25partition_config_selectorILNS1_17partition_subalgoE8ElNS0_10empty_typeEbEEZZNS1_14partition_implILS5_8ELb0ES3_jPlPS6_PKS6_NS0_5tupleIJS9_S6_EEENSD_IJSA_SA_EEENS0_18inequality_wrapperIZN2at6native12_GLOBAL__N_124unique_dim_cuda_templateIiEESt5tupleIJNSH_6TensorESM_SM_EERKSM_lbbbEUlllE0_EEPmJS6_EEE10hipError_tPvRmT3_T4_T5_T6_T7_T9_mT8_P12ihipStream_tbDpT10_ENKUlT_T0_E_clISt17integral_constantIbLb0EES1B_IbLb1EEEEDaS17_S18_EUlS17_E_NS1_11comp_targetILNS1_3genE5ELNS1_11target_archE942ELNS1_3gpuE9ELNS1_3repE0EEENS1_30default_config_static_selectorELNS0_4arch9wavefront6targetE1EEEvT1_
		.amdhsa_group_segment_fixed_size 28684
		.amdhsa_private_segment_fixed_size 0
		.amdhsa_kernarg_size 136
		.amdhsa_user_sgpr_count 2
		.amdhsa_user_sgpr_dispatch_ptr 0
		.amdhsa_user_sgpr_queue_ptr 0
		.amdhsa_user_sgpr_kernarg_segment_ptr 1
		.amdhsa_user_sgpr_dispatch_id 0
		.amdhsa_user_sgpr_kernarg_preload_length 0
		.amdhsa_user_sgpr_kernarg_preload_offset 0
		.amdhsa_user_sgpr_private_segment_size 0
		.amdhsa_uses_dynamic_stack 0
		.amdhsa_enable_private_segment 0
		.amdhsa_system_sgpr_workgroup_id_x 1
		.amdhsa_system_sgpr_workgroup_id_y 0
		.amdhsa_system_sgpr_workgroup_id_z 0
		.amdhsa_system_sgpr_workgroup_info 0
		.amdhsa_system_vgpr_workitem_id 0
		.amdhsa_next_free_vgpr 52
		.amdhsa_next_free_sgpr 56
		.amdhsa_accum_offset 52
		.amdhsa_reserve_vcc 1
		.amdhsa_float_round_mode_32 0
		.amdhsa_float_round_mode_16_64 0
		.amdhsa_float_denorm_mode_32 3
		.amdhsa_float_denorm_mode_16_64 3
		.amdhsa_dx10_clamp 1
		.amdhsa_ieee_mode 1
		.amdhsa_fp16_overflow 0
		.amdhsa_tg_split 0
		.amdhsa_exception_fp_ieee_invalid_op 0
		.amdhsa_exception_fp_denorm_src 0
		.amdhsa_exception_fp_ieee_div_zero 0
		.amdhsa_exception_fp_ieee_overflow 0
		.amdhsa_exception_fp_ieee_underflow 0
		.amdhsa_exception_fp_ieee_inexact 0
		.amdhsa_exception_int_div_zero 0
	.end_amdhsa_kernel
	.section	.text._ZN7rocprim17ROCPRIM_400000_NS6detail17trampoline_kernelINS0_14default_configENS1_25partition_config_selectorILNS1_17partition_subalgoE8ElNS0_10empty_typeEbEEZZNS1_14partition_implILS5_8ELb0ES3_jPlPS6_PKS6_NS0_5tupleIJS9_S6_EEENSD_IJSA_SA_EEENS0_18inequality_wrapperIZN2at6native12_GLOBAL__N_124unique_dim_cuda_templateIiEESt5tupleIJNSH_6TensorESM_SM_EERKSM_lbbbEUlllE0_EEPmJS6_EEE10hipError_tPvRmT3_T4_T5_T6_T7_T9_mT8_P12ihipStream_tbDpT10_ENKUlT_T0_E_clISt17integral_constantIbLb0EES1B_IbLb1EEEEDaS17_S18_EUlS17_E_NS1_11comp_targetILNS1_3genE5ELNS1_11target_archE942ELNS1_3gpuE9ELNS1_3repE0EEENS1_30default_config_static_selectorELNS0_4arch9wavefront6targetE1EEEvT1_,"axG",@progbits,_ZN7rocprim17ROCPRIM_400000_NS6detail17trampoline_kernelINS0_14default_configENS1_25partition_config_selectorILNS1_17partition_subalgoE8ElNS0_10empty_typeEbEEZZNS1_14partition_implILS5_8ELb0ES3_jPlPS6_PKS6_NS0_5tupleIJS9_S6_EEENSD_IJSA_SA_EEENS0_18inequality_wrapperIZN2at6native12_GLOBAL__N_124unique_dim_cuda_templateIiEESt5tupleIJNSH_6TensorESM_SM_EERKSM_lbbbEUlllE0_EEPmJS6_EEE10hipError_tPvRmT3_T4_T5_T6_T7_T9_mT8_P12ihipStream_tbDpT10_ENKUlT_T0_E_clISt17integral_constantIbLb0EES1B_IbLb1EEEEDaS17_S18_EUlS17_E_NS1_11comp_targetILNS1_3genE5ELNS1_11target_archE942ELNS1_3gpuE9ELNS1_3repE0EEENS1_30default_config_static_selectorELNS0_4arch9wavefront6targetE1EEEvT1_,comdat
.Lfunc_end469:
	.size	_ZN7rocprim17ROCPRIM_400000_NS6detail17trampoline_kernelINS0_14default_configENS1_25partition_config_selectorILNS1_17partition_subalgoE8ElNS0_10empty_typeEbEEZZNS1_14partition_implILS5_8ELb0ES3_jPlPS6_PKS6_NS0_5tupleIJS9_S6_EEENSD_IJSA_SA_EEENS0_18inequality_wrapperIZN2at6native12_GLOBAL__N_124unique_dim_cuda_templateIiEESt5tupleIJNSH_6TensorESM_SM_EERKSM_lbbbEUlllE0_EEPmJS6_EEE10hipError_tPvRmT3_T4_T5_T6_T7_T9_mT8_P12ihipStream_tbDpT10_ENKUlT_T0_E_clISt17integral_constantIbLb0EES1B_IbLb1EEEEDaS17_S18_EUlS17_E_NS1_11comp_targetILNS1_3genE5ELNS1_11target_archE942ELNS1_3gpuE9ELNS1_3repE0EEENS1_30default_config_static_selectorELNS0_4arch9wavefront6targetE1EEEvT1_, .Lfunc_end469-_ZN7rocprim17ROCPRIM_400000_NS6detail17trampoline_kernelINS0_14default_configENS1_25partition_config_selectorILNS1_17partition_subalgoE8ElNS0_10empty_typeEbEEZZNS1_14partition_implILS5_8ELb0ES3_jPlPS6_PKS6_NS0_5tupleIJS9_S6_EEENSD_IJSA_SA_EEENS0_18inequality_wrapperIZN2at6native12_GLOBAL__N_124unique_dim_cuda_templateIiEESt5tupleIJNSH_6TensorESM_SM_EERKSM_lbbbEUlllE0_EEPmJS6_EEE10hipError_tPvRmT3_T4_T5_T6_T7_T9_mT8_P12ihipStream_tbDpT10_ENKUlT_T0_E_clISt17integral_constantIbLb0EES1B_IbLb1EEEEDaS17_S18_EUlS17_E_NS1_11comp_targetILNS1_3genE5ELNS1_11target_archE942ELNS1_3gpuE9ELNS1_3repE0EEENS1_30default_config_static_selectorELNS0_4arch9wavefront6targetE1EEEvT1_
                                        ; -- End function
	.section	.AMDGPU.csdata,"",@progbits
; Kernel info:
; codeLenInByte = 13044
; NumSgprs: 62
; NumVgprs: 52
; NumAgprs: 0
; TotalNumVgprs: 52
; ScratchSize: 0
; MemoryBound: 0
; FloatMode: 240
; IeeeMode: 1
; LDSByteSize: 28684 bytes/workgroup (compile time only)
; SGPRBlocks: 7
; VGPRBlocks: 6
; NumSGPRsForWavesPerEU: 62
; NumVGPRsForWavesPerEU: 52
; AccumOffset: 52
; Occupancy: 4
; WaveLimiterHint : 1
; COMPUTE_PGM_RSRC2:SCRATCH_EN: 0
; COMPUTE_PGM_RSRC2:USER_SGPR: 2
; COMPUTE_PGM_RSRC2:TRAP_HANDLER: 0
; COMPUTE_PGM_RSRC2:TGID_X_EN: 1
; COMPUTE_PGM_RSRC2:TGID_Y_EN: 0
; COMPUTE_PGM_RSRC2:TGID_Z_EN: 0
; COMPUTE_PGM_RSRC2:TIDIG_COMP_CNT: 0
; COMPUTE_PGM_RSRC3_GFX90A:ACCUM_OFFSET: 12
; COMPUTE_PGM_RSRC3_GFX90A:TG_SPLIT: 0
	.section	.text._ZN7rocprim17ROCPRIM_400000_NS6detail17trampoline_kernelINS0_14default_configENS1_25partition_config_selectorILNS1_17partition_subalgoE8ElNS0_10empty_typeEbEEZZNS1_14partition_implILS5_8ELb0ES3_jPlPS6_PKS6_NS0_5tupleIJS9_S6_EEENSD_IJSA_SA_EEENS0_18inequality_wrapperIZN2at6native12_GLOBAL__N_124unique_dim_cuda_templateIiEESt5tupleIJNSH_6TensorESM_SM_EERKSM_lbbbEUlllE0_EEPmJS6_EEE10hipError_tPvRmT3_T4_T5_T6_T7_T9_mT8_P12ihipStream_tbDpT10_ENKUlT_T0_E_clISt17integral_constantIbLb0EES1B_IbLb1EEEEDaS17_S18_EUlS17_E_NS1_11comp_targetILNS1_3genE4ELNS1_11target_archE910ELNS1_3gpuE8ELNS1_3repE0EEENS1_30default_config_static_selectorELNS0_4arch9wavefront6targetE1EEEvT1_,"axG",@progbits,_ZN7rocprim17ROCPRIM_400000_NS6detail17trampoline_kernelINS0_14default_configENS1_25partition_config_selectorILNS1_17partition_subalgoE8ElNS0_10empty_typeEbEEZZNS1_14partition_implILS5_8ELb0ES3_jPlPS6_PKS6_NS0_5tupleIJS9_S6_EEENSD_IJSA_SA_EEENS0_18inequality_wrapperIZN2at6native12_GLOBAL__N_124unique_dim_cuda_templateIiEESt5tupleIJNSH_6TensorESM_SM_EERKSM_lbbbEUlllE0_EEPmJS6_EEE10hipError_tPvRmT3_T4_T5_T6_T7_T9_mT8_P12ihipStream_tbDpT10_ENKUlT_T0_E_clISt17integral_constantIbLb0EES1B_IbLb1EEEEDaS17_S18_EUlS17_E_NS1_11comp_targetILNS1_3genE4ELNS1_11target_archE910ELNS1_3gpuE8ELNS1_3repE0EEENS1_30default_config_static_selectorELNS0_4arch9wavefront6targetE1EEEvT1_,comdat
	.globl	_ZN7rocprim17ROCPRIM_400000_NS6detail17trampoline_kernelINS0_14default_configENS1_25partition_config_selectorILNS1_17partition_subalgoE8ElNS0_10empty_typeEbEEZZNS1_14partition_implILS5_8ELb0ES3_jPlPS6_PKS6_NS0_5tupleIJS9_S6_EEENSD_IJSA_SA_EEENS0_18inequality_wrapperIZN2at6native12_GLOBAL__N_124unique_dim_cuda_templateIiEESt5tupleIJNSH_6TensorESM_SM_EERKSM_lbbbEUlllE0_EEPmJS6_EEE10hipError_tPvRmT3_T4_T5_T6_T7_T9_mT8_P12ihipStream_tbDpT10_ENKUlT_T0_E_clISt17integral_constantIbLb0EES1B_IbLb1EEEEDaS17_S18_EUlS17_E_NS1_11comp_targetILNS1_3genE4ELNS1_11target_archE910ELNS1_3gpuE8ELNS1_3repE0EEENS1_30default_config_static_selectorELNS0_4arch9wavefront6targetE1EEEvT1_ ; -- Begin function _ZN7rocprim17ROCPRIM_400000_NS6detail17trampoline_kernelINS0_14default_configENS1_25partition_config_selectorILNS1_17partition_subalgoE8ElNS0_10empty_typeEbEEZZNS1_14partition_implILS5_8ELb0ES3_jPlPS6_PKS6_NS0_5tupleIJS9_S6_EEENSD_IJSA_SA_EEENS0_18inequality_wrapperIZN2at6native12_GLOBAL__N_124unique_dim_cuda_templateIiEESt5tupleIJNSH_6TensorESM_SM_EERKSM_lbbbEUlllE0_EEPmJS6_EEE10hipError_tPvRmT3_T4_T5_T6_T7_T9_mT8_P12ihipStream_tbDpT10_ENKUlT_T0_E_clISt17integral_constantIbLb0EES1B_IbLb1EEEEDaS17_S18_EUlS17_E_NS1_11comp_targetILNS1_3genE4ELNS1_11target_archE910ELNS1_3gpuE8ELNS1_3repE0EEENS1_30default_config_static_selectorELNS0_4arch9wavefront6targetE1EEEvT1_
	.p2align	8
	.type	_ZN7rocprim17ROCPRIM_400000_NS6detail17trampoline_kernelINS0_14default_configENS1_25partition_config_selectorILNS1_17partition_subalgoE8ElNS0_10empty_typeEbEEZZNS1_14partition_implILS5_8ELb0ES3_jPlPS6_PKS6_NS0_5tupleIJS9_S6_EEENSD_IJSA_SA_EEENS0_18inequality_wrapperIZN2at6native12_GLOBAL__N_124unique_dim_cuda_templateIiEESt5tupleIJNSH_6TensorESM_SM_EERKSM_lbbbEUlllE0_EEPmJS6_EEE10hipError_tPvRmT3_T4_T5_T6_T7_T9_mT8_P12ihipStream_tbDpT10_ENKUlT_T0_E_clISt17integral_constantIbLb0EES1B_IbLb1EEEEDaS17_S18_EUlS17_E_NS1_11comp_targetILNS1_3genE4ELNS1_11target_archE910ELNS1_3gpuE8ELNS1_3repE0EEENS1_30default_config_static_selectorELNS0_4arch9wavefront6targetE1EEEvT1_,@function
_ZN7rocprim17ROCPRIM_400000_NS6detail17trampoline_kernelINS0_14default_configENS1_25partition_config_selectorILNS1_17partition_subalgoE8ElNS0_10empty_typeEbEEZZNS1_14partition_implILS5_8ELb0ES3_jPlPS6_PKS6_NS0_5tupleIJS9_S6_EEENSD_IJSA_SA_EEENS0_18inequality_wrapperIZN2at6native12_GLOBAL__N_124unique_dim_cuda_templateIiEESt5tupleIJNSH_6TensorESM_SM_EERKSM_lbbbEUlllE0_EEPmJS6_EEE10hipError_tPvRmT3_T4_T5_T6_T7_T9_mT8_P12ihipStream_tbDpT10_ENKUlT_T0_E_clISt17integral_constantIbLb0EES1B_IbLb1EEEEDaS17_S18_EUlS17_E_NS1_11comp_targetILNS1_3genE4ELNS1_11target_archE910ELNS1_3gpuE8ELNS1_3repE0EEENS1_30default_config_static_selectorELNS0_4arch9wavefront6targetE1EEEvT1_: ; @_ZN7rocprim17ROCPRIM_400000_NS6detail17trampoline_kernelINS0_14default_configENS1_25partition_config_selectorILNS1_17partition_subalgoE8ElNS0_10empty_typeEbEEZZNS1_14partition_implILS5_8ELb0ES3_jPlPS6_PKS6_NS0_5tupleIJS9_S6_EEENSD_IJSA_SA_EEENS0_18inequality_wrapperIZN2at6native12_GLOBAL__N_124unique_dim_cuda_templateIiEESt5tupleIJNSH_6TensorESM_SM_EERKSM_lbbbEUlllE0_EEPmJS6_EEE10hipError_tPvRmT3_T4_T5_T6_T7_T9_mT8_P12ihipStream_tbDpT10_ENKUlT_T0_E_clISt17integral_constantIbLb0EES1B_IbLb1EEEEDaS17_S18_EUlS17_E_NS1_11comp_targetILNS1_3genE4ELNS1_11target_archE910ELNS1_3gpuE8ELNS1_3repE0EEENS1_30default_config_static_selectorELNS0_4arch9wavefront6targetE1EEEvT1_
; %bb.0:
	.section	.rodata,"a",@progbits
	.p2align	6, 0x0
	.amdhsa_kernel _ZN7rocprim17ROCPRIM_400000_NS6detail17trampoline_kernelINS0_14default_configENS1_25partition_config_selectorILNS1_17partition_subalgoE8ElNS0_10empty_typeEbEEZZNS1_14partition_implILS5_8ELb0ES3_jPlPS6_PKS6_NS0_5tupleIJS9_S6_EEENSD_IJSA_SA_EEENS0_18inequality_wrapperIZN2at6native12_GLOBAL__N_124unique_dim_cuda_templateIiEESt5tupleIJNSH_6TensorESM_SM_EERKSM_lbbbEUlllE0_EEPmJS6_EEE10hipError_tPvRmT3_T4_T5_T6_T7_T9_mT8_P12ihipStream_tbDpT10_ENKUlT_T0_E_clISt17integral_constantIbLb0EES1B_IbLb1EEEEDaS17_S18_EUlS17_E_NS1_11comp_targetILNS1_3genE4ELNS1_11target_archE910ELNS1_3gpuE8ELNS1_3repE0EEENS1_30default_config_static_selectorELNS0_4arch9wavefront6targetE1EEEvT1_
		.amdhsa_group_segment_fixed_size 0
		.amdhsa_private_segment_fixed_size 0
		.amdhsa_kernarg_size 136
		.amdhsa_user_sgpr_count 2
		.amdhsa_user_sgpr_dispatch_ptr 0
		.amdhsa_user_sgpr_queue_ptr 0
		.amdhsa_user_sgpr_kernarg_segment_ptr 1
		.amdhsa_user_sgpr_dispatch_id 0
		.amdhsa_user_sgpr_kernarg_preload_length 0
		.amdhsa_user_sgpr_kernarg_preload_offset 0
		.amdhsa_user_sgpr_private_segment_size 0
		.amdhsa_uses_dynamic_stack 0
		.amdhsa_enable_private_segment 0
		.amdhsa_system_sgpr_workgroup_id_x 1
		.amdhsa_system_sgpr_workgroup_id_y 0
		.amdhsa_system_sgpr_workgroup_id_z 0
		.amdhsa_system_sgpr_workgroup_info 0
		.amdhsa_system_vgpr_workitem_id 0
		.amdhsa_next_free_vgpr 1
		.amdhsa_next_free_sgpr 0
		.amdhsa_accum_offset 4
		.amdhsa_reserve_vcc 0
		.amdhsa_float_round_mode_32 0
		.amdhsa_float_round_mode_16_64 0
		.amdhsa_float_denorm_mode_32 3
		.amdhsa_float_denorm_mode_16_64 3
		.amdhsa_dx10_clamp 1
		.amdhsa_ieee_mode 1
		.amdhsa_fp16_overflow 0
		.amdhsa_tg_split 0
		.amdhsa_exception_fp_ieee_invalid_op 0
		.amdhsa_exception_fp_denorm_src 0
		.amdhsa_exception_fp_ieee_div_zero 0
		.amdhsa_exception_fp_ieee_overflow 0
		.amdhsa_exception_fp_ieee_underflow 0
		.amdhsa_exception_fp_ieee_inexact 0
		.amdhsa_exception_int_div_zero 0
	.end_amdhsa_kernel
	.section	.text._ZN7rocprim17ROCPRIM_400000_NS6detail17trampoline_kernelINS0_14default_configENS1_25partition_config_selectorILNS1_17partition_subalgoE8ElNS0_10empty_typeEbEEZZNS1_14partition_implILS5_8ELb0ES3_jPlPS6_PKS6_NS0_5tupleIJS9_S6_EEENSD_IJSA_SA_EEENS0_18inequality_wrapperIZN2at6native12_GLOBAL__N_124unique_dim_cuda_templateIiEESt5tupleIJNSH_6TensorESM_SM_EERKSM_lbbbEUlllE0_EEPmJS6_EEE10hipError_tPvRmT3_T4_T5_T6_T7_T9_mT8_P12ihipStream_tbDpT10_ENKUlT_T0_E_clISt17integral_constantIbLb0EES1B_IbLb1EEEEDaS17_S18_EUlS17_E_NS1_11comp_targetILNS1_3genE4ELNS1_11target_archE910ELNS1_3gpuE8ELNS1_3repE0EEENS1_30default_config_static_selectorELNS0_4arch9wavefront6targetE1EEEvT1_,"axG",@progbits,_ZN7rocprim17ROCPRIM_400000_NS6detail17trampoline_kernelINS0_14default_configENS1_25partition_config_selectorILNS1_17partition_subalgoE8ElNS0_10empty_typeEbEEZZNS1_14partition_implILS5_8ELb0ES3_jPlPS6_PKS6_NS0_5tupleIJS9_S6_EEENSD_IJSA_SA_EEENS0_18inequality_wrapperIZN2at6native12_GLOBAL__N_124unique_dim_cuda_templateIiEESt5tupleIJNSH_6TensorESM_SM_EERKSM_lbbbEUlllE0_EEPmJS6_EEE10hipError_tPvRmT3_T4_T5_T6_T7_T9_mT8_P12ihipStream_tbDpT10_ENKUlT_T0_E_clISt17integral_constantIbLb0EES1B_IbLb1EEEEDaS17_S18_EUlS17_E_NS1_11comp_targetILNS1_3genE4ELNS1_11target_archE910ELNS1_3gpuE8ELNS1_3repE0EEENS1_30default_config_static_selectorELNS0_4arch9wavefront6targetE1EEEvT1_,comdat
.Lfunc_end470:
	.size	_ZN7rocprim17ROCPRIM_400000_NS6detail17trampoline_kernelINS0_14default_configENS1_25partition_config_selectorILNS1_17partition_subalgoE8ElNS0_10empty_typeEbEEZZNS1_14partition_implILS5_8ELb0ES3_jPlPS6_PKS6_NS0_5tupleIJS9_S6_EEENSD_IJSA_SA_EEENS0_18inequality_wrapperIZN2at6native12_GLOBAL__N_124unique_dim_cuda_templateIiEESt5tupleIJNSH_6TensorESM_SM_EERKSM_lbbbEUlllE0_EEPmJS6_EEE10hipError_tPvRmT3_T4_T5_T6_T7_T9_mT8_P12ihipStream_tbDpT10_ENKUlT_T0_E_clISt17integral_constantIbLb0EES1B_IbLb1EEEEDaS17_S18_EUlS17_E_NS1_11comp_targetILNS1_3genE4ELNS1_11target_archE910ELNS1_3gpuE8ELNS1_3repE0EEENS1_30default_config_static_selectorELNS0_4arch9wavefront6targetE1EEEvT1_, .Lfunc_end470-_ZN7rocprim17ROCPRIM_400000_NS6detail17trampoline_kernelINS0_14default_configENS1_25partition_config_selectorILNS1_17partition_subalgoE8ElNS0_10empty_typeEbEEZZNS1_14partition_implILS5_8ELb0ES3_jPlPS6_PKS6_NS0_5tupleIJS9_S6_EEENSD_IJSA_SA_EEENS0_18inequality_wrapperIZN2at6native12_GLOBAL__N_124unique_dim_cuda_templateIiEESt5tupleIJNSH_6TensorESM_SM_EERKSM_lbbbEUlllE0_EEPmJS6_EEE10hipError_tPvRmT3_T4_T5_T6_T7_T9_mT8_P12ihipStream_tbDpT10_ENKUlT_T0_E_clISt17integral_constantIbLb0EES1B_IbLb1EEEEDaS17_S18_EUlS17_E_NS1_11comp_targetILNS1_3genE4ELNS1_11target_archE910ELNS1_3gpuE8ELNS1_3repE0EEENS1_30default_config_static_selectorELNS0_4arch9wavefront6targetE1EEEvT1_
                                        ; -- End function
	.section	.AMDGPU.csdata,"",@progbits
; Kernel info:
; codeLenInByte = 0
; NumSgprs: 6
; NumVgprs: 0
; NumAgprs: 0
; TotalNumVgprs: 0
; ScratchSize: 0
; MemoryBound: 0
; FloatMode: 240
; IeeeMode: 1
; LDSByteSize: 0 bytes/workgroup (compile time only)
; SGPRBlocks: 0
; VGPRBlocks: 0
; NumSGPRsForWavesPerEU: 6
; NumVGPRsForWavesPerEU: 1
; AccumOffset: 4
; Occupancy: 8
; WaveLimiterHint : 0
; COMPUTE_PGM_RSRC2:SCRATCH_EN: 0
; COMPUTE_PGM_RSRC2:USER_SGPR: 2
; COMPUTE_PGM_RSRC2:TRAP_HANDLER: 0
; COMPUTE_PGM_RSRC2:TGID_X_EN: 1
; COMPUTE_PGM_RSRC2:TGID_Y_EN: 0
; COMPUTE_PGM_RSRC2:TGID_Z_EN: 0
; COMPUTE_PGM_RSRC2:TIDIG_COMP_CNT: 0
; COMPUTE_PGM_RSRC3_GFX90A:ACCUM_OFFSET: 0
; COMPUTE_PGM_RSRC3_GFX90A:TG_SPLIT: 0
	.section	.text._ZN7rocprim17ROCPRIM_400000_NS6detail17trampoline_kernelINS0_14default_configENS1_25partition_config_selectorILNS1_17partition_subalgoE8ElNS0_10empty_typeEbEEZZNS1_14partition_implILS5_8ELb0ES3_jPlPS6_PKS6_NS0_5tupleIJS9_S6_EEENSD_IJSA_SA_EEENS0_18inequality_wrapperIZN2at6native12_GLOBAL__N_124unique_dim_cuda_templateIiEESt5tupleIJNSH_6TensorESM_SM_EERKSM_lbbbEUlllE0_EEPmJS6_EEE10hipError_tPvRmT3_T4_T5_T6_T7_T9_mT8_P12ihipStream_tbDpT10_ENKUlT_T0_E_clISt17integral_constantIbLb0EES1B_IbLb1EEEEDaS17_S18_EUlS17_E_NS1_11comp_targetILNS1_3genE3ELNS1_11target_archE908ELNS1_3gpuE7ELNS1_3repE0EEENS1_30default_config_static_selectorELNS0_4arch9wavefront6targetE1EEEvT1_,"axG",@progbits,_ZN7rocprim17ROCPRIM_400000_NS6detail17trampoline_kernelINS0_14default_configENS1_25partition_config_selectorILNS1_17partition_subalgoE8ElNS0_10empty_typeEbEEZZNS1_14partition_implILS5_8ELb0ES3_jPlPS6_PKS6_NS0_5tupleIJS9_S6_EEENSD_IJSA_SA_EEENS0_18inequality_wrapperIZN2at6native12_GLOBAL__N_124unique_dim_cuda_templateIiEESt5tupleIJNSH_6TensorESM_SM_EERKSM_lbbbEUlllE0_EEPmJS6_EEE10hipError_tPvRmT3_T4_T5_T6_T7_T9_mT8_P12ihipStream_tbDpT10_ENKUlT_T0_E_clISt17integral_constantIbLb0EES1B_IbLb1EEEEDaS17_S18_EUlS17_E_NS1_11comp_targetILNS1_3genE3ELNS1_11target_archE908ELNS1_3gpuE7ELNS1_3repE0EEENS1_30default_config_static_selectorELNS0_4arch9wavefront6targetE1EEEvT1_,comdat
	.globl	_ZN7rocprim17ROCPRIM_400000_NS6detail17trampoline_kernelINS0_14default_configENS1_25partition_config_selectorILNS1_17partition_subalgoE8ElNS0_10empty_typeEbEEZZNS1_14partition_implILS5_8ELb0ES3_jPlPS6_PKS6_NS0_5tupleIJS9_S6_EEENSD_IJSA_SA_EEENS0_18inequality_wrapperIZN2at6native12_GLOBAL__N_124unique_dim_cuda_templateIiEESt5tupleIJNSH_6TensorESM_SM_EERKSM_lbbbEUlllE0_EEPmJS6_EEE10hipError_tPvRmT3_T4_T5_T6_T7_T9_mT8_P12ihipStream_tbDpT10_ENKUlT_T0_E_clISt17integral_constantIbLb0EES1B_IbLb1EEEEDaS17_S18_EUlS17_E_NS1_11comp_targetILNS1_3genE3ELNS1_11target_archE908ELNS1_3gpuE7ELNS1_3repE0EEENS1_30default_config_static_selectorELNS0_4arch9wavefront6targetE1EEEvT1_ ; -- Begin function _ZN7rocprim17ROCPRIM_400000_NS6detail17trampoline_kernelINS0_14default_configENS1_25partition_config_selectorILNS1_17partition_subalgoE8ElNS0_10empty_typeEbEEZZNS1_14partition_implILS5_8ELb0ES3_jPlPS6_PKS6_NS0_5tupleIJS9_S6_EEENSD_IJSA_SA_EEENS0_18inequality_wrapperIZN2at6native12_GLOBAL__N_124unique_dim_cuda_templateIiEESt5tupleIJNSH_6TensorESM_SM_EERKSM_lbbbEUlllE0_EEPmJS6_EEE10hipError_tPvRmT3_T4_T5_T6_T7_T9_mT8_P12ihipStream_tbDpT10_ENKUlT_T0_E_clISt17integral_constantIbLb0EES1B_IbLb1EEEEDaS17_S18_EUlS17_E_NS1_11comp_targetILNS1_3genE3ELNS1_11target_archE908ELNS1_3gpuE7ELNS1_3repE0EEENS1_30default_config_static_selectorELNS0_4arch9wavefront6targetE1EEEvT1_
	.p2align	8
	.type	_ZN7rocprim17ROCPRIM_400000_NS6detail17trampoline_kernelINS0_14default_configENS1_25partition_config_selectorILNS1_17partition_subalgoE8ElNS0_10empty_typeEbEEZZNS1_14partition_implILS5_8ELb0ES3_jPlPS6_PKS6_NS0_5tupleIJS9_S6_EEENSD_IJSA_SA_EEENS0_18inequality_wrapperIZN2at6native12_GLOBAL__N_124unique_dim_cuda_templateIiEESt5tupleIJNSH_6TensorESM_SM_EERKSM_lbbbEUlllE0_EEPmJS6_EEE10hipError_tPvRmT3_T4_T5_T6_T7_T9_mT8_P12ihipStream_tbDpT10_ENKUlT_T0_E_clISt17integral_constantIbLb0EES1B_IbLb1EEEEDaS17_S18_EUlS17_E_NS1_11comp_targetILNS1_3genE3ELNS1_11target_archE908ELNS1_3gpuE7ELNS1_3repE0EEENS1_30default_config_static_selectorELNS0_4arch9wavefront6targetE1EEEvT1_,@function
_ZN7rocprim17ROCPRIM_400000_NS6detail17trampoline_kernelINS0_14default_configENS1_25partition_config_selectorILNS1_17partition_subalgoE8ElNS0_10empty_typeEbEEZZNS1_14partition_implILS5_8ELb0ES3_jPlPS6_PKS6_NS0_5tupleIJS9_S6_EEENSD_IJSA_SA_EEENS0_18inequality_wrapperIZN2at6native12_GLOBAL__N_124unique_dim_cuda_templateIiEESt5tupleIJNSH_6TensorESM_SM_EERKSM_lbbbEUlllE0_EEPmJS6_EEE10hipError_tPvRmT3_T4_T5_T6_T7_T9_mT8_P12ihipStream_tbDpT10_ENKUlT_T0_E_clISt17integral_constantIbLb0EES1B_IbLb1EEEEDaS17_S18_EUlS17_E_NS1_11comp_targetILNS1_3genE3ELNS1_11target_archE908ELNS1_3gpuE7ELNS1_3repE0EEENS1_30default_config_static_selectorELNS0_4arch9wavefront6targetE1EEEvT1_: ; @_ZN7rocprim17ROCPRIM_400000_NS6detail17trampoline_kernelINS0_14default_configENS1_25partition_config_selectorILNS1_17partition_subalgoE8ElNS0_10empty_typeEbEEZZNS1_14partition_implILS5_8ELb0ES3_jPlPS6_PKS6_NS0_5tupleIJS9_S6_EEENSD_IJSA_SA_EEENS0_18inequality_wrapperIZN2at6native12_GLOBAL__N_124unique_dim_cuda_templateIiEESt5tupleIJNSH_6TensorESM_SM_EERKSM_lbbbEUlllE0_EEPmJS6_EEE10hipError_tPvRmT3_T4_T5_T6_T7_T9_mT8_P12ihipStream_tbDpT10_ENKUlT_T0_E_clISt17integral_constantIbLb0EES1B_IbLb1EEEEDaS17_S18_EUlS17_E_NS1_11comp_targetILNS1_3genE3ELNS1_11target_archE908ELNS1_3gpuE7ELNS1_3repE0EEENS1_30default_config_static_selectorELNS0_4arch9wavefront6targetE1EEEvT1_
; %bb.0:
	.section	.rodata,"a",@progbits
	.p2align	6, 0x0
	.amdhsa_kernel _ZN7rocprim17ROCPRIM_400000_NS6detail17trampoline_kernelINS0_14default_configENS1_25partition_config_selectorILNS1_17partition_subalgoE8ElNS0_10empty_typeEbEEZZNS1_14partition_implILS5_8ELb0ES3_jPlPS6_PKS6_NS0_5tupleIJS9_S6_EEENSD_IJSA_SA_EEENS0_18inequality_wrapperIZN2at6native12_GLOBAL__N_124unique_dim_cuda_templateIiEESt5tupleIJNSH_6TensorESM_SM_EERKSM_lbbbEUlllE0_EEPmJS6_EEE10hipError_tPvRmT3_T4_T5_T6_T7_T9_mT8_P12ihipStream_tbDpT10_ENKUlT_T0_E_clISt17integral_constantIbLb0EES1B_IbLb1EEEEDaS17_S18_EUlS17_E_NS1_11comp_targetILNS1_3genE3ELNS1_11target_archE908ELNS1_3gpuE7ELNS1_3repE0EEENS1_30default_config_static_selectorELNS0_4arch9wavefront6targetE1EEEvT1_
		.amdhsa_group_segment_fixed_size 0
		.amdhsa_private_segment_fixed_size 0
		.amdhsa_kernarg_size 136
		.amdhsa_user_sgpr_count 2
		.amdhsa_user_sgpr_dispatch_ptr 0
		.amdhsa_user_sgpr_queue_ptr 0
		.amdhsa_user_sgpr_kernarg_segment_ptr 1
		.amdhsa_user_sgpr_dispatch_id 0
		.amdhsa_user_sgpr_kernarg_preload_length 0
		.amdhsa_user_sgpr_kernarg_preload_offset 0
		.amdhsa_user_sgpr_private_segment_size 0
		.amdhsa_uses_dynamic_stack 0
		.amdhsa_enable_private_segment 0
		.amdhsa_system_sgpr_workgroup_id_x 1
		.amdhsa_system_sgpr_workgroup_id_y 0
		.amdhsa_system_sgpr_workgroup_id_z 0
		.amdhsa_system_sgpr_workgroup_info 0
		.amdhsa_system_vgpr_workitem_id 0
		.amdhsa_next_free_vgpr 1
		.amdhsa_next_free_sgpr 0
		.amdhsa_accum_offset 4
		.amdhsa_reserve_vcc 0
		.amdhsa_float_round_mode_32 0
		.amdhsa_float_round_mode_16_64 0
		.amdhsa_float_denorm_mode_32 3
		.amdhsa_float_denorm_mode_16_64 3
		.amdhsa_dx10_clamp 1
		.amdhsa_ieee_mode 1
		.amdhsa_fp16_overflow 0
		.amdhsa_tg_split 0
		.amdhsa_exception_fp_ieee_invalid_op 0
		.amdhsa_exception_fp_denorm_src 0
		.amdhsa_exception_fp_ieee_div_zero 0
		.amdhsa_exception_fp_ieee_overflow 0
		.amdhsa_exception_fp_ieee_underflow 0
		.amdhsa_exception_fp_ieee_inexact 0
		.amdhsa_exception_int_div_zero 0
	.end_amdhsa_kernel
	.section	.text._ZN7rocprim17ROCPRIM_400000_NS6detail17trampoline_kernelINS0_14default_configENS1_25partition_config_selectorILNS1_17partition_subalgoE8ElNS0_10empty_typeEbEEZZNS1_14partition_implILS5_8ELb0ES3_jPlPS6_PKS6_NS0_5tupleIJS9_S6_EEENSD_IJSA_SA_EEENS0_18inequality_wrapperIZN2at6native12_GLOBAL__N_124unique_dim_cuda_templateIiEESt5tupleIJNSH_6TensorESM_SM_EERKSM_lbbbEUlllE0_EEPmJS6_EEE10hipError_tPvRmT3_T4_T5_T6_T7_T9_mT8_P12ihipStream_tbDpT10_ENKUlT_T0_E_clISt17integral_constantIbLb0EES1B_IbLb1EEEEDaS17_S18_EUlS17_E_NS1_11comp_targetILNS1_3genE3ELNS1_11target_archE908ELNS1_3gpuE7ELNS1_3repE0EEENS1_30default_config_static_selectorELNS0_4arch9wavefront6targetE1EEEvT1_,"axG",@progbits,_ZN7rocprim17ROCPRIM_400000_NS6detail17trampoline_kernelINS0_14default_configENS1_25partition_config_selectorILNS1_17partition_subalgoE8ElNS0_10empty_typeEbEEZZNS1_14partition_implILS5_8ELb0ES3_jPlPS6_PKS6_NS0_5tupleIJS9_S6_EEENSD_IJSA_SA_EEENS0_18inequality_wrapperIZN2at6native12_GLOBAL__N_124unique_dim_cuda_templateIiEESt5tupleIJNSH_6TensorESM_SM_EERKSM_lbbbEUlllE0_EEPmJS6_EEE10hipError_tPvRmT3_T4_T5_T6_T7_T9_mT8_P12ihipStream_tbDpT10_ENKUlT_T0_E_clISt17integral_constantIbLb0EES1B_IbLb1EEEEDaS17_S18_EUlS17_E_NS1_11comp_targetILNS1_3genE3ELNS1_11target_archE908ELNS1_3gpuE7ELNS1_3repE0EEENS1_30default_config_static_selectorELNS0_4arch9wavefront6targetE1EEEvT1_,comdat
.Lfunc_end471:
	.size	_ZN7rocprim17ROCPRIM_400000_NS6detail17trampoline_kernelINS0_14default_configENS1_25partition_config_selectorILNS1_17partition_subalgoE8ElNS0_10empty_typeEbEEZZNS1_14partition_implILS5_8ELb0ES3_jPlPS6_PKS6_NS0_5tupleIJS9_S6_EEENSD_IJSA_SA_EEENS0_18inequality_wrapperIZN2at6native12_GLOBAL__N_124unique_dim_cuda_templateIiEESt5tupleIJNSH_6TensorESM_SM_EERKSM_lbbbEUlllE0_EEPmJS6_EEE10hipError_tPvRmT3_T4_T5_T6_T7_T9_mT8_P12ihipStream_tbDpT10_ENKUlT_T0_E_clISt17integral_constantIbLb0EES1B_IbLb1EEEEDaS17_S18_EUlS17_E_NS1_11comp_targetILNS1_3genE3ELNS1_11target_archE908ELNS1_3gpuE7ELNS1_3repE0EEENS1_30default_config_static_selectorELNS0_4arch9wavefront6targetE1EEEvT1_, .Lfunc_end471-_ZN7rocprim17ROCPRIM_400000_NS6detail17trampoline_kernelINS0_14default_configENS1_25partition_config_selectorILNS1_17partition_subalgoE8ElNS0_10empty_typeEbEEZZNS1_14partition_implILS5_8ELb0ES3_jPlPS6_PKS6_NS0_5tupleIJS9_S6_EEENSD_IJSA_SA_EEENS0_18inequality_wrapperIZN2at6native12_GLOBAL__N_124unique_dim_cuda_templateIiEESt5tupleIJNSH_6TensorESM_SM_EERKSM_lbbbEUlllE0_EEPmJS6_EEE10hipError_tPvRmT3_T4_T5_T6_T7_T9_mT8_P12ihipStream_tbDpT10_ENKUlT_T0_E_clISt17integral_constantIbLb0EES1B_IbLb1EEEEDaS17_S18_EUlS17_E_NS1_11comp_targetILNS1_3genE3ELNS1_11target_archE908ELNS1_3gpuE7ELNS1_3repE0EEENS1_30default_config_static_selectorELNS0_4arch9wavefront6targetE1EEEvT1_
                                        ; -- End function
	.section	.AMDGPU.csdata,"",@progbits
; Kernel info:
; codeLenInByte = 0
; NumSgprs: 6
; NumVgprs: 0
; NumAgprs: 0
; TotalNumVgprs: 0
; ScratchSize: 0
; MemoryBound: 0
; FloatMode: 240
; IeeeMode: 1
; LDSByteSize: 0 bytes/workgroup (compile time only)
; SGPRBlocks: 0
; VGPRBlocks: 0
; NumSGPRsForWavesPerEU: 6
; NumVGPRsForWavesPerEU: 1
; AccumOffset: 4
; Occupancy: 8
; WaveLimiterHint : 0
; COMPUTE_PGM_RSRC2:SCRATCH_EN: 0
; COMPUTE_PGM_RSRC2:USER_SGPR: 2
; COMPUTE_PGM_RSRC2:TRAP_HANDLER: 0
; COMPUTE_PGM_RSRC2:TGID_X_EN: 1
; COMPUTE_PGM_RSRC2:TGID_Y_EN: 0
; COMPUTE_PGM_RSRC2:TGID_Z_EN: 0
; COMPUTE_PGM_RSRC2:TIDIG_COMP_CNT: 0
; COMPUTE_PGM_RSRC3_GFX90A:ACCUM_OFFSET: 0
; COMPUTE_PGM_RSRC3_GFX90A:TG_SPLIT: 0
	.section	.text._ZN7rocprim17ROCPRIM_400000_NS6detail17trampoline_kernelINS0_14default_configENS1_25partition_config_selectorILNS1_17partition_subalgoE8ElNS0_10empty_typeEbEEZZNS1_14partition_implILS5_8ELb0ES3_jPlPS6_PKS6_NS0_5tupleIJS9_S6_EEENSD_IJSA_SA_EEENS0_18inequality_wrapperIZN2at6native12_GLOBAL__N_124unique_dim_cuda_templateIiEESt5tupleIJNSH_6TensorESM_SM_EERKSM_lbbbEUlllE0_EEPmJS6_EEE10hipError_tPvRmT3_T4_T5_T6_T7_T9_mT8_P12ihipStream_tbDpT10_ENKUlT_T0_E_clISt17integral_constantIbLb0EES1B_IbLb1EEEEDaS17_S18_EUlS17_E_NS1_11comp_targetILNS1_3genE2ELNS1_11target_archE906ELNS1_3gpuE6ELNS1_3repE0EEENS1_30default_config_static_selectorELNS0_4arch9wavefront6targetE1EEEvT1_,"axG",@progbits,_ZN7rocprim17ROCPRIM_400000_NS6detail17trampoline_kernelINS0_14default_configENS1_25partition_config_selectorILNS1_17partition_subalgoE8ElNS0_10empty_typeEbEEZZNS1_14partition_implILS5_8ELb0ES3_jPlPS6_PKS6_NS0_5tupleIJS9_S6_EEENSD_IJSA_SA_EEENS0_18inequality_wrapperIZN2at6native12_GLOBAL__N_124unique_dim_cuda_templateIiEESt5tupleIJNSH_6TensorESM_SM_EERKSM_lbbbEUlllE0_EEPmJS6_EEE10hipError_tPvRmT3_T4_T5_T6_T7_T9_mT8_P12ihipStream_tbDpT10_ENKUlT_T0_E_clISt17integral_constantIbLb0EES1B_IbLb1EEEEDaS17_S18_EUlS17_E_NS1_11comp_targetILNS1_3genE2ELNS1_11target_archE906ELNS1_3gpuE6ELNS1_3repE0EEENS1_30default_config_static_selectorELNS0_4arch9wavefront6targetE1EEEvT1_,comdat
	.globl	_ZN7rocprim17ROCPRIM_400000_NS6detail17trampoline_kernelINS0_14default_configENS1_25partition_config_selectorILNS1_17partition_subalgoE8ElNS0_10empty_typeEbEEZZNS1_14partition_implILS5_8ELb0ES3_jPlPS6_PKS6_NS0_5tupleIJS9_S6_EEENSD_IJSA_SA_EEENS0_18inequality_wrapperIZN2at6native12_GLOBAL__N_124unique_dim_cuda_templateIiEESt5tupleIJNSH_6TensorESM_SM_EERKSM_lbbbEUlllE0_EEPmJS6_EEE10hipError_tPvRmT3_T4_T5_T6_T7_T9_mT8_P12ihipStream_tbDpT10_ENKUlT_T0_E_clISt17integral_constantIbLb0EES1B_IbLb1EEEEDaS17_S18_EUlS17_E_NS1_11comp_targetILNS1_3genE2ELNS1_11target_archE906ELNS1_3gpuE6ELNS1_3repE0EEENS1_30default_config_static_selectorELNS0_4arch9wavefront6targetE1EEEvT1_ ; -- Begin function _ZN7rocprim17ROCPRIM_400000_NS6detail17trampoline_kernelINS0_14default_configENS1_25partition_config_selectorILNS1_17partition_subalgoE8ElNS0_10empty_typeEbEEZZNS1_14partition_implILS5_8ELb0ES3_jPlPS6_PKS6_NS0_5tupleIJS9_S6_EEENSD_IJSA_SA_EEENS0_18inequality_wrapperIZN2at6native12_GLOBAL__N_124unique_dim_cuda_templateIiEESt5tupleIJNSH_6TensorESM_SM_EERKSM_lbbbEUlllE0_EEPmJS6_EEE10hipError_tPvRmT3_T4_T5_T6_T7_T9_mT8_P12ihipStream_tbDpT10_ENKUlT_T0_E_clISt17integral_constantIbLb0EES1B_IbLb1EEEEDaS17_S18_EUlS17_E_NS1_11comp_targetILNS1_3genE2ELNS1_11target_archE906ELNS1_3gpuE6ELNS1_3repE0EEENS1_30default_config_static_selectorELNS0_4arch9wavefront6targetE1EEEvT1_
	.p2align	8
	.type	_ZN7rocprim17ROCPRIM_400000_NS6detail17trampoline_kernelINS0_14default_configENS1_25partition_config_selectorILNS1_17partition_subalgoE8ElNS0_10empty_typeEbEEZZNS1_14partition_implILS5_8ELb0ES3_jPlPS6_PKS6_NS0_5tupleIJS9_S6_EEENSD_IJSA_SA_EEENS0_18inequality_wrapperIZN2at6native12_GLOBAL__N_124unique_dim_cuda_templateIiEESt5tupleIJNSH_6TensorESM_SM_EERKSM_lbbbEUlllE0_EEPmJS6_EEE10hipError_tPvRmT3_T4_T5_T6_T7_T9_mT8_P12ihipStream_tbDpT10_ENKUlT_T0_E_clISt17integral_constantIbLb0EES1B_IbLb1EEEEDaS17_S18_EUlS17_E_NS1_11comp_targetILNS1_3genE2ELNS1_11target_archE906ELNS1_3gpuE6ELNS1_3repE0EEENS1_30default_config_static_selectorELNS0_4arch9wavefront6targetE1EEEvT1_,@function
_ZN7rocprim17ROCPRIM_400000_NS6detail17trampoline_kernelINS0_14default_configENS1_25partition_config_selectorILNS1_17partition_subalgoE8ElNS0_10empty_typeEbEEZZNS1_14partition_implILS5_8ELb0ES3_jPlPS6_PKS6_NS0_5tupleIJS9_S6_EEENSD_IJSA_SA_EEENS0_18inequality_wrapperIZN2at6native12_GLOBAL__N_124unique_dim_cuda_templateIiEESt5tupleIJNSH_6TensorESM_SM_EERKSM_lbbbEUlllE0_EEPmJS6_EEE10hipError_tPvRmT3_T4_T5_T6_T7_T9_mT8_P12ihipStream_tbDpT10_ENKUlT_T0_E_clISt17integral_constantIbLb0EES1B_IbLb1EEEEDaS17_S18_EUlS17_E_NS1_11comp_targetILNS1_3genE2ELNS1_11target_archE906ELNS1_3gpuE6ELNS1_3repE0EEENS1_30default_config_static_selectorELNS0_4arch9wavefront6targetE1EEEvT1_: ; @_ZN7rocprim17ROCPRIM_400000_NS6detail17trampoline_kernelINS0_14default_configENS1_25partition_config_selectorILNS1_17partition_subalgoE8ElNS0_10empty_typeEbEEZZNS1_14partition_implILS5_8ELb0ES3_jPlPS6_PKS6_NS0_5tupleIJS9_S6_EEENSD_IJSA_SA_EEENS0_18inequality_wrapperIZN2at6native12_GLOBAL__N_124unique_dim_cuda_templateIiEESt5tupleIJNSH_6TensorESM_SM_EERKSM_lbbbEUlllE0_EEPmJS6_EEE10hipError_tPvRmT3_T4_T5_T6_T7_T9_mT8_P12ihipStream_tbDpT10_ENKUlT_T0_E_clISt17integral_constantIbLb0EES1B_IbLb1EEEEDaS17_S18_EUlS17_E_NS1_11comp_targetILNS1_3genE2ELNS1_11target_archE906ELNS1_3gpuE6ELNS1_3repE0EEENS1_30default_config_static_selectorELNS0_4arch9wavefront6targetE1EEEvT1_
; %bb.0:
	.section	.rodata,"a",@progbits
	.p2align	6, 0x0
	.amdhsa_kernel _ZN7rocprim17ROCPRIM_400000_NS6detail17trampoline_kernelINS0_14default_configENS1_25partition_config_selectorILNS1_17partition_subalgoE8ElNS0_10empty_typeEbEEZZNS1_14partition_implILS5_8ELb0ES3_jPlPS6_PKS6_NS0_5tupleIJS9_S6_EEENSD_IJSA_SA_EEENS0_18inequality_wrapperIZN2at6native12_GLOBAL__N_124unique_dim_cuda_templateIiEESt5tupleIJNSH_6TensorESM_SM_EERKSM_lbbbEUlllE0_EEPmJS6_EEE10hipError_tPvRmT3_T4_T5_T6_T7_T9_mT8_P12ihipStream_tbDpT10_ENKUlT_T0_E_clISt17integral_constantIbLb0EES1B_IbLb1EEEEDaS17_S18_EUlS17_E_NS1_11comp_targetILNS1_3genE2ELNS1_11target_archE906ELNS1_3gpuE6ELNS1_3repE0EEENS1_30default_config_static_selectorELNS0_4arch9wavefront6targetE1EEEvT1_
		.amdhsa_group_segment_fixed_size 0
		.amdhsa_private_segment_fixed_size 0
		.amdhsa_kernarg_size 136
		.amdhsa_user_sgpr_count 2
		.amdhsa_user_sgpr_dispatch_ptr 0
		.amdhsa_user_sgpr_queue_ptr 0
		.amdhsa_user_sgpr_kernarg_segment_ptr 1
		.amdhsa_user_sgpr_dispatch_id 0
		.amdhsa_user_sgpr_kernarg_preload_length 0
		.amdhsa_user_sgpr_kernarg_preload_offset 0
		.amdhsa_user_sgpr_private_segment_size 0
		.amdhsa_uses_dynamic_stack 0
		.amdhsa_enable_private_segment 0
		.amdhsa_system_sgpr_workgroup_id_x 1
		.amdhsa_system_sgpr_workgroup_id_y 0
		.amdhsa_system_sgpr_workgroup_id_z 0
		.amdhsa_system_sgpr_workgroup_info 0
		.amdhsa_system_vgpr_workitem_id 0
		.amdhsa_next_free_vgpr 1
		.amdhsa_next_free_sgpr 0
		.amdhsa_accum_offset 4
		.amdhsa_reserve_vcc 0
		.amdhsa_float_round_mode_32 0
		.amdhsa_float_round_mode_16_64 0
		.amdhsa_float_denorm_mode_32 3
		.amdhsa_float_denorm_mode_16_64 3
		.amdhsa_dx10_clamp 1
		.amdhsa_ieee_mode 1
		.amdhsa_fp16_overflow 0
		.amdhsa_tg_split 0
		.amdhsa_exception_fp_ieee_invalid_op 0
		.amdhsa_exception_fp_denorm_src 0
		.amdhsa_exception_fp_ieee_div_zero 0
		.amdhsa_exception_fp_ieee_overflow 0
		.amdhsa_exception_fp_ieee_underflow 0
		.amdhsa_exception_fp_ieee_inexact 0
		.amdhsa_exception_int_div_zero 0
	.end_amdhsa_kernel
	.section	.text._ZN7rocprim17ROCPRIM_400000_NS6detail17trampoline_kernelINS0_14default_configENS1_25partition_config_selectorILNS1_17partition_subalgoE8ElNS0_10empty_typeEbEEZZNS1_14partition_implILS5_8ELb0ES3_jPlPS6_PKS6_NS0_5tupleIJS9_S6_EEENSD_IJSA_SA_EEENS0_18inequality_wrapperIZN2at6native12_GLOBAL__N_124unique_dim_cuda_templateIiEESt5tupleIJNSH_6TensorESM_SM_EERKSM_lbbbEUlllE0_EEPmJS6_EEE10hipError_tPvRmT3_T4_T5_T6_T7_T9_mT8_P12ihipStream_tbDpT10_ENKUlT_T0_E_clISt17integral_constantIbLb0EES1B_IbLb1EEEEDaS17_S18_EUlS17_E_NS1_11comp_targetILNS1_3genE2ELNS1_11target_archE906ELNS1_3gpuE6ELNS1_3repE0EEENS1_30default_config_static_selectorELNS0_4arch9wavefront6targetE1EEEvT1_,"axG",@progbits,_ZN7rocprim17ROCPRIM_400000_NS6detail17trampoline_kernelINS0_14default_configENS1_25partition_config_selectorILNS1_17partition_subalgoE8ElNS0_10empty_typeEbEEZZNS1_14partition_implILS5_8ELb0ES3_jPlPS6_PKS6_NS0_5tupleIJS9_S6_EEENSD_IJSA_SA_EEENS0_18inequality_wrapperIZN2at6native12_GLOBAL__N_124unique_dim_cuda_templateIiEESt5tupleIJNSH_6TensorESM_SM_EERKSM_lbbbEUlllE0_EEPmJS6_EEE10hipError_tPvRmT3_T4_T5_T6_T7_T9_mT8_P12ihipStream_tbDpT10_ENKUlT_T0_E_clISt17integral_constantIbLb0EES1B_IbLb1EEEEDaS17_S18_EUlS17_E_NS1_11comp_targetILNS1_3genE2ELNS1_11target_archE906ELNS1_3gpuE6ELNS1_3repE0EEENS1_30default_config_static_selectorELNS0_4arch9wavefront6targetE1EEEvT1_,comdat
.Lfunc_end472:
	.size	_ZN7rocprim17ROCPRIM_400000_NS6detail17trampoline_kernelINS0_14default_configENS1_25partition_config_selectorILNS1_17partition_subalgoE8ElNS0_10empty_typeEbEEZZNS1_14partition_implILS5_8ELb0ES3_jPlPS6_PKS6_NS0_5tupleIJS9_S6_EEENSD_IJSA_SA_EEENS0_18inequality_wrapperIZN2at6native12_GLOBAL__N_124unique_dim_cuda_templateIiEESt5tupleIJNSH_6TensorESM_SM_EERKSM_lbbbEUlllE0_EEPmJS6_EEE10hipError_tPvRmT3_T4_T5_T6_T7_T9_mT8_P12ihipStream_tbDpT10_ENKUlT_T0_E_clISt17integral_constantIbLb0EES1B_IbLb1EEEEDaS17_S18_EUlS17_E_NS1_11comp_targetILNS1_3genE2ELNS1_11target_archE906ELNS1_3gpuE6ELNS1_3repE0EEENS1_30default_config_static_selectorELNS0_4arch9wavefront6targetE1EEEvT1_, .Lfunc_end472-_ZN7rocprim17ROCPRIM_400000_NS6detail17trampoline_kernelINS0_14default_configENS1_25partition_config_selectorILNS1_17partition_subalgoE8ElNS0_10empty_typeEbEEZZNS1_14partition_implILS5_8ELb0ES3_jPlPS6_PKS6_NS0_5tupleIJS9_S6_EEENSD_IJSA_SA_EEENS0_18inequality_wrapperIZN2at6native12_GLOBAL__N_124unique_dim_cuda_templateIiEESt5tupleIJNSH_6TensorESM_SM_EERKSM_lbbbEUlllE0_EEPmJS6_EEE10hipError_tPvRmT3_T4_T5_T6_T7_T9_mT8_P12ihipStream_tbDpT10_ENKUlT_T0_E_clISt17integral_constantIbLb0EES1B_IbLb1EEEEDaS17_S18_EUlS17_E_NS1_11comp_targetILNS1_3genE2ELNS1_11target_archE906ELNS1_3gpuE6ELNS1_3repE0EEENS1_30default_config_static_selectorELNS0_4arch9wavefront6targetE1EEEvT1_
                                        ; -- End function
	.section	.AMDGPU.csdata,"",@progbits
; Kernel info:
; codeLenInByte = 0
; NumSgprs: 6
; NumVgprs: 0
; NumAgprs: 0
; TotalNumVgprs: 0
; ScratchSize: 0
; MemoryBound: 0
; FloatMode: 240
; IeeeMode: 1
; LDSByteSize: 0 bytes/workgroup (compile time only)
; SGPRBlocks: 0
; VGPRBlocks: 0
; NumSGPRsForWavesPerEU: 6
; NumVGPRsForWavesPerEU: 1
; AccumOffset: 4
; Occupancy: 8
; WaveLimiterHint : 0
; COMPUTE_PGM_RSRC2:SCRATCH_EN: 0
; COMPUTE_PGM_RSRC2:USER_SGPR: 2
; COMPUTE_PGM_RSRC2:TRAP_HANDLER: 0
; COMPUTE_PGM_RSRC2:TGID_X_EN: 1
; COMPUTE_PGM_RSRC2:TGID_Y_EN: 0
; COMPUTE_PGM_RSRC2:TGID_Z_EN: 0
; COMPUTE_PGM_RSRC2:TIDIG_COMP_CNT: 0
; COMPUTE_PGM_RSRC3_GFX90A:ACCUM_OFFSET: 0
; COMPUTE_PGM_RSRC3_GFX90A:TG_SPLIT: 0
	.section	.text._ZN7rocprim17ROCPRIM_400000_NS6detail17trampoline_kernelINS0_14default_configENS1_25partition_config_selectorILNS1_17partition_subalgoE8ElNS0_10empty_typeEbEEZZNS1_14partition_implILS5_8ELb0ES3_jPlPS6_PKS6_NS0_5tupleIJS9_S6_EEENSD_IJSA_SA_EEENS0_18inequality_wrapperIZN2at6native12_GLOBAL__N_124unique_dim_cuda_templateIiEESt5tupleIJNSH_6TensorESM_SM_EERKSM_lbbbEUlllE0_EEPmJS6_EEE10hipError_tPvRmT3_T4_T5_T6_T7_T9_mT8_P12ihipStream_tbDpT10_ENKUlT_T0_E_clISt17integral_constantIbLb0EES1B_IbLb1EEEEDaS17_S18_EUlS17_E_NS1_11comp_targetILNS1_3genE10ELNS1_11target_archE1200ELNS1_3gpuE4ELNS1_3repE0EEENS1_30default_config_static_selectorELNS0_4arch9wavefront6targetE1EEEvT1_,"axG",@progbits,_ZN7rocprim17ROCPRIM_400000_NS6detail17trampoline_kernelINS0_14default_configENS1_25partition_config_selectorILNS1_17partition_subalgoE8ElNS0_10empty_typeEbEEZZNS1_14partition_implILS5_8ELb0ES3_jPlPS6_PKS6_NS0_5tupleIJS9_S6_EEENSD_IJSA_SA_EEENS0_18inequality_wrapperIZN2at6native12_GLOBAL__N_124unique_dim_cuda_templateIiEESt5tupleIJNSH_6TensorESM_SM_EERKSM_lbbbEUlllE0_EEPmJS6_EEE10hipError_tPvRmT3_T4_T5_T6_T7_T9_mT8_P12ihipStream_tbDpT10_ENKUlT_T0_E_clISt17integral_constantIbLb0EES1B_IbLb1EEEEDaS17_S18_EUlS17_E_NS1_11comp_targetILNS1_3genE10ELNS1_11target_archE1200ELNS1_3gpuE4ELNS1_3repE0EEENS1_30default_config_static_selectorELNS0_4arch9wavefront6targetE1EEEvT1_,comdat
	.globl	_ZN7rocprim17ROCPRIM_400000_NS6detail17trampoline_kernelINS0_14default_configENS1_25partition_config_selectorILNS1_17partition_subalgoE8ElNS0_10empty_typeEbEEZZNS1_14partition_implILS5_8ELb0ES3_jPlPS6_PKS6_NS0_5tupleIJS9_S6_EEENSD_IJSA_SA_EEENS0_18inequality_wrapperIZN2at6native12_GLOBAL__N_124unique_dim_cuda_templateIiEESt5tupleIJNSH_6TensorESM_SM_EERKSM_lbbbEUlllE0_EEPmJS6_EEE10hipError_tPvRmT3_T4_T5_T6_T7_T9_mT8_P12ihipStream_tbDpT10_ENKUlT_T0_E_clISt17integral_constantIbLb0EES1B_IbLb1EEEEDaS17_S18_EUlS17_E_NS1_11comp_targetILNS1_3genE10ELNS1_11target_archE1200ELNS1_3gpuE4ELNS1_3repE0EEENS1_30default_config_static_selectorELNS0_4arch9wavefront6targetE1EEEvT1_ ; -- Begin function _ZN7rocprim17ROCPRIM_400000_NS6detail17trampoline_kernelINS0_14default_configENS1_25partition_config_selectorILNS1_17partition_subalgoE8ElNS0_10empty_typeEbEEZZNS1_14partition_implILS5_8ELb0ES3_jPlPS6_PKS6_NS0_5tupleIJS9_S6_EEENSD_IJSA_SA_EEENS0_18inequality_wrapperIZN2at6native12_GLOBAL__N_124unique_dim_cuda_templateIiEESt5tupleIJNSH_6TensorESM_SM_EERKSM_lbbbEUlllE0_EEPmJS6_EEE10hipError_tPvRmT3_T4_T5_T6_T7_T9_mT8_P12ihipStream_tbDpT10_ENKUlT_T0_E_clISt17integral_constantIbLb0EES1B_IbLb1EEEEDaS17_S18_EUlS17_E_NS1_11comp_targetILNS1_3genE10ELNS1_11target_archE1200ELNS1_3gpuE4ELNS1_3repE0EEENS1_30default_config_static_selectorELNS0_4arch9wavefront6targetE1EEEvT1_
	.p2align	8
	.type	_ZN7rocprim17ROCPRIM_400000_NS6detail17trampoline_kernelINS0_14default_configENS1_25partition_config_selectorILNS1_17partition_subalgoE8ElNS0_10empty_typeEbEEZZNS1_14partition_implILS5_8ELb0ES3_jPlPS6_PKS6_NS0_5tupleIJS9_S6_EEENSD_IJSA_SA_EEENS0_18inequality_wrapperIZN2at6native12_GLOBAL__N_124unique_dim_cuda_templateIiEESt5tupleIJNSH_6TensorESM_SM_EERKSM_lbbbEUlllE0_EEPmJS6_EEE10hipError_tPvRmT3_T4_T5_T6_T7_T9_mT8_P12ihipStream_tbDpT10_ENKUlT_T0_E_clISt17integral_constantIbLb0EES1B_IbLb1EEEEDaS17_S18_EUlS17_E_NS1_11comp_targetILNS1_3genE10ELNS1_11target_archE1200ELNS1_3gpuE4ELNS1_3repE0EEENS1_30default_config_static_selectorELNS0_4arch9wavefront6targetE1EEEvT1_,@function
_ZN7rocprim17ROCPRIM_400000_NS6detail17trampoline_kernelINS0_14default_configENS1_25partition_config_selectorILNS1_17partition_subalgoE8ElNS0_10empty_typeEbEEZZNS1_14partition_implILS5_8ELb0ES3_jPlPS6_PKS6_NS0_5tupleIJS9_S6_EEENSD_IJSA_SA_EEENS0_18inequality_wrapperIZN2at6native12_GLOBAL__N_124unique_dim_cuda_templateIiEESt5tupleIJNSH_6TensorESM_SM_EERKSM_lbbbEUlllE0_EEPmJS6_EEE10hipError_tPvRmT3_T4_T5_T6_T7_T9_mT8_P12ihipStream_tbDpT10_ENKUlT_T0_E_clISt17integral_constantIbLb0EES1B_IbLb1EEEEDaS17_S18_EUlS17_E_NS1_11comp_targetILNS1_3genE10ELNS1_11target_archE1200ELNS1_3gpuE4ELNS1_3repE0EEENS1_30default_config_static_selectorELNS0_4arch9wavefront6targetE1EEEvT1_: ; @_ZN7rocprim17ROCPRIM_400000_NS6detail17trampoline_kernelINS0_14default_configENS1_25partition_config_selectorILNS1_17partition_subalgoE8ElNS0_10empty_typeEbEEZZNS1_14partition_implILS5_8ELb0ES3_jPlPS6_PKS6_NS0_5tupleIJS9_S6_EEENSD_IJSA_SA_EEENS0_18inequality_wrapperIZN2at6native12_GLOBAL__N_124unique_dim_cuda_templateIiEESt5tupleIJNSH_6TensorESM_SM_EERKSM_lbbbEUlllE0_EEPmJS6_EEE10hipError_tPvRmT3_T4_T5_T6_T7_T9_mT8_P12ihipStream_tbDpT10_ENKUlT_T0_E_clISt17integral_constantIbLb0EES1B_IbLb1EEEEDaS17_S18_EUlS17_E_NS1_11comp_targetILNS1_3genE10ELNS1_11target_archE1200ELNS1_3gpuE4ELNS1_3repE0EEENS1_30default_config_static_selectorELNS0_4arch9wavefront6targetE1EEEvT1_
; %bb.0:
	.section	.rodata,"a",@progbits
	.p2align	6, 0x0
	.amdhsa_kernel _ZN7rocprim17ROCPRIM_400000_NS6detail17trampoline_kernelINS0_14default_configENS1_25partition_config_selectorILNS1_17partition_subalgoE8ElNS0_10empty_typeEbEEZZNS1_14partition_implILS5_8ELb0ES3_jPlPS6_PKS6_NS0_5tupleIJS9_S6_EEENSD_IJSA_SA_EEENS0_18inequality_wrapperIZN2at6native12_GLOBAL__N_124unique_dim_cuda_templateIiEESt5tupleIJNSH_6TensorESM_SM_EERKSM_lbbbEUlllE0_EEPmJS6_EEE10hipError_tPvRmT3_T4_T5_T6_T7_T9_mT8_P12ihipStream_tbDpT10_ENKUlT_T0_E_clISt17integral_constantIbLb0EES1B_IbLb1EEEEDaS17_S18_EUlS17_E_NS1_11comp_targetILNS1_3genE10ELNS1_11target_archE1200ELNS1_3gpuE4ELNS1_3repE0EEENS1_30default_config_static_selectorELNS0_4arch9wavefront6targetE1EEEvT1_
		.amdhsa_group_segment_fixed_size 0
		.amdhsa_private_segment_fixed_size 0
		.amdhsa_kernarg_size 136
		.amdhsa_user_sgpr_count 2
		.amdhsa_user_sgpr_dispatch_ptr 0
		.amdhsa_user_sgpr_queue_ptr 0
		.amdhsa_user_sgpr_kernarg_segment_ptr 1
		.amdhsa_user_sgpr_dispatch_id 0
		.amdhsa_user_sgpr_kernarg_preload_length 0
		.amdhsa_user_sgpr_kernarg_preload_offset 0
		.amdhsa_user_sgpr_private_segment_size 0
		.amdhsa_uses_dynamic_stack 0
		.amdhsa_enable_private_segment 0
		.amdhsa_system_sgpr_workgroup_id_x 1
		.amdhsa_system_sgpr_workgroup_id_y 0
		.amdhsa_system_sgpr_workgroup_id_z 0
		.amdhsa_system_sgpr_workgroup_info 0
		.amdhsa_system_vgpr_workitem_id 0
		.amdhsa_next_free_vgpr 1
		.amdhsa_next_free_sgpr 0
		.amdhsa_accum_offset 4
		.amdhsa_reserve_vcc 0
		.amdhsa_float_round_mode_32 0
		.amdhsa_float_round_mode_16_64 0
		.amdhsa_float_denorm_mode_32 3
		.amdhsa_float_denorm_mode_16_64 3
		.amdhsa_dx10_clamp 1
		.amdhsa_ieee_mode 1
		.amdhsa_fp16_overflow 0
		.amdhsa_tg_split 0
		.amdhsa_exception_fp_ieee_invalid_op 0
		.amdhsa_exception_fp_denorm_src 0
		.amdhsa_exception_fp_ieee_div_zero 0
		.amdhsa_exception_fp_ieee_overflow 0
		.amdhsa_exception_fp_ieee_underflow 0
		.amdhsa_exception_fp_ieee_inexact 0
		.amdhsa_exception_int_div_zero 0
	.end_amdhsa_kernel
	.section	.text._ZN7rocprim17ROCPRIM_400000_NS6detail17trampoline_kernelINS0_14default_configENS1_25partition_config_selectorILNS1_17partition_subalgoE8ElNS0_10empty_typeEbEEZZNS1_14partition_implILS5_8ELb0ES3_jPlPS6_PKS6_NS0_5tupleIJS9_S6_EEENSD_IJSA_SA_EEENS0_18inequality_wrapperIZN2at6native12_GLOBAL__N_124unique_dim_cuda_templateIiEESt5tupleIJNSH_6TensorESM_SM_EERKSM_lbbbEUlllE0_EEPmJS6_EEE10hipError_tPvRmT3_T4_T5_T6_T7_T9_mT8_P12ihipStream_tbDpT10_ENKUlT_T0_E_clISt17integral_constantIbLb0EES1B_IbLb1EEEEDaS17_S18_EUlS17_E_NS1_11comp_targetILNS1_3genE10ELNS1_11target_archE1200ELNS1_3gpuE4ELNS1_3repE0EEENS1_30default_config_static_selectorELNS0_4arch9wavefront6targetE1EEEvT1_,"axG",@progbits,_ZN7rocprim17ROCPRIM_400000_NS6detail17trampoline_kernelINS0_14default_configENS1_25partition_config_selectorILNS1_17partition_subalgoE8ElNS0_10empty_typeEbEEZZNS1_14partition_implILS5_8ELb0ES3_jPlPS6_PKS6_NS0_5tupleIJS9_S6_EEENSD_IJSA_SA_EEENS0_18inequality_wrapperIZN2at6native12_GLOBAL__N_124unique_dim_cuda_templateIiEESt5tupleIJNSH_6TensorESM_SM_EERKSM_lbbbEUlllE0_EEPmJS6_EEE10hipError_tPvRmT3_T4_T5_T6_T7_T9_mT8_P12ihipStream_tbDpT10_ENKUlT_T0_E_clISt17integral_constantIbLb0EES1B_IbLb1EEEEDaS17_S18_EUlS17_E_NS1_11comp_targetILNS1_3genE10ELNS1_11target_archE1200ELNS1_3gpuE4ELNS1_3repE0EEENS1_30default_config_static_selectorELNS0_4arch9wavefront6targetE1EEEvT1_,comdat
.Lfunc_end473:
	.size	_ZN7rocprim17ROCPRIM_400000_NS6detail17trampoline_kernelINS0_14default_configENS1_25partition_config_selectorILNS1_17partition_subalgoE8ElNS0_10empty_typeEbEEZZNS1_14partition_implILS5_8ELb0ES3_jPlPS6_PKS6_NS0_5tupleIJS9_S6_EEENSD_IJSA_SA_EEENS0_18inequality_wrapperIZN2at6native12_GLOBAL__N_124unique_dim_cuda_templateIiEESt5tupleIJNSH_6TensorESM_SM_EERKSM_lbbbEUlllE0_EEPmJS6_EEE10hipError_tPvRmT3_T4_T5_T6_T7_T9_mT8_P12ihipStream_tbDpT10_ENKUlT_T0_E_clISt17integral_constantIbLb0EES1B_IbLb1EEEEDaS17_S18_EUlS17_E_NS1_11comp_targetILNS1_3genE10ELNS1_11target_archE1200ELNS1_3gpuE4ELNS1_3repE0EEENS1_30default_config_static_selectorELNS0_4arch9wavefront6targetE1EEEvT1_, .Lfunc_end473-_ZN7rocprim17ROCPRIM_400000_NS6detail17trampoline_kernelINS0_14default_configENS1_25partition_config_selectorILNS1_17partition_subalgoE8ElNS0_10empty_typeEbEEZZNS1_14partition_implILS5_8ELb0ES3_jPlPS6_PKS6_NS0_5tupleIJS9_S6_EEENSD_IJSA_SA_EEENS0_18inequality_wrapperIZN2at6native12_GLOBAL__N_124unique_dim_cuda_templateIiEESt5tupleIJNSH_6TensorESM_SM_EERKSM_lbbbEUlllE0_EEPmJS6_EEE10hipError_tPvRmT3_T4_T5_T6_T7_T9_mT8_P12ihipStream_tbDpT10_ENKUlT_T0_E_clISt17integral_constantIbLb0EES1B_IbLb1EEEEDaS17_S18_EUlS17_E_NS1_11comp_targetILNS1_3genE10ELNS1_11target_archE1200ELNS1_3gpuE4ELNS1_3repE0EEENS1_30default_config_static_selectorELNS0_4arch9wavefront6targetE1EEEvT1_
                                        ; -- End function
	.section	.AMDGPU.csdata,"",@progbits
; Kernel info:
; codeLenInByte = 0
; NumSgprs: 6
; NumVgprs: 0
; NumAgprs: 0
; TotalNumVgprs: 0
; ScratchSize: 0
; MemoryBound: 0
; FloatMode: 240
; IeeeMode: 1
; LDSByteSize: 0 bytes/workgroup (compile time only)
; SGPRBlocks: 0
; VGPRBlocks: 0
; NumSGPRsForWavesPerEU: 6
; NumVGPRsForWavesPerEU: 1
; AccumOffset: 4
; Occupancy: 8
; WaveLimiterHint : 0
; COMPUTE_PGM_RSRC2:SCRATCH_EN: 0
; COMPUTE_PGM_RSRC2:USER_SGPR: 2
; COMPUTE_PGM_RSRC2:TRAP_HANDLER: 0
; COMPUTE_PGM_RSRC2:TGID_X_EN: 1
; COMPUTE_PGM_RSRC2:TGID_Y_EN: 0
; COMPUTE_PGM_RSRC2:TGID_Z_EN: 0
; COMPUTE_PGM_RSRC2:TIDIG_COMP_CNT: 0
; COMPUTE_PGM_RSRC3_GFX90A:ACCUM_OFFSET: 0
; COMPUTE_PGM_RSRC3_GFX90A:TG_SPLIT: 0
	.section	.text._ZN7rocprim17ROCPRIM_400000_NS6detail17trampoline_kernelINS0_14default_configENS1_25partition_config_selectorILNS1_17partition_subalgoE8ElNS0_10empty_typeEbEEZZNS1_14partition_implILS5_8ELb0ES3_jPlPS6_PKS6_NS0_5tupleIJS9_S6_EEENSD_IJSA_SA_EEENS0_18inequality_wrapperIZN2at6native12_GLOBAL__N_124unique_dim_cuda_templateIiEESt5tupleIJNSH_6TensorESM_SM_EERKSM_lbbbEUlllE0_EEPmJS6_EEE10hipError_tPvRmT3_T4_T5_T6_T7_T9_mT8_P12ihipStream_tbDpT10_ENKUlT_T0_E_clISt17integral_constantIbLb0EES1B_IbLb1EEEEDaS17_S18_EUlS17_E_NS1_11comp_targetILNS1_3genE9ELNS1_11target_archE1100ELNS1_3gpuE3ELNS1_3repE0EEENS1_30default_config_static_selectorELNS0_4arch9wavefront6targetE1EEEvT1_,"axG",@progbits,_ZN7rocprim17ROCPRIM_400000_NS6detail17trampoline_kernelINS0_14default_configENS1_25partition_config_selectorILNS1_17partition_subalgoE8ElNS0_10empty_typeEbEEZZNS1_14partition_implILS5_8ELb0ES3_jPlPS6_PKS6_NS0_5tupleIJS9_S6_EEENSD_IJSA_SA_EEENS0_18inequality_wrapperIZN2at6native12_GLOBAL__N_124unique_dim_cuda_templateIiEESt5tupleIJNSH_6TensorESM_SM_EERKSM_lbbbEUlllE0_EEPmJS6_EEE10hipError_tPvRmT3_T4_T5_T6_T7_T9_mT8_P12ihipStream_tbDpT10_ENKUlT_T0_E_clISt17integral_constantIbLb0EES1B_IbLb1EEEEDaS17_S18_EUlS17_E_NS1_11comp_targetILNS1_3genE9ELNS1_11target_archE1100ELNS1_3gpuE3ELNS1_3repE0EEENS1_30default_config_static_selectorELNS0_4arch9wavefront6targetE1EEEvT1_,comdat
	.globl	_ZN7rocprim17ROCPRIM_400000_NS6detail17trampoline_kernelINS0_14default_configENS1_25partition_config_selectorILNS1_17partition_subalgoE8ElNS0_10empty_typeEbEEZZNS1_14partition_implILS5_8ELb0ES3_jPlPS6_PKS6_NS0_5tupleIJS9_S6_EEENSD_IJSA_SA_EEENS0_18inequality_wrapperIZN2at6native12_GLOBAL__N_124unique_dim_cuda_templateIiEESt5tupleIJNSH_6TensorESM_SM_EERKSM_lbbbEUlllE0_EEPmJS6_EEE10hipError_tPvRmT3_T4_T5_T6_T7_T9_mT8_P12ihipStream_tbDpT10_ENKUlT_T0_E_clISt17integral_constantIbLb0EES1B_IbLb1EEEEDaS17_S18_EUlS17_E_NS1_11comp_targetILNS1_3genE9ELNS1_11target_archE1100ELNS1_3gpuE3ELNS1_3repE0EEENS1_30default_config_static_selectorELNS0_4arch9wavefront6targetE1EEEvT1_ ; -- Begin function _ZN7rocprim17ROCPRIM_400000_NS6detail17trampoline_kernelINS0_14default_configENS1_25partition_config_selectorILNS1_17partition_subalgoE8ElNS0_10empty_typeEbEEZZNS1_14partition_implILS5_8ELb0ES3_jPlPS6_PKS6_NS0_5tupleIJS9_S6_EEENSD_IJSA_SA_EEENS0_18inequality_wrapperIZN2at6native12_GLOBAL__N_124unique_dim_cuda_templateIiEESt5tupleIJNSH_6TensorESM_SM_EERKSM_lbbbEUlllE0_EEPmJS6_EEE10hipError_tPvRmT3_T4_T5_T6_T7_T9_mT8_P12ihipStream_tbDpT10_ENKUlT_T0_E_clISt17integral_constantIbLb0EES1B_IbLb1EEEEDaS17_S18_EUlS17_E_NS1_11comp_targetILNS1_3genE9ELNS1_11target_archE1100ELNS1_3gpuE3ELNS1_3repE0EEENS1_30default_config_static_selectorELNS0_4arch9wavefront6targetE1EEEvT1_
	.p2align	8
	.type	_ZN7rocprim17ROCPRIM_400000_NS6detail17trampoline_kernelINS0_14default_configENS1_25partition_config_selectorILNS1_17partition_subalgoE8ElNS0_10empty_typeEbEEZZNS1_14partition_implILS5_8ELb0ES3_jPlPS6_PKS6_NS0_5tupleIJS9_S6_EEENSD_IJSA_SA_EEENS0_18inequality_wrapperIZN2at6native12_GLOBAL__N_124unique_dim_cuda_templateIiEESt5tupleIJNSH_6TensorESM_SM_EERKSM_lbbbEUlllE0_EEPmJS6_EEE10hipError_tPvRmT3_T4_T5_T6_T7_T9_mT8_P12ihipStream_tbDpT10_ENKUlT_T0_E_clISt17integral_constantIbLb0EES1B_IbLb1EEEEDaS17_S18_EUlS17_E_NS1_11comp_targetILNS1_3genE9ELNS1_11target_archE1100ELNS1_3gpuE3ELNS1_3repE0EEENS1_30default_config_static_selectorELNS0_4arch9wavefront6targetE1EEEvT1_,@function
_ZN7rocprim17ROCPRIM_400000_NS6detail17trampoline_kernelINS0_14default_configENS1_25partition_config_selectorILNS1_17partition_subalgoE8ElNS0_10empty_typeEbEEZZNS1_14partition_implILS5_8ELb0ES3_jPlPS6_PKS6_NS0_5tupleIJS9_S6_EEENSD_IJSA_SA_EEENS0_18inequality_wrapperIZN2at6native12_GLOBAL__N_124unique_dim_cuda_templateIiEESt5tupleIJNSH_6TensorESM_SM_EERKSM_lbbbEUlllE0_EEPmJS6_EEE10hipError_tPvRmT3_T4_T5_T6_T7_T9_mT8_P12ihipStream_tbDpT10_ENKUlT_T0_E_clISt17integral_constantIbLb0EES1B_IbLb1EEEEDaS17_S18_EUlS17_E_NS1_11comp_targetILNS1_3genE9ELNS1_11target_archE1100ELNS1_3gpuE3ELNS1_3repE0EEENS1_30default_config_static_selectorELNS0_4arch9wavefront6targetE1EEEvT1_: ; @_ZN7rocprim17ROCPRIM_400000_NS6detail17trampoline_kernelINS0_14default_configENS1_25partition_config_selectorILNS1_17partition_subalgoE8ElNS0_10empty_typeEbEEZZNS1_14partition_implILS5_8ELb0ES3_jPlPS6_PKS6_NS0_5tupleIJS9_S6_EEENSD_IJSA_SA_EEENS0_18inequality_wrapperIZN2at6native12_GLOBAL__N_124unique_dim_cuda_templateIiEESt5tupleIJNSH_6TensorESM_SM_EERKSM_lbbbEUlllE0_EEPmJS6_EEE10hipError_tPvRmT3_T4_T5_T6_T7_T9_mT8_P12ihipStream_tbDpT10_ENKUlT_T0_E_clISt17integral_constantIbLb0EES1B_IbLb1EEEEDaS17_S18_EUlS17_E_NS1_11comp_targetILNS1_3genE9ELNS1_11target_archE1100ELNS1_3gpuE3ELNS1_3repE0EEENS1_30default_config_static_selectorELNS0_4arch9wavefront6targetE1EEEvT1_
; %bb.0:
	.section	.rodata,"a",@progbits
	.p2align	6, 0x0
	.amdhsa_kernel _ZN7rocprim17ROCPRIM_400000_NS6detail17trampoline_kernelINS0_14default_configENS1_25partition_config_selectorILNS1_17partition_subalgoE8ElNS0_10empty_typeEbEEZZNS1_14partition_implILS5_8ELb0ES3_jPlPS6_PKS6_NS0_5tupleIJS9_S6_EEENSD_IJSA_SA_EEENS0_18inequality_wrapperIZN2at6native12_GLOBAL__N_124unique_dim_cuda_templateIiEESt5tupleIJNSH_6TensorESM_SM_EERKSM_lbbbEUlllE0_EEPmJS6_EEE10hipError_tPvRmT3_T4_T5_T6_T7_T9_mT8_P12ihipStream_tbDpT10_ENKUlT_T0_E_clISt17integral_constantIbLb0EES1B_IbLb1EEEEDaS17_S18_EUlS17_E_NS1_11comp_targetILNS1_3genE9ELNS1_11target_archE1100ELNS1_3gpuE3ELNS1_3repE0EEENS1_30default_config_static_selectorELNS0_4arch9wavefront6targetE1EEEvT1_
		.amdhsa_group_segment_fixed_size 0
		.amdhsa_private_segment_fixed_size 0
		.amdhsa_kernarg_size 136
		.amdhsa_user_sgpr_count 2
		.amdhsa_user_sgpr_dispatch_ptr 0
		.amdhsa_user_sgpr_queue_ptr 0
		.amdhsa_user_sgpr_kernarg_segment_ptr 1
		.amdhsa_user_sgpr_dispatch_id 0
		.amdhsa_user_sgpr_kernarg_preload_length 0
		.amdhsa_user_sgpr_kernarg_preload_offset 0
		.amdhsa_user_sgpr_private_segment_size 0
		.amdhsa_uses_dynamic_stack 0
		.amdhsa_enable_private_segment 0
		.amdhsa_system_sgpr_workgroup_id_x 1
		.amdhsa_system_sgpr_workgroup_id_y 0
		.amdhsa_system_sgpr_workgroup_id_z 0
		.amdhsa_system_sgpr_workgroup_info 0
		.amdhsa_system_vgpr_workitem_id 0
		.amdhsa_next_free_vgpr 1
		.amdhsa_next_free_sgpr 0
		.amdhsa_accum_offset 4
		.amdhsa_reserve_vcc 0
		.amdhsa_float_round_mode_32 0
		.amdhsa_float_round_mode_16_64 0
		.amdhsa_float_denorm_mode_32 3
		.amdhsa_float_denorm_mode_16_64 3
		.amdhsa_dx10_clamp 1
		.amdhsa_ieee_mode 1
		.amdhsa_fp16_overflow 0
		.amdhsa_tg_split 0
		.amdhsa_exception_fp_ieee_invalid_op 0
		.amdhsa_exception_fp_denorm_src 0
		.amdhsa_exception_fp_ieee_div_zero 0
		.amdhsa_exception_fp_ieee_overflow 0
		.amdhsa_exception_fp_ieee_underflow 0
		.amdhsa_exception_fp_ieee_inexact 0
		.amdhsa_exception_int_div_zero 0
	.end_amdhsa_kernel
	.section	.text._ZN7rocprim17ROCPRIM_400000_NS6detail17trampoline_kernelINS0_14default_configENS1_25partition_config_selectorILNS1_17partition_subalgoE8ElNS0_10empty_typeEbEEZZNS1_14partition_implILS5_8ELb0ES3_jPlPS6_PKS6_NS0_5tupleIJS9_S6_EEENSD_IJSA_SA_EEENS0_18inequality_wrapperIZN2at6native12_GLOBAL__N_124unique_dim_cuda_templateIiEESt5tupleIJNSH_6TensorESM_SM_EERKSM_lbbbEUlllE0_EEPmJS6_EEE10hipError_tPvRmT3_T4_T5_T6_T7_T9_mT8_P12ihipStream_tbDpT10_ENKUlT_T0_E_clISt17integral_constantIbLb0EES1B_IbLb1EEEEDaS17_S18_EUlS17_E_NS1_11comp_targetILNS1_3genE9ELNS1_11target_archE1100ELNS1_3gpuE3ELNS1_3repE0EEENS1_30default_config_static_selectorELNS0_4arch9wavefront6targetE1EEEvT1_,"axG",@progbits,_ZN7rocprim17ROCPRIM_400000_NS6detail17trampoline_kernelINS0_14default_configENS1_25partition_config_selectorILNS1_17partition_subalgoE8ElNS0_10empty_typeEbEEZZNS1_14partition_implILS5_8ELb0ES3_jPlPS6_PKS6_NS0_5tupleIJS9_S6_EEENSD_IJSA_SA_EEENS0_18inequality_wrapperIZN2at6native12_GLOBAL__N_124unique_dim_cuda_templateIiEESt5tupleIJNSH_6TensorESM_SM_EERKSM_lbbbEUlllE0_EEPmJS6_EEE10hipError_tPvRmT3_T4_T5_T6_T7_T9_mT8_P12ihipStream_tbDpT10_ENKUlT_T0_E_clISt17integral_constantIbLb0EES1B_IbLb1EEEEDaS17_S18_EUlS17_E_NS1_11comp_targetILNS1_3genE9ELNS1_11target_archE1100ELNS1_3gpuE3ELNS1_3repE0EEENS1_30default_config_static_selectorELNS0_4arch9wavefront6targetE1EEEvT1_,comdat
.Lfunc_end474:
	.size	_ZN7rocprim17ROCPRIM_400000_NS6detail17trampoline_kernelINS0_14default_configENS1_25partition_config_selectorILNS1_17partition_subalgoE8ElNS0_10empty_typeEbEEZZNS1_14partition_implILS5_8ELb0ES3_jPlPS6_PKS6_NS0_5tupleIJS9_S6_EEENSD_IJSA_SA_EEENS0_18inequality_wrapperIZN2at6native12_GLOBAL__N_124unique_dim_cuda_templateIiEESt5tupleIJNSH_6TensorESM_SM_EERKSM_lbbbEUlllE0_EEPmJS6_EEE10hipError_tPvRmT3_T4_T5_T6_T7_T9_mT8_P12ihipStream_tbDpT10_ENKUlT_T0_E_clISt17integral_constantIbLb0EES1B_IbLb1EEEEDaS17_S18_EUlS17_E_NS1_11comp_targetILNS1_3genE9ELNS1_11target_archE1100ELNS1_3gpuE3ELNS1_3repE0EEENS1_30default_config_static_selectorELNS0_4arch9wavefront6targetE1EEEvT1_, .Lfunc_end474-_ZN7rocprim17ROCPRIM_400000_NS6detail17trampoline_kernelINS0_14default_configENS1_25partition_config_selectorILNS1_17partition_subalgoE8ElNS0_10empty_typeEbEEZZNS1_14partition_implILS5_8ELb0ES3_jPlPS6_PKS6_NS0_5tupleIJS9_S6_EEENSD_IJSA_SA_EEENS0_18inequality_wrapperIZN2at6native12_GLOBAL__N_124unique_dim_cuda_templateIiEESt5tupleIJNSH_6TensorESM_SM_EERKSM_lbbbEUlllE0_EEPmJS6_EEE10hipError_tPvRmT3_T4_T5_T6_T7_T9_mT8_P12ihipStream_tbDpT10_ENKUlT_T0_E_clISt17integral_constantIbLb0EES1B_IbLb1EEEEDaS17_S18_EUlS17_E_NS1_11comp_targetILNS1_3genE9ELNS1_11target_archE1100ELNS1_3gpuE3ELNS1_3repE0EEENS1_30default_config_static_selectorELNS0_4arch9wavefront6targetE1EEEvT1_
                                        ; -- End function
	.section	.AMDGPU.csdata,"",@progbits
; Kernel info:
; codeLenInByte = 0
; NumSgprs: 6
; NumVgprs: 0
; NumAgprs: 0
; TotalNumVgprs: 0
; ScratchSize: 0
; MemoryBound: 0
; FloatMode: 240
; IeeeMode: 1
; LDSByteSize: 0 bytes/workgroup (compile time only)
; SGPRBlocks: 0
; VGPRBlocks: 0
; NumSGPRsForWavesPerEU: 6
; NumVGPRsForWavesPerEU: 1
; AccumOffset: 4
; Occupancy: 8
; WaveLimiterHint : 0
; COMPUTE_PGM_RSRC2:SCRATCH_EN: 0
; COMPUTE_PGM_RSRC2:USER_SGPR: 2
; COMPUTE_PGM_RSRC2:TRAP_HANDLER: 0
; COMPUTE_PGM_RSRC2:TGID_X_EN: 1
; COMPUTE_PGM_RSRC2:TGID_Y_EN: 0
; COMPUTE_PGM_RSRC2:TGID_Z_EN: 0
; COMPUTE_PGM_RSRC2:TIDIG_COMP_CNT: 0
; COMPUTE_PGM_RSRC3_GFX90A:ACCUM_OFFSET: 0
; COMPUTE_PGM_RSRC3_GFX90A:TG_SPLIT: 0
	.section	.text._ZN7rocprim17ROCPRIM_400000_NS6detail17trampoline_kernelINS0_14default_configENS1_25partition_config_selectorILNS1_17partition_subalgoE8ElNS0_10empty_typeEbEEZZNS1_14partition_implILS5_8ELb0ES3_jPlPS6_PKS6_NS0_5tupleIJS9_S6_EEENSD_IJSA_SA_EEENS0_18inequality_wrapperIZN2at6native12_GLOBAL__N_124unique_dim_cuda_templateIiEESt5tupleIJNSH_6TensorESM_SM_EERKSM_lbbbEUlllE0_EEPmJS6_EEE10hipError_tPvRmT3_T4_T5_T6_T7_T9_mT8_P12ihipStream_tbDpT10_ENKUlT_T0_E_clISt17integral_constantIbLb0EES1B_IbLb1EEEEDaS17_S18_EUlS17_E_NS1_11comp_targetILNS1_3genE8ELNS1_11target_archE1030ELNS1_3gpuE2ELNS1_3repE0EEENS1_30default_config_static_selectorELNS0_4arch9wavefront6targetE1EEEvT1_,"axG",@progbits,_ZN7rocprim17ROCPRIM_400000_NS6detail17trampoline_kernelINS0_14default_configENS1_25partition_config_selectorILNS1_17partition_subalgoE8ElNS0_10empty_typeEbEEZZNS1_14partition_implILS5_8ELb0ES3_jPlPS6_PKS6_NS0_5tupleIJS9_S6_EEENSD_IJSA_SA_EEENS0_18inequality_wrapperIZN2at6native12_GLOBAL__N_124unique_dim_cuda_templateIiEESt5tupleIJNSH_6TensorESM_SM_EERKSM_lbbbEUlllE0_EEPmJS6_EEE10hipError_tPvRmT3_T4_T5_T6_T7_T9_mT8_P12ihipStream_tbDpT10_ENKUlT_T0_E_clISt17integral_constantIbLb0EES1B_IbLb1EEEEDaS17_S18_EUlS17_E_NS1_11comp_targetILNS1_3genE8ELNS1_11target_archE1030ELNS1_3gpuE2ELNS1_3repE0EEENS1_30default_config_static_selectorELNS0_4arch9wavefront6targetE1EEEvT1_,comdat
	.globl	_ZN7rocprim17ROCPRIM_400000_NS6detail17trampoline_kernelINS0_14default_configENS1_25partition_config_selectorILNS1_17partition_subalgoE8ElNS0_10empty_typeEbEEZZNS1_14partition_implILS5_8ELb0ES3_jPlPS6_PKS6_NS0_5tupleIJS9_S6_EEENSD_IJSA_SA_EEENS0_18inequality_wrapperIZN2at6native12_GLOBAL__N_124unique_dim_cuda_templateIiEESt5tupleIJNSH_6TensorESM_SM_EERKSM_lbbbEUlllE0_EEPmJS6_EEE10hipError_tPvRmT3_T4_T5_T6_T7_T9_mT8_P12ihipStream_tbDpT10_ENKUlT_T0_E_clISt17integral_constantIbLb0EES1B_IbLb1EEEEDaS17_S18_EUlS17_E_NS1_11comp_targetILNS1_3genE8ELNS1_11target_archE1030ELNS1_3gpuE2ELNS1_3repE0EEENS1_30default_config_static_selectorELNS0_4arch9wavefront6targetE1EEEvT1_ ; -- Begin function _ZN7rocprim17ROCPRIM_400000_NS6detail17trampoline_kernelINS0_14default_configENS1_25partition_config_selectorILNS1_17partition_subalgoE8ElNS0_10empty_typeEbEEZZNS1_14partition_implILS5_8ELb0ES3_jPlPS6_PKS6_NS0_5tupleIJS9_S6_EEENSD_IJSA_SA_EEENS0_18inequality_wrapperIZN2at6native12_GLOBAL__N_124unique_dim_cuda_templateIiEESt5tupleIJNSH_6TensorESM_SM_EERKSM_lbbbEUlllE0_EEPmJS6_EEE10hipError_tPvRmT3_T4_T5_T6_T7_T9_mT8_P12ihipStream_tbDpT10_ENKUlT_T0_E_clISt17integral_constantIbLb0EES1B_IbLb1EEEEDaS17_S18_EUlS17_E_NS1_11comp_targetILNS1_3genE8ELNS1_11target_archE1030ELNS1_3gpuE2ELNS1_3repE0EEENS1_30default_config_static_selectorELNS0_4arch9wavefront6targetE1EEEvT1_
	.p2align	8
	.type	_ZN7rocprim17ROCPRIM_400000_NS6detail17trampoline_kernelINS0_14default_configENS1_25partition_config_selectorILNS1_17partition_subalgoE8ElNS0_10empty_typeEbEEZZNS1_14partition_implILS5_8ELb0ES3_jPlPS6_PKS6_NS0_5tupleIJS9_S6_EEENSD_IJSA_SA_EEENS0_18inequality_wrapperIZN2at6native12_GLOBAL__N_124unique_dim_cuda_templateIiEESt5tupleIJNSH_6TensorESM_SM_EERKSM_lbbbEUlllE0_EEPmJS6_EEE10hipError_tPvRmT3_T4_T5_T6_T7_T9_mT8_P12ihipStream_tbDpT10_ENKUlT_T0_E_clISt17integral_constantIbLb0EES1B_IbLb1EEEEDaS17_S18_EUlS17_E_NS1_11comp_targetILNS1_3genE8ELNS1_11target_archE1030ELNS1_3gpuE2ELNS1_3repE0EEENS1_30default_config_static_selectorELNS0_4arch9wavefront6targetE1EEEvT1_,@function
_ZN7rocprim17ROCPRIM_400000_NS6detail17trampoline_kernelINS0_14default_configENS1_25partition_config_selectorILNS1_17partition_subalgoE8ElNS0_10empty_typeEbEEZZNS1_14partition_implILS5_8ELb0ES3_jPlPS6_PKS6_NS0_5tupleIJS9_S6_EEENSD_IJSA_SA_EEENS0_18inequality_wrapperIZN2at6native12_GLOBAL__N_124unique_dim_cuda_templateIiEESt5tupleIJNSH_6TensorESM_SM_EERKSM_lbbbEUlllE0_EEPmJS6_EEE10hipError_tPvRmT3_T4_T5_T6_T7_T9_mT8_P12ihipStream_tbDpT10_ENKUlT_T0_E_clISt17integral_constantIbLb0EES1B_IbLb1EEEEDaS17_S18_EUlS17_E_NS1_11comp_targetILNS1_3genE8ELNS1_11target_archE1030ELNS1_3gpuE2ELNS1_3repE0EEENS1_30default_config_static_selectorELNS0_4arch9wavefront6targetE1EEEvT1_: ; @_ZN7rocprim17ROCPRIM_400000_NS6detail17trampoline_kernelINS0_14default_configENS1_25partition_config_selectorILNS1_17partition_subalgoE8ElNS0_10empty_typeEbEEZZNS1_14partition_implILS5_8ELb0ES3_jPlPS6_PKS6_NS0_5tupleIJS9_S6_EEENSD_IJSA_SA_EEENS0_18inequality_wrapperIZN2at6native12_GLOBAL__N_124unique_dim_cuda_templateIiEESt5tupleIJNSH_6TensorESM_SM_EERKSM_lbbbEUlllE0_EEPmJS6_EEE10hipError_tPvRmT3_T4_T5_T6_T7_T9_mT8_P12ihipStream_tbDpT10_ENKUlT_T0_E_clISt17integral_constantIbLb0EES1B_IbLb1EEEEDaS17_S18_EUlS17_E_NS1_11comp_targetILNS1_3genE8ELNS1_11target_archE1030ELNS1_3gpuE2ELNS1_3repE0EEENS1_30default_config_static_selectorELNS0_4arch9wavefront6targetE1EEEvT1_
; %bb.0:
	.section	.rodata,"a",@progbits
	.p2align	6, 0x0
	.amdhsa_kernel _ZN7rocprim17ROCPRIM_400000_NS6detail17trampoline_kernelINS0_14default_configENS1_25partition_config_selectorILNS1_17partition_subalgoE8ElNS0_10empty_typeEbEEZZNS1_14partition_implILS5_8ELb0ES3_jPlPS6_PKS6_NS0_5tupleIJS9_S6_EEENSD_IJSA_SA_EEENS0_18inequality_wrapperIZN2at6native12_GLOBAL__N_124unique_dim_cuda_templateIiEESt5tupleIJNSH_6TensorESM_SM_EERKSM_lbbbEUlllE0_EEPmJS6_EEE10hipError_tPvRmT3_T4_T5_T6_T7_T9_mT8_P12ihipStream_tbDpT10_ENKUlT_T0_E_clISt17integral_constantIbLb0EES1B_IbLb1EEEEDaS17_S18_EUlS17_E_NS1_11comp_targetILNS1_3genE8ELNS1_11target_archE1030ELNS1_3gpuE2ELNS1_3repE0EEENS1_30default_config_static_selectorELNS0_4arch9wavefront6targetE1EEEvT1_
		.amdhsa_group_segment_fixed_size 0
		.amdhsa_private_segment_fixed_size 0
		.amdhsa_kernarg_size 136
		.amdhsa_user_sgpr_count 2
		.amdhsa_user_sgpr_dispatch_ptr 0
		.amdhsa_user_sgpr_queue_ptr 0
		.amdhsa_user_sgpr_kernarg_segment_ptr 1
		.amdhsa_user_sgpr_dispatch_id 0
		.amdhsa_user_sgpr_kernarg_preload_length 0
		.amdhsa_user_sgpr_kernarg_preload_offset 0
		.amdhsa_user_sgpr_private_segment_size 0
		.amdhsa_uses_dynamic_stack 0
		.amdhsa_enable_private_segment 0
		.amdhsa_system_sgpr_workgroup_id_x 1
		.amdhsa_system_sgpr_workgroup_id_y 0
		.amdhsa_system_sgpr_workgroup_id_z 0
		.amdhsa_system_sgpr_workgroup_info 0
		.amdhsa_system_vgpr_workitem_id 0
		.amdhsa_next_free_vgpr 1
		.amdhsa_next_free_sgpr 0
		.amdhsa_accum_offset 4
		.amdhsa_reserve_vcc 0
		.amdhsa_float_round_mode_32 0
		.amdhsa_float_round_mode_16_64 0
		.amdhsa_float_denorm_mode_32 3
		.amdhsa_float_denorm_mode_16_64 3
		.amdhsa_dx10_clamp 1
		.amdhsa_ieee_mode 1
		.amdhsa_fp16_overflow 0
		.amdhsa_tg_split 0
		.amdhsa_exception_fp_ieee_invalid_op 0
		.amdhsa_exception_fp_denorm_src 0
		.amdhsa_exception_fp_ieee_div_zero 0
		.amdhsa_exception_fp_ieee_overflow 0
		.amdhsa_exception_fp_ieee_underflow 0
		.amdhsa_exception_fp_ieee_inexact 0
		.amdhsa_exception_int_div_zero 0
	.end_amdhsa_kernel
	.section	.text._ZN7rocprim17ROCPRIM_400000_NS6detail17trampoline_kernelINS0_14default_configENS1_25partition_config_selectorILNS1_17partition_subalgoE8ElNS0_10empty_typeEbEEZZNS1_14partition_implILS5_8ELb0ES3_jPlPS6_PKS6_NS0_5tupleIJS9_S6_EEENSD_IJSA_SA_EEENS0_18inequality_wrapperIZN2at6native12_GLOBAL__N_124unique_dim_cuda_templateIiEESt5tupleIJNSH_6TensorESM_SM_EERKSM_lbbbEUlllE0_EEPmJS6_EEE10hipError_tPvRmT3_T4_T5_T6_T7_T9_mT8_P12ihipStream_tbDpT10_ENKUlT_T0_E_clISt17integral_constantIbLb0EES1B_IbLb1EEEEDaS17_S18_EUlS17_E_NS1_11comp_targetILNS1_3genE8ELNS1_11target_archE1030ELNS1_3gpuE2ELNS1_3repE0EEENS1_30default_config_static_selectorELNS0_4arch9wavefront6targetE1EEEvT1_,"axG",@progbits,_ZN7rocprim17ROCPRIM_400000_NS6detail17trampoline_kernelINS0_14default_configENS1_25partition_config_selectorILNS1_17partition_subalgoE8ElNS0_10empty_typeEbEEZZNS1_14partition_implILS5_8ELb0ES3_jPlPS6_PKS6_NS0_5tupleIJS9_S6_EEENSD_IJSA_SA_EEENS0_18inequality_wrapperIZN2at6native12_GLOBAL__N_124unique_dim_cuda_templateIiEESt5tupleIJNSH_6TensorESM_SM_EERKSM_lbbbEUlllE0_EEPmJS6_EEE10hipError_tPvRmT3_T4_T5_T6_T7_T9_mT8_P12ihipStream_tbDpT10_ENKUlT_T0_E_clISt17integral_constantIbLb0EES1B_IbLb1EEEEDaS17_S18_EUlS17_E_NS1_11comp_targetILNS1_3genE8ELNS1_11target_archE1030ELNS1_3gpuE2ELNS1_3repE0EEENS1_30default_config_static_selectorELNS0_4arch9wavefront6targetE1EEEvT1_,comdat
.Lfunc_end475:
	.size	_ZN7rocprim17ROCPRIM_400000_NS6detail17trampoline_kernelINS0_14default_configENS1_25partition_config_selectorILNS1_17partition_subalgoE8ElNS0_10empty_typeEbEEZZNS1_14partition_implILS5_8ELb0ES3_jPlPS6_PKS6_NS0_5tupleIJS9_S6_EEENSD_IJSA_SA_EEENS0_18inequality_wrapperIZN2at6native12_GLOBAL__N_124unique_dim_cuda_templateIiEESt5tupleIJNSH_6TensorESM_SM_EERKSM_lbbbEUlllE0_EEPmJS6_EEE10hipError_tPvRmT3_T4_T5_T6_T7_T9_mT8_P12ihipStream_tbDpT10_ENKUlT_T0_E_clISt17integral_constantIbLb0EES1B_IbLb1EEEEDaS17_S18_EUlS17_E_NS1_11comp_targetILNS1_3genE8ELNS1_11target_archE1030ELNS1_3gpuE2ELNS1_3repE0EEENS1_30default_config_static_selectorELNS0_4arch9wavefront6targetE1EEEvT1_, .Lfunc_end475-_ZN7rocprim17ROCPRIM_400000_NS6detail17trampoline_kernelINS0_14default_configENS1_25partition_config_selectorILNS1_17partition_subalgoE8ElNS0_10empty_typeEbEEZZNS1_14partition_implILS5_8ELb0ES3_jPlPS6_PKS6_NS0_5tupleIJS9_S6_EEENSD_IJSA_SA_EEENS0_18inequality_wrapperIZN2at6native12_GLOBAL__N_124unique_dim_cuda_templateIiEESt5tupleIJNSH_6TensorESM_SM_EERKSM_lbbbEUlllE0_EEPmJS6_EEE10hipError_tPvRmT3_T4_T5_T6_T7_T9_mT8_P12ihipStream_tbDpT10_ENKUlT_T0_E_clISt17integral_constantIbLb0EES1B_IbLb1EEEEDaS17_S18_EUlS17_E_NS1_11comp_targetILNS1_3genE8ELNS1_11target_archE1030ELNS1_3gpuE2ELNS1_3repE0EEENS1_30default_config_static_selectorELNS0_4arch9wavefront6targetE1EEEvT1_
                                        ; -- End function
	.section	.AMDGPU.csdata,"",@progbits
; Kernel info:
; codeLenInByte = 0
; NumSgprs: 6
; NumVgprs: 0
; NumAgprs: 0
; TotalNumVgprs: 0
; ScratchSize: 0
; MemoryBound: 0
; FloatMode: 240
; IeeeMode: 1
; LDSByteSize: 0 bytes/workgroup (compile time only)
; SGPRBlocks: 0
; VGPRBlocks: 0
; NumSGPRsForWavesPerEU: 6
; NumVGPRsForWavesPerEU: 1
; AccumOffset: 4
; Occupancy: 8
; WaveLimiterHint : 0
; COMPUTE_PGM_RSRC2:SCRATCH_EN: 0
; COMPUTE_PGM_RSRC2:USER_SGPR: 2
; COMPUTE_PGM_RSRC2:TRAP_HANDLER: 0
; COMPUTE_PGM_RSRC2:TGID_X_EN: 1
; COMPUTE_PGM_RSRC2:TGID_Y_EN: 0
; COMPUTE_PGM_RSRC2:TGID_Z_EN: 0
; COMPUTE_PGM_RSRC2:TIDIG_COMP_CNT: 0
; COMPUTE_PGM_RSRC3_GFX90A:ACCUM_OFFSET: 0
; COMPUTE_PGM_RSRC3_GFX90A:TG_SPLIT: 0
	.section	.text._ZN7rocprim17ROCPRIM_400000_NS6detail17trampoline_kernelINS0_14default_configENS1_25partition_config_selectorILNS1_17partition_subalgoE9EllbEEZZNS1_14partition_implILS5_9ELb0ES3_jPlS8_PNS0_10empty_typeENS0_5tupleIJS8_S9_EEENSB_IJS8_SA_EEENS0_18inequality_wrapperIZN2at6native12_GLOBAL__N_124unique_dim_cuda_templateIiEESt5tupleIJNSF_6TensorESK_SK_EERKSK_lbbbEUlllE0_EEPmJS9_EEE10hipError_tPvRmT3_T4_T5_T6_T7_T9_mT8_P12ihipStream_tbDpT10_ENKUlT_T0_E_clISt17integral_constantIbLb0EES1A_EEDaS15_S16_EUlS15_E_NS1_11comp_targetILNS1_3genE0ELNS1_11target_archE4294967295ELNS1_3gpuE0ELNS1_3repE0EEENS1_30default_config_static_selectorELNS0_4arch9wavefront6targetE1EEEvT1_,"axG",@progbits,_ZN7rocprim17ROCPRIM_400000_NS6detail17trampoline_kernelINS0_14default_configENS1_25partition_config_selectorILNS1_17partition_subalgoE9EllbEEZZNS1_14partition_implILS5_9ELb0ES3_jPlS8_PNS0_10empty_typeENS0_5tupleIJS8_S9_EEENSB_IJS8_SA_EEENS0_18inequality_wrapperIZN2at6native12_GLOBAL__N_124unique_dim_cuda_templateIiEESt5tupleIJNSF_6TensorESK_SK_EERKSK_lbbbEUlllE0_EEPmJS9_EEE10hipError_tPvRmT3_T4_T5_T6_T7_T9_mT8_P12ihipStream_tbDpT10_ENKUlT_T0_E_clISt17integral_constantIbLb0EES1A_EEDaS15_S16_EUlS15_E_NS1_11comp_targetILNS1_3genE0ELNS1_11target_archE4294967295ELNS1_3gpuE0ELNS1_3repE0EEENS1_30default_config_static_selectorELNS0_4arch9wavefront6targetE1EEEvT1_,comdat
	.globl	_ZN7rocprim17ROCPRIM_400000_NS6detail17trampoline_kernelINS0_14default_configENS1_25partition_config_selectorILNS1_17partition_subalgoE9EllbEEZZNS1_14partition_implILS5_9ELb0ES3_jPlS8_PNS0_10empty_typeENS0_5tupleIJS8_S9_EEENSB_IJS8_SA_EEENS0_18inequality_wrapperIZN2at6native12_GLOBAL__N_124unique_dim_cuda_templateIiEESt5tupleIJNSF_6TensorESK_SK_EERKSK_lbbbEUlllE0_EEPmJS9_EEE10hipError_tPvRmT3_T4_T5_T6_T7_T9_mT8_P12ihipStream_tbDpT10_ENKUlT_T0_E_clISt17integral_constantIbLb0EES1A_EEDaS15_S16_EUlS15_E_NS1_11comp_targetILNS1_3genE0ELNS1_11target_archE4294967295ELNS1_3gpuE0ELNS1_3repE0EEENS1_30default_config_static_selectorELNS0_4arch9wavefront6targetE1EEEvT1_ ; -- Begin function _ZN7rocprim17ROCPRIM_400000_NS6detail17trampoline_kernelINS0_14default_configENS1_25partition_config_selectorILNS1_17partition_subalgoE9EllbEEZZNS1_14partition_implILS5_9ELb0ES3_jPlS8_PNS0_10empty_typeENS0_5tupleIJS8_S9_EEENSB_IJS8_SA_EEENS0_18inequality_wrapperIZN2at6native12_GLOBAL__N_124unique_dim_cuda_templateIiEESt5tupleIJNSF_6TensorESK_SK_EERKSK_lbbbEUlllE0_EEPmJS9_EEE10hipError_tPvRmT3_T4_T5_T6_T7_T9_mT8_P12ihipStream_tbDpT10_ENKUlT_T0_E_clISt17integral_constantIbLb0EES1A_EEDaS15_S16_EUlS15_E_NS1_11comp_targetILNS1_3genE0ELNS1_11target_archE4294967295ELNS1_3gpuE0ELNS1_3repE0EEENS1_30default_config_static_selectorELNS0_4arch9wavefront6targetE1EEEvT1_
	.p2align	8
	.type	_ZN7rocprim17ROCPRIM_400000_NS6detail17trampoline_kernelINS0_14default_configENS1_25partition_config_selectorILNS1_17partition_subalgoE9EllbEEZZNS1_14partition_implILS5_9ELb0ES3_jPlS8_PNS0_10empty_typeENS0_5tupleIJS8_S9_EEENSB_IJS8_SA_EEENS0_18inequality_wrapperIZN2at6native12_GLOBAL__N_124unique_dim_cuda_templateIiEESt5tupleIJNSF_6TensorESK_SK_EERKSK_lbbbEUlllE0_EEPmJS9_EEE10hipError_tPvRmT3_T4_T5_T6_T7_T9_mT8_P12ihipStream_tbDpT10_ENKUlT_T0_E_clISt17integral_constantIbLb0EES1A_EEDaS15_S16_EUlS15_E_NS1_11comp_targetILNS1_3genE0ELNS1_11target_archE4294967295ELNS1_3gpuE0ELNS1_3repE0EEENS1_30default_config_static_selectorELNS0_4arch9wavefront6targetE1EEEvT1_,@function
_ZN7rocprim17ROCPRIM_400000_NS6detail17trampoline_kernelINS0_14default_configENS1_25partition_config_selectorILNS1_17partition_subalgoE9EllbEEZZNS1_14partition_implILS5_9ELb0ES3_jPlS8_PNS0_10empty_typeENS0_5tupleIJS8_S9_EEENSB_IJS8_SA_EEENS0_18inequality_wrapperIZN2at6native12_GLOBAL__N_124unique_dim_cuda_templateIiEESt5tupleIJNSF_6TensorESK_SK_EERKSK_lbbbEUlllE0_EEPmJS9_EEE10hipError_tPvRmT3_T4_T5_T6_T7_T9_mT8_P12ihipStream_tbDpT10_ENKUlT_T0_E_clISt17integral_constantIbLb0EES1A_EEDaS15_S16_EUlS15_E_NS1_11comp_targetILNS1_3genE0ELNS1_11target_archE4294967295ELNS1_3gpuE0ELNS1_3repE0EEENS1_30default_config_static_selectorELNS0_4arch9wavefront6targetE1EEEvT1_: ; @_ZN7rocprim17ROCPRIM_400000_NS6detail17trampoline_kernelINS0_14default_configENS1_25partition_config_selectorILNS1_17partition_subalgoE9EllbEEZZNS1_14partition_implILS5_9ELb0ES3_jPlS8_PNS0_10empty_typeENS0_5tupleIJS8_S9_EEENSB_IJS8_SA_EEENS0_18inequality_wrapperIZN2at6native12_GLOBAL__N_124unique_dim_cuda_templateIiEESt5tupleIJNSF_6TensorESK_SK_EERKSK_lbbbEUlllE0_EEPmJS9_EEE10hipError_tPvRmT3_T4_T5_T6_T7_T9_mT8_P12ihipStream_tbDpT10_ENKUlT_T0_E_clISt17integral_constantIbLb0EES1A_EEDaS15_S16_EUlS15_E_NS1_11comp_targetILNS1_3genE0ELNS1_11target_archE4294967295ELNS1_3gpuE0ELNS1_3repE0EEENS1_30default_config_static_selectorELNS0_4arch9wavefront6targetE1EEEvT1_
; %bb.0:
	.section	.rodata,"a",@progbits
	.p2align	6, 0x0
	.amdhsa_kernel _ZN7rocprim17ROCPRIM_400000_NS6detail17trampoline_kernelINS0_14default_configENS1_25partition_config_selectorILNS1_17partition_subalgoE9EllbEEZZNS1_14partition_implILS5_9ELb0ES3_jPlS8_PNS0_10empty_typeENS0_5tupleIJS8_S9_EEENSB_IJS8_SA_EEENS0_18inequality_wrapperIZN2at6native12_GLOBAL__N_124unique_dim_cuda_templateIiEESt5tupleIJNSF_6TensorESK_SK_EERKSK_lbbbEUlllE0_EEPmJS9_EEE10hipError_tPvRmT3_T4_T5_T6_T7_T9_mT8_P12ihipStream_tbDpT10_ENKUlT_T0_E_clISt17integral_constantIbLb0EES1A_EEDaS15_S16_EUlS15_E_NS1_11comp_targetILNS1_3genE0ELNS1_11target_archE4294967295ELNS1_3gpuE0ELNS1_3repE0EEENS1_30default_config_static_selectorELNS0_4arch9wavefront6targetE1EEEvT1_
		.amdhsa_group_segment_fixed_size 0
		.amdhsa_private_segment_fixed_size 0
		.amdhsa_kernarg_size 120
		.amdhsa_user_sgpr_count 2
		.amdhsa_user_sgpr_dispatch_ptr 0
		.amdhsa_user_sgpr_queue_ptr 0
		.amdhsa_user_sgpr_kernarg_segment_ptr 1
		.amdhsa_user_sgpr_dispatch_id 0
		.amdhsa_user_sgpr_kernarg_preload_length 0
		.amdhsa_user_sgpr_kernarg_preload_offset 0
		.amdhsa_user_sgpr_private_segment_size 0
		.amdhsa_uses_dynamic_stack 0
		.amdhsa_enable_private_segment 0
		.amdhsa_system_sgpr_workgroup_id_x 1
		.amdhsa_system_sgpr_workgroup_id_y 0
		.amdhsa_system_sgpr_workgroup_id_z 0
		.amdhsa_system_sgpr_workgroup_info 0
		.amdhsa_system_vgpr_workitem_id 0
		.amdhsa_next_free_vgpr 1
		.amdhsa_next_free_sgpr 0
		.amdhsa_accum_offset 4
		.amdhsa_reserve_vcc 0
		.amdhsa_float_round_mode_32 0
		.amdhsa_float_round_mode_16_64 0
		.amdhsa_float_denorm_mode_32 3
		.amdhsa_float_denorm_mode_16_64 3
		.amdhsa_dx10_clamp 1
		.amdhsa_ieee_mode 1
		.amdhsa_fp16_overflow 0
		.amdhsa_tg_split 0
		.amdhsa_exception_fp_ieee_invalid_op 0
		.amdhsa_exception_fp_denorm_src 0
		.amdhsa_exception_fp_ieee_div_zero 0
		.amdhsa_exception_fp_ieee_overflow 0
		.amdhsa_exception_fp_ieee_underflow 0
		.amdhsa_exception_fp_ieee_inexact 0
		.amdhsa_exception_int_div_zero 0
	.end_amdhsa_kernel
	.section	.text._ZN7rocprim17ROCPRIM_400000_NS6detail17trampoline_kernelINS0_14default_configENS1_25partition_config_selectorILNS1_17partition_subalgoE9EllbEEZZNS1_14partition_implILS5_9ELb0ES3_jPlS8_PNS0_10empty_typeENS0_5tupleIJS8_S9_EEENSB_IJS8_SA_EEENS0_18inequality_wrapperIZN2at6native12_GLOBAL__N_124unique_dim_cuda_templateIiEESt5tupleIJNSF_6TensorESK_SK_EERKSK_lbbbEUlllE0_EEPmJS9_EEE10hipError_tPvRmT3_T4_T5_T6_T7_T9_mT8_P12ihipStream_tbDpT10_ENKUlT_T0_E_clISt17integral_constantIbLb0EES1A_EEDaS15_S16_EUlS15_E_NS1_11comp_targetILNS1_3genE0ELNS1_11target_archE4294967295ELNS1_3gpuE0ELNS1_3repE0EEENS1_30default_config_static_selectorELNS0_4arch9wavefront6targetE1EEEvT1_,"axG",@progbits,_ZN7rocprim17ROCPRIM_400000_NS6detail17trampoline_kernelINS0_14default_configENS1_25partition_config_selectorILNS1_17partition_subalgoE9EllbEEZZNS1_14partition_implILS5_9ELb0ES3_jPlS8_PNS0_10empty_typeENS0_5tupleIJS8_S9_EEENSB_IJS8_SA_EEENS0_18inequality_wrapperIZN2at6native12_GLOBAL__N_124unique_dim_cuda_templateIiEESt5tupleIJNSF_6TensorESK_SK_EERKSK_lbbbEUlllE0_EEPmJS9_EEE10hipError_tPvRmT3_T4_T5_T6_T7_T9_mT8_P12ihipStream_tbDpT10_ENKUlT_T0_E_clISt17integral_constantIbLb0EES1A_EEDaS15_S16_EUlS15_E_NS1_11comp_targetILNS1_3genE0ELNS1_11target_archE4294967295ELNS1_3gpuE0ELNS1_3repE0EEENS1_30default_config_static_selectorELNS0_4arch9wavefront6targetE1EEEvT1_,comdat
.Lfunc_end476:
	.size	_ZN7rocprim17ROCPRIM_400000_NS6detail17trampoline_kernelINS0_14default_configENS1_25partition_config_selectorILNS1_17partition_subalgoE9EllbEEZZNS1_14partition_implILS5_9ELb0ES3_jPlS8_PNS0_10empty_typeENS0_5tupleIJS8_S9_EEENSB_IJS8_SA_EEENS0_18inequality_wrapperIZN2at6native12_GLOBAL__N_124unique_dim_cuda_templateIiEESt5tupleIJNSF_6TensorESK_SK_EERKSK_lbbbEUlllE0_EEPmJS9_EEE10hipError_tPvRmT3_T4_T5_T6_T7_T9_mT8_P12ihipStream_tbDpT10_ENKUlT_T0_E_clISt17integral_constantIbLb0EES1A_EEDaS15_S16_EUlS15_E_NS1_11comp_targetILNS1_3genE0ELNS1_11target_archE4294967295ELNS1_3gpuE0ELNS1_3repE0EEENS1_30default_config_static_selectorELNS0_4arch9wavefront6targetE1EEEvT1_, .Lfunc_end476-_ZN7rocprim17ROCPRIM_400000_NS6detail17trampoline_kernelINS0_14default_configENS1_25partition_config_selectorILNS1_17partition_subalgoE9EllbEEZZNS1_14partition_implILS5_9ELb0ES3_jPlS8_PNS0_10empty_typeENS0_5tupleIJS8_S9_EEENSB_IJS8_SA_EEENS0_18inequality_wrapperIZN2at6native12_GLOBAL__N_124unique_dim_cuda_templateIiEESt5tupleIJNSF_6TensorESK_SK_EERKSK_lbbbEUlllE0_EEPmJS9_EEE10hipError_tPvRmT3_T4_T5_T6_T7_T9_mT8_P12ihipStream_tbDpT10_ENKUlT_T0_E_clISt17integral_constantIbLb0EES1A_EEDaS15_S16_EUlS15_E_NS1_11comp_targetILNS1_3genE0ELNS1_11target_archE4294967295ELNS1_3gpuE0ELNS1_3repE0EEENS1_30default_config_static_selectorELNS0_4arch9wavefront6targetE1EEEvT1_
                                        ; -- End function
	.section	.AMDGPU.csdata,"",@progbits
; Kernel info:
; codeLenInByte = 0
; NumSgprs: 6
; NumVgprs: 0
; NumAgprs: 0
; TotalNumVgprs: 0
; ScratchSize: 0
; MemoryBound: 0
; FloatMode: 240
; IeeeMode: 1
; LDSByteSize: 0 bytes/workgroup (compile time only)
; SGPRBlocks: 0
; VGPRBlocks: 0
; NumSGPRsForWavesPerEU: 6
; NumVGPRsForWavesPerEU: 1
; AccumOffset: 4
; Occupancy: 8
; WaveLimiterHint : 0
; COMPUTE_PGM_RSRC2:SCRATCH_EN: 0
; COMPUTE_PGM_RSRC2:USER_SGPR: 2
; COMPUTE_PGM_RSRC2:TRAP_HANDLER: 0
; COMPUTE_PGM_RSRC2:TGID_X_EN: 1
; COMPUTE_PGM_RSRC2:TGID_Y_EN: 0
; COMPUTE_PGM_RSRC2:TGID_Z_EN: 0
; COMPUTE_PGM_RSRC2:TIDIG_COMP_CNT: 0
; COMPUTE_PGM_RSRC3_GFX90A:ACCUM_OFFSET: 0
; COMPUTE_PGM_RSRC3_GFX90A:TG_SPLIT: 0
	.section	.text._ZN7rocprim17ROCPRIM_400000_NS6detail17trampoline_kernelINS0_14default_configENS1_25partition_config_selectorILNS1_17partition_subalgoE9EllbEEZZNS1_14partition_implILS5_9ELb0ES3_jPlS8_PNS0_10empty_typeENS0_5tupleIJS8_S9_EEENSB_IJS8_SA_EEENS0_18inequality_wrapperIZN2at6native12_GLOBAL__N_124unique_dim_cuda_templateIiEESt5tupleIJNSF_6TensorESK_SK_EERKSK_lbbbEUlllE0_EEPmJS9_EEE10hipError_tPvRmT3_T4_T5_T6_T7_T9_mT8_P12ihipStream_tbDpT10_ENKUlT_T0_E_clISt17integral_constantIbLb0EES1A_EEDaS15_S16_EUlS15_E_NS1_11comp_targetILNS1_3genE5ELNS1_11target_archE942ELNS1_3gpuE9ELNS1_3repE0EEENS1_30default_config_static_selectorELNS0_4arch9wavefront6targetE1EEEvT1_,"axG",@progbits,_ZN7rocprim17ROCPRIM_400000_NS6detail17trampoline_kernelINS0_14default_configENS1_25partition_config_selectorILNS1_17partition_subalgoE9EllbEEZZNS1_14partition_implILS5_9ELb0ES3_jPlS8_PNS0_10empty_typeENS0_5tupleIJS8_S9_EEENSB_IJS8_SA_EEENS0_18inequality_wrapperIZN2at6native12_GLOBAL__N_124unique_dim_cuda_templateIiEESt5tupleIJNSF_6TensorESK_SK_EERKSK_lbbbEUlllE0_EEPmJS9_EEE10hipError_tPvRmT3_T4_T5_T6_T7_T9_mT8_P12ihipStream_tbDpT10_ENKUlT_T0_E_clISt17integral_constantIbLb0EES1A_EEDaS15_S16_EUlS15_E_NS1_11comp_targetILNS1_3genE5ELNS1_11target_archE942ELNS1_3gpuE9ELNS1_3repE0EEENS1_30default_config_static_selectorELNS0_4arch9wavefront6targetE1EEEvT1_,comdat
	.globl	_ZN7rocprim17ROCPRIM_400000_NS6detail17trampoline_kernelINS0_14default_configENS1_25partition_config_selectorILNS1_17partition_subalgoE9EllbEEZZNS1_14partition_implILS5_9ELb0ES3_jPlS8_PNS0_10empty_typeENS0_5tupleIJS8_S9_EEENSB_IJS8_SA_EEENS0_18inequality_wrapperIZN2at6native12_GLOBAL__N_124unique_dim_cuda_templateIiEESt5tupleIJNSF_6TensorESK_SK_EERKSK_lbbbEUlllE0_EEPmJS9_EEE10hipError_tPvRmT3_T4_T5_T6_T7_T9_mT8_P12ihipStream_tbDpT10_ENKUlT_T0_E_clISt17integral_constantIbLb0EES1A_EEDaS15_S16_EUlS15_E_NS1_11comp_targetILNS1_3genE5ELNS1_11target_archE942ELNS1_3gpuE9ELNS1_3repE0EEENS1_30default_config_static_selectorELNS0_4arch9wavefront6targetE1EEEvT1_ ; -- Begin function _ZN7rocprim17ROCPRIM_400000_NS6detail17trampoline_kernelINS0_14default_configENS1_25partition_config_selectorILNS1_17partition_subalgoE9EllbEEZZNS1_14partition_implILS5_9ELb0ES3_jPlS8_PNS0_10empty_typeENS0_5tupleIJS8_S9_EEENSB_IJS8_SA_EEENS0_18inequality_wrapperIZN2at6native12_GLOBAL__N_124unique_dim_cuda_templateIiEESt5tupleIJNSF_6TensorESK_SK_EERKSK_lbbbEUlllE0_EEPmJS9_EEE10hipError_tPvRmT3_T4_T5_T6_T7_T9_mT8_P12ihipStream_tbDpT10_ENKUlT_T0_E_clISt17integral_constantIbLb0EES1A_EEDaS15_S16_EUlS15_E_NS1_11comp_targetILNS1_3genE5ELNS1_11target_archE942ELNS1_3gpuE9ELNS1_3repE0EEENS1_30default_config_static_selectorELNS0_4arch9wavefront6targetE1EEEvT1_
	.p2align	8
	.type	_ZN7rocprim17ROCPRIM_400000_NS6detail17trampoline_kernelINS0_14default_configENS1_25partition_config_selectorILNS1_17partition_subalgoE9EllbEEZZNS1_14partition_implILS5_9ELb0ES3_jPlS8_PNS0_10empty_typeENS0_5tupleIJS8_S9_EEENSB_IJS8_SA_EEENS0_18inequality_wrapperIZN2at6native12_GLOBAL__N_124unique_dim_cuda_templateIiEESt5tupleIJNSF_6TensorESK_SK_EERKSK_lbbbEUlllE0_EEPmJS9_EEE10hipError_tPvRmT3_T4_T5_T6_T7_T9_mT8_P12ihipStream_tbDpT10_ENKUlT_T0_E_clISt17integral_constantIbLb0EES1A_EEDaS15_S16_EUlS15_E_NS1_11comp_targetILNS1_3genE5ELNS1_11target_archE942ELNS1_3gpuE9ELNS1_3repE0EEENS1_30default_config_static_selectorELNS0_4arch9wavefront6targetE1EEEvT1_,@function
_ZN7rocprim17ROCPRIM_400000_NS6detail17trampoline_kernelINS0_14default_configENS1_25partition_config_selectorILNS1_17partition_subalgoE9EllbEEZZNS1_14partition_implILS5_9ELb0ES3_jPlS8_PNS0_10empty_typeENS0_5tupleIJS8_S9_EEENSB_IJS8_SA_EEENS0_18inequality_wrapperIZN2at6native12_GLOBAL__N_124unique_dim_cuda_templateIiEESt5tupleIJNSF_6TensorESK_SK_EERKSK_lbbbEUlllE0_EEPmJS9_EEE10hipError_tPvRmT3_T4_T5_T6_T7_T9_mT8_P12ihipStream_tbDpT10_ENKUlT_T0_E_clISt17integral_constantIbLb0EES1A_EEDaS15_S16_EUlS15_E_NS1_11comp_targetILNS1_3genE5ELNS1_11target_archE942ELNS1_3gpuE9ELNS1_3repE0EEENS1_30default_config_static_selectorELNS0_4arch9wavefront6targetE1EEEvT1_: ; @_ZN7rocprim17ROCPRIM_400000_NS6detail17trampoline_kernelINS0_14default_configENS1_25partition_config_selectorILNS1_17partition_subalgoE9EllbEEZZNS1_14partition_implILS5_9ELb0ES3_jPlS8_PNS0_10empty_typeENS0_5tupleIJS8_S9_EEENSB_IJS8_SA_EEENS0_18inequality_wrapperIZN2at6native12_GLOBAL__N_124unique_dim_cuda_templateIiEESt5tupleIJNSF_6TensorESK_SK_EERKSK_lbbbEUlllE0_EEPmJS9_EEE10hipError_tPvRmT3_T4_T5_T6_T7_T9_mT8_P12ihipStream_tbDpT10_ENKUlT_T0_E_clISt17integral_constantIbLb0EES1A_EEDaS15_S16_EUlS15_E_NS1_11comp_targetILNS1_3genE5ELNS1_11target_archE942ELNS1_3gpuE9ELNS1_3repE0EEENS1_30default_config_static_selectorELNS0_4arch9wavefront6targetE1EEEvT1_
; %bb.0:
	s_load_dwordx8 s[20:27], s[0:1], 0x40
	s_load_dwordx4 s[4:7], s[0:1], 0x8
	s_load_dwordx2 s[10:11], s[0:1], 0x18
	s_load_dword s3, s[0:1], 0x70
	s_mul_i32 s12, s2, 0xe00
	s_waitcnt lgkmcnt(0)
	v_mov_b32_e32 v2, s24
	s_lshl_b64 s[14:15], s[6:7], 3
	s_add_u32 s18, s4, s14
	s_mul_i32 s4, s3, 0xe00
	s_addc_u32 s19, s5, s15
	s_add_i32 s8, s3, -1
	s_add_i32 s3, s4, s6
	s_sub_i32 s3, s24, s3
	s_addk_i32 s3, 0xe00
	s_add_u32 s4, s6, s4
	s_addc_u32 s5, s7, 0
	v_mov_b32_e32 v3, s25
	s_cmp_eq_u32 s2, s8
	s_load_dwordx2 s[22:23], s[22:23], 0x0
	v_cmp_ge_u64_e32 vcc, s[4:5], v[2:3]
	s_cselect_b64 s[24:25], -1, 0
	s_mov_b32 s13, 0
	s_and_b64 s[8:9], s[24:25], vcc
	s_xor_b64 s[34:35], s[8:9], -1
	s_lshl_b64 s[16:17], s[12:13], 3
	s_add_u32 s12, s18, s16
	s_mov_b64 s[4:5], -1
	s_addc_u32 s13, s19, s17
	s_and_b64 vcc, exec, s[34:35]
	s_cbranch_vccz .LBB477_2
; %bb.1:
	v_lshlrev_b32_e32 v2, 3, v0
	v_mov_b32_e32 v3, 0
	v_lshl_add_u64 v[4:5], s[12:13], 0, v[2:3]
	v_add_co_u32_e32 v8, vcc, 0x1000, v4
	global_load_dwordx2 v[6:7], v2, s[12:13]
	s_nop 0
	v_addc_co_u32_e32 v9, vcc, 0, v5, vcc
	v_add_co_u32_e32 v10, vcc, 0x2000, v4
	s_mov_b64 s[4:5], 0
	s_nop 0
	v_addc_co_u32_e32 v11, vcc, 0, v5, vcc
	v_add_co_u32_e32 v12, vcc, 0x3000, v4
	s_nop 1
	v_addc_co_u32_e32 v13, vcc, 0, v5, vcc
	v_add_co_u32_e32 v14, vcc, 0x4000, v4
	s_nop 1
	v_addc_co_u32_e32 v15, vcc, 0, v5, vcc
	global_load_dwordx2 v[16:17], v[8:9], off
	global_load_dwordx2 v[18:19], v[10:11], off
	;; [unrolled: 1-line block ×4, first 2 shown]
	v_add_co_u32_e32 v8, vcc, 0x5000, v4
	s_nop 1
	v_addc_co_u32_e32 v9, vcc, 0, v5, vcc
	v_add_co_u32_e32 v4, vcc, 0x6000, v4
	global_load_dwordx2 v[8:9], v[8:9], off
	s_nop 0
	v_addc_co_u32_e32 v5, vcc, 0, v5, vcc
	global_load_dwordx2 v[4:5], v[4:5], off
	s_waitcnt vmcnt(5)
	ds_write2st64_b64 v2, v[6:7], v[16:17] offset1:8
	s_waitcnt vmcnt(3)
	ds_write2st64_b64 v2, v[18:19], v[20:21] offset0:16 offset1:24
	s_waitcnt vmcnt(1)
	ds_write2st64_b64 v2, v[22:23], v[8:9] offset0:32 offset1:40
	s_waitcnt vmcnt(0)
	ds_write_b64 v2, v[4:5] offset:24576
	s_waitcnt lgkmcnt(0)
	s_barrier
.LBB477_2:
	s_load_dwordx4 s[28:31], s[0:1], 0x60
	s_andn2_b64 vcc, exec, s[4:5]
	v_cmp_gt_u32_e64 s[4:5], s3, v0
	s_cbranch_vccnz .LBB477_18
; %bb.3:
                                        ; implicit-def: $vgpr2_vgpr3_vgpr4_vgpr5_vgpr6_vgpr7_vgpr8_vgpr9_vgpr10_vgpr11_vgpr12_vgpr13_vgpr14_vgpr15_vgpr16_vgpr17
	s_and_saveexec_b64 s[18:19], s[4:5]
	s_cbranch_execz .LBB477_5
; %bb.4:
	v_lshlrev_b32_e32 v1, 3, v0
	global_load_dwordx2 v[2:3], v1, s[12:13]
.LBB477_5:
	s_or_b64 exec, exec, s[18:19]
	v_or_b32_e32 v1, 0x200, v0
	v_cmp_gt_u32_e32 vcc, s3, v1
	s_and_saveexec_b64 s[4:5], vcc
	s_cbranch_execz .LBB477_7
; %bb.6:
	v_lshlrev_b32_e32 v1, 3, v1
	global_load_dwordx2 v[4:5], v1, s[12:13]
.LBB477_7:
	s_or_b64 exec, exec, s[4:5]
	v_or_b32_e32 v1, 0x400, v0
	v_cmp_gt_u32_e32 vcc, s3, v1
	s_and_saveexec_b64 s[4:5], vcc
	;; [unrolled: 9-line block ×6, first 2 shown]
	s_cbranch_execz .LBB477_17
; %bb.16:
	v_lshlrev_b32_e32 v1, 3, v1
	global_load_dwordx2 v[14:15], v1, s[12:13]
.LBB477_17:
	s_or_b64 exec, exec, s[4:5]
	v_lshlrev_b32_e32 v1, 3, v0
	s_waitcnt vmcnt(0)
	ds_write2st64_b64 v1, v[2:3], v[4:5] offset1:8
	ds_write2st64_b64 v1, v[6:7], v[8:9] offset0:16 offset1:24
	ds_write2st64_b64 v1, v[10:11], v[12:13] offset0:32 offset1:40
	ds_write_b64 v1, v[14:15] offset:24576
	s_waitcnt lgkmcnt(0)
	s_barrier
.LBB477_18:
	v_mul_u32_u24_e32 v1, 7, v0
	v_lshlrev_b32_e32 v44, 3, v1
	s_waitcnt lgkmcnt(0)
	ds_read2_b64 v[22:25], v44 offset1:1
	ds_read2_b64 v[18:21], v44 offset0:2 offset1:3
	ds_read2_b64 v[14:17], v44 offset0:4 offset1:5
	ds_read_b64 v[28:29], v44 offset:48
	s_add_u32 s4, s10, s14
	s_addc_u32 s5, s11, s15
	s_add_u32 s4, s4, s16
	s_addc_u32 s5, s5, s17
	s_mov_b64 s[10:11], -1
	s_and_b64 vcc, exec, s[34:35]
	s_waitcnt lgkmcnt(0)
	s_barrier
	s_cbranch_vccz .LBB477_20
; %bb.19:
	v_lshlrev_b32_e32 v2, 3, v0
	v_mov_b32_e32 v3, 0
	v_lshl_add_u64 v[4:5], s[4:5], 0, v[2:3]
	v_add_co_u32_e32 v8, vcc, 0x1000, v4
	global_load_dwordx2 v[6:7], v2, s[4:5]
	s_nop 0
	v_addc_co_u32_e32 v9, vcc, 0, v5, vcc
	v_add_co_u32_e32 v10, vcc, 0x2000, v4
	s_mov_b64 s[10:11], 0
	s_nop 0
	v_addc_co_u32_e32 v11, vcc, 0, v5, vcc
	v_add_co_u32_e32 v12, vcc, 0x3000, v4
	s_nop 1
	v_addc_co_u32_e32 v13, vcc, 0, v5, vcc
	v_add_co_u32_e32 v26, vcc, 0x4000, v4
	s_nop 1
	v_addc_co_u32_e32 v27, vcc, 0, v5, vcc
	global_load_dwordx2 v[30:31], v[8:9], off
	global_load_dwordx2 v[32:33], v[10:11], off
	;; [unrolled: 1-line block ×4, first 2 shown]
	v_add_co_u32_e32 v8, vcc, 0x5000, v4
	s_nop 1
	v_addc_co_u32_e32 v9, vcc, 0, v5, vcc
	v_add_co_u32_e32 v4, vcc, 0x6000, v4
	global_load_dwordx2 v[8:9], v[8:9], off
	s_nop 0
	v_addc_co_u32_e32 v5, vcc, 0, v5, vcc
	global_load_dwordx2 v[4:5], v[4:5], off
	s_waitcnt vmcnt(5)
	ds_write2st64_b64 v2, v[6:7], v[30:31] offset1:8
	s_waitcnt vmcnt(3)
	ds_write2st64_b64 v2, v[32:33], v[34:35] offset0:16 offset1:24
	s_waitcnt vmcnt(1)
	ds_write2st64_b64 v2, v[36:37], v[8:9] offset0:32 offset1:40
	s_waitcnt vmcnt(0)
	ds_write_b64 v2, v[4:5] offset:24576
	s_waitcnt lgkmcnt(0)
	s_barrier
.LBB477_20:
	s_andn2_b64 vcc, exec, s[10:11]
	s_cbranch_vccnz .LBB477_36
; %bb.21:
	v_cmp_gt_u32_e32 vcc, s3, v0
                                        ; implicit-def: $vgpr2_vgpr3
	s_and_saveexec_b64 s[10:11], vcc
	s_cbranch_execz .LBB477_23
; %bb.22:
	v_lshlrev_b32_e32 v2, 3, v0
	global_load_dwordx2 v[2:3], v2, s[4:5]
.LBB477_23:
	s_or_b64 exec, exec, s[10:11]
	v_or_b32_e32 v6, 0x200, v0
	v_cmp_gt_u32_e32 vcc, s3, v6
                                        ; implicit-def: $vgpr4_vgpr5
	s_and_saveexec_b64 s[10:11], vcc
	s_cbranch_execz .LBB477_25
; %bb.24:
	v_lshlrev_b32_e32 v4, 3, v6
	global_load_dwordx2 v[4:5], v4, s[4:5]
.LBB477_25:
	s_or_b64 exec, exec, s[10:11]
	v_or_b32_e32 v8, 0x400, v0
	v_cmp_gt_u32_e32 vcc, s3, v8
                                        ; implicit-def: $vgpr6_vgpr7
	s_and_saveexec_b64 s[10:11], vcc
	s_cbranch_execz .LBB477_27
; %bb.26:
	v_lshlrev_b32_e32 v6, 3, v8
	global_load_dwordx2 v[6:7], v6, s[4:5]
.LBB477_27:
	s_or_b64 exec, exec, s[10:11]
	v_or_b32_e32 v10, 0x600, v0
	v_cmp_gt_u32_e32 vcc, s3, v10
                                        ; implicit-def: $vgpr8_vgpr9
	s_and_saveexec_b64 s[10:11], vcc
	s_cbranch_execz .LBB477_29
; %bb.28:
	v_lshlrev_b32_e32 v8, 3, v10
	global_load_dwordx2 v[8:9], v8, s[4:5]
.LBB477_29:
	s_or_b64 exec, exec, s[10:11]
	v_or_b32_e32 v12, 0x800, v0
	v_cmp_gt_u32_e32 vcc, s3, v12
                                        ; implicit-def: $vgpr10_vgpr11
	s_and_saveexec_b64 s[10:11], vcc
	s_cbranch_execz .LBB477_31
; %bb.30:
	v_lshlrev_b32_e32 v10, 3, v12
	global_load_dwordx2 v[10:11], v10, s[4:5]
.LBB477_31:
	s_or_b64 exec, exec, s[10:11]
	v_or_b32_e32 v26, 0xa00, v0
	v_cmp_gt_u32_e32 vcc, s3, v26
                                        ; implicit-def: $vgpr12_vgpr13
	s_and_saveexec_b64 s[10:11], vcc
	s_cbranch_execz .LBB477_33
; %bb.32:
	v_lshlrev_b32_e32 v12, 3, v26
	global_load_dwordx2 v[12:13], v12, s[4:5]
.LBB477_33:
	s_or_b64 exec, exec, s[10:11]
	v_or_b32_e32 v30, 0xc00, v0
	v_cmp_gt_u32_e32 vcc, s3, v30
                                        ; implicit-def: $vgpr26_vgpr27
	s_and_saveexec_b64 s[10:11], vcc
	s_cbranch_execz .LBB477_35
; %bb.34:
	v_lshlrev_b32_e32 v26, 3, v30
	global_load_dwordx2 v[26:27], v26, s[4:5]
.LBB477_35:
	s_or_b64 exec, exec, s[10:11]
	s_movk_i32 s4, 0xffd0
	v_mad_i32_i24 v30, v0, s4, v44
	s_waitcnt vmcnt(0)
	ds_write2st64_b64 v30, v[2:3], v[4:5] offset1:8
	ds_write2st64_b64 v30, v[6:7], v[8:9] offset0:16 offset1:24
	ds_write2st64_b64 v30, v[10:11], v[12:13] offset0:32 offset1:40
	ds_write_b64 v30, v[26:27] offset:24576
	s_waitcnt lgkmcnt(0)
	s_barrier
.LBB477_36:
	ds_read2_b64 v[10:13], v44 offset1:1
	ds_read2_b64 v[6:9], v44 offset0:2 offset1:3
	ds_read2_b64 v[2:5], v44 offset0:4 offset1:5
	ds_read_b64 v[26:27], v44 offset:48
	s_cmp_lg_u32 s2, 0
	s_cselect_b64 s[16:17], -1, 0
	s_cmp_lg_u64 s[6:7], 0
	s_cselect_b64 s[4:5], -1, 0
	s_or_b64 s[4:5], s[16:17], s[4:5]
	v_add_u32_e32 v41, 1, v1
	v_add_u32_e32 v38, 2, v1
	;; [unrolled: 1-line block ×6, first 2 shown]
	s_mov_b64 s[10:11], 0
	s_and_b64 vcc, exec, s[4:5]
	v_cmp_gt_i64_e64 s[4:5], s[26:27], 0
	s_waitcnt lgkmcnt(0)
	s_barrier
	s_cbranch_vccz .LBB477_45
; %bb.37:
	s_add_u32 s6, s12, -8
	s_addc_u32 s7, s13, -1
	s_load_dwordx2 s[6:7], s[6:7], 0x0
	v_cndmask_b32_e64 v30, 0, 1, s[4:5]
	v_lshlrev_b32_e32 v45, 3, v0
	s_and_b64 vcc, exec, s[34:35]
	v_cmp_ne_u32_e64 s[4:5], 1, v30
	ds_write_b64 v45, v[28:29]
	s_cbranch_vccz .LBB477_47
; %bb.38:
	v_mul_lo_u32 v32, v17, s26
	v_mul_lo_u32 v33, v16, s27
	v_mad_u64_u32 v[30:31], s[12:13], v16, s26, 0
	v_add3_u32 v31, v31, v33, v32
	s_and_b64 vcc, exec, s[4:5]
	v_lshl_add_u64 v[30:31], v[30:31], 2, s[28:29]
	s_cbranch_vccnz .LBB477_50
; %bb.39:
	v_mul_lo_u32 v34, v29, s26
	v_mul_lo_u32 v35, v28, s27
	v_mad_u64_u32 v[32:33], s[10:11], v28, s26, 0
	v_add3_u32 v33, v33, v35, v34
	v_lshl_add_u64 v[32:33], v[32:33], 2, s[28:29]
	global_load_dword v34, v[30:31], off
	global_load_dword v35, v[32:33], off
	s_mov_b64 s[10:11], -1
	s_waitcnt vmcnt(0)
	v_cmp_eq_u32_e32 vcc, v34, v35
	s_and_saveexec_b64 s[12:13], vcc
	s_cbranch_execz .LBB477_49
; %bb.40:
	s_add_u32 s10, s26, -1
	v_lshl_add_u64 v[32:33], v[32:33], 0, 4
	v_lshl_add_u64 v[34:35], v[30:31], 0, 4
	s_addc_u32 s11, s27, -1
	s_mov_b64 s[14:15], 0
	s_mov_b64 s[36:37], 0
                                        ; implicit-def: $sgpr18_sgpr19
	s_branch .LBB477_43
.LBB477_41:                             ;   in Loop: Header=BB477_43 Depth=1
	global_load_dword v36, v[34:35], off
	global_load_dword v37, v[32:33], off
	s_add_u32 s36, s36, 1
	s_addc_u32 s37, s37, 0
	s_andn2_b64 s[18:19], s[18:19], exec
	v_lshl_add_u64 v[32:33], v[32:33], 0, 4
	v_lshl_add_u64 v[34:35], v[34:35], 0, 4
	s_waitcnt vmcnt(0)
	v_cmp_ne_u32_e32 vcc, v36, v37
	s_and_b64 s[38:39], vcc, exec
	s_or_b64 s[18:19], s[18:19], s[38:39]
.LBB477_42:                             ;   in Loop: Header=BB477_43 Depth=1
	s_and_b64 s[38:39], exec, s[18:19]
	s_or_b64 s[14:15], s[38:39], s[14:15]
	v_mov_b64_e32 v[36:37], s[36:37]
	s_andn2_b64 exec, exec, s[14:15]
	s_cbranch_execz .LBB477_48
.LBB477_43:                             ; =>This Inner Loop Header: Depth=1
	s_or_b64 s[18:19], s[18:19], exec
	s_cmp_eq_u64 s[10:11], s[36:37]
	s_cbranch_scc0 .LBB477_41
; %bb.44:                               ;   in Loop: Header=BB477_43 Depth=1
                                        ; implicit-def: $vgpr32_vgpr33
                                        ; implicit-def: $vgpr34_vgpr35
	s_mov_b64 s[36:37], s[26:27]
	s_branch .LBB477_42
.LBB477_45:
                                        ; implicit-def: $sgpr18_sgpr19
                                        ; implicit-def: $vgpr48
                                        ; implicit-def: $vgpr47
                                        ; implicit-def: $vgpr46
                                        ; implicit-def: $vgpr34
	s_branch .LBB477_188
.LBB477_46:
                                        ; implicit-def: $vgpr30_vgpr31
	s_branch .LBB477_336
.LBB477_47:
                                        ; implicit-def: $sgpr18_sgpr19
                                        ; implicit-def: $vgpr48
                                        ; implicit-def: $vgpr47
                                        ; implicit-def: $vgpr46
                                        ; implicit-def: $vgpr34
	s_cbranch_execnz .LBB477_107
	s_branch .LBB477_187
.LBB477_48:
	s_or_b64 exec, exec, s[14:15]
	v_cmp_gt_i64_e32 vcc, s[26:27], v[36:37]
	s_orn2_b64 s[10:11], vcc, exec
.LBB477_49:
	s_or_b64 exec, exec, s[12:13]
.LBB477_50:
	v_mul_lo_u32 v34, v15, s26
	v_mul_lo_u32 v35, v14, s27
	v_mad_u64_u32 v[32:33], s[12:13], v14, s26, 0
	v_add3_u32 v33, v33, v35, v34
	s_mov_b64 s[12:13], 0
	s_and_b64 vcc, exec, s[4:5]
	v_lshl_add_u64 v[32:33], v[32:33], 2, s[28:29]
	s_mov_b64 s[14:15], 0
	s_cbranch_vccnz .LBB477_59
; %bb.51:
	global_load_dword v34, v[32:33], off
	global_load_dword v35, v[30:31], off
	s_mov_b64 s[14:15], -1
	s_waitcnt vmcnt(0)
	v_cmp_eq_u32_e32 vcc, v34, v35
	s_and_saveexec_b64 s[18:19], vcc
	s_cbranch_execz .LBB477_58
; %bb.52:
	s_add_u32 s14, s26, -1
	v_lshl_add_u64 v[30:31], v[30:31], 0, 4
	v_lshl_add_u64 v[34:35], v[32:33], 0, 4
	s_addc_u32 s15, s27, -1
	s_mov_b64 s[36:37], 0
	s_mov_b64 s[40:41], 0
                                        ; implicit-def: $sgpr38_sgpr39
	s_branch .LBB477_55
.LBB477_53:                             ;   in Loop: Header=BB477_55 Depth=1
	global_load_dword v36, v[34:35], off
	global_load_dword v37, v[30:31], off
	s_add_u32 s40, s40, 1
	s_addc_u32 s41, s41, 0
	s_andn2_b64 s[38:39], s[38:39], exec
	v_lshl_add_u64 v[30:31], v[30:31], 0, 4
	v_lshl_add_u64 v[34:35], v[34:35], 0, 4
	s_waitcnt vmcnt(0)
	v_cmp_ne_u32_e32 vcc, v36, v37
	s_and_b64 s[42:43], vcc, exec
	s_or_b64 s[38:39], s[38:39], s[42:43]
.LBB477_54:                             ;   in Loop: Header=BB477_55 Depth=1
	s_and_b64 s[42:43], exec, s[38:39]
	s_or_b64 s[36:37], s[42:43], s[36:37]
	v_mov_b64_e32 v[36:37], s[40:41]
	s_andn2_b64 exec, exec, s[36:37]
	s_cbranch_execz .LBB477_57
.LBB477_55:                             ; =>This Inner Loop Header: Depth=1
	s_or_b64 s[38:39], s[38:39], exec
	s_cmp_eq_u64 s[14:15], s[40:41]
	s_cbranch_scc0 .LBB477_53
; %bb.56:                               ;   in Loop: Header=BB477_55 Depth=1
                                        ; implicit-def: $vgpr30_vgpr31
                                        ; implicit-def: $vgpr34_vgpr35
	s_mov_b64 s[40:41], s[26:27]
	s_branch .LBB477_54
.LBB477_57:
	s_or_b64 exec, exec, s[36:37]
	v_cmp_gt_i64_e32 vcc, s[26:27], v[36:37]
	s_orn2_b64 s[14:15], vcc, exec
.LBB477_58:
	s_or_b64 exec, exec, s[18:19]
.LBB477_59:
	v_mul_lo_u32 v34, v21, s26
	v_mul_lo_u32 v35, v20, s27
	v_mad_u64_u32 v[30:31], s[18:19], v20, s26, 0
	v_add3_u32 v31, v31, v35, v34
	s_and_b64 vcc, exec, s[4:5]
	v_lshl_add_u64 v[30:31], v[30:31], 2, s[28:29]
	s_cbranch_vccnz .LBB477_68
; %bb.60:
	global_load_dword v34, v[30:31], off
	global_load_dword v35, v[32:33], off
	s_mov_b64 s[12:13], -1
	s_waitcnt vmcnt(0)
	v_cmp_eq_u32_e32 vcc, v34, v35
	s_and_saveexec_b64 s[18:19], vcc
	s_cbranch_execz .LBB477_67
; %bb.61:
	s_add_u32 s12, s26, -1
	v_lshl_add_u64 v[32:33], v[32:33], 0, 4
	v_lshl_add_u64 v[34:35], v[30:31], 0, 4
	s_addc_u32 s13, s27, -1
	s_mov_b64 s[36:37], 0
	s_mov_b64 s[40:41], 0
                                        ; implicit-def: $sgpr38_sgpr39
	s_branch .LBB477_64
.LBB477_62:                             ;   in Loop: Header=BB477_64 Depth=1
	global_load_dword v36, v[34:35], off
	global_load_dword v37, v[32:33], off
	s_add_u32 s40, s40, 1
	s_addc_u32 s41, s41, 0
	s_andn2_b64 s[38:39], s[38:39], exec
	v_lshl_add_u64 v[32:33], v[32:33], 0, 4
	v_lshl_add_u64 v[34:35], v[34:35], 0, 4
	s_waitcnt vmcnt(0)
	v_cmp_ne_u32_e32 vcc, v36, v37
	s_and_b64 s[42:43], vcc, exec
	s_or_b64 s[38:39], s[38:39], s[42:43]
.LBB477_63:                             ;   in Loop: Header=BB477_64 Depth=1
	s_and_b64 s[42:43], exec, s[38:39]
	s_or_b64 s[36:37], s[42:43], s[36:37]
	v_mov_b64_e32 v[36:37], s[40:41]
	s_andn2_b64 exec, exec, s[36:37]
	s_cbranch_execz .LBB477_66
.LBB477_64:                             ; =>This Inner Loop Header: Depth=1
	s_or_b64 s[38:39], s[38:39], exec
	s_cmp_eq_u64 s[12:13], s[40:41]
	s_cbranch_scc0 .LBB477_62
; %bb.65:                               ;   in Loop: Header=BB477_64 Depth=1
                                        ; implicit-def: $vgpr32_vgpr33
                                        ; implicit-def: $vgpr34_vgpr35
	s_mov_b64 s[40:41], s[26:27]
	s_branch .LBB477_63
.LBB477_66:
	s_or_b64 exec, exec, s[36:37]
	v_cmp_gt_i64_e32 vcc, s[26:27], v[36:37]
	s_orn2_b64 s[12:13], vcc, exec
.LBB477_67:
	s_or_b64 exec, exec, s[18:19]
.LBB477_68:
	v_mul_lo_u32 v34, v19, s26
	v_mul_lo_u32 v35, v18, s27
	v_mad_u64_u32 v[32:33], s[18:19], v18, s26, 0
	v_add3_u32 v33, v33, v35, v34
	s_mov_b64 s[18:19], 0
	s_and_b64 vcc, exec, s[4:5]
	v_lshl_add_u64 v[34:35], v[32:33], 2, s[28:29]
	s_mov_b64 s[36:37], 0
	s_cbranch_vccnz .LBB477_77
; %bb.69:
	global_load_dword v32, v[34:35], off
	global_load_dword v33, v[30:31], off
	s_mov_b64 s[36:37], -1
	s_waitcnt vmcnt(0)
	v_cmp_eq_u32_e32 vcc, v32, v33
	s_and_saveexec_b64 s[38:39], vcc
	s_cbranch_execz .LBB477_76
; %bb.70:
	s_add_u32 s36, s26, -1
	v_lshl_add_u64 v[30:31], v[30:31], 0, 4
	v_lshl_add_u64 v[32:33], v[34:35], 0, 4
	s_addc_u32 s37, s27, -1
	s_mov_b64 s[40:41], 0
	s_mov_b64 s[44:45], 0
                                        ; implicit-def: $sgpr42_sgpr43
	s_branch .LBB477_73
.LBB477_71:                             ;   in Loop: Header=BB477_73 Depth=1
	global_load_dword v36, v[32:33], off
	global_load_dword v37, v[30:31], off
	s_add_u32 s44, s44, 1
	s_addc_u32 s45, s45, 0
	s_andn2_b64 s[42:43], s[42:43], exec
	v_lshl_add_u64 v[30:31], v[30:31], 0, 4
	v_lshl_add_u64 v[32:33], v[32:33], 0, 4
	s_waitcnt vmcnt(0)
	v_cmp_ne_u32_e32 vcc, v36, v37
	s_and_b64 s[46:47], vcc, exec
	s_or_b64 s[42:43], s[42:43], s[46:47]
.LBB477_72:                             ;   in Loop: Header=BB477_73 Depth=1
	s_and_b64 s[46:47], exec, s[42:43]
	s_or_b64 s[40:41], s[46:47], s[40:41]
	v_mov_b64_e32 v[36:37], s[44:45]
	s_andn2_b64 exec, exec, s[40:41]
	s_cbranch_execz .LBB477_75
.LBB477_73:                             ; =>This Inner Loop Header: Depth=1
	s_or_b64 s[42:43], s[42:43], exec
	s_cmp_eq_u64 s[36:37], s[44:45]
	s_cbranch_scc0 .LBB477_71
; %bb.74:                               ;   in Loop: Header=BB477_73 Depth=1
                                        ; implicit-def: $vgpr30_vgpr31
                                        ; implicit-def: $vgpr32_vgpr33
	s_mov_b64 s[44:45], s[26:27]
	s_branch .LBB477_72
.LBB477_75:
	s_or_b64 exec, exec, s[40:41]
	v_cmp_gt_i64_e32 vcc, s[26:27], v[36:37]
	s_orn2_b64 s[36:37], vcc, exec
.LBB477_76:
	s_or_b64 exec, exec, s[38:39]
.LBB477_77:
	v_mul_lo_u32 v32, v25, s26
	v_mul_lo_u32 v33, v24, s27
	v_mad_u64_u32 v[30:31], s[38:39], v24, s26, 0
	v_add3_u32 v31, v31, v33, v32
	s_and_b64 vcc, exec, s[4:5]
	v_lshl_add_u64 v[32:33], v[30:31], 2, s[28:29]
	s_cbranch_vccnz .LBB477_86
; %bb.78:
	global_load_dword v30, v[32:33], off
	global_load_dword v31, v[34:35], off
	s_mov_b64 s[18:19], -1
	s_waitcnt vmcnt(0)
	v_cmp_eq_u32_e32 vcc, v30, v31
	s_and_saveexec_b64 s[38:39], vcc
	s_cbranch_execz .LBB477_85
; %bb.79:
	s_add_u32 s18, s26, -1
	v_lshl_add_u64 v[30:31], v[34:35], 0, 4
	v_lshl_add_u64 v[34:35], v[32:33], 0, 4
	s_addc_u32 s19, s27, -1
	s_mov_b64 s[40:41], 0
	s_mov_b64 s[44:45], 0
                                        ; implicit-def: $sgpr42_sgpr43
	s_branch .LBB477_82
.LBB477_80:                             ;   in Loop: Header=BB477_82 Depth=1
	global_load_dword v36, v[34:35], off
	global_load_dword v37, v[30:31], off
	s_add_u32 s44, s44, 1
	s_addc_u32 s45, s45, 0
	s_andn2_b64 s[42:43], s[42:43], exec
	v_lshl_add_u64 v[30:31], v[30:31], 0, 4
	v_lshl_add_u64 v[34:35], v[34:35], 0, 4
	s_waitcnt vmcnt(0)
	v_cmp_ne_u32_e32 vcc, v36, v37
	s_and_b64 s[46:47], vcc, exec
	s_or_b64 s[42:43], s[42:43], s[46:47]
.LBB477_81:                             ;   in Loop: Header=BB477_82 Depth=1
	s_and_b64 s[46:47], exec, s[42:43]
	s_or_b64 s[40:41], s[46:47], s[40:41]
	v_mov_b64_e32 v[36:37], s[44:45]
	s_andn2_b64 exec, exec, s[40:41]
	s_cbranch_execz .LBB477_84
.LBB477_82:                             ; =>This Inner Loop Header: Depth=1
	s_or_b64 s[42:43], s[42:43], exec
	s_cmp_eq_u64 s[18:19], s[44:45]
	s_cbranch_scc0 .LBB477_80
; %bb.83:                               ;   in Loop: Header=BB477_82 Depth=1
                                        ; implicit-def: $vgpr30_vgpr31
                                        ; implicit-def: $vgpr34_vgpr35
	s_mov_b64 s[44:45], s[26:27]
	s_branch .LBB477_81
.LBB477_84:
	s_or_b64 exec, exec, s[40:41]
	v_cmp_gt_i64_e32 vcc, s[26:27], v[36:37]
	s_orn2_b64 s[18:19], vcc, exec
.LBB477_85:
	s_or_b64 exec, exec, s[38:39]
.LBB477_86:
	v_mul_lo_u32 v34, v23, s26
	v_mul_lo_u32 v35, v22, s27
	v_mad_u64_u32 v[30:31], s[38:39], v22, s26, 0
	v_add3_u32 v31, v31, v35, v34
	s_mov_b64 s[40:41], 0
	s_and_b64 vcc, exec, s[4:5]
	v_lshl_add_u64 v[30:31], v[30:31], 2, s[28:29]
	s_cbranch_vccnz .LBB477_95
; %bb.87:
	global_load_dword v34, v[30:31], off
	global_load_dword v35, v[32:33], off
	s_mov_b64 s[40:41], -1
	s_waitcnt vmcnt(0)
	v_cmp_eq_u32_e32 vcc, v34, v35
	s_and_saveexec_b64 s[38:39], vcc
	s_cbranch_execz .LBB477_94
; %bb.88:
	s_add_u32 s40, s26, -1
	v_lshl_add_u64 v[32:33], v[32:33], 0, 4
	v_lshl_add_u64 v[34:35], v[30:31], 0, 4
	s_addc_u32 s41, s27, -1
	s_mov_b64 s[42:43], 0
	s_mov_b64 s[46:47], 0
                                        ; implicit-def: $sgpr44_sgpr45
	s_branch .LBB477_91
.LBB477_89:                             ;   in Loop: Header=BB477_91 Depth=1
	global_load_dword v36, v[34:35], off
	global_load_dword v37, v[32:33], off
	s_add_u32 s46, s46, 1
	s_addc_u32 s47, s47, 0
	s_andn2_b64 s[44:45], s[44:45], exec
	v_lshl_add_u64 v[32:33], v[32:33], 0, 4
	v_lshl_add_u64 v[34:35], v[34:35], 0, 4
	s_waitcnt vmcnt(0)
	v_cmp_ne_u32_e32 vcc, v36, v37
	s_and_b64 s[48:49], vcc, exec
	s_or_b64 s[44:45], s[44:45], s[48:49]
.LBB477_90:                             ;   in Loop: Header=BB477_91 Depth=1
	s_and_b64 s[48:49], exec, s[44:45]
	s_or_b64 s[42:43], s[48:49], s[42:43]
	v_mov_b64_e32 v[36:37], s[46:47]
	s_andn2_b64 exec, exec, s[42:43]
	s_cbranch_execz .LBB477_93
.LBB477_91:                             ; =>This Inner Loop Header: Depth=1
	s_or_b64 s[44:45], s[44:45], exec
	s_cmp_eq_u64 s[40:41], s[46:47]
	s_cbranch_scc0 .LBB477_89
; %bb.92:                               ;   in Loop: Header=BB477_91 Depth=1
                                        ; implicit-def: $vgpr32_vgpr33
                                        ; implicit-def: $vgpr34_vgpr35
	s_mov_b64 s[46:47], s[26:27]
	s_branch .LBB477_90
.LBB477_93:
	s_or_b64 exec, exec, s[42:43]
	v_cmp_gt_i64_e32 vcc, s[26:27], v[36:37]
	s_orn2_b64 s[40:41], vcc, exec
.LBB477_94:
	s_or_b64 exec, exec, s[38:39]
.LBB477_95:
	v_cmp_ne_u32_e32 vcc, 0, v0
	s_waitcnt lgkmcnt(0)
	v_mov_b64_e32 v[32:33], s[6:7]
	s_barrier
	s_and_saveexec_b64 s[38:39], vcc
	s_cbranch_execz .LBB477_97
; %bb.96:
	v_add_u32_e32 v32, -8, v45
	ds_read_b64 v[32:33], v32
.LBB477_97:
	s_or_b64 exec, exec, s[38:39]
	v_cndmask_b32_e64 v35, 0, 1, s[36:37]
	v_cndmask_b32_e64 v34, 0, 1, s[18:19]
	;; [unrolled: 1-line block ×3, first 2 shown]
	v_lshlrev_b16_e32 v35, 8, v35
	v_lshlrev_b16_e32 v36, 8, v36
	v_or_b32_sdwa v37, v34, v35 dst_sel:WORD_1 dst_unused:UNUSED_PAD src0_sel:DWORD src1_sel:DWORD
	s_mov_b64 s[36:37], 0
	s_and_b64 vcc, exec, s[4:5]
	s_mov_b64 s[18:19], 0
	s_cbranch_vccnz .LBB477_106
; %bb.98:
	s_waitcnt lgkmcnt(0)
	v_mul_lo_u32 v34, v33, s26
	v_mul_lo_u32 v35, v32, s27
	v_mad_u64_u32 v[32:33], s[18:19], v32, s26, 0
	v_add3_u32 v33, v33, v35, v34
	v_lshl_add_u64 v[32:33], v[32:33], 2, s[28:29]
	global_load_dword v34, v[32:33], off
	global_load_dword v35, v[30:31], off
	s_mov_b64 s[18:19], -1
	s_waitcnt vmcnt(0)
	v_cmp_eq_u32_e32 vcc, v34, v35
	s_and_saveexec_b64 s[38:39], vcc
	s_cbranch_execz .LBB477_105
; %bb.99:
	s_add_u32 s18, s26, -1
	v_lshl_add_u64 v[30:31], v[30:31], 0, 4
	v_lshl_add_u64 v[32:33], v[32:33], 0, 4
	s_addc_u32 s19, s27, -1
	s_mov_b64 s[40:41], 0
	s_mov_b64 s[44:45], 0
                                        ; implicit-def: $sgpr42_sgpr43
	s_branch .LBB477_102
.LBB477_100:                            ;   in Loop: Header=BB477_102 Depth=1
	global_load_dword v34, v[32:33], off
	global_load_dword v35, v[30:31], off
	s_add_u32 s44, s44, 1
	s_addc_u32 s45, s45, 0
	s_andn2_b64 s[42:43], s[42:43], exec
	v_lshl_add_u64 v[30:31], v[30:31], 0, 4
	v_lshl_add_u64 v[32:33], v[32:33], 0, 4
	s_waitcnt vmcnt(0)
	v_cmp_ne_u32_e32 vcc, v34, v35
	s_and_b64 s[46:47], vcc, exec
	s_or_b64 s[42:43], s[42:43], s[46:47]
.LBB477_101:                            ;   in Loop: Header=BB477_102 Depth=1
	s_and_b64 s[46:47], exec, s[42:43]
	s_or_b64 s[40:41], s[46:47], s[40:41]
	v_mov_b64_e32 v[34:35], s[44:45]
	s_andn2_b64 exec, exec, s[40:41]
	s_cbranch_execz .LBB477_104
.LBB477_102:                            ; =>This Inner Loop Header: Depth=1
	s_or_b64 s[42:43], s[42:43], exec
	s_cmp_eq_u64 s[18:19], s[44:45]
	s_cbranch_scc0 .LBB477_100
; %bb.103:                              ;   in Loop: Header=BB477_102 Depth=1
                                        ; implicit-def: $vgpr30_vgpr31
                                        ; implicit-def: $vgpr32_vgpr33
	s_mov_b64 s[44:45], s[26:27]
	s_branch .LBB477_101
.LBB477_104:
	s_or_b64 exec, exec, s[40:41]
	v_cmp_gt_i64_e32 vcc, s[26:27], v[34:35]
	s_orn2_b64 s[18:19], vcc, exec
.LBB477_105:
	s_or_b64 exec, exec, s[38:39]
.LBB477_106:
	v_cndmask_b32_e64 v46, 0, 1, s[12:13]
	v_cndmask_b32_e64 v47, 0, 1, s[14:15]
	;; [unrolled: 1-line block ×3, first 2 shown]
	v_or_b32_e32 v34, v36, v37
	s_and_b64 vcc, exec, s[36:37]
	s_cbranch_vccz .LBB477_187
.LBB477_107:
	v_cmp_gt_u32_e32 vcc, s3, v40
	s_mov_b64 s[12:13], 0
	s_mov_b64 s[10:11], 0
	s_and_saveexec_b64 s[14:15], vcc
	s_cbranch_execz .LBB477_118
; %bb.108:
	s_and_b64 vcc, exec, s[4:5]
	s_mov_b64 s[18:19], 0
	s_cbranch_vccnz .LBB477_117
; %bb.109:
	s_waitcnt lgkmcnt(0)
	v_mul_lo_u32 v32, v17, s26
	v_mul_lo_u32 v33, v16, s27
	v_mad_u64_u32 v[30:31], s[10:11], v16, s26, 0
	v_add3_u32 v31, v31, v33, v32
	v_mul_lo_u32 v32, v29, s26
	v_mul_lo_u32 v33, v28, s27
	v_mad_u64_u32 v[34:35], s[10:11], v28, s26, 0
	v_add3_u32 v35, v35, v33, v32
	v_lshl_add_u64 v[32:33], v[30:31], 2, s[28:29]
	v_lshl_add_u64 v[30:31], v[34:35], 2, s[28:29]
	global_load_dword v34, v[32:33], off
	global_load_dword v35, v[30:31], off
	s_mov_b64 s[18:19], -1
	s_waitcnt vmcnt(0)
	v_cmp_eq_u32_e32 vcc, v34, v35
	s_and_saveexec_b64 s[10:11], vcc
	s_cbranch_execz .LBB477_116
; %bb.110:
	s_add_u32 s18, s26, -1
	v_lshl_add_u64 v[30:31], v[30:31], 0, 4
	v_lshl_add_u64 v[32:33], v[32:33], 0, 4
	s_addc_u32 s19, s27, -1
	s_mov_b64 s[36:37], 0
	s_mov_b64 s[40:41], 0
                                        ; implicit-def: $sgpr38_sgpr39
	s_branch .LBB477_113
.LBB477_111:                            ;   in Loop: Header=BB477_113 Depth=1
	global_load_dword v34, v[32:33], off
	global_load_dword v35, v[30:31], off
	s_add_u32 s40, s40, 1
	s_addc_u32 s41, s41, 0
	s_andn2_b64 s[38:39], s[38:39], exec
	v_lshl_add_u64 v[30:31], v[30:31], 0, 4
	v_lshl_add_u64 v[32:33], v[32:33], 0, 4
	s_waitcnt vmcnt(0)
	v_cmp_ne_u32_e32 vcc, v34, v35
	s_and_b64 s[42:43], vcc, exec
	s_or_b64 s[38:39], s[38:39], s[42:43]
.LBB477_112:                            ;   in Loop: Header=BB477_113 Depth=1
	s_and_b64 s[42:43], exec, s[38:39]
	s_or_b64 s[36:37], s[42:43], s[36:37]
	v_mov_b64_e32 v[34:35], s[40:41]
	s_andn2_b64 exec, exec, s[36:37]
	s_cbranch_execz .LBB477_115
.LBB477_113:                            ; =>This Inner Loop Header: Depth=1
	s_or_b64 s[38:39], s[38:39], exec
	s_cmp_eq_u64 s[18:19], s[40:41]
	s_cbranch_scc0 .LBB477_111
; %bb.114:                              ;   in Loop: Header=BB477_113 Depth=1
                                        ; implicit-def: $vgpr30_vgpr31
                                        ; implicit-def: $vgpr32_vgpr33
	s_mov_b64 s[40:41], s[26:27]
	s_branch .LBB477_112
.LBB477_115:
	s_or_b64 exec, exec, s[36:37]
	v_cmp_gt_i64_e32 vcc, s[26:27], v[34:35]
	s_orn2_b64 s[18:19], vcc, exec
.LBB477_116:
	s_or_b64 exec, exec, s[10:11]
.LBB477_117:
	s_and_b64 s[10:11], s[18:19], exec
.LBB477_118:
	s_or_b64 exec, exec, s[14:15]
	v_cmp_gt_u32_e32 vcc, s3, v43
	s_and_saveexec_b64 s[14:15], vcc
	s_cbranch_execz .LBB477_129
; %bb.119:
	s_and_b64 vcc, exec, s[4:5]
	s_mov_b64 s[18:19], 0
	s_cbranch_vccnz .LBB477_128
; %bb.120:
	s_waitcnt lgkmcnt(0)
	v_mul_lo_u32 v32, v15, s26
	v_mul_lo_u32 v33, v14, s27
	v_mad_u64_u32 v[30:31], s[12:13], v14, s26, 0
	v_add3_u32 v31, v31, v33, v32
	v_mul_lo_u32 v32, v17, s26
	v_mul_lo_u32 v33, v16, s27
	v_mad_u64_u32 v[34:35], s[12:13], v16, s26, 0
	v_add3_u32 v35, v35, v33, v32
	v_lshl_add_u64 v[32:33], v[30:31], 2, s[28:29]
	v_lshl_add_u64 v[30:31], v[34:35], 2, s[28:29]
	global_load_dword v34, v[32:33], off
	global_load_dword v35, v[30:31], off
	s_mov_b64 s[18:19], -1
	s_waitcnt vmcnt(0)
	v_cmp_eq_u32_e32 vcc, v34, v35
	s_and_saveexec_b64 s[12:13], vcc
	s_cbranch_execz .LBB477_127
; %bb.121:
	s_add_u32 s18, s26, -1
	v_lshl_add_u64 v[30:31], v[30:31], 0, 4
	v_lshl_add_u64 v[32:33], v[32:33], 0, 4
	s_addc_u32 s19, s27, -1
	s_mov_b64 s[36:37], 0
	s_mov_b64 s[40:41], 0
                                        ; implicit-def: $sgpr38_sgpr39
	s_branch .LBB477_124
.LBB477_122:                            ;   in Loop: Header=BB477_124 Depth=1
	global_load_dword v34, v[32:33], off
	global_load_dword v35, v[30:31], off
	s_add_u32 s40, s40, 1
	s_addc_u32 s41, s41, 0
	s_andn2_b64 s[38:39], s[38:39], exec
	v_lshl_add_u64 v[30:31], v[30:31], 0, 4
	v_lshl_add_u64 v[32:33], v[32:33], 0, 4
	s_waitcnt vmcnt(0)
	v_cmp_ne_u32_e32 vcc, v34, v35
	s_and_b64 s[42:43], vcc, exec
	s_or_b64 s[38:39], s[38:39], s[42:43]
.LBB477_123:                            ;   in Loop: Header=BB477_124 Depth=1
	s_and_b64 s[42:43], exec, s[38:39]
	s_or_b64 s[36:37], s[42:43], s[36:37]
	v_mov_b64_e32 v[34:35], s[40:41]
	s_andn2_b64 exec, exec, s[36:37]
	s_cbranch_execz .LBB477_126
.LBB477_124:                            ; =>This Inner Loop Header: Depth=1
	s_or_b64 s[38:39], s[38:39], exec
	s_cmp_eq_u64 s[18:19], s[40:41]
	s_cbranch_scc0 .LBB477_122
; %bb.125:                              ;   in Loop: Header=BB477_124 Depth=1
                                        ; implicit-def: $vgpr30_vgpr31
                                        ; implicit-def: $vgpr32_vgpr33
	s_mov_b64 s[40:41], s[26:27]
	s_branch .LBB477_123
.LBB477_126:
	s_or_b64 exec, exec, s[36:37]
	v_cmp_gt_i64_e32 vcc, s[26:27], v[34:35]
	s_orn2_b64 s[18:19], vcc, exec
.LBB477_127:
	s_or_b64 exec, exec, s[12:13]
.LBB477_128:
	s_and_b64 s[12:13], s[18:19], exec
.LBB477_129:
	s_or_b64 exec, exec, s[14:15]
	v_cmp_gt_u32_e32 vcc, s3, v39
	s_mov_b64 s[18:19], 0
	s_mov_b64 s[14:15], 0
	s_and_saveexec_b64 s[36:37], vcc
	s_cbranch_execz .LBB477_140
; %bb.130:
	s_and_b64 vcc, exec, s[4:5]
	s_mov_b64 s[38:39], 0
	s_cbranch_vccnz .LBB477_139
; %bb.131:
	s_waitcnt lgkmcnt(0)
	v_mul_lo_u32 v32, v21, s26
	v_mul_lo_u32 v33, v20, s27
	v_mad_u64_u32 v[30:31], s[14:15], v20, s26, 0
	v_add3_u32 v31, v31, v33, v32
	v_mul_lo_u32 v32, v15, s26
	v_mul_lo_u32 v33, v14, s27
	v_mad_u64_u32 v[34:35], s[14:15], v14, s26, 0
	v_add3_u32 v35, v35, v33, v32
	v_lshl_add_u64 v[32:33], v[30:31], 2, s[28:29]
	v_lshl_add_u64 v[30:31], v[34:35], 2, s[28:29]
	global_load_dword v34, v[32:33], off
	global_load_dword v35, v[30:31], off
	s_mov_b64 s[38:39], -1
	s_waitcnt vmcnt(0)
	v_cmp_eq_u32_e32 vcc, v34, v35
	s_and_saveexec_b64 s[14:15], vcc
	s_cbranch_execz .LBB477_138
; %bb.132:
	s_add_u32 s38, s26, -1
	v_lshl_add_u64 v[30:31], v[30:31], 0, 4
	v_lshl_add_u64 v[32:33], v[32:33], 0, 4
	s_addc_u32 s39, s27, -1
	s_mov_b64 s[40:41], 0
	s_mov_b64 s[44:45], 0
                                        ; implicit-def: $sgpr42_sgpr43
	s_branch .LBB477_135
.LBB477_133:                            ;   in Loop: Header=BB477_135 Depth=1
	global_load_dword v34, v[32:33], off
	global_load_dword v35, v[30:31], off
	s_add_u32 s44, s44, 1
	s_addc_u32 s45, s45, 0
	s_andn2_b64 s[42:43], s[42:43], exec
	v_lshl_add_u64 v[30:31], v[30:31], 0, 4
	v_lshl_add_u64 v[32:33], v[32:33], 0, 4
	s_waitcnt vmcnt(0)
	v_cmp_ne_u32_e32 vcc, v34, v35
	s_and_b64 s[46:47], vcc, exec
	s_or_b64 s[42:43], s[42:43], s[46:47]
.LBB477_134:                            ;   in Loop: Header=BB477_135 Depth=1
	s_and_b64 s[46:47], exec, s[42:43]
	s_or_b64 s[40:41], s[46:47], s[40:41]
	v_mov_b64_e32 v[34:35], s[44:45]
	s_andn2_b64 exec, exec, s[40:41]
	s_cbranch_execz .LBB477_137
.LBB477_135:                            ; =>This Inner Loop Header: Depth=1
	s_or_b64 s[42:43], s[42:43], exec
	s_cmp_eq_u64 s[38:39], s[44:45]
	s_cbranch_scc0 .LBB477_133
; %bb.136:                              ;   in Loop: Header=BB477_135 Depth=1
                                        ; implicit-def: $vgpr30_vgpr31
                                        ; implicit-def: $vgpr32_vgpr33
	s_mov_b64 s[44:45], s[26:27]
	s_branch .LBB477_134
.LBB477_137:
	s_or_b64 exec, exec, s[40:41]
	v_cmp_gt_i64_e32 vcc, s[26:27], v[34:35]
	s_orn2_b64 s[38:39], vcc, exec
.LBB477_138:
	s_or_b64 exec, exec, s[14:15]
.LBB477_139:
	s_and_b64 s[14:15], s[38:39], exec
.LBB477_140:
	s_or_b64 exec, exec, s[36:37]
	v_cmp_gt_u32_e32 vcc, s3, v42
	s_and_saveexec_b64 s[36:37], vcc
	s_cbranch_execz .LBB477_151
; %bb.141:
	s_and_b64 vcc, exec, s[4:5]
	s_mov_b64 s[38:39], 0
	s_cbranch_vccnz .LBB477_150
; %bb.142:
	s_waitcnt lgkmcnt(0)
	v_mul_lo_u32 v32, v19, s26
	v_mul_lo_u32 v33, v18, s27
	v_mad_u64_u32 v[30:31], s[18:19], v18, s26, 0
	v_add3_u32 v31, v31, v33, v32
	v_mul_lo_u32 v32, v21, s26
	v_mul_lo_u32 v33, v20, s27
	v_mad_u64_u32 v[34:35], s[18:19], v20, s26, 0
	v_add3_u32 v35, v35, v33, v32
	v_lshl_add_u64 v[32:33], v[30:31], 2, s[28:29]
	v_lshl_add_u64 v[30:31], v[34:35], 2, s[28:29]
	global_load_dword v34, v[32:33], off
	global_load_dword v35, v[30:31], off
	s_mov_b64 s[38:39], -1
	s_waitcnt vmcnt(0)
	v_cmp_eq_u32_e32 vcc, v34, v35
	s_and_saveexec_b64 s[18:19], vcc
	s_cbranch_execz .LBB477_149
; %bb.143:
	s_add_u32 s38, s26, -1
	v_lshl_add_u64 v[30:31], v[30:31], 0, 4
	v_lshl_add_u64 v[32:33], v[32:33], 0, 4
	s_addc_u32 s39, s27, -1
	s_mov_b64 s[40:41], 0
	s_mov_b64 s[44:45], 0
                                        ; implicit-def: $sgpr42_sgpr43
	s_branch .LBB477_146
.LBB477_144:                            ;   in Loop: Header=BB477_146 Depth=1
	global_load_dword v34, v[32:33], off
	global_load_dword v35, v[30:31], off
	s_add_u32 s44, s44, 1
	s_addc_u32 s45, s45, 0
	s_andn2_b64 s[42:43], s[42:43], exec
	v_lshl_add_u64 v[30:31], v[30:31], 0, 4
	v_lshl_add_u64 v[32:33], v[32:33], 0, 4
	s_waitcnt vmcnt(0)
	v_cmp_ne_u32_e32 vcc, v34, v35
	s_and_b64 s[46:47], vcc, exec
	s_or_b64 s[42:43], s[42:43], s[46:47]
.LBB477_145:                            ;   in Loop: Header=BB477_146 Depth=1
	s_and_b64 s[46:47], exec, s[42:43]
	s_or_b64 s[40:41], s[46:47], s[40:41]
	v_mov_b64_e32 v[34:35], s[44:45]
	s_andn2_b64 exec, exec, s[40:41]
	s_cbranch_execz .LBB477_148
.LBB477_146:                            ; =>This Inner Loop Header: Depth=1
	s_or_b64 s[42:43], s[42:43], exec
	s_cmp_eq_u64 s[38:39], s[44:45]
	s_cbranch_scc0 .LBB477_144
; %bb.147:                              ;   in Loop: Header=BB477_146 Depth=1
                                        ; implicit-def: $vgpr30_vgpr31
                                        ; implicit-def: $vgpr32_vgpr33
	s_mov_b64 s[44:45], s[26:27]
	s_branch .LBB477_145
.LBB477_148:
	s_or_b64 exec, exec, s[40:41]
	v_cmp_gt_i64_e32 vcc, s[26:27], v[34:35]
	s_orn2_b64 s[38:39], vcc, exec
.LBB477_149:
	s_or_b64 exec, exec, s[18:19]
.LBB477_150:
	s_and_b64 s[18:19], s[38:39], exec
.LBB477_151:
	s_or_b64 exec, exec, s[36:37]
	v_cmp_gt_u32_e32 vcc, s3, v38
	s_mov_b64 s[36:37], 0
	s_mov_b64 s[38:39], 0
	s_and_saveexec_b64 s[40:41], vcc
	s_cbranch_execz .LBB477_162
; %bb.152:
	s_and_b64 vcc, exec, s[4:5]
	s_mov_b64 s[42:43], 0
	s_cbranch_vccnz .LBB477_161
; %bb.153:
	s_waitcnt lgkmcnt(0)
	v_mul_lo_u32 v32, v25, s26
	v_mul_lo_u32 v33, v24, s27
	v_mad_u64_u32 v[30:31], s[38:39], v24, s26, 0
	v_add3_u32 v31, v31, v33, v32
	v_mul_lo_u32 v32, v19, s26
	v_mul_lo_u32 v33, v18, s27
	v_mad_u64_u32 v[34:35], s[38:39], v18, s26, 0
	v_add3_u32 v35, v35, v33, v32
	v_lshl_add_u64 v[32:33], v[30:31], 2, s[28:29]
	v_lshl_add_u64 v[30:31], v[34:35], 2, s[28:29]
	global_load_dword v34, v[32:33], off
	global_load_dword v35, v[30:31], off
	s_mov_b64 s[42:43], -1
	s_waitcnt vmcnt(0)
	v_cmp_eq_u32_e32 vcc, v34, v35
	s_and_saveexec_b64 s[38:39], vcc
	s_cbranch_execz .LBB477_160
; %bb.154:
	s_add_u32 s42, s26, -1
	v_lshl_add_u64 v[30:31], v[30:31], 0, 4
	v_lshl_add_u64 v[32:33], v[32:33], 0, 4
	s_addc_u32 s43, s27, -1
	s_mov_b64 s[44:45], 0
	s_mov_b64 s[48:49], 0
                                        ; implicit-def: $sgpr46_sgpr47
	s_branch .LBB477_157
.LBB477_155:                            ;   in Loop: Header=BB477_157 Depth=1
	global_load_dword v34, v[32:33], off
	global_load_dword v35, v[30:31], off
	s_add_u32 s48, s48, 1
	s_addc_u32 s49, s49, 0
	s_andn2_b64 s[46:47], s[46:47], exec
	v_lshl_add_u64 v[30:31], v[30:31], 0, 4
	v_lshl_add_u64 v[32:33], v[32:33], 0, 4
	s_waitcnt vmcnt(0)
	v_cmp_ne_u32_e32 vcc, v34, v35
	s_and_b64 s[50:51], vcc, exec
	s_or_b64 s[46:47], s[46:47], s[50:51]
.LBB477_156:                            ;   in Loop: Header=BB477_157 Depth=1
	s_and_b64 s[50:51], exec, s[46:47]
	s_or_b64 s[44:45], s[50:51], s[44:45]
	v_mov_b64_e32 v[34:35], s[48:49]
	s_andn2_b64 exec, exec, s[44:45]
	s_cbranch_execz .LBB477_159
.LBB477_157:                            ; =>This Inner Loop Header: Depth=1
	s_or_b64 s[46:47], s[46:47], exec
	s_cmp_eq_u64 s[42:43], s[48:49]
	s_cbranch_scc0 .LBB477_155
; %bb.158:                              ;   in Loop: Header=BB477_157 Depth=1
                                        ; implicit-def: $vgpr30_vgpr31
                                        ; implicit-def: $vgpr32_vgpr33
	s_mov_b64 s[48:49], s[26:27]
	s_branch .LBB477_156
.LBB477_159:
	s_or_b64 exec, exec, s[44:45]
	v_cmp_gt_i64_e32 vcc, s[26:27], v[34:35]
	s_orn2_b64 s[42:43], vcc, exec
.LBB477_160:
	s_or_b64 exec, exec, s[38:39]
.LBB477_161:
	s_and_b64 s[38:39], s[42:43], exec
.LBB477_162:
	s_or_b64 exec, exec, s[40:41]
	v_cmp_gt_u32_e32 vcc, s3, v41
	s_and_saveexec_b64 s[40:41], vcc
	s_cbranch_execz .LBB477_173
; %bb.163:
	s_and_b64 vcc, exec, s[4:5]
	s_mov_b64 s[42:43], 0
	s_cbranch_vccnz .LBB477_172
; %bb.164:
	s_waitcnt lgkmcnt(0)
	v_mul_lo_u32 v32, v23, s26
	v_mul_lo_u32 v33, v22, s27
	v_mad_u64_u32 v[30:31], s[36:37], v22, s26, 0
	v_add3_u32 v31, v31, v33, v32
	v_mul_lo_u32 v32, v25, s26
	v_mul_lo_u32 v33, v24, s27
	v_mad_u64_u32 v[34:35], s[36:37], v24, s26, 0
	v_add3_u32 v35, v35, v33, v32
	v_lshl_add_u64 v[32:33], v[30:31], 2, s[28:29]
	v_lshl_add_u64 v[30:31], v[34:35], 2, s[28:29]
	global_load_dword v34, v[32:33], off
	global_load_dword v35, v[30:31], off
	s_mov_b64 s[42:43], -1
	s_waitcnt vmcnt(0)
	v_cmp_eq_u32_e32 vcc, v34, v35
	s_and_saveexec_b64 s[36:37], vcc
	s_cbranch_execz .LBB477_171
; %bb.165:
	s_add_u32 s42, s26, -1
	v_lshl_add_u64 v[30:31], v[30:31], 0, 4
	v_lshl_add_u64 v[32:33], v[32:33], 0, 4
	s_addc_u32 s43, s27, -1
	s_mov_b64 s[44:45], 0
	s_mov_b64 s[48:49], 0
                                        ; implicit-def: $sgpr46_sgpr47
	s_branch .LBB477_168
.LBB477_166:                            ;   in Loop: Header=BB477_168 Depth=1
	global_load_dword v34, v[32:33], off
	global_load_dword v35, v[30:31], off
	s_add_u32 s48, s48, 1
	s_addc_u32 s49, s49, 0
	s_andn2_b64 s[46:47], s[46:47], exec
	v_lshl_add_u64 v[30:31], v[30:31], 0, 4
	v_lshl_add_u64 v[32:33], v[32:33], 0, 4
	s_waitcnt vmcnt(0)
	v_cmp_ne_u32_e32 vcc, v34, v35
	s_and_b64 s[50:51], vcc, exec
	s_or_b64 s[46:47], s[46:47], s[50:51]
.LBB477_167:                            ;   in Loop: Header=BB477_168 Depth=1
	s_and_b64 s[50:51], exec, s[46:47]
	s_or_b64 s[44:45], s[50:51], s[44:45]
	v_mov_b64_e32 v[34:35], s[48:49]
	s_andn2_b64 exec, exec, s[44:45]
	s_cbranch_execz .LBB477_170
.LBB477_168:                            ; =>This Inner Loop Header: Depth=1
	s_or_b64 s[46:47], s[46:47], exec
	s_cmp_eq_u64 s[42:43], s[48:49]
	s_cbranch_scc0 .LBB477_166
; %bb.169:                              ;   in Loop: Header=BB477_168 Depth=1
                                        ; implicit-def: $vgpr30_vgpr31
                                        ; implicit-def: $vgpr32_vgpr33
	s_mov_b64 s[48:49], s[26:27]
	s_branch .LBB477_167
.LBB477_170:
	s_or_b64 exec, exec, s[44:45]
	v_cmp_gt_i64_e32 vcc, s[26:27], v[34:35]
	s_orn2_b64 s[42:43], vcc, exec
.LBB477_171:
	s_or_b64 exec, exec, s[36:37]
.LBB477_172:
	s_and_b64 s[36:37], s[42:43], exec
.LBB477_173:
	s_or_b64 exec, exec, s[40:41]
	v_cmp_ne_u32_e32 vcc, 0, v0
	s_waitcnt lgkmcnt(0)
	v_mov_b64_e32 v[30:31], s[6:7]
	s_barrier
	s_and_saveexec_b64 s[6:7], vcc
	s_cbranch_execz .LBB477_175
; %bb.174:
	v_add_u32_e32 v30, -8, v45
	ds_read_b64 v[30:31], v30
.LBB477_175:
	s_or_b64 exec, exec, s[6:7]
	v_cndmask_b32_e64 v33, 0, 1, s[18:19]
	v_cndmask_b32_e64 v32, 0, 1, s[38:39]
	;; [unrolled: 1-line block ×3, first 2 shown]
	v_lshlrev_b16_e32 v33, 8, v33
	v_cmp_gt_u32_e32 vcc, s3, v1
	v_lshlrev_b16_e32 v36, 8, v34
	v_or_b32_sdwa v37, v32, v33 dst_sel:WORD_1 dst_unused:UNUSED_PAD src0_sel:DWORD src1_sel:DWORD
	s_mov_b64 s[18:19], 0
	s_and_saveexec_b64 s[6:7], vcc
	s_cbranch_execz .LBB477_186
; %bb.176:
	s_and_b64 vcc, exec, s[4:5]
	s_cbranch_vccnz .LBB477_185
; %bb.177:
	s_waitcnt lgkmcnt(0)
	v_mul_lo_u32 v32, v31, s26
	v_mul_lo_u32 v33, v30, s27
	v_mad_u64_u32 v[30:31], s[4:5], v30, s26, 0
	v_add3_u32 v31, v31, v33, v32
	v_mul_lo_u32 v32, v23, s26
	v_mul_lo_u32 v33, v22, s27
	v_mad_u64_u32 v[34:35], s[4:5], v22, s26, 0
	v_add3_u32 v35, v35, v33, v32
	v_lshl_add_u64 v[32:33], v[30:31], 2, s[28:29]
	v_lshl_add_u64 v[30:31], v[34:35], 2, s[28:29]
	global_load_dword v34, v[32:33], off
	global_load_dword v35, v[30:31], off
	s_mov_b64 s[18:19], -1
	s_waitcnt vmcnt(0)
	v_cmp_eq_u32_e32 vcc, v34, v35
	s_and_saveexec_b64 s[4:5], vcc
	s_cbranch_execz .LBB477_184
; %bb.178:
	s_add_u32 s18, s26, -1
	v_lshl_add_u64 v[30:31], v[30:31], 0, 4
	v_lshl_add_u64 v[32:33], v[32:33], 0, 4
	s_addc_u32 s19, s27, -1
	s_mov_b64 s[36:37], 0
	s_mov_b64 s[40:41], 0
                                        ; implicit-def: $sgpr38_sgpr39
	s_branch .LBB477_181
.LBB477_179:                            ;   in Loop: Header=BB477_181 Depth=1
	global_load_dword v34, v[32:33], off
	global_load_dword v35, v[30:31], off
	s_add_u32 s40, s40, 1
	s_addc_u32 s41, s41, 0
	s_andn2_b64 s[38:39], s[38:39], exec
	v_lshl_add_u64 v[30:31], v[30:31], 0, 4
	v_lshl_add_u64 v[32:33], v[32:33], 0, 4
	s_waitcnt vmcnt(0)
	v_cmp_ne_u32_e32 vcc, v34, v35
	s_and_b64 s[42:43], vcc, exec
	s_or_b64 s[38:39], s[38:39], s[42:43]
.LBB477_180:                            ;   in Loop: Header=BB477_181 Depth=1
	s_and_b64 s[42:43], exec, s[38:39]
	s_or_b64 s[36:37], s[42:43], s[36:37]
	v_mov_b64_e32 v[34:35], s[40:41]
	s_andn2_b64 exec, exec, s[36:37]
	s_cbranch_execz .LBB477_183
.LBB477_181:                            ; =>This Inner Loop Header: Depth=1
	s_or_b64 s[38:39], s[38:39], exec
	s_cmp_eq_u64 s[18:19], s[40:41]
	s_cbranch_scc0 .LBB477_179
; %bb.182:                              ;   in Loop: Header=BB477_181 Depth=1
                                        ; implicit-def: $vgpr30_vgpr31
                                        ; implicit-def: $vgpr32_vgpr33
	s_mov_b64 s[40:41], s[26:27]
	s_branch .LBB477_180
.LBB477_183:
	s_or_b64 exec, exec, s[36:37]
	v_cmp_gt_i64_e32 vcc, s[26:27], v[34:35]
	s_orn2_b64 s[18:19], vcc, exec
.LBB477_184:
	s_or_b64 exec, exec, s[4:5]
.LBB477_185:
	s_and_b64 s[18:19], s[18:19], exec
.LBB477_186:
	s_or_b64 exec, exec, s[6:7]
	v_cndmask_b32_e64 v46, 0, 1, s[14:15]
	v_cndmask_b32_e64 v47, 0, 1, s[12:13]
	;; [unrolled: 1-line block ×3, first 2 shown]
	v_or_b32_e32 v34, v36, v37
.LBB477_187:
	s_mov_b64 s[10:11], -1
	s_cbranch_execnz .LBB477_46
.LBB477_188:
	s_movk_i32 s4, 0xffd0
	v_mad_i32_i24 v44, v0, s4, v44
	s_mov_b64 s[12:13], 0
	s_waitcnt lgkmcnt(0)
	v_cmp_gt_i64_e64 s[6:7], s[26:27], 0
	s_and_b64 vcc, exec, s[34:35]
	ds_write_b64 v44, v[28:29]
	s_cbranch_vccz .LBB477_196
; %bb.189:
	v_mul_lo_u32 v32, v17, s26
	v_mul_lo_u32 v33, v16, s27
	v_mad_u64_u32 v[30:31], s[4:5], v16, s26, 0
	v_add3_u32 v31, v31, v33, v32
	v_cndmask_b32_e64 v32, 0, 1, s[6:7]
	v_cmp_ne_u32_e64 s[4:5], 1, v32
	s_andn2_b64 vcc, exec, s[6:7]
	v_lshl_add_u64 v[30:31], v[30:31], 2, s[28:29]
	s_cbranch_vccnz .LBB477_199
; %bb.190:
	v_mul_lo_u32 v34, v29, s26
	v_mul_lo_u32 v35, v28, s27
	v_mad_u64_u32 v[32:33], s[12:13], v28, s26, 0
	v_add3_u32 v33, v33, v35, v34
	v_lshl_add_u64 v[32:33], v[32:33], 2, s[28:29]
	global_load_dword v34, v[30:31], off
	global_load_dword v35, v[32:33], off
	s_mov_b64 s[12:13], -1
	s_waitcnt vmcnt(0)
	v_cmp_eq_u32_e32 vcc, v34, v35
	s_and_saveexec_b64 s[14:15], vcc
	s_cbranch_execz .LBB477_198
; %bb.191:
	s_add_u32 s12, s26, -1
	v_lshl_add_u64 v[32:33], v[32:33], 0, 4
	v_lshl_add_u64 v[34:35], v[30:31], 0, 4
	s_addc_u32 s13, s27, -1
	s_mov_b64 s[18:19], 0
	s_mov_b64 s[38:39], 0
                                        ; implicit-def: $sgpr36_sgpr37
	s_branch .LBB477_194
.LBB477_192:                            ;   in Loop: Header=BB477_194 Depth=1
	global_load_dword v36, v[34:35], off
	global_load_dword v37, v[32:33], off
	s_add_u32 s38, s38, 1
	s_addc_u32 s39, s39, 0
	s_andn2_b64 s[36:37], s[36:37], exec
	v_lshl_add_u64 v[32:33], v[32:33], 0, 4
	v_lshl_add_u64 v[34:35], v[34:35], 0, 4
	s_waitcnt vmcnt(0)
	v_cmp_ne_u32_e32 vcc, v36, v37
	s_and_b64 s[40:41], vcc, exec
	s_or_b64 s[36:37], s[36:37], s[40:41]
.LBB477_193:                            ;   in Loop: Header=BB477_194 Depth=1
	s_and_b64 s[40:41], exec, s[36:37]
	s_or_b64 s[18:19], s[40:41], s[18:19]
	v_mov_b64_e32 v[36:37], s[38:39]
	s_andn2_b64 exec, exec, s[18:19]
	s_cbranch_execz .LBB477_197
.LBB477_194:                            ; =>This Inner Loop Header: Depth=1
	s_or_b64 s[36:37], s[36:37], exec
	s_cmp_eq_u64 s[12:13], s[38:39]
	s_cbranch_scc0 .LBB477_192
; %bb.195:                              ;   in Loop: Header=BB477_194 Depth=1
                                        ; implicit-def: $vgpr32_vgpr33
                                        ; implicit-def: $vgpr34_vgpr35
	s_mov_b64 s[38:39], s[26:27]
	s_branch .LBB477_193
.LBB477_196:
                                        ; implicit-def: $sgpr18_sgpr19
                                        ; implicit-def: $vgpr48
                                        ; implicit-def: $vgpr47
                                        ; implicit-def: $vgpr46
                                        ; implicit-def: $vgpr34
                                        ; implicit-def: $vgpr30_vgpr31
	s_cbranch_execnz .LBB477_256
	s_branch .LBB477_336
.LBB477_197:
	s_or_b64 exec, exec, s[18:19]
	v_cmp_gt_i64_e32 vcc, s[26:27], v[36:37]
	s_orn2_b64 s[12:13], vcc, exec
.LBB477_198:
	s_or_b64 exec, exec, s[14:15]
.LBB477_199:
	v_mul_lo_u32 v34, v15, s26
	v_mul_lo_u32 v35, v14, s27
	v_mad_u64_u32 v[32:33], s[14:15], v14, s26, 0
	v_add3_u32 v33, v33, v35, v34
	s_mov_b64 s[14:15], 0
	s_and_b64 vcc, exec, s[4:5]
	v_lshl_add_u64 v[32:33], v[32:33], 2, s[28:29]
	s_mov_b64 s[18:19], 0
	s_cbranch_vccnz .LBB477_208
; %bb.200:
	global_load_dword v34, v[32:33], off
	global_load_dword v35, v[30:31], off
	s_mov_b64 s[18:19], -1
	s_waitcnt vmcnt(0)
	v_cmp_eq_u32_e32 vcc, v34, v35
	s_and_saveexec_b64 s[36:37], vcc
	s_cbranch_execz .LBB477_207
; %bb.201:
	s_add_u32 s18, s26, -1
	v_lshl_add_u64 v[30:31], v[30:31], 0, 4
	v_lshl_add_u64 v[34:35], v[32:33], 0, 4
	s_addc_u32 s19, s27, -1
	s_mov_b64 s[38:39], 0
	s_mov_b64 s[42:43], 0
                                        ; implicit-def: $sgpr40_sgpr41
	s_branch .LBB477_204
.LBB477_202:                            ;   in Loop: Header=BB477_204 Depth=1
	global_load_dword v36, v[34:35], off
	global_load_dword v37, v[30:31], off
	s_add_u32 s42, s42, 1
	s_addc_u32 s43, s43, 0
	s_andn2_b64 s[40:41], s[40:41], exec
	v_lshl_add_u64 v[30:31], v[30:31], 0, 4
	v_lshl_add_u64 v[34:35], v[34:35], 0, 4
	s_waitcnt vmcnt(0)
	v_cmp_ne_u32_e32 vcc, v36, v37
	s_and_b64 s[44:45], vcc, exec
	s_or_b64 s[40:41], s[40:41], s[44:45]
.LBB477_203:                            ;   in Loop: Header=BB477_204 Depth=1
	s_and_b64 s[44:45], exec, s[40:41]
	s_or_b64 s[38:39], s[44:45], s[38:39]
	v_mov_b64_e32 v[36:37], s[42:43]
	s_andn2_b64 exec, exec, s[38:39]
	s_cbranch_execz .LBB477_206
.LBB477_204:                            ; =>This Inner Loop Header: Depth=1
	s_or_b64 s[40:41], s[40:41], exec
	s_cmp_eq_u64 s[18:19], s[42:43]
	s_cbranch_scc0 .LBB477_202
; %bb.205:                              ;   in Loop: Header=BB477_204 Depth=1
                                        ; implicit-def: $vgpr30_vgpr31
                                        ; implicit-def: $vgpr34_vgpr35
	s_mov_b64 s[42:43], s[26:27]
	s_branch .LBB477_203
.LBB477_206:
	s_or_b64 exec, exec, s[38:39]
	v_cmp_gt_i64_e32 vcc, s[26:27], v[36:37]
	s_orn2_b64 s[18:19], vcc, exec
.LBB477_207:
	s_or_b64 exec, exec, s[36:37]
.LBB477_208:
	v_mul_lo_u32 v34, v21, s26
	v_mul_lo_u32 v35, v20, s27
	v_mad_u64_u32 v[30:31], s[36:37], v20, s26, 0
	v_add3_u32 v31, v31, v35, v34
	s_and_b64 vcc, exec, s[4:5]
	v_lshl_add_u64 v[30:31], v[30:31], 2, s[28:29]
	s_cbranch_vccnz .LBB477_217
; %bb.209:
	global_load_dword v34, v[30:31], off
	global_load_dword v35, v[32:33], off
	s_mov_b64 s[14:15], -1
	s_waitcnt vmcnt(0)
	v_cmp_eq_u32_e32 vcc, v34, v35
	s_and_saveexec_b64 s[36:37], vcc
	s_cbranch_execz .LBB477_216
; %bb.210:
	s_add_u32 s14, s26, -1
	v_lshl_add_u64 v[32:33], v[32:33], 0, 4
	v_lshl_add_u64 v[34:35], v[30:31], 0, 4
	s_addc_u32 s15, s27, -1
	s_mov_b64 s[38:39], 0
	s_mov_b64 s[42:43], 0
                                        ; implicit-def: $sgpr40_sgpr41
	s_branch .LBB477_213
.LBB477_211:                            ;   in Loop: Header=BB477_213 Depth=1
	global_load_dword v36, v[34:35], off
	global_load_dword v37, v[32:33], off
	s_add_u32 s42, s42, 1
	s_addc_u32 s43, s43, 0
	s_andn2_b64 s[40:41], s[40:41], exec
	v_lshl_add_u64 v[32:33], v[32:33], 0, 4
	v_lshl_add_u64 v[34:35], v[34:35], 0, 4
	s_waitcnt vmcnt(0)
	v_cmp_ne_u32_e32 vcc, v36, v37
	s_and_b64 s[44:45], vcc, exec
	s_or_b64 s[40:41], s[40:41], s[44:45]
.LBB477_212:                            ;   in Loop: Header=BB477_213 Depth=1
	s_and_b64 s[44:45], exec, s[40:41]
	s_or_b64 s[38:39], s[44:45], s[38:39]
	v_mov_b64_e32 v[36:37], s[42:43]
	s_andn2_b64 exec, exec, s[38:39]
	s_cbranch_execz .LBB477_215
.LBB477_213:                            ; =>This Inner Loop Header: Depth=1
	s_or_b64 s[40:41], s[40:41], exec
	s_cmp_eq_u64 s[14:15], s[42:43]
	s_cbranch_scc0 .LBB477_211
; %bb.214:                              ;   in Loop: Header=BB477_213 Depth=1
                                        ; implicit-def: $vgpr32_vgpr33
                                        ; implicit-def: $vgpr34_vgpr35
	s_mov_b64 s[42:43], s[26:27]
	s_branch .LBB477_212
.LBB477_215:
	s_or_b64 exec, exec, s[38:39]
	v_cmp_gt_i64_e32 vcc, s[26:27], v[36:37]
	s_orn2_b64 s[14:15], vcc, exec
.LBB477_216:
	s_or_b64 exec, exec, s[36:37]
.LBB477_217:
	v_mul_lo_u32 v34, v19, s26
	v_mul_lo_u32 v35, v18, s27
	v_mad_u64_u32 v[32:33], s[36:37], v18, s26, 0
	v_add3_u32 v33, v33, v35, v34
	s_mov_b64 s[36:37], 0
	s_and_b64 vcc, exec, s[4:5]
	v_lshl_add_u64 v[32:33], v[32:33], 2, s[28:29]
	s_mov_b64 s[38:39], 0
	s_cbranch_vccnz .LBB477_226
; %bb.218:
	global_load_dword v34, v[32:33], off
	global_load_dword v35, v[30:31], off
	s_mov_b64 s[38:39], -1
	s_waitcnt vmcnt(0)
	v_cmp_eq_u32_e32 vcc, v34, v35
	s_and_saveexec_b64 s[40:41], vcc
	s_cbranch_execz .LBB477_225
; %bb.219:
	s_add_u32 s38, s26, -1
	v_lshl_add_u64 v[30:31], v[30:31], 0, 4
	v_lshl_add_u64 v[34:35], v[32:33], 0, 4
	s_addc_u32 s39, s27, -1
	s_mov_b64 s[42:43], 0
	s_mov_b64 s[46:47], 0
                                        ; implicit-def: $sgpr44_sgpr45
	s_branch .LBB477_222
.LBB477_220:                            ;   in Loop: Header=BB477_222 Depth=1
	global_load_dword v36, v[34:35], off
	global_load_dword v37, v[30:31], off
	s_add_u32 s46, s46, 1
	s_addc_u32 s47, s47, 0
	s_andn2_b64 s[44:45], s[44:45], exec
	v_lshl_add_u64 v[30:31], v[30:31], 0, 4
	v_lshl_add_u64 v[34:35], v[34:35], 0, 4
	s_waitcnt vmcnt(0)
	v_cmp_ne_u32_e32 vcc, v36, v37
	s_and_b64 s[48:49], vcc, exec
	s_or_b64 s[44:45], s[44:45], s[48:49]
.LBB477_221:                            ;   in Loop: Header=BB477_222 Depth=1
	s_and_b64 s[48:49], exec, s[44:45]
	s_or_b64 s[42:43], s[48:49], s[42:43]
	v_mov_b64_e32 v[36:37], s[46:47]
	s_andn2_b64 exec, exec, s[42:43]
	s_cbranch_execz .LBB477_224
.LBB477_222:                            ; =>This Inner Loop Header: Depth=1
	s_or_b64 s[44:45], s[44:45], exec
	s_cmp_eq_u64 s[38:39], s[46:47]
	s_cbranch_scc0 .LBB477_220
; %bb.223:                              ;   in Loop: Header=BB477_222 Depth=1
                                        ; implicit-def: $vgpr30_vgpr31
                                        ; implicit-def: $vgpr34_vgpr35
	s_mov_b64 s[46:47], s[26:27]
	s_branch .LBB477_221
.LBB477_224:
	s_or_b64 exec, exec, s[42:43]
	v_cmp_gt_i64_e32 vcc, s[26:27], v[36:37]
	s_orn2_b64 s[38:39], vcc, exec
.LBB477_225:
	s_or_b64 exec, exec, s[40:41]
.LBB477_226:
	v_mul_lo_u32 v34, v25, s26
	v_mul_lo_u32 v35, v24, s27
	v_mad_u64_u32 v[30:31], s[40:41], v24, s26, 0
	v_add3_u32 v31, v31, v35, v34
	s_and_b64 vcc, exec, s[4:5]
	v_lshl_add_u64 v[30:31], v[30:31], 2, s[28:29]
	s_cbranch_vccnz .LBB477_235
; %bb.227:
	global_load_dword v34, v[30:31], off
	global_load_dword v35, v[32:33], off
	s_mov_b64 s[36:37], -1
	s_waitcnt vmcnt(0)
	v_cmp_eq_u32_e32 vcc, v34, v35
	s_and_saveexec_b64 s[40:41], vcc
	s_cbranch_execz .LBB477_234
; %bb.228:
	s_add_u32 s36, s26, -1
	v_lshl_add_u64 v[32:33], v[32:33], 0, 4
	v_lshl_add_u64 v[34:35], v[30:31], 0, 4
	s_addc_u32 s37, s27, -1
	s_mov_b64 s[42:43], 0
	s_mov_b64 s[46:47], 0
                                        ; implicit-def: $sgpr44_sgpr45
	s_branch .LBB477_231
.LBB477_229:                            ;   in Loop: Header=BB477_231 Depth=1
	global_load_dword v36, v[34:35], off
	global_load_dword v37, v[32:33], off
	s_add_u32 s46, s46, 1
	s_addc_u32 s47, s47, 0
	s_andn2_b64 s[44:45], s[44:45], exec
	v_lshl_add_u64 v[32:33], v[32:33], 0, 4
	v_lshl_add_u64 v[34:35], v[34:35], 0, 4
	s_waitcnt vmcnt(0)
	v_cmp_ne_u32_e32 vcc, v36, v37
	s_and_b64 s[48:49], vcc, exec
	s_or_b64 s[44:45], s[44:45], s[48:49]
.LBB477_230:                            ;   in Loop: Header=BB477_231 Depth=1
	s_and_b64 s[48:49], exec, s[44:45]
	s_or_b64 s[42:43], s[48:49], s[42:43]
	v_mov_b64_e32 v[36:37], s[46:47]
	s_andn2_b64 exec, exec, s[42:43]
	s_cbranch_execz .LBB477_233
.LBB477_231:                            ; =>This Inner Loop Header: Depth=1
	s_or_b64 s[44:45], s[44:45], exec
	s_cmp_eq_u64 s[36:37], s[46:47]
	s_cbranch_scc0 .LBB477_229
; %bb.232:                              ;   in Loop: Header=BB477_231 Depth=1
                                        ; implicit-def: $vgpr32_vgpr33
                                        ; implicit-def: $vgpr34_vgpr35
	s_mov_b64 s[46:47], s[26:27]
	s_branch .LBB477_230
.LBB477_233:
	s_or_b64 exec, exec, s[42:43]
	v_cmp_gt_i64_e32 vcc, s[26:27], v[36:37]
	s_orn2_b64 s[36:37], vcc, exec
.LBB477_234:
	s_or_b64 exec, exec, s[40:41]
.LBB477_235:
	v_mul_lo_u32 v34, v23, s26
	v_mul_lo_u32 v35, v22, s27
	v_mad_u64_u32 v[32:33], s[40:41], v22, s26, 0
	v_add3_u32 v33, v33, v35, v34
	s_and_b64 vcc, exec, s[4:5]
	s_mov_b64 s[42:43], 0
	s_cbranch_vccnz .LBB477_244
; %bb.236:
	v_lshl_add_u64 v[34:35], v[32:33], 2, s[28:29]
	global_load_dword v36, v[34:35], off
	global_load_dword v37, v[30:31], off
	s_mov_b64 s[42:43], -1
	s_waitcnt vmcnt(0)
	v_cmp_eq_u32_e32 vcc, v36, v37
	s_and_saveexec_b64 s[40:41], vcc
	s_cbranch_execz .LBB477_243
; %bb.237:
	s_add_u32 s42, s26, -1
	v_lshl_add_u64 v[30:31], v[30:31], 0, 4
	v_lshl_add_u64 v[34:35], v[34:35], 0, 4
	s_addc_u32 s43, s27, -1
	s_mov_b64 s[44:45], 0
	s_mov_b64 s[48:49], 0
                                        ; implicit-def: $sgpr46_sgpr47
	s_branch .LBB477_240
.LBB477_238:                            ;   in Loop: Header=BB477_240 Depth=1
	global_load_dword v36, v[34:35], off
	global_load_dword v37, v[30:31], off
	s_add_u32 s48, s48, 1
	s_addc_u32 s49, s49, 0
	s_andn2_b64 s[46:47], s[46:47], exec
	v_lshl_add_u64 v[30:31], v[30:31], 0, 4
	v_lshl_add_u64 v[34:35], v[34:35], 0, 4
	s_waitcnt vmcnt(0)
	v_cmp_ne_u32_e32 vcc, v36, v37
	s_and_b64 s[50:51], vcc, exec
	s_or_b64 s[46:47], s[46:47], s[50:51]
.LBB477_239:                            ;   in Loop: Header=BB477_240 Depth=1
	s_and_b64 s[50:51], exec, s[46:47]
	s_or_b64 s[44:45], s[50:51], s[44:45]
	v_mov_b64_e32 v[36:37], s[48:49]
	s_andn2_b64 exec, exec, s[44:45]
	s_cbranch_execz .LBB477_242
.LBB477_240:                            ; =>This Inner Loop Header: Depth=1
	s_or_b64 s[46:47], s[46:47], exec
	s_cmp_eq_u64 s[42:43], s[48:49]
	s_cbranch_scc0 .LBB477_238
; %bb.241:                              ;   in Loop: Header=BB477_240 Depth=1
                                        ; implicit-def: $vgpr30_vgpr31
                                        ; implicit-def: $vgpr34_vgpr35
	s_mov_b64 s[48:49], s[26:27]
	s_branch .LBB477_239
.LBB477_242:
	s_or_b64 exec, exec, s[44:45]
	v_cmp_gt_i64_e32 vcc, s[26:27], v[36:37]
	s_orn2_b64 s[42:43], vcc, exec
.LBB477_243:
	s_or_b64 exec, exec, s[40:41]
.LBB477_244:
	v_cndmask_b32_e64 v31, 0, 1, s[38:39]
	v_cndmask_b32_e64 v30, 0, 1, s[36:37]
	;; [unrolled: 1-line block ×3, first 2 shown]
	v_lshlrev_b16_e32 v31, 8, v31
	v_cndmask_b32_e64 v46, 0, 1, s[14:15]
	v_cndmask_b32_e64 v34, 0, 1, s[42:43]
	v_or_b32_sdwa v30, v30, v31 dst_sel:WORD_1 dst_unused:UNUSED_PAD src0_sel:DWORD src1_sel:DWORD
	v_lshlrev_b16_e32 v31, 8, v47
	v_lshlrev_b16_e32 v34, 8, v34
	v_or_b32_e32 v31, v46, v31
	v_or_b32_e32 v34, 1, v34
	v_and_b32_e32 v31, 0xffff, v31
	v_cndmask_b32_e64 v48, 0, 1, s[12:13]
	v_or_b32_sdwa v30, v34, v30 dst_sel:DWORD dst_unused:UNUSED_PAD src0_sel:WORD_0 src1_sel:DWORD
	v_lshl_or_b32 v31, v48, 16, v31
	v_cmp_ne_u32_e32 vcc, 0, v0
	s_waitcnt lgkmcnt(0)
	s_barrier
	s_waitcnt lgkmcnt(0)
                                        ; implicit-def: $sgpr18_sgpr19
                                        ; implicit-def: $vgpr34
	s_and_saveexec_b64 s[12:13], vcc
	s_xor_b64 s[12:13], exec, s[12:13]
	s_cbranch_execz .LBB477_255
; %bb.245:
	s_mov_b32 s33, 0x3020104
	s_and_b64 vcc, exec, s[4:5]
	s_mov_b64 s[14:15], 0
	s_cbranch_vccnz .LBB477_254
; %bb.246:
	v_add_u32_e32 v31, -8, v44
	ds_read_b64 v[34:35], v31
	v_lshl_add_u64 v[32:33], v[32:33], 2, s[28:29]
	s_mov_b64 s[14:15], -1
	s_waitcnt lgkmcnt(0)
	v_mul_lo_u32 v31, v35, s26
	v_mul_lo_u32 v36, v34, s27
	v_mad_u64_u32 v[34:35], s[4:5], v34, s26, 0
	v_add3_u32 v35, v35, v36, v31
	v_lshl_add_u64 v[34:35], v[34:35], 2, s[28:29]
	global_load_dword v31, v[34:35], off
	global_load_dword v36, v[32:33], off
	s_waitcnt vmcnt(0)
	v_cmp_eq_u32_e32 vcc, v31, v36
	s_and_saveexec_b64 s[4:5], vcc
	s_cbranch_execz .LBB477_253
; %bb.247:
	s_add_u32 s14, s26, -1
	v_lshl_add_u64 v[32:33], v[32:33], 0, 4
	v_lshl_add_u64 v[34:35], v[34:35], 0, 4
	s_addc_u32 s15, s27, -1
	s_mov_b64 s[18:19], 0
	s_mov_b64 s[38:39], 0
                                        ; implicit-def: $sgpr36_sgpr37
	s_branch .LBB477_250
.LBB477_248:                            ;   in Loop: Header=BB477_250 Depth=1
	global_load_dword v31, v[34:35], off
	global_load_dword v36, v[32:33], off
	s_add_u32 s38, s38, 1
	s_addc_u32 s39, s39, 0
	s_andn2_b64 s[36:37], s[36:37], exec
	v_lshl_add_u64 v[32:33], v[32:33], 0, 4
	v_lshl_add_u64 v[34:35], v[34:35], 0, 4
	s_waitcnt vmcnt(0)
	v_cmp_ne_u32_e32 vcc, v31, v36
	s_and_b64 s[40:41], vcc, exec
	s_or_b64 s[36:37], s[36:37], s[40:41]
.LBB477_249:                            ;   in Loop: Header=BB477_250 Depth=1
	s_and_b64 s[40:41], exec, s[36:37]
	s_or_b64 s[18:19], s[40:41], s[18:19]
	v_mov_b64_e32 v[36:37], s[38:39]
	s_andn2_b64 exec, exec, s[18:19]
	s_cbranch_execz .LBB477_252
.LBB477_250:                            ; =>This Inner Loop Header: Depth=1
	s_or_b64 s[36:37], s[36:37], exec
	s_cmp_eq_u64 s[14:15], s[38:39]
	s_cbranch_scc0 .LBB477_248
; %bb.251:                              ;   in Loop: Header=BB477_250 Depth=1
                                        ; implicit-def: $vgpr32_vgpr33
                                        ; implicit-def: $vgpr34_vgpr35
	s_mov_b64 s[38:39], s[26:27]
	s_branch .LBB477_249
.LBB477_252:
	s_or_b64 exec, exec, s[18:19]
	v_cmp_gt_i64_e32 vcc, s[26:27], v[36:37]
	s_orn2_b64 s[14:15], vcc, exec
.LBB477_253:
	s_or_b64 exec, exec, s[4:5]
.LBB477_254:
	v_perm_b32 v34, v30, v30, s33
	s_and_b64 s[18:19], s[14:15], exec
	s_or_b64 s[10:11], s[10:11], exec
                                        ; implicit-def: $vgpr30_vgpr31
.LBB477_255:
	s_or_b64 exec, exec, s[12:13]
	s_branch .LBB477_336
.LBB477_256:
	v_cmp_gt_u32_e32 vcc, s3, v40
	s_mov_b64 s[12:13], 0
	s_mov_b64 s[4:5], 0
	s_and_saveexec_b64 s[14:15], vcc
	s_cbranch_execz .LBB477_267
; %bb.257:
	s_andn2_b64 vcc, exec, s[6:7]
	s_mov_b64 s[18:19], 0
	s_cbranch_vccnz .LBB477_266
; %bb.258:
	v_mul_lo_u32 v32, v17, s26
	v_mul_lo_u32 v33, v16, s27
	v_mad_u64_u32 v[30:31], s[4:5], v16, s26, 0
	v_add3_u32 v31, v31, v33, v32
	v_mul_lo_u32 v32, v29, s26
	v_mul_lo_u32 v33, v28, s27
	v_mad_u64_u32 v[34:35], s[4:5], v28, s26, 0
	v_add3_u32 v35, v35, v33, v32
	v_lshl_add_u64 v[32:33], v[30:31], 2, s[28:29]
	v_lshl_add_u64 v[30:31], v[34:35], 2, s[28:29]
	global_load_dword v34, v[32:33], off
	global_load_dword v35, v[30:31], off
	s_mov_b64 s[18:19], -1
	s_waitcnt vmcnt(0)
	v_cmp_eq_u32_e32 vcc, v34, v35
	s_and_saveexec_b64 s[4:5], vcc
	s_cbranch_execz .LBB477_265
; %bb.259:
	s_add_u32 s18, s26, -1
	v_lshl_add_u64 v[30:31], v[30:31], 0, 4
	v_lshl_add_u64 v[32:33], v[32:33], 0, 4
	s_addc_u32 s19, s27, -1
	s_mov_b64 s[36:37], 0
	s_mov_b64 s[40:41], 0
                                        ; implicit-def: $sgpr38_sgpr39
	s_branch .LBB477_262
.LBB477_260:                            ;   in Loop: Header=BB477_262 Depth=1
	global_load_dword v34, v[32:33], off
	global_load_dword v35, v[30:31], off
	s_add_u32 s40, s40, 1
	s_addc_u32 s41, s41, 0
	s_andn2_b64 s[38:39], s[38:39], exec
	v_lshl_add_u64 v[30:31], v[30:31], 0, 4
	v_lshl_add_u64 v[32:33], v[32:33], 0, 4
	s_waitcnt vmcnt(0)
	v_cmp_ne_u32_e32 vcc, v34, v35
	s_and_b64 s[42:43], vcc, exec
	s_or_b64 s[38:39], s[38:39], s[42:43]
.LBB477_261:                            ;   in Loop: Header=BB477_262 Depth=1
	s_and_b64 s[42:43], exec, s[38:39]
	s_or_b64 s[36:37], s[42:43], s[36:37]
	v_mov_b64_e32 v[34:35], s[40:41]
	s_andn2_b64 exec, exec, s[36:37]
	s_cbranch_execz .LBB477_264
.LBB477_262:                            ; =>This Inner Loop Header: Depth=1
	s_or_b64 s[38:39], s[38:39], exec
	s_cmp_eq_u64 s[18:19], s[40:41]
	s_cbranch_scc0 .LBB477_260
; %bb.263:                              ;   in Loop: Header=BB477_262 Depth=1
                                        ; implicit-def: $vgpr30_vgpr31
                                        ; implicit-def: $vgpr32_vgpr33
	s_mov_b64 s[40:41], s[26:27]
	s_branch .LBB477_261
.LBB477_264:
	s_or_b64 exec, exec, s[36:37]
	v_cmp_gt_i64_e32 vcc, s[26:27], v[34:35]
	s_orn2_b64 s[18:19], vcc, exec
.LBB477_265:
	s_or_b64 exec, exec, s[4:5]
.LBB477_266:
	s_and_b64 s[4:5], s[18:19], exec
.LBB477_267:
	s_or_b64 exec, exec, s[14:15]
	v_cmp_gt_u32_e32 vcc, s3, v43
	s_and_saveexec_b64 s[14:15], vcc
	s_cbranch_execz .LBB477_278
; %bb.268:
	s_andn2_b64 vcc, exec, s[6:7]
	s_mov_b64 s[18:19], 0
	s_cbranch_vccnz .LBB477_277
; %bb.269:
	v_mul_lo_u32 v32, v15, s26
	v_mul_lo_u32 v33, v14, s27
	v_mad_u64_u32 v[30:31], s[12:13], v14, s26, 0
	v_add3_u32 v31, v31, v33, v32
	v_mul_lo_u32 v32, v17, s26
	v_mul_lo_u32 v33, v16, s27
	v_mad_u64_u32 v[34:35], s[12:13], v16, s26, 0
	v_add3_u32 v35, v35, v33, v32
	v_lshl_add_u64 v[32:33], v[30:31], 2, s[28:29]
	v_lshl_add_u64 v[30:31], v[34:35], 2, s[28:29]
	global_load_dword v34, v[32:33], off
	global_load_dword v35, v[30:31], off
	s_mov_b64 s[18:19], -1
	s_waitcnt vmcnt(0)
	v_cmp_eq_u32_e32 vcc, v34, v35
	s_and_saveexec_b64 s[12:13], vcc
	s_cbranch_execz .LBB477_276
; %bb.270:
	s_add_u32 s18, s26, -1
	v_lshl_add_u64 v[30:31], v[30:31], 0, 4
	v_lshl_add_u64 v[32:33], v[32:33], 0, 4
	s_addc_u32 s19, s27, -1
	s_mov_b64 s[36:37], 0
	s_mov_b64 s[40:41], 0
                                        ; implicit-def: $sgpr38_sgpr39
	s_branch .LBB477_273
.LBB477_271:                            ;   in Loop: Header=BB477_273 Depth=1
	global_load_dword v34, v[32:33], off
	global_load_dword v35, v[30:31], off
	s_add_u32 s40, s40, 1
	s_addc_u32 s41, s41, 0
	s_andn2_b64 s[38:39], s[38:39], exec
	v_lshl_add_u64 v[30:31], v[30:31], 0, 4
	v_lshl_add_u64 v[32:33], v[32:33], 0, 4
	s_waitcnt vmcnt(0)
	v_cmp_ne_u32_e32 vcc, v34, v35
	s_and_b64 s[42:43], vcc, exec
	s_or_b64 s[38:39], s[38:39], s[42:43]
.LBB477_272:                            ;   in Loop: Header=BB477_273 Depth=1
	s_and_b64 s[42:43], exec, s[38:39]
	s_or_b64 s[36:37], s[42:43], s[36:37]
	v_mov_b64_e32 v[34:35], s[40:41]
	s_andn2_b64 exec, exec, s[36:37]
	s_cbranch_execz .LBB477_275
.LBB477_273:                            ; =>This Inner Loop Header: Depth=1
	s_or_b64 s[38:39], s[38:39], exec
	s_cmp_eq_u64 s[18:19], s[40:41]
	s_cbranch_scc0 .LBB477_271
; %bb.274:                              ;   in Loop: Header=BB477_273 Depth=1
                                        ; implicit-def: $vgpr30_vgpr31
                                        ; implicit-def: $vgpr32_vgpr33
	s_mov_b64 s[40:41], s[26:27]
	s_branch .LBB477_272
.LBB477_275:
	s_or_b64 exec, exec, s[36:37]
	v_cmp_gt_i64_e32 vcc, s[26:27], v[34:35]
	s_orn2_b64 s[18:19], vcc, exec
.LBB477_276:
	s_or_b64 exec, exec, s[12:13]
.LBB477_277:
	s_and_b64 s[12:13], s[18:19], exec
.LBB477_278:
	s_or_b64 exec, exec, s[14:15]
	v_cmp_gt_u32_e32 vcc, s3, v39
	s_mov_b64 s[18:19], 0
	s_mov_b64 s[14:15], 0
	s_and_saveexec_b64 s[36:37], vcc
	s_cbranch_execz .LBB477_289
; %bb.279:
	s_andn2_b64 vcc, exec, s[6:7]
	s_mov_b64 s[38:39], 0
	s_cbranch_vccnz .LBB477_288
; %bb.280:
	v_mul_lo_u32 v32, v21, s26
	v_mul_lo_u32 v33, v20, s27
	v_mad_u64_u32 v[30:31], s[14:15], v20, s26, 0
	v_add3_u32 v31, v31, v33, v32
	v_mul_lo_u32 v32, v15, s26
	v_mul_lo_u32 v33, v14, s27
	v_mad_u64_u32 v[34:35], s[14:15], v14, s26, 0
	v_add3_u32 v35, v35, v33, v32
	v_lshl_add_u64 v[32:33], v[30:31], 2, s[28:29]
	v_lshl_add_u64 v[30:31], v[34:35], 2, s[28:29]
	global_load_dword v34, v[32:33], off
	global_load_dword v35, v[30:31], off
	s_mov_b64 s[38:39], -1
	s_waitcnt vmcnt(0)
	v_cmp_eq_u32_e32 vcc, v34, v35
	s_and_saveexec_b64 s[14:15], vcc
	s_cbranch_execz .LBB477_287
; %bb.281:
	s_add_u32 s38, s26, -1
	v_lshl_add_u64 v[30:31], v[30:31], 0, 4
	v_lshl_add_u64 v[32:33], v[32:33], 0, 4
	s_addc_u32 s39, s27, -1
	s_mov_b64 s[40:41], 0
	s_mov_b64 s[44:45], 0
                                        ; implicit-def: $sgpr42_sgpr43
	s_branch .LBB477_284
.LBB477_282:                            ;   in Loop: Header=BB477_284 Depth=1
	global_load_dword v34, v[32:33], off
	global_load_dword v35, v[30:31], off
	s_add_u32 s44, s44, 1
	s_addc_u32 s45, s45, 0
	s_andn2_b64 s[42:43], s[42:43], exec
	v_lshl_add_u64 v[30:31], v[30:31], 0, 4
	v_lshl_add_u64 v[32:33], v[32:33], 0, 4
	s_waitcnt vmcnt(0)
	v_cmp_ne_u32_e32 vcc, v34, v35
	s_and_b64 s[46:47], vcc, exec
	s_or_b64 s[42:43], s[42:43], s[46:47]
.LBB477_283:                            ;   in Loop: Header=BB477_284 Depth=1
	s_and_b64 s[46:47], exec, s[42:43]
	s_or_b64 s[40:41], s[46:47], s[40:41]
	v_mov_b64_e32 v[34:35], s[44:45]
	s_andn2_b64 exec, exec, s[40:41]
	s_cbranch_execz .LBB477_286
.LBB477_284:                            ; =>This Inner Loop Header: Depth=1
	s_or_b64 s[42:43], s[42:43], exec
	s_cmp_eq_u64 s[38:39], s[44:45]
	s_cbranch_scc0 .LBB477_282
; %bb.285:                              ;   in Loop: Header=BB477_284 Depth=1
                                        ; implicit-def: $vgpr30_vgpr31
                                        ; implicit-def: $vgpr32_vgpr33
	s_mov_b64 s[44:45], s[26:27]
	s_branch .LBB477_283
.LBB477_286:
	s_or_b64 exec, exec, s[40:41]
	v_cmp_gt_i64_e32 vcc, s[26:27], v[34:35]
	s_orn2_b64 s[38:39], vcc, exec
.LBB477_287:
	s_or_b64 exec, exec, s[14:15]
.LBB477_288:
	s_and_b64 s[14:15], s[38:39], exec
.LBB477_289:
	s_or_b64 exec, exec, s[36:37]
	v_cmp_gt_u32_e32 vcc, s3, v42
	s_and_saveexec_b64 s[36:37], vcc
	s_cbranch_execz .LBB477_300
; %bb.290:
	s_andn2_b64 vcc, exec, s[6:7]
	s_mov_b64 s[38:39], 0
	s_cbranch_vccnz .LBB477_299
; %bb.291:
	v_mul_lo_u32 v32, v19, s26
	v_mul_lo_u32 v33, v18, s27
	v_mad_u64_u32 v[30:31], s[18:19], v18, s26, 0
	v_add3_u32 v31, v31, v33, v32
	v_mul_lo_u32 v32, v21, s26
	v_mul_lo_u32 v33, v20, s27
	v_mad_u64_u32 v[34:35], s[18:19], v20, s26, 0
	v_add3_u32 v35, v35, v33, v32
	v_lshl_add_u64 v[32:33], v[30:31], 2, s[28:29]
	v_lshl_add_u64 v[30:31], v[34:35], 2, s[28:29]
	global_load_dword v34, v[32:33], off
	global_load_dword v35, v[30:31], off
	s_mov_b64 s[38:39], -1
	s_waitcnt vmcnt(0)
	v_cmp_eq_u32_e32 vcc, v34, v35
	s_and_saveexec_b64 s[18:19], vcc
	s_cbranch_execz .LBB477_298
; %bb.292:
	s_add_u32 s38, s26, -1
	v_lshl_add_u64 v[30:31], v[30:31], 0, 4
	v_lshl_add_u64 v[32:33], v[32:33], 0, 4
	s_addc_u32 s39, s27, -1
	s_mov_b64 s[40:41], 0
	s_mov_b64 s[44:45], 0
                                        ; implicit-def: $sgpr42_sgpr43
	s_branch .LBB477_295
.LBB477_293:                            ;   in Loop: Header=BB477_295 Depth=1
	global_load_dword v34, v[32:33], off
	global_load_dword v35, v[30:31], off
	s_add_u32 s44, s44, 1
	s_addc_u32 s45, s45, 0
	s_andn2_b64 s[42:43], s[42:43], exec
	v_lshl_add_u64 v[30:31], v[30:31], 0, 4
	v_lshl_add_u64 v[32:33], v[32:33], 0, 4
	s_waitcnt vmcnt(0)
	v_cmp_ne_u32_e32 vcc, v34, v35
	s_and_b64 s[46:47], vcc, exec
	s_or_b64 s[42:43], s[42:43], s[46:47]
.LBB477_294:                            ;   in Loop: Header=BB477_295 Depth=1
	s_and_b64 s[46:47], exec, s[42:43]
	s_or_b64 s[40:41], s[46:47], s[40:41]
	v_mov_b64_e32 v[34:35], s[44:45]
	s_andn2_b64 exec, exec, s[40:41]
	s_cbranch_execz .LBB477_297
.LBB477_295:                            ; =>This Inner Loop Header: Depth=1
	s_or_b64 s[42:43], s[42:43], exec
	s_cmp_eq_u64 s[38:39], s[44:45]
	s_cbranch_scc0 .LBB477_293
; %bb.296:                              ;   in Loop: Header=BB477_295 Depth=1
                                        ; implicit-def: $vgpr30_vgpr31
                                        ; implicit-def: $vgpr32_vgpr33
	s_mov_b64 s[44:45], s[26:27]
	s_branch .LBB477_294
.LBB477_297:
	s_or_b64 exec, exec, s[40:41]
	v_cmp_gt_i64_e32 vcc, s[26:27], v[34:35]
	s_orn2_b64 s[38:39], vcc, exec
.LBB477_298:
	s_or_b64 exec, exec, s[18:19]
.LBB477_299:
	s_and_b64 s[18:19], s[38:39], exec
.LBB477_300:
	s_or_b64 exec, exec, s[36:37]
	v_cmp_gt_u32_e32 vcc, s3, v38
	s_mov_b64 s[36:37], 0
	s_mov_b64 s[38:39], 0
	s_and_saveexec_b64 s[40:41], vcc
	s_cbranch_execz .LBB477_311
; %bb.301:
	s_andn2_b64 vcc, exec, s[6:7]
	s_mov_b64 s[42:43], 0
	s_cbranch_vccnz .LBB477_310
; %bb.302:
	v_mul_lo_u32 v32, v25, s26
	v_mul_lo_u32 v33, v24, s27
	v_mad_u64_u32 v[30:31], s[38:39], v24, s26, 0
	v_add3_u32 v31, v31, v33, v32
	v_mul_lo_u32 v32, v19, s26
	v_mul_lo_u32 v33, v18, s27
	v_mad_u64_u32 v[34:35], s[38:39], v18, s26, 0
	v_add3_u32 v35, v35, v33, v32
	v_lshl_add_u64 v[32:33], v[30:31], 2, s[28:29]
	v_lshl_add_u64 v[30:31], v[34:35], 2, s[28:29]
	global_load_dword v34, v[32:33], off
	global_load_dword v35, v[30:31], off
	s_mov_b64 s[42:43], -1
	s_waitcnt vmcnt(0)
	v_cmp_eq_u32_e32 vcc, v34, v35
	s_and_saveexec_b64 s[38:39], vcc
	s_cbranch_execz .LBB477_309
; %bb.303:
	s_add_u32 s42, s26, -1
	v_lshl_add_u64 v[30:31], v[30:31], 0, 4
	v_lshl_add_u64 v[32:33], v[32:33], 0, 4
	s_addc_u32 s43, s27, -1
	s_mov_b64 s[44:45], 0
	s_mov_b64 s[48:49], 0
                                        ; implicit-def: $sgpr46_sgpr47
	s_branch .LBB477_306
.LBB477_304:                            ;   in Loop: Header=BB477_306 Depth=1
	global_load_dword v34, v[32:33], off
	global_load_dword v35, v[30:31], off
	s_add_u32 s48, s48, 1
	s_addc_u32 s49, s49, 0
	s_andn2_b64 s[46:47], s[46:47], exec
	v_lshl_add_u64 v[30:31], v[30:31], 0, 4
	v_lshl_add_u64 v[32:33], v[32:33], 0, 4
	s_waitcnt vmcnt(0)
	v_cmp_ne_u32_e32 vcc, v34, v35
	s_and_b64 s[50:51], vcc, exec
	s_or_b64 s[46:47], s[46:47], s[50:51]
.LBB477_305:                            ;   in Loop: Header=BB477_306 Depth=1
	s_and_b64 s[50:51], exec, s[46:47]
	s_or_b64 s[44:45], s[50:51], s[44:45]
	v_mov_b64_e32 v[34:35], s[48:49]
	s_andn2_b64 exec, exec, s[44:45]
	s_cbranch_execz .LBB477_308
.LBB477_306:                            ; =>This Inner Loop Header: Depth=1
	s_or_b64 s[46:47], s[46:47], exec
	s_cmp_eq_u64 s[42:43], s[48:49]
	s_cbranch_scc0 .LBB477_304
; %bb.307:                              ;   in Loop: Header=BB477_306 Depth=1
                                        ; implicit-def: $vgpr30_vgpr31
                                        ; implicit-def: $vgpr32_vgpr33
	s_mov_b64 s[48:49], s[26:27]
	s_branch .LBB477_305
.LBB477_308:
	s_or_b64 exec, exec, s[44:45]
	v_cmp_gt_i64_e32 vcc, s[26:27], v[34:35]
	s_orn2_b64 s[42:43], vcc, exec
.LBB477_309:
	s_or_b64 exec, exec, s[38:39]
.LBB477_310:
	s_and_b64 s[38:39], s[42:43], exec
.LBB477_311:
	s_or_b64 exec, exec, s[40:41]
	v_cmp_gt_u32_e32 vcc, s3, v41
	s_and_saveexec_b64 s[40:41], vcc
	s_cbranch_execz .LBB477_322
; %bb.312:
	s_andn2_b64 vcc, exec, s[6:7]
	s_mov_b64 s[42:43], 0
	s_cbranch_vccnz .LBB477_321
; %bb.313:
	v_mul_lo_u32 v32, v23, s26
	v_mul_lo_u32 v33, v22, s27
	v_mad_u64_u32 v[30:31], s[36:37], v22, s26, 0
	v_add3_u32 v31, v31, v33, v32
	v_mul_lo_u32 v32, v25, s26
	v_mul_lo_u32 v33, v24, s27
	v_mad_u64_u32 v[34:35], s[36:37], v24, s26, 0
	v_add3_u32 v35, v35, v33, v32
	v_lshl_add_u64 v[32:33], v[30:31], 2, s[28:29]
	v_lshl_add_u64 v[30:31], v[34:35], 2, s[28:29]
	global_load_dword v34, v[32:33], off
	global_load_dword v35, v[30:31], off
	s_mov_b64 s[42:43], -1
	s_waitcnt vmcnt(0)
	v_cmp_eq_u32_e32 vcc, v34, v35
	s_and_saveexec_b64 s[36:37], vcc
	s_cbranch_execz .LBB477_320
; %bb.314:
	s_add_u32 s42, s26, -1
	v_lshl_add_u64 v[30:31], v[30:31], 0, 4
	v_lshl_add_u64 v[32:33], v[32:33], 0, 4
	s_addc_u32 s43, s27, -1
	s_mov_b64 s[44:45], 0
	s_mov_b64 s[48:49], 0
                                        ; implicit-def: $sgpr46_sgpr47
	s_branch .LBB477_317
.LBB477_315:                            ;   in Loop: Header=BB477_317 Depth=1
	global_load_dword v34, v[32:33], off
	global_load_dword v35, v[30:31], off
	s_add_u32 s48, s48, 1
	s_addc_u32 s49, s49, 0
	s_andn2_b64 s[46:47], s[46:47], exec
	v_lshl_add_u64 v[30:31], v[30:31], 0, 4
	v_lshl_add_u64 v[32:33], v[32:33], 0, 4
	s_waitcnt vmcnt(0)
	v_cmp_ne_u32_e32 vcc, v34, v35
	s_and_b64 s[50:51], vcc, exec
	s_or_b64 s[46:47], s[46:47], s[50:51]
.LBB477_316:                            ;   in Loop: Header=BB477_317 Depth=1
	s_and_b64 s[50:51], exec, s[46:47]
	s_or_b64 s[44:45], s[50:51], s[44:45]
	v_mov_b64_e32 v[34:35], s[48:49]
	s_andn2_b64 exec, exec, s[44:45]
	s_cbranch_execz .LBB477_319
.LBB477_317:                            ; =>This Inner Loop Header: Depth=1
	s_or_b64 s[46:47], s[46:47], exec
	s_cmp_eq_u64 s[42:43], s[48:49]
	s_cbranch_scc0 .LBB477_315
; %bb.318:                              ;   in Loop: Header=BB477_317 Depth=1
                                        ; implicit-def: $vgpr30_vgpr31
                                        ; implicit-def: $vgpr32_vgpr33
	s_mov_b64 s[48:49], s[26:27]
	s_branch .LBB477_316
.LBB477_319:
	s_or_b64 exec, exec, s[44:45]
	v_cmp_gt_i64_e32 vcc, s[26:27], v[34:35]
	s_orn2_b64 s[42:43], vcc, exec
.LBB477_320:
	s_or_b64 exec, exec, s[36:37]
.LBB477_321:
	s_and_b64 s[36:37], s[42:43], exec
.LBB477_322:
	s_or_b64 exec, exec, s[40:41]
	v_cndmask_b32_e64 v31, 0, 1, s[18:19]
	v_cndmask_b32_e64 v30, 0, 1, s[38:39]
	;; [unrolled: 1-line block ×3, first 2 shown]
	v_lshlrev_b16_e32 v31, 8, v31
	v_cndmask_b32_e64 v46, 0, 1, s[14:15]
	v_cndmask_b32_e64 v32, 0, 1, s[36:37]
	v_or_b32_sdwa v30, v30, v31 dst_sel:WORD_1 dst_unused:UNUSED_PAD src0_sel:DWORD src1_sel:DWORD
	v_lshlrev_b16_e32 v31, 8, v47
	v_lshlrev_b16_e32 v32, 8, v32
	v_or_b32_e32 v31, v46, v31
	v_or_b32_e32 v32, 1, v32
	v_and_b32_e32 v31, 0xffff, v31
	v_cndmask_b32_e64 v48, 0, 1, s[4:5]
	v_or_b32_sdwa v30, v32, v30 dst_sel:DWORD dst_unused:UNUSED_PAD src0_sel:WORD_0 src1_sel:DWORD
	v_lshl_or_b32 v31, v48, 16, v31
	v_cmp_ne_u32_e32 vcc, 0, v0
	s_waitcnt lgkmcnt(0)
	s_barrier
	s_waitcnt lgkmcnt(0)
                                        ; implicit-def: $sgpr18_sgpr19
                                        ; implicit-def: $vgpr34
	s_and_saveexec_b64 s[4:5], vcc
	s_cbranch_execz .LBB477_335
; %bb.323:
	v_cmp_gt_u32_e32 vcc, s3, v1
	s_mov_b32 s33, 0x3020104
	s_mov_b64 s[14:15], 0
	s_and_saveexec_b64 s[12:13], vcc
	s_cbranch_execz .LBB477_334
; %bb.324:
	s_andn2_b64 vcc, exec, s[6:7]
	s_cbranch_vccnz .LBB477_333
; %bb.325:
	v_add_u32_e32 v31, -8, v44
	ds_read_b64 v[32:33], v31
	v_mul_lo_u32 v31, v23, s26
	v_mad_u64_u32 v[36:37], s[6:7], v22, s26, 0
	s_mov_b64 s[14:15], -1
	s_waitcnt lgkmcnt(0)
	v_mul_lo_u32 v34, v33, s26
	v_mul_lo_u32 v35, v32, s27
	v_mad_u64_u32 v[32:33], s[6:7], v32, s26, 0
	v_add3_u32 v33, v33, v35, v34
	v_mul_lo_u32 v34, v22, s27
	v_add3_u32 v37, v37, v34, v31
	v_lshl_add_u64 v[34:35], v[32:33], 2, s[28:29]
	v_lshl_add_u64 v[32:33], v[36:37], 2, s[28:29]
	global_load_dword v31, v[34:35], off
	global_load_dword v36, v[32:33], off
	s_waitcnt vmcnt(0)
	v_cmp_eq_u32_e32 vcc, v31, v36
	s_and_saveexec_b64 s[6:7], vcc
	s_cbranch_execz .LBB477_332
; %bb.326:
	s_add_u32 s14, s26, -1
	v_lshl_add_u64 v[32:33], v[32:33], 0, 4
	v_lshl_add_u64 v[34:35], v[34:35], 0, 4
	s_addc_u32 s15, s27, -1
	s_mov_b64 s[18:19], 0
	s_mov_b64 s[36:37], 0
                                        ; implicit-def: $sgpr28_sgpr29
	s_branch .LBB477_329
.LBB477_327:                            ;   in Loop: Header=BB477_329 Depth=1
	global_load_dword v31, v[34:35], off
	global_load_dword v36, v[32:33], off
	s_add_u32 s36, s36, 1
	s_addc_u32 s37, s37, 0
	s_andn2_b64 s[28:29], s[28:29], exec
	v_lshl_add_u64 v[32:33], v[32:33], 0, 4
	v_lshl_add_u64 v[34:35], v[34:35], 0, 4
	s_waitcnt vmcnt(0)
	v_cmp_ne_u32_e32 vcc, v31, v36
	s_and_b64 s[38:39], vcc, exec
	s_or_b64 s[28:29], s[28:29], s[38:39]
.LBB477_328:                            ;   in Loop: Header=BB477_329 Depth=1
	s_and_b64 s[38:39], exec, s[28:29]
	s_or_b64 s[18:19], s[38:39], s[18:19]
	v_mov_b64_e32 v[36:37], s[36:37]
	s_andn2_b64 exec, exec, s[18:19]
	s_cbranch_execz .LBB477_331
.LBB477_329:                            ; =>This Inner Loop Header: Depth=1
	s_or_b64 s[28:29], s[28:29], exec
	s_cmp_eq_u64 s[14:15], s[36:37]
	s_cbranch_scc0 .LBB477_327
; %bb.330:                              ;   in Loop: Header=BB477_329 Depth=1
                                        ; implicit-def: $vgpr32_vgpr33
                                        ; implicit-def: $vgpr34_vgpr35
	s_mov_b64 s[36:37], s[26:27]
	s_branch .LBB477_328
.LBB477_331:
	s_or_b64 exec, exec, s[18:19]
	v_cmp_gt_i64_e32 vcc, s[26:27], v[36:37]
	s_orn2_b64 s[14:15], vcc, exec
.LBB477_332:
	s_or_b64 exec, exec, s[6:7]
.LBB477_333:
	s_and_b64 s[14:15], s[14:15], exec
.LBB477_334:
	s_or_b64 exec, exec, s[12:13]
	v_perm_b32 v34, v30, v30, s33
	s_and_b64 s[18:19], s[14:15], exec
	s_or_b64 s[10:11], s[10:11], exec
                                        ; implicit-def: $vgpr30_vgpr31
.LBB477_335:
	s_or_b64 exec, exec, s[4:5]
.LBB477_336:
	s_and_saveexec_b64 s[4:5], s[10:11]
	s_cbranch_execz .LBB477_338
; %bb.337:
	s_waitcnt lgkmcnt(0)
	v_lshlrev_b16_e32 v31, 8, v47
	v_and_b32_e32 v32, 0xff, v48
	v_or_b32_sdwa v31, v46, v31 dst_sel:DWORD dst_unused:UNUSED_PAD src0_sel:BYTE_0 src1_sel:DWORD
	v_lshlrev_b32_e32 v32, 16, v32
	s_movk_i32 s6, 0xff
	v_or_b32_sdwa v31, v31, v32 dst_sel:DWORD dst_unused:UNUSED_PAD src0_sel:WORD_0 src1_sel:DWORD
	v_lshrrev_b32_e32 v32, 24, v34
	v_lshlrev_b16_e32 v32, 8, v32
	v_and_b32_sdwa v33, v34, s6 dst_sel:DWORD dst_unused:UNUSED_PAD src0_sel:WORD_1 src1_sel:DWORD
	v_or_b32_sdwa v32, v33, v32 dst_sel:WORD_1 dst_unused:UNUSED_PAD src0_sel:DWORD src1_sel:DWORD
	v_mov_b32_e32 v33, 8
	v_cndmask_b32_e64 v30, 0, 1, s[18:19]
	v_lshrrev_b32_sdwa v33, v33, v34 dst_sel:BYTE_1 dst_unused:UNUSED_PAD src0_sel:DWORD src1_sel:DWORD
	s_nop 0
	v_or_b32_e32 v30, v30, v33
	v_or_b32_sdwa v30, v30, v32 dst_sel:DWORD dst_unused:UNUSED_PAD src0_sel:WORD_0 src1_sel:DWORD
.LBB477_338:
	s_or_b64 exec, exec, s[4:5]
	s_andn2_b64 vcc, exec, s[8:9]
	s_cbranch_vccnz .LBB477_340
; %bb.339:
	s_waitcnt lgkmcnt(0)
	v_and_b32_e32 v32, 0xffff0000, v30
	v_cmp_gt_u32_e32 vcc, s3, v1
	s_mov_b32 s4, 0x40c0100
	s_nop 0
	v_cndmask_b32_e32 v1, v32, v30, vcc
	v_and_b32_e32 v1, 0xffff00ff, v1
	v_cmp_gt_u32_e32 vcc, s3, v41
	s_nop 1
	v_cndmask_b32_e32 v1, v1, v30, vcc
	v_lshrrev_b32_e32 v32, 24, v1
	v_perm_b32 v1, v32, v1, s4
	v_cmp_gt_u32_e32 vcc, s3, v38
	v_and_b32_e32 v32, 0xffffff00, v31
	s_nop 0
	v_cndmask_b32_e32 v1, v1, v30, vcc
	v_and_b32_e32 v1, 0xffffff, v1
	v_cmp_gt_u32_e32 vcc, s3, v42
	s_nop 1
	v_cndmask_b32_e32 v1, v1, v30, vcc
	v_cmp_gt_u32_e32 vcc, s3, v39
	s_nop 1
	v_cndmask_b32_e32 v32, v32, v31, vcc
	v_and_b32_e32 v32, 0xffff00ff, v32
	v_cndmask_b32_e32 v1, v1, v30, vcc
	v_cmp_gt_u32_e32 vcc, s3, v43
	s_nop 1
	v_cndmask_b32_e32 v32, v32, v31, vcc
	v_lshrrev_b32_e32 v33, 24, v32
	v_cndmask_b32_e32 v1, v1, v30, vcc
	v_perm_b32 v32, v33, v32, s4
	v_cmp_gt_u32_e32 vcc, s3, v40
	s_mov_b32 s3, 0x3020104
	s_nop 0
	v_cndmask_b32_e32 v1, v1, v30, vcc
	v_cndmask_b32_e32 v30, v32, v31, vcc
	v_mov_b32_e32 v31, 8
	v_lshrrev_b32_sdwa v31, v31, v30 dst_sel:BYTE_1 dst_unused:UNUSED_PAD src0_sel:DWORD src1_sel:DWORD
	s_nop 0
	v_or_b32_sdwa v31, v30, v31 dst_sel:DWORD dst_unused:UNUSED_PAD src0_sel:BYTE_0 src1_sel:DWORD
	v_and_b32_e32 v31, 0xffff, v31
	v_bfe_u32 v30, v30, 16, 8
	v_lshl_or_b32 v31, v30, 16, v31
	v_perm_b32 v30, v1, v1, s3
.LBB477_340:
	s_waitcnt lgkmcnt(0)
	v_and_b32_e32 v1, 0xff, v30
	v_bfe_u32 v43, v30, 8, 8
	v_bfe_u32 v45, v30, 16, 8
	v_alignbit_b32 v32, v31, v30, 24
	v_and_b32_e32 v47, 0xff, v32
	v_and_b32_e32 v48, 0xff, v31
	v_add3_u32 v33, v43, v1, v45
	v_bfe_u32 v49, v31, 8, 8
	v_bfe_u32 v32, v31, 16, 8
	v_add3_u32 v33, v33, v47, v48
	v_add3_u32 v52, v33, v49, v32
	v_mbcnt_lo_u32_b32 v32, -1, 0
	v_mbcnt_hi_u32_b32 v50, -1, v32
	v_and_b32_e32 v32, 15, v50
	v_cmp_eq_u32_e64 s[14:15], 0, v32
	v_cmp_lt_u32_e64 s[12:13], 1, v32
	v_cmp_lt_u32_e64 s[10:11], 3, v32
	;; [unrolled: 1-line block ×3, first 2 shown]
	v_and_b32_e32 v32, 16, v50
	v_cmp_eq_u32_e64 s[6:7], 0, v32
	v_or_b32_e32 v32, 63, v0
	v_cmp_lt_u32_e64 s[18:19], 31, v50
	v_lshrrev_b32_e32 v51, 6, v0
	v_cmp_eq_u32_e64 s[4:5], v32, v0
	s_and_b64 vcc, exec, s[16:17]
	s_barrier
	s_cbranch_vccz .LBB477_367
; %bb.341:
	v_mov_b32_dpp v32, v52 row_shr:1 row_mask:0xf bank_mask:0xf
	v_cndmask_b32_e64 v32, v32, 0, s[14:15]
	v_add_u32_e32 v32, v32, v52
	s_nop 1
	v_mov_b32_dpp v33, v32 row_shr:2 row_mask:0xf bank_mask:0xf
	v_cndmask_b32_e64 v33, 0, v33, s[12:13]
	v_add_u32_e32 v32, v32, v33
	s_nop 1
	;; [unrolled: 4-line block ×4, first 2 shown]
	v_mov_b32_dpp v33, v32 row_bcast:15 row_mask:0xf bank_mask:0xf
	v_cndmask_b32_e64 v33, v33, 0, s[6:7]
	v_add_u32_e32 v32, v32, v33
	s_nop 1
	v_mov_b32_dpp v33, v32 row_bcast:31 row_mask:0xf bank_mask:0xf
	v_cndmask_b32_e64 v33, 0, v33, s[18:19]
	v_add_u32_e32 v32, v32, v33
	s_and_saveexec_b64 s[16:17], s[4:5]
	s_cbranch_execz .LBB477_343
; %bb.342:
	v_lshlrev_b32_e32 v33, 2, v51
	ds_write_b32 v33, v32
.LBB477_343:
	s_or_b64 exec, exec, s[16:17]
	v_cmp_gt_u32_e32 vcc, 8, v0
	s_waitcnt lgkmcnt(0)
	s_barrier
	s_and_saveexec_b64 s[16:17], vcc
	s_cbranch_execz .LBB477_345
; %bb.344:
	v_lshlrev_b32_e32 v33, 2, v0
	ds_read_b32 v34, v33
	v_and_b32_e32 v35, 7, v50
	v_cmp_ne_u32_e32 vcc, 0, v35
	s_waitcnt lgkmcnt(0)
	v_mov_b32_dpp v36, v34 row_shr:1 row_mask:0xf bank_mask:0xf
	v_cndmask_b32_e32 v36, 0, v36, vcc
	v_add_u32_e32 v34, v36, v34
	v_cmp_lt_u32_e32 vcc, 1, v35
	s_nop 0
	v_mov_b32_dpp v36, v34 row_shr:2 row_mask:0xf bank_mask:0xf
	v_cndmask_b32_e32 v36, 0, v36, vcc
	v_add_u32_e32 v34, v34, v36
	v_cmp_lt_u32_e32 vcc, 3, v35
	s_nop 0
	v_mov_b32_dpp v36, v34 row_shr:4 row_mask:0xf bank_mask:0xf
	v_cndmask_b32_e32 v35, 0, v36, vcc
	v_add_u32_e32 v34, v34, v35
	ds_write_b32 v33, v34
.LBB477_345:
	s_or_b64 exec, exec, s[16:17]
	v_cmp_gt_u32_e32 vcc, 64, v0
	v_cmp_lt_u32_e64 s[16:17], 63, v0
	s_waitcnt lgkmcnt(0)
	s_barrier
	s_waitcnt lgkmcnt(0)
                                        ; implicit-def: $vgpr42
	s_and_saveexec_b64 s[26:27], s[16:17]
	s_cbranch_execz .LBB477_347
; %bb.346:
	v_lshl_add_u32 v33, v51, 2, -4
	ds_read_b32 v42, v33
	s_waitcnt lgkmcnt(0)
	v_add_u32_e32 v32, v42, v32
.LBB477_347:
	s_or_b64 exec, exec, s[26:27]
	v_add_u32_e32 v33, -1, v50
	v_and_b32_e32 v34, 64, v50
	v_cmp_lt_i32_e64 s[16:17], v33, v34
	s_nop 1
	v_cndmask_b32_e64 v33, v33, v50, s[16:17]
	v_lshlrev_b32_e32 v33, 2, v33
	ds_bpermute_b32 v44, v33, v32
	v_cmp_eq_u32_e64 s[16:17], 0, v50
	s_and_saveexec_b64 s[26:27], vcc
	s_cbranch_execz .LBB477_366
; %bb.348:
	v_mov_b32_e32 v39, 0
	ds_read_b32 v32, v39 offset:28
	s_and_saveexec_b64 s[28:29], s[16:17]
	s_cbranch_execz .LBB477_350
; %bb.349:
	s_add_i32 s36, s2, 64
	s_mov_b32 s37, 0
	s_lshl_b64 s[36:37], s[36:37], 3
	s_add_u32 s36, s30, s36
	v_mov_b32_e32 v33, 1
	s_addc_u32 s37, s31, s37
	s_waitcnt lgkmcnt(0)
	global_store_dwordx2 v39, v[32:33], s[36:37] sc1
.LBB477_350:
	s_or_b64 exec, exec, s[28:29]
	v_xad_u32 v34, v50, -1, s2
	v_add_u32_e32 v38, 64, v34
	v_lshl_add_u64 v[40:41], v[38:39], 3, s[30:31]
	global_load_dwordx2 v[36:37], v[40:41], off sc1
	s_waitcnt vmcnt(0)
	v_cmp_eq_u16_sdwa s[36:37], v37, v39 src0_sel:BYTE_0 src1_sel:DWORD
	s_and_saveexec_b64 s[28:29], s[36:37]
	s_cbranch_execz .LBB477_354
; %bb.351:
	s_mov_b64 s[36:37], 0
	v_mov_b32_e32 v33, 0
.LBB477_352:                            ; =>This Inner Loop Header: Depth=1
	global_load_dwordx2 v[36:37], v[40:41], off sc1
	s_waitcnt vmcnt(0)
	v_cmp_ne_u16_sdwa s[38:39], v37, v33 src0_sel:BYTE_0 src1_sel:DWORD
	s_or_b64 s[36:37], s[38:39], s[36:37]
	s_andn2_b64 exec, exec, s[36:37]
	s_cbranch_execnz .LBB477_352
; %bb.353:
	s_or_b64 exec, exec, s[36:37]
.LBB477_354:
	s_or_b64 exec, exec, s[28:29]
	v_and_b32_e32 v46, 63, v50
	v_mov_b32_e32 v33, 2
	v_cmp_ne_u32_e32 vcc, 63, v46
	v_cmp_eq_u16_sdwa s[28:29], v37, v33 src0_sel:BYTE_0 src1_sel:DWORD
	v_lshlrev_b64 v[38:39], v50, -1
	v_addc_co_u32_e32 v41, vcc, 0, v50, vcc
	v_and_b32_e32 v35, s29, v39
	v_lshlrev_b32_e32 v53, 2, v41
	v_or_b32_e32 v35, 0x80000000, v35
	ds_bpermute_b32 v41, v53, v36
	v_and_b32_e32 v40, s28, v38
	v_ffbl_b32_e32 v35, v35
	v_add_u32_e32 v35, 32, v35
	v_ffbl_b32_e32 v40, v40
	v_min_u32_e32 v35, v40, v35
	v_cmp_lt_u32_e32 vcc, v46, v35
	v_add_u32_e32 v55, 2, v46
	v_add_u32_e32 v57, 4, v46
	s_waitcnt lgkmcnt(0)
	v_cndmask_b32_e32 v40, 0, v41, vcc
	v_cmp_gt_u32_e32 vcc, 62, v46
	v_add_u32_e32 v36, v40, v36
	v_add_u32_e32 v59, 8, v46
	v_cndmask_b32_e64 v40, 0, 1, vcc
	v_lshlrev_b32_e32 v40, 1, v40
	v_add_lshl_u32 v54, v40, v50, 2
	ds_bpermute_b32 v40, v54, v36
	v_cmp_le_u32_e32 vcc, v55, v35
	v_add_u32_e32 v62, 16, v46
	v_add_u32_e32 v64, 32, v46
	s_waitcnt lgkmcnt(0)
	v_cndmask_b32_e32 v40, 0, v40, vcc
	v_cmp_gt_u32_e32 vcc, 60, v46
	v_add_u32_e32 v36, v36, v40
	s_nop 0
	v_cndmask_b32_e64 v40, 0, 1, vcc
	v_lshlrev_b32_e32 v40, 2, v40
	v_add_lshl_u32 v56, v40, v50, 2
	ds_bpermute_b32 v40, v56, v36
	v_cmp_le_u32_e32 vcc, v57, v35
	s_waitcnt lgkmcnt(0)
	s_nop 0
	v_cndmask_b32_e32 v40, 0, v40, vcc
	v_cmp_gt_u32_e32 vcc, 56, v46
	v_add_u32_e32 v36, v36, v40
	s_nop 0
	v_cndmask_b32_e64 v40, 0, 1, vcc
	v_lshlrev_b32_e32 v40, 3, v40
	v_add_lshl_u32 v58, v40, v50, 2
	ds_bpermute_b32 v40, v58, v36
	v_cmp_le_u32_e32 vcc, v59, v35
	s_waitcnt lgkmcnt(0)
	s_nop 0
	v_cndmask_b32_e32 v40, 0, v40, vcc
	v_cmp_gt_u32_e32 vcc, 48, v46
	v_add_u32_e32 v36, v36, v40
	s_nop 0
	v_cndmask_b32_e64 v40, 0, 1, vcc
	v_lshlrev_b32_e32 v40, 4, v40
	v_add_lshl_u32 v61, v40, v50, 2
	ds_bpermute_b32 v40, v61, v36
	v_cmp_le_u32_e32 vcc, v62, v35
	s_waitcnt lgkmcnt(0)
	s_nop 0
	v_cndmask_b32_e32 v40, 0, v40, vcc
	v_cmp_gt_u32_e32 vcc, 32, v46
	v_add_u32_e32 v36, v36, v40
	s_nop 0
	v_cndmask_b32_e64 v40, 0, 1, vcc
	v_lshlrev_b32_e32 v40, 5, v40
	v_add_lshl_u32 v63, v40, v50, 2
	ds_bpermute_b32 v40, v63, v36
	v_cmp_le_u32_e32 vcc, v64, v35
	s_waitcnt lgkmcnt(0)
	s_nop 0
	v_cndmask_b32_e32 v35, 0, v40, vcc
	v_add_u32_e32 v36, v36, v35
	v_mov_b32_e32 v35, 0
	s_branch .LBB477_356
.LBB477_355:                            ;   in Loop: Header=BB477_356 Depth=1
	s_or_b64 exec, exec, s[28:29]
	v_cmp_eq_u16_sdwa s[28:29], v37, v33 src0_sel:BYTE_0 src1_sel:DWORD
	ds_bpermute_b32 v65, v53, v36
	v_subrev_u32_e32 v34, 64, v34
	v_and_b32_e32 v40, s29, v39
	v_or_b32_e32 v40, 0x80000000, v40
	v_and_b32_e32 v41, s28, v38
	v_ffbl_b32_e32 v40, v40
	v_add_u32_e32 v40, 32, v40
	v_ffbl_b32_e32 v41, v41
	v_min_u32_e32 v40, v41, v40
	v_cmp_lt_u32_e32 vcc, v46, v40
	s_waitcnt lgkmcnt(0)
	s_nop 0
	v_cndmask_b32_e32 v41, 0, v65, vcc
	v_add_u32_e32 v36, v41, v36
	ds_bpermute_b32 v41, v54, v36
	v_cmp_le_u32_e32 vcc, v55, v40
	s_waitcnt lgkmcnt(0)
	s_nop 0
	v_cndmask_b32_e32 v41, 0, v41, vcc
	v_add_u32_e32 v36, v36, v41
	ds_bpermute_b32 v41, v56, v36
	v_cmp_le_u32_e32 vcc, v57, v40
	;; [unrolled: 6-line block ×5, first 2 shown]
	s_waitcnt lgkmcnt(0)
	s_nop 0
	v_cndmask_b32_e32 v40, 0, v41, vcc
	v_add3_u32 v36, v40, v60, v36
.LBB477_356:                            ; =>This Loop Header: Depth=1
                                        ;     Child Loop BB477_359 Depth 2
	v_cmp_ne_u16_sdwa s[28:29], v37, v33 src0_sel:BYTE_0 src1_sel:DWORD
	v_mov_b32_e32 v60, v36
	s_nop 0
	v_cndmask_b32_e64 v37, 0, 1, s[28:29]
	;;#ASMSTART
	;;#ASMEND
	s_nop 0
	v_cmp_ne_u32_e32 vcc, 0, v37
	s_cmp_lg_u64 vcc, exec
	s_cbranch_scc1 .LBB477_361
; %bb.357:                              ;   in Loop: Header=BB477_356 Depth=1
	v_lshl_add_u64 v[40:41], v[34:35], 3, s[30:31]
	global_load_dwordx2 v[36:37], v[40:41], off sc1
	s_waitcnt vmcnt(0)
	v_cmp_eq_u16_sdwa s[36:37], v37, v35 src0_sel:BYTE_0 src1_sel:DWORD
	s_and_saveexec_b64 s[28:29], s[36:37]
	s_cbranch_execz .LBB477_355
; %bb.358:                              ;   in Loop: Header=BB477_356 Depth=1
	s_mov_b64 s[36:37], 0
.LBB477_359:                            ;   Parent Loop BB477_356 Depth=1
                                        ; =>  This Inner Loop Header: Depth=2
	global_load_dwordx2 v[36:37], v[40:41], off sc1
	s_waitcnt vmcnt(0)
	v_cmp_ne_u16_sdwa s[38:39], v37, v35 src0_sel:BYTE_0 src1_sel:DWORD
	s_or_b64 s[36:37], s[38:39], s[36:37]
	s_andn2_b64 exec, exec, s[36:37]
	s_cbranch_execnz .LBB477_359
; %bb.360:                              ;   in Loop: Header=BB477_356 Depth=1
	s_or_b64 exec, exec, s[36:37]
	s_branch .LBB477_355
.LBB477_361:                            ;   in Loop: Header=BB477_356 Depth=1
                                        ; implicit-def: $vgpr36
                                        ; implicit-def: $vgpr37
	s_cbranch_execz .LBB477_356
; %bb.362:
	s_and_saveexec_b64 s[28:29], s[16:17]
	s_cbranch_execz .LBB477_364
; %bb.363:
	s_add_i32 s2, s2, 64
	s_mov_b32 s3, 0
	s_lshl_b64 s[2:3], s[2:3], 3
	s_add_u32 s2, s30, s2
	v_add_u32_e32 v34, v60, v32
	v_mov_b32_e32 v35, 2
	s_addc_u32 s3, s31, s3
	v_mov_b32_e32 v33, 0
	global_store_dwordx2 v33, v[34:35], s[2:3] sc1
	s_movk_i32 s2, 0x7000
	v_add_u32_e64 v33, s2, 0
	ds_write2_b32 v33, v32, v60 offset1:2
.LBB477_364:
	s_or_b64 exec, exec, s[28:29]
	v_cmp_eq_u32_e32 vcc, 0, v0
	s_and_b64 exec, exec, vcc
	s_cbranch_execz .LBB477_366
; %bb.365:
	v_mov_b32_e32 v32, 0
	ds_write_b32 v32, v60 offset:28
.LBB477_366:
	s_or_b64 exec, exec, s[26:27]
	v_mov_b32_e32 v32, 0
	s_waitcnt lgkmcnt(0)
	s_barrier
	ds_read_b32 v32, v32 offset:28
	v_cndmask_b32_e64 v33, v44, v42, s[16:17]
	v_cmp_ne_u32_e32 vcc, 0, v0
	s_movk_i32 s2, 0x7000
	s_waitcnt lgkmcnt(0)
	v_cndmask_b32_e32 v33, 0, v33, vcc
	v_add_u32_e32 v46, v32, v33
	v_add_u32_e64 v32, s2, 0
	v_add_u32_e32 v44, v46, v1
	s_barrier
	ds_read2_b32 v[32:33], v32 offset1:2
	v_add_u32_e32 v42, v44, v43
	v_add_u32_e32 v40, v42, v45
	;; [unrolled: 1-line block ×5, first 2 shown]
	s_waitcnt lgkmcnt(0)
	v_readfirstlane_b32 s26, v32
	v_readfirstlane_b32 s16, v33
	v_lshrrev_b64 v[32:33], 24, v[30:31]
	s_branch .LBB477_377
.LBB477_367:
                                        ; implicit-def: $vgpr34
                                        ; implicit-def: $vgpr36
                                        ; implicit-def: $vgpr38
                                        ; implicit-def: $vgpr40
                                        ; implicit-def: $vgpr42
                                        ; implicit-def: $vgpr44
                                        ; implicit-def: $vgpr46
                                        ; implicit-def: $sgpr16
                                        ; implicit-def: $sgpr26
	v_lshrrev_b64 v[32:33], 24, v[30:31]
	s_cbranch_execz .LBB477_377
; %bb.368:
	s_nop 0
	v_mov_b32_dpp v33, v52 row_shr:1 row_mask:0xf bank_mask:0xf
	v_cndmask_b32_e64 v33, v33, 0, s[14:15]
	v_add_u32_e32 v33, v33, v52
	s_nop 1
	v_mov_b32_dpp v34, v33 row_shr:2 row_mask:0xf bank_mask:0xf
	v_cndmask_b32_e64 v34, 0, v34, s[12:13]
	v_add_u32_e32 v33, v33, v34
	;; [unrolled: 4-line block ×4, first 2 shown]
	s_nop 1
	v_mov_b32_dpp v34, v33 row_bcast:15 row_mask:0xf bank_mask:0xf
	v_cndmask_b32_e64 v34, v34, 0, s[6:7]
	v_add_u32_e32 v33, v33, v34
	s_nop 1
	v_mov_b32_dpp v34, v33 row_bcast:31 row_mask:0xf bank_mask:0xf
	v_cndmask_b32_e64 v34, 0, v34, s[18:19]
	v_add_u32_e32 v33, v33, v34
	s_and_saveexec_b64 s[2:3], s[4:5]
	s_cbranch_execz .LBB477_370
; %bb.369:
	v_lshlrev_b32_e32 v34, 2, v51
	ds_write_b32 v34, v33
.LBB477_370:
	s_or_b64 exec, exec, s[2:3]
	v_cmp_gt_u32_e32 vcc, 8, v0
	s_waitcnt lgkmcnt(0)
	s_barrier
	s_and_saveexec_b64 s[2:3], vcc
	s_cbranch_execz .LBB477_372
; %bb.371:
	v_lshlrev_b32_e32 v34, 2, v0
	ds_read_b32 v35, v34
	v_and_b32_e32 v36, 7, v50
	v_cmp_ne_u32_e32 vcc, 0, v36
	s_waitcnt lgkmcnt(0)
	v_mov_b32_dpp v37, v35 row_shr:1 row_mask:0xf bank_mask:0xf
	v_cndmask_b32_e32 v37, 0, v37, vcc
	v_add_u32_e32 v35, v37, v35
	v_cmp_lt_u32_e32 vcc, 1, v36
	s_nop 0
	v_mov_b32_dpp v37, v35 row_shr:2 row_mask:0xf bank_mask:0xf
	v_cndmask_b32_e32 v37, 0, v37, vcc
	v_add_u32_e32 v35, v35, v37
	v_cmp_lt_u32_e32 vcc, 3, v36
	s_nop 0
	v_mov_b32_dpp v37, v35 row_shr:4 row_mask:0xf bank_mask:0xf
	v_cndmask_b32_e32 v36, 0, v37, vcc
	v_add_u32_e32 v35, v35, v36
	ds_write_b32 v34, v35
.LBB477_372:
	s_or_b64 exec, exec, s[2:3]
	v_cmp_lt_u32_e32 vcc, 63, v0
	v_mov_b32_e32 v35, 0
	v_mov_b32_e32 v34, 0
	s_waitcnt lgkmcnt(0)
	s_barrier
	s_and_saveexec_b64 s[2:3], vcc
	s_cbranch_execz .LBB477_374
; %bb.373:
	v_lshl_add_u32 v34, v51, 2, -4
	ds_read_b32 v34, v34
.LBB477_374:
	s_or_b64 exec, exec, s[2:3]
	v_add_u32_e32 v36, -1, v50
	v_and_b32_e32 v37, 64, v50
	v_cmp_lt_i32_e32 vcc, v36, v37
	s_waitcnt lgkmcnt(0)
	v_add_u32_e32 v33, v34, v33
	ds_read_b32 v35, v35 offset:28
	v_cndmask_b32_e32 v36, v36, v50, vcc
	v_lshlrev_b32_e32 v36, 2, v36
	ds_bpermute_b32 v33, v36, v33
	s_mov_b32 s16, 0
	v_cmp_eq_u32_e32 vcc, 0, v0
	s_waitcnt lgkmcnt(1)
	v_readfirstlane_b32 s26, v35
	s_and_saveexec_b64 s[2:3], vcc
	s_cbranch_execz .LBB477_376
; %bb.375:
	v_mov_b32_e32 v35, 0
	v_mov_b32_e32 v36, s26
	;; [unrolled: 1-line block ×3, first 2 shown]
	global_store_dwordx2 v35, v[36:37], s[30:31] offset:512 sc1
.LBB477_376:
	s_or_b64 exec, exec, s[2:3]
	v_cmp_eq_u32_e64 s[2:3], 0, v50
	s_waitcnt lgkmcnt(0)
	s_barrier
	v_cndmask_b32_e64 v33, v33, v34, s[2:3]
	v_cndmask_b32_e64 v46, v33, 0, vcc
	v_add_u32_e32 v44, v46, v1
	v_add_u32_e32 v42, v44, v43
	;; [unrolled: 1-line block ×6, first 2 shown]
.LBB477_377:
	s_load_dwordx4 s[4:7], s[0:1], 0x28
	s_cmpk_lt_u32 s26, 0x201
	s_cselect_b64 s[2:3], -1, 0
	v_lshrrev_b32_e32 v33, 8, v30
	v_lshrrev_b32_e32 v1, 8, v31
	s_mov_b64 s[0:1], -1
	s_and_b64 vcc, exec, s[2:3]
	s_cbranch_vccz .LBB477_400
; %bb.378:
	s_add_i32 s8, s16, s26
	v_cmp_gt_u32_e32 vcc, s8, v46
	s_or_b64 s[10:11], s[34:35], vcc
	s_and_saveexec_b64 s[0:1], s[10:11]
	s_cbranch_execz .LBB477_381
; %bb.379:
	v_and_b32_e32 v35, 1, v30
	v_cmp_eq_u32_e32 vcc, 1, v35
	s_and_b64 exec, exec, vcc
	s_cbranch_execz .LBB477_381
; %bb.380:
	s_lshl_b64 s[10:11], s[22:23], 3
	s_waitcnt lgkmcnt(0)
	s_add_u32 s10, s4, s10
	s_addc_u32 s11, s5, s11
	v_mov_b32_e32 v47, 0
	v_lshl_add_u64 v[48:49], v[46:47], 3, s[10:11]
	global_store_dwordx2 v[48:49], v[22:23], off
.LBB477_381:
	s_or_b64 exec, exec, s[0:1]
	v_cmp_gt_u32_e32 vcc, s8, v44
	s_or_b64 s[10:11], s[34:35], vcc
	s_and_saveexec_b64 s[0:1], s[10:11]
	s_cbranch_execz .LBB477_384
; %bb.382:
	v_and_b32_e32 v35, 1, v33
	v_cmp_eq_u32_e32 vcc, 1, v35
	s_and_b64 exec, exec, vcc
	s_cbranch_execz .LBB477_384
; %bb.383:
	s_lshl_b64 s[10:11], s[22:23], 3
	s_waitcnt lgkmcnt(0)
	s_add_u32 s10, s4, s10
	s_addc_u32 s11, s5, s11
	v_mov_b32_e32 v45, 0
	v_lshl_add_u64 v[48:49], v[44:45], 3, s[10:11]
	global_store_dwordx2 v[48:49], v[24:25], off
.LBB477_384:
	s_or_b64 exec, exec, s[0:1]
	v_cmp_gt_u32_e32 vcc, s8, v42
	s_or_b64 s[10:11], s[34:35], vcc
	s_and_saveexec_b64 s[0:1], s[10:11]
	s_cbranch_execz .LBB477_387
; %bb.385:
	v_mov_b32_e32 v35, 1
	v_and_b32_sdwa v35, v35, v30 dst_sel:DWORD dst_unused:UNUSED_PAD src0_sel:DWORD src1_sel:WORD_1
	v_cmp_eq_u32_e32 vcc, 1, v35
	s_and_b64 exec, exec, vcc
	s_cbranch_execz .LBB477_387
; %bb.386:
	s_lshl_b64 s[10:11], s[22:23], 3
	s_waitcnt lgkmcnt(0)
	s_add_u32 s10, s4, s10
	s_addc_u32 s11, s5, s11
	v_mov_b32_e32 v43, 0
	v_lshl_add_u64 v[48:49], v[42:43], 3, s[10:11]
	global_store_dwordx2 v[48:49], v[18:19], off
.LBB477_387:
	s_or_b64 exec, exec, s[0:1]
	v_cmp_gt_u32_e32 vcc, s8, v40
	s_or_b64 s[10:11], s[34:35], vcc
	s_and_saveexec_b64 s[0:1], s[10:11]
	s_cbranch_execz .LBB477_390
; %bb.388:
	v_and_b32_e32 v35, 1, v32
	v_cmp_eq_u32_e32 vcc, 1, v35
	s_and_b64 exec, exec, vcc
	s_cbranch_execz .LBB477_390
; %bb.389:
	s_lshl_b64 s[10:11], s[22:23], 3
	s_waitcnt lgkmcnt(0)
	s_add_u32 s10, s4, s10
	s_addc_u32 s11, s5, s11
	v_mov_b32_e32 v41, 0
	v_lshl_add_u64 v[48:49], v[40:41], 3, s[10:11]
	global_store_dwordx2 v[48:49], v[20:21], off
.LBB477_390:
	s_or_b64 exec, exec, s[0:1]
	v_cmp_gt_u32_e32 vcc, s8, v38
	s_or_b64 s[10:11], s[34:35], vcc
	s_and_saveexec_b64 s[0:1], s[10:11]
	s_cbranch_execz .LBB477_393
; %bb.391:
	v_and_b32_e32 v35, 1, v31
	v_cmp_eq_u32_e32 vcc, 1, v35
	s_and_b64 exec, exec, vcc
	s_cbranch_execz .LBB477_393
; %bb.392:
	s_lshl_b64 s[10:11], s[22:23], 3
	s_waitcnt lgkmcnt(0)
	s_add_u32 s10, s4, s10
	s_addc_u32 s11, s5, s11
	v_mov_b32_e32 v39, 0
	v_lshl_add_u64 v[48:49], v[38:39], 3, s[10:11]
	global_store_dwordx2 v[48:49], v[14:15], off
.LBB477_393:
	s_or_b64 exec, exec, s[0:1]
	v_cmp_gt_u32_e32 vcc, s8, v36
	s_or_b64 s[10:11], s[34:35], vcc
	s_and_saveexec_b64 s[0:1], s[10:11]
	s_cbranch_execz .LBB477_396
; %bb.394:
	v_and_b32_e32 v35, 1, v1
	v_cmp_eq_u32_e32 vcc, 1, v35
	s_and_b64 exec, exec, vcc
	s_cbranch_execz .LBB477_396
; %bb.395:
	s_lshl_b64 s[10:11], s[22:23], 3
	s_waitcnt lgkmcnt(0)
	s_add_u32 s10, s4, s10
	s_addc_u32 s11, s5, s11
	v_mov_b32_e32 v37, 0
	v_lshl_add_u64 v[48:49], v[36:37], 3, s[10:11]
	global_store_dwordx2 v[48:49], v[16:17], off
.LBB477_396:
	s_or_b64 exec, exec, s[0:1]
	v_cmp_gt_u32_e32 vcc, s8, v34
	s_or_b64 s[8:9], s[34:35], vcc
	s_and_saveexec_b64 s[0:1], s[8:9]
	s_cbranch_execz .LBB477_399
; %bb.397:
	v_mov_b32_e32 v35, 1
	v_and_b32_sdwa v35, v35, v31 dst_sel:DWORD dst_unused:UNUSED_PAD src0_sel:DWORD src1_sel:WORD_1
	v_cmp_eq_u32_e32 vcc, 1, v35
	s_and_b64 exec, exec, vcc
	s_cbranch_execz .LBB477_399
; %bb.398:
	s_lshl_b64 s[8:9], s[22:23], 3
	s_waitcnt lgkmcnt(0)
	s_add_u32 s8, s4, s8
	s_addc_u32 s9, s5, s9
	v_mov_b32_e32 v35, 0
	v_lshl_add_u64 v[48:49], v[34:35], 3, s[8:9]
	global_store_dwordx2 v[48:49], v[28:29], off
.LBB477_399:
	s_or_b64 exec, exec, s[0:1]
	s_mov_b64 s[0:1], 0
.LBB477_400:
	v_and_b32_e32 v48, 1, v30
	s_and_b64 vcc, exec, s[0:1]
	v_cmp_eq_u32_e64 s[0:1], 1, v48
	s_cbranch_vccz .LBB477_419
; %bb.401:
	s_and_saveexec_b64 s[8:9], s[0:1]
	s_cbranch_execz .LBB477_403
; %bb.402:
	v_subrev_u32_e32 v35, s16, v46
	v_lshlrev_b32_e32 v35, 3, v35
	ds_write_b64 v35, v[22:23]
.LBB477_403:
	s_or_b64 exec, exec, s[8:9]
	v_and_b32_e32 v22, 1, v33
	v_cmp_eq_u32_e32 vcc, 1, v22
	s_and_saveexec_b64 s[0:1], vcc
	s_cbranch_execz .LBB477_405
; %bb.404:
	v_subrev_u32_e32 v22, s16, v44
	v_lshlrev_b32_e32 v22, 3, v22
	ds_write_b64 v22, v[24:25]
.LBB477_405:
	s_or_b64 exec, exec, s[0:1]
	v_mov_b32_e32 v22, 1
	v_and_b32_sdwa v22, v22, v30 dst_sel:DWORD dst_unused:UNUSED_PAD src0_sel:DWORD src1_sel:WORD_1
	v_cmp_eq_u32_e32 vcc, 1, v22
	s_and_saveexec_b64 s[0:1], vcc
	s_cbranch_execz .LBB477_407
; %bb.406:
	v_subrev_u32_e32 v22, s16, v42
	v_lshlrev_b32_e32 v22, 3, v22
	ds_write_b64 v22, v[18:19]
.LBB477_407:
	s_or_b64 exec, exec, s[0:1]
	v_and_b32_e32 v18, 1, v32
	v_cmp_eq_u32_e32 vcc, 1, v18
	s_and_saveexec_b64 s[0:1], vcc
	s_cbranch_execz .LBB477_409
; %bb.408:
	v_subrev_u32_e32 v18, s16, v40
	v_lshlrev_b32_e32 v18, 3, v18
	ds_write_b64 v18, v[20:21]
.LBB477_409:
	s_or_b64 exec, exec, s[0:1]
	v_and_b32_e32 v18, 1, v31
	;; [unrolled: 10-line block ×3, first 2 shown]
	v_cmp_eq_u32_e32 vcc, 1, v14
	s_and_saveexec_b64 s[0:1], vcc
	s_cbranch_execz .LBB477_413
; %bb.412:
	v_subrev_u32_e32 v14, s16, v36
	v_lshlrev_b32_e32 v14, 3, v14
	ds_write_b64 v14, v[16:17]
.LBB477_413:
	s_or_b64 exec, exec, s[0:1]
	v_mov_b32_e32 v14, 1
	v_and_b32_sdwa v14, v14, v31 dst_sel:DWORD dst_unused:UNUSED_PAD src0_sel:DWORD src1_sel:WORD_1
	v_cmp_eq_u32_e32 vcc, 1, v14
	s_and_saveexec_b64 s[0:1], vcc
	s_cbranch_execz .LBB477_415
; %bb.414:
	v_subrev_u32_e32 v14, s16, v34
	v_lshlrev_b32_e32 v14, 3, v14
	ds_write_b64 v14, v[28:29]
.LBB477_415:
	s_or_b64 exec, exec, s[0:1]
	v_cmp_gt_u32_e32 vcc, s26, v0
	s_waitcnt lgkmcnt(0)
	s_barrier
	s_and_saveexec_b64 s[0:1], vcc
	s_cbranch_execz .LBB477_418
; %bb.416:
	s_mov_b32 s17, 0
	s_lshl_b64 s[8:9], s[22:23], 3
	s_lshl_b64 s[10:11], s[16:17], 3
	s_add_u32 s8, s8, s10
	s_addc_u32 s9, s9, s11
	s_add_u32 s4, s4, s8
	v_lshlrev_b32_e32 v14, 3, v0
	v_mov_b32_e32 v15, 0
	s_addc_u32 s5, s5, s9
	v_lshl_add_u64 v[16:17], s[4:5], 0, v[14:15]
	s_mov_b64 s[4:5], 0
	s_mov_b64 s[8:9], 0x1000
	v_mov_b32_e32 v15, v0
.LBB477_417:                            ; =>This Inner Loop Header: Depth=1
	ds_read_b64 v[18:19], v14
	v_add_u32_e32 v15, 0x200, v15
	v_cmp_le_u32_e32 vcc, s26, v15
	v_add_u32_e32 v14, 0x1000, v14
	s_or_b64 s[4:5], vcc, s[4:5]
	s_waitcnt lgkmcnt(0)
	global_store_dwordx2 v[16:17], v[18:19], off
	v_lshl_add_u64 v[16:17], v[16:17], 0, s[8:9]
	s_andn2_b64 exec, exec, s[4:5]
	s_cbranch_execnz .LBB477_417
.LBB477_418:
	s_or_b64 exec, exec, s[0:1]
.LBB477_419:
	s_mov_b64 s[0:1], -1
	s_and_b64 vcc, exec, s[2:3]
	s_waitcnt lgkmcnt(0)
	s_barrier
	s_cbranch_vccnz .LBB477_423
; %bb.420:
	s_and_b64 vcc, exec, s[0:1]
	s_cbranch_vccnz .LBB477_445
.LBB477_421:
	v_cmp_eq_u32_e32 vcc, 0, v0
	s_and_b64 s[0:1], vcc, s[24:25]
	s_and_saveexec_b64 s[2:3], s[0:1]
	s_cbranch_execnz .LBB477_463
.LBB477_422:
	s_endpgm
.LBB477_423:
	s_add_i32 s2, s16, s26
	v_cmp_gt_u32_e32 vcc, s2, v46
	s_or_b64 s[4:5], s[34:35], vcc
	s_and_saveexec_b64 s[0:1], s[4:5]
	s_cbranch_execz .LBB477_426
; %bb.424:
	v_cmp_eq_u32_e32 vcc, 1, v48
	s_and_b64 exec, exec, vcc
	s_cbranch_execz .LBB477_426
; %bb.425:
	s_lshl_b64 s[4:5], s[22:23], 3
	s_add_u32 s4, s6, s4
	s_addc_u32 s5, s7, s5
	v_mov_b32_e32 v47, 0
	v_lshl_add_u64 v[14:15], v[46:47], 3, s[4:5]
	global_store_dwordx2 v[14:15], v[10:11], off
.LBB477_426:
	s_or_b64 exec, exec, s[0:1]
	v_cmp_gt_u32_e32 vcc, s2, v44
	s_or_b64 s[4:5], s[34:35], vcc
	s_and_saveexec_b64 s[0:1], s[4:5]
	s_cbranch_execz .LBB477_429
; %bb.427:
	v_and_b32_e32 v14, 1, v33
	v_cmp_eq_u32_e32 vcc, 1, v14
	s_and_b64 exec, exec, vcc
	s_cbranch_execz .LBB477_429
; %bb.428:
	s_lshl_b64 s[4:5], s[22:23], 3
	s_add_u32 s4, s6, s4
	s_addc_u32 s5, s7, s5
	v_mov_b32_e32 v45, 0
	v_lshl_add_u64 v[14:15], v[44:45], 3, s[4:5]
	global_store_dwordx2 v[14:15], v[12:13], off
.LBB477_429:
	s_or_b64 exec, exec, s[0:1]
	v_cmp_gt_u32_e32 vcc, s2, v42
	s_or_b64 s[4:5], s[34:35], vcc
	s_and_saveexec_b64 s[0:1], s[4:5]
	s_cbranch_execz .LBB477_432
; %bb.430:
	v_mov_b32_e32 v14, 1
	v_and_b32_sdwa v14, v14, v30 dst_sel:DWORD dst_unused:UNUSED_PAD src0_sel:DWORD src1_sel:WORD_1
	v_cmp_eq_u32_e32 vcc, 1, v14
	s_and_b64 exec, exec, vcc
	s_cbranch_execz .LBB477_432
; %bb.431:
	s_lshl_b64 s[4:5], s[22:23], 3
	s_add_u32 s4, s6, s4
	s_addc_u32 s5, s7, s5
	v_mov_b32_e32 v43, 0
	v_lshl_add_u64 v[14:15], v[42:43], 3, s[4:5]
	global_store_dwordx2 v[14:15], v[6:7], off
.LBB477_432:
	s_or_b64 exec, exec, s[0:1]
	v_cmp_gt_u32_e32 vcc, s2, v40
	s_or_b64 s[4:5], s[34:35], vcc
	s_and_saveexec_b64 s[0:1], s[4:5]
	s_cbranch_execz .LBB477_435
; %bb.433:
	v_and_b32_e32 v14, 1, v32
	v_cmp_eq_u32_e32 vcc, 1, v14
	s_and_b64 exec, exec, vcc
	s_cbranch_execz .LBB477_435
; %bb.434:
	s_lshl_b64 s[4:5], s[22:23], 3
	s_add_u32 s4, s6, s4
	s_addc_u32 s5, s7, s5
	v_mov_b32_e32 v41, 0
	v_lshl_add_u64 v[14:15], v[40:41], 3, s[4:5]
	global_store_dwordx2 v[14:15], v[8:9], off
.LBB477_435:
	s_or_b64 exec, exec, s[0:1]
	v_cmp_gt_u32_e32 vcc, s2, v38
	s_or_b64 s[4:5], s[34:35], vcc
	s_and_saveexec_b64 s[0:1], s[4:5]
	s_cbranch_execz .LBB477_438
; %bb.436:
	v_and_b32_e32 v14, 1, v31
	v_cmp_eq_u32_e32 vcc, 1, v14
	s_and_b64 exec, exec, vcc
	s_cbranch_execz .LBB477_438
; %bb.437:
	s_lshl_b64 s[4:5], s[22:23], 3
	s_add_u32 s4, s6, s4
	s_addc_u32 s5, s7, s5
	v_mov_b32_e32 v39, 0
	v_lshl_add_u64 v[14:15], v[38:39], 3, s[4:5]
	global_store_dwordx2 v[14:15], v[2:3], off
.LBB477_438:
	;; [unrolled: 18-line block ×3, first 2 shown]
	s_or_b64 exec, exec, s[0:1]
	v_cmp_gt_u32_e32 vcc, s2, v34
	s_or_b64 s[2:3], s[34:35], vcc
	s_and_saveexec_b64 s[0:1], s[2:3]
	s_cbranch_execz .LBB477_444
; %bb.442:
	v_mov_b32_e32 v14, 1
	v_and_b32_sdwa v14, v14, v31 dst_sel:DWORD dst_unused:UNUSED_PAD src0_sel:DWORD src1_sel:WORD_1
	v_cmp_eq_u32_e32 vcc, 1, v14
	s_and_b64 exec, exec, vcc
	s_cbranch_execz .LBB477_444
; %bb.443:
	s_lshl_b64 s[2:3], s[22:23], 3
	s_add_u32 s2, s6, s2
	s_addc_u32 s3, s7, s3
	v_mov_b32_e32 v35, 0
	v_lshl_add_u64 v[14:15], v[34:35], 3, s[2:3]
	global_store_dwordx2 v[14:15], v[26:27], off
.LBB477_444:
	s_or_b64 exec, exec, s[0:1]
	s_branch .LBB477_421
.LBB477_445:
	v_cmp_eq_u32_e32 vcc, 1, v48
	s_and_saveexec_b64 s[0:1], vcc
	s_cbranch_execz .LBB477_447
; %bb.446:
	v_subrev_u32_e32 v14, s16, v46
	v_lshlrev_b32_e32 v14, 3, v14
	ds_write_b64 v14, v[10:11]
.LBB477_447:
	s_or_b64 exec, exec, s[0:1]
	v_and_b32_e32 v10, 1, v33
	v_cmp_eq_u32_e32 vcc, 1, v10
	s_and_saveexec_b64 s[0:1], vcc
	s_cbranch_execz .LBB477_449
; %bb.448:
	v_subrev_u32_e32 v10, s16, v44
	v_lshlrev_b32_e32 v10, 3, v10
	ds_write_b64 v10, v[12:13]
.LBB477_449:
	s_or_b64 exec, exec, s[0:1]
	v_mov_b32_e32 v10, 1
	v_and_b32_sdwa v10, v10, v30 dst_sel:DWORD dst_unused:UNUSED_PAD src0_sel:DWORD src1_sel:WORD_1
	v_cmp_eq_u32_e32 vcc, 1, v10
	s_and_saveexec_b64 s[0:1], vcc
	s_cbranch_execz .LBB477_451
; %bb.450:
	v_subrev_u32_e32 v10, s16, v42
	v_lshlrev_b32_e32 v10, 3, v10
	ds_write_b64 v10, v[6:7]
.LBB477_451:
	s_or_b64 exec, exec, s[0:1]
	v_and_b32_e32 v6, 1, v32
	v_cmp_eq_u32_e32 vcc, 1, v6
	s_and_saveexec_b64 s[0:1], vcc
	s_cbranch_execz .LBB477_453
; %bb.452:
	v_subrev_u32_e32 v6, s16, v40
	v_lshlrev_b32_e32 v6, 3, v6
	ds_write_b64 v6, v[8:9]
.LBB477_453:
	s_or_b64 exec, exec, s[0:1]
	v_and_b32_e32 v6, 1, v31
	;; [unrolled: 10-line block ×3, first 2 shown]
	v_cmp_eq_u32_e32 vcc, 1, v1
	s_and_saveexec_b64 s[0:1], vcc
	s_cbranch_execz .LBB477_457
; %bb.456:
	v_subrev_u32_e32 v1, s16, v36
	v_lshlrev_b32_e32 v1, 3, v1
	ds_write_b64 v1, v[4:5]
.LBB477_457:
	s_or_b64 exec, exec, s[0:1]
	v_mov_b32_e32 v1, 1
	v_and_b32_sdwa v1, v1, v31 dst_sel:DWORD dst_unused:UNUSED_PAD src0_sel:DWORD src1_sel:WORD_1
	v_cmp_eq_u32_e32 vcc, 1, v1
	s_and_saveexec_b64 s[0:1], vcc
	s_cbranch_execz .LBB477_459
; %bb.458:
	v_subrev_u32_e32 v1, s16, v34
	v_lshlrev_b32_e32 v1, 3, v1
	ds_write_b64 v1, v[26:27]
.LBB477_459:
	s_or_b64 exec, exec, s[0:1]
	v_cmp_gt_u32_e32 vcc, s26, v0
	s_waitcnt lgkmcnt(0)
	s_barrier
	s_and_saveexec_b64 s[0:1], vcc
	s_cbranch_execz .LBB477_462
; %bb.460:
	s_mov_b32 s17, 0
	s_lshl_b64 s[2:3], s[22:23], 3
	s_lshl_b64 s[4:5], s[16:17], 3
	s_add_u32 s2, s2, s4
	s_addc_u32 s3, s3, s5
	s_add_u32 s2, s6, s2
	v_lshlrev_b32_e32 v2, 3, v0
	v_mov_b32_e32 v3, 0
	s_addc_u32 s3, s7, s3
	v_lshl_add_u64 v[4:5], s[2:3], 0, v[2:3]
	s_mov_b64 s[2:3], 0
	s_mov_b64 s[4:5], 0x1000
	v_mov_b32_e32 v1, v0
.LBB477_461:                            ; =>This Inner Loop Header: Depth=1
	ds_read_b64 v[6:7], v2
	v_add_u32_e32 v1, 0x200, v1
	v_cmp_le_u32_e32 vcc, s26, v1
	v_add_u32_e32 v2, 0x1000, v2
	s_or_b64 s[2:3], vcc, s[2:3]
	s_waitcnt lgkmcnt(0)
	global_store_dwordx2 v[4:5], v[6:7], off
	v_lshl_add_u64 v[4:5], v[4:5], 0, s[4:5]
	s_andn2_b64 exec, exec, s[2:3]
	s_cbranch_execnz .LBB477_461
.LBB477_462:
	s_or_b64 exec, exec, s[0:1]
	v_cmp_eq_u32_e32 vcc, 0, v0
	s_and_b64 s[0:1], vcc, s[24:25]
	s_and_saveexec_b64 s[2:3], s[0:1]
	s_cbranch_execz .LBB477_422
.LBB477_463:
	s_add_u32 s0, s22, s26
	s_addc_u32 s1, s23, 0
	s_add_u32 s0, s0, s16
	s_addc_u32 s1, s1, 0
	v_mov_b32_e32 v2, 0
	v_mov_b64_e32 v[0:1], s[0:1]
	global_store_dwordx2 v2, v[0:1], s[20:21]
	s_endpgm
	.section	.rodata,"a",@progbits
	.p2align	6, 0x0
	.amdhsa_kernel _ZN7rocprim17ROCPRIM_400000_NS6detail17trampoline_kernelINS0_14default_configENS1_25partition_config_selectorILNS1_17partition_subalgoE9EllbEEZZNS1_14partition_implILS5_9ELb0ES3_jPlS8_PNS0_10empty_typeENS0_5tupleIJS8_S9_EEENSB_IJS8_SA_EEENS0_18inequality_wrapperIZN2at6native12_GLOBAL__N_124unique_dim_cuda_templateIiEESt5tupleIJNSF_6TensorESK_SK_EERKSK_lbbbEUlllE0_EEPmJS9_EEE10hipError_tPvRmT3_T4_T5_T6_T7_T9_mT8_P12ihipStream_tbDpT10_ENKUlT_T0_E_clISt17integral_constantIbLb0EES1A_EEDaS15_S16_EUlS15_E_NS1_11comp_targetILNS1_3genE5ELNS1_11target_archE942ELNS1_3gpuE9ELNS1_3repE0EEENS1_30default_config_static_selectorELNS0_4arch9wavefront6targetE1EEEvT1_
		.amdhsa_group_segment_fixed_size 28684
		.amdhsa_private_segment_fixed_size 0
		.amdhsa_kernarg_size 120
		.amdhsa_user_sgpr_count 2
		.amdhsa_user_sgpr_dispatch_ptr 0
		.amdhsa_user_sgpr_queue_ptr 0
		.amdhsa_user_sgpr_kernarg_segment_ptr 1
		.amdhsa_user_sgpr_dispatch_id 0
		.amdhsa_user_sgpr_kernarg_preload_length 0
		.amdhsa_user_sgpr_kernarg_preload_offset 0
		.amdhsa_user_sgpr_private_segment_size 0
		.amdhsa_uses_dynamic_stack 0
		.amdhsa_enable_private_segment 0
		.amdhsa_system_sgpr_workgroup_id_x 1
		.amdhsa_system_sgpr_workgroup_id_y 0
		.amdhsa_system_sgpr_workgroup_id_z 0
		.amdhsa_system_sgpr_workgroup_info 0
		.amdhsa_system_vgpr_workitem_id 0
		.amdhsa_next_free_vgpr 66
		.amdhsa_next_free_sgpr 52
		.amdhsa_accum_offset 68
		.amdhsa_reserve_vcc 1
		.amdhsa_float_round_mode_32 0
		.amdhsa_float_round_mode_16_64 0
		.amdhsa_float_denorm_mode_32 3
		.amdhsa_float_denorm_mode_16_64 3
		.amdhsa_dx10_clamp 1
		.amdhsa_ieee_mode 1
		.amdhsa_fp16_overflow 0
		.amdhsa_tg_split 0
		.amdhsa_exception_fp_ieee_invalid_op 0
		.amdhsa_exception_fp_denorm_src 0
		.amdhsa_exception_fp_ieee_div_zero 0
		.amdhsa_exception_fp_ieee_overflow 0
		.amdhsa_exception_fp_ieee_underflow 0
		.amdhsa_exception_fp_ieee_inexact 0
		.amdhsa_exception_int_div_zero 0
	.end_amdhsa_kernel
	.section	.text._ZN7rocprim17ROCPRIM_400000_NS6detail17trampoline_kernelINS0_14default_configENS1_25partition_config_selectorILNS1_17partition_subalgoE9EllbEEZZNS1_14partition_implILS5_9ELb0ES3_jPlS8_PNS0_10empty_typeENS0_5tupleIJS8_S9_EEENSB_IJS8_SA_EEENS0_18inequality_wrapperIZN2at6native12_GLOBAL__N_124unique_dim_cuda_templateIiEESt5tupleIJNSF_6TensorESK_SK_EERKSK_lbbbEUlllE0_EEPmJS9_EEE10hipError_tPvRmT3_T4_T5_T6_T7_T9_mT8_P12ihipStream_tbDpT10_ENKUlT_T0_E_clISt17integral_constantIbLb0EES1A_EEDaS15_S16_EUlS15_E_NS1_11comp_targetILNS1_3genE5ELNS1_11target_archE942ELNS1_3gpuE9ELNS1_3repE0EEENS1_30default_config_static_selectorELNS0_4arch9wavefront6targetE1EEEvT1_,"axG",@progbits,_ZN7rocprim17ROCPRIM_400000_NS6detail17trampoline_kernelINS0_14default_configENS1_25partition_config_selectorILNS1_17partition_subalgoE9EllbEEZZNS1_14partition_implILS5_9ELb0ES3_jPlS8_PNS0_10empty_typeENS0_5tupleIJS8_S9_EEENSB_IJS8_SA_EEENS0_18inequality_wrapperIZN2at6native12_GLOBAL__N_124unique_dim_cuda_templateIiEESt5tupleIJNSF_6TensorESK_SK_EERKSK_lbbbEUlllE0_EEPmJS9_EEE10hipError_tPvRmT3_T4_T5_T6_T7_T9_mT8_P12ihipStream_tbDpT10_ENKUlT_T0_E_clISt17integral_constantIbLb0EES1A_EEDaS15_S16_EUlS15_E_NS1_11comp_targetILNS1_3genE5ELNS1_11target_archE942ELNS1_3gpuE9ELNS1_3repE0EEENS1_30default_config_static_selectorELNS0_4arch9wavefront6targetE1EEEvT1_,comdat
.Lfunc_end477:
	.size	_ZN7rocprim17ROCPRIM_400000_NS6detail17trampoline_kernelINS0_14default_configENS1_25partition_config_selectorILNS1_17partition_subalgoE9EllbEEZZNS1_14partition_implILS5_9ELb0ES3_jPlS8_PNS0_10empty_typeENS0_5tupleIJS8_S9_EEENSB_IJS8_SA_EEENS0_18inequality_wrapperIZN2at6native12_GLOBAL__N_124unique_dim_cuda_templateIiEESt5tupleIJNSF_6TensorESK_SK_EERKSK_lbbbEUlllE0_EEPmJS9_EEE10hipError_tPvRmT3_T4_T5_T6_T7_T9_mT8_P12ihipStream_tbDpT10_ENKUlT_T0_E_clISt17integral_constantIbLb0EES1A_EEDaS15_S16_EUlS15_E_NS1_11comp_targetILNS1_3genE5ELNS1_11target_archE942ELNS1_3gpuE9ELNS1_3repE0EEENS1_30default_config_static_selectorELNS0_4arch9wavefront6targetE1EEEvT1_, .Lfunc_end477-_ZN7rocprim17ROCPRIM_400000_NS6detail17trampoline_kernelINS0_14default_configENS1_25partition_config_selectorILNS1_17partition_subalgoE9EllbEEZZNS1_14partition_implILS5_9ELb0ES3_jPlS8_PNS0_10empty_typeENS0_5tupleIJS8_S9_EEENSB_IJS8_SA_EEENS0_18inequality_wrapperIZN2at6native12_GLOBAL__N_124unique_dim_cuda_templateIiEESt5tupleIJNSF_6TensorESK_SK_EERKSK_lbbbEUlllE0_EEPmJS9_EEE10hipError_tPvRmT3_T4_T5_T6_T7_T9_mT8_P12ihipStream_tbDpT10_ENKUlT_T0_E_clISt17integral_constantIbLb0EES1A_EEDaS15_S16_EUlS15_E_NS1_11comp_targetILNS1_3genE5ELNS1_11target_archE942ELNS1_3gpuE9ELNS1_3repE0EEENS1_30default_config_static_selectorELNS0_4arch9wavefront6targetE1EEEvT1_
                                        ; -- End function
	.section	.AMDGPU.csdata,"",@progbits
; Kernel info:
; codeLenInByte = 14392
; NumSgprs: 58
; NumVgprs: 66
; NumAgprs: 0
; TotalNumVgprs: 66
; ScratchSize: 0
; MemoryBound: 0
; FloatMode: 240
; IeeeMode: 1
; LDSByteSize: 28684 bytes/workgroup (compile time only)
; SGPRBlocks: 7
; VGPRBlocks: 8
; NumSGPRsForWavesPerEU: 58
; NumVGPRsForWavesPerEU: 66
; AccumOffset: 68
; Occupancy: 4
; WaveLimiterHint : 1
; COMPUTE_PGM_RSRC2:SCRATCH_EN: 0
; COMPUTE_PGM_RSRC2:USER_SGPR: 2
; COMPUTE_PGM_RSRC2:TRAP_HANDLER: 0
; COMPUTE_PGM_RSRC2:TGID_X_EN: 1
; COMPUTE_PGM_RSRC2:TGID_Y_EN: 0
; COMPUTE_PGM_RSRC2:TGID_Z_EN: 0
; COMPUTE_PGM_RSRC2:TIDIG_COMP_CNT: 0
; COMPUTE_PGM_RSRC3_GFX90A:ACCUM_OFFSET: 16
; COMPUTE_PGM_RSRC3_GFX90A:TG_SPLIT: 0
	.section	.text._ZN7rocprim17ROCPRIM_400000_NS6detail17trampoline_kernelINS0_14default_configENS1_25partition_config_selectorILNS1_17partition_subalgoE9EllbEEZZNS1_14partition_implILS5_9ELb0ES3_jPlS8_PNS0_10empty_typeENS0_5tupleIJS8_S9_EEENSB_IJS8_SA_EEENS0_18inequality_wrapperIZN2at6native12_GLOBAL__N_124unique_dim_cuda_templateIiEESt5tupleIJNSF_6TensorESK_SK_EERKSK_lbbbEUlllE0_EEPmJS9_EEE10hipError_tPvRmT3_T4_T5_T6_T7_T9_mT8_P12ihipStream_tbDpT10_ENKUlT_T0_E_clISt17integral_constantIbLb0EES1A_EEDaS15_S16_EUlS15_E_NS1_11comp_targetILNS1_3genE4ELNS1_11target_archE910ELNS1_3gpuE8ELNS1_3repE0EEENS1_30default_config_static_selectorELNS0_4arch9wavefront6targetE1EEEvT1_,"axG",@progbits,_ZN7rocprim17ROCPRIM_400000_NS6detail17trampoline_kernelINS0_14default_configENS1_25partition_config_selectorILNS1_17partition_subalgoE9EllbEEZZNS1_14partition_implILS5_9ELb0ES3_jPlS8_PNS0_10empty_typeENS0_5tupleIJS8_S9_EEENSB_IJS8_SA_EEENS0_18inequality_wrapperIZN2at6native12_GLOBAL__N_124unique_dim_cuda_templateIiEESt5tupleIJNSF_6TensorESK_SK_EERKSK_lbbbEUlllE0_EEPmJS9_EEE10hipError_tPvRmT3_T4_T5_T6_T7_T9_mT8_P12ihipStream_tbDpT10_ENKUlT_T0_E_clISt17integral_constantIbLb0EES1A_EEDaS15_S16_EUlS15_E_NS1_11comp_targetILNS1_3genE4ELNS1_11target_archE910ELNS1_3gpuE8ELNS1_3repE0EEENS1_30default_config_static_selectorELNS0_4arch9wavefront6targetE1EEEvT1_,comdat
	.globl	_ZN7rocprim17ROCPRIM_400000_NS6detail17trampoline_kernelINS0_14default_configENS1_25partition_config_selectorILNS1_17partition_subalgoE9EllbEEZZNS1_14partition_implILS5_9ELb0ES3_jPlS8_PNS0_10empty_typeENS0_5tupleIJS8_S9_EEENSB_IJS8_SA_EEENS0_18inequality_wrapperIZN2at6native12_GLOBAL__N_124unique_dim_cuda_templateIiEESt5tupleIJNSF_6TensorESK_SK_EERKSK_lbbbEUlllE0_EEPmJS9_EEE10hipError_tPvRmT3_T4_T5_T6_T7_T9_mT8_P12ihipStream_tbDpT10_ENKUlT_T0_E_clISt17integral_constantIbLb0EES1A_EEDaS15_S16_EUlS15_E_NS1_11comp_targetILNS1_3genE4ELNS1_11target_archE910ELNS1_3gpuE8ELNS1_3repE0EEENS1_30default_config_static_selectorELNS0_4arch9wavefront6targetE1EEEvT1_ ; -- Begin function _ZN7rocprim17ROCPRIM_400000_NS6detail17trampoline_kernelINS0_14default_configENS1_25partition_config_selectorILNS1_17partition_subalgoE9EllbEEZZNS1_14partition_implILS5_9ELb0ES3_jPlS8_PNS0_10empty_typeENS0_5tupleIJS8_S9_EEENSB_IJS8_SA_EEENS0_18inequality_wrapperIZN2at6native12_GLOBAL__N_124unique_dim_cuda_templateIiEESt5tupleIJNSF_6TensorESK_SK_EERKSK_lbbbEUlllE0_EEPmJS9_EEE10hipError_tPvRmT3_T4_T5_T6_T7_T9_mT8_P12ihipStream_tbDpT10_ENKUlT_T0_E_clISt17integral_constantIbLb0EES1A_EEDaS15_S16_EUlS15_E_NS1_11comp_targetILNS1_3genE4ELNS1_11target_archE910ELNS1_3gpuE8ELNS1_3repE0EEENS1_30default_config_static_selectorELNS0_4arch9wavefront6targetE1EEEvT1_
	.p2align	8
	.type	_ZN7rocprim17ROCPRIM_400000_NS6detail17trampoline_kernelINS0_14default_configENS1_25partition_config_selectorILNS1_17partition_subalgoE9EllbEEZZNS1_14partition_implILS5_9ELb0ES3_jPlS8_PNS0_10empty_typeENS0_5tupleIJS8_S9_EEENSB_IJS8_SA_EEENS0_18inequality_wrapperIZN2at6native12_GLOBAL__N_124unique_dim_cuda_templateIiEESt5tupleIJNSF_6TensorESK_SK_EERKSK_lbbbEUlllE0_EEPmJS9_EEE10hipError_tPvRmT3_T4_T5_T6_T7_T9_mT8_P12ihipStream_tbDpT10_ENKUlT_T0_E_clISt17integral_constantIbLb0EES1A_EEDaS15_S16_EUlS15_E_NS1_11comp_targetILNS1_3genE4ELNS1_11target_archE910ELNS1_3gpuE8ELNS1_3repE0EEENS1_30default_config_static_selectorELNS0_4arch9wavefront6targetE1EEEvT1_,@function
_ZN7rocprim17ROCPRIM_400000_NS6detail17trampoline_kernelINS0_14default_configENS1_25partition_config_selectorILNS1_17partition_subalgoE9EllbEEZZNS1_14partition_implILS5_9ELb0ES3_jPlS8_PNS0_10empty_typeENS0_5tupleIJS8_S9_EEENSB_IJS8_SA_EEENS0_18inequality_wrapperIZN2at6native12_GLOBAL__N_124unique_dim_cuda_templateIiEESt5tupleIJNSF_6TensorESK_SK_EERKSK_lbbbEUlllE0_EEPmJS9_EEE10hipError_tPvRmT3_T4_T5_T6_T7_T9_mT8_P12ihipStream_tbDpT10_ENKUlT_T0_E_clISt17integral_constantIbLb0EES1A_EEDaS15_S16_EUlS15_E_NS1_11comp_targetILNS1_3genE4ELNS1_11target_archE910ELNS1_3gpuE8ELNS1_3repE0EEENS1_30default_config_static_selectorELNS0_4arch9wavefront6targetE1EEEvT1_: ; @_ZN7rocprim17ROCPRIM_400000_NS6detail17trampoline_kernelINS0_14default_configENS1_25partition_config_selectorILNS1_17partition_subalgoE9EllbEEZZNS1_14partition_implILS5_9ELb0ES3_jPlS8_PNS0_10empty_typeENS0_5tupleIJS8_S9_EEENSB_IJS8_SA_EEENS0_18inequality_wrapperIZN2at6native12_GLOBAL__N_124unique_dim_cuda_templateIiEESt5tupleIJNSF_6TensorESK_SK_EERKSK_lbbbEUlllE0_EEPmJS9_EEE10hipError_tPvRmT3_T4_T5_T6_T7_T9_mT8_P12ihipStream_tbDpT10_ENKUlT_T0_E_clISt17integral_constantIbLb0EES1A_EEDaS15_S16_EUlS15_E_NS1_11comp_targetILNS1_3genE4ELNS1_11target_archE910ELNS1_3gpuE8ELNS1_3repE0EEENS1_30default_config_static_selectorELNS0_4arch9wavefront6targetE1EEEvT1_
; %bb.0:
	.section	.rodata,"a",@progbits
	.p2align	6, 0x0
	.amdhsa_kernel _ZN7rocprim17ROCPRIM_400000_NS6detail17trampoline_kernelINS0_14default_configENS1_25partition_config_selectorILNS1_17partition_subalgoE9EllbEEZZNS1_14partition_implILS5_9ELb0ES3_jPlS8_PNS0_10empty_typeENS0_5tupleIJS8_S9_EEENSB_IJS8_SA_EEENS0_18inequality_wrapperIZN2at6native12_GLOBAL__N_124unique_dim_cuda_templateIiEESt5tupleIJNSF_6TensorESK_SK_EERKSK_lbbbEUlllE0_EEPmJS9_EEE10hipError_tPvRmT3_T4_T5_T6_T7_T9_mT8_P12ihipStream_tbDpT10_ENKUlT_T0_E_clISt17integral_constantIbLb0EES1A_EEDaS15_S16_EUlS15_E_NS1_11comp_targetILNS1_3genE4ELNS1_11target_archE910ELNS1_3gpuE8ELNS1_3repE0EEENS1_30default_config_static_selectorELNS0_4arch9wavefront6targetE1EEEvT1_
		.amdhsa_group_segment_fixed_size 0
		.amdhsa_private_segment_fixed_size 0
		.amdhsa_kernarg_size 120
		.amdhsa_user_sgpr_count 2
		.amdhsa_user_sgpr_dispatch_ptr 0
		.amdhsa_user_sgpr_queue_ptr 0
		.amdhsa_user_sgpr_kernarg_segment_ptr 1
		.amdhsa_user_sgpr_dispatch_id 0
		.amdhsa_user_sgpr_kernarg_preload_length 0
		.amdhsa_user_sgpr_kernarg_preload_offset 0
		.amdhsa_user_sgpr_private_segment_size 0
		.amdhsa_uses_dynamic_stack 0
		.amdhsa_enable_private_segment 0
		.amdhsa_system_sgpr_workgroup_id_x 1
		.amdhsa_system_sgpr_workgroup_id_y 0
		.amdhsa_system_sgpr_workgroup_id_z 0
		.amdhsa_system_sgpr_workgroup_info 0
		.amdhsa_system_vgpr_workitem_id 0
		.amdhsa_next_free_vgpr 1
		.amdhsa_next_free_sgpr 0
		.amdhsa_accum_offset 4
		.amdhsa_reserve_vcc 0
		.amdhsa_float_round_mode_32 0
		.amdhsa_float_round_mode_16_64 0
		.amdhsa_float_denorm_mode_32 3
		.amdhsa_float_denorm_mode_16_64 3
		.amdhsa_dx10_clamp 1
		.amdhsa_ieee_mode 1
		.amdhsa_fp16_overflow 0
		.amdhsa_tg_split 0
		.amdhsa_exception_fp_ieee_invalid_op 0
		.amdhsa_exception_fp_denorm_src 0
		.amdhsa_exception_fp_ieee_div_zero 0
		.amdhsa_exception_fp_ieee_overflow 0
		.amdhsa_exception_fp_ieee_underflow 0
		.amdhsa_exception_fp_ieee_inexact 0
		.amdhsa_exception_int_div_zero 0
	.end_amdhsa_kernel
	.section	.text._ZN7rocprim17ROCPRIM_400000_NS6detail17trampoline_kernelINS0_14default_configENS1_25partition_config_selectorILNS1_17partition_subalgoE9EllbEEZZNS1_14partition_implILS5_9ELb0ES3_jPlS8_PNS0_10empty_typeENS0_5tupleIJS8_S9_EEENSB_IJS8_SA_EEENS0_18inequality_wrapperIZN2at6native12_GLOBAL__N_124unique_dim_cuda_templateIiEESt5tupleIJNSF_6TensorESK_SK_EERKSK_lbbbEUlllE0_EEPmJS9_EEE10hipError_tPvRmT3_T4_T5_T6_T7_T9_mT8_P12ihipStream_tbDpT10_ENKUlT_T0_E_clISt17integral_constantIbLb0EES1A_EEDaS15_S16_EUlS15_E_NS1_11comp_targetILNS1_3genE4ELNS1_11target_archE910ELNS1_3gpuE8ELNS1_3repE0EEENS1_30default_config_static_selectorELNS0_4arch9wavefront6targetE1EEEvT1_,"axG",@progbits,_ZN7rocprim17ROCPRIM_400000_NS6detail17trampoline_kernelINS0_14default_configENS1_25partition_config_selectorILNS1_17partition_subalgoE9EllbEEZZNS1_14partition_implILS5_9ELb0ES3_jPlS8_PNS0_10empty_typeENS0_5tupleIJS8_S9_EEENSB_IJS8_SA_EEENS0_18inequality_wrapperIZN2at6native12_GLOBAL__N_124unique_dim_cuda_templateIiEESt5tupleIJNSF_6TensorESK_SK_EERKSK_lbbbEUlllE0_EEPmJS9_EEE10hipError_tPvRmT3_T4_T5_T6_T7_T9_mT8_P12ihipStream_tbDpT10_ENKUlT_T0_E_clISt17integral_constantIbLb0EES1A_EEDaS15_S16_EUlS15_E_NS1_11comp_targetILNS1_3genE4ELNS1_11target_archE910ELNS1_3gpuE8ELNS1_3repE0EEENS1_30default_config_static_selectorELNS0_4arch9wavefront6targetE1EEEvT1_,comdat
.Lfunc_end478:
	.size	_ZN7rocprim17ROCPRIM_400000_NS6detail17trampoline_kernelINS0_14default_configENS1_25partition_config_selectorILNS1_17partition_subalgoE9EllbEEZZNS1_14partition_implILS5_9ELb0ES3_jPlS8_PNS0_10empty_typeENS0_5tupleIJS8_S9_EEENSB_IJS8_SA_EEENS0_18inequality_wrapperIZN2at6native12_GLOBAL__N_124unique_dim_cuda_templateIiEESt5tupleIJNSF_6TensorESK_SK_EERKSK_lbbbEUlllE0_EEPmJS9_EEE10hipError_tPvRmT3_T4_T5_T6_T7_T9_mT8_P12ihipStream_tbDpT10_ENKUlT_T0_E_clISt17integral_constantIbLb0EES1A_EEDaS15_S16_EUlS15_E_NS1_11comp_targetILNS1_3genE4ELNS1_11target_archE910ELNS1_3gpuE8ELNS1_3repE0EEENS1_30default_config_static_selectorELNS0_4arch9wavefront6targetE1EEEvT1_, .Lfunc_end478-_ZN7rocprim17ROCPRIM_400000_NS6detail17trampoline_kernelINS0_14default_configENS1_25partition_config_selectorILNS1_17partition_subalgoE9EllbEEZZNS1_14partition_implILS5_9ELb0ES3_jPlS8_PNS0_10empty_typeENS0_5tupleIJS8_S9_EEENSB_IJS8_SA_EEENS0_18inequality_wrapperIZN2at6native12_GLOBAL__N_124unique_dim_cuda_templateIiEESt5tupleIJNSF_6TensorESK_SK_EERKSK_lbbbEUlllE0_EEPmJS9_EEE10hipError_tPvRmT3_T4_T5_T6_T7_T9_mT8_P12ihipStream_tbDpT10_ENKUlT_T0_E_clISt17integral_constantIbLb0EES1A_EEDaS15_S16_EUlS15_E_NS1_11comp_targetILNS1_3genE4ELNS1_11target_archE910ELNS1_3gpuE8ELNS1_3repE0EEENS1_30default_config_static_selectorELNS0_4arch9wavefront6targetE1EEEvT1_
                                        ; -- End function
	.section	.AMDGPU.csdata,"",@progbits
; Kernel info:
; codeLenInByte = 0
; NumSgprs: 6
; NumVgprs: 0
; NumAgprs: 0
; TotalNumVgprs: 0
; ScratchSize: 0
; MemoryBound: 0
; FloatMode: 240
; IeeeMode: 1
; LDSByteSize: 0 bytes/workgroup (compile time only)
; SGPRBlocks: 0
; VGPRBlocks: 0
; NumSGPRsForWavesPerEU: 6
; NumVGPRsForWavesPerEU: 1
; AccumOffset: 4
; Occupancy: 8
; WaveLimiterHint : 0
; COMPUTE_PGM_RSRC2:SCRATCH_EN: 0
; COMPUTE_PGM_RSRC2:USER_SGPR: 2
; COMPUTE_PGM_RSRC2:TRAP_HANDLER: 0
; COMPUTE_PGM_RSRC2:TGID_X_EN: 1
; COMPUTE_PGM_RSRC2:TGID_Y_EN: 0
; COMPUTE_PGM_RSRC2:TGID_Z_EN: 0
; COMPUTE_PGM_RSRC2:TIDIG_COMP_CNT: 0
; COMPUTE_PGM_RSRC3_GFX90A:ACCUM_OFFSET: 0
; COMPUTE_PGM_RSRC3_GFX90A:TG_SPLIT: 0
	.section	.text._ZN7rocprim17ROCPRIM_400000_NS6detail17trampoline_kernelINS0_14default_configENS1_25partition_config_selectorILNS1_17partition_subalgoE9EllbEEZZNS1_14partition_implILS5_9ELb0ES3_jPlS8_PNS0_10empty_typeENS0_5tupleIJS8_S9_EEENSB_IJS8_SA_EEENS0_18inequality_wrapperIZN2at6native12_GLOBAL__N_124unique_dim_cuda_templateIiEESt5tupleIJNSF_6TensorESK_SK_EERKSK_lbbbEUlllE0_EEPmJS9_EEE10hipError_tPvRmT3_T4_T5_T6_T7_T9_mT8_P12ihipStream_tbDpT10_ENKUlT_T0_E_clISt17integral_constantIbLb0EES1A_EEDaS15_S16_EUlS15_E_NS1_11comp_targetILNS1_3genE3ELNS1_11target_archE908ELNS1_3gpuE7ELNS1_3repE0EEENS1_30default_config_static_selectorELNS0_4arch9wavefront6targetE1EEEvT1_,"axG",@progbits,_ZN7rocprim17ROCPRIM_400000_NS6detail17trampoline_kernelINS0_14default_configENS1_25partition_config_selectorILNS1_17partition_subalgoE9EllbEEZZNS1_14partition_implILS5_9ELb0ES3_jPlS8_PNS0_10empty_typeENS0_5tupleIJS8_S9_EEENSB_IJS8_SA_EEENS0_18inequality_wrapperIZN2at6native12_GLOBAL__N_124unique_dim_cuda_templateIiEESt5tupleIJNSF_6TensorESK_SK_EERKSK_lbbbEUlllE0_EEPmJS9_EEE10hipError_tPvRmT3_T4_T5_T6_T7_T9_mT8_P12ihipStream_tbDpT10_ENKUlT_T0_E_clISt17integral_constantIbLb0EES1A_EEDaS15_S16_EUlS15_E_NS1_11comp_targetILNS1_3genE3ELNS1_11target_archE908ELNS1_3gpuE7ELNS1_3repE0EEENS1_30default_config_static_selectorELNS0_4arch9wavefront6targetE1EEEvT1_,comdat
	.globl	_ZN7rocprim17ROCPRIM_400000_NS6detail17trampoline_kernelINS0_14default_configENS1_25partition_config_selectorILNS1_17partition_subalgoE9EllbEEZZNS1_14partition_implILS5_9ELb0ES3_jPlS8_PNS0_10empty_typeENS0_5tupleIJS8_S9_EEENSB_IJS8_SA_EEENS0_18inequality_wrapperIZN2at6native12_GLOBAL__N_124unique_dim_cuda_templateIiEESt5tupleIJNSF_6TensorESK_SK_EERKSK_lbbbEUlllE0_EEPmJS9_EEE10hipError_tPvRmT3_T4_T5_T6_T7_T9_mT8_P12ihipStream_tbDpT10_ENKUlT_T0_E_clISt17integral_constantIbLb0EES1A_EEDaS15_S16_EUlS15_E_NS1_11comp_targetILNS1_3genE3ELNS1_11target_archE908ELNS1_3gpuE7ELNS1_3repE0EEENS1_30default_config_static_selectorELNS0_4arch9wavefront6targetE1EEEvT1_ ; -- Begin function _ZN7rocprim17ROCPRIM_400000_NS6detail17trampoline_kernelINS0_14default_configENS1_25partition_config_selectorILNS1_17partition_subalgoE9EllbEEZZNS1_14partition_implILS5_9ELb0ES3_jPlS8_PNS0_10empty_typeENS0_5tupleIJS8_S9_EEENSB_IJS8_SA_EEENS0_18inequality_wrapperIZN2at6native12_GLOBAL__N_124unique_dim_cuda_templateIiEESt5tupleIJNSF_6TensorESK_SK_EERKSK_lbbbEUlllE0_EEPmJS9_EEE10hipError_tPvRmT3_T4_T5_T6_T7_T9_mT8_P12ihipStream_tbDpT10_ENKUlT_T0_E_clISt17integral_constantIbLb0EES1A_EEDaS15_S16_EUlS15_E_NS1_11comp_targetILNS1_3genE3ELNS1_11target_archE908ELNS1_3gpuE7ELNS1_3repE0EEENS1_30default_config_static_selectorELNS0_4arch9wavefront6targetE1EEEvT1_
	.p2align	8
	.type	_ZN7rocprim17ROCPRIM_400000_NS6detail17trampoline_kernelINS0_14default_configENS1_25partition_config_selectorILNS1_17partition_subalgoE9EllbEEZZNS1_14partition_implILS5_9ELb0ES3_jPlS8_PNS0_10empty_typeENS0_5tupleIJS8_S9_EEENSB_IJS8_SA_EEENS0_18inequality_wrapperIZN2at6native12_GLOBAL__N_124unique_dim_cuda_templateIiEESt5tupleIJNSF_6TensorESK_SK_EERKSK_lbbbEUlllE0_EEPmJS9_EEE10hipError_tPvRmT3_T4_T5_T6_T7_T9_mT8_P12ihipStream_tbDpT10_ENKUlT_T0_E_clISt17integral_constantIbLb0EES1A_EEDaS15_S16_EUlS15_E_NS1_11comp_targetILNS1_3genE3ELNS1_11target_archE908ELNS1_3gpuE7ELNS1_3repE0EEENS1_30default_config_static_selectorELNS0_4arch9wavefront6targetE1EEEvT1_,@function
_ZN7rocprim17ROCPRIM_400000_NS6detail17trampoline_kernelINS0_14default_configENS1_25partition_config_selectorILNS1_17partition_subalgoE9EllbEEZZNS1_14partition_implILS5_9ELb0ES3_jPlS8_PNS0_10empty_typeENS0_5tupleIJS8_S9_EEENSB_IJS8_SA_EEENS0_18inequality_wrapperIZN2at6native12_GLOBAL__N_124unique_dim_cuda_templateIiEESt5tupleIJNSF_6TensorESK_SK_EERKSK_lbbbEUlllE0_EEPmJS9_EEE10hipError_tPvRmT3_T4_T5_T6_T7_T9_mT8_P12ihipStream_tbDpT10_ENKUlT_T0_E_clISt17integral_constantIbLb0EES1A_EEDaS15_S16_EUlS15_E_NS1_11comp_targetILNS1_3genE3ELNS1_11target_archE908ELNS1_3gpuE7ELNS1_3repE0EEENS1_30default_config_static_selectorELNS0_4arch9wavefront6targetE1EEEvT1_: ; @_ZN7rocprim17ROCPRIM_400000_NS6detail17trampoline_kernelINS0_14default_configENS1_25partition_config_selectorILNS1_17partition_subalgoE9EllbEEZZNS1_14partition_implILS5_9ELb0ES3_jPlS8_PNS0_10empty_typeENS0_5tupleIJS8_S9_EEENSB_IJS8_SA_EEENS0_18inequality_wrapperIZN2at6native12_GLOBAL__N_124unique_dim_cuda_templateIiEESt5tupleIJNSF_6TensorESK_SK_EERKSK_lbbbEUlllE0_EEPmJS9_EEE10hipError_tPvRmT3_T4_T5_T6_T7_T9_mT8_P12ihipStream_tbDpT10_ENKUlT_T0_E_clISt17integral_constantIbLb0EES1A_EEDaS15_S16_EUlS15_E_NS1_11comp_targetILNS1_3genE3ELNS1_11target_archE908ELNS1_3gpuE7ELNS1_3repE0EEENS1_30default_config_static_selectorELNS0_4arch9wavefront6targetE1EEEvT1_
; %bb.0:
	.section	.rodata,"a",@progbits
	.p2align	6, 0x0
	.amdhsa_kernel _ZN7rocprim17ROCPRIM_400000_NS6detail17trampoline_kernelINS0_14default_configENS1_25partition_config_selectorILNS1_17partition_subalgoE9EllbEEZZNS1_14partition_implILS5_9ELb0ES3_jPlS8_PNS0_10empty_typeENS0_5tupleIJS8_S9_EEENSB_IJS8_SA_EEENS0_18inequality_wrapperIZN2at6native12_GLOBAL__N_124unique_dim_cuda_templateIiEESt5tupleIJNSF_6TensorESK_SK_EERKSK_lbbbEUlllE0_EEPmJS9_EEE10hipError_tPvRmT3_T4_T5_T6_T7_T9_mT8_P12ihipStream_tbDpT10_ENKUlT_T0_E_clISt17integral_constantIbLb0EES1A_EEDaS15_S16_EUlS15_E_NS1_11comp_targetILNS1_3genE3ELNS1_11target_archE908ELNS1_3gpuE7ELNS1_3repE0EEENS1_30default_config_static_selectorELNS0_4arch9wavefront6targetE1EEEvT1_
		.amdhsa_group_segment_fixed_size 0
		.amdhsa_private_segment_fixed_size 0
		.amdhsa_kernarg_size 120
		.amdhsa_user_sgpr_count 2
		.amdhsa_user_sgpr_dispatch_ptr 0
		.amdhsa_user_sgpr_queue_ptr 0
		.amdhsa_user_sgpr_kernarg_segment_ptr 1
		.amdhsa_user_sgpr_dispatch_id 0
		.amdhsa_user_sgpr_kernarg_preload_length 0
		.amdhsa_user_sgpr_kernarg_preload_offset 0
		.amdhsa_user_sgpr_private_segment_size 0
		.amdhsa_uses_dynamic_stack 0
		.amdhsa_enable_private_segment 0
		.amdhsa_system_sgpr_workgroup_id_x 1
		.amdhsa_system_sgpr_workgroup_id_y 0
		.amdhsa_system_sgpr_workgroup_id_z 0
		.amdhsa_system_sgpr_workgroup_info 0
		.amdhsa_system_vgpr_workitem_id 0
		.amdhsa_next_free_vgpr 1
		.amdhsa_next_free_sgpr 0
		.amdhsa_accum_offset 4
		.amdhsa_reserve_vcc 0
		.amdhsa_float_round_mode_32 0
		.amdhsa_float_round_mode_16_64 0
		.amdhsa_float_denorm_mode_32 3
		.amdhsa_float_denorm_mode_16_64 3
		.amdhsa_dx10_clamp 1
		.amdhsa_ieee_mode 1
		.amdhsa_fp16_overflow 0
		.amdhsa_tg_split 0
		.amdhsa_exception_fp_ieee_invalid_op 0
		.amdhsa_exception_fp_denorm_src 0
		.amdhsa_exception_fp_ieee_div_zero 0
		.amdhsa_exception_fp_ieee_overflow 0
		.amdhsa_exception_fp_ieee_underflow 0
		.amdhsa_exception_fp_ieee_inexact 0
		.amdhsa_exception_int_div_zero 0
	.end_amdhsa_kernel
	.section	.text._ZN7rocprim17ROCPRIM_400000_NS6detail17trampoline_kernelINS0_14default_configENS1_25partition_config_selectorILNS1_17partition_subalgoE9EllbEEZZNS1_14partition_implILS5_9ELb0ES3_jPlS8_PNS0_10empty_typeENS0_5tupleIJS8_S9_EEENSB_IJS8_SA_EEENS0_18inequality_wrapperIZN2at6native12_GLOBAL__N_124unique_dim_cuda_templateIiEESt5tupleIJNSF_6TensorESK_SK_EERKSK_lbbbEUlllE0_EEPmJS9_EEE10hipError_tPvRmT3_T4_T5_T6_T7_T9_mT8_P12ihipStream_tbDpT10_ENKUlT_T0_E_clISt17integral_constantIbLb0EES1A_EEDaS15_S16_EUlS15_E_NS1_11comp_targetILNS1_3genE3ELNS1_11target_archE908ELNS1_3gpuE7ELNS1_3repE0EEENS1_30default_config_static_selectorELNS0_4arch9wavefront6targetE1EEEvT1_,"axG",@progbits,_ZN7rocprim17ROCPRIM_400000_NS6detail17trampoline_kernelINS0_14default_configENS1_25partition_config_selectorILNS1_17partition_subalgoE9EllbEEZZNS1_14partition_implILS5_9ELb0ES3_jPlS8_PNS0_10empty_typeENS0_5tupleIJS8_S9_EEENSB_IJS8_SA_EEENS0_18inequality_wrapperIZN2at6native12_GLOBAL__N_124unique_dim_cuda_templateIiEESt5tupleIJNSF_6TensorESK_SK_EERKSK_lbbbEUlllE0_EEPmJS9_EEE10hipError_tPvRmT3_T4_T5_T6_T7_T9_mT8_P12ihipStream_tbDpT10_ENKUlT_T0_E_clISt17integral_constantIbLb0EES1A_EEDaS15_S16_EUlS15_E_NS1_11comp_targetILNS1_3genE3ELNS1_11target_archE908ELNS1_3gpuE7ELNS1_3repE0EEENS1_30default_config_static_selectorELNS0_4arch9wavefront6targetE1EEEvT1_,comdat
.Lfunc_end479:
	.size	_ZN7rocprim17ROCPRIM_400000_NS6detail17trampoline_kernelINS0_14default_configENS1_25partition_config_selectorILNS1_17partition_subalgoE9EllbEEZZNS1_14partition_implILS5_9ELb0ES3_jPlS8_PNS0_10empty_typeENS0_5tupleIJS8_S9_EEENSB_IJS8_SA_EEENS0_18inequality_wrapperIZN2at6native12_GLOBAL__N_124unique_dim_cuda_templateIiEESt5tupleIJNSF_6TensorESK_SK_EERKSK_lbbbEUlllE0_EEPmJS9_EEE10hipError_tPvRmT3_T4_T5_T6_T7_T9_mT8_P12ihipStream_tbDpT10_ENKUlT_T0_E_clISt17integral_constantIbLb0EES1A_EEDaS15_S16_EUlS15_E_NS1_11comp_targetILNS1_3genE3ELNS1_11target_archE908ELNS1_3gpuE7ELNS1_3repE0EEENS1_30default_config_static_selectorELNS0_4arch9wavefront6targetE1EEEvT1_, .Lfunc_end479-_ZN7rocprim17ROCPRIM_400000_NS6detail17trampoline_kernelINS0_14default_configENS1_25partition_config_selectorILNS1_17partition_subalgoE9EllbEEZZNS1_14partition_implILS5_9ELb0ES3_jPlS8_PNS0_10empty_typeENS0_5tupleIJS8_S9_EEENSB_IJS8_SA_EEENS0_18inequality_wrapperIZN2at6native12_GLOBAL__N_124unique_dim_cuda_templateIiEESt5tupleIJNSF_6TensorESK_SK_EERKSK_lbbbEUlllE0_EEPmJS9_EEE10hipError_tPvRmT3_T4_T5_T6_T7_T9_mT8_P12ihipStream_tbDpT10_ENKUlT_T0_E_clISt17integral_constantIbLb0EES1A_EEDaS15_S16_EUlS15_E_NS1_11comp_targetILNS1_3genE3ELNS1_11target_archE908ELNS1_3gpuE7ELNS1_3repE0EEENS1_30default_config_static_selectorELNS0_4arch9wavefront6targetE1EEEvT1_
                                        ; -- End function
	.section	.AMDGPU.csdata,"",@progbits
; Kernel info:
; codeLenInByte = 0
; NumSgprs: 6
; NumVgprs: 0
; NumAgprs: 0
; TotalNumVgprs: 0
; ScratchSize: 0
; MemoryBound: 0
; FloatMode: 240
; IeeeMode: 1
; LDSByteSize: 0 bytes/workgroup (compile time only)
; SGPRBlocks: 0
; VGPRBlocks: 0
; NumSGPRsForWavesPerEU: 6
; NumVGPRsForWavesPerEU: 1
; AccumOffset: 4
; Occupancy: 8
; WaveLimiterHint : 0
; COMPUTE_PGM_RSRC2:SCRATCH_EN: 0
; COMPUTE_PGM_RSRC2:USER_SGPR: 2
; COMPUTE_PGM_RSRC2:TRAP_HANDLER: 0
; COMPUTE_PGM_RSRC2:TGID_X_EN: 1
; COMPUTE_PGM_RSRC2:TGID_Y_EN: 0
; COMPUTE_PGM_RSRC2:TGID_Z_EN: 0
; COMPUTE_PGM_RSRC2:TIDIG_COMP_CNT: 0
; COMPUTE_PGM_RSRC3_GFX90A:ACCUM_OFFSET: 0
; COMPUTE_PGM_RSRC3_GFX90A:TG_SPLIT: 0
	.section	.text._ZN7rocprim17ROCPRIM_400000_NS6detail17trampoline_kernelINS0_14default_configENS1_25partition_config_selectorILNS1_17partition_subalgoE9EllbEEZZNS1_14partition_implILS5_9ELb0ES3_jPlS8_PNS0_10empty_typeENS0_5tupleIJS8_S9_EEENSB_IJS8_SA_EEENS0_18inequality_wrapperIZN2at6native12_GLOBAL__N_124unique_dim_cuda_templateIiEESt5tupleIJNSF_6TensorESK_SK_EERKSK_lbbbEUlllE0_EEPmJS9_EEE10hipError_tPvRmT3_T4_T5_T6_T7_T9_mT8_P12ihipStream_tbDpT10_ENKUlT_T0_E_clISt17integral_constantIbLb0EES1A_EEDaS15_S16_EUlS15_E_NS1_11comp_targetILNS1_3genE2ELNS1_11target_archE906ELNS1_3gpuE6ELNS1_3repE0EEENS1_30default_config_static_selectorELNS0_4arch9wavefront6targetE1EEEvT1_,"axG",@progbits,_ZN7rocprim17ROCPRIM_400000_NS6detail17trampoline_kernelINS0_14default_configENS1_25partition_config_selectorILNS1_17partition_subalgoE9EllbEEZZNS1_14partition_implILS5_9ELb0ES3_jPlS8_PNS0_10empty_typeENS0_5tupleIJS8_S9_EEENSB_IJS8_SA_EEENS0_18inequality_wrapperIZN2at6native12_GLOBAL__N_124unique_dim_cuda_templateIiEESt5tupleIJNSF_6TensorESK_SK_EERKSK_lbbbEUlllE0_EEPmJS9_EEE10hipError_tPvRmT3_T4_T5_T6_T7_T9_mT8_P12ihipStream_tbDpT10_ENKUlT_T0_E_clISt17integral_constantIbLb0EES1A_EEDaS15_S16_EUlS15_E_NS1_11comp_targetILNS1_3genE2ELNS1_11target_archE906ELNS1_3gpuE6ELNS1_3repE0EEENS1_30default_config_static_selectorELNS0_4arch9wavefront6targetE1EEEvT1_,comdat
	.globl	_ZN7rocprim17ROCPRIM_400000_NS6detail17trampoline_kernelINS0_14default_configENS1_25partition_config_selectorILNS1_17partition_subalgoE9EllbEEZZNS1_14partition_implILS5_9ELb0ES3_jPlS8_PNS0_10empty_typeENS0_5tupleIJS8_S9_EEENSB_IJS8_SA_EEENS0_18inequality_wrapperIZN2at6native12_GLOBAL__N_124unique_dim_cuda_templateIiEESt5tupleIJNSF_6TensorESK_SK_EERKSK_lbbbEUlllE0_EEPmJS9_EEE10hipError_tPvRmT3_T4_T5_T6_T7_T9_mT8_P12ihipStream_tbDpT10_ENKUlT_T0_E_clISt17integral_constantIbLb0EES1A_EEDaS15_S16_EUlS15_E_NS1_11comp_targetILNS1_3genE2ELNS1_11target_archE906ELNS1_3gpuE6ELNS1_3repE0EEENS1_30default_config_static_selectorELNS0_4arch9wavefront6targetE1EEEvT1_ ; -- Begin function _ZN7rocprim17ROCPRIM_400000_NS6detail17trampoline_kernelINS0_14default_configENS1_25partition_config_selectorILNS1_17partition_subalgoE9EllbEEZZNS1_14partition_implILS5_9ELb0ES3_jPlS8_PNS0_10empty_typeENS0_5tupleIJS8_S9_EEENSB_IJS8_SA_EEENS0_18inequality_wrapperIZN2at6native12_GLOBAL__N_124unique_dim_cuda_templateIiEESt5tupleIJNSF_6TensorESK_SK_EERKSK_lbbbEUlllE0_EEPmJS9_EEE10hipError_tPvRmT3_T4_T5_T6_T7_T9_mT8_P12ihipStream_tbDpT10_ENKUlT_T0_E_clISt17integral_constantIbLb0EES1A_EEDaS15_S16_EUlS15_E_NS1_11comp_targetILNS1_3genE2ELNS1_11target_archE906ELNS1_3gpuE6ELNS1_3repE0EEENS1_30default_config_static_selectorELNS0_4arch9wavefront6targetE1EEEvT1_
	.p2align	8
	.type	_ZN7rocprim17ROCPRIM_400000_NS6detail17trampoline_kernelINS0_14default_configENS1_25partition_config_selectorILNS1_17partition_subalgoE9EllbEEZZNS1_14partition_implILS5_9ELb0ES3_jPlS8_PNS0_10empty_typeENS0_5tupleIJS8_S9_EEENSB_IJS8_SA_EEENS0_18inequality_wrapperIZN2at6native12_GLOBAL__N_124unique_dim_cuda_templateIiEESt5tupleIJNSF_6TensorESK_SK_EERKSK_lbbbEUlllE0_EEPmJS9_EEE10hipError_tPvRmT3_T4_T5_T6_T7_T9_mT8_P12ihipStream_tbDpT10_ENKUlT_T0_E_clISt17integral_constantIbLb0EES1A_EEDaS15_S16_EUlS15_E_NS1_11comp_targetILNS1_3genE2ELNS1_11target_archE906ELNS1_3gpuE6ELNS1_3repE0EEENS1_30default_config_static_selectorELNS0_4arch9wavefront6targetE1EEEvT1_,@function
_ZN7rocprim17ROCPRIM_400000_NS6detail17trampoline_kernelINS0_14default_configENS1_25partition_config_selectorILNS1_17partition_subalgoE9EllbEEZZNS1_14partition_implILS5_9ELb0ES3_jPlS8_PNS0_10empty_typeENS0_5tupleIJS8_S9_EEENSB_IJS8_SA_EEENS0_18inequality_wrapperIZN2at6native12_GLOBAL__N_124unique_dim_cuda_templateIiEESt5tupleIJNSF_6TensorESK_SK_EERKSK_lbbbEUlllE0_EEPmJS9_EEE10hipError_tPvRmT3_T4_T5_T6_T7_T9_mT8_P12ihipStream_tbDpT10_ENKUlT_T0_E_clISt17integral_constantIbLb0EES1A_EEDaS15_S16_EUlS15_E_NS1_11comp_targetILNS1_3genE2ELNS1_11target_archE906ELNS1_3gpuE6ELNS1_3repE0EEENS1_30default_config_static_selectorELNS0_4arch9wavefront6targetE1EEEvT1_: ; @_ZN7rocprim17ROCPRIM_400000_NS6detail17trampoline_kernelINS0_14default_configENS1_25partition_config_selectorILNS1_17partition_subalgoE9EllbEEZZNS1_14partition_implILS5_9ELb0ES3_jPlS8_PNS0_10empty_typeENS0_5tupleIJS8_S9_EEENSB_IJS8_SA_EEENS0_18inequality_wrapperIZN2at6native12_GLOBAL__N_124unique_dim_cuda_templateIiEESt5tupleIJNSF_6TensorESK_SK_EERKSK_lbbbEUlllE0_EEPmJS9_EEE10hipError_tPvRmT3_T4_T5_T6_T7_T9_mT8_P12ihipStream_tbDpT10_ENKUlT_T0_E_clISt17integral_constantIbLb0EES1A_EEDaS15_S16_EUlS15_E_NS1_11comp_targetILNS1_3genE2ELNS1_11target_archE906ELNS1_3gpuE6ELNS1_3repE0EEENS1_30default_config_static_selectorELNS0_4arch9wavefront6targetE1EEEvT1_
; %bb.0:
	.section	.rodata,"a",@progbits
	.p2align	6, 0x0
	.amdhsa_kernel _ZN7rocprim17ROCPRIM_400000_NS6detail17trampoline_kernelINS0_14default_configENS1_25partition_config_selectorILNS1_17partition_subalgoE9EllbEEZZNS1_14partition_implILS5_9ELb0ES3_jPlS8_PNS0_10empty_typeENS0_5tupleIJS8_S9_EEENSB_IJS8_SA_EEENS0_18inequality_wrapperIZN2at6native12_GLOBAL__N_124unique_dim_cuda_templateIiEESt5tupleIJNSF_6TensorESK_SK_EERKSK_lbbbEUlllE0_EEPmJS9_EEE10hipError_tPvRmT3_T4_T5_T6_T7_T9_mT8_P12ihipStream_tbDpT10_ENKUlT_T0_E_clISt17integral_constantIbLb0EES1A_EEDaS15_S16_EUlS15_E_NS1_11comp_targetILNS1_3genE2ELNS1_11target_archE906ELNS1_3gpuE6ELNS1_3repE0EEENS1_30default_config_static_selectorELNS0_4arch9wavefront6targetE1EEEvT1_
		.amdhsa_group_segment_fixed_size 0
		.amdhsa_private_segment_fixed_size 0
		.amdhsa_kernarg_size 120
		.amdhsa_user_sgpr_count 2
		.amdhsa_user_sgpr_dispatch_ptr 0
		.amdhsa_user_sgpr_queue_ptr 0
		.amdhsa_user_sgpr_kernarg_segment_ptr 1
		.amdhsa_user_sgpr_dispatch_id 0
		.amdhsa_user_sgpr_kernarg_preload_length 0
		.amdhsa_user_sgpr_kernarg_preload_offset 0
		.amdhsa_user_sgpr_private_segment_size 0
		.amdhsa_uses_dynamic_stack 0
		.amdhsa_enable_private_segment 0
		.amdhsa_system_sgpr_workgroup_id_x 1
		.amdhsa_system_sgpr_workgroup_id_y 0
		.amdhsa_system_sgpr_workgroup_id_z 0
		.amdhsa_system_sgpr_workgroup_info 0
		.amdhsa_system_vgpr_workitem_id 0
		.amdhsa_next_free_vgpr 1
		.amdhsa_next_free_sgpr 0
		.amdhsa_accum_offset 4
		.amdhsa_reserve_vcc 0
		.amdhsa_float_round_mode_32 0
		.amdhsa_float_round_mode_16_64 0
		.amdhsa_float_denorm_mode_32 3
		.amdhsa_float_denorm_mode_16_64 3
		.amdhsa_dx10_clamp 1
		.amdhsa_ieee_mode 1
		.amdhsa_fp16_overflow 0
		.amdhsa_tg_split 0
		.amdhsa_exception_fp_ieee_invalid_op 0
		.amdhsa_exception_fp_denorm_src 0
		.amdhsa_exception_fp_ieee_div_zero 0
		.amdhsa_exception_fp_ieee_overflow 0
		.amdhsa_exception_fp_ieee_underflow 0
		.amdhsa_exception_fp_ieee_inexact 0
		.amdhsa_exception_int_div_zero 0
	.end_amdhsa_kernel
	.section	.text._ZN7rocprim17ROCPRIM_400000_NS6detail17trampoline_kernelINS0_14default_configENS1_25partition_config_selectorILNS1_17partition_subalgoE9EllbEEZZNS1_14partition_implILS5_9ELb0ES3_jPlS8_PNS0_10empty_typeENS0_5tupleIJS8_S9_EEENSB_IJS8_SA_EEENS0_18inequality_wrapperIZN2at6native12_GLOBAL__N_124unique_dim_cuda_templateIiEESt5tupleIJNSF_6TensorESK_SK_EERKSK_lbbbEUlllE0_EEPmJS9_EEE10hipError_tPvRmT3_T4_T5_T6_T7_T9_mT8_P12ihipStream_tbDpT10_ENKUlT_T0_E_clISt17integral_constantIbLb0EES1A_EEDaS15_S16_EUlS15_E_NS1_11comp_targetILNS1_3genE2ELNS1_11target_archE906ELNS1_3gpuE6ELNS1_3repE0EEENS1_30default_config_static_selectorELNS0_4arch9wavefront6targetE1EEEvT1_,"axG",@progbits,_ZN7rocprim17ROCPRIM_400000_NS6detail17trampoline_kernelINS0_14default_configENS1_25partition_config_selectorILNS1_17partition_subalgoE9EllbEEZZNS1_14partition_implILS5_9ELb0ES3_jPlS8_PNS0_10empty_typeENS0_5tupleIJS8_S9_EEENSB_IJS8_SA_EEENS0_18inequality_wrapperIZN2at6native12_GLOBAL__N_124unique_dim_cuda_templateIiEESt5tupleIJNSF_6TensorESK_SK_EERKSK_lbbbEUlllE0_EEPmJS9_EEE10hipError_tPvRmT3_T4_T5_T6_T7_T9_mT8_P12ihipStream_tbDpT10_ENKUlT_T0_E_clISt17integral_constantIbLb0EES1A_EEDaS15_S16_EUlS15_E_NS1_11comp_targetILNS1_3genE2ELNS1_11target_archE906ELNS1_3gpuE6ELNS1_3repE0EEENS1_30default_config_static_selectorELNS0_4arch9wavefront6targetE1EEEvT1_,comdat
.Lfunc_end480:
	.size	_ZN7rocprim17ROCPRIM_400000_NS6detail17trampoline_kernelINS0_14default_configENS1_25partition_config_selectorILNS1_17partition_subalgoE9EllbEEZZNS1_14partition_implILS5_9ELb0ES3_jPlS8_PNS0_10empty_typeENS0_5tupleIJS8_S9_EEENSB_IJS8_SA_EEENS0_18inequality_wrapperIZN2at6native12_GLOBAL__N_124unique_dim_cuda_templateIiEESt5tupleIJNSF_6TensorESK_SK_EERKSK_lbbbEUlllE0_EEPmJS9_EEE10hipError_tPvRmT3_T4_T5_T6_T7_T9_mT8_P12ihipStream_tbDpT10_ENKUlT_T0_E_clISt17integral_constantIbLb0EES1A_EEDaS15_S16_EUlS15_E_NS1_11comp_targetILNS1_3genE2ELNS1_11target_archE906ELNS1_3gpuE6ELNS1_3repE0EEENS1_30default_config_static_selectorELNS0_4arch9wavefront6targetE1EEEvT1_, .Lfunc_end480-_ZN7rocprim17ROCPRIM_400000_NS6detail17trampoline_kernelINS0_14default_configENS1_25partition_config_selectorILNS1_17partition_subalgoE9EllbEEZZNS1_14partition_implILS5_9ELb0ES3_jPlS8_PNS0_10empty_typeENS0_5tupleIJS8_S9_EEENSB_IJS8_SA_EEENS0_18inequality_wrapperIZN2at6native12_GLOBAL__N_124unique_dim_cuda_templateIiEESt5tupleIJNSF_6TensorESK_SK_EERKSK_lbbbEUlllE0_EEPmJS9_EEE10hipError_tPvRmT3_T4_T5_T6_T7_T9_mT8_P12ihipStream_tbDpT10_ENKUlT_T0_E_clISt17integral_constantIbLb0EES1A_EEDaS15_S16_EUlS15_E_NS1_11comp_targetILNS1_3genE2ELNS1_11target_archE906ELNS1_3gpuE6ELNS1_3repE0EEENS1_30default_config_static_selectorELNS0_4arch9wavefront6targetE1EEEvT1_
                                        ; -- End function
	.section	.AMDGPU.csdata,"",@progbits
; Kernel info:
; codeLenInByte = 0
; NumSgprs: 6
; NumVgprs: 0
; NumAgprs: 0
; TotalNumVgprs: 0
; ScratchSize: 0
; MemoryBound: 0
; FloatMode: 240
; IeeeMode: 1
; LDSByteSize: 0 bytes/workgroup (compile time only)
; SGPRBlocks: 0
; VGPRBlocks: 0
; NumSGPRsForWavesPerEU: 6
; NumVGPRsForWavesPerEU: 1
; AccumOffset: 4
; Occupancy: 8
; WaveLimiterHint : 0
; COMPUTE_PGM_RSRC2:SCRATCH_EN: 0
; COMPUTE_PGM_RSRC2:USER_SGPR: 2
; COMPUTE_PGM_RSRC2:TRAP_HANDLER: 0
; COMPUTE_PGM_RSRC2:TGID_X_EN: 1
; COMPUTE_PGM_RSRC2:TGID_Y_EN: 0
; COMPUTE_PGM_RSRC2:TGID_Z_EN: 0
; COMPUTE_PGM_RSRC2:TIDIG_COMP_CNT: 0
; COMPUTE_PGM_RSRC3_GFX90A:ACCUM_OFFSET: 0
; COMPUTE_PGM_RSRC3_GFX90A:TG_SPLIT: 0
	.section	.text._ZN7rocprim17ROCPRIM_400000_NS6detail17trampoline_kernelINS0_14default_configENS1_25partition_config_selectorILNS1_17partition_subalgoE9EllbEEZZNS1_14partition_implILS5_9ELb0ES3_jPlS8_PNS0_10empty_typeENS0_5tupleIJS8_S9_EEENSB_IJS8_SA_EEENS0_18inequality_wrapperIZN2at6native12_GLOBAL__N_124unique_dim_cuda_templateIiEESt5tupleIJNSF_6TensorESK_SK_EERKSK_lbbbEUlllE0_EEPmJS9_EEE10hipError_tPvRmT3_T4_T5_T6_T7_T9_mT8_P12ihipStream_tbDpT10_ENKUlT_T0_E_clISt17integral_constantIbLb0EES1A_EEDaS15_S16_EUlS15_E_NS1_11comp_targetILNS1_3genE10ELNS1_11target_archE1200ELNS1_3gpuE4ELNS1_3repE0EEENS1_30default_config_static_selectorELNS0_4arch9wavefront6targetE1EEEvT1_,"axG",@progbits,_ZN7rocprim17ROCPRIM_400000_NS6detail17trampoline_kernelINS0_14default_configENS1_25partition_config_selectorILNS1_17partition_subalgoE9EllbEEZZNS1_14partition_implILS5_9ELb0ES3_jPlS8_PNS0_10empty_typeENS0_5tupleIJS8_S9_EEENSB_IJS8_SA_EEENS0_18inequality_wrapperIZN2at6native12_GLOBAL__N_124unique_dim_cuda_templateIiEESt5tupleIJNSF_6TensorESK_SK_EERKSK_lbbbEUlllE0_EEPmJS9_EEE10hipError_tPvRmT3_T4_T5_T6_T7_T9_mT8_P12ihipStream_tbDpT10_ENKUlT_T0_E_clISt17integral_constantIbLb0EES1A_EEDaS15_S16_EUlS15_E_NS1_11comp_targetILNS1_3genE10ELNS1_11target_archE1200ELNS1_3gpuE4ELNS1_3repE0EEENS1_30default_config_static_selectorELNS0_4arch9wavefront6targetE1EEEvT1_,comdat
	.globl	_ZN7rocprim17ROCPRIM_400000_NS6detail17trampoline_kernelINS0_14default_configENS1_25partition_config_selectorILNS1_17partition_subalgoE9EllbEEZZNS1_14partition_implILS5_9ELb0ES3_jPlS8_PNS0_10empty_typeENS0_5tupleIJS8_S9_EEENSB_IJS8_SA_EEENS0_18inequality_wrapperIZN2at6native12_GLOBAL__N_124unique_dim_cuda_templateIiEESt5tupleIJNSF_6TensorESK_SK_EERKSK_lbbbEUlllE0_EEPmJS9_EEE10hipError_tPvRmT3_T4_T5_T6_T7_T9_mT8_P12ihipStream_tbDpT10_ENKUlT_T0_E_clISt17integral_constantIbLb0EES1A_EEDaS15_S16_EUlS15_E_NS1_11comp_targetILNS1_3genE10ELNS1_11target_archE1200ELNS1_3gpuE4ELNS1_3repE0EEENS1_30default_config_static_selectorELNS0_4arch9wavefront6targetE1EEEvT1_ ; -- Begin function _ZN7rocprim17ROCPRIM_400000_NS6detail17trampoline_kernelINS0_14default_configENS1_25partition_config_selectorILNS1_17partition_subalgoE9EllbEEZZNS1_14partition_implILS5_9ELb0ES3_jPlS8_PNS0_10empty_typeENS0_5tupleIJS8_S9_EEENSB_IJS8_SA_EEENS0_18inequality_wrapperIZN2at6native12_GLOBAL__N_124unique_dim_cuda_templateIiEESt5tupleIJNSF_6TensorESK_SK_EERKSK_lbbbEUlllE0_EEPmJS9_EEE10hipError_tPvRmT3_T4_T5_T6_T7_T9_mT8_P12ihipStream_tbDpT10_ENKUlT_T0_E_clISt17integral_constantIbLb0EES1A_EEDaS15_S16_EUlS15_E_NS1_11comp_targetILNS1_3genE10ELNS1_11target_archE1200ELNS1_3gpuE4ELNS1_3repE0EEENS1_30default_config_static_selectorELNS0_4arch9wavefront6targetE1EEEvT1_
	.p2align	8
	.type	_ZN7rocprim17ROCPRIM_400000_NS6detail17trampoline_kernelINS0_14default_configENS1_25partition_config_selectorILNS1_17partition_subalgoE9EllbEEZZNS1_14partition_implILS5_9ELb0ES3_jPlS8_PNS0_10empty_typeENS0_5tupleIJS8_S9_EEENSB_IJS8_SA_EEENS0_18inequality_wrapperIZN2at6native12_GLOBAL__N_124unique_dim_cuda_templateIiEESt5tupleIJNSF_6TensorESK_SK_EERKSK_lbbbEUlllE0_EEPmJS9_EEE10hipError_tPvRmT3_T4_T5_T6_T7_T9_mT8_P12ihipStream_tbDpT10_ENKUlT_T0_E_clISt17integral_constantIbLb0EES1A_EEDaS15_S16_EUlS15_E_NS1_11comp_targetILNS1_3genE10ELNS1_11target_archE1200ELNS1_3gpuE4ELNS1_3repE0EEENS1_30default_config_static_selectorELNS0_4arch9wavefront6targetE1EEEvT1_,@function
_ZN7rocprim17ROCPRIM_400000_NS6detail17trampoline_kernelINS0_14default_configENS1_25partition_config_selectorILNS1_17partition_subalgoE9EllbEEZZNS1_14partition_implILS5_9ELb0ES3_jPlS8_PNS0_10empty_typeENS0_5tupleIJS8_S9_EEENSB_IJS8_SA_EEENS0_18inequality_wrapperIZN2at6native12_GLOBAL__N_124unique_dim_cuda_templateIiEESt5tupleIJNSF_6TensorESK_SK_EERKSK_lbbbEUlllE0_EEPmJS9_EEE10hipError_tPvRmT3_T4_T5_T6_T7_T9_mT8_P12ihipStream_tbDpT10_ENKUlT_T0_E_clISt17integral_constantIbLb0EES1A_EEDaS15_S16_EUlS15_E_NS1_11comp_targetILNS1_3genE10ELNS1_11target_archE1200ELNS1_3gpuE4ELNS1_3repE0EEENS1_30default_config_static_selectorELNS0_4arch9wavefront6targetE1EEEvT1_: ; @_ZN7rocprim17ROCPRIM_400000_NS6detail17trampoline_kernelINS0_14default_configENS1_25partition_config_selectorILNS1_17partition_subalgoE9EllbEEZZNS1_14partition_implILS5_9ELb0ES3_jPlS8_PNS0_10empty_typeENS0_5tupleIJS8_S9_EEENSB_IJS8_SA_EEENS0_18inequality_wrapperIZN2at6native12_GLOBAL__N_124unique_dim_cuda_templateIiEESt5tupleIJNSF_6TensorESK_SK_EERKSK_lbbbEUlllE0_EEPmJS9_EEE10hipError_tPvRmT3_T4_T5_T6_T7_T9_mT8_P12ihipStream_tbDpT10_ENKUlT_T0_E_clISt17integral_constantIbLb0EES1A_EEDaS15_S16_EUlS15_E_NS1_11comp_targetILNS1_3genE10ELNS1_11target_archE1200ELNS1_3gpuE4ELNS1_3repE0EEENS1_30default_config_static_selectorELNS0_4arch9wavefront6targetE1EEEvT1_
; %bb.0:
	.section	.rodata,"a",@progbits
	.p2align	6, 0x0
	.amdhsa_kernel _ZN7rocprim17ROCPRIM_400000_NS6detail17trampoline_kernelINS0_14default_configENS1_25partition_config_selectorILNS1_17partition_subalgoE9EllbEEZZNS1_14partition_implILS5_9ELb0ES3_jPlS8_PNS0_10empty_typeENS0_5tupleIJS8_S9_EEENSB_IJS8_SA_EEENS0_18inequality_wrapperIZN2at6native12_GLOBAL__N_124unique_dim_cuda_templateIiEESt5tupleIJNSF_6TensorESK_SK_EERKSK_lbbbEUlllE0_EEPmJS9_EEE10hipError_tPvRmT3_T4_T5_T6_T7_T9_mT8_P12ihipStream_tbDpT10_ENKUlT_T0_E_clISt17integral_constantIbLb0EES1A_EEDaS15_S16_EUlS15_E_NS1_11comp_targetILNS1_3genE10ELNS1_11target_archE1200ELNS1_3gpuE4ELNS1_3repE0EEENS1_30default_config_static_selectorELNS0_4arch9wavefront6targetE1EEEvT1_
		.amdhsa_group_segment_fixed_size 0
		.amdhsa_private_segment_fixed_size 0
		.amdhsa_kernarg_size 120
		.amdhsa_user_sgpr_count 2
		.amdhsa_user_sgpr_dispatch_ptr 0
		.amdhsa_user_sgpr_queue_ptr 0
		.amdhsa_user_sgpr_kernarg_segment_ptr 1
		.amdhsa_user_sgpr_dispatch_id 0
		.amdhsa_user_sgpr_kernarg_preload_length 0
		.amdhsa_user_sgpr_kernarg_preload_offset 0
		.amdhsa_user_sgpr_private_segment_size 0
		.amdhsa_uses_dynamic_stack 0
		.amdhsa_enable_private_segment 0
		.amdhsa_system_sgpr_workgroup_id_x 1
		.amdhsa_system_sgpr_workgroup_id_y 0
		.amdhsa_system_sgpr_workgroup_id_z 0
		.amdhsa_system_sgpr_workgroup_info 0
		.amdhsa_system_vgpr_workitem_id 0
		.amdhsa_next_free_vgpr 1
		.amdhsa_next_free_sgpr 0
		.amdhsa_accum_offset 4
		.amdhsa_reserve_vcc 0
		.amdhsa_float_round_mode_32 0
		.amdhsa_float_round_mode_16_64 0
		.amdhsa_float_denorm_mode_32 3
		.amdhsa_float_denorm_mode_16_64 3
		.amdhsa_dx10_clamp 1
		.amdhsa_ieee_mode 1
		.amdhsa_fp16_overflow 0
		.amdhsa_tg_split 0
		.amdhsa_exception_fp_ieee_invalid_op 0
		.amdhsa_exception_fp_denorm_src 0
		.amdhsa_exception_fp_ieee_div_zero 0
		.amdhsa_exception_fp_ieee_overflow 0
		.amdhsa_exception_fp_ieee_underflow 0
		.amdhsa_exception_fp_ieee_inexact 0
		.amdhsa_exception_int_div_zero 0
	.end_amdhsa_kernel
	.section	.text._ZN7rocprim17ROCPRIM_400000_NS6detail17trampoline_kernelINS0_14default_configENS1_25partition_config_selectorILNS1_17partition_subalgoE9EllbEEZZNS1_14partition_implILS5_9ELb0ES3_jPlS8_PNS0_10empty_typeENS0_5tupleIJS8_S9_EEENSB_IJS8_SA_EEENS0_18inequality_wrapperIZN2at6native12_GLOBAL__N_124unique_dim_cuda_templateIiEESt5tupleIJNSF_6TensorESK_SK_EERKSK_lbbbEUlllE0_EEPmJS9_EEE10hipError_tPvRmT3_T4_T5_T6_T7_T9_mT8_P12ihipStream_tbDpT10_ENKUlT_T0_E_clISt17integral_constantIbLb0EES1A_EEDaS15_S16_EUlS15_E_NS1_11comp_targetILNS1_3genE10ELNS1_11target_archE1200ELNS1_3gpuE4ELNS1_3repE0EEENS1_30default_config_static_selectorELNS0_4arch9wavefront6targetE1EEEvT1_,"axG",@progbits,_ZN7rocprim17ROCPRIM_400000_NS6detail17trampoline_kernelINS0_14default_configENS1_25partition_config_selectorILNS1_17partition_subalgoE9EllbEEZZNS1_14partition_implILS5_9ELb0ES3_jPlS8_PNS0_10empty_typeENS0_5tupleIJS8_S9_EEENSB_IJS8_SA_EEENS0_18inequality_wrapperIZN2at6native12_GLOBAL__N_124unique_dim_cuda_templateIiEESt5tupleIJNSF_6TensorESK_SK_EERKSK_lbbbEUlllE0_EEPmJS9_EEE10hipError_tPvRmT3_T4_T5_T6_T7_T9_mT8_P12ihipStream_tbDpT10_ENKUlT_T0_E_clISt17integral_constantIbLb0EES1A_EEDaS15_S16_EUlS15_E_NS1_11comp_targetILNS1_3genE10ELNS1_11target_archE1200ELNS1_3gpuE4ELNS1_3repE0EEENS1_30default_config_static_selectorELNS0_4arch9wavefront6targetE1EEEvT1_,comdat
.Lfunc_end481:
	.size	_ZN7rocprim17ROCPRIM_400000_NS6detail17trampoline_kernelINS0_14default_configENS1_25partition_config_selectorILNS1_17partition_subalgoE9EllbEEZZNS1_14partition_implILS5_9ELb0ES3_jPlS8_PNS0_10empty_typeENS0_5tupleIJS8_S9_EEENSB_IJS8_SA_EEENS0_18inequality_wrapperIZN2at6native12_GLOBAL__N_124unique_dim_cuda_templateIiEESt5tupleIJNSF_6TensorESK_SK_EERKSK_lbbbEUlllE0_EEPmJS9_EEE10hipError_tPvRmT3_T4_T5_T6_T7_T9_mT8_P12ihipStream_tbDpT10_ENKUlT_T0_E_clISt17integral_constantIbLb0EES1A_EEDaS15_S16_EUlS15_E_NS1_11comp_targetILNS1_3genE10ELNS1_11target_archE1200ELNS1_3gpuE4ELNS1_3repE0EEENS1_30default_config_static_selectorELNS0_4arch9wavefront6targetE1EEEvT1_, .Lfunc_end481-_ZN7rocprim17ROCPRIM_400000_NS6detail17trampoline_kernelINS0_14default_configENS1_25partition_config_selectorILNS1_17partition_subalgoE9EllbEEZZNS1_14partition_implILS5_9ELb0ES3_jPlS8_PNS0_10empty_typeENS0_5tupleIJS8_S9_EEENSB_IJS8_SA_EEENS0_18inequality_wrapperIZN2at6native12_GLOBAL__N_124unique_dim_cuda_templateIiEESt5tupleIJNSF_6TensorESK_SK_EERKSK_lbbbEUlllE0_EEPmJS9_EEE10hipError_tPvRmT3_T4_T5_T6_T7_T9_mT8_P12ihipStream_tbDpT10_ENKUlT_T0_E_clISt17integral_constantIbLb0EES1A_EEDaS15_S16_EUlS15_E_NS1_11comp_targetILNS1_3genE10ELNS1_11target_archE1200ELNS1_3gpuE4ELNS1_3repE0EEENS1_30default_config_static_selectorELNS0_4arch9wavefront6targetE1EEEvT1_
                                        ; -- End function
	.section	.AMDGPU.csdata,"",@progbits
; Kernel info:
; codeLenInByte = 0
; NumSgprs: 6
; NumVgprs: 0
; NumAgprs: 0
; TotalNumVgprs: 0
; ScratchSize: 0
; MemoryBound: 0
; FloatMode: 240
; IeeeMode: 1
; LDSByteSize: 0 bytes/workgroup (compile time only)
; SGPRBlocks: 0
; VGPRBlocks: 0
; NumSGPRsForWavesPerEU: 6
; NumVGPRsForWavesPerEU: 1
; AccumOffset: 4
; Occupancy: 8
; WaveLimiterHint : 0
; COMPUTE_PGM_RSRC2:SCRATCH_EN: 0
; COMPUTE_PGM_RSRC2:USER_SGPR: 2
; COMPUTE_PGM_RSRC2:TRAP_HANDLER: 0
; COMPUTE_PGM_RSRC2:TGID_X_EN: 1
; COMPUTE_PGM_RSRC2:TGID_Y_EN: 0
; COMPUTE_PGM_RSRC2:TGID_Z_EN: 0
; COMPUTE_PGM_RSRC2:TIDIG_COMP_CNT: 0
; COMPUTE_PGM_RSRC3_GFX90A:ACCUM_OFFSET: 0
; COMPUTE_PGM_RSRC3_GFX90A:TG_SPLIT: 0
	.section	.text._ZN7rocprim17ROCPRIM_400000_NS6detail17trampoline_kernelINS0_14default_configENS1_25partition_config_selectorILNS1_17partition_subalgoE9EllbEEZZNS1_14partition_implILS5_9ELb0ES3_jPlS8_PNS0_10empty_typeENS0_5tupleIJS8_S9_EEENSB_IJS8_SA_EEENS0_18inequality_wrapperIZN2at6native12_GLOBAL__N_124unique_dim_cuda_templateIiEESt5tupleIJNSF_6TensorESK_SK_EERKSK_lbbbEUlllE0_EEPmJS9_EEE10hipError_tPvRmT3_T4_T5_T6_T7_T9_mT8_P12ihipStream_tbDpT10_ENKUlT_T0_E_clISt17integral_constantIbLb0EES1A_EEDaS15_S16_EUlS15_E_NS1_11comp_targetILNS1_3genE9ELNS1_11target_archE1100ELNS1_3gpuE3ELNS1_3repE0EEENS1_30default_config_static_selectorELNS0_4arch9wavefront6targetE1EEEvT1_,"axG",@progbits,_ZN7rocprim17ROCPRIM_400000_NS6detail17trampoline_kernelINS0_14default_configENS1_25partition_config_selectorILNS1_17partition_subalgoE9EllbEEZZNS1_14partition_implILS5_9ELb0ES3_jPlS8_PNS0_10empty_typeENS0_5tupleIJS8_S9_EEENSB_IJS8_SA_EEENS0_18inequality_wrapperIZN2at6native12_GLOBAL__N_124unique_dim_cuda_templateIiEESt5tupleIJNSF_6TensorESK_SK_EERKSK_lbbbEUlllE0_EEPmJS9_EEE10hipError_tPvRmT3_T4_T5_T6_T7_T9_mT8_P12ihipStream_tbDpT10_ENKUlT_T0_E_clISt17integral_constantIbLb0EES1A_EEDaS15_S16_EUlS15_E_NS1_11comp_targetILNS1_3genE9ELNS1_11target_archE1100ELNS1_3gpuE3ELNS1_3repE0EEENS1_30default_config_static_selectorELNS0_4arch9wavefront6targetE1EEEvT1_,comdat
	.globl	_ZN7rocprim17ROCPRIM_400000_NS6detail17trampoline_kernelINS0_14default_configENS1_25partition_config_selectorILNS1_17partition_subalgoE9EllbEEZZNS1_14partition_implILS5_9ELb0ES3_jPlS8_PNS0_10empty_typeENS0_5tupleIJS8_S9_EEENSB_IJS8_SA_EEENS0_18inequality_wrapperIZN2at6native12_GLOBAL__N_124unique_dim_cuda_templateIiEESt5tupleIJNSF_6TensorESK_SK_EERKSK_lbbbEUlllE0_EEPmJS9_EEE10hipError_tPvRmT3_T4_T5_T6_T7_T9_mT8_P12ihipStream_tbDpT10_ENKUlT_T0_E_clISt17integral_constantIbLb0EES1A_EEDaS15_S16_EUlS15_E_NS1_11comp_targetILNS1_3genE9ELNS1_11target_archE1100ELNS1_3gpuE3ELNS1_3repE0EEENS1_30default_config_static_selectorELNS0_4arch9wavefront6targetE1EEEvT1_ ; -- Begin function _ZN7rocprim17ROCPRIM_400000_NS6detail17trampoline_kernelINS0_14default_configENS1_25partition_config_selectorILNS1_17partition_subalgoE9EllbEEZZNS1_14partition_implILS5_9ELb0ES3_jPlS8_PNS0_10empty_typeENS0_5tupleIJS8_S9_EEENSB_IJS8_SA_EEENS0_18inequality_wrapperIZN2at6native12_GLOBAL__N_124unique_dim_cuda_templateIiEESt5tupleIJNSF_6TensorESK_SK_EERKSK_lbbbEUlllE0_EEPmJS9_EEE10hipError_tPvRmT3_T4_T5_T6_T7_T9_mT8_P12ihipStream_tbDpT10_ENKUlT_T0_E_clISt17integral_constantIbLb0EES1A_EEDaS15_S16_EUlS15_E_NS1_11comp_targetILNS1_3genE9ELNS1_11target_archE1100ELNS1_3gpuE3ELNS1_3repE0EEENS1_30default_config_static_selectorELNS0_4arch9wavefront6targetE1EEEvT1_
	.p2align	8
	.type	_ZN7rocprim17ROCPRIM_400000_NS6detail17trampoline_kernelINS0_14default_configENS1_25partition_config_selectorILNS1_17partition_subalgoE9EllbEEZZNS1_14partition_implILS5_9ELb0ES3_jPlS8_PNS0_10empty_typeENS0_5tupleIJS8_S9_EEENSB_IJS8_SA_EEENS0_18inequality_wrapperIZN2at6native12_GLOBAL__N_124unique_dim_cuda_templateIiEESt5tupleIJNSF_6TensorESK_SK_EERKSK_lbbbEUlllE0_EEPmJS9_EEE10hipError_tPvRmT3_T4_T5_T6_T7_T9_mT8_P12ihipStream_tbDpT10_ENKUlT_T0_E_clISt17integral_constantIbLb0EES1A_EEDaS15_S16_EUlS15_E_NS1_11comp_targetILNS1_3genE9ELNS1_11target_archE1100ELNS1_3gpuE3ELNS1_3repE0EEENS1_30default_config_static_selectorELNS0_4arch9wavefront6targetE1EEEvT1_,@function
_ZN7rocprim17ROCPRIM_400000_NS6detail17trampoline_kernelINS0_14default_configENS1_25partition_config_selectorILNS1_17partition_subalgoE9EllbEEZZNS1_14partition_implILS5_9ELb0ES3_jPlS8_PNS0_10empty_typeENS0_5tupleIJS8_S9_EEENSB_IJS8_SA_EEENS0_18inequality_wrapperIZN2at6native12_GLOBAL__N_124unique_dim_cuda_templateIiEESt5tupleIJNSF_6TensorESK_SK_EERKSK_lbbbEUlllE0_EEPmJS9_EEE10hipError_tPvRmT3_T4_T5_T6_T7_T9_mT8_P12ihipStream_tbDpT10_ENKUlT_T0_E_clISt17integral_constantIbLb0EES1A_EEDaS15_S16_EUlS15_E_NS1_11comp_targetILNS1_3genE9ELNS1_11target_archE1100ELNS1_3gpuE3ELNS1_3repE0EEENS1_30default_config_static_selectorELNS0_4arch9wavefront6targetE1EEEvT1_: ; @_ZN7rocprim17ROCPRIM_400000_NS6detail17trampoline_kernelINS0_14default_configENS1_25partition_config_selectorILNS1_17partition_subalgoE9EllbEEZZNS1_14partition_implILS5_9ELb0ES3_jPlS8_PNS0_10empty_typeENS0_5tupleIJS8_S9_EEENSB_IJS8_SA_EEENS0_18inequality_wrapperIZN2at6native12_GLOBAL__N_124unique_dim_cuda_templateIiEESt5tupleIJNSF_6TensorESK_SK_EERKSK_lbbbEUlllE0_EEPmJS9_EEE10hipError_tPvRmT3_T4_T5_T6_T7_T9_mT8_P12ihipStream_tbDpT10_ENKUlT_T0_E_clISt17integral_constantIbLb0EES1A_EEDaS15_S16_EUlS15_E_NS1_11comp_targetILNS1_3genE9ELNS1_11target_archE1100ELNS1_3gpuE3ELNS1_3repE0EEENS1_30default_config_static_selectorELNS0_4arch9wavefront6targetE1EEEvT1_
; %bb.0:
	.section	.rodata,"a",@progbits
	.p2align	6, 0x0
	.amdhsa_kernel _ZN7rocprim17ROCPRIM_400000_NS6detail17trampoline_kernelINS0_14default_configENS1_25partition_config_selectorILNS1_17partition_subalgoE9EllbEEZZNS1_14partition_implILS5_9ELb0ES3_jPlS8_PNS0_10empty_typeENS0_5tupleIJS8_S9_EEENSB_IJS8_SA_EEENS0_18inequality_wrapperIZN2at6native12_GLOBAL__N_124unique_dim_cuda_templateIiEESt5tupleIJNSF_6TensorESK_SK_EERKSK_lbbbEUlllE0_EEPmJS9_EEE10hipError_tPvRmT3_T4_T5_T6_T7_T9_mT8_P12ihipStream_tbDpT10_ENKUlT_T0_E_clISt17integral_constantIbLb0EES1A_EEDaS15_S16_EUlS15_E_NS1_11comp_targetILNS1_3genE9ELNS1_11target_archE1100ELNS1_3gpuE3ELNS1_3repE0EEENS1_30default_config_static_selectorELNS0_4arch9wavefront6targetE1EEEvT1_
		.amdhsa_group_segment_fixed_size 0
		.amdhsa_private_segment_fixed_size 0
		.amdhsa_kernarg_size 120
		.amdhsa_user_sgpr_count 2
		.amdhsa_user_sgpr_dispatch_ptr 0
		.amdhsa_user_sgpr_queue_ptr 0
		.amdhsa_user_sgpr_kernarg_segment_ptr 1
		.amdhsa_user_sgpr_dispatch_id 0
		.amdhsa_user_sgpr_kernarg_preload_length 0
		.amdhsa_user_sgpr_kernarg_preload_offset 0
		.amdhsa_user_sgpr_private_segment_size 0
		.amdhsa_uses_dynamic_stack 0
		.amdhsa_enable_private_segment 0
		.amdhsa_system_sgpr_workgroup_id_x 1
		.amdhsa_system_sgpr_workgroup_id_y 0
		.amdhsa_system_sgpr_workgroup_id_z 0
		.amdhsa_system_sgpr_workgroup_info 0
		.amdhsa_system_vgpr_workitem_id 0
		.amdhsa_next_free_vgpr 1
		.amdhsa_next_free_sgpr 0
		.amdhsa_accum_offset 4
		.amdhsa_reserve_vcc 0
		.amdhsa_float_round_mode_32 0
		.amdhsa_float_round_mode_16_64 0
		.amdhsa_float_denorm_mode_32 3
		.amdhsa_float_denorm_mode_16_64 3
		.amdhsa_dx10_clamp 1
		.amdhsa_ieee_mode 1
		.amdhsa_fp16_overflow 0
		.amdhsa_tg_split 0
		.amdhsa_exception_fp_ieee_invalid_op 0
		.amdhsa_exception_fp_denorm_src 0
		.amdhsa_exception_fp_ieee_div_zero 0
		.amdhsa_exception_fp_ieee_overflow 0
		.amdhsa_exception_fp_ieee_underflow 0
		.amdhsa_exception_fp_ieee_inexact 0
		.amdhsa_exception_int_div_zero 0
	.end_amdhsa_kernel
	.section	.text._ZN7rocprim17ROCPRIM_400000_NS6detail17trampoline_kernelINS0_14default_configENS1_25partition_config_selectorILNS1_17partition_subalgoE9EllbEEZZNS1_14partition_implILS5_9ELb0ES3_jPlS8_PNS0_10empty_typeENS0_5tupleIJS8_S9_EEENSB_IJS8_SA_EEENS0_18inequality_wrapperIZN2at6native12_GLOBAL__N_124unique_dim_cuda_templateIiEESt5tupleIJNSF_6TensorESK_SK_EERKSK_lbbbEUlllE0_EEPmJS9_EEE10hipError_tPvRmT3_T4_T5_T6_T7_T9_mT8_P12ihipStream_tbDpT10_ENKUlT_T0_E_clISt17integral_constantIbLb0EES1A_EEDaS15_S16_EUlS15_E_NS1_11comp_targetILNS1_3genE9ELNS1_11target_archE1100ELNS1_3gpuE3ELNS1_3repE0EEENS1_30default_config_static_selectorELNS0_4arch9wavefront6targetE1EEEvT1_,"axG",@progbits,_ZN7rocprim17ROCPRIM_400000_NS6detail17trampoline_kernelINS0_14default_configENS1_25partition_config_selectorILNS1_17partition_subalgoE9EllbEEZZNS1_14partition_implILS5_9ELb0ES3_jPlS8_PNS0_10empty_typeENS0_5tupleIJS8_S9_EEENSB_IJS8_SA_EEENS0_18inequality_wrapperIZN2at6native12_GLOBAL__N_124unique_dim_cuda_templateIiEESt5tupleIJNSF_6TensorESK_SK_EERKSK_lbbbEUlllE0_EEPmJS9_EEE10hipError_tPvRmT3_T4_T5_T6_T7_T9_mT8_P12ihipStream_tbDpT10_ENKUlT_T0_E_clISt17integral_constantIbLb0EES1A_EEDaS15_S16_EUlS15_E_NS1_11comp_targetILNS1_3genE9ELNS1_11target_archE1100ELNS1_3gpuE3ELNS1_3repE0EEENS1_30default_config_static_selectorELNS0_4arch9wavefront6targetE1EEEvT1_,comdat
.Lfunc_end482:
	.size	_ZN7rocprim17ROCPRIM_400000_NS6detail17trampoline_kernelINS0_14default_configENS1_25partition_config_selectorILNS1_17partition_subalgoE9EllbEEZZNS1_14partition_implILS5_9ELb0ES3_jPlS8_PNS0_10empty_typeENS0_5tupleIJS8_S9_EEENSB_IJS8_SA_EEENS0_18inequality_wrapperIZN2at6native12_GLOBAL__N_124unique_dim_cuda_templateIiEESt5tupleIJNSF_6TensorESK_SK_EERKSK_lbbbEUlllE0_EEPmJS9_EEE10hipError_tPvRmT3_T4_T5_T6_T7_T9_mT8_P12ihipStream_tbDpT10_ENKUlT_T0_E_clISt17integral_constantIbLb0EES1A_EEDaS15_S16_EUlS15_E_NS1_11comp_targetILNS1_3genE9ELNS1_11target_archE1100ELNS1_3gpuE3ELNS1_3repE0EEENS1_30default_config_static_selectorELNS0_4arch9wavefront6targetE1EEEvT1_, .Lfunc_end482-_ZN7rocprim17ROCPRIM_400000_NS6detail17trampoline_kernelINS0_14default_configENS1_25partition_config_selectorILNS1_17partition_subalgoE9EllbEEZZNS1_14partition_implILS5_9ELb0ES3_jPlS8_PNS0_10empty_typeENS0_5tupleIJS8_S9_EEENSB_IJS8_SA_EEENS0_18inequality_wrapperIZN2at6native12_GLOBAL__N_124unique_dim_cuda_templateIiEESt5tupleIJNSF_6TensorESK_SK_EERKSK_lbbbEUlllE0_EEPmJS9_EEE10hipError_tPvRmT3_T4_T5_T6_T7_T9_mT8_P12ihipStream_tbDpT10_ENKUlT_T0_E_clISt17integral_constantIbLb0EES1A_EEDaS15_S16_EUlS15_E_NS1_11comp_targetILNS1_3genE9ELNS1_11target_archE1100ELNS1_3gpuE3ELNS1_3repE0EEENS1_30default_config_static_selectorELNS0_4arch9wavefront6targetE1EEEvT1_
                                        ; -- End function
	.section	.AMDGPU.csdata,"",@progbits
; Kernel info:
; codeLenInByte = 0
; NumSgprs: 6
; NumVgprs: 0
; NumAgprs: 0
; TotalNumVgprs: 0
; ScratchSize: 0
; MemoryBound: 0
; FloatMode: 240
; IeeeMode: 1
; LDSByteSize: 0 bytes/workgroup (compile time only)
; SGPRBlocks: 0
; VGPRBlocks: 0
; NumSGPRsForWavesPerEU: 6
; NumVGPRsForWavesPerEU: 1
; AccumOffset: 4
; Occupancy: 8
; WaveLimiterHint : 0
; COMPUTE_PGM_RSRC2:SCRATCH_EN: 0
; COMPUTE_PGM_RSRC2:USER_SGPR: 2
; COMPUTE_PGM_RSRC2:TRAP_HANDLER: 0
; COMPUTE_PGM_RSRC2:TGID_X_EN: 1
; COMPUTE_PGM_RSRC2:TGID_Y_EN: 0
; COMPUTE_PGM_RSRC2:TGID_Z_EN: 0
; COMPUTE_PGM_RSRC2:TIDIG_COMP_CNT: 0
; COMPUTE_PGM_RSRC3_GFX90A:ACCUM_OFFSET: 0
; COMPUTE_PGM_RSRC3_GFX90A:TG_SPLIT: 0
	.section	.text._ZN7rocprim17ROCPRIM_400000_NS6detail17trampoline_kernelINS0_14default_configENS1_25partition_config_selectorILNS1_17partition_subalgoE9EllbEEZZNS1_14partition_implILS5_9ELb0ES3_jPlS8_PNS0_10empty_typeENS0_5tupleIJS8_S9_EEENSB_IJS8_SA_EEENS0_18inequality_wrapperIZN2at6native12_GLOBAL__N_124unique_dim_cuda_templateIiEESt5tupleIJNSF_6TensorESK_SK_EERKSK_lbbbEUlllE0_EEPmJS9_EEE10hipError_tPvRmT3_T4_T5_T6_T7_T9_mT8_P12ihipStream_tbDpT10_ENKUlT_T0_E_clISt17integral_constantIbLb0EES1A_EEDaS15_S16_EUlS15_E_NS1_11comp_targetILNS1_3genE8ELNS1_11target_archE1030ELNS1_3gpuE2ELNS1_3repE0EEENS1_30default_config_static_selectorELNS0_4arch9wavefront6targetE1EEEvT1_,"axG",@progbits,_ZN7rocprim17ROCPRIM_400000_NS6detail17trampoline_kernelINS0_14default_configENS1_25partition_config_selectorILNS1_17partition_subalgoE9EllbEEZZNS1_14partition_implILS5_9ELb0ES3_jPlS8_PNS0_10empty_typeENS0_5tupleIJS8_S9_EEENSB_IJS8_SA_EEENS0_18inequality_wrapperIZN2at6native12_GLOBAL__N_124unique_dim_cuda_templateIiEESt5tupleIJNSF_6TensorESK_SK_EERKSK_lbbbEUlllE0_EEPmJS9_EEE10hipError_tPvRmT3_T4_T5_T6_T7_T9_mT8_P12ihipStream_tbDpT10_ENKUlT_T0_E_clISt17integral_constantIbLb0EES1A_EEDaS15_S16_EUlS15_E_NS1_11comp_targetILNS1_3genE8ELNS1_11target_archE1030ELNS1_3gpuE2ELNS1_3repE0EEENS1_30default_config_static_selectorELNS0_4arch9wavefront6targetE1EEEvT1_,comdat
	.globl	_ZN7rocprim17ROCPRIM_400000_NS6detail17trampoline_kernelINS0_14default_configENS1_25partition_config_selectorILNS1_17partition_subalgoE9EllbEEZZNS1_14partition_implILS5_9ELb0ES3_jPlS8_PNS0_10empty_typeENS0_5tupleIJS8_S9_EEENSB_IJS8_SA_EEENS0_18inequality_wrapperIZN2at6native12_GLOBAL__N_124unique_dim_cuda_templateIiEESt5tupleIJNSF_6TensorESK_SK_EERKSK_lbbbEUlllE0_EEPmJS9_EEE10hipError_tPvRmT3_T4_T5_T6_T7_T9_mT8_P12ihipStream_tbDpT10_ENKUlT_T0_E_clISt17integral_constantIbLb0EES1A_EEDaS15_S16_EUlS15_E_NS1_11comp_targetILNS1_3genE8ELNS1_11target_archE1030ELNS1_3gpuE2ELNS1_3repE0EEENS1_30default_config_static_selectorELNS0_4arch9wavefront6targetE1EEEvT1_ ; -- Begin function _ZN7rocprim17ROCPRIM_400000_NS6detail17trampoline_kernelINS0_14default_configENS1_25partition_config_selectorILNS1_17partition_subalgoE9EllbEEZZNS1_14partition_implILS5_9ELb0ES3_jPlS8_PNS0_10empty_typeENS0_5tupleIJS8_S9_EEENSB_IJS8_SA_EEENS0_18inequality_wrapperIZN2at6native12_GLOBAL__N_124unique_dim_cuda_templateIiEESt5tupleIJNSF_6TensorESK_SK_EERKSK_lbbbEUlllE0_EEPmJS9_EEE10hipError_tPvRmT3_T4_T5_T6_T7_T9_mT8_P12ihipStream_tbDpT10_ENKUlT_T0_E_clISt17integral_constantIbLb0EES1A_EEDaS15_S16_EUlS15_E_NS1_11comp_targetILNS1_3genE8ELNS1_11target_archE1030ELNS1_3gpuE2ELNS1_3repE0EEENS1_30default_config_static_selectorELNS0_4arch9wavefront6targetE1EEEvT1_
	.p2align	8
	.type	_ZN7rocprim17ROCPRIM_400000_NS6detail17trampoline_kernelINS0_14default_configENS1_25partition_config_selectorILNS1_17partition_subalgoE9EllbEEZZNS1_14partition_implILS5_9ELb0ES3_jPlS8_PNS0_10empty_typeENS0_5tupleIJS8_S9_EEENSB_IJS8_SA_EEENS0_18inequality_wrapperIZN2at6native12_GLOBAL__N_124unique_dim_cuda_templateIiEESt5tupleIJNSF_6TensorESK_SK_EERKSK_lbbbEUlllE0_EEPmJS9_EEE10hipError_tPvRmT3_T4_T5_T6_T7_T9_mT8_P12ihipStream_tbDpT10_ENKUlT_T0_E_clISt17integral_constantIbLb0EES1A_EEDaS15_S16_EUlS15_E_NS1_11comp_targetILNS1_3genE8ELNS1_11target_archE1030ELNS1_3gpuE2ELNS1_3repE0EEENS1_30default_config_static_selectorELNS0_4arch9wavefront6targetE1EEEvT1_,@function
_ZN7rocprim17ROCPRIM_400000_NS6detail17trampoline_kernelINS0_14default_configENS1_25partition_config_selectorILNS1_17partition_subalgoE9EllbEEZZNS1_14partition_implILS5_9ELb0ES3_jPlS8_PNS0_10empty_typeENS0_5tupleIJS8_S9_EEENSB_IJS8_SA_EEENS0_18inequality_wrapperIZN2at6native12_GLOBAL__N_124unique_dim_cuda_templateIiEESt5tupleIJNSF_6TensorESK_SK_EERKSK_lbbbEUlllE0_EEPmJS9_EEE10hipError_tPvRmT3_T4_T5_T6_T7_T9_mT8_P12ihipStream_tbDpT10_ENKUlT_T0_E_clISt17integral_constantIbLb0EES1A_EEDaS15_S16_EUlS15_E_NS1_11comp_targetILNS1_3genE8ELNS1_11target_archE1030ELNS1_3gpuE2ELNS1_3repE0EEENS1_30default_config_static_selectorELNS0_4arch9wavefront6targetE1EEEvT1_: ; @_ZN7rocprim17ROCPRIM_400000_NS6detail17trampoline_kernelINS0_14default_configENS1_25partition_config_selectorILNS1_17partition_subalgoE9EllbEEZZNS1_14partition_implILS5_9ELb0ES3_jPlS8_PNS0_10empty_typeENS0_5tupleIJS8_S9_EEENSB_IJS8_SA_EEENS0_18inequality_wrapperIZN2at6native12_GLOBAL__N_124unique_dim_cuda_templateIiEESt5tupleIJNSF_6TensorESK_SK_EERKSK_lbbbEUlllE0_EEPmJS9_EEE10hipError_tPvRmT3_T4_T5_T6_T7_T9_mT8_P12ihipStream_tbDpT10_ENKUlT_T0_E_clISt17integral_constantIbLb0EES1A_EEDaS15_S16_EUlS15_E_NS1_11comp_targetILNS1_3genE8ELNS1_11target_archE1030ELNS1_3gpuE2ELNS1_3repE0EEENS1_30default_config_static_selectorELNS0_4arch9wavefront6targetE1EEEvT1_
; %bb.0:
	.section	.rodata,"a",@progbits
	.p2align	6, 0x0
	.amdhsa_kernel _ZN7rocprim17ROCPRIM_400000_NS6detail17trampoline_kernelINS0_14default_configENS1_25partition_config_selectorILNS1_17partition_subalgoE9EllbEEZZNS1_14partition_implILS5_9ELb0ES3_jPlS8_PNS0_10empty_typeENS0_5tupleIJS8_S9_EEENSB_IJS8_SA_EEENS0_18inequality_wrapperIZN2at6native12_GLOBAL__N_124unique_dim_cuda_templateIiEESt5tupleIJNSF_6TensorESK_SK_EERKSK_lbbbEUlllE0_EEPmJS9_EEE10hipError_tPvRmT3_T4_T5_T6_T7_T9_mT8_P12ihipStream_tbDpT10_ENKUlT_T0_E_clISt17integral_constantIbLb0EES1A_EEDaS15_S16_EUlS15_E_NS1_11comp_targetILNS1_3genE8ELNS1_11target_archE1030ELNS1_3gpuE2ELNS1_3repE0EEENS1_30default_config_static_selectorELNS0_4arch9wavefront6targetE1EEEvT1_
		.amdhsa_group_segment_fixed_size 0
		.amdhsa_private_segment_fixed_size 0
		.amdhsa_kernarg_size 120
		.amdhsa_user_sgpr_count 2
		.amdhsa_user_sgpr_dispatch_ptr 0
		.amdhsa_user_sgpr_queue_ptr 0
		.amdhsa_user_sgpr_kernarg_segment_ptr 1
		.amdhsa_user_sgpr_dispatch_id 0
		.amdhsa_user_sgpr_kernarg_preload_length 0
		.amdhsa_user_sgpr_kernarg_preload_offset 0
		.amdhsa_user_sgpr_private_segment_size 0
		.amdhsa_uses_dynamic_stack 0
		.amdhsa_enable_private_segment 0
		.amdhsa_system_sgpr_workgroup_id_x 1
		.amdhsa_system_sgpr_workgroup_id_y 0
		.amdhsa_system_sgpr_workgroup_id_z 0
		.amdhsa_system_sgpr_workgroup_info 0
		.amdhsa_system_vgpr_workitem_id 0
		.amdhsa_next_free_vgpr 1
		.amdhsa_next_free_sgpr 0
		.amdhsa_accum_offset 4
		.amdhsa_reserve_vcc 0
		.amdhsa_float_round_mode_32 0
		.amdhsa_float_round_mode_16_64 0
		.amdhsa_float_denorm_mode_32 3
		.amdhsa_float_denorm_mode_16_64 3
		.amdhsa_dx10_clamp 1
		.amdhsa_ieee_mode 1
		.amdhsa_fp16_overflow 0
		.amdhsa_tg_split 0
		.amdhsa_exception_fp_ieee_invalid_op 0
		.amdhsa_exception_fp_denorm_src 0
		.amdhsa_exception_fp_ieee_div_zero 0
		.amdhsa_exception_fp_ieee_overflow 0
		.amdhsa_exception_fp_ieee_underflow 0
		.amdhsa_exception_fp_ieee_inexact 0
		.amdhsa_exception_int_div_zero 0
	.end_amdhsa_kernel
	.section	.text._ZN7rocprim17ROCPRIM_400000_NS6detail17trampoline_kernelINS0_14default_configENS1_25partition_config_selectorILNS1_17partition_subalgoE9EllbEEZZNS1_14partition_implILS5_9ELb0ES3_jPlS8_PNS0_10empty_typeENS0_5tupleIJS8_S9_EEENSB_IJS8_SA_EEENS0_18inequality_wrapperIZN2at6native12_GLOBAL__N_124unique_dim_cuda_templateIiEESt5tupleIJNSF_6TensorESK_SK_EERKSK_lbbbEUlllE0_EEPmJS9_EEE10hipError_tPvRmT3_T4_T5_T6_T7_T9_mT8_P12ihipStream_tbDpT10_ENKUlT_T0_E_clISt17integral_constantIbLb0EES1A_EEDaS15_S16_EUlS15_E_NS1_11comp_targetILNS1_3genE8ELNS1_11target_archE1030ELNS1_3gpuE2ELNS1_3repE0EEENS1_30default_config_static_selectorELNS0_4arch9wavefront6targetE1EEEvT1_,"axG",@progbits,_ZN7rocprim17ROCPRIM_400000_NS6detail17trampoline_kernelINS0_14default_configENS1_25partition_config_selectorILNS1_17partition_subalgoE9EllbEEZZNS1_14partition_implILS5_9ELb0ES3_jPlS8_PNS0_10empty_typeENS0_5tupleIJS8_S9_EEENSB_IJS8_SA_EEENS0_18inequality_wrapperIZN2at6native12_GLOBAL__N_124unique_dim_cuda_templateIiEESt5tupleIJNSF_6TensorESK_SK_EERKSK_lbbbEUlllE0_EEPmJS9_EEE10hipError_tPvRmT3_T4_T5_T6_T7_T9_mT8_P12ihipStream_tbDpT10_ENKUlT_T0_E_clISt17integral_constantIbLb0EES1A_EEDaS15_S16_EUlS15_E_NS1_11comp_targetILNS1_3genE8ELNS1_11target_archE1030ELNS1_3gpuE2ELNS1_3repE0EEENS1_30default_config_static_selectorELNS0_4arch9wavefront6targetE1EEEvT1_,comdat
.Lfunc_end483:
	.size	_ZN7rocprim17ROCPRIM_400000_NS6detail17trampoline_kernelINS0_14default_configENS1_25partition_config_selectorILNS1_17partition_subalgoE9EllbEEZZNS1_14partition_implILS5_9ELb0ES3_jPlS8_PNS0_10empty_typeENS0_5tupleIJS8_S9_EEENSB_IJS8_SA_EEENS0_18inequality_wrapperIZN2at6native12_GLOBAL__N_124unique_dim_cuda_templateIiEESt5tupleIJNSF_6TensorESK_SK_EERKSK_lbbbEUlllE0_EEPmJS9_EEE10hipError_tPvRmT3_T4_T5_T6_T7_T9_mT8_P12ihipStream_tbDpT10_ENKUlT_T0_E_clISt17integral_constantIbLb0EES1A_EEDaS15_S16_EUlS15_E_NS1_11comp_targetILNS1_3genE8ELNS1_11target_archE1030ELNS1_3gpuE2ELNS1_3repE0EEENS1_30default_config_static_selectorELNS0_4arch9wavefront6targetE1EEEvT1_, .Lfunc_end483-_ZN7rocprim17ROCPRIM_400000_NS6detail17trampoline_kernelINS0_14default_configENS1_25partition_config_selectorILNS1_17partition_subalgoE9EllbEEZZNS1_14partition_implILS5_9ELb0ES3_jPlS8_PNS0_10empty_typeENS0_5tupleIJS8_S9_EEENSB_IJS8_SA_EEENS0_18inequality_wrapperIZN2at6native12_GLOBAL__N_124unique_dim_cuda_templateIiEESt5tupleIJNSF_6TensorESK_SK_EERKSK_lbbbEUlllE0_EEPmJS9_EEE10hipError_tPvRmT3_T4_T5_T6_T7_T9_mT8_P12ihipStream_tbDpT10_ENKUlT_T0_E_clISt17integral_constantIbLb0EES1A_EEDaS15_S16_EUlS15_E_NS1_11comp_targetILNS1_3genE8ELNS1_11target_archE1030ELNS1_3gpuE2ELNS1_3repE0EEENS1_30default_config_static_selectorELNS0_4arch9wavefront6targetE1EEEvT1_
                                        ; -- End function
	.section	.AMDGPU.csdata,"",@progbits
; Kernel info:
; codeLenInByte = 0
; NumSgprs: 6
; NumVgprs: 0
; NumAgprs: 0
; TotalNumVgprs: 0
; ScratchSize: 0
; MemoryBound: 0
; FloatMode: 240
; IeeeMode: 1
; LDSByteSize: 0 bytes/workgroup (compile time only)
; SGPRBlocks: 0
; VGPRBlocks: 0
; NumSGPRsForWavesPerEU: 6
; NumVGPRsForWavesPerEU: 1
; AccumOffset: 4
; Occupancy: 8
; WaveLimiterHint : 0
; COMPUTE_PGM_RSRC2:SCRATCH_EN: 0
; COMPUTE_PGM_RSRC2:USER_SGPR: 2
; COMPUTE_PGM_RSRC2:TRAP_HANDLER: 0
; COMPUTE_PGM_RSRC2:TGID_X_EN: 1
; COMPUTE_PGM_RSRC2:TGID_Y_EN: 0
; COMPUTE_PGM_RSRC2:TGID_Z_EN: 0
; COMPUTE_PGM_RSRC2:TIDIG_COMP_CNT: 0
; COMPUTE_PGM_RSRC3_GFX90A:ACCUM_OFFSET: 0
; COMPUTE_PGM_RSRC3_GFX90A:TG_SPLIT: 0
	.section	.text._ZN7rocprim17ROCPRIM_400000_NS6detail17trampoline_kernelINS0_14default_configENS1_25partition_config_selectorILNS1_17partition_subalgoE9EllbEEZZNS1_14partition_implILS5_9ELb0ES3_jPlS8_PNS0_10empty_typeENS0_5tupleIJS8_S9_EEENSB_IJS8_SA_EEENS0_18inequality_wrapperIZN2at6native12_GLOBAL__N_124unique_dim_cuda_templateIiEESt5tupleIJNSF_6TensorESK_SK_EERKSK_lbbbEUlllE0_EEPmJS9_EEE10hipError_tPvRmT3_T4_T5_T6_T7_T9_mT8_P12ihipStream_tbDpT10_ENKUlT_T0_E_clISt17integral_constantIbLb1EES1A_EEDaS15_S16_EUlS15_E_NS1_11comp_targetILNS1_3genE0ELNS1_11target_archE4294967295ELNS1_3gpuE0ELNS1_3repE0EEENS1_30default_config_static_selectorELNS0_4arch9wavefront6targetE1EEEvT1_,"axG",@progbits,_ZN7rocprim17ROCPRIM_400000_NS6detail17trampoline_kernelINS0_14default_configENS1_25partition_config_selectorILNS1_17partition_subalgoE9EllbEEZZNS1_14partition_implILS5_9ELb0ES3_jPlS8_PNS0_10empty_typeENS0_5tupleIJS8_S9_EEENSB_IJS8_SA_EEENS0_18inequality_wrapperIZN2at6native12_GLOBAL__N_124unique_dim_cuda_templateIiEESt5tupleIJNSF_6TensorESK_SK_EERKSK_lbbbEUlllE0_EEPmJS9_EEE10hipError_tPvRmT3_T4_T5_T6_T7_T9_mT8_P12ihipStream_tbDpT10_ENKUlT_T0_E_clISt17integral_constantIbLb1EES1A_EEDaS15_S16_EUlS15_E_NS1_11comp_targetILNS1_3genE0ELNS1_11target_archE4294967295ELNS1_3gpuE0ELNS1_3repE0EEENS1_30default_config_static_selectorELNS0_4arch9wavefront6targetE1EEEvT1_,comdat
	.globl	_ZN7rocprim17ROCPRIM_400000_NS6detail17trampoline_kernelINS0_14default_configENS1_25partition_config_selectorILNS1_17partition_subalgoE9EllbEEZZNS1_14partition_implILS5_9ELb0ES3_jPlS8_PNS0_10empty_typeENS0_5tupleIJS8_S9_EEENSB_IJS8_SA_EEENS0_18inequality_wrapperIZN2at6native12_GLOBAL__N_124unique_dim_cuda_templateIiEESt5tupleIJNSF_6TensorESK_SK_EERKSK_lbbbEUlllE0_EEPmJS9_EEE10hipError_tPvRmT3_T4_T5_T6_T7_T9_mT8_P12ihipStream_tbDpT10_ENKUlT_T0_E_clISt17integral_constantIbLb1EES1A_EEDaS15_S16_EUlS15_E_NS1_11comp_targetILNS1_3genE0ELNS1_11target_archE4294967295ELNS1_3gpuE0ELNS1_3repE0EEENS1_30default_config_static_selectorELNS0_4arch9wavefront6targetE1EEEvT1_ ; -- Begin function _ZN7rocprim17ROCPRIM_400000_NS6detail17trampoline_kernelINS0_14default_configENS1_25partition_config_selectorILNS1_17partition_subalgoE9EllbEEZZNS1_14partition_implILS5_9ELb0ES3_jPlS8_PNS0_10empty_typeENS0_5tupleIJS8_S9_EEENSB_IJS8_SA_EEENS0_18inequality_wrapperIZN2at6native12_GLOBAL__N_124unique_dim_cuda_templateIiEESt5tupleIJNSF_6TensorESK_SK_EERKSK_lbbbEUlllE0_EEPmJS9_EEE10hipError_tPvRmT3_T4_T5_T6_T7_T9_mT8_P12ihipStream_tbDpT10_ENKUlT_T0_E_clISt17integral_constantIbLb1EES1A_EEDaS15_S16_EUlS15_E_NS1_11comp_targetILNS1_3genE0ELNS1_11target_archE4294967295ELNS1_3gpuE0ELNS1_3repE0EEENS1_30default_config_static_selectorELNS0_4arch9wavefront6targetE1EEEvT1_
	.p2align	8
	.type	_ZN7rocprim17ROCPRIM_400000_NS6detail17trampoline_kernelINS0_14default_configENS1_25partition_config_selectorILNS1_17partition_subalgoE9EllbEEZZNS1_14partition_implILS5_9ELb0ES3_jPlS8_PNS0_10empty_typeENS0_5tupleIJS8_S9_EEENSB_IJS8_SA_EEENS0_18inequality_wrapperIZN2at6native12_GLOBAL__N_124unique_dim_cuda_templateIiEESt5tupleIJNSF_6TensorESK_SK_EERKSK_lbbbEUlllE0_EEPmJS9_EEE10hipError_tPvRmT3_T4_T5_T6_T7_T9_mT8_P12ihipStream_tbDpT10_ENKUlT_T0_E_clISt17integral_constantIbLb1EES1A_EEDaS15_S16_EUlS15_E_NS1_11comp_targetILNS1_3genE0ELNS1_11target_archE4294967295ELNS1_3gpuE0ELNS1_3repE0EEENS1_30default_config_static_selectorELNS0_4arch9wavefront6targetE1EEEvT1_,@function
_ZN7rocprim17ROCPRIM_400000_NS6detail17trampoline_kernelINS0_14default_configENS1_25partition_config_selectorILNS1_17partition_subalgoE9EllbEEZZNS1_14partition_implILS5_9ELb0ES3_jPlS8_PNS0_10empty_typeENS0_5tupleIJS8_S9_EEENSB_IJS8_SA_EEENS0_18inequality_wrapperIZN2at6native12_GLOBAL__N_124unique_dim_cuda_templateIiEESt5tupleIJNSF_6TensorESK_SK_EERKSK_lbbbEUlllE0_EEPmJS9_EEE10hipError_tPvRmT3_T4_T5_T6_T7_T9_mT8_P12ihipStream_tbDpT10_ENKUlT_T0_E_clISt17integral_constantIbLb1EES1A_EEDaS15_S16_EUlS15_E_NS1_11comp_targetILNS1_3genE0ELNS1_11target_archE4294967295ELNS1_3gpuE0ELNS1_3repE0EEENS1_30default_config_static_selectorELNS0_4arch9wavefront6targetE1EEEvT1_: ; @_ZN7rocprim17ROCPRIM_400000_NS6detail17trampoline_kernelINS0_14default_configENS1_25partition_config_selectorILNS1_17partition_subalgoE9EllbEEZZNS1_14partition_implILS5_9ELb0ES3_jPlS8_PNS0_10empty_typeENS0_5tupleIJS8_S9_EEENSB_IJS8_SA_EEENS0_18inequality_wrapperIZN2at6native12_GLOBAL__N_124unique_dim_cuda_templateIiEESt5tupleIJNSF_6TensorESK_SK_EERKSK_lbbbEUlllE0_EEPmJS9_EEE10hipError_tPvRmT3_T4_T5_T6_T7_T9_mT8_P12ihipStream_tbDpT10_ENKUlT_T0_E_clISt17integral_constantIbLb1EES1A_EEDaS15_S16_EUlS15_E_NS1_11comp_targetILNS1_3genE0ELNS1_11target_archE4294967295ELNS1_3gpuE0ELNS1_3repE0EEENS1_30default_config_static_selectorELNS0_4arch9wavefront6targetE1EEEvT1_
; %bb.0:
	.section	.rodata,"a",@progbits
	.p2align	6, 0x0
	.amdhsa_kernel _ZN7rocprim17ROCPRIM_400000_NS6detail17trampoline_kernelINS0_14default_configENS1_25partition_config_selectorILNS1_17partition_subalgoE9EllbEEZZNS1_14partition_implILS5_9ELb0ES3_jPlS8_PNS0_10empty_typeENS0_5tupleIJS8_S9_EEENSB_IJS8_SA_EEENS0_18inequality_wrapperIZN2at6native12_GLOBAL__N_124unique_dim_cuda_templateIiEESt5tupleIJNSF_6TensorESK_SK_EERKSK_lbbbEUlllE0_EEPmJS9_EEE10hipError_tPvRmT3_T4_T5_T6_T7_T9_mT8_P12ihipStream_tbDpT10_ENKUlT_T0_E_clISt17integral_constantIbLb1EES1A_EEDaS15_S16_EUlS15_E_NS1_11comp_targetILNS1_3genE0ELNS1_11target_archE4294967295ELNS1_3gpuE0ELNS1_3repE0EEENS1_30default_config_static_selectorELNS0_4arch9wavefront6targetE1EEEvT1_
		.amdhsa_group_segment_fixed_size 0
		.amdhsa_private_segment_fixed_size 0
		.amdhsa_kernarg_size 136
		.amdhsa_user_sgpr_count 2
		.amdhsa_user_sgpr_dispatch_ptr 0
		.amdhsa_user_sgpr_queue_ptr 0
		.amdhsa_user_sgpr_kernarg_segment_ptr 1
		.amdhsa_user_sgpr_dispatch_id 0
		.amdhsa_user_sgpr_kernarg_preload_length 0
		.amdhsa_user_sgpr_kernarg_preload_offset 0
		.amdhsa_user_sgpr_private_segment_size 0
		.amdhsa_uses_dynamic_stack 0
		.amdhsa_enable_private_segment 0
		.amdhsa_system_sgpr_workgroup_id_x 1
		.amdhsa_system_sgpr_workgroup_id_y 0
		.amdhsa_system_sgpr_workgroup_id_z 0
		.amdhsa_system_sgpr_workgroup_info 0
		.amdhsa_system_vgpr_workitem_id 0
		.amdhsa_next_free_vgpr 1
		.amdhsa_next_free_sgpr 0
		.amdhsa_accum_offset 4
		.amdhsa_reserve_vcc 0
		.amdhsa_float_round_mode_32 0
		.amdhsa_float_round_mode_16_64 0
		.amdhsa_float_denorm_mode_32 3
		.amdhsa_float_denorm_mode_16_64 3
		.amdhsa_dx10_clamp 1
		.amdhsa_ieee_mode 1
		.amdhsa_fp16_overflow 0
		.amdhsa_tg_split 0
		.amdhsa_exception_fp_ieee_invalid_op 0
		.amdhsa_exception_fp_denorm_src 0
		.amdhsa_exception_fp_ieee_div_zero 0
		.amdhsa_exception_fp_ieee_overflow 0
		.amdhsa_exception_fp_ieee_underflow 0
		.amdhsa_exception_fp_ieee_inexact 0
		.amdhsa_exception_int_div_zero 0
	.end_amdhsa_kernel
	.section	.text._ZN7rocprim17ROCPRIM_400000_NS6detail17trampoline_kernelINS0_14default_configENS1_25partition_config_selectorILNS1_17partition_subalgoE9EllbEEZZNS1_14partition_implILS5_9ELb0ES3_jPlS8_PNS0_10empty_typeENS0_5tupleIJS8_S9_EEENSB_IJS8_SA_EEENS0_18inequality_wrapperIZN2at6native12_GLOBAL__N_124unique_dim_cuda_templateIiEESt5tupleIJNSF_6TensorESK_SK_EERKSK_lbbbEUlllE0_EEPmJS9_EEE10hipError_tPvRmT3_T4_T5_T6_T7_T9_mT8_P12ihipStream_tbDpT10_ENKUlT_T0_E_clISt17integral_constantIbLb1EES1A_EEDaS15_S16_EUlS15_E_NS1_11comp_targetILNS1_3genE0ELNS1_11target_archE4294967295ELNS1_3gpuE0ELNS1_3repE0EEENS1_30default_config_static_selectorELNS0_4arch9wavefront6targetE1EEEvT1_,"axG",@progbits,_ZN7rocprim17ROCPRIM_400000_NS6detail17trampoline_kernelINS0_14default_configENS1_25partition_config_selectorILNS1_17partition_subalgoE9EllbEEZZNS1_14partition_implILS5_9ELb0ES3_jPlS8_PNS0_10empty_typeENS0_5tupleIJS8_S9_EEENSB_IJS8_SA_EEENS0_18inequality_wrapperIZN2at6native12_GLOBAL__N_124unique_dim_cuda_templateIiEESt5tupleIJNSF_6TensorESK_SK_EERKSK_lbbbEUlllE0_EEPmJS9_EEE10hipError_tPvRmT3_T4_T5_T6_T7_T9_mT8_P12ihipStream_tbDpT10_ENKUlT_T0_E_clISt17integral_constantIbLb1EES1A_EEDaS15_S16_EUlS15_E_NS1_11comp_targetILNS1_3genE0ELNS1_11target_archE4294967295ELNS1_3gpuE0ELNS1_3repE0EEENS1_30default_config_static_selectorELNS0_4arch9wavefront6targetE1EEEvT1_,comdat
.Lfunc_end484:
	.size	_ZN7rocprim17ROCPRIM_400000_NS6detail17trampoline_kernelINS0_14default_configENS1_25partition_config_selectorILNS1_17partition_subalgoE9EllbEEZZNS1_14partition_implILS5_9ELb0ES3_jPlS8_PNS0_10empty_typeENS0_5tupleIJS8_S9_EEENSB_IJS8_SA_EEENS0_18inequality_wrapperIZN2at6native12_GLOBAL__N_124unique_dim_cuda_templateIiEESt5tupleIJNSF_6TensorESK_SK_EERKSK_lbbbEUlllE0_EEPmJS9_EEE10hipError_tPvRmT3_T4_T5_T6_T7_T9_mT8_P12ihipStream_tbDpT10_ENKUlT_T0_E_clISt17integral_constantIbLb1EES1A_EEDaS15_S16_EUlS15_E_NS1_11comp_targetILNS1_3genE0ELNS1_11target_archE4294967295ELNS1_3gpuE0ELNS1_3repE0EEENS1_30default_config_static_selectorELNS0_4arch9wavefront6targetE1EEEvT1_, .Lfunc_end484-_ZN7rocprim17ROCPRIM_400000_NS6detail17trampoline_kernelINS0_14default_configENS1_25partition_config_selectorILNS1_17partition_subalgoE9EllbEEZZNS1_14partition_implILS5_9ELb0ES3_jPlS8_PNS0_10empty_typeENS0_5tupleIJS8_S9_EEENSB_IJS8_SA_EEENS0_18inequality_wrapperIZN2at6native12_GLOBAL__N_124unique_dim_cuda_templateIiEESt5tupleIJNSF_6TensorESK_SK_EERKSK_lbbbEUlllE0_EEPmJS9_EEE10hipError_tPvRmT3_T4_T5_T6_T7_T9_mT8_P12ihipStream_tbDpT10_ENKUlT_T0_E_clISt17integral_constantIbLb1EES1A_EEDaS15_S16_EUlS15_E_NS1_11comp_targetILNS1_3genE0ELNS1_11target_archE4294967295ELNS1_3gpuE0ELNS1_3repE0EEENS1_30default_config_static_selectorELNS0_4arch9wavefront6targetE1EEEvT1_
                                        ; -- End function
	.section	.AMDGPU.csdata,"",@progbits
; Kernel info:
; codeLenInByte = 0
; NumSgprs: 6
; NumVgprs: 0
; NumAgprs: 0
; TotalNumVgprs: 0
; ScratchSize: 0
; MemoryBound: 0
; FloatMode: 240
; IeeeMode: 1
; LDSByteSize: 0 bytes/workgroup (compile time only)
; SGPRBlocks: 0
; VGPRBlocks: 0
; NumSGPRsForWavesPerEU: 6
; NumVGPRsForWavesPerEU: 1
; AccumOffset: 4
; Occupancy: 8
; WaveLimiterHint : 0
; COMPUTE_PGM_RSRC2:SCRATCH_EN: 0
; COMPUTE_PGM_RSRC2:USER_SGPR: 2
; COMPUTE_PGM_RSRC2:TRAP_HANDLER: 0
; COMPUTE_PGM_RSRC2:TGID_X_EN: 1
; COMPUTE_PGM_RSRC2:TGID_Y_EN: 0
; COMPUTE_PGM_RSRC2:TGID_Z_EN: 0
; COMPUTE_PGM_RSRC2:TIDIG_COMP_CNT: 0
; COMPUTE_PGM_RSRC3_GFX90A:ACCUM_OFFSET: 0
; COMPUTE_PGM_RSRC3_GFX90A:TG_SPLIT: 0
	.section	.text._ZN7rocprim17ROCPRIM_400000_NS6detail17trampoline_kernelINS0_14default_configENS1_25partition_config_selectorILNS1_17partition_subalgoE9EllbEEZZNS1_14partition_implILS5_9ELb0ES3_jPlS8_PNS0_10empty_typeENS0_5tupleIJS8_S9_EEENSB_IJS8_SA_EEENS0_18inequality_wrapperIZN2at6native12_GLOBAL__N_124unique_dim_cuda_templateIiEESt5tupleIJNSF_6TensorESK_SK_EERKSK_lbbbEUlllE0_EEPmJS9_EEE10hipError_tPvRmT3_T4_T5_T6_T7_T9_mT8_P12ihipStream_tbDpT10_ENKUlT_T0_E_clISt17integral_constantIbLb1EES1A_EEDaS15_S16_EUlS15_E_NS1_11comp_targetILNS1_3genE5ELNS1_11target_archE942ELNS1_3gpuE9ELNS1_3repE0EEENS1_30default_config_static_selectorELNS0_4arch9wavefront6targetE1EEEvT1_,"axG",@progbits,_ZN7rocprim17ROCPRIM_400000_NS6detail17trampoline_kernelINS0_14default_configENS1_25partition_config_selectorILNS1_17partition_subalgoE9EllbEEZZNS1_14partition_implILS5_9ELb0ES3_jPlS8_PNS0_10empty_typeENS0_5tupleIJS8_S9_EEENSB_IJS8_SA_EEENS0_18inequality_wrapperIZN2at6native12_GLOBAL__N_124unique_dim_cuda_templateIiEESt5tupleIJNSF_6TensorESK_SK_EERKSK_lbbbEUlllE0_EEPmJS9_EEE10hipError_tPvRmT3_T4_T5_T6_T7_T9_mT8_P12ihipStream_tbDpT10_ENKUlT_T0_E_clISt17integral_constantIbLb1EES1A_EEDaS15_S16_EUlS15_E_NS1_11comp_targetILNS1_3genE5ELNS1_11target_archE942ELNS1_3gpuE9ELNS1_3repE0EEENS1_30default_config_static_selectorELNS0_4arch9wavefront6targetE1EEEvT1_,comdat
	.globl	_ZN7rocprim17ROCPRIM_400000_NS6detail17trampoline_kernelINS0_14default_configENS1_25partition_config_selectorILNS1_17partition_subalgoE9EllbEEZZNS1_14partition_implILS5_9ELb0ES3_jPlS8_PNS0_10empty_typeENS0_5tupleIJS8_S9_EEENSB_IJS8_SA_EEENS0_18inequality_wrapperIZN2at6native12_GLOBAL__N_124unique_dim_cuda_templateIiEESt5tupleIJNSF_6TensorESK_SK_EERKSK_lbbbEUlllE0_EEPmJS9_EEE10hipError_tPvRmT3_T4_T5_T6_T7_T9_mT8_P12ihipStream_tbDpT10_ENKUlT_T0_E_clISt17integral_constantIbLb1EES1A_EEDaS15_S16_EUlS15_E_NS1_11comp_targetILNS1_3genE5ELNS1_11target_archE942ELNS1_3gpuE9ELNS1_3repE0EEENS1_30default_config_static_selectorELNS0_4arch9wavefront6targetE1EEEvT1_ ; -- Begin function _ZN7rocprim17ROCPRIM_400000_NS6detail17trampoline_kernelINS0_14default_configENS1_25partition_config_selectorILNS1_17partition_subalgoE9EllbEEZZNS1_14partition_implILS5_9ELb0ES3_jPlS8_PNS0_10empty_typeENS0_5tupleIJS8_S9_EEENSB_IJS8_SA_EEENS0_18inequality_wrapperIZN2at6native12_GLOBAL__N_124unique_dim_cuda_templateIiEESt5tupleIJNSF_6TensorESK_SK_EERKSK_lbbbEUlllE0_EEPmJS9_EEE10hipError_tPvRmT3_T4_T5_T6_T7_T9_mT8_P12ihipStream_tbDpT10_ENKUlT_T0_E_clISt17integral_constantIbLb1EES1A_EEDaS15_S16_EUlS15_E_NS1_11comp_targetILNS1_3genE5ELNS1_11target_archE942ELNS1_3gpuE9ELNS1_3repE0EEENS1_30default_config_static_selectorELNS0_4arch9wavefront6targetE1EEEvT1_
	.p2align	8
	.type	_ZN7rocprim17ROCPRIM_400000_NS6detail17trampoline_kernelINS0_14default_configENS1_25partition_config_selectorILNS1_17partition_subalgoE9EllbEEZZNS1_14partition_implILS5_9ELb0ES3_jPlS8_PNS0_10empty_typeENS0_5tupleIJS8_S9_EEENSB_IJS8_SA_EEENS0_18inequality_wrapperIZN2at6native12_GLOBAL__N_124unique_dim_cuda_templateIiEESt5tupleIJNSF_6TensorESK_SK_EERKSK_lbbbEUlllE0_EEPmJS9_EEE10hipError_tPvRmT3_T4_T5_T6_T7_T9_mT8_P12ihipStream_tbDpT10_ENKUlT_T0_E_clISt17integral_constantIbLb1EES1A_EEDaS15_S16_EUlS15_E_NS1_11comp_targetILNS1_3genE5ELNS1_11target_archE942ELNS1_3gpuE9ELNS1_3repE0EEENS1_30default_config_static_selectorELNS0_4arch9wavefront6targetE1EEEvT1_,@function
_ZN7rocprim17ROCPRIM_400000_NS6detail17trampoline_kernelINS0_14default_configENS1_25partition_config_selectorILNS1_17partition_subalgoE9EllbEEZZNS1_14partition_implILS5_9ELb0ES3_jPlS8_PNS0_10empty_typeENS0_5tupleIJS8_S9_EEENSB_IJS8_SA_EEENS0_18inequality_wrapperIZN2at6native12_GLOBAL__N_124unique_dim_cuda_templateIiEESt5tupleIJNSF_6TensorESK_SK_EERKSK_lbbbEUlllE0_EEPmJS9_EEE10hipError_tPvRmT3_T4_T5_T6_T7_T9_mT8_P12ihipStream_tbDpT10_ENKUlT_T0_E_clISt17integral_constantIbLb1EES1A_EEDaS15_S16_EUlS15_E_NS1_11comp_targetILNS1_3genE5ELNS1_11target_archE942ELNS1_3gpuE9ELNS1_3repE0EEENS1_30default_config_static_selectorELNS0_4arch9wavefront6targetE1EEEvT1_: ; @_ZN7rocprim17ROCPRIM_400000_NS6detail17trampoline_kernelINS0_14default_configENS1_25partition_config_selectorILNS1_17partition_subalgoE9EllbEEZZNS1_14partition_implILS5_9ELb0ES3_jPlS8_PNS0_10empty_typeENS0_5tupleIJS8_S9_EEENSB_IJS8_SA_EEENS0_18inequality_wrapperIZN2at6native12_GLOBAL__N_124unique_dim_cuda_templateIiEESt5tupleIJNSF_6TensorESK_SK_EERKSK_lbbbEUlllE0_EEPmJS9_EEE10hipError_tPvRmT3_T4_T5_T6_T7_T9_mT8_P12ihipStream_tbDpT10_ENKUlT_T0_E_clISt17integral_constantIbLb1EES1A_EEDaS15_S16_EUlS15_E_NS1_11comp_targetILNS1_3genE5ELNS1_11target_archE942ELNS1_3gpuE9ELNS1_3repE0EEENS1_30default_config_static_selectorELNS0_4arch9wavefront6targetE1EEEvT1_
; %bb.0:
	s_load_dwordx4 s[4:7], s[0:1], 0x8
	s_load_dwordx2 s[10:11], s[0:1], 0x18
	s_load_dwordx8 s[20:27], s[0:1], 0x40
	s_load_dwordx4 s[36:39], s[0:1], 0x60
	v_cmp_ne_u32_e64 s[2:3], 0, v0
	v_cmp_eq_u32_e64 s[18:19], 0, v0
	s_and_saveexec_b64 s[8:9], s[18:19]
	s_cbranch_execz .LBB485_4
; %bb.1:
	s_mov_b64 s[14:15], exec
	v_mbcnt_lo_u32_b32 v1, s14, 0
	v_mbcnt_hi_u32_b32 v1, s15, v1
	v_cmp_eq_u32_e32 vcc, 0, v1
                                        ; implicit-def: $vgpr2
	s_and_saveexec_b64 s[12:13], vcc
	s_cbranch_execz .LBB485_3
; %bb.2:
	s_load_dwordx2 s[16:17], s[0:1], 0x78
	s_bcnt1_i32_b64 s14, s[14:15]
	v_mov_b32_e32 v2, 0
	v_mov_b32_e32 v3, s14
	s_waitcnt lgkmcnt(0)
	global_atomic_add v2, v2, v3, s[16:17] sc0
.LBB485_3:
	s_or_b64 exec, exec, s[12:13]
	s_waitcnt vmcnt(0)
	v_readfirstlane_b32 s12, v2
	v_mov_b32_e32 v2, 0
	s_nop 0
	v_add_u32_e32 v1, s12, v1
	ds_write_b32 v2, v1
.LBB485_4:
	s_or_b64 exec, exec, s[8:9]
	v_mov_b32_e32 v3, 0
	s_load_dwordx4 s[28:31], s[0:1], 0x28
	s_load_dword s8, s[0:1], 0x70
	s_waitcnt lgkmcnt(0)
	s_barrier
	ds_read_b32 v1, v3
	s_waitcnt lgkmcnt(0)
	s_barrier
	global_load_dwordx2 v[4:5], v3, s[22:23]
	s_lshl_b64 s[12:13], s[6:7], 3
	s_mul_i32 s14, s8, 0xe00
	s_add_u32 s16, s4, s12
	s_addc_u32 s17, s5, s13
	s_add_i32 s4, s14, s6
	s_sub_i32 s54, s24, s4
	s_add_i32 s15, s8, -1
	s_addk_i32 s54, 0xe00
	s_add_u32 s4, s6, s14
	v_readfirstlane_b32 s33, v1
	s_addc_u32 s5, s7, 0
	v_mov_b32_e32 v6, s24
	v_mov_b32_e32 v7, s25
	s_cmp_eq_u32 s33, s15
	s_mov_b32 s9, 0
	s_mul_i32 s8, s33, 0xe00
	v_cmp_ge_u64_e32 vcc, s[4:5], v[6:7]
	s_cselect_b64 s[24:25], -1, 0
	s_lshl_b64 s[14:15], s[8:9], 3
	s_and_b64 s[8:9], vcc, s[24:25]
	s_xor_b64 s[34:35], s[8:9], -1
	s_add_u32 s4, s16, s14
	s_mov_b64 s[0:1], -1
	s_addc_u32 s5, s17, s15
	s_and_b64 vcc, exec, s[34:35]
	s_waitcnt vmcnt(0)
	v_readfirstlane_b32 s22, v4
	v_readfirstlane_b32 s23, v5
	s_cbranch_vccz .LBB485_6
; %bb.5:
	v_lshlrev_b32_e32 v2, 3, v0
	v_lshl_add_u64 v[4:5], s[4:5], 0, v[2:3]
	v_add_co_u32_e32 v8, vcc, 0x1000, v4
	global_load_dwordx2 v[6:7], v2, s[4:5]
	s_nop 0
	v_addc_co_u32_e32 v9, vcc, 0, v5, vcc
	v_add_co_u32_e32 v10, vcc, 0x2000, v4
	s_mov_b64 s[0:1], 0
	s_nop 0
	v_addc_co_u32_e32 v11, vcc, 0, v5, vcc
	v_add_co_u32_e32 v12, vcc, 0x3000, v4
	s_nop 1
	v_addc_co_u32_e32 v13, vcc, 0, v5, vcc
	v_add_co_u32_e32 v14, vcc, 0x4000, v4
	s_nop 1
	v_addc_co_u32_e32 v15, vcc, 0, v5, vcc
	global_load_dwordx2 v[16:17], v[8:9], off
	global_load_dwordx2 v[18:19], v[10:11], off
	;; [unrolled: 1-line block ×4, first 2 shown]
	v_add_co_u32_e32 v8, vcc, 0x5000, v4
	s_nop 1
	v_addc_co_u32_e32 v9, vcc, 0, v5, vcc
	v_add_co_u32_e32 v4, vcc, 0x6000, v4
	global_load_dwordx2 v[8:9], v[8:9], off
	s_nop 0
	v_addc_co_u32_e32 v5, vcc, 0, v5, vcc
	global_load_dwordx2 v[4:5], v[4:5], off
	s_waitcnt vmcnt(5)
	ds_write2st64_b64 v2, v[6:7], v[16:17] offset1:8
	s_waitcnt vmcnt(3)
	ds_write2st64_b64 v2, v[18:19], v[20:21] offset0:16 offset1:24
	s_waitcnt vmcnt(1)
	ds_write2st64_b64 v2, v[22:23], v[8:9] offset0:32 offset1:40
	s_waitcnt vmcnt(0)
	ds_write_b64 v2, v[4:5] offset:24576
	s_waitcnt lgkmcnt(0)
	s_barrier
.LBB485_6:
	s_andn2_b64 vcc, exec, s[0:1]
	v_cmp_gt_u32_e64 s[0:1], s54, v0
	s_cbranch_vccnz .LBB485_22
; %bb.7:
                                        ; implicit-def: $vgpr2_vgpr3_vgpr4_vgpr5_vgpr6_vgpr7_vgpr8_vgpr9_vgpr10_vgpr11_vgpr12_vgpr13_vgpr14_vgpr15_vgpr16_vgpr17
	s_and_saveexec_b64 s[16:17], s[0:1]
	s_cbranch_execz .LBB485_9
; %bb.8:
	v_lshlrev_b32_e32 v1, 3, v0
	global_load_dwordx2 v[2:3], v1, s[4:5]
.LBB485_9:
	s_or_b64 exec, exec, s[16:17]
	v_or_b32_e32 v1, 0x200, v0
	v_cmp_gt_u32_e32 vcc, s54, v1
	s_and_saveexec_b64 s[0:1], vcc
	s_cbranch_execz .LBB485_11
; %bb.10:
	v_lshlrev_b32_e32 v1, 3, v1
	global_load_dwordx2 v[4:5], v1, s[4:5]
.LBB485_11:
	s_or_b64 exec, exec, s[0:1]
	v_or_b32_e32 v1, 0x400, v0
	v_cmp_gt_u32_e32 vcc, s54, v1
	s_and_saveexec_b64 s[0:1], vcc
	;; [unrolled: 9-line block ×6, first 2 shown]
	s_cbranch_execz .LBB485_21
; %bb.20:
	v_lshlrev_b32_e32 v1, 3, v1
	global_load_dwordx2 v[14:15], v1, s[4:5]
.LBB485_21:
	s_or_b64 exec, exec, s[0:1]
	v_lshlrev_b32_e32 v1, 3, v0
	s_waitcnt vmcnt(0)
	ds_write2st64_b64 v1, v[2:3], v[4:5] offset1:8
	ds_write2st64_b64 v1, v[6:7], v[8:9] offset0:16 offset1:24
	ds_write2st64_b64 v1, v[10:11], v[12:13] offset0:32 offset1:40
	ds_write_b64 v1, v[14:15] offset:24576
	s_waitcnt lgkmcnt(0)
	s_barrier
.LBB485_22:
	v_mul_u32_u24_e32 v1, 7, v0
	v_lshlrev_b32_e32 v46, 3, v1
	ds_read2_b64 v[22:25], v46 offset1:1
	ds_read2_b64 v[18:21], v46 offset0:2 offset1:3
	ds_read2_b64 v[14:17], v46 offset0:4 offset1:5
	ds_read_b64 v[28:29], v46 offset:48
	s_add_u32 s0, s10, s12
	s_addc_u32 s1, s11, s13
	s_add_u32 s0, s0, s14
	s_addc_u32 s1, s1, s15
	s_mov_b64 s[10:11], -1
	s_and_b64 vcc, exec, s[34:35]
	s_waitcnt lgkmcnt(0)
	s_barrier
	s_cbranch_vccz .LBB485_24
; %bb.23:
	v_lshlrev_b32_e32 v2, 3, v0
	v_mov_b32_e32 v3, 0
	v_lshl_add_u64 v[4:5], s[0:1], 0, v[2:3]
	v_add_co_u32_e32 v8, vcc, 0x1000, v4
	global_load_dwordx2 v[6:7], v2, s[0:1]
	s_nop 0
	v_addc_co_u32_e32 v9, vcc, 0, v5, vcc
	v_add_co_u32_e32 v10, vcc, 0x2000, v4
	s_mov_b64 s[10:11], 0
	s_nop 0
	v_addc_co_u32_e32 v11, vcc, 0, v5, vcc
	v_add_co_u32_e32 v12, vcc, 0x3000, v4
	s_nop 1
	v_addc_co_u32_e32 v13, vcc, 0, v5, vcc
	v_add_co_u32_e32 v26, vcc, 0x4000, v4
	s_nop 1
	v_addc_co_u32_e32 v27, vcc, 0, v5, vcc
	global_load_dwordx2 v[30:31], v[8:9], off
	global_load_dwordx2 v[32:33], v[10:11], off
	;; [unrolled: 1-line block ×4, first 2 shown]
	v_add_co_u32_e32 v8, vcc, 0x5000, v4
	s_nop 1
	v_addc_co_u32_e32 v9, vcc, 0, v5, vcc
	v_add_co_u32_e32 v4, vcc, 0x6000, v4
	global_load_dwordx2 v[8:9], v[8:9], off
	s_nop 0
	v_addc_co_u32_e32 v5, vcc, 0, v5, vcc
	global_load_dwordx2 v[4:5], v[4:5], off
	s_waitcnt vmcnt(5)
	ds_write2st64_b64 v2, v[6:7], v[30:31] offset1:8
	s_waitcnt vmcnt(3)
	ds_write2st64_b64 v2, v[32:33], v[34:35] offset0:16 offset1:24
	s_waitcnt vmcnt(1)
	ds_write2st64_b64 v2, v[36:37], v[8:9] offset0:32 offset1:40
	s_waitcnt vmcnt(0)
	ds_write_b64 v2, v[4:5] offset:24576
	s_waitcnt lgkmcnt(0)
	s_barrier
.LBB485_24:
	s_andn2_b64 vcc, exec, s[10:11]
	s_cbranch_vccnz .LBB485_40
; %bb.25:
	v_cmp_gt_u32_e32 vcc, s54, v0
                                        ; implicit-def: $vgpr2_vgpr3
	s_and_saveexec_b64 s[10:11], vcc
	s_cbranch_execz .LBB485_27
; %bb.26:
	v_lshlrev_b32_e32 v2, 3, v0
	global_load_dwordx2 v[2:3], v2, s[0:1]
.LBB485_27:
	s_or_b64 exec, exec, s[10:11]
	v_or_b32_e32 v6, 0x200, v0
	v_cmp_gt_u32_e32 vcc, s54, v6
                                        ; implicit-def: $vgpr4_vgpr5
	s_and_saveexec_b64 s[10:11], vcc
	s_cbranch_execz .LBB485_29
; %bb.28:
	v_lshlrev_b32_e32 v4, 3, v6
	global_load_dwordx2 v[4:5], v4, s[0:1]
.LBB485_29:
	s_or_b64 exec, exec, s[10:11]
	v_or_b32_e32 v8, 0x400, v0
	v_cmp_gt_u32_e32 vcc, s54, v8
                                        ; implicit-def: $vgpr6_vgpr7
	s_and_saveexec_b64 s[10:11], vcc
	s_cbranch_execz .LBB485_31
; %bb.30:
	v_lshlrev_b32_e32 v6, 3, v8
	global_load_dwordx2 v[6:7], v6, s[0:1]
.LBB485_31:
	s_or_b64 exec, exec, s[10:11]
	v_or_b32_e32 v10, 0x600, v0
	v_cmp_gt_u32_e32 vcc, s54, v10
                                        ; implicit-def: $vgpr8_vgpr9
	s_and_saveexec_b64 s[10:11], vcc
	s_cbranch_execz .LBB485_33
; %bb.32:
	v_lshlrev_b32_e32 v8, 3, v10
	global_load_dwordx2 v[8:9], v8, s[0:1]
.LBB485_33:
	s_or_b64 exec, exec, s[10:11]
	v_or_b32_e32 v12, 0x800, v0
	v_cmp_gt_u32_e32 vcc, s54, v12
                                        ; implicit-def: $vgpr10_vgpr11
	s_and_saveexec_b64 s[10:11], vcc
	s_cbranch_execz .LBB485_35
; %bb.34:
	v_lshlrev_b32_e32 v10, 3, v12
	global_load_dwordx2 v[10:11], v10, s[0:1]
.LBB485_35:
	s_or_b64 exec, exec, s[10:11]
	v_or_b32_e32 v26, 0xa00, v0
	v_cmp_gt_u32_e32 vcc, s54, v26
                                        ; implicit-def: $vgpr12_vgpr13
	s_and_saveexec_b64 s[10:11], vcc
	s_cbranch_execz .LBB485_37
; %bb.36:
	v_lshlrev_b32_e32 v12, 3, v26
	global_load_dwordx2 v[12:13], v12, s[0:1]
.LBB485_37:
	s_or_b64 exec, exec, s[10:11]
	v_or_b32_e32 v30, 0xc00, v0
	v_cmp_gt_u32_e32 vcc, s54, v30
                                        ; implicit-def: $vgpr26_vgpr27
	s_and_saveexec_b64 s[10:11], vcc
	s_cbranch_execz .LBB485_39
; %bb.38:
	v_lshlrev_b32_e32 v26, 3, v30
	global_load_dwordx2 v[26:27], v26, s[0:1]
.LBB485_39:
	s_or_b64 exec, exec, s[10:11]
	s_movk_i32 s0, 0xffd0
	v_mad_i32_i24 v30, v0, s0, v46
	s_waitcnt vmcnt(0)
	ds_write2st64_b64 v30, v[2:3], v[4:5] offset1:8
	ds_write2st64_b64 v30, v[6:7], v[8:9] offset0:16 offset1:24
	ds_write2st64_b64 v30, v[10:11], v[12:13] offset0:32 offset1:40
	ds_write_b64 v30, v[26:27] offset:24576
	s_waitcnt lgkmcnt(0)
	s_barrier
.LBB485_40:
	ds_read2_b64 v[10:13], v46 offset1:1
	ds_read2_b64 v[6:9], v46 offset0:2 offset1:3
	ds_read2_b64 v[2:5], v46 offset0:4 offset1:5
	ds_read_b64 v[26:27], v46 offset:48
	s_cmp_lg_u32 s33, 0
	s_cselect_b64 s[0:1], -1, 0
	s_cmp_lg_u64 s[6:7], 0
	s_cselect_b64 s[6:7], -1, 0
	s_or_b64 s[6:7], s[6:7], s[0:1]
	v_add_u32_e32 v43, 1, v1
	v_add_u32_e32 v40, 2, v1
	;; [unrolled: 1-line block ×6, first 2 shown]
	s_mov_b64 s[10:11], 0
	s_and_b64 vcc, exec, s[6:7]
	v_cmp_gt_i64_e64 s[12:13], s[26:27], 0
	s_waitcnt lgkmcnt(0)
	s_barrier
	s_cbranch_vccz .LBB485_49
; %bb.41:
	v_mov_b32_e32 v30, 0
	global_load_dwordx2 v[30:31], v30, s[4:5] offset:-8
	v_cndmask_b32_e64 v32, 0, 1, s[12:13]
	v_lshlrev_b32_e32 v47, 3, v0
	s_mov_b64 s[6:7], 0
	s_and_b64 vcc, exec, s[34:35]
	v_cmp_ne_u32_e64 s[4:5], 1, v32
	ds_write_b64 v47, v[28:29]
	s_cbranch_vccz .LBB485_51
; %bb.42:
	v_mul_lo_u32 v34, v17, s26
	v_mul_lo_u32 v35, v16, s27
	v_mad_u64_u32 v[32:33], s[10:11], v16, s26, 0
	v_add3_u32 v33, v33, v35, v34
	s_and_b64 vcc, exec, s[4:5]
	v_lshl_add_u64 v[32:33], v[32:33], 2, s[36:37]
	s_cbranch_vccnz .LBB485_54
; %bb.43:
	v_mul_lo_u32 v36, v29, s26
	v_mul_lo_u32 v37, v28, s27
	v_mad_u64_u32 v[34:35], s[6:7], v28, s26, 0
	v_add3_u32 v35, v35, v37, v36
	v_lshl_add_u64 v[34:35], v[34:35], 2, s[36:37]
	global_load_dword v36, v[32:33], off
	global_load_dword v37, v[34:35], off
	s_mov_b64 s[6:7], -1
	s_waitcnt vmcnt(0)
	v_cmp_eq_u32_e32 vcc, v36, v37
	s_and_saveexec_b64 s[10:11], vcc
	s_cbranch_execz .LBB485_53
; %bb.44:
	s_add_u32 s6, s26, -1
	v_lshl_add_u64 v[34:35], v[34:35], 0, 4
	v_lshl_add_u64 v[36:37], v[32:33], 0, 4
	s_addc_u32 s7, s27, -1
	s_mov_b64 s[12:13], 0
	s_mov_b64 s[16:17], 0
                                        ; implicit-def: $sgpr14_sgpr15
	s_branch .LBB485_47
.LBB485_45:                             ;   in Loop: Header=BB485_47 Depth=1
	global_load_dword v38, v[36:37], off
	global_load_dword v39, v[34:35], off
	s_add_u32 s16, s16, 1
	s_addc_u32 s17, s17, 0
	s_andn2_b64 s[14:15], s[14:15], exec
	v_lshl_add_u64 v[34:35], v[34:35], 0, 4
	v_lshl_add_u64 v[36:37], v[36:37], 0, 4
	s_waitcnt vmcnt(0)
	v_cmp_ne_u32_e32 vcc, v38, v39
	s_and_b64 s[40:41], vcc, exec
	s_or_b64 s[14:15], s[14:15], s[40:41]
.LBB485_46:                             ;   in Loop: Header=BB485_47 Depth=1
	s_and_b64 s[40:41], exec, s[14:15]
	s_or_b64 s[12:13], s[40:41], s[12:13]
	v_mov_b64_e32 v[38:39], s[16:17]
	s_andn2_b64 exec, exec, s[12:13]
	s_cbranch_execz .LBB485_52
.LBB485_47:                             ; =>This Inner Loop Header: Depth=1
	s_or_b64 s[14:15], s[14:15], exec
	s_cmp_eq_u64 s[6:7], s[16:17]
	s_cbranch_scc0 .LBB485_45
; %bb.48:                               ;   in Loop: Header=BB485_47 Depth=1
                                        ; implicit-def: $vgpr34_vgpr35
                                        ; implicit-def: $vgpr36_vgpr37
	s_mov_b64 s[16:17], s[26:27]
	s_branch .LBB485_46
.LBB485_49:
                                        ; implicit-def: $sgpr14_sgpr15
                                        ; implicit-def: $vgpr49
                                        ; implicit-def: $vgpr48
                                        ; implicit-def: $vgpr39
                                        ; implicit-def: $vgpr34
	s_branch .LBB485_192
.LBB485_50:
                                        ; implicit-def: $vgpr30_vgpr31
	s_branch .LBB485_340
.LBB485_51:
                                        ; implicit-def: $sgpr14_sgpr15
                                        ; implicit-def: $vgpr49
                                        ; implicit-def: $vgpr48
                                        ; implicit-def: $vgpr39
                                        ; implicit-def: $vgpr34
	s_cbranch_execnz .LBB485_111
	s_branch .LBB485_191
.LBB485_52:
	s_or_b64 exec, exec, s[12:13]
	v_cmp_gt_i64_e32 vcc, s[26:27], v[38:39]
	s_orn2_b64 s[6:7], vcc, exec
.LBB485_53:
	s_or_b64 exec, exec, s[10:11]
.LBB485_54:
	v_mul_lo_u32 v36, v15, s26
	v_mul_lo_u32 v37, v14, s27
	v_mad_u64_u32 v[34:35], s[10:11], v14, s26, 0
	v_add3_u32 v35, v35, v37, v36
	s_mov_b64 s[10:11], 0
	s_and_b64 vcc, exec, s[4:5]
	v_lshl_add_u64 v[34:35], v[34:35], 2, s[36:37]
	s_mov_b64 s[12:13], 0
	s_cbranch_vccnz .LBB485_63
; %bb.55:
	global_load_dword v36, v[34:35], off
	global_load_dword v37, v[32:33], off
	s_mov_b64 s[12:13], -1
	s_waitcnt vmcnt(0)
	v_cmp_eq_u32_e32 vcc, v36, v37
	s_and_saveexec_b64 s[14:15], vcc
	s_cbranch_execz .LBB485_62
; %bb.56:
	s_add_u32 s12, s26, -1
	v_lshl_add_u64 v[32:33], v[32:33], 0, 4
	v_lshl_add_u64 v[36:37], v[34:35], 0, 4
	s_addc_u32 s13, s27, -1
	s_mov_b64 s[16:17], 0
	s_mov_b64 s[42:43], 0
                                        ; implicit-def: $sgpr40_sgpr41
	s_branch .LBB485_59
.LBB485_57:                             ;   in Loop: Header=BB485_59 Depth=1
	global_load_dword v38, v[36:37], off
	global_load_dword v39, v[32:33], off
	s_add_u32 s42, s42, 1
	s_addc_u32 s43, s43, 0
	s_andn2_b64 s[40:41], s[40:41], exec
	v_lshl_add_u64 v[32:33], v[32:33], 0, 4
	v_lshl_add_u64 v[36:37], v[36:37], 0, 4
	s_waitcnt vmcnt(0)
	v_cmp_ne_u32_e32 vcc, v38, v39
	s_and_b64 s[44:45], vcc, exec
	s_or_b64 s[40:41], s[40:41], s[44:45]
.LBB485_58:                             ;   in Loop: Header=BB485_59 Depth=1
	s_and_b64 s[44:45], exec, s[40:41]
	s_or_b64 s[16:17], s[44:45], s[16:17]
	v_mov_b64_e32 v[38:39], s[42:43]
	s_andn2_b64 exec, exec, s[16:17]
	s_cbranch_execz .LBB485_61
.LBB485_59:                             ; =>This Inner Loop Header: Depth=1
	s_or_b64 s[40:41], s[40:41], exec
	s_cmp_eq_u64 s[12:13], s[42:43]
	s_cbranch_scc0 .LBB485_57
; %bb.60:                               ;   in Loop: Header=BB485_59 Depth=1
                                        ; implicit-def: $vgpr32_vgpr33
                                        ; implicit-def: $vgpr36_vgpr37
	s_mov_b64 s[42:43], s[26:27]
	s_branch .LBB485_58
.LBB485_61:
	s_or_b64 exec, exec, s[16:17]
	v_cmp_gt_i64_e32 vcc, s[26:27], v[38:39]
	s_orn2_b64 s[12:13], vcc, exec
.LBB485_62:
	s_or_b64 exec, exec, s[14:15]
.LBB485_63:
	v_mul_lo_u32 v36, v21, s26
	v_mul_lo_u32 v37, v20, s27
	v_mad_u64_u32 v[32:33], s[14:15], v20, s26, 0
	v_add3_u32 v33, v33, v37, v36
	s_and_b64 vcc, exec, s[4:5]
	v_lshl_add_u64 v[32:33], v[32:33], 2, s[36:37]
	s_cbranch_vccnz .LBB485_72
; %bb.64:
	global_load_dword v36, v[32:33], off
	global_load_dword v37, v[34:35], off
	s_mov_b64 s[10:11], -1
	s_waitcnt vmcnt(0)
	v_cmp_eq_u32_e32 vcc, v36, v37
	s_and_saveexec_b64 s[14:15], vcc
	s_cbranch_execz .LBB485_71
; %bb.65:
	s_add_u32 s10, s26, -1
	v_lshl_add_u64 v[34:35], v[34:35], 0, 4
	v_lshl_add_u64 v[36:37], v[32:33], 0, 4
	s_addc_u32 s11, s27, -1
	s_mov_b64 s[16:17], 0
	s_mov_b64 s[42:43], 0
                                        ; implicit-def: $sgpr40_sgpr41
	s_branch .LBB485_68
.LBB485_66:                             ;   in Loop: Header=BB485_68 Depth=1
	global_load_dword v38, v[36:37], off
	global_load_dword v39, v[34:35], off
	s_add_u32 s42, s42, 1
	s_addc_u32 s43, s43, 0
	s_andn2_b64 s[40:41], s[40:41], exec
	v_lshl_add_u64 v[34:35], v[34:35], 0, 4
	v_lshl_add_u64 v[36:37], v[36:37], 0, 4
	s_waitcnt vmcnt(0)
	v_cmp_ne_u32_e32 vcc, v38, v39
	s_and_b64 s[44:45], vcc, exec
	s_or_b64 s[40:41], s[40:41], s[44:45]
.LBB485_67:                             ;   in Loop: Header=BB485_68 Depth=1
	s_and_b64 s[44:45], exec, s[40:41]
	s_or_b64 s[16:17], s[44:45], s[16:17]
	v_mov_b64_e32 v[38:39], s[42:43]
	s_andn2_b64 exec, exec, s[16:17]
	s_cbranch_execz .LBB485_70
.LBB485_68:                             ; =>This Inner Loop Header: Depth=1
	s_or_b64 s[40:41], s[40:41], exec
	s_cmp_eq_u64 s[10:11], s[42:43]
	s_cbranch_scc0 .LBB485_66
; %bb.69:                               ;   in Loop: Header=BB485_68 Depth=1
                                        ; implicit-def: $vgpr34_vgpr35
                                        ; implicit-def: $vgpr36_vgpr37
	s_mov_b64 s[42:43], s[26:27]
	s_branch .LBB485_67
.LBB485_70:
	s_or_b64 exec, exec, s[16:17]
	v_cmp_gt_i64_e32 vcc, s[26:27], v[38:39]
	s_orn2_b64 s[10:11], vcc, exec
.LBB485_71:
	s_or_b64 exec, exec, s[14:15]
.LBB485_72:
	v_mul_lo_u32 v36, v19, s26
	v_mul_lo_u32 v37, v18, s27
	v_mad_u64_u32 v[34:35], s[14:15], v18, s26, 0
	v_add3_u32 v35, v35, v37, v36
	s_mov_b64 s[14:15], 0
	s_and_b64 vcc, exec, s[4:5]
	v_lshl_add_u64 v[36:37], v[34:35], 2, s[36:37]
	s_mov_b64 s[16:17], 0
	s_cbranch_vccnz .LBB485_81
; %bb.73:
	global_load_dword v34, v[36:37], off
	global_load_dword v35, v[32:33], off
	s_mov_b64 s[16:17], -1
	s_waitcnt vmcnt(0)
	v_cmp_eq_u32_e32 vcc, v34, v35
	s_and_saveexec_b64 s[40:41], vcc
	s_cbranch_execz .LBB485_80
; %bb.74:
	s_add_u32 s16, s26, -1
	v_lshl_add_u64 v[32:33], v[32:33], 0, 4
	v_lshl_add_u64 v[34:35], v[36:37], 0, 4
	s_addc_u32 s17, s27, -1
	s_mov_b64 s[42:43], 0
	s_mov_b64 s[46:47], 0
                                        ; implicit-def: $sgpr44_sgpr45
	s_branch .LBB485_77
.LBB485_75:                             ;   in Loop: Header=BB485_77 Depth=1
	global_load_dword v38, v[34:35], off
	global_load_dword v39, v[32:33], off
	s_add_u32 s46, s46, 1
	s_addc_u32 s47, s47, 0
	s_andn2_b64 s[44:45], s[44:45], exec
	v_lshl_add_u64 v[32:33], v[32:33], 0, 4
	v_lshl_add_u64 v[34:35], v[34:35], 0, 4
	s_waitcnt vmcnt(0)
	v_cmp_ne_u32_e32 vcc, v38, v39
	s_and_b64 s[48:49], vcc, exec
	s_or_b64 s[44:45], s[44:45], s[48:49]
.LBB485_76:                             ;   in Loop: Header=BB485_77 Depth=1
	s_and_b64 s[48:49], exec, s[44:45]
	s_or_b64 s[42:43], s[48:49], s[42:43]
	v_mov_b64_e32 v[38:39], s[46:47]
	s_andn2_b64 exec, exec, s[42:43]
	s_cbranch_execz .LBB485_79
.LBB485_77:                             ; =>This Inner Loop Header: Depth=1
	s_or_b64 s[44:45], s[44:45], exec
	s_cmp_eq_u64 s[16:17], s[46:47]
	s_cbranch_scc0 .LBB485_75
; %bb.78:                               ;   in Loop: Header=BB485_77 Depth=1
                                        ; implicit-def: $vgpr32_vgpr33
                                        ; implicit-def: $vgpr34_vgpr35
	s_mov_b64 s[46:47], s[26:27]
	s_branch .LBB485_76
.LBB485_79:
	s_or_b64 exec, exec, s[42:43]
	v_cmp_gt_i64_e32 vcc, s[26:27], v[38:39]
	s_orn2_b64 s[16:17], vcc, exec
.LBB485_80:
	s_or_b64 exec, exec, s[40:41]
.LBB485_81:
	v_mul_lo_u32 v34, v25, s26
	v_mul_lo_u32 v35, v24, s27
	v_mad_u64_u32 v[32:33], s[40:41], v24, s26, 0
	v_add3_u32 v33, v33, v35, v34
	s_and_b64 vcc, exec, s[4:5]
	v_lshl_add_u64 v[34:35], v[32:33], 2, s[36:37]
	s_cbranch_vccnz .LBB485_90
; %bb.82:
	global_load_dword v32, v[34:35], off
	global_load_dword v33, v[36:37], off
	s_mov_b64 s[14:15], -1
	s_waitcnt vmcnt(0)
	v_cmp_eq_u32_e32 vcc, v32, v33
	s_and_saveexec_b64 s[40:41], vcc
	s_cbranch_execz .LBB485_89
; %bb.83:
	s_add_u32 s14, s26, -1
	v_lshl_add_u64 v[32:33], v[36:37], 0, 4
	v_lshl_add_u64 v[36:37], v[34:35], 0, 4
	s_addc_u32 s15, s27, -1
	s_mov_b64 s[42:43], 0
	s_mov_b64 s[46:47], 0
                                        ; implicit-def: $sgpr44_sgpr45
	s_branch .LBB485_86
.LBB485_84:                             ;   in Loop: Header=BB485_86 Depth=1
	global_load_dword v38, v[36:37], off
	global_load_dword v39, v[32:33], off
	s_add_u32 s46, s46, 1
	s_addc_u32 s47, s47, 0
	s_andn2_b64 s[44:45], s[44:45], exec
	v_lshl_add_u64 v[32:33], v[32:33], 0, 4
	v_lshl_add_u64 v[36:37], v[36:37], 0, 4
	s_waitcnt vmcnt(0)
	v_cmp_ne_u32_e32 vcc, v38, v39
	s_and_b64 s[48:49], vcc, exec
	s_or_b64 s[44:45], s[44:45], s[48:49]
.LBB485_85:                             ;   in Loop: Header=BB485_86 Depth=1
	s_and_b64 s[48:49], exec, s[44:45]
	s_or_b64 s[42:43], s[48:49], s[42:43]
	v_mov_b64_e32 v[38:39], s[46:47]
	s_andn2_b64 exec, exec, s[42:43]
	s_cbranch_execz .LBB485_88
.LBB485_86:                             ; =>This Inner Loop Header: Depth=1
	s_or_b64 s[44:45], s[44:45], exec
	s_cmp_eq_u64 s[14:15], s[46:47]
	s_cbranch_scc0 .LBB485_84
; %bb.87:                               ;   in Loop: Header=BB485_86 Depth=1
                                        ; implicit-def: $vgpr32_vgpr33
                                        ; implicit-def: $vgpr36_vgpr37
	s_mov_b64 s[46:47], s[26:27]
	s_branch .LBB485_85
.LBB485_88:
	s_or_b64 exec, exec, s[42:43]
	v_cmp_gt_i64_e32 vcc, s[26:27], v[38:39]
	s_orn2_b64 s[14:15], vcc, exec
.LBB485_89:
	s_or_b64 exec, exec, s[40:41]
.LBB485_90:
	v_mul_lo_u32 v36, v23, s26
	v_mul_lo_u32 v37, v22, s27
	v_mad_u64_u32 v[32:33], s[40:41], v22, s26, 0
	v_add3_u32 v33, v33, v37, v36
	s_mov_b64 s[42:43], 0
	s_and_b64 vcc, exec, s[4:5]
	v_lshl_add_u64 v[32:33], v[32:33], 2, s[36:37]
	s_cbranch_vccnz .LBB485_99
; %bb.91:
	global_load_dword v36, v[32:33], off
	global_load_dword v37, v[34:35], off
	s_mov_b64 s[42:43], -1
	s_waitcnt vmcnt(0)
	v_cmp_eq_u32_e32 vcc, v36, v37
	s_and_saveexec_b64 s[40:41], vcc
	s_cbranch_execz .LBB485_98
; %bb.92:
	s_add_u32 s42, s26, -1
	v_lshl_add_u64 v[34:35], v[34:35], 0, 4
	v_lshl_add_u64 v[36:37], v[32:33], 0, 4
	s_addc_u32 s43, s27, -1
	s_mov_b64 s[44:45], 0
	s_mov_b64 s[48:49], 0
                                        ; implicit-def: $sgpr46_sgpr47
	s_branch .LBB485_95
.LBB485_93:                             ;   in Loop: Header=BB485_95 Depth=1
	global_load_dword v38, v[36:37], off
	global_load_dword v39, v[34:35], off
	s_add_u32 s48, s48, 1
	s_addc_u32 s49, s49, 0
	s_andn2_b64 s[46:47], s[46:47], exec
	v_lshl_add_u64 v[34:35], v[34:35], 0, 4
	v_lshl_add_u64 v[36:37], v[36:37], 0, 4
	s_waitcnt vmcnt(0)
	v_cmp_ne_u32_e32 vcc, v38, v39
	s_and_b64 s[50:51], vcc, exec
	s_or_b64 s[46:47], s[46:47], s[50:51]
.LBB485_94:                             ;   in Loop: Header=BB485_95 Depth=1
	s_and_b64 s[50:51], exec, s[46:47]
	s_or_b64 s[44:45], s[50:51], s[44:45]
	v_mov_b64_e32 v[38:39], s[48:49]
	s_andn2_b64 exec, exec, s[44:45]
	s_cbranch_execz .LBB485_97
.LBB485_95:                             ; =>This Inner Loop Header: Depth=1
	s_or_b64 s[46:47], s[46:47], exec
	s_cmp_eq_u64 s[42:43], s[48:49]
	s_cbranch_scc0 .LBB485_93
; %bb.96:                               ;   in Loop: Header=BB485_95 Depth=1
                                        ; implicit-def: $vgpr34_vgpr35
                                        ; implicit-def: $vgpr36_vgpr37
	s_mov_b64 s[48:49], s[26:27]
	s_branch .LBB485_94
.LBB485_97:
	s_or_b64 exec, exec, s[44:45]
	v_cmp_gt_i64_e32 vcc, s[26:27], v[38:39]
	s_orn2_b64 s[42:43], vcc, exec
.LBB485_98:
	s_or_b64 exec, exec, s[40:41]
.LBB485_99:
	s_waitcnt vmcnt(0)
	v_mov_b64_e32 v[34:35], v[30:31]
	s_waitcnt lgkmcnt(0)
	s_barrier
	s_and_saveexec_b64 s[40:41], s[2:3]
	s_cbranch_execz .LBB485_101
; %bb.100:
	v_add_u32_e32 v34, -8, v47
	ds_read_b64 v[34:35], v34
.LBB485_101:
	s_or_b64 exec, exec, s[40:41]
	v_cndmask_b32_e64 v37, 0, 1, s[16:17]
	v_cndmask_b32_e64 v36, 0, 1, s[14:15]
	;; [unrolled: 1-line block ×3, first 2 shown]
	v_lshlrev_b16_e32 v37, 8, v37
	v_lshlrev_b16_e32 v38, 8, v38
	v_or_b32_sdwa v50, v36, v37 dst_sel:WORD_1 dst_unused:UNUSED_PAD src0_sel:DWORD src1_sel:DWORD
	s_mov_b64 s[16:17], 0
	s_and_b64 vcc, exec, s[4:5]
	s_mov_b64 s[14:15], 0
	s_cbranch_vccnz .LBB485_110
; %bb.102:
	s_waitcnt lgkmcnt(0)
	v_mul_lo_u32 v36, v35, s26
	v_mul_lo_u32 v37, v34, s27
	v_mad_u64_u32 v[34:35], s[14:15], v34, s26, 0
	v_add3_u32 v35, v35, v37, v36
	v_lshl_add_u64 v[34:35], v[34:35], 2, s[36:37]
	global_load_dword v36, v[34:35], off
	global_load_dword v37, v[32:33], off
	s_mov_b64 s[14:15], -1
	s_waitcnt vmcnt(0)
	v_cmp_eq_u32_e32 vcc, v36, v37
	s_and_saveexec_b64 s[40:41], vcc
	s_cbranch_execz .LBB485_109
; %bb.103:
	s_add_u32 s14, s26, -1
	v_lshl_add_u64 v[32:33], v[32:33], 0, 4
	v_lshl_add_u64 v[34:35], v[34:35], 0, 4
	s_addc_u32 s15, s27, -1
	s_mov_b64 s[42:43], 0
	s_mov_b64 s[46:47], 0
                                        ; implicit-def: $sgpr44_sgpr45
	s_branch .LBB485_106
.LBB485_104:                            ;   in Loop: Header=BB485_106 Depth=1
	global_load_dword v36, v[34:35], off
	global_load_dword v37, v[32:33], off
	s_add_u32 s46, s46, 1
	s_addc_u32 s47, s47, 0
	s_andn2_b64 s[44:45], s[44:45], exec
	v_lshl_add_u64 v[32:33], v[32:33], 0, 4
	v_lshl_add_u64 v[34:35], v[34:35], 0, 4
	s_waitcnt vmcnt(0)
	v_cmp_ne_u32_e32 vcc, v36, v37
	s_and_b64 s[48:49], vcc, exec
	s_or_b64 s[44:45], s[44:45], s[48:49]
.LBB485_105:                            ;   in Loop: Header=BB485_106 Depth=1
	s_and_b64 s[48:49], exec, s[44:45]
	s_or_b64 s[42:43], s[48:49], s[42:43]
	v_mov_b64_e32 v[36:37], s[46:47]
	s_andn2_b64 exec, exec, s[42:43]
	s_cbranch_execz .LBB485_108
.LBB485_106:                            ; =>This Inner Loop Header: Depth=1
	s_or_b64 s[44:45], s[44:45], exec
	s_cmp_eq_u64 s[14:15], s[46:47]
	s_cbranch_scc0 .LBB485_104
; %bb.107:                              ;   in Loop: Header=BB485_106 Depth=1
                                        ; implicit-def: $vgpr32_vgpr33
                                        ; implicit-def: $vgpr34_vgpr35
	s_mov_b64 s[46:47], s[26:27]
	s_branch .LBB485_105
.LBB485_108:
	s_or_b64 exec, exec, s[42:43]
	v_cmp_gt_i64_e32 vcc, s[26:27], v[36:37]
	s_orn2_b64 s[14:15], vcc, exec
.LBB485_109:
	s_or_b64 exec, exec, s[40:41]
.LBB485_110:
	v_cndmask_b32_e64 v39, 0, 1, s[10:11]
	v_cndmask_b32_e64 v48, 0, 1, s[12:13]
	v_cndmask_b32_e64 v49, 0, 1, s[6:7]
	s_waitcnt lgkmcnt(0)
	v_or_b32_e32 v34, v38, v50
	s_and_b64 vcc, exec, s[16:17]
	s_cbranch_vccz .LBB485_191
.LBB485_111:
	v_cmp_gt_u32_e32 vcc, s54, v42
	s_mov_b64 s[10:11], 0
	s_mov_b64 s[6:7], 0
	s_and_saveexec_b64 s[12:13], vcc
	s_cbranch_execz .LBB485_122
; %bb.112:
	s_and_b64 vcc, exec, s[4:5]
	s_mov_b64 s[14:15], 0
	s_cbranch_vccnz .LBB485_121
; %bb.113:
	v_mul_lo_u32 v34, v17, s26
	v_mul_lo_u32 v35, v16, s27
	v_mad_u64_u32 v[32:33], s[6:7], v16, s26, 0
	v_add3_u32 v33, v33, v35, v34
	v_mul_lo_u32 v34, v29, s26
	v_mul_lo_u32 v35, v28, s27
	v_mad_u64_u32 v[36:37], s[6:7], v28, s26, 0
	v_add3_u32 v37, v37, v35, v34
	v_lshl_add_u64 v[34:35], v[32:33], 2, s[36:37]
	v_lshl_add_u64 v[32:33], v[36:37], 2, s[36:37]
	global_load_dword v36, v[34:35], off
	global_load_dword v37, v[32:33], off
	s_mov_b64 s[14:15], -1
	s_waitcnt vmcnt(0)
	v_cmp_eq_u32_e32 vcc, v36, v37
	s_and_saveexec_b64 s[6:7], vcc
	s_cbranch_execz .LBB485_120
; %bb.114:
	s_add_u32 s14, s26, -1
	v_lshl_add_u64 v[32:33], v[32:33], 0, 4
	v_lshl_add_u64 v[34:35], v[34:35], 0, 4
	s_addc_u32 s15, s27, -1
	s_mov_b64 s[16:17], 0
	s_mov_b64 s[42:43], 0
                                        ; implicit-def: $sgpr40_sgpr41
	s_branch .LBB485_117
.LBB485_115:                            ;   in Loop: Header=BB485_117 Depth=1
	global_load_dword v36, v[34:35], off
	global_load_dword v37, v[32:33], off
	s_add_u32 s42, s42, 1
	s_addc_u32 s43, s43, 0
	s_andn2_b64 s[40:41], s[40:41], exec
	v_lshl_add_u64 v[32:33], v[32:33], 0, 4
	v_lshl_add_u64 v[34:35], v[34:35], 0, 4
	s_waitcnt vmcnt(0)
	v_cmp_ne_u32_e32 vcc, v36, v37
	s_and_b64 s[44:45], vcc, exec
	s_or_b64 s[40:41], s[40:41], s[44:45]
.LBB485_116:                            ;   in Loop: Header=BB485_117 Depth=1
	s_and_b64 s[44:45], exec, s[40:41]
	s_or_b64 s[16:17], s[44:45], s[16:17]
	v_mov_b64_e32 v[36:37], s[42:43]
	s_andn2_b64 exec, exec, s[16:17]
	s_cbranch_execz .LBB485_119
.LBB485_117:                            ; =>This Inner Loop Header: Depth=1
	s_or_b64 s[40:41], s[40:41], exec
	s_cmp_eq_u64 s[14:15], s[42:43]
	s_cbranch_scc0 .LBB485_115
; %bb.118:                              ;   in Loop: Header=BB485_117 Depth=1
                                        ; implicit-def: $vgpr32_vgpr33
                                        ; implicit-def: $vgpr34_vgpr35
	s_mov_b64 s[42:43], s[26:27]
	s_branch .LBB485_116
.LBB485_119:
	s_or_b64 exec, exec, s[16:17]
	v_cmp_gt_i64_e32 vcc, s[26:27], v[36:37]
	s_orn2_b64 s[14:15], vcc, exec
.LBB485_120:
	s_or_b64 exec, exec, s[6:7]
.LBB485_121:
	s_and_b64 s[6:7], s[14:15], exec
.LBB485_122:
	s_or_b64 exec, exec, s[12:13]
	v_cmp_gt_u32_e32 vcc, s54, v45
	s_and_saveexec_b64 s[12:13], vcc
	s_cbranch_execz .LBB485_133
; %bb.123:
	s_and_b64 vcc, exec, s[4:5]
	s_mov_b64 s[14:15], 0
	s_cbranch_vccnz .LBB485_132
; %bb.124:
	v_mul_lo_u32 v34, v15, s26
	v_mul_lo_u32 v35, v14, s27
	v_mad_u64_u32 v[32:33], s[10:11], v14, s26, 0
	v_add3_u32 v33, v33, v35, v34
	v_mul_lo_u32 v34, v17, s26
	v_mul_lo_u32 v35, v16, s27
	v_mad_u64_u32 v[36:37], s[10:11], v16, s26, 0
	v_add3_u32 v37, v37, v35, v34
	v_lshl_add_u64 v[34:35], v[32:33], 2, s[36:37]
	v_lshl_add_u64 v[32:33], v[36:37], 2, s[36:37]
	global_load_dword v36, v[34:35], off
	global_load_dword v37, v[32:33], off
	s_mov_b64 s[14:15], -1
	s_waitcnt vmcnt(0)
	v_cmp_eq_u32_e32 vcc, v36, v37
	s_and_saveexec_b64 s[10:11], vcc
	s_cbranch_execz .LBB485_131
; %bb.125:
	s_add_u32 s14, s26, -1
	v_lshl_add_u64 v[32:33], v[32:33], 0, 4
	v_lshl_add_u64 v[34:35], v[34:35], 0, 4
	s_addc_u32 s15, s27, -1
	s_mov_b64 s[16:17], 0
	s_mov_b64 s[42:43], 0
                                        ; implicit-def: $sgpr40_sgpr41
	s_branch .LBB485_128
.LBB485_126:                            ;   in Loop: Header=BB485_128 Depth=1
	global_load_dword v36, v[34:35], off
	global_load_dword v37, v[32:33], off
	s_add_u32 s42, s42, 1
	s_addc_u32 s43, s43, 0
	s_andn2_b64 s[40:41], s[40:41], exec
	v_lshl_add_u64 v[32:33], v[32:33], 0, 4
	v_lshl_add_u64 v[34:35], v[34:35], 0, 4
	s_waitcnt vmcnt(0)
	v_cmp_ne_u32_e32 vcc, v36, v37
	s_and_b64 s[44:45], vcc, exec
	s_or_b64 s[40:41], s[40:41], s[44:45]
.LBB485_127:                            ;   in Loop: Header=BB485_128 Depth=1
	s_and_b64 s[44:45], exec, s[40:41]
	s_or_b64 s[16:17], s[44:45], s[16:17]
	v_mov_b64_e32 v[36:37], s[42:43]
	s_andn2_b64 exec, exec, s[16:17]
	s_cbranch_execz .LBB485_130
.LBB485_128:                            ; =>This Inner Loop Header: Depth=1
	s_or_b64 s[40:41], s[40:41], exec
	s_cmp_eq_u64 s[14:15], s[42:43]
	s_cbranch_scc0 .LBB485_126
; %bb.129:                              ;   in Loop: Header=BB485_128 Depth=1
                                        ; implicit-def: $vgpr32_vgpr33
                                        ; implicit-def: $vgpr34_vgpr35
	s_mov_b64 s[42:43], s[26:27]
	s_branch .LBB485_127
.LBB485_130:
	s_or_b64 exec, exec, s[16:17]
	v_cmp_gt_i64_e32 vcc, s[26:27], v[36:37]
	s_orn2_b64 s[14:15], vcc, exec
.LBB485_131:
	s_or_b64 exec, exec, s[10:11]
.LBB485_132:
	s_and_b64 s[10:11], s[14:15], exec
.LBB485_133:
	s_or_b64 exec, exec, s[12:13]
	v_cmp_gt_u32_e32 vcc, s54, v41
	s_mov_b64 s[14:15], 0
	s_mov_b64 s[12:13], 0
	s_and_saveexec_b64 s[16:17], vcc
	s_cbranch_execz .LBB485_144
; %bb.134:
	s_and_b64 vcc, exec, s[4:5]
	s_mov_b64 s[40:41], 0
	s_cbranch_vccnz .LBB485_143
; %bb.135:
	v_mul_lo_u32 v34, v21, s26
	v_mul_lo_u32 v35, v20, s27
	v_mad_u64_u32 v[32:33], s[12:13], v20, s26, 0
	v_add3_u32 v33, v33, v35, v34
	v_mul_lo_u32 v34, v15, s26
	v_mul_lo_u32 v35, v14, s27
	v_mad_u64_u32 v[36:37], s[12:13], v14, s26, 0
	v_add3_u32 v37, v37, v35, v34
	v_lshl_add_u64 v[34:35], v[32:33], 2, s[36:37]
	v_lshl_add_u64 v[32:33], v[36:37], 2, s[36:37]
	global_load_dword v36, v[34:35], off
	global_load_dword v37, v[32:33], off
	s_mov_b64 s[40:41], -1
	s_waitcnt vmcnt(0)
	v_cmp_eq_u32_e32 vcc, v36, v37
	s_and_saveexec_b64 s[12:13], vcc
	s_cbranch_execz .LBB485_142
; %bb.136:
	s_add_u32 s40, s26, -1
	v_lshl_add_u64 v[32:33], v[32:33], 0, 4
	v_lshl_add_u64 v[34:35], v[34:35], 0, 4
	s_addc_u32 s41, s27, -1
	s_mov_b64 s[42:43], 0
	s_mov_b64 s[46:47], 0
                                        ; implicit-def: $sgpr44_sgpr45
	s_branch .LBB485_139
.LBB485_137:                            ;   in Loop: Header=BB485_139 Depth=1
	global_load_dword v36, v[34:35], off
	global_load_dword v37, v[32:33], off
	s_add_u32 s46, s46, 1
	s_addc_u32 s47, s47, 0
	s_andn2_b64 s[44:45], s[44:45], exec
	v_lshl_add_u64 v[32:33], v[32:33], 0, 4
	v_lshl_add_u64 v[34:35], v[34:35], 0, 4
	s_waitcnt vmcnt(0)
	v_cmp_ne_u32_e32 vcc, v36, v37
	s_and_b64 s[48:49], vcc, exec
	s_or_b64 s[44:45], s[44:45], s[48:49]
.LBB485_138:                            ;   in Loop: Header=BB485_139 Depth=1
	s_and_b64 s[48:49], exec, s[44:45]
	s_or_b64 s[42:43], s[48:49], s[42:43]
	v_mov_b64_e32 v[36:37], s[46:47]
	s_andn2_b64 exec, exec, s[42:43]
	s_cbranch_execz .LBB485_141
.LBB485_139:                            ; =>This Inner Loop Header: Depth=1
	s_or_b64 s[44:45], s[44:45], exec
	s_cmp_eq_u64 s[40:41], s[46:47]
	s_cbranch_scc0 .LBB485_137
; %bb.140:                              ;   in Loop: Header=BB485_139 Depth=1
                                        ; implicit-def: $vgpr32_vgpr33
                                        ; implicit-def: $vgpr34_vgpr35
	s_mov_b64 s[46:47], s[26:27]
	s_branch .LBB485_138
.LBB485_141:
	s_or_b64 exec, exec, s[42:43]
	v_cmp_gt_i64_e32 vcc, s[26:27], v[36:37]
	s_orn2_b64 s[40:41], vcc, exec
.LBB485_142:
	s_or_b64 exec, exec, s[12:13]
.LBB485_143:
	s_and_b64 s[12:13], s[40:41], exec
.LBB485_144:
	s_or_b64 exec, exec, s[16:17]
	v_cmp_gt_u32_e32 vcc, s54, v44
	s_and_saveexec_b64 s[16:17], vcc
	s_cbranch_execz .LBB485_155
; %bb.145:
	s_and_b64 vcc, exec, s[4:5]
	s_mov_b64 s[40:41], 0
	s_cbranch_vccnz .LBB485_154
; %bb.146:
	v_mul_lo_u32 v34, v19, s26
	v_mul_lo_u32 v35, v18, s27
	v_mad_u64_u32 v[32:33], s[14:15], v18, s26, 0
	v_add3_u32 v33, v33, v35, v34
	v_mul_lo_u32 v34, v21, s26
	v_mul_lo_u32 v35, v20, s27
	v_mad_u64_u32 v[36:37], s[14:15], v20, s26, 0
	v_add3_u32 v37, v37, v35, v34
	v_lshl_add_u64 v[34:35], v[32:33], 2, s[36:37]
	v_lshl_add_u64 v[32:33], v[36:37], 2, s[36:37]
	global_load_dword v36, v[34:35], off
	global_load_dword v37, v[32:33], off
	s_mov_b64 s[40:41], -1
	s_waitcnt vmcnt(0)
	v_cmp_eq_u32_e32 vcc, v36, v37
	s_and_saveexec_b64 s[14:15], vcc
	s_cbranch_execz .LBB485_153
; %bb.147:
	s_add_u32 s40, s26, -1
	v_lshl_add_u64 v[32:33], v[32:33], 0, 4
	v_lshl_add_u64 v[34:35], v[34:35], 0, 4
	s_addc_u32 s41, s27, -1
	s_mov_b64 s[42:43], 0
	s_mov_b64 s[46:47], 0
                                        ; implicit-def: $sgpr44_sgpr45
	s_branch .LBB485_150
.LBB485_148:                            ;   in Loop: Header=BB485_150 Depth=1
	global_load_dword v36, v[34:35], off
	global_load_dword v37, v[32:33], off
	s_add_u32 s46, s46, 1
	s_addc_u32 s47, s47, 0
	s_andn2_b64 s[44:45], s[44:45], exec
	v_lshl_add_u64 v[32:33], v[32:33], 0, 4
	v_lshl_add_u64 v[34:35], v[34:35], 0, 4
	s_waitcnt vmcnt(0)
	v_cmp_ne_u32_e32 vcc, v36, v37
	s_and_b64 s[48:49], vcc, exec
	s_or_b64 s[44:45], s[44:45], s[48:49]
.LBB485_149:                            ;   in Loop: Header=BB485_150 Depth=1
	s_and_b64 s[48:49], exec, s[44:45]
	s_or_b64 s[42:43], s[48:49], s[42:43]
	v_mov_b64_e32 v[36:37], s[46:47]
	s_andn2_b64 exec, exec, s[42:43]
	s_cbranch_execz .LBB485_152
.LBB485_150:                            ; =>This Inner Loop Header: Depth=1
	s_or_b64 s[44:45], s[44:45], exec
	s_cmp_eq_u64 s[40:41], s[46:47]
	s_cbranch_scc0 .LBB485_148
; %bb.151:                              ;   in Loop: Header=BB485_150 Depth=1
                                        ; implicit-def: $vgpr32_vgpr33
                                        ; implicit-def: $vgpr34_vgpr35
	s_mov_b64 s[46:47], s[26:27]
	s_branch .LBB485_149
.LBB485_152:
	s_or_b64 exec, exec, s[42:43]
	v_cmp_gt_i64_e32 vcc, s[26:27], v[36:37]
	s_orn2_b64 s[40:41], vcc, exec
.LBB485_153:
	s_or_b64 exec, exec, s[14:15]
.LBB485_154:
	s_and_b64 s[14:15], s[40:41], exec
.LBB485_155:
	s_or_b64 exec, exec, s[16:17]
	v_cmp_gt_u32_e32 vcc, s54, v40
	s_mov_b64 s[16:17], 0
	s_mov_b64 s[40:41], 0
	s_and_saveexec_b64 s[42:43], vcc
	s_cbranch_execz .LBB485_166
; %bb.156:
	s_and_b64 vcc, exec, s[4:5]
	s_mov_b64 s[44:45], 0
	s_cbranch_vccnz .LBB485_165
; %bb.157:
	v_mul_lo_u32 v34, v25, s26
	v_mul_lo_u32 v35, v24, s27
	v_mad_u64_u32 v[32:33], s[40:41], v24, s26, 0
	v_add3_u32 v33, v33, v35, v34
	v_mul_lo_u32 v34, v19, s26
	v_mul_lo_u32 v35, v18, s27
	v_mad_u64_u32 v[36:37], s[40:41], v18, s26, 0
	v_add3_u32 v37, v37, v35, v34
	v_lshl_add_u64 v[34:35], v[32:33], 2, s[36:37]
	v_lshl_add_u64 v[32:33], v[36:37], 2, s[36:37]
	global_load_dword v36, v[34:35], off
	global_load_dword v37, v[32:33], off
	s_mov_b64 s[44:45], -1
	s_waitcnt vmcnt(0)
	v_cmp_eq_u32_e32 vcc, v36, v37
	s_and_saveexec_b64 s[40:41], vcc
	s_cbranch_execz .LBB485_164
; %bb.158:
	s_add_u32 s44, s26, -1
	v_lshl_add_u64 v[32:33], v[32:33], 0, 4
	v_lshl_add_u64 v[34:35], v[34:35], 0, 4
	s_addc_u32 s45, s27, -1
	s_mov_b64 s[46:47], 0
	s_mov_b64 s[50:51], 0
                                        ; implicit-def: $sgpr48_sgpr49
	s_branch .LBB485_161
.LBB485_159:                            ;   in Loop: Header=BB485_161 Depth=1
	global_load_dword v36, v[34:35], off
	global_load_dword v37, v[32:33], off
	s_add_u32 s50, s50, 1
	s_addc_u32 s51, s51, 0
	s_andn2_b64 s[48:49], s[48:49], exec
	v_lshl_add_u64 v[32:33], v[32:33], 0, 4
	v_lshl_add_u64 v[34:35], v[34:35], 0, 4
	s_waitcnt vmcnt(0)
	v_cmp_ne_u32_e32 vcc, v36, v37
	s_and_b64 s[52:53], vcc, exec
	s_or_b64 s[48:49], s[48:49], s[52:53]
.LBB485_160:                            ;   in Loop: Header=BB485_161 Depth=1
	s_and_b64 s[52:53], exec, s[48:49]
	s_or_b64 s[46:47], s[52:53], s[46:47]
	v_mov_b64_e32 v[36:37], s[50:51]
	s_andn2_b64 exec, exec, s[46:47]
	s_cbranch_execz .LBB485_163
.LBB485_161:                            ; =>This Inner Loop Header: Depth=1
	s_or_b64 s[48:49], s[48:49], exec
	s_cmp_eq_u64 s[44:45], s[50:51]
	s_cbranch_scc0 .LBB485_159
; %bb.162:                              ;   in Loop: Header=BB485_161 Depth=1
                                        ; implicit-def: $vgpr32_vgpr33
                                        ; implicit-def: $vgpr34_vgpr35
	s_mov_b64 s[50:51], s[26:27]
	s_branch .LBB485_160
.LBB485_163:
	s_or_b64 exec, exec, s[46:47]
	v_cmp_gt_i64_e32 vcc, s[26:27], v[36:37]
	s_orn2_b64 s[44:45], vcc, exec
.LBB485_164:
	s_or_b64 exec, exec, s[40:41]
.LBB485_165:
	s_and_b64 s[40:41], s[44:45], exec
.LBB485_166:
	s_or_b64 exec, exec, s[42:43]
	v_cmp_gt_u32_e32 vcc, s54, v43
	s_and_saveexec_b64 s[42:43], vcc
	s_cbranch_execz .LBB485_177
; %bb.167:
	s_and_b64 vcc, exec, s[4:5]
	s_mov_b64 s[44:45], 0
	s_cbranch_vccnz .LBB485_176
; %bb.168:
	v_mul_lo_u32 v34, v23, s26
	v_mul_lo_u32 v35, v22, s27
	v_mad_u64_u32 v[32:33], s[16:17], v22, s26, 0
	v_add3_u32 v33, v33, v35, v34
	v_mul_lo_u32 v34, v25, s26
	v_mul_lo_u32 v35, v24, s27
	v_mad_u64_u32 v[36:37], s[16:17], v24, s26, 0
	v_add3_u32 v37, v37, v35, v34
	v_lshl_add_u64 v[34:35], v[32:33], 2, s[36:37]
	v_lshl_add_u64 v[32:33], v[36:37], 2, s[36:37]
	global_load_dword v36, v[34:35], off
	global_load_dword v37, v[32:33], off
	s_mov_b64 s[44:45], -1
	s_waitcnt vmcnt(0)
	v_cmp_eq_u32_e32 vcc, v36, v37
	s_and_saveexec_b64 s[16:17], vcc
	s_cbranch_execz .LBB485_175
; %bb.169:
	s_add_u32 s44, s26, -1
	v_lshl_add_u64 v[32:33], v[32:33], 0, 4
	v_lshl_add_u64 v[34:35], v[34:35], 0, 4
	s_addc_u32 s45, s27, -1
	s_mov_b64 s[46:47], 0
	s_mov_b64 s[50:51], 0
                                        ; implicit-def: $sgpr48_sgpr49
	s_branch .LBB485_172
.LBB485_170:                            ;   in Loop: Header=BB485_172 Depth=1
	global_load_dword v36, v[34:35], off
	global_load_dword v37, v[32:33], off
	s_add_u32 s50, s50, 1
	s_addc_u32 s51, s51, 0
	s_andn2_b64 s[48:49], s[48:49], exec
	v_lshl_add_u64 v[32:33], v[32:33], 0, 4
	v_lshl_add_u64 v[34:35], v[34:35], 0, 4
	s_waitcnt vmcnt(0)
	v_cmp_ne_u32_e32 vcc, v36, v37
	s_and_b64 s[52:53], vcc, exec
	s_or_b64 s[48:49], s[48:49], s[52:53]
.LBB485_171:                            ;   in Loop: Header=BB485_172 Depth=1
	s_and_b64 s[52:53], exec, s[48:49]
	s_or_b64 s[46:47], s[52:53], s[46:47]
	v_mov_b64_e32 v[36:37], s[50:51]
	s_andn2_b64 exec, exec, s[46:47]
	s_cbranch_execz .LBB485_174
.LBB485_172:                            ; =>This Inner Loop Header: Depth=1
	s_or_b64 s[48:49], s[48:49], exec
	s_cmp_eq_u64 s[44:45], s[50:51]
	s_cbranch_scc0 .LBB485_170
; %bb.173:                              ;   in Loop: Header=BB485_172 Depth=1
                                        ; implicit-def: $vgpr32_vgpr33
                                        ; implicit-def: $vgpr34_vgpr35
	s_mov_b64 s[50:51], s[26:27]
	s_branch .LBB485_171
.LBB485_174:
	s_or_b64 exec, exec, s[46:47]
	v_cmp_gt_i64_e32 vcc, s[26:27], v[36:37]
	s_orn2_b64 s[44:45], vcc, exec
.LBB485_175:
	s_or_b64 exec, exec, s[16:17]
.LBB485_176:
	s_and_b64 s[16:17], s[44:45], exec
.LBB485_177:
	s_or_b64 exec, exec, s[42:43]
	s_waitcnt lgkmcnt(0)
	s_barrier
	s_and_saveexec_b64 s[42:43], s[2:3]
	s_cbranch_execz .LBB485_179
; %bb.178:
	s_waitcnt vmcnt(0)
	v_add_u32_e32 v30, -8, v47
	ds_read_b64 v[30:31], v30
.LBB485_179:
	s_or_b64 exec, exec, s[42:43]
	v_cndmask_b32_e64 v33, 0, 1, s[14:15]
	v_cndmask_b32_e64 v32, 0, 1, s[40:41]
	;; [unrolled: 1-line block ×3, first 2 shown]
	v_lshlrev_b16_e32 v33, 8, v33
	v_cmp_gt_u32_e32 vcc, s54, v1
	v_lshlrev_b16_e32 v36, 8, v34
	v_or_b32_sdwa v37, v32, v33 dst_sel:WORD_1 dst_unused:UNUSED_PAD src0_sel:DWORD src1_sel:DWORD
	s_mov_b64 s[14:15], 0
	s_and_saveexec_b64 s[16:17], vcc
	s_cbranch_execz .LBB485_190
; %bb.180:
	s_and_b64 vcc, exec, s[4:5]
	s_cbranch_vccnz .LBB485_189
; %bb.181:
	s_waitcnt vmcnt(0) lgkmcnt(0)
	v_mul_lo_u32 v32, v31, s26
	v_mul_lo_u32 v33, v30, s27
	v_mad_u64_u32 v[30:31], s[4:5], v30, s26, 0
	v_add3_u32 v31, v31, v33, v32
	v_mul_lo_u32 v32, v23, s26
	v_mul_lo_u32 v33, v22, s27
	v_mad_u64_u32 v[34:35], s[4:5], v22, s26, 0
	v_add3_u32 v35, v35, v33, v32
	v_lshl_add_u64 v[32:33], v[30:31], 2, s[36:37]
	v_lshl_add_u64 v[30:31], v[34:35], 2, s[36:37]
	global_load_dword v34, v[32:33], off
	global_load_dword v35, v[30:31], off
	s_mov_b64 s[14:15], -1
	s_waitcnt vmcnt(0)
	v_cmp_eq_u32_e32 vcc, v34, v35
	s_and_saveexec_b64 s[4:5], vcc
	s_cbranch_execz .LBB485_188
; %bb.182:
	s_add_u32 s14, s26, -1
	v_lshl_add_u64 v[30:31], v[30:31], 0, 4
	v_lshl_add_u64 v[32:33], v[32:33], 0, 4
	s_addc_u32 s15, s27, -1
	s_mov_b64 s[40:41], 0
	s_mov_b64 s[44:45], 0
                                        ; implicit-def: $sgpr42_sgpr43
	s_branch .LBB485_185
.LBB485_183:                            ;   in Loop: Header=BB485_185 Depth=1
	global_load_dword v34, v[32:33], off
	global_load_dword v35, v[30:31], off
	s_add_u32 s44, s44, 1
	s_addc_u32 s45, s45, 0
	s_andn2_b64 s[42:43], s[42:43], exec
	v_lshl_add_u64 v[30:31], v[30:31], 0, 4
	v_lshl_add_u64 v[32:33], v[32:33], 0, 4
	s_waitcnt vmcnt(0)
	v_cmp_ne_u32_e32 vcc, v34, v35
	s_and_b64 s[46:47], vcc, exec
	s_or_b64 s[42:43], s[42:43], s[46:47]
.LBB485_184:                            ;   in Loop: Header=BB485_185 Depth=1
	s_and_b64 s[46:47], exec, s[42:43]
	s_or_b64 s[40:41], s[46:47], s[40:41]
	v_mov_b64_e32 v[34:35], s[44:45]
	s_andn2_b64 exec, exec, s[40:41]
	s_cbranch_execz .LBB485_187
.LBB485_185:                            ; =>This Inner Loop Header: Depth=1
	s_or_b64 s[42:43], s[42:43], exec
	s_cmp_eq_u64 s[14:15], s[44:45]
	s_cbranch_scc0 .LBB485_183
; %bb.186:                              ;   in Loop: Header=BB485_185 Depth=1
                                        ; implicit-def: $vgpr30_vgpr31
                                        ; implicit-def: $vgpr32_vgpr33
	s_mov_b64 s[44:45], s[26:27]
	s_branch .LBB485_184
.LBB485_187:
	s_or_b64 exec, exec, s[40:41]
	v_cmp_gt_i64_e32 vcc, s[26:27], v[34:35]
	s_orn2_b64 s[14:15], vcc, exec
.LBB485_188:
	s_or_b64 exec, exec, s[4:5]
.LBB485_189:
	s_and_b64 s[14:15], s[14:15], exec
.LBB485_190:
	s_or_b64 exec, exec, s[16:17]
	v_cndmask_b32_e64 v39, 0, 1, s[12:13]
	v_cndmask_b32_e64 v48, 0, 1, s[10:11]
	v_cndmask_b32_e64 v49, 0, 1, s[6:7]
	v_or_b32_e32 v34, v36, v37
.LBB485_191:
	s_mov_b64 s[10:11], -1
	s_cbranch_execnz .LBB485_50
.LBB485_192:
	s_movk_i32 s4, 0xffd0
	v_mad_i32_i24 v38, v0, s4, v46
	s_mov_b64 s[12:13], 0
	v_cmp_gt_i64_e64 s[6:7], s[26:27], 0
	s_and_b64 vcc, exec, s[34:35]
	ds_write_b64 v38, v[28:29]
	s_cbranch_vccz .LBB485_200
; %bb.193:
	v_mul_lo_u32 v32, v17, s26
	v_mul_lo_u32 v33, v16, s27
	s_waitcnt vmcnt(0) lgkmcnt(1)
	v_mad_u64_u32 v[30:31], s[4:5], v16, s26, 0
	v_add3_u32 v31, v31, v33, v32
	v_cndmask_b32_e64 v32, 0, 1, s[6:7]
	v_cmp_ne_u32_e64 s[4:5], 1, v32
	s_andn2_b64 vcc, exec, s[6:7]
	v_lshl_add_u64 v[30:31], v[30:31], 2, s[36:37]
	s_cbranch_vccnz .LBB485_203
; %bb.194:
	v_mul_lo_u32 v34, v29, s26
	v_mul_lo_u32 v35, v28, s27
	v_mad_u64_u32 v[32:33], s[12:13], v28, s26, 0
	v_add3_u32 v33, v33, v35, v34
	v_lshl_add_u64 v[32:33], v[32:33], 2, s[36:37]
	global_load_dword v34, v[30:31], off
	global_load_dword v35, v[32:33], off
	s_mov_b64 s[12:13], -1
	s_waitcnt vmcnt(0)
	v_cmp_eq_u32_e32 vcc, v34, v35
	s_and_saveexec_b64 s[14:15], vcc
	s_cbranch_execz .LBB485_202
; %bb.195:
	s_add_u32 s12, s26, -1
	v_lshl_add_u64 v[32:33], v[32:33], 0, 4
	v_lshl_add_u64 v[34:35], v[30:31], 0, 4
	s_addc_u32 s13, s27, -1
	s_mov_b64 s[16:17], 0
	s_mov_b64 s[42:43], 0
                                        ; implicit-def: $sgpr40_sgpr41
	s_branch .LBB485_198
.LBB485_196:                            ;   in Loop: Header=BB485_198 Depth=1
	global_load_dword v36, v[34:35], off
	global_load_dword v37, v[32:33], off
	s_add_u32 s42, s42, 1
	s_addc_u32 s43, s43, 0
	s_andn2_b64 s[40:41], s[40:41], exec
	v_lshl_add_u64 v[32:33], v[32:33], 0, 4
	v_lshl_add_u64 v[34:35], v[34:35], 0, 4
	s_waitcnt vmcnt(0)
	v_cmp_ne_u32_e32 vcc, v36, v37
	s_and_b64 s[44:45], vcc, exec
	s_or_b64 s[40:41], s[40:41], s[44:45]
.LBB485_197:                            ;   in Loop: Header=BB485_198 Depth=1
	s_and_b64 s[44:45], exec, s[40:41]
	s_or_b64 s[16:17], s[44:45], s[16:17]
	v_mov_b64_e32 v[36:37], s[42:43]
	s_andn2_b64 exec, exec, s[16:17]
	s_cbranch_execz .LBB485_201
.LBB485_198:                            ; =>This Inner Loop Header: Depth=1
	s_or_b64 s[40:41], s[40:41], exec
	s_cmp_eq_u64 s[12:13], s[42:43]
	s_cbranch_scc0 .LBB485_196
; %bb.199:                              ;   in Loop: Header=BB485_198 Depth=1
                                        ; implicit-def: $vgpr32_vgpr33
                                        ; implicit-def: $vgpr34_vgpr35
	s_mov_b64 s[42:43], s[26:27]
	s_branch .LBB485_197
.LBB485_200:
                                        ; implicit-def: $sgpr14_sgpr15
                                        ; implicit-def: $vgpr49
                                        ; implicit-def: $vgpr48
                                        ; implicit-def: $vgpr39
                                        ; implicit-def: $vgpr34
                                        ; implicit-def: $vgpr30_vgpr31
	s_cbranch_execnz .LBB485_260
	s_branch .LBB485_340
.LBB485_201:
	s_or_b64 exec, exec, s[16:17]
	v_cmp_gt_i64_e32 vcc, s[26:27], v[36:37]
	s_orn2_b64 s[12:13], vcc, exec
.LBB485_202:
	s_or_b64 exec, exec, s[14:15]
.LBB485_203:
	v_mul_lo_u32 v34, v15, s26
	v_mul_lo_u32 v35, v14, s27
	v_mad_u64_u32 v[32:33], s[14:15], v14, s26, 0
	v_add3_u32 v33, v33, v35, v34
	s_mov_b64 s[14:15], 0
	s_and_b64 vcc, exec, s[4:5]
	v_lshl_add_u64 v[32:33], v[32:33], 2, s[36:37]
	s_mov_b64 s[16:17], 0
	s_cbranch_vccnz .LBB485_212
; %bb.204:
	global_load_dword v34, v[32:33], off
	global_load_dword v35, v[30:31], off
	s_mov_b64 s[16:17], -1
	s_waitcnt vmcnt(0)
	v_cmp_eq_u32_e32 vcc, v34, v35
	s_and_saveexec_b64 s[40:41], vcc
	s_cbranch_execz .LBB485_211
; %bb.205:
	s_add_u32 s16, s26, -1
	v_lshl_add_u64 v[30:31], v[30:31], 0, 4
	v_lshl_add_u64 v[34:35], v[32:33], 0, 4
	s_addc_u32 s17, s27, -1
	s_mov_b64 s[42:43], 0
	s_mov_b64 s[46:47], 0
                                        ; implicit-def: $sgpr44_sgpr45
	s_branch .LBB485_208
.LBB485_206:                            ;   in Loop: Header=BB485_208 Depth=1
	global_load_dword v36, v[34:35], off
	global_load_dword v37, v[30:31], off
	s_add_u32 s46, s46, 1
	s_addc_u32 s47, s47, 0
	s_andn2_b64 s[44:45], s[44:45], exec
	v_lshl_add_u64 v[30:31], v[30:31], 0, 4
	v_lshl_add_u64 v[34:35], v[34:35], 0, 4
	s_waitcnt vmcnt(0)
	v_cmp_ne_u32_e32 vcc, v36, v37
	s_and_b64 s[48:49], vcc, exec
	s_or_b64 s[44:45], s[44:45], s[48:49]
.LBB485_207:                            ;   in Loop: Header=BB485_208 Depth=1
	s_and_b64 s[48:49], exec, s[44:45]
	s_or_b64 s[42:43], s[48:49], s[42:43]
	v_mov_b64_e32 v[36:37], s[46:47]
	s_andn2_b64 exec, exec, s[42:43]
	s_cbranch_execz .LBB485_210
.LBB485_208:                            ; =>This Inner Loop Header: Depth=1
	s_or_b64 s[44:45], s[44:45], exec
	s_cmp_eq_u64 s[16:17], s[46:47]
	s_cbranch_scc0 .LBB485_206
; %bb.209:                              ;   in Loop: Header=BB485_208 Depth=1
                                        ; implicit-def: $vgpr30_vgpr31
                                        ; implicit-def: $vgpr34_vgpr35
	s_mov_b64 s[46:47], s[26:27]
	s_branch .LBB485_207
.LBB485_210:
	s_or_b64 exec, exec, s[42:43]
	v_cmp_gt_i64_e32 vcc, s[26:27], v[36:37]
	s_orn2_b64 s[16:17], vcc, exec
.LBB485_211:
	s_or_b64 exec, exec, s[40:41]
.LBB485_212:
	v_mul_lo_u32 v34, v21, s26
	v_mul_lo_u32 v35, v20, s27
	v_mad_u64_u32 v[30:31], s[40:41], v20, s26, 0
	v_add3_u32 v31, v31, v35, v34
	s_and_b64 vcc, exec, s[4:5]
	v_lshl_add_u64 v[30:31], v[30:31], 2, s[36:37]
	s_cbranch_vccnz .LBB485_221
; %bb.213:
	global_load_dword v34, v[30:31], off
	global_load_dword v35, v[32:33], off
	s_mov_b64 s[14:15], -1
	s_waitcnt vmcnt(0)
	v_cmp_eq_u32_e32 vcc, v34, v35
	s_and_saveexec_b64 s[40:41], vcc
	s_cbranch_execz .LBB485_220
; %bb.214:
	s_add_u32 s14, s26, -1
	v_lshl_add_u64 v[32:33], v[32:33], 0, 4
	v_lshl_add_u64 v[34:35], v[30:31], 0, 4
	s_addc_u32 s15, s27, -1
	s_mov_b64 s[42:43], 0
	s_mov_b64 s[46:47], 0
                                        ; implicit-def: $sgpr44_sgpr45
	s_branch .LBB485_217
.LBB485_215:                            ;   in Loop: Header=BB485_217 Depth=1
	global_load_dword v36, v[34:35], off
	global_load_dword v37, v[32:33], off
	s_add_u32 s46, s46, 1
	s_addc_u32 s47, s47, 0
	s_andn2_b64 s[44:45], s[44:45], exec
	v_lshl_add_u64 v[32:33], v[32:33], 0, 4
	v_lshl_add_u64 v[34:35], v[34:35], 0, 4
	s_waitcnt vmcnt(0)
	v_cmp_ne_u32_e32 vcc, v36, v37
	s_and_b64 s[48:49], vcc, exec
	s_or_b64 s[44:45], s[44:45], s[48:49]
.LBB485_216:                            ;   in Loop: Header=BB485_217 Depth=1
	s_and_b64 s[48:49], exec, s[44:45]
	s_or_b64 s[42:43], s[48:49], s[42:43]
	v_mov_b64_e32 v[36:37], s[46:47]
	s_andn2_b64 exec, exec, s[42:43]
	s_cbranch_execz .LBB485_219
.LBB485_217:                            ; =>This Inner Loop Header: Depth=1
	s_or_b64 s[44:45], s[44:45], exec
	s_cmp_eq_u64 s[14:15], s[46:47]
	s_cbranch_scc0 .LBB485_215
; %bb.218:                              ;   in Loop: Header=BB485_217 Depth=1
                                        ; implicit-def: $vgpr32_vgpr33
                                        ; implicit-def: $vgpr34_vgpr35
	s_mov_b64 s[46:47], s[26:27]
	s_branch .LBB485_216
.LBB485_219:
	s_or_b64 exec, exec, s[42:43]
	v_cmp_gt_i64_e32 vcc, s[26:27], v[36:37]
	s_orn2_b64 s[14:15], vcc, exec
.LBB485_220:
	s_or_b64 exec, exec, s[40:41]
.LBB485_221:
	v_mul_lo_u32 v34, v19, s26
	v_mul_lo_u32 v35, v18, s27
	v_mad_u64_u32 v[32:33], s[40:41], v18, s26, 0
	v_add3_u32 v33, v33, v35, v34
	s_mov_b64 s[40:41], 0
	s_and_b64 vcc, exec, s[4:5]
	v_lshl_add_u64 v[32:33], v[32:33], 2, s[36:37]
	s_mov_b64 s[42:43], 0
	s_cbranch_vccnz .LBB485_230
; %bb.222:
	global_load_dword v34, v[32:33], off
	global_load_dword v35, v[30:31], off
	s_mov_b64 s[42:43], -1
	s_waitcnt vmcnt(0)
	v_cmp_eq_u32_e32 vcc, v34, v35
	s_and_saveexec_b64 s[44:45], vcc
	s_cbranch_execz .LBB485_229
; %bb.223:
	s_add_u32 s42, s26, -1
	v_lshl_add_u64 v[30:31], v[30:31], 0, 4
	v_lshl_add_u64 v[34:35], v[32:33], 0, 4
	s_addc_u32 s43, s27, -1
	s_mov_b64 s[46:47], 0
	s_mov_b64 s[50:51], 0
                                        ; implicit-def: $sgpr48_sgpr49
	s_branch .LBB485_226
.LBB485_224:                            ;   in Loop: Header=BB485_226 Depth=1
	global_load_dword v36, v[34:35], off
	global_load_dword v37, v[30:31], off
	s_add_u32 s50, s50, 1
	s_addc_u32 s51, s51, 0
	s_andn2_b64 s[48:49], s[48:49], exec
	v_lshl_add_u64 v[30:31], v[30:31], 0, 4
	v_lshl_add_u64 v[34:35], v[34:35], 0, 4
	s_waitcnt vmcnt(0)
	v_cmp_ne_u32_e32 vcc, v36, v37
	s_and_b64 s[52:53], vcc, exec
	s_or_b64 s[48:49], s[48:49], s[52:53]
.LBB485_225:                            ;   in Loop: Header=BB485_226 Depth=1
	s_and_b64 s[52:53], exec, s[48:49]
	s_or_b64 s[46:47], s[52:53], s[46:47]
	v_mov_b64_e32 v[36:37], s[50:51]
	s_andn2_b64 exec, exec, s[46:47]
	s_cbranch_execz .LBB485_228
.LBB485_226:                            ; =>This Inner Loop Header: Depth=1
	s_or_b64 s[48:49], s[48:49], exec
	s_cmp_eq_u64 s[42:43], s[50:51]
	s_cbranch_scc0 .LBB485_224
; %bb.227:                              ;   in Loop: Header=BB485_226 Depth=1
                                        ; implicit-def: $vgpr30_vgpr31
                                        ; implicit-def: $vgpr34_vgpr35
	s_mov_b64 s[50:51], s[26:27]
	s_branch .LBB485_225
.LBB485_228:
	s_or_b64 exec, exec, s[46:47]
	v_cmp_gt_i64_e32 vcc, s[26:27], v[36:37]
	s_orn2_b64 s[42:43], vcc, exec
.LBB485_229:
	s_or_b64 exec, exec, s[44:45]
.LBB485_230:
	v_mul_lo_u32 v34, v25, s26
	v_mul_lo_u32 v35, v24, s27
	v_mad_u64_u32 v[30:31], s[44:45], v24, s26, 0
	v_add3_u32 v31, v31, v35, v34
	s_and_b64 vcc, exec, s[4:5]
	v_lshl_add_u64 v[30:31], v[30:31], 2, s[36:37]
	s_cbranch_vccnz .LBB485_239
; %bb.231:
	global_load_dword v34, v[30:31], off
	global_load_dword v35, v[32:33], off
	s_mov_b64 s[40:41], -1
	s_waitcnt vmcnt(0)
	v_cmp_eq_u32_e32 vcc, v34, v35
	s_and_saveexec_b64 s[44:45], vcc
	s_cbranch_execz .LBB485_238
; %bb.232:
	s_add_u32 s40, s26, -1
	v_lshl_add_u64 v[32:33], v[32:33], 0, 4
	v_lshl_add_u64 v[34:35], v[30:31], 0, 4
	s_addc_u32 s41, s27, -1
	s_mov_b64 s[46:47], 0
	s_mov_b64 s[50:51], 0
                                        ; implicit-def: $sgpr48_sgpr49
	s_branch .LBB485_235
.LBB485_233:                            ;   in Loop: Header=BB485_235 Depth=1
	global_load_dword v36, v[34:35], off
	global_load_dword v37, v[32:33], off
	s_add_u32 s50, s50, 1
	s_addc_u32 s51, s51, 0
	s_andn2_b64 s[48:49], s[48:49], exec
	v_lshl_add_u64 v[32:33], v[32:33], 0, 4
	v_lshl_add_u64 v[34:35], v[34:35], 0, 4
	s_waitcnt vmcnt(0)
	v_cmp_ne_u32_e32 vcc, v36, v37
	s_and_b64 s[52:53], vcc, exec
	s_or_b64 s[48:49], s[48:49], s[52:53]
.LBB485_234:                            ;   in Loop: Header=BB485_235 Depth=1
	s_and_b64 s[52:53], exec, s[48:49]
	s_or_b64 s[46:47], s[52:53], s[46:47]
	v_mov_b64_e32 v[36:37], s[50:51]
	s_andn2_b64 exec, exec, s[46:47]
	s_cbranch_execz .LBB485_237
.LBB485_235:                            ; =>This Inner Loop Header: Depth=1
	s_or_b64 s[48:49], s[48:49], exec
	s_cmp_eq_u64 s[40:41], s[50:51]
	s_cbranch_scc0 .LBB485_233
; %bb.236:                              ;   in Loop: Header=BB485_235 Depth=1
                                        ; implicit-def: $vgpr32_vgpr33
                                        ; implicit-def: $vgpr34_vgpr35
	s_mov_b64 s[50:51], s[26:27]
	s_branch .LBB485_234
.LBB485_237:
	s_or_b64 exec, exec, s[46:47]
	v_cmp_gt_i64_e32 vcc, s[26:27], v[36:37]
	s_orn2_b64 s[40:41], vcc, exec
.LBB485_238:
	s_or_b64 exec, exec, s[44:45]
.LBB485_239:
	v_mul_lo_u32 v34, v23, s26
	v_mul_lo_u32 v35, v22, s27
	v_mad_u64_u32 v[32:33], s[44:45], v22, s26, 0
	v_add3_u32 v33, v33, v35, v34
	s_and_b64 vcc, exec, s[4:5]
	s_mov_b64 s[46:47], 0
	s_cbranch_vccnz .LBB485_248
; %bb.240:
	v_lshl_add_u64 v[34:35], v[32:33], 2, s[36:37]
	global_load_dword v36, v[34:35], off
	global_load_dword v37, v[30:31], off
	s_mov_b64 s[46:47], -1
	s_waitcnt vmcnt(0)
	v_cmp_eq_u32_e32 vcc, v36, v37
	s_and_saveexec_b64 s[44:45], vcc
	s_cbranch_execz .LBB485_247
; %bb.241:
	s_add_u32 s46, s26, -1
	v_lshl_add_u64 v[30:31], v[30:31], 0, 4
	v_lshl_add_u64 v[34:35], v[34:35], 0, 4
	s_addc_u32 s47, s27, -1
	s_mov_b64 s[48:49], 0
	s_mov_b64 s[52:53], 0
                                        ; implicit-def: $sgpr50_sgpr51
	s_branch .LBB485_244
.LBB485_242:                            ;   in Loop: Header=BB485_244 Depth=1
	global_load_dword v36, v[34:35], off
	global_load_dword v37, v[30:31], off
	s_add_u32 s52, s52, 1
	s_addc_u32 s53, s53, 0
	s_andn2_b64 s[50:51], s[50:51], exec
	v_lshl_add_u64 v[30:31], v[30:31], 0, 4
	v_lshl_add_u64 v[34:35], v[34:35], 0, 4
	s_waitcnt vmcnt(0)
	v_cmp_ne_u32_e32 vcc, v36, v37
	s_and_b64 s[56:57], vcc, exec
	s_or_b64 s[50:51], s[50:51], s[56:57]
.LBB485_243:                            ;   in Loop: Header=BB485_244 Depth=1
	s_and_b64 s[56:57], exec, s[50:51]
	s_or_b64 s[48:49], s[56:57], s[48:49]
	v_mov_b64_e32 v[36:37], s[52:53]
	s_andn2_b64 exec, exec, s[48:49]
	s_cbranch_execz .LBB485_246
.LBB485_244:                            ; =>This Inner Loop Header: Depth=1
	s_or_b64 s[50:51], s[50:51], exec
	s_cmp_eq_u64 s[46:47], s[52:53]
	s_cbranch_scc0 .LBB485_242
; %bb.245:                              ;   in Loop: Header=BB485_244 Depth=1
                                        ; implicit-def: $vgpr30_vgpr31
                                        ; implicit-def: $vgpr34_vgpr35
	s_mov_b64 s[52:53], s[26:27]
	s_branch .LBB485_243
.LBB485_246:
	s_or_b64 exec, exec, s[48:49]
	v_cmp_gt_i64_e32 vcc, s[26:27], v[36:37]
	s_orn2_b64 s[46:47], vcc, exec
.LBB485_247:
	s_or_b64 exec, exec, s[44:45]
.LBB485_248:
	v_cndmask_b32_e64 v31, 0, 1, s[42:43]
	v_cndmask_b32_e64 v30, 0, 1, s[40:41]
	;; [unrolled: 1-line block ×3, first 2 shown]
	v_lshlrev_b16_e32 v31, 8, v31
	v_cndmask_b32_e64 v39, 0, 1, s[14:15]
	v_cndmask_b32_e64 v34, 0, 1, s[46:47]
	v_or_b32_sdwa v30, v30, v31 dst_sel:WORD_1 dst_unused:UNUSED_PAD src0_sel:DWORD src1_sel:DWORD
	v_lshlrev_b16_e32 v31, 8, v48
	v_lshlrev_b16_e32 v34, 8, v34
	v_or_b32_e32 v31, v39, v31
	v_or_b32_e32 v34, 1, v34
	v_and_b32_e32 v31, 0xffff, v31
	v_cndmask_b32_e64 v49, 0, 1, s[12:13]
	v_or_b32_sdwa v30, v34, v30 dst_sel:DWORD dst_unused:UNUSED_PAD src0_sel:WORD_0 src1_sel:DWORD
	v_lshl_or_b32 v31, v49, 16, v31
	s_waitcnt lgkmcnt(0)
	s_barrier
	s_waitcnt lgkmcnt(0)
                                        ; implicit-def: $sgpr14_sgpr15
                                        ; implicit-def: $vgpr34
	s_and_saveexec_b64 s[12:13], s[2:3]
	s_xor_b64 s[12:13], exec, s[12:13]
	s_cbranch_execz .LBB485_259
; %bb.249:
	s_mov_b32 s44, 0x3020104
	s_and_b64 vcc, exec, s[4:5]
	s_mov_b64 s[14:15], 0
	s_cbranch_vccnz .LBB485_258
; %bb.250:
	v_add_u32_e32 v31, -8, v38
	ds_read_b64 v[34:35], v31
	v_lshl_add_u64 v[32:33], v[32:33], 2, s[36:37]
	s_mov_b64 s[14:15], -1
	s_waitcnt lgkmcnt(0)
	v_mul_lo_u32 v31, v35, s26
	v_mul_lo_u32 v36, v34, s27
	v_mad_u64_u32 v[34:35], s[4:5], v34, s26, 0
	v_add3_u32 v35, v35, v36, v31
	v_lshl_add_u64 v[34:35], v[34:35], 2, s[36:37]
	global_load_dword v31, v[34:35], off
	global_load_dword v36, v[32:33], off
	s_waitcnt vmcnt(0)
	v_cmp_eq_u32_e32 vcc, v31, v36
	s_and_saveexec_b64 s[4:5], vcc
	s_cbranch_execz .LBB485_257
; %bb.251:
	s_add_u32 s14, s26, -1
	v_lshl_add_u64 v[32:33], v[32:33], 0, 4
	v_lshl_add_u64 v[34:35], v[34:35], 0, 4
	s_addc_u32 s15, s27, -1
	s_mov_b64 s[16:17], 0
	s_mov_b64 s[42:43], 0
                                        ; implicit-def: $sgpr40_sgpr41
	s_branch .LBB485_254
.LBB485_252:                            ;   in Loop: Header=BB485_254 Depth=1
	global_load_dword v31, v[34:35], off
	global_load_dword v36, v[32:33], off
	s_add_u32 s42, s42, 1
	s_addc_u32 s43, s43, 0
	s_andn2_b64 s[40:41], s[40:41], exec
	v_lshl_add_u64 v[32:33], v[32:33], 0, 4
	v_lshl_add_u64 v[34:35], v[34:35], 0, 4
	s_waitcnt vmcnt(0)
	v_cmp_ne_u32_e32 vcc, v31, v36
	s_and_b64 s[46:47], vcc, exec
	s_or_b64 s[40:41], s[40:41], s[46:47]
.LBB485_253:                            ;   in Loop: Header=BB485_254 Depth=1
	s_and_b64 s[46:47], exec, s[40:41]
	s_or_b64 s[16:17], s[46:47], s[16:17]
	v_mov_b64_e32 v[36:37], s[42:43]
	s_andn2_b64 exec, exec, s[16:17]
	s_cbranch_execz .LBB485_256
.LBB485_254:                            ; =>This Inner Loop Header: Depth=1
	s_or_b64 s[40:41], s[40:41], exec
	s_cmp_eq_u64 s[14:15], s[42:43]
	s_cbranch_scc0 .LBB485_252
; %bb.255:                              ;   in Loop: Header=BB485_254 Depth=1
                                        ; implicit-def: $vgpr32_vgpr33
                                        ; implicit-def: $vgpr34_vgpr35
	s_mov_b64 s[42:43], s[26:27]
	s_branch .LBB485_253
.LBB485_256:
	s_or_b64 exec, exec, s[16:17]
	v_cmp_gt_i64_e32 vcc, s[26:27], v[36:37]
	s_orn2_b64 s[14:15], vcc, exec
.LBB485_257:
	s_or_b64 exec, exec, s[4:5]
.LBB485_258:
	v_perm_b32 v34, v30, v30, s44
	s_and_b64 s[14:15], s[14:15], exec
	s_or_b64 s[10:11], s[10:11], exec
                                        ; implicit-def: $vgpr30_vgpr31
.LBB485_259:
	s_or_b64 exec, exec, s[12:13]
	s_branch .LBB485_340
.LBB485_260:
	v_cmp_gt_u32_e32 vcc, s54, v42
	s_mov_b64 s[12:13], 0
	s_mov_b64 s[4:5], 0
	s_and_saveexec_b64 s[14:15], vcc
	s_cbranch_execz .LBB485_271
; %bb.261:
	s_andn2_b64 vcc, exec, s[6:7]
	s_mov_b64 s[16:17], 0
	s_cbranch_vccnz .LBB485_270
; %bb.262:
	v_mul_lo_u32 v32, v17, s26
	v_mul_lo_u32 v33, v16, s27
	s_waitcnt vmcnt(0) lgkmcnt(1)
	v_mad_u64_u32 v[30:31], s[4:5], v16, s26, 0
	v_add3_u32 v31, v31, v33, v32
	v_mul_lo_u32 v32, v29, s26
	v_mul_lo_u32 v33, v28, s27
	v_mad_u64_u32 v[34:35], s[4:5], v28, s26, 0
	v_add3_u32 v35, v35, v33, v32
	v_lshl_add_u64 v[32:33], v[30:31], 2, s[36:37]
	v_lshl_add_u64 v[30:31], v[34:35], 2, s[36:37]
	global_load_dword v34, v[32:33], off
	global_load_dword v35, v[30:31], off
	s_mov_b64 s[16:17], -1
	s_waitcnt vmcnt(0)
	v_cmp_eq_u32_e32 vcc, v34, v35
	s_and_saveexec_b64 s[4:5], vcc
	s_cbranch_execz .LBB485_269
; %bb.263:
	s_add_u32 s16, s26, -1
	v_lshl_add_u64 v[30:31], v[30:31], 0, 4
	v_lshl_add_u64 v[32:33], v[32:33], 0, 4
	s_addc_u32 s17, s27, -1
	s_mov_b64 s[40:41], 0
	s_mov_b64 s[44:45], 0
                                        ; implicit-def: $sgpr42_sgpr43
	s_branch .LBB485_266
.LBB485_264:                            ;   in Loop: Header=BB485_266 Depth=1
	global_load_dword v34, v[32:33], off
	global_load_dword v35, v[30:31], off
	s_add_u32 s44, s44, 1
	s_addc_u32 s45, s45, 0
	s_andn2_b64 s[42:43], s[42:43], exec
	v_lshl_add_u64 v[30:31], v[30:31], 0, 4
	v_lshl_add_u64 v[32:33], v[32:33], 0, 4
	s_waitcnt vmcnt(0)
	v_cmp_ne_u32_e32 vcc, v34, v35
	s_and_b64 s[46:47], vcc, exec
	s_or_b64 s[42:43], s[42:43], s[46:47]
.LBB485_265:                            ;   in Loop: Header=BB485_266 Depth=1
	s_and_b64 s[46:47], exec, s[42:43]
	s_or_b64 s[40:41], s[46:47], s[40:41]
	v_mov_b64_e32 v[34:35], s[44:45]
	s_andn2_b64 exec, exec, s[40:41]
	s_cbranch_execz .LBB485_268
.LBB485_266:                            ; =>This Inner Loop Header: Depth=1
	s_or_b64 s[42:43], s[42:43], exec
	s_cmp_eq_u64 s[16:17], s[44:45]
	s_cbranch_scc0 .LBB485_264
; %bb.267:                              ;   in Loop: Header=BB485_266 Depth=1
                                        ; implicit-def: $vgpr30_vgpr31
                                        ; implicit-def: $vgpr32_vgpr33
	s_mov_b64 s[44:45], s[26:27]
	s_branch .LBB485_265
.LBB485_268:
	s_or_b64 exec, exec, s[40:41]
	v_cmp_gt_i64_e32 vcc, s[26:27], v[34:35]
	s_orn2_b64 s[16:17], vcc, exec
.LBB485_269:
	s_or_b64 exec, exec, s[4:5]
.LBB485_270:
	s_and_b64 s[4:5], s[16:17], exec
.LBB485_271:
	s_or_b64 exec, exec, s[14:15]
	v_cmp_gt_u32_e32 vcc, s54, v45
	s_and_saveexec_b64 s[14:15], vcc
	s_cbranch_execz .LBB485_282
; %bb.272:
	s_andn2_b64 vcc, exec, s[6:7]
	s_mov_b64 s[16:17], 0
	s_cbranch_vccnz .LBB485_281
; %bb.273:
	v_mul_lo_u32 v32, v15, s26
	v_mul_lo_u32 v33, v14, s27
	s_waitcnt vmcnt(0) lgkmcnt(1)
	v_mad_u64_u32 v[30:31], s[12:13], v14, s26, 0
	v_add3_u32 v31, v31, v33, v32
	v_mul_lo_u32 v32, v17, s26
	v_mul_lo_u32 v33, v16, s27
	v_mad_u64_u32 v[34:35], s[12:13], v16, s26, 0
	v_add3_u32 v35, v35, v33, v32
	v_lshl_add_u64 v[32:33], v[30:31], 2, s[36:37]
	v_lshl_add_u64 v[30:31], v[34:35], 2, s[36:37]
	global_load_dword v34, v[32:33], off
	global_load_dword v35, v[30:31], off
	s_mov_b64 s[16:17], -1
	s_waitcnt vmcnt(0)
	v_cmp_eq_u32_e32 vcc, v34, v35
	s_and_saveexec_b64 s[12:13], vcc
	s_cbranch_execz .LBB485_280
; %bb.274:
	s_add_u32 s16, s26, -1
	v_lshl_add_u64 v[30:31], v[30:31], 0, 4
	v_lshl_add_u64 v[32:33], v[32:33], 0, 4
	s_addc_u32 s17, s27, -1
	s_mov_b64 s[40:41], 0
	s_mov_b64 s[44:45], 0
                                        ; implicit-def: $sgpr42_sgpr43
	s_branch .LBB485_277
.LBB485_275:                            ;   in Loop: Header=BB485_277 Depth=1
	global_load_dword v34, v[32:33], off
	global_load_dword v35, v[30:31], off
	s_add_u32 s44, s44, 1
	s_addc_u32 s45, s45, 0
	s_andn2_b64 s[42:43], s[42:43], exec
	v_lshl_add_u64 v[30:31], v[30:31], 0, 4
	v_lshl_add_u64 v[32:33], v[32:33], 0, 4
	s_waitcnt vmcnt(0)
	v_cmp_ne_u32_e32 vcc, v34, v35
	s_and_b64 s[46:47], vcc, exec
	s_or_b64 s[42:43], s[42:43], s[46:47]
.LBB485_276:                            ;   in Loop: Header=BB485_277 Depth=1
	s_and_b64 s[46:47], exec, s[42:43]
	s_or_b64 s[40:41], s[46:47], s[40:41]
	v_mov_b64_e32 v[34:35], s[44:45]
	s_andn2_b64 exec, exec, s[40:41]
	s_cbranch_execz .LBB485_279
.LBB485_277:                            ; =>This Inner Loop Header: Depth=1
	s_or_b64 s[42:43], s[42:43], exec
	s_cmp_eq_u64 s[16:17], s[44:45]
	s_cbranch_scc0 .LBB485_275
; %bb.278:                              ;   in Loop: Header=BB485_277 Depth=1
                                        ; implicit-def: $vgpr30_vgpr31
                                        ; implicit-def: $vgpr32_vgpr33
	s_mov_b64 s[44:45], s[26:27]
	s_branch .LBB485_276
.LBB485_279:
	s_or_b64 exec, exec, s[40:41]
	v_cmp_gt_i64_e32 vcc, s[26:27], v[34:35]
	s_orn2_b64 s[16:17], vcc, exec
.LBB485_280:
	s_or_b64 exec, exec, s[12:13]
.LBB485_281:
	s_and_b64 s[12:13], s[16:17], exec
.LBB485_282:
	s_or_b64 exec, exec, s[14:15]
	v_cmp_gt_u32_e32 vcc, s54, v41
	s_mov_b64 s[16:17], 0
	s_mov_b64 s[14:15], 0
	s_and_saveexec_b64 s[40:41], vcc
	s_cbranch_execz .LBB485_293
; %bb.283:
	s_andn2_b64 vcc, exec, s[6:7]
	s_mov_b64 s[42:43], 0
	s_cbranch_vccnz .LBB485_292
; %bb.284:
	v_mul_lo_u32 v32, v21, s26
	v_mul_lo_u32 v33, v20, s27
	s_waitcnt vmcnt(0) lgkmcnt(1)
	v_mad_u64_u32 v[30:31], s[14:15], v20, s26, 0
	v_add3_u32 v31, v31, v33, v32
	v_mul_lo_u32 v32, v15, s26
	v_mul_lo_u32 v33, v14, s27
	v_mad_u64_u32 v[34:35], s[14:15], v14, s26, 0
	v_add3_u32 v35, v35, v33, v32
	v_lshl_add_u64 v[32:33], v[30:31], 2, s[36:37]
	v_lshl_add_u64 v[30:31], v[34:35], 2, s[36:37]
	global_load_dword v34, v[32:33], off
	global_load_dword v35, v[30:31], off
	s_mov_b64 s[42:43], -1
	s_waitcnt vmcnt(0)
	v_cmp_eq_u32_e32 vcc, v34, v35
	s_and_saveexec_b64 s[14:15], vcc
	s_cbranch_execz .LBB485_291
; %bb.285:
	s_add_u32 s42, s26, -1
	v_lshl_add_u64 v[30:31], v[30:31], 0, 4
	v_lshl_add_u64 v[32:33], v[32:33], 0, 4
	s_addc_u32 s43, s27, -1
	s_mov_b64 s[44:45], 0
	s_mov_b64 s[48:49], 0
                                        ; implicit-def: $sgpr46_sgpr47
	s_branch .LBB485_288
.LBB485_286:                            ;   in Loop: Header=BB485_288 Depth=1
	global_load_dword v34, v[32:33], off
	global_load_dword v35, v[30:31], off
	s_add_u32 s48, s48, 1
	s_addc_u32 s49, s49, 0
	s_andn2_b64 s[46:47], s[46:47], exec
	v_lshl_add_u64 v[30:31], v[30:31], 0, 4
	v_lshl_add_u64 v[32:33], v[32:33], 0, 4
	s_waitcnt vmcnt(0)
	v_cmp_ne_u32_e32 vcc, v34, v35
	s_and_b64 s[50:51], vcc, exec
	s_or_b64 s[46:47], s[46:47], s[50:51]
.LBB485_287:                            ;   in Loop: Header=BB485_288 Depth=1
	s_and_b64 s[50:51], exec, s[46:47]
	s_or_b64 s[44:45], s[50:51], s[44:45]
	v_mov_b64_e32 v[34:35], s[48:49]
	s_andn2_b64 exec, exec, s[44:45]
	s_cbranch_execz .LBB485_290
.LBB485_288:                            ; =>This Inner Loop Header: Depth=1
	s_or_b64 s[46:47], s[46:47], exec
	s_cmp_eq_u64 s[42:43], s[48:49]
	s_cbranch_scc0 .LBB485_286
; %bb.289:                              ;   in Loop: Header=BB485_288 Depth=1
                                        ; implicit-def: $vgpr30_vgpr31
                                        ; implicit-def: $vgpr32_vgpr33
	s_mov_b64 s[48:49], s[26:27]
	s_branch .LBB485_287
.LBB485_290:
	s_or_b64 exec, exec, s[44:45]
	v_cmp_gt_i64_e32 vcc, s[26:27], v[34:35]
	s_orn2_b64 s[42:43], vcc, exec
.LBB485_291:
	s_or_b64 exec, exec, s[14:15]
.LBB485_292:
	s_and_b64 s[14:15], s[42:43], exec
.LBB485_293:
	s_or_b64 exec, exec, s[40:41]
	v_cmp_gt_u32_e32 vcc, s54, v44
	s_and_saveexec_b64 s[40:41], vcc
	s_cbranch_execz .LBB485_304
; %bb.294:
	s_andn2_b64 vcc, exec, s[6:7]
	s_mov_b64 s[42:43], 0
	s_cbranch_vccnz .LBB485_303
; %bb.295:
	v_mul_lo_u32 v32, v19, s26
	v_mul_lo_u32 v33, v18, s27
	s_waitcnt vmcnt(0) lgkmcnt(1)
	v_mad_u64_u32 v[30:31], s[16:17], v18, s26, 0
	v_add3_u32 v31, v31, v33, v32
	v_mul_lo_u32 v32, v21, s26
	v_mul_lo_u32 v33, v20, s27
	v_mad_u64_u32 v[34:35], s[16:17], v20, s26, 0
	v_add3_u32 v35, v35, v33, v32
	v_lshl_add_u64 v[32:33], v[30:31], 2, s[36:37]
	v_lshl_add_u64 v[30:31], v[34:35], 2, s[36:37]
	global_load_dword v34, v[32:33], off
	global_load_dword v35, v[30:31], off
	s_mov_b64 s[42:43], -1
	s_waitcnt vmcnt(0)
	v_cmp_eq_u32_e32 vcc, v34, v35
	s_and_saveexec_b64 s[16:17], vcc
	s_cbranch_execz .LBB485_302
; %bb.296:
	s_add_u32 s42, s26, -1
	v_lshl_add_u64 v[30:31], v[30:31], 0, 4
	v_lshl_add_u64 v[32:33], v[32:33], 0, 4
	s_addc_u32 s43, s27, -1
	s_mov_b64 s[44:45], 0
	s_mov_b64 s[48:49], 0
                                        ; implicit-def: $sgpr46_sgpr47
	s_branch .LBB485_299
.LBB485_297:                            ;   in Loop: Header=BB485_299 Depth=1
	global_load_dword v34, v[32:33], off
	global_load_dword v35, v[30:31], off
	s_add_u32 s48, s48, 1
	s_addc_u32 s49, s49, 0
	s_andn2_b64 s[46:47], s[46:47], exec
	v_lshl_add_u64 v[30:31], v[30:31], 0, 4
	v_lshl_add_u64 v[32:33], v[32:33], 0, 4
	s_waitcnt vmcnt(0)
	v_cmp_ne_u32_e32 vcc, v34, v35
	s_and_b64 s[50:51], vcc, exec
	s_or_b64 s[46:47], s[46:47], s[50:51]
.LBB485_298:                            ;   in Loop: Header=BB485_299 Depth=1
	s_and_b64 s[50:51], exec, s[46:47]
	s_or_b64 s[44:45], s[50:51], s[44:45]
	v_mov_b64_e32 v[34:35], s[48:49]
	s_andn2_b64 exec, exec, s[44:45]
	s_cbranch_execz .LBB485_301
.LBB485_299:                            ; =>This Inner Loop Header: Depth=1
	s_or_b64 s[46:47], s[46:47], exec
	s_cmp_eq_u64 s[42:43], s[48:49]
	s_cbranch_scc0 .LBB485_297
; %bb.300:                              ;   in Loop: Header=BB485_299 Depth=1
                                        ; implicit-def: $vgpr30_vgpr31
                                        ; implicit-def: $vgpr32_vgpr33
	s_mov_b64 s[48:49], s[26:27]
	s_branch .LBB485_298
.LBB485_301:
	s_or_b64 exec, exec, s[44:45]
	v_cmp_gt_i64_e32 vcc, s[26:27], v[34:35]
	s_orn2_b64 s[42:43], vcc, exec
.LBB485_302:
	s_or_b64 exec, exec, s[16:17]
.LBB485_303:
	s_and_b64 s[16:17], s[42:43], exec
.LBB485_304:
	s_or_b64 exec, exec, s[40:41]
	v_cmp_gt_u32_e32 vcc, s54, v40
	s_mov_b64 s[40:41], 0
	s_mov_b64 s[42:43], 0
	s_and_saveexec_b64 s[44:45], vcc
	s_cbranch_execz .LBB485_315
; %bb.305:
	s_andn2_b64 vcc, exec, s[6:7]
	s_mov_b64 s[46:47], 0
	s_cbranch_vccnz .LBB485_314
; %bb.306:
	v_mul_lo_u32 v32, v25, s26
	v_mul_lo_u32 v33, v24, s27
	s_waitcnt vmcnt(0) lgkmcnt(1)
	v_mad_u64_u32 v[30:31], s[42:43], v24, s26, 0
	v_add3_u32 v31, v31, v33, v32
	v_mul_lo_u32 v32, v19, s26
	v_mul_lo_u32 v33, v18, s27
	v_mad_u64_u32 v[34:35], s[42:43], v18, s26, 0
	v_add3_u32 v35, v35, v33, v32
	v_lshl_add_u64 v[32:33], v[30:31], 2, s[36:37]
	v_lshl_add_u64 v[30:31], v[34:35], 2, s[36:37]
	global_load_dword v34, v[32:33], off
	global_load_dword v35, v[30:31], off
	s_mov_b64 s[46:47], -1
	s_waitcnt vmcnt(0)
	v_cmp_eq_u32_e32 vcc, v34, v35
	s_and_saveexec_b64 s[42:43], vcc
	s_cbranch_execz .LBB485_313
; %bb.307:
	s_add_u32 s46, s26, -1
	v_lshl_add_u64 v[30:31], v[30:31], 0, 4
	v_lshl_add_u64 v[32:33], v[32:33], 0, 4
	s_addc_u32 s47, s27, -1
	s_mov_b64 s[48:49], 0
	s_mov_b64 s[52:53], 0
                                        ; implicit-def: $sgpr50_sgpr51
	s_branch .LBB485_310
.LBB485_308:                            ;   in Loop: Header=BB485_310 Depth=1
	global_load_dword v34, v[32:33], off
	global_load_dword v35, v[30:31], off
	s_add_u32 s52, s52, 1
	s_addc_u32 s53, s53, 0
	s_andn2_b64 s[50:51], s[50:51], exec
	v_lshl_add_u64 v[30:31], v[30:31], 0, 4
	v_lshl_add_u64 v[32:33], v[32:33], 0, 4
	s_waitcnt vmcnt(0)
	v_cmp_ne_u32_e32 vcc, v34, v35
	s_and_b64 s[56:57], vcc, exec
	s_or_b64 s[50:51], s[50:51], s[56:57]
.LBB485_309:                            ;   in Loop: Header=BB485_310 Depth=1
	s_and_b64 s[56:57], exec, s[50:51]
	s_or_b64 s[48:49], s[56:57], s[48:49]
	v_mov_b64_e32 v[34:35], s[52:53]
	s_andn2_b64 exec, exec, s[48:49]
	s_cbranch_execz .LBB485_312
.LBB485_310:                            ; =>This Inner Loop Header: Depth=1
	s_or_b64 s[50:51], s[50:51], exec
	s_cmp_eq_u64 s[46:47], s[52:53]
	s_cbranch_scc0 .LBB485_308
; %bb.311:                              ;   in Loop: Header=BB485_310 Depth=1
                                        ; implicit-def: $vgpr30_vgpr31
                                        ; implicit-def: $vgpr32_vgpr33
	s_mov_b64 s[52:53], s[26:27]
	s_branch .LBB485_309
.LBB485_312:
	s_or_b64 exec, exec, s[48:49]
	v_cmp_gt_i64_e32 vcc, s[26:27], v[34:35]
	s_orn2_b64 s[46:47], vcc, exec
.LBB485_313:
	s_or_b64 exec, exec, s[42:43]
.LBB485_314:
	s_and_b64 s[42:43], s[46:47], exec
.LBB485_315:
	s_or_b64 exec, exec, s[44:45]
	v_cmp_gt_u32_e32 vcc, s54, v43
	s_and_saveexec_b64 s[44:45], vcc
	s_cbranch_execz .LBB485_326
; %bb.316:
	s_andn2_b64 vcc, exec, s[6:7]
	s_mov_b64 s[46:47], 0
	s_cbranch_vccnz .LBB485_325
; %bb.317:
	v_mul_lo_u32 v32, v23, s26
	v_mul_lo_u32 v33, v22, s27
	s_waitcnt vmcnt(0) lgkmcnt(1)
	v_mad_u64_u32 v[30:31], s[40:41], v22, s26, 0
	v_add3_u32 v31, v31, v33, v32
	v_mul_lo_u32 v32, v25, s26
	v_mul_lo_u32 v33, v24, s27
	v_mad_u64_u32 v[34:35], s[40:41], v24, s26, 0
	v_add3_u32 v35, v35, v33, v32
	v_lshl_add_u64 v[32:33], v[30:31], 2, s[36:37]
	v_lshl_add_u64 v[30:31], v[34:35], 2, s[36:37]
	global_load_dword v34, v[32:33], off
	global_load_dword v35, v[30:31], off
	s_mov_b64 s[46:47], -1
	s_waitcnt vmcnt(0)
	v_cmp_eq_u32_e32 vcc, v34, v35
	s_and_saveexec_b64 s[40:41], vcc
	s_cbranch_execz .LBB485_324
; %bb.318:
	s_add_u32 s46, s26, -1
	v_lshl_add_u64 v[30:31], v[30:31], 0, 4
	v_lshl_add_u64 v[32:33], v[32:33], 0, 4
	s_addc_u32 s47, s27, -1
	s_mov_b64 s[48:49], 0
	s_mov_b64 s[52:53], 0
                                        ; implicit-def: $sgpr50_sgpr51
	s_branch .LBB485_321
.LBB485_319:                            ;   in Loop: Header=BB485_321 Depth=1
	global_load_dword v34, v[32:33], off
	global_load_dword v35, v[30:31], off
	s_add_u32 s52, s52, 1
	s_addc_u32 s53, s53, 0
	s_andn2_b64 s[50:51], s[50:51], exec
	v_lshl_add_u64 v[30:31], v[30:31], 0, 4
	v_lshl_add_u64 v[32:33], v[32:33], 0, 4
	s_waitcnt vmcnt(0)
	v_cmp_ne_u32_e32 vcc, v34, v35
	s_and_b64 s[56:57], vcc, exec
	s_or_b64 s[50:51], s[50:51], s[56:57]
.LBB485_320:                            ;   in Loop: Header=BB485_321 Depth=1
	s_and_b64 s[56:57], exec, s[50:51]
	s_or_b64 s[48:49], s[56:57], s[48:49]
	v_mov_b64_e32 v[34:35], s[52:53]
	s_andn2_b64 exec, exec, s[48:49]
	s_cbranch_execz .LBB485_323
.LBB485_321:                            ; =>This Inner Loop Header: Depth=1
	s_or_b64 s[50:51], s[50:51], exec
	s_cmp_eq_u64 s[46:47], s[52:53]
	s_cbranch_scc0 .LBB485_319
; %bb.322:                              ;   in Loop: Header=BB485_321 Depth=1
                                        ; implicit-def: $vgpr30_vgpr31
                                        ; implicit-def: $vgpr32_vgpr33
	s_mov_b64 s[52:53], s[26:27]
	s_branch .LBB485_320
.LBB485_323:
	s_or_b64 exec, exec, s[48:49]
	v_cmp_gt_i64_e32 vcc, s[26:27], v[34:35]
	s_orn2_b64 s[46:47], vcc, exec
.LBB485_324:
	s_or_b64 exec, exec, s[40:41]
.LBB485_325:
	s_and_b64 s[40:41], s[46:47], exec
.LBB485_326:
	s_or_b64 exec, exec, s[44:45]
	s_waitcnt vmcnt(0) lgkmcnt(1)
	v_cndmask_b32_e64 v31, 0, 1, s[16:17]
	v_cndmask_b32_e64 v30, 0, 1, s[42:43]
	;; [unrolled: 1-line block ×3, first 2 shown]
	v_lshlrev_b16_e32 v31, 8, v31
	v_cndmask_b32_e64 v39, 0, 1, s[14:15]
	v_cndmask_b32_e64 v32, 0, 1, s[40:41]
	v_or_b32_sdwa v30, v30, v31 dst_sel:WORD_1 dst_unused:UNUSED_PAD src0_sel:DWORD src1_sel:DWORD
	v_lshlrev_b16_e32 v31, 8, v48
	v_lshlrev_b16_e32 v32, 8, v32
	v_or_b32_e32 v31, v39, v31
	v_or_b32_e32 v32, 1, v32
	v_and_b32_e32 v31, 0xffff, v31
	v_cndmask_b32_e64 v49, 0, 1, s[4:5]
	v_or_b32_sdwa v30, v32, v30 dst_sel:DWORD dst_unused:UNUSED_PAD src0_sel:WORD_0 src1_sel:DWORD
	v_lshl_or_b32 v31, v49, 16, v31
	s_waitcnt lgkmcnt(0)
	s_barrier
	s_waitcnt lgkmcnt(0)
                                        ; implicit-def: $sgpr14_sgpr15
                                        ; implicit-def: $vgpr34
	s_and_saveexec_b64 s[4:5], s[2:3]
	s_cbranch_execz .LBB485_339
; %bb.327:
	v_cmp_gt_u32_e32 vcc, s54, v1
	s_mov_b32 s40, 0x3020104
	s_mov_b64 s[12:13], 0
	s_and_saveexec_b64 s[2:3], vcc
	s_cbranch_execz .LBB485_338
; %bb.328:
	s_andn2_b64 vcc, exec, s[6:7]
	s_cbranch_vccnz .LBB485_337
; %bb.329:
	v_add_u32_e32 v31, -8, v38
	ds_read_b64 v[32:33], v31
	v_mul_lo_u32 v31, v23, s26
	v_mad_u64_u32 v[36:37], s[6:7], v22, s26, 0
	s_mov_b64 s[12:13], -1
	s_waitcnt lgkmcnt(0)
	v_mul_lo_u32 v34, v33, s26
	v_mul_lo_u32 v35, v32, s27
	v_mad_u64_u32 v[32:33], s[6:7], v32, s26, 0
	v_add3_u32 v33, v33, v35, v34
	v_mul_lo_u32 v34, v22, s27
	v_add3_u32 v37, v37, v34, v31
	v_lshl_add_u64 v[34:35], v[32:33], 2, s[36:37]
	v_lshl_add_u64 v[32:33], v[36:37], 2, s[36:37]
	global_load_dword v31, v[34:35], off
	global_load_dword v36, v[32:33], off
	s_waitcnt vmcnt(0)
	v_cmp_eq_u32_e32 vcc, v31, v36
	s_and_saveexec_b64 s[6:7], vcc
	s_cbranch_execz .LBB485_336
; %bb.330:
	s_add_u32 s12, s26, -1
	v_lshl_add_u64 v[32:33], v[32:33], 0, 4
	v_lshl_add_u64 v[34:35], v[34:35], 0, 4
	s_addc_u32 s13, s27, -1
	s_mov_b64 s[14:15], 0
	s_mov_b64 s[36:37], 0
                                        ; implicit-def: $sgpr16_sgpr17
	s_branch .LBB485_333
.LBB485_331:                            ;   in Loop: Header=BB485_333 Depth=1
	global_load_dword v31, v[34:35], off
	global_load_dword v36, v[32:33], off
	s_add_u32 s36, s36, 1
	s_addc_u32 s37, s37, 0
	s_andn2_b64 s[16:17], s[16:17], exec
	v_lshl_add_u64 v[32:33], v[32:33], 0, 4
	v_lshl_add_u64 v[34:35], v[34:35], 0, 4
	s_waitcnt vmcnt(0)
	v_cmp_ne_u32_e32 vcc, v31, v36
	s_and_b64 s[42:43], vcc, exec
	s_or_b64 s[16:17], s[16:17], s[42:43]
.LBB485_332:                            ;   in Loop: Header=BB485_333 Depth=1
	s_and_b64 s[42:43], exec, s[16:17]
	s_or_b64 s[14:15], s[42:43], s[14:15]
	v_mov_b64_e32 v[36:37], s[36:37]
	s_andn2_b64 exec, exec, s[14:15]
	s_cbranch_execz .LBB485_335
.LBB485_333:                            ; =>This Inner Loop Header: Depth=1
	s_or_b64 s[16:17], s[16:17], exec
	s_cmp_eq_u64 s[12:13], s[36:37]
	s_cbranch_scc0 .LBB485_331
; %bb.334:                              ;   in Loop: Header=BB485_333 Depth=1
                                        ; implicit-def: $vgpr32_vgpr33
                                        ; implicit-def: $vgpr34_vgpr35
	s_mov_b64 s[36:37], s[26:27]
	s_branch .LBB485_332
.LBB485_335:
	s_or_b64 exec, exec, s[14:15]
	v_cmp_gt_i64_e32 vcc, s[26:27], v[36:37]
	s_orn2_b64 s[12:13], vcc, exec
.LBB485_336:
	s_or_b64 exec, exec, s[6:7]
.LBB485_337:
	s_and_b64 s[12:13], s[12:13], exec
.LBB485_338:
	s_or_b64 exec, exec, s[2:3]
	v_perm_b32 v34, v30, v30, s40
	s_and_b64 s[14:15], s[12:13], exec
	s_or_b64 s[10:11], s[10:11], exec
                                        ; implicit-def: $vgpr30_vgpr31
.LBB485_339:
	s_or_b64 exec, exec, s[4:5]
.LBB485_340:
	s_and_saveexec_b64 s[2:3], s[10:11]
	s_cbranch_execz .LBB485_342
; %bb.341:
	s_waitcnt vmcnt(0) lgkmcnt(0)
	v_lshlrev_b16_e32 v31, 8, v48
	v_and_b32_e32 v32, 0xff, v49
	v_or_b32_sdwa v31, v39, v31 dst_sel:DWORD dst_unused:UNUSED_PAD src0_sel:BYTE_0 src1_sel:DWORD
	v_lshlrev_b32_e32 v32, 16, v32
	s_movk_i32 s4, 0xff
	v_or_b32_sdwa v31, v31, v32 dst_sel:DWORD dst_unused:UNUSED_PAD src0_sel:WORD_0 src1_sel:DWORD
	v_lshrrev_b32_e32 v32, 24, v34
	v_lshlrev_b16_e32 v32, 8, v32
	v_and_b32_sdwa v33, v34, s4 dst_sel:DWORD dst_unused:UNUSED_PAD src0_sel:WORD_1 src1_sel:DWORD
	v_or_b32_sdwa v32, v33, v32 dst_sel:WORD_1 dst_unused:UNUSED_PAD src0_sel:DWORD src1_sel:DWORD
	v_mov_b32_e32 v33, 8
	v_cndmask_b32_e64 v30, 0, 1, s[14:15]
	v_lshrrev_b32_sdwa v33, v33, v34 dst_sel:BYTE_1 dst_unused:UNUSED_PAD src0_sel:DWORD src1_sel:DWORD
	s_nop 0
	v_or_b32_e32 v30, v30, v33
	v_or_b32_sdwa v30, v30, v32 dst_sel:DWORD dst_unused:UNUSED_PAD src0_sel:WORD_0 src1_sel:DWORD
.LBB485_342:
	s_or_b64 exec, exec, s[2:3]
	s_andn2_b64 vcc, exec, s[8:9]
	s_cbranch_vccnz .LBB485_344
; %bb.343:
	s_waitcnt vmcnt(0) lgkmcnt(0)
	v_and_b32_e32 v32, 0xffff0000, v30
	v_cmp_gt_u32_e32 vcc, s54, v1
	s_mov_b32 s2, 0x40c0100
	s_nop 0
	v_cndmask_b32_e32 v1, v32, v30, vcc
	v_and_b32_e32 v1, 0xffff00ff, v1
	v_cmp_gt_u32_e32 vcc, s54, v43
	s_nop 1
	v_cndmask_b32_e32 v1, v1, v30, vcc
	v_lshrrev_b32_e32 v32, 24, v1
	v_perm_b32 v1, v32, v1, s2
	v_cmp_gt_u32_e32 vcc, s54, v40
	v_and_b32_e32 v32, 0xffffff00, v31
	s_nop 0
	v_cndmask_b32_e32 v1, v1, v30, vcc
	v_and_b32_e32 v1, 0xffffff, v1
	v_cmp_gt_u32_e32 vcc, s54, v44
	s_nop 1
	v_cndmask_b32_e32 v1, v1, v30, vcc
	v_cmp_gt_u32_e32 vcc, s54, v41
	s_nop 1
	v_cndmask_b32_e32 v32, v32, v31, vcc
	v_and_b32_e32 v32, 0xffff00ff, v32
	v_cndmask_b32_e32 v1, v1, v30, vcc
	v_cmp_gt_u32_e32 vcc, s54, v45
	s_nop 1
	v_cndmask_b32_e32 v32, v32, v31, vcc
	v_lshrrev_b32_e32 v33, 24, v32
	v_cndmask_b32_e32 v1, v1, v30, vcc
	v_perm_b32 v32, v33, v32, s2
	v_cmp_gt_u32_e32 vcc, s54, v42
	s_mov_b32 s2, 0x3020104
	s_nop 0
	v_cndmask_b32_e32 v1, v1, v30, vcc
	v_cndmask_b32_e32 v30, v32, v31, vcc
	v_mov_b32_e32 v31, 8
	v_lshrrev_b32_sdwa v31, v31, v30 dst_sel:BYTE_1 dst_unused:UNUSED_PAD src0_sel:DWORD src1_sel:DWORD
	s_nop 0
	v_or_b32_sdwa v31, v30, v31 dst_sel:DWORD dst_unused:UNUSED_PAD src0_sel:BYTE_0 src1_sel:DWORD
	v_and_b32_e32 v31, 0xffff, v31
	v_bfe_u32 v30, v30, 16, 8
	v_lshl_or_b32 v31, v30, 16, v31
	v_perm_b32 v30, v1, v1, s2
.LBB485_344:
	s_waitcnt vmcnt(0) lgkmcnt(0)
	v_and_b32_e32 v1, 0xff, v30
	v_bfe_u32 v43, v30, 8, 8
	v_bfe_u32 v45, v30, 16, 8
	v_alignbit_b32 v32, v31, v30, 24
	v_and_b32_e32 v47, 0xff, v32
	v_and_b32_e32 v48, 0xff, v31
	v_add3_u32 v33, v43, v1, v45
	v_bfe_u32 v49, v31, 8, 8
	v_bfe_u32 v32, v31, 16, 8
	v_add3_u32 v33, v33, v47, v48
	v_add3_u32 v52, v33, v49, v32
	v_mbcnt_lo_u32_b32 v32, -1, 0
	v_mbcnt_hi_u32_b32 v50, -1, v32
	v_and_b32_e32 v32, 15, v50
	v_cmp_eq_u32_e64 s[14:15], 0, v32
	v_cmp_lt_u32_e64 s[12:13], 1, v32
	v_cmp_lt_u32_e64 s[10:11], 3, v32
	;; [unrolled: 1-line block ×3, first 2 shown]
	v_and_b32_e32 v32, 16, v50
	v_cmp_eq_u32_e64 s[6:7], 0, v32
	v_or_b32_e32 v32, 63, v0
	v_cmp_lt_u32_e64 s[2:3], 31, v50
	v_lshrrev_b32_e32 v51, 6, v0
	v_cmp_eq_u32_e64 s[4:5], v32, v0
	s_and_b64 vcc, exec, s[0:1]
	s_barrier
	s_cbranch_vccz .LBB485_375
; %bb.345:
	v_mov_b32_dpp v32, v52 row_shr:1 row_mask:0xf bank_mask:0xf
	v_cndmask_b32_e64 v32, v32, 0, s[14:15]
	v_add_u32_e32 v32, v32, v52
	s_nop 1
	v_mov_b32_dpp v33, v32 row_shr:2 row_mask:0xf bank_mask:0xf
	v_cndmask_b32_e64 v33, 0, v33, s[12:13]
	v_add_u32_e32 v32, v32, v33
	s_nop 1
	;; [unrolled: 4-line block ×4, first 2 shown]
	v_mov_b32_dpp v33, v32 row_bcast:15 row_mask:0xf bank_mask:0xf
	v_cndmask_b32_e64 v33, v33, 0, s[6:7]
	v_add_u32_e32 v32, v32, v33
	s_nop 1
	v_mov_b32_dpp v33, v32 row_bcast:31 row_mask:0xf bank_mask:0xf
	v_cndmask_b32_e64 v33, 0, v33, s[2:3]
	v_add_u32_e32 v32, v32, v33
	s_and_saveexec_b64 s[0:1], s[4:5]
	s_cbranch_execz .LBB485_347
; %bb.346:
	v_lshlrev_b32_e32 v33, 2, v51
	ds_write_b32 v33, v32
.LBB485_347:
	s_or_b64 exec, exec, s[0:1]
	v_cmp_gt_u32_e32 vcc, 8, v0
	s_waitcnt lgkmcnt(0)
	s_barrier
	s_and_saveexec_b64 s[0:1], vcc
	s_cbranch_execz .LBB485_349
; %bb.348:
	v_lshlrev_b32_e32 v33, 2, v0
	ds_read_b32 v34, v33
	v_and_b32_e32 v35, 7, v50
	v_cmp_ne_u32_e32 vcc, 0, v35
	s_waitcnt lgkmcnt(0)
	v_mov_b32_dpp v36, v34 row_shr:1 row_mask:0xf bank_mask:0xf
	v_cndmask_b32_e32 v36, 0, v36, vcc
	v_add_u32_e32 v34, v36, v34
	v_cmp_lt_u32_e32 vcc, 1, v35
	s_nop 0
	v_mov_b32_dpp v36, v34 row_shr:2 row_mask:0xf bank_mask:0xf
	v_cndmask_b32_e32 v36, 0, v36, vcc
	v_add_u32_e32 v34, v34, v36
	v_cmp_lt_u32_e32 vcc, 3, v35
	s_nop 0
	v_mov_b32_dpp v36, v34 row_shr:4 row_mask:0xf bank_mask:0xf
	v_cndmask_b32_e32 v35, 0, v36, vcc
	v_add_u32_e32 v34, v34, v35
	ds_write_b32 v33, v34
.LBB485_349:
	s_or_b64 exec, exec, s[0:1]
	v_cmp_gt_u32_e32 vcc, 64, v0
	v_cmp_lt_u32_e64 s[0:1], 63, v0
	s_waitcnt lgkmcnt(0)
	s_barrier
	s_waitcnt lgkmcnt(0)
                                        ; implicit-def: $vgpr42
	s_and_saveexec_b64 s[16:17], s[0:1]
	s_cbranch_execz .LBB485_351
; %bb.350:
	v_lshl_add_u32 v33, v51, 2, -4
	ds_read_b32 v42, v33
	s_waitcnt lgkmcnt(0)
	v_add_u32_e32 v32, v42, v32
.LBB485_351:
	s_or_b64 exec, exec, s[16:17]
	v_add_u32_e32 v33, -1, v50
	v_and_b32_e32 v34, 64, v50
	v_cmp_lt_i32_e64 s[0:1], v33, v34
	v_cmp_eq_u32_e64 s[16:17], 0, v50
	s_nop 0
	v_cndmask_b32_e64 v33, v33, v50, s[0:1]
	v_lshlrev_b32_e32 v33, 2, v33
	ds_bpermute_b32 v44, v33, v32
	s_and_saveexec_b64 s[0:1], vcc
	s_cbranch_execz .LBB485_374
; %bb.352:
	v_mov_b32_e32 v41, 0
	ds_read_b32 v32, v41 offset:28
	s_and_saveexec_b64 s[26:27], s[16:17]
	s_cbranch_execz .LBB485_354
; %bb.353:
	s_add_i32 s36, s33, 64
	s_mov_b32 s37, 0
	s_lshl_b64 s[36:37], s[36:37], 3
	s_add_u32 s36, s38, s36
	v_mov_b32_e32 v33, 1
	s_addc_u32 s37, s39, s37
	s_waitcnt lgkmcnt(0)
	global_store_dwordx2 v41, v[32:33], s[36:37] sc1
.LBB485_354:
	s_or_b64 exec, exec, s[26:27]
	v_xad_u32 v34, v50, -1, s33
	v_add_u32_e32 v40, 64, v34
	v_lshl_add_u64 v[36:37], v[40:41], 3, s[38:39]
	global_load_dwordx2 v[38:39], v[36:37], off sc1
	s_waitcnt vmcnt(0)
	v_cmp_eq_u16_sdwa s[36:37], v39, v41 src0_sel:BYTE_0 src1_sel:DWORD
	s_and_saveexec_b64 s[26:27], s[36:37]
	s_cbranch_execz .LBB485_360
; %bb.355:
	s_mov_b32 s40, 1
	s_mov_b64 s[36:37], 0
	v_mov_b32_e32 v33, 0
.LBB485_356:                            ; =>This Loop Header: Depth=1
                                        ;     Child Loop BB485_357 Depth 2
	s_max_u32 s41, s40, 1
.LBB485_357:                            ;   Parent Loop BB485_356 Depth=1
                                        ; =>  This Inner Loop Header: Depth=2
	s_add_i32 s41, s41, -1
	s_cmp_eq_u32 s41, 0
	s_sleep 1
	s_cbranch_scc0 .LBB485_357
; %bb.358:                              ;   in Loop: Header=BB485_356 Depth=1
	global_load_dwordx2 v[38:39], v[36:37], off sc1
	s_cmp_lt_u32 s40, 32
	s_cselect_b64 s[42:43], -1, 0
	s_cmp_lg_u64 s[42:43], 0
	s_addc_u32 s40, s40, 0
	s_waitcnt vmcnt(0)
	v_cmp_ne_u16_sdwa s[42:43], v39, v33 src0_sel:BYTE_0 src1_sel:DWORD
	s_or_b64 s[36:37], s[42:43], s[36:37]
	s_andn2_b64 exec, exec, s[36:37]
	s_cbranch_execnz .LBB485_356
; %bb.359:
	s_or_b64 exec, exec, s[36:37]
.LBB485_360:
	s_or_b64 exec, exec, s[26:27]
	v_and_b32_e32 v46, 63, v50
	v_mov_b32_e32 v33, 2
	v_cmp_ne_u32_e32 vcc, 63, v46
	v_cmp_eq_u16_sdwa s[26:27], v39, v33 src0_sel:BYTE_0 src1_sel:DWORD
	v_lshlrev_b64 v[36:37], v50, -1
	v_addc_co_u32_e32 v41, vcc, 0, v50, vcc
	v_and_b32_e32 v35, s27, v37
	v_lshlrev_b32_e32 v53, 2, v41
	v_or_b32_e32 v35, 0x80000000, v35
	ds_bpermute_b32 v41, v53, v38
	v_and_b32_e32 v40, s26, v36
	v_ffbl_b32_e32 v35, v35
	v_add_u32_e32 v35, 32, v35
	v_ffbl_b32_e32 v40, v40
	v_min_u32_e32 v35, v40, v35
	v_cmp_lt_u32_e32 vcc, v46, v35
	v_add_u32_e32 v55, 2, v46
	v_add_u32_e32 v57, 4, v46
	s_waitcnt lgkmcnt(0)
	v_cndmask_b32_e32 v40, 0, v41, vcc
	v_cmp_gt_u32_e32 vcc, 62, v46
	v_add_u32_e32 v38, v40, v38
	v_add_u32_e32 v59, 8, v46
	v_cndmask_b32_e64 v40, 0, 1, vcc
	v_lshlrev_b32_e32 v40, 1, v40
	v_add_lshl_u32 v54, v40, v50, 2
	ds_bpermute_b32 v40, v54, v38
	v_cmp_le_u32_e32 vcc, v55, v35
	v_add_u32_e32 v62, 16, v46
	v_add_u32_e32 v64, 32, v46
	s_waitcnt lgkmcnt(0)
	v_cndmask_b32_e32 v40, 0, v40, vcc
	v_cmp_gt_u32_e32 vcc, 60, v46
	v_add_u32_e32 v38, v38, v40
	s_nop 0
	v_cndmask_b32_e64 v40, 0, 1, vcc
	v_lshlrev_b32_e32 v40, 2, v40
	v_add_lshl_u32 v56, v40, v50, 2
	ds_bpermute_b32 v40, v56, v38
	v_cmp_le_u32_e32 vcc, v57, v35
	s_waitcnt lgkmcnt(0)
	s_nop 0
	v_cndmask_b32_e32 v40, 0, v40, vcc
	v_cmp_gt_u32_e32 vcc, 56, v46
	v_add_u32_e32 v38, v38, v40
	s_nop 0
	v_cndmask_b32_e64 v40, 0, 1, vcc
	v_lshlrev_b32_e32 v40, 3, v40
	v_add_lshl_u32 v58, v40, v50, 2
	ds_bpermute_b32 v40, v58, v38
	v_cmp_le_u32_e32 vcc, v59, v35
	s_waitcnt lgkmcnt(0)
	s_nop 0
	;; [unrolled: 11-line block ×4, first 2 shown]
	v_cndmask_b32_e32 v35, 0, v40, vcc
	v_add_u32_e32 v38, v38, v35
	v_mov_b32_e32 v35, 0
	s_branch .LBB485_362
.LBB485_361:                            ;   in Loop: Header=BB485_362 Depth=1
	s_or_b64 exec, exec, s[26:27]
	v_cmp_eq_u16_sdwa s[26:27], v39, v33 src0_sel:BYTE_0 src1_sel:DWORD
	ds_bpermute_b32 v65, v53, v38
	v_subrev_u32_e32 v34, 64, v34
	v_and_b32_e32 v40, s27, v37
	v_or_b32_e32 v40, 0x80000000, v40
	v_and_b32_e32 v41, s26, v36
	v_ffbl_b32_e32 v40, v40
	v_add_u32_e32 v40, 32, v40
	v_ffbl_b32_e32 v41, v41
	v_min_u32_e32 v40, v41, v40
	v_cmp_lt_u32_e32 vcc, v46, v40
	s_waitcnt lgkmcnt(0)
	s_nop 0
	v_cndmask_b32_e32 v41, 0, v65, vcc
	v_add_u32_e32 v38, v41, v38
	ds_bpermute_b32 v41, v54, v38
	v_cmp_le_u32_e32 vcc, v55, v40
	s_waitcnt lgkmcnt(0)
	s_nop 0
	v_cndmask_b32_e32 v41, 0, v41, vcc
	v_add_u32_e32 v38, v38, v41
	ds_bpermute_b32 v41, v56, v38
	v_cmp_le_u32_e32 vcc, v57, v40
	;; [unrolled: 6-line block ×5, first 2 shown]
	s_waitcnt lgkmcnt(0)
	s_nop 0
	v_cndmask_b32_e32 v40, 0, v41, vcc
	v_add3_u32 v38, v40, v60, v38
.LBB485_362:                            ; =>This Loop Header: Depth=1
                                        ;     Child Loop BB485_365 Depth 2
                                        ;       Child Loop BB485_366 Depth 3
	v_cmp_ne_u16_sdwa s[26:27], v39, v33 src0_sel:BYTE_0 src1_sel:DWORD
	v_mov_b32_e32 v60, v38
	s_nop 0
	v_cndmask_b32_e64 v39, 0, 1, s[26:27]
	;;#ASMSTART
	;;#ASMEND
	s_nop 0
	v_cmp_ne_u32_e32 vcc, 0, v39
	s_cmp_lg_u64 vcc, exec
	s_cbranch_scc1 .LBB485_369
; %bb.363:                              ;   in Loop: Header=BB485_362 Depth=1
	v_lshl_add_u64 v[40:41], v[34:35], 3, s[38:39]
	global_load_dwordx2 v[38:39], v[40:41], off sc1
	s_waitcnt vmcnt(0)
	v_cmp_eq_u16_sdwa s[36:37], v39, v35 src0_sel:BYTE_0 src1_sel:DWORD
	s_and_saveexec_b64 s[26:27], s[36:37]
	s_cbranch_execz .LBB485_361
; %bb.364:                              ;   in Loop: Header=BB485_362 Depth=1
	s_mov_b32 s40, 1
	s_mov_b64 s[36:37], 0
.LBB485_365:                            ;   Parent Loop BB485_362 Depth=1
                                        ; =>  This Loop Header: Depth=2
                                        ;       Child Loop BB485_366 Depth 3
	s_max_u32 s41, s40, 1
.LBB485_366:                            ;   Parent Loop BB485_362 Depth=1
                                        ;     Parent Loop BB485_365 Depth=2
                                        ; =>    This Inner Loop Header: Depth=3
	s_add_i32 s41, s41, -1
	s_cmp_eq_u32 s41, 0
	s_sleep 1
	s_cbranch_scc0 .LBB485_366
; %bb.367:                              ;   in Loop: Header=BB485_365 Depth=2
	global_load_dwordx2 v[38:39], v[40:41], off sc1
	s_cmp_lt_u32 s40, 32
	s_cselect_b64 s[42:43], -1, 0
	s_cmp_lg_u64 s[42:43], 0
	s_addc_u32 s40, s40, 0
	s_waitcnt vmcnt(0)
	v_cmp_ne_u16_sdwa s[42:43], v39, v35 src0_sel:BYTE_0 src1_sel:DWORD
	s_or_b64 s[36:37], s[42:43], s[36:37]
	s_andn2_b64 exec, exec, s[36:37]
	s_cbranch_execnz .LBB485_365
; %bb.368:                              ;   in Loop: Header=BB485_362 Depth=1
	s_or_b64 exec, exec, s[36:37]
	s_branch .LBB485_361
.LBB485_369:                            ;   in Loop: Header=BB485_362 Depth=1
                                        ; implicit-def: $vgpr38
                                        ; implicit-def: $vgpr39
	s_cbranch_execz .LBB485_362
; %bb.370:
	s_and_saveexec_b64 s[26:27], s[16:17]
	s_cbranch_execz .LBB485_372
; %bb.371:
	s_add_i32 s36, s33, 64
	s_mov_b32 s37, 0
	s_lshl_b64 s[36:37], s[36:37], 3
	s_add_u32 s36, s38, s36
	v_add_u32_e32 v34, v60, v32
	v_mov_b32_e32 v35, 2
	s_addc_u32 s37, s39, s37
	v_mov_b32_e32 v33, 0
	s_movk_i32 s33, 0x7000
	global_store_dwordx2 v33, v[34:35], s[36:37] sc1
	v_add_u32_e64 v33, s33, 0
	ds_write2_b32 v33, v32, v60 offset1:2
.LBB485_372:
	s_or_b64 exec, exec, s[26:27]
	s_and_b64 exec, exec, s[18:19]
	s_cbranch_execz .LBB485_374
; %bb.373:
	v_mov_b32_e32 v32, 0
	ds_write_b32 v32, v60 offset:28
.LBB485_374:
	s_or_b64 exec, exec, s[0:1]
	v_mov_b32_e32 v32, 0
	s_waitcnt lgkmcnt(0)
	s_barrier
	ds_read_b32 v32, v32 offset:28
	v_cndmask_b32_e64 v33, v44, v42, s[16:17]
	v_cndmask_b32_e64 v33, v33, 0, s[18:19]
	s_movk_i32 s0, 0x7000
	s_waitcnt lgkmcnt(0)
	v_add_u32_e32 v46, v32, v33
	v_add_u32_e64 v32, s0, 0
	v_add_u32_e32 v44, v46, v1
	s_barrier
	ds_read2_b32 v[32:33], v32 offset1:2
	v_add_u32_e32 v42, v44, v43
	v_add_u32_e32 v40, v42, v45
	;; [unrolled: 1-line block ×5, first 2 shown]
	s_waitcnt lgkmcnt(0)
	v_readfirstlane_b32 s26, v32
	v_readfirstlane_b32 s16, v33
	v_lshrrev_b64 v[32:33], 24, v[30:31]
	s_branch .LBB485_385
.LBB485_375:
                                        ; implicit-def: $vgpr34
                                        ; implicit-def: $vgpr36
                                        ; implicit-def: $vgpr38
                                        ; implicit-def: $vgpr40
                                        ; implicit-def: $vgpr42
                                        ; implicit-def: $vgpr44
                                        ; implicit-def: $vgpr46
                                        ; implicit-def: $sgpr16
                                        ; implicit-def: $sgpr26
	v_lshrrev_b64 v[32:33], 24, v[30:31]
	s_cbranch_execz .LBB485_385
; %bb.376:
	s_nop 0
	v_mov_b32_dpp v33, v52 row_shr:1 row_mask:0xf bank_mask:0xf
	v_cndmask_b32_e64 v33, v33, 0, s[14:15]
	v_add_u32_e32 v33, v33, v52
	s_nop 1
	v_mov_b32_dpp v34, v33 row_shr:2 row_mask:0xf bank_mask:0xf
	v_cndmask_b32_e64 v34, 0, v34, s[12:13]
	v_add_u32_e32 v33, v33, v34
	;; [unrolled: 4-line block ×4, first 2 shown]
	s_nop 1
	v_mov_b32_dpp v34, v33 row_bcast:15 row_mask:0xf bank_mask:0xf
	v_cndmask_b32_e64 v34, v34, 0, s[6:7]
	v_add_u32_e32 v33, v33, v34
	s_nop 1
	v_mov_b32_dpp v34, v33 row_bcast:31 row_mask:0xf bank_mask:0xf
	v_cndmask_b32_e64 v34, 0, v34, s[2:3]
	v_add_u32_e32 v33, v33, v34
	s_and_saveexec_b64 s[0:1], s[4:5]
	s_cbranch_execz .LBB485_378
; %bb.377:
	v_lshlrev_b32_e32 v34, 2, v51
	ds_write_b32 v34, v33
.LBB485_378:
	s_or_b64 exec, exec, s[0:1]
	v_cmp_gt_u32_e32 vcc, 8, v0
	s_waitcnt lgkmcnt(0)
	s_barrier
	s_and_saveexec_b64 s[0:1], vcc
	s_cbranch_execz .LBB485_380
; %bb.379:
	v_lshlrev_b32_e32 v34, 2, v0
	ds_read_b32 v35, v34
	v_and_b32_e32 v36, 7, v50
	v_cmp_ne_u32_e32 vcc, 0, v36
	s_waitcnt lgkmcnt(0)
	v_mov_b32_dpp v37, v35 row_shr:1 row_mask:0xf bank_mask:0xf
	v_cndmask_b32_e32 v37, 0, v37, vcc
	v_add_u32_e32 v35, v37, v35
	v_cmp_lt_u32_e32 vcc, 1, v36
	s_nop 0
	v_mov_b32_dpp v37, v35 row_shr:2 row_mask:0xf bank_mask:0xf
	v_cndmask_b32_e32 v37, 0, v37, vcc
	v_add_u32_e32 v35, v35, v37
	v_cmp_lt_u32_e32 vcc, 3, v36
	s_nop 0
	v_mov_b32_dpp v37, v35 row_shr:4 row_mask:0xf bank_mask:0xf
	v_cndmask_b32_e32 v36, 0, v37, vcc
	v_add_u32_e32 v35, v35, v36
	ds_write_b32 v34, v35
.LBB485_380:
	s_or_b64 exec, exec, s[0:1]
	v_cmp_lt_u32_e32 vcc, 63, v0
	v_mov_b32_e32 v35, 0
	v_mov_b32_e32 v34, 0
	s_waitcnt lgkmcnt(0)
	s_barrier
	s_and_saveexec_b64 s[0:1], vcc
	s_cbranch_execz .LBB485_382
; %bb.381:
	v_lshl_add_u32 v34, v51, 2, -4
	ds_read_b32 v34, v34
.LBB485_382:
	s_or_b64 exec, exec, s[0:1]
	v_add_u32_e32 v36, -1, v50
	v_and_b32_e32 v37, 64, v50
	v_cmp_lt_i32_e32 vcc, v36, v37
	s_waitcnt lgkmcnt(0)
	v_add_u32_e32 v33, v34, v33
	ds_read_b32 v35, v35 offset:28
	v_cndmask_b32_e32 v36, v36, v50, vcc
	v_lshlrev_b32_e32 v36, 2, v36
	ds_bpermute_b32 v33, v36, v33
	s_waitcnt lgkmcnt(1)
	v_readfirstlane_b32 s26, v35
	s_and_saveexec_b64 s[0:1], s[18:19]
	s_cbranch_execz .LBB485_384
; %bb.383:
	v_mov_b32_e32 v35, 0
	v_mov_b32_e32 v36, s26
	;; [unrolled: 1-line block ×3, first 2 shown]
	global_store_dwordx2 v35, v[36:37], s[38:39] offset:512 sc1
.LBB485_384:
	s_or_b64 exec, exec, s[0:1]
	v_cmp_eq_u32_e32 vcc, 0, v50
	s_mov_b32 s16, 0
	s_waitcnt lgkmcnt(0)
	v_cndmask_b32_e32 v33, v33, v34, vcc
	v_cndmask_b32_e64 v46, v33, 0, s[18:19]
	v_add_u32_e32 v44, v46, v1
	v_add_u32_e32 v42, v44, v43
	;; [unrolled: 1-line block ×6, first 2 shown]
	s_barrier
.LBB485_385:
	s_cmpk_lt_u32 s26, 0x201
	s_cselect_b64 s[2:3], -1, 0
	v_lshrrev_b32_e32 v33, 8, v30
	v_lshrrev_b32_e32 v1, 8, v31
	s_mov_b64 s[0:1], -1
	s_and_b64 vcc, exec, s[2:3]
	s_cbranch_vccz .LBB485_408
; %bb.386:
	s_add_i32 s4, s16, s26
	v_cmp_gt_u32_e32 vcc, s4, v46
	s_or_b64 s[6:7], s[34:35], vcc
	s_and_saveexec_b64 s[0:1], s[6:7]
	s_cbranch_execz .LBB485_389
; %bb.387:
	v_and_b32_e32 v35, 1, v30
	v_cmp_eq_u32_e32 vcc, 1, v35
	s_and_b64 exec, exec, vcc
	s_cbranch_execz .LBB485_389
; %bb.388:
	s_lshl_b64 s[6:7], s[22:23], 3
	s_add_u32 s6, s28, s6
	s_addc_u32 s7, s29, s7
	v_mov_b32_e32 v47, 0
	v_lshl_add_u64 v[48:49], v[46:47], 3, s[6:7]
	global_store_dwordx2 v[48:49], v[22:23], off
.LBB485_389:
	s_or_b64 exec, exec, s[0:1]
	v_cmp_gt_u32_e32 vcc, s4, v44
	s_or_b64 s[6:7], s[34:35], vcc
	s_and_saveexec_b64 s[0:1], s[6:7]
	s_cbranch_execz .LBB485_392
; %bb.390:
	v_and_b32_e32 v35, 1, v33
	v_cmp_eq_u32_e32 vcc, 1, v35
	s_and_b64 exec, exec, vcc
	s_cbranch_execz .LBB485_392
; %bb.391:
	s_lshl_b64 s[6:7], s[22:23], 3
	s_add_u32 s6, s28, s6
	s_addc_u32 s7, s29, s7
	v_mov_b32_e32 v45, 0
	v_lshl_add_u64 v[48:49], v[44:45], 3, s[6:7]
	global_store_dwordx2 v[48:49], v[24:25], off
.LBB485_392:
	s_or_b64 exec, exec, s[0:1]
	v_cmp_gt_u32_e32 vcc, s4, v42
	s_or_b64 s[6:7], s[34:35], vcc
	s_and_saveexec_b64 s[0:1], s[6:7]
	s_cbranch_execz .LBB485_395
; %bb.393:
	v_mov_b32_e32 v35, 1
	v_and_b32_sdwa v35, v35, v30 dst_sel:DWORD dst_unused:UNUSED_PAD src0_sel:DWORD src1_sel:WORD_1
	v_cmp_eq_u32_e32 vcc, 1, v35
	s_and_b64 exec, exec, vcc
	s_cbranch_execz .LBB485_395
; %bb.394:
	s_lshl_b64 s[6:7], s[22:23], 3
	s_add_u32 s6, s28, s6
	s_addc_u32 s7, s29, s7
	v_mov_b32_e32 v43, 0
	v_lshl_add_u64 v[48:49], v[42:43], 3, s[6:7]
	global_store_dwordx2 v[48:49], v[18:19], off
.LBB485_395:
	s_or_b64 exec, exec, s[0:1]
	v_cmp_gt_u32_e32 vcc, s4, v40
	s_or_b64 s[6:7], s[34:35], vcc
	s_and_saveexec_b64 s[0:1], s[6:7]
	s_cbranch_execz .LBB485_398
; %bb.396:
	v_and_b32_e32 v35, 1, v32
	v_cmp_eq_u32_e32 vcc, 1, v35
	s_and_b64 exec, exec, vcc
	s_cbranch_execz .LBB485_398
; %bb.397:
	s_lshl_b64 s[6:7], s[22:23], 3
	s_add_u32 s6, s28, s6
	s_addc_u32 s7, s29, s7
	v_mov_b32_e32 v41, 0
	v_lshl_add_u64 v[48:49], v[40:41], 3, s[6:7]
	global_store_dwordx2 v[48:49], v[20:21], off
.LBB485_398:
	s_or_b64 exec, exec, s[0:1]
	v_cmp_gt_u32_e32 vcc, s4, v38
	s_or_b64 s[6:7], s[34:35], vcc
	s_and_saveexec_b64 s[0:1], s[6:7]
	s_cbranch_execz .LBB485_401
; %bb.399:
	v_and_b32_e32 v35, 1, v31
	v_cmp_eq_u32_e32 vcc, 1, v35
	s_and_b64 exec, exec, vcc
	s_cbranch_execz .LBB485_401
; %bb.400:
	s_lshl_b64 s[6:7], s[22:23], 3
	s_add_u32 s6, s28, s6
	s_addc_u32 s7, s29, s7
	v_mov_b32_e32 v39, 0
	v_lshl_add_u64 v[48:49], v[38:39], 3, s[6:7]
	global_store_dwordx2 v[48:49], v[14:15], off
.LBB485_401:
	;; [unrolled: 18-line block ×3, first 2 shown]
	s_or_b64 exec, exec, s[0:1]
	v_cmp_gt_u32_e32 vcc, s4, v34
	s_or_b64 s[4:5], s[34:35], vcc
	s_and_saveexec_b64 s[0:1], s[4:5]
	s_cbranch_execz .LBB485_407
; %bb.405:
	v_mov_b32_e32 v35, 1
	v_and_b32_sdwa v35, v35, v31 dst_sel:DWORD dst_unused:UNUSED_PAD src0_sel:DWORD src1_sel:WORD_1
	v_cmp_eq_u32_e32 vcc, 1, v35
	s_and_b64 exec, exec, vcc
	s_cbranch_execz .LBB485_407
; %bb.406:
	s_lshl_b64 s[4:5], s[22:23], 3
	s_add_u32 s4, s28, s4
	s_addc_u32 s5, s29, s5
	v_mov_b32_e32 v35, 0
	v_lshl_add_u64 v[48:49], v[34:35], 3, s[4:5]
	global_store_dwordx2 v[48:49], v[28:29], off
.LBB485_407:
	s_or_b64 exec, exec, s[0:1]
	s_mov_b64 s[0:1], 0
.LBB485_408:
	v_and_b32_e32 v48, 1, v30
	s_and_b64 vcc, exec, s[0:1]
	v_cmp_eq_u32_e64 s[0:1], 1, v48
	s_cbranch_vccz .LBB485_427
; %bb.409:
	s_and_saveexec_b64 s[4:5], s[0:1]
	s_cbranch_execz .LBB485_411
; %bb.410:
	v_subrev_u32_e32 v35, s16, v46
	v_lshlrev_b32_e32 v35, 3, v35
	ds_write_b64 v35, v[22:23]
.LBB485_411:
	s_or_b64 exec, exec, s[4:5]
	v_and_b32_e32 v22, 1, v33
	v_cmp_eq_u32_e32 vcc, 1, v22
	s_and_saveexec_b64 s[0:1], vcc
	s_cbranch_execz .LBB485_413
; %bb.412:
	v_subrev_u32_e32 v22, s16, v44
	v_lshlrev_b32_e32 v22, 3, v22
	ds_write_b64 v22, v[24:25]
.LBB485_413:
	s_or_b64 exec, exec, s[0:1]
	v_mov_b32_e32 v22, 1
	v_and_b32_sdwa v22, v22, v30 dst_sel:DWORD dst_unused:UNUSED_PAD src0_sel:DWORD src1_sel:WORD_1
	v_cmp_eq_u32_e32 vcc, 1, v22
	s_and_saveexec_b64 s[0:1], vcc
	s_cbranch_execz .LBB485_415
; %bb.414:
	v_subrev_u32_e32 v22, s16, v42
	v_lshlrev_b32_e32 v22, 3, v22
	ds_write_b64 v22, v[18:19]
.LBB485_415:
	s_or_b64 exec, exec, s[0:1]
	v_and_b32_e32 v18, 1, v32
	v_cmp_eq_u32_e32 vcc, 1, v18
	s_and_saveexec_b64 s[0:1], vcc
	s_cbranch_execz .LBB485_417
; %bb.416:
	v_subrev_u32_e32 v18, s16, v40
	v_lshlrev_b32_e32 v18, 3, v18
	ds_write_b64 v18, v[20:21]
.LBB485_417:
	s_or_b64 exec, exec, s[0:1]
	v_and_b32_e32 v18, 1, v31
	;; [unrolled: 10-line block ×3, first 2 shown]
	v_cmp_eq_u32_e32 vcc, 1, v14
	s_and_saveexec_b64 s[0:1], vcc
	s_cbranch_execz .LBB485_421
; %bb.420:
	v_subrev_u32_e32 v14, s16, v36
	v_lshlrev_b32_e32 v14, 3, v14
	ds_write_b64 v14, v[16:17]
.LBB485_421:
	s_or_b64 exec, exec, s[0:1]
	v_mov_b32_e32 v14, 1
	v_and_b32_sdwa v14, v14, v31 dst_sel:DWORD dst_unused:UNUSED_PAD src0_sel:DWORD src1_sel:WORD_1
	v_cmp_eq_u32_e32 vcc, 1, v14
	s_and_saveexec_b64 s[0:1], vcc
	s_cbranch_execz .LBB485_423
; %bb.422:
	v_subrev_u32_e32 v14, s16, v34
	v_lshlrev_b32_e32 v14, 3, v14
	ds_write_b64 v14, v[28:29]
.LBB485_423:
	s_or_b64 exec, exec, s[0:1]
	v_cmp_gt_u32_e32 vcc, s26, v0
	s_waitcnt lgkmcnt(0)
	s_barrier
	s_and_saveexec_b64 s[0:1], vcc
	s_cbranch_execz .LBB485_426
; %bb.424:
	s_mov_b32 s17, 0
	s_lshl_b64 s[4:5], s[22:23], 3
	s_lshl_b64 s[6:7], s[16:17], 3
	s_add_u32 s4, s4, s6
	s_addc_u32 s5, s5, s7
	s_add_u32 s4, s28, s4
	v_lshlrev_b32_e32 v14, 3, v0
	v_mov_b32_e32 v15, 0
	s_addc_u32 s5, s29, s5
	v_lshl_add_u64 v[16:17], s[4:5], 0, v[14:15]
	s_mov_b64 s[4:5], 0
	s_mov_b64 s[6:7], 0x1000
	v_mov_b32_e32 v15, v0
.LBB485_425:                            ; =>This Inner Loop Header: Depth=1
	ds_read_b64 v[18:19], v14
	v_add_u32_e32 v15, 0x200, v15
	v_cmp_le_u32_e32 vcc, s26, v15
	v_add_u32_e32 v14, 0x1000, v14
	s_or_b64 s[4:5], vcc, s[4:5]
	s_waitcnt lgkmcnt(0)
	global_store_dwordx2 v[16:17], v[18:19], off
	v_lshl_add_u64 v[16:17], v[16:17], 0, s[6:7]
	s_andn2_b64 exec, exec, s[4:5]
	s_cbranch_execnz .LBB485_425
.LBB485_426:
	s_or_b64 exec, exec, s[0:1]
.LBB485_427:
	s_mov_b64 s[0:1], -1
	s_and_b64 vcc, exec, s[2:3]
	s_barrier
	s_cbranch_vccnz .LBB485_431
; %bb.428:
	s_and_b64 vcc, exec, s[0:1]
	s_cbranch_vccnz .LBB485_453
.LBB485_429:
	s_and_b64 s[0:1], s[18:19], s[24:25]
	s_and_saveexec_b64 s[2:3], s[0:1]
	s_cbranch_execnz .LBB485_471
.LBB485_430:
	s_endpgm
.LBB485_431:
	s_add_i32 s2, s16, s26
	v_cmp_gt_u32_e32 vcc, s2, v46
	s_or_b64 s[4:5], s[34:35], vcc
	s_and_saveexec_b64 s[0:1], s[4:5]
	s_cbranch_execz .LBB485_434
; %bb.432:
	v_cmp_eq_u32_e32 vcc, 1, v48
	s_and_b64 exec, exec, vcc
	s_cbranch_execz .LBB485_434
; %bb.433:
	s_lshl_b64 s[4:5], s[22:23], 3
	s_add_u32 s4, s30, s4
	s_addc_u32 s5, s31, s5
	v_mov_b32_e32 v47, 0
	v_lshl_add_u64 v[14:15], v[46:47], 3, s[4:5]
	global_store_dwordx2 v[14:15], v[10:11], off
.LBB485_434:
	s_or_b64 exec, exec, s[0:1]
	v_cmp_gt_u32_e32 vcc, s2, v44
	s_or_b64 s[4:5], s[34:35], vcc
	s_and_saveexec_b64 s[0:1], s[4:5]
	s_cbranch_execz .LBB485_437
; %bb.435:
	v_and_b32_e32 v14, 1, v33
	v_cmp_eq_u32_e32 vcc, 1, v14
	s_and_b64 exec, exec, vcc
	s_cbranch_execz .LBB485_437
; %bb.436:
	s_lshl_b64 s[4:5], s[22:23], 3
	s_add_u32 s4, s30, s4
	s_addc_u32 s5, s31, s5
	v_mov_b32_e32 v45, 0
	v_lshl_add_u64 v[14:15], v[44:45], 3, s[4:5]
	global_store_dwordx2 v[14:15], v[12:13], off
.LBB485_437:
	s_or_b64 exec, exec, s[0:1]
	v_cmp_gt_u32_e32 vcc, s2, v42
	s_or_b64 s[4:5], s[34:35], vcc
	s_and_saveexec_b64 s[0:1], s[4:5]
	s_cbranch_execz .LBB485_440
; %bb.438:
	v_mov_b32_e32 v14, 1
	v_and_b32_sdwa v14, v14, v30 dst_sel:DWORD dst_unused:UNUSED_PAD src0_sel:DWORD src1_sel:WORD_1
	v_cmp_eq_u32_e32 vcc, 1, v14
	s_and_b64 exec, exec, vcc
	s_cbranch_execz .LBB485_440
; %bb.439:
	s_lshl_b64 s[4:5], s[22:23], 3
	s_add_u32 s4, s30, s4
	s_addc_u32 s5, s31, s5
	v_mov_b32_e32 v43, 0
	v_lshl_add_u64 v[14:15], v[42:43], 3, s[4:5]
	global_store_dwordx2 v[14:15], v[6:7], off
.LBB485_440:
	s_or_b64 exec, exec, s[0:1]
	v_cmp_gt_u32_e32 vcc, s2, v40
	s_or_b64 s[4:5], s[34:35], vcc
	s_and_saveexec_b64 s[0:1], s[4:5]
	s_cbranch_execz .LBB485_443
; %bb.441:
	v_and_b32_e32 v14, 1, v32
	v_cmp_eq_u32_e32 vcc, 1, v14
	s_and_b64 exec, exec, vcc
	s_cbranch_execz .LBB485_443
; %bb.442:
	s_lshl_b64 s[4:5], s[22:23], 3
	s_add_u32 s4, s30, s4
	s_addc_u32 s5, s31, s5
	v_mov_b32_e32 v41, 0
	v_lshl_add_u64 v[14:15], v[40:41], 3, s[4:5]
	global_store_dwordx2 v[14:15], v[8:9], off
.LBB485_443:
	s_or_b64 exec, exec, s[0:1]
	v_cmp_gt_u32_e32 vcc, s2, v38
	s_or_b64 s[4:5], s[34:35], vcc
	s_and_saveexec_b64 s[0:1], s[4:5]
	s_cbranch_execz .LBB485_446
; %bb.444:
	v_and_b32_e32 v14, 1, v31
	v_cmp_eq_u32_e32 vcc, 1, v14
	s_and_b64 exec, exec, vcc
	s_cbranch_execz .LBB485_446
; %bb.445:
	s_lshl_b64 s[4:5], s[22:23], 3
	s_add_u32 s4, s30, s4
	s_addc_u32 s5, s31, s5
	v_mov_b32_e32 v39, 0
	v_lshl_add_u64 v[14:15], v[38:39], 3, s[4:5]
	global_store_dwordx2 v[14:15], v[2:3], off
.LBB485_446:
	s_or_b64 exec, exec, s[0:1]
	v_cmp_gt_u32_e32 vcc, s2, v36
	s_or_b64 s[4:5], s[34:35], vcc
	s_and_saveexec_b64 s[0:1], s[4:5]
	s_cbranch_execz .LBB485_449
; %bb.447:
	v_and_b32_e32 v14, 1, v1
	v_cmp_eq_u32_e32 vcc, 1, v14
	s_and_b64 exec, exec, vcc
	s_cbranch_execz .LBB485_449
; %bb.448:
	s_lshl_b64 s[4:5], s[22:23], 3
	s_add_u32 s4, s30, s4
	s_addc_u32 s5, s31, s5
	v_mov_b32_e32 v37, 0
	v_lshl_add_u64 v[14:15], v[36:37], 3, s[4:5]
	global_store_dwordx2 v[14:15], v[4:5], off
.LBB485_449:
	s_or_b64 exec, exec, s[0:1]
	v_cmp_gt_u32_e32 vcc, s2, v34
	s_or_b64 s[2:3], s[34:35], vcc
	s_and_saveexec_b64 s[0:1], s[2:3]
	s_cbranch_execz .LBB485_452
; %bb.450:
	v_mov_b32_e32 v14, 1
	v_and_b32_sdwa v14, v14, v31 dst_sel:DWORD dst_unused:UNUSED_PAD src0_sel:DWORD src1_sel:WORD_1
	v_cmp_eq_u32_e32 vcc, 1, v14
	s_and_b64 exec, exec, vcc
	s_cbranch_execz .LBB485_452
; %bb.451:
	s_lshl_b64 s[2:3], s[22:23], 3
	s_add_u32 s2, s30, s2
	s_addc_u32 s3, s31, s3
	v_mov_b32_e32 v35, 0
	v_lshl_add_u64 v[14:15], v[34:35], 3, s[2:3]
	global_store_dwordx2 v[14:15], v[26:27], off
.LBB485_452:
	s_or_b64 exec, exec, s[0:1]
	s_branch .LBB485_429
.LBB485_453:
	v_cmp_eq_u32_e32 vcc, 1, v48
	s_and_saveexec_b64 s[0:1], vcc
	s_cbranch_execz .LBB485_455
; %bb.454:
	v_subrev_u32_e32 v14, s16, v46
	v_lshlrev_b32_e32 v14, 3, v14
	ds_write_b64 v14, v[10:11]
.LBB485_455:
	s_or_b64 exec, exec, s[0:1]
	v_and_b32_e32 v10, 1, v33
	v_cmp_eq_u32_e32 vcc, 1, v10
	s_and_saveexec_b64 s[0:1], vcc
	s_cbranch_execz .LBB485_457
; %bb.456:
	v_subrev_u32_e32 v10, s16, v44
	v_lshlrev_b32_e32 v10, 3, v10
	ds_write_b64 v10, v[12:13]
.LBB485_457:
	s_or_b64 exec, exec, s[0:1]
	v_mov_b32_e32 v10, 1
	v_and_b32_sdwa v10, v10, v30 dst_sel:DWORD dst_unused:UNUSED_PAD src0_sel:DWORD src1_sel:WORD_1
	v_cmp_eq_u32_e32 vcc, 1, v10
	s_and_saveexec_b64 s[0:1], vcc
	s_cbranch_execz .LBB485_459
; %bb.458:
	v_subrev_u32_e32 v10, s16, v42
	v_lshlrev_b32_e32 v10, 3, v10
	ds_write_b64 v10, v[6:7]
.LBB485_459:
	s_or_b64 exec, exec, s[0:1]
	v_and_b32_e32 v6, 1, v32
	v_cmp_eq_u32_e32 vcc, 1, v6
	s_and_saveexec_b64 s[0:1], vcc
	s_cbranch_execz .LBB485_461
; %bb.460:
	v_subrev_u32_e32 v6, s16, v40
	v_lshlrev_b32_e32 v6, 3, v6
	ds_write_b64 v6, v[8:9]
.LBB485_461:
	s_or_b64 exec, exec, s[0:1]
	v_and_b32_e32 v6, 1, v31
	v_cmp_eq_u32_e32 vcc, 1, v6
	s_and_saveexec_b64 s[0:1], vcc
	s_cbranch_execz .LBB485_463
; %bb.462:
	v_subrev_u32_e32 v6, s16, v38
	v_lshlrev_b32_e32 v6, 3, v6
	ds_write_b64 v6, v[2:3]
.LBB485_463:
	s_or_b64 exec, exec, s[0:1]
	v_and_b32_e32 v1, 1, v1
	v_cmp_eq_u32_e32 vcc, 1, v1
	s_and_saveexec_b64 s[0:1], vcc
	s_cbranch_execz .LBB485_465
; %bb.464:
	v_subrev_u32_e32 v1, s16, v36
	v_lshlrev_b32_e32 v1, 3, v1
	ds_write_b64 v1, v[4:5]
.LBB485_465:
	s_or_b64 exec, exec, s[0:1]
	v_mov_b32_e32 v1, 1
	v_and_b32_sdwa v1, v1, v31 dst_sel:DWORD dst_unused:UNUSED_PAD src0_sel:DWORD src1_sel:WORD_1
	v_cmp_eq_u32_e32 vcc, 1, v1
	s_and_saveexec_b64 s[0:1], vcc
	s_cbranch_execz .LBB485_467
; %bb.466:
	v_subrev_u32_e32 v1, s16, v34
	v_lshlrev_b32_e32 v1, 3, v1
	ds_write_b64 v1, v[26:27]
.LBB485_467:
	s_or_b64 exec, exec, s[0:1]
	v_cmp_gt_u32_e32 vcc, s26, v0
	s_waitcnt lgkmcnt(0)
	s_barrier
	s_and_saveexec_b64 s[0:1], vcc
	s_cbranch_execz .LBB485_470
; %bb.468:
	s_mov_b32 s17, 0
	s_lshl_b64 s[2:3], s[22:23], 3
	s_lshl_b64 s[4:5], s[16:17], 3
	s_add_u32 s2, s2, s4
	s_addc_u32 s3, s3, s5
	s_add_u32 s2, s30, s2
	v_lshlrev_b32_e32 v2, 3, v0
	v_mov_b32_e32 v3, 0
	s_addc_u32 s3, s31, s3
	v_lshl_add_u64 v[4:5], s[2:3], 0, v[2:3]
	s_mov_b64 s[2:3], 0
	s_mov_b64 s[4:5], 0x1000
.LBB485_469:                            ; =>This Inner Loop Header: Depth=1
	ds_read_b64 v[6:7], v2
	v_add_u32_e32 v0, 0x200, v0
	v_cmp_le_u32_e32 vcc, s26, v0
	v_add_u32_e32 v2, 0x1000, v2
	s_or_b64 s[2:3], vcc, s[2:3]
	s_waitcnt lgkmcnt(0)
	global_store_dwordx2 v[4:5], v[6:7], off
	v_lshl_add_u64 v[4:5], v[4:5], 0, s[4:5]
	s_andn2_b64 exec, exec, s[2:3]
	s_cbranch_execnz .LBB485_469
.LBB485_470:
	s_or_b64 exec, exec, s[0:1]
	s_and_b64 s[0:1], s[18:19], s[24:25]
	s_and_saveexec_b64 s[2:3], s[0:1]
	s_cbranch_execz .LBB485_430
.LBB485_471:
	s_add_u32 s0, s22, s26
	s_addc_u32 s1, s23, 0
	s_add_u32 s0, s0, s16
	s_addc_u32 s1, s1, 0
	v_mov_b32_e32 v2, 0
	v_mov_b64_e32 v[0:1], s[0:1]
	global_store_dwordx2 v2, v[0:1], s[20:21]
	s_endpgm
	.section	.rodata,"a",@progbits
	.p2align	6, 0x0
	.amdhsa_kernel _ZN7rocprim17ROCPRIM_400000_NS6detail17trampoline_kernelINS0_14default_configENS1_25partition_config_selectorILNS1_17partition_subalgoE9EllbEEZZNS1_14partition_implILS5_9ELb0ES3_jPlS8_PNS0_10empty_typeENS0_5tupleIJS8_S9_EEENSB_IJS8_SA_EEENS0_18inequality_wrapperIZN2at6native12_GLOBAL__N_124unique_dim_cuda_templateIiEESt5tupleIJNSF_6TensorESK_SK_EERKSK_lbbbEUlllE0_EEPmJS9_EEE10hipError_tPvRmT3_T4_T5_T6_T7_T9_mT8_P12ihipStream_tbDpT10_ENKUlT_T0_E_clISt17integral_constantIbLb1EES1A_EEDaS15_S16_EUlS15_E_NS1_11comp_targetILNS1_3genE5ELNS1_11target_archE942ELNS1_3gpuE9ELNS1_3repE0EEENS1_30default_config_static_selectorELNS0_4arch9wavefront6targetE1EEEvT1_
		.amdhsa_group_segment_fixed_size 28684
		.amdhsa_private_segment_fixed_size 0
		.amdhsa_kernarg_size 136
		.amdhsa_user_sgpr_count 2
		.amdhsa_user_sgpr_dispatch_ptr 0
		.amdhsa_user_sgpr_queue_ptr 0
		.amdhsa_user_sgpr_kernarg_segment_ptr 1
		.amdhsa_user_sgpr_dispatch_id 0
		.amdhsa_user_sgpr_kernarg_preload_length 0
		.amdhsa_user_sgpr_kernarg_preload_offset 0
		.amdhsa_user_sgpr_private_segment_size 0
		.amdhsa_uses_dynamic_stack 0
		.amdhsa_enable_private_segment 0
		.amdhsa_system_sgpr_workgroup_id_x 1
		.amdhsa_system_sgpr_workgroup_id_y 0
		.amdhsa_system_sgpr_workgroup_id_z 0
		.amdhsa_system_sgpr_workgroup_info 0
		.amdhsa_system_vgpr_workitem_id 0
		.amdhsa_next_free_vgpr 66
		.amdhsa_next_free_sgpr 58
		.amdhsa_accum_offset 68
		.amdhsa_reserve_vcc 1
		.amdhsa_float_round_mode_32 0
		.amdhsa_float_round_mode_16_64 0
		.amdhsa_float_denorm_mode_32 3
		.amdhsa_float_denorm_mode_16_64 3
		.amdhsa_dx10_clamp 1
		.amdhsa_ieee_mode 1
		.amdhsa_fp16_overflow 0
		.amdhsa_tg_split 0
		.amdhsa_exception_fp_ieee_invalid_op 0
		.amdhsa_exception_fp_denorm_src 0
		.amdhsa_exception_fp_ieee_div_zero 0
		.amdhsa_exception_fp_ieee_overflow 0
		.amdhsa_exception_fp_ieee_underflow 0
		.amdhsa_exception_fp_ieee_inexact 0
		.amdhsa_exception_int_div_zero 0
	.end_amdhsa_kernel
	.section	.text._ZN7rocprim17ROCPRIM_400000_NS6detail17trampoline_kernelINS0_14default_configENS1_25partition_config_selectorILNS1_17partition_subalgoE9EllbEEZZNS1_14partition_implILS5_9ELb0ES3_jPlS8_PNS0_10empty_typeENS0_5tupleIJS8_S9_EEENSB_IJS8_SA_EEENS0_18inequality_wrapperIZN2at6native12_GLOBAL__N_124unique_dim_cuda_templateIiEESt5tupleIJNSF_6TensorESK_SK_EERKSK_lbbbEUlllE0_EEPmJS9_EEE10hipError_tPvRmT3_T4_T5_T6_T7_T9_mT8_P12ihipStream_tbDpT10_ENKUlT_T0_E_clISt17integral_constantIbLb1EES1A_EEDaS15_S16_EUlS15_E_NS1_11comp_targetILNS1_3genE5ELNS1_11target_archE942ELNS1_3gpuE9ELNS1_3repE0EEENS1_30default_config_static_selectorELNS0_4arch9wavefront6targetE1EEEvT1_,"axG",@progbits,_ZN7rocprim17ROCPRIM_400000_NS6detail17trampoline_kernelINS0_14default_configENS1_25partition_config_selectorILNS1_17partition_subalgoE9EllbEEZZNS1_14partition_implILS5_9ELb0ES3_jPlS8_PNS0_10empty_typeENS0_5tupleIJS8_S9_EEENSB_IJS8_SA_EEENS0_18inequality_wrapperIZN2at6native12_GLOBAL__N_124unique_dim_cuda_templateIiEESt5tupleIJNSF_6TensorESK_SK_EERKSK_lbbbEUlllE0_EEPmJS9_EEE10hipError_tPvRmT3_T4_T5_T6_T7_T9_mT8_P12ihipStream_tbDpT10_ENKUlT_T0_E_clISt17integral_constantIbLb1EES1A_EEDaS15_S16_EUlS15_E_NS1_11comp_targetILNS1_3genE5ELNS1_11target_archE942ELNS1_3gpuE9ELNS1_3repE0EEENS1_30default_config_static_selectorELNS0_4arch9wavefront6targetE1EEEvT1_,comdat
.Lfunc_end485:
	.size	_ZN7rocprim17ROCPRIM_400000_NS6detail17trampoline_kernelINS0_14default_configENS1_25partition_config_selectorILNS1_17partition_subalgoE9EllbEEZZNS1_14partition_implILS5_9ELb0ES3_jPlS8_PNS0_10empty_typeENS0_5tupleIJS8_S9_EEENSB_IJS8_SA_EEENS0_18inequality_wrapperIZN2at6native12_GLOBAL__N_124unique_dim_cuda_templateIiEESt5tupleIJNSF_6TensorESK_SK_EERKSK_lbbbEUlllE0_EEPmJS9_EEE10hipError_tPvRmT3_T4_T5_T6_T7_T9_mT8_P12ihipStream_tbDpT10_ENKUlT_T0_E_clISt17integral_constantIbLb1EES1A_EEDaS15_S16_EUlS15_E_NS1_11comp_targetILNS1_3genE5ELNS1_11target_archE942ELNS1_3gpuE9ELNS1_3repE0EEENS1_30default_config_static_selectorELNS0_4arch9wavefront6targetE1EEEvT1_, .Lfunc_end485-_ZN7rocprim17ROCPRIM_400000_NS6detail17trampoline_kernelINS0_14default_configENS1_25partition_config_selectorILNS1_17partition_subalgoE9EllbEEZZNS1_14partition_implILS5_9ELb0ES3_jPlS8_PNS0_10empty_typeENS0_5tupleIJS8_S9_EEENSB_IJS8_SA_EEENS0_18inequality_wrapperIZN2at6native12_GLOBAL__N_124unique_dim_cuda_templateIiEESt5tupleIJNSF_6TensorESK_SK_EERKSK_lbbbEUlllE0_EEPmJS9_EEE10hipError_tPvRmT3_T4_T5_T6_T7_T9_mT8_P12ihipStream_tbDpT10_ENKUlT_T0_E_clISt17integral_constantIbLb1EES1A_EEDaS15_S16_EUlS15_E_NS1_11comp_targetILNS1_3genE5ELNS1_11target_archE942ELNS1_3gpuE9ELNS1_3repE0EEENS1_30default_config_static_selectorELNS0_4arch9wavefront6targetE1EEEvT1_
                                        ; -- End function
	.section	.AMDGPU.csdata,"",@progbits
; Kernel info:
; codeLenInByte = 14564
; NumSgprs: 64
; NumVgprs: 66
; NumAgprs: 0
; TotalNumVgprs: 66
; ScratchSize: 0
; MemoryBound: 0
; FloatMode: 240
; IeeeMode: 1
; LDSByteSize: 28684 bytes/workgroup (compile time only)
; SGPRBlocks: 7
; VGPRBlocks: 8
; NumSGPRsForWavesPerEU: 64
; NumVGPRsForWavesPerEU: 66
; AccumOffset: 68
; Occupancy: 4
; WaveLimiterHint : 1
; COMPUTE_PGM_RSRC2:SCRATCH_EN: 0
; COMPUTE_PGM_RSRC2:USER_SGPR: 2
; COMPUTE_PGM_RSRC2:TRAP_HANDLER: 0
; COMPUTE_PGM_RSRC2:TGID_X_EN: 1
; COMPUTE_PGM_RSRC2:TGID_Y_EN: 0
; COMPUTE_PGM_RSRC2:TGID_Z_EN: 0
; COMPUTE_PGM_RSRC2:TIDIG_COMP_CNT: 0
; COMPUTE_PGM_RSRC3_GFX90A:ACCUM_OFFSET: 16
; COMPUTE_PGM_RSRC3_GFX90A:TG_SPLIT: 0
	.section	.text._ZN7rocprim17ROCPRIM_400000_NS6detail17trampoline_kernelINS0_14default_configENS1_25partition_config_selectorILNS1_17partition_subalgoE9EllbEEZZNS1_14partition_implILS5_9ELb0ES3_jPlS8_PNS0_10empty_typeENS0_5tupleIJS8_S9_EEENSB_IJS8_SA_EEENS0_18inequality_wrapperIZN2at6native12_GLOBAL__N_124unique_dim_cuda_templateIiEESt5tupleIJNSF_6TensorESK_SK_EERKSK_lbbbEUlllE0_EEPmJS9_EEE10hipError_tPvRmT3_T4_T5_T6_T7_T9_mT8_P12ihipStream_tbDpT10_ENKUlT_T0_E_clISt17integral_constantIbLb1EES1A_EEDaS15_S16_EUlS15_E_NS1_11comp_targetILNS1_3genE4ELNS1_11target_archE910ELNS1_3gpuE8ELNS1_3repE0EEENS1_30default_config_static_selectorELNS0_4arch9wavefront6targetE1EEEvT1_,"axG",@progbits,_ZN7rocprim17ROCPRIM_400000_NS6detail17trampoline_kernelINS0_14default_configENS1_25partition_config_selectorILNS1_17partition_subalgoE9EllbEEZZNS1_14partition_implILS5_9ELb0ES3_jPlS8_PNS0_10empty_typeENS0_5tupleIJS8_S9_EEENSB_IJS8_SA_EEENS0_18inequality_wrapperIZN2at6native12_GLOBAL__N_124unique_dim_cuda_templateIiEESt5tupleIJNSF_6TensorESK_SK_EERKSK_lbbbEUlllE0_EEPmJS9_EEE10hipError_tPvRmT3_T4_T5_T6_T7_T9_mT8_P12ihipStream_tbDpT10_ENKUlT_T0_E_clISt17integral_constantIbLb1EES1A_EEDaS15_S16_EUlS15_E_NS1_11comp_targetILNS1_3genE4ELNS1_11target_archE910ELNS1_3gpuE8ELNS1_3repE0EEENS1_30default_config_static_selectorELNS0_4arch9wavefront6targetE1EEEvT1_,comdat
	.globl	_ZN7rocprim17ROCPRIM_400000_NS6detail17trampoline_kernelINS0_14default_configENS1_25partition_config_selectorILNS1_17partition_subalgoE9EllbEEZZNS1_14partition_implILS5_9ELb0ES3_jPlS8_PNS0_10empty_typeENS0_5tupleIJS8_S9_EEENSB_IJS8_SA_EEENS0_18inequality_wrapperIZN2at6native12_GLOBAL__N_124unique_dim_cuda_templateIiEESt5tupleIJNSF_6TensorESK_SK_EERKSK_lbbbEUlllE0_EEPmJS9_EEE10hipError_tPvRmT3_T4_T5_T6_T7_T9_mT8_P12ihipStream_tbDpT10_ENKUlT_T0_E_clISt17integral_constantIbLb1EES1A_EEDaS15_S16_EUlS15_E_NS1_11comp_targetILNS1_3genE4ELNS1_11target_archE910ELNS1_3gpuE8ELNS1_3repE0EEENS1_30default_config_static_selectorELNS0_4arch9wavefront6targetE1EEEvT1_ ; -- Begin function _ZN7rocprim17ROCPRIM_400000_NS6detail17trampoline_kernelINS0_14default_configENS1_25partition_config_selectorILNS1_17partition_subalgoE9EllbEEZZNS1_14partition_implILS5_9ELb0ES3_jPlS8_PNS0_10empty_typeENS0_5tupleIJS8_S9_EEENSB_IJS8_SA_EEENS0_18inequality_wrapperIZN2at6native12_GLOBAL__N_124unique_dim_cuda_templateIiEESt5tupleIJNSF_6TensorESK_SK_EERKSK_lbbbEUlllE0_EEPmJS9_EEE10hipError_tPvRmT3_T4_T5_T6_T7_T9_mT8_P12ihipStream_tbDpT10_ENKUlT_T0_E_clISt17integral_constantIbLb1EES1A_EEDaS15_S16_EUlS15_E_NS1_11comp_targetILNS1_3genE4ELNS1_11target_archE910ELNS1_3gpuE8ELNS1_3repE0EEENS1_30default_config_static_selectorELNS0_4arch9wavefront6targetE1EEEvT1_
	.p2align	8
	.type	_ZN7rocprim17ROCPRIM_400000_NS6detail17trampoline_kernelINS0_14default_configENS1_25partition_config_selectorILNS1_17partition_subalgoE9EllbEEZZNS1_14partition_implILS5_9ELb0ES3_jPlS8_PNS0_10empty_typeENS0_5tupleIJS8_S9_EEENSB_IJS8_SA_EEENS0_18inequality_wrapperIZN2at6native12_GLOBAL__N_124unique_dim_cuda_templateIiEESt5tupleIJNSF_6TensorESK_SK_EERKSK_lbbbEUlllE0_EEPmJS9_EEE10hipError_tPvRmT3_T4_T5_T6_T7_T9_mT8_P12ihipStream_tbDpT10_ENKUlT_T0_E_clISt17integral_constantIbLb1EES1A_EEDaS15_S16_EUlS15_E_NS1_11comp_targetILNS1_3genE4ELNS1_11target_archE910ELNS1_3gpuE8ELNS1_3repE0EEENS1_30default_config_static_selectorELNS0_4arch9wavefront6targetE1EEEvT1_,@function
_ZN7rocprim17ROCPRIM_400000_NS6detail17trampoline_kernelINS0_14default_configENS1_25partition_config_selectorILNS1_17partition_subalgoE9EllbEEZZNS1_14partition_implILS5_9ELb0ES3_jPlS8_PNS0_10empty_typeENS0_5tupleIJS8_S9_EEENSB_IJS8_SA_EEENS0_18inequality_wrapperIZN2at6native12_GLOBAL__N_124unique_dim_cuda_templateIiEESt5tupleIJNSF_6TensorESK_SK_EERKSK_lbbbEUlllE0_EEPmJS9_EEE10hipError_tPvRmT3_T4_T5_T6_T7_T9_mT8_P12ihipStream_tbDpT10_ENKUlT_T0_E_clISt17integral_constantIbLb1EES1A_EEDaS15_S16_EUlS15_E_NS1_11comp_targetILNS1_3genE4ELNS1_11target_archE910ELNS1_3gpuE8ELNS1_3repE0EEENS1_30default_config_static_selectorELNS0_4arch9wavefront6targetE1EEEvT1_: ; @_ZN7rocprim17ROCPRIM_400000_NS6detail17trampoline_kernelINS0_14default_configENS1_25partition_config_selectorILNS1_17partition_subalgoE9EllbEEZZNS1_14partition_implILS5_9ELb0ES3_jPlS8_PNS0_10empty_typeENS0_5tupleIJS8_S9_EEENSB_IJS8_SA_EEENS0_18inequality_wrapperIZN2at6native12_GLOBAL__N_124unique_dim_cuda_templateIiEESt5tupleIJNSF_6TensorESK_SK_EERKSK_lbbbEUlllE0_EEPmJS9_EEE10hipError_tPvRmT3_T4_T5_T6_T7_T9_mT8_P12ihipStream_tbDpT10_ENKUlT_T0_E_clISt17integral_constantIbLb1EES1A_EEDaS15_S16_EUlS15_E_NS1_11comp_targetILNS1_3genE4ELNS1_11target_archE910ELNS1_3gpuE8ELNS1_3repE0EEENS1_30default_config_static_selectorELNS0_4arch9wavefront6targetE1EEEvT1_
; %bb.0:
	.section	.rodata,"a",@progbits
	.p2align	6, 0x0
	.amdhsa_kernel _ZN7rocprim17ROCPRIM_400000_NS6detail17trampoline_kernelINS0_14default_configENS1_25partition_config_selectorILNS1_17partition_subalgoE9EllbEEZZNS1_14partition_implILS5_9ELb0ES3_jPlS8_PNS0_10empty_typeENS0_5tupleIJS8_S9_EEENSB_IJS8_SA_EEENS0_18inequality_wrapperIZN2at6native12_GLOBAL__N_124unique_dim_cuda_templateIiEESt5tupleIJNSF_6TensorESK_SK_EERKSK_lbbbEUlllE0_EEPmJS9_EEE10hipError_tPvRmT3_T4_T5_T6_T7_T9_mT8_P12ihipStream_tbDpT10_ENKUlT_T0_E_clISt17integral_constantIbLb1EES1A_EEDaS15_S16_EUlS15_E_NS1_11comp_targetILNS1_3genE4ELNS1_11target_archE910ELNS1_3gpuE8ELNS1_3repE0EEENS1_30default_config_static_selectorELNS0_4arch9wavefront6targetE1EEEvT1_
		.amdhsa_group_segment_fixed_size 0
		.amdhsa_private_segment_fixed_size 0
		.amdhsa_kernarg_size 136
		.amdhsa_user_sgpr_count 2
		.amdhsa_user_sgpr_dispatch_ptr 0
		.amdhsa_user_sgpr_queue_ptr 0
		.amdhsa_user_sgpr_kernarg_segment_ptr 1
		.amdhsa_user_sgpr_dispatch_id 0
		.amdhsa_user_sgpr_kernarg_preload_length 0
		.amdhsa_user_sgpr_kernarg_preload_offset 0
		.amdhsa_user_sgpr_private_segment_size 0
		.amdhsa_uses_dynamic_stack 0
		.amdhsa_enable_private_segment 0
		.amdhsa_system_sgpr_workgroup_id_x 1
		.amdhsa_system_sgpr_workgroup_id_y 0
		.amdhsa_system_sgpr_workgroup_id_z 0
		.amdhsa_system_sgpr_workgroup_info 0
		.amdhsa_system_vgpr_workitem_id 0
		.amdhsa_next_free_vgpr 1
		.amdhsa_next_free_sgpr 0
		.amdhsa_accum_offset 4
		.amdhsa_reserve_vcc 0
		.amdhsa_float_round_mode_32 0
		.amdhsa_float_round_mode_16_64 0
		.amdhsa_float_denorm_mode_32 3
		.amdhsa_float_denorm_mode_16_64 3
		.amdhsa_dx10_clamp 1
		.amdhsa_ieee_mode 1
		.amdhsa_fp16_overflow 0
		.amdhsa_tg_split 0
		.amdhsa_exception_fp_ieee_invalid_op 0
		.amdhsa_exception_fp_denorm_src 0
		.amdhsa_exception_fp_ieee_div_zero 0
		.amdhsa_exception_fp_ieee_overflow 0
		.amdhsa_exception_fp_ieee_underflow 0
		.amdhsa_exception_fp_ieee_inexact 0
		.amdhsa_exception_int_div_zero 0
	.end_amdhsa_kernel
	.section	.text._ZN7rocprim17ROCPRIM_400000_NS6detail17trampoline_kernelINS0_14default_configENS1_25partition_config_selectorILNS1_17partition_subalgoE9EllbEEZZNS1_14partition_implILS5_9ELb0ES3_jPlS8_PNS0_10empty_typeENS0_5tupleIJS8_S9_EEENSB_IJS8_SA_EEENS0_18inequality_wrapperIZN2at6native12_GLOBAL__N_124unique_dim_cuda_templateIiEESt5tupleIJNSF_6TensorESK_SK_EERKSK_lbbbEUlllE0_EEPmJS9_EEE10hipError_tPvRmT3_T4_T5_T6_T7_T9_mT8_P12ihipStream_tbDpT10_ENKUlT_T0_E_clISt17integral_constantIbLb1EES1A_EEDaS15_S16_EUlS15_E_NS1_11comp_targetILNS1_3genE4ELNS1_11target_archE910ELNS1_3gpuE8ELNS1_3repE0EEENS1_30default_config_static_selectorELNS0_4arch9wavefront6targetE1EEEvT1_,"axG",@progbits,_ZN7rocprim17ROCPRIM_400000_NS6detail17trampoline_kernelINS0_14default_configENS1_25partition_config_selectorILNS1_17partition_subalgoE9EllbEEZZNS1_14partition_implILS5_9ELb0ES3_jPlS8_PNS0_10empty_typeENS0_5tupleIJS8_S9_EEENSB_IJS8_SA_EEENS0_18inequality_wrapperIZN2at6native12_GLOBAL__N_124unique_dim_cuda_templateIiEESt5tupleIJNSF_6TensorESK_SK_EERKSK_lbbbEUlllE0_EEPmJS9_EEE10hipError_tPvRmT3_T4_T5_T6_T7_T9_mT8_P12ihipStream_tbDpT10_ENKUlT_T0_E_clISt17integral_constantIbLb1EES1A_EEDaS15_S16_EUlS15_E_NS1_11comp_targetILNS1_3genE4ELNS1_11target_archE910ELNS1_3gpuE8ELNS1_3repE0EEENS1_30default_config_static_selectorELNS0_4arch9wavefront6targetE1EEEvT1_,comdat
.Lfunc_end486:
	.size	_ZN7rocprim17ROCPRIM_400000_NS6detail17trampoline_kernelINS0_14default_configENS1_25partition_config_selectorILNS1_17partition_subalgoE9EllbEEZZNS1_14partition_implILS5_9ELb0ES3_jPlS8_PNS0_10empty_typeENS0_5tupleIJS8_S9_EEENSB_IJS8_SA_EEENS0_18inequality_wrapperIZN2at6native12_GLOBAL__N_124unique_dim_cuda_templateIiEESt5tupleIJNSF_6TensorESK_SK_EERKSK_lbbbEUlllE0_EEPmJS9_EEE10hipError_tPvRmT3_T4_T5_T6_T7_T9_mT8_P12ihipStream_tbDpT10_ENKUlT_T0_E_clISt17integral_constantIbLb1EES1A_EEDaS15_S16_EUlS15_E_NS1_11comp_targetILNS1_3genE4ELNS1_11target_archE910ELNS1_3gpuE8ELNS1_3repE0EEENS1_30default_config_static_selectorELNS0_4arch9wavefront6targetE1EEEvT1_, .Lfunc_end486-_ZN7rocprim17ROCPRIM_400000_NS6detail17trampoline_kernelINS0_14default_configENS1_25partition_config_selectorILNS1_17partition_subalgoE9EllbEEZZNS1_14partition_implILS5_9ELb0ES3_jPlS8_PNS0_10empty_typeENS0_5tupleIJS8_S9_EEENSB_IJS8_SA_EEENS0_18inequality_wrapperIZN2at6native12_GLOBAL__N_124unique_dim_cuda_templateIiEESt5tupleIJNSF_6TensorESK_SK_EERKSK_lbbbEUlllE0_EEPmJS9_EEE10hipError_tPvRmT3_T4_T5_T6_T7_T9_mT8_P12ihipStream_tbDpT10_ENKUlT_T0_E_clISt17integral_constantIbLb1EES1A_EEDaS15_S16_EUlS15_E_NS1_11comp_targetILNS1_3genE4ELNS1_11target_archE910ELNS1_3gpuE8ELNS1_3repE0EEENS1_30default_config_static_selectorELNS0_4arch9wavefront6targetE1EEEvT1_
                                        ; -- End function
	.section	.AMDGPU.csdata,"",@progbits
; Kernel info:
; codeLenInByte = 0
; NumSgprs: 6
; NumVgprs: 0
; NumAgprs: 0
; TotalNumVgprs: 0
; ScratchSize: 0
; MemoryBound: 0
; FloatMode: 240
; IeeeMode: 1
; LDSByteSize: 0 bytes/workgroup (compile time only)
; SGPRBlocks: 0
; VGPRBlocks: 0
; NumSGPRsForWavesPerEU: 6
; NumVGPRsForWavesPerEU: 1
; AccumOffset: 4
; Occupancy: 8
; WaveLimiterHint : 0
; COMPUTE_PGM_RSRC2:SCRATCH_EN: 0
; COMPUTE_PGM_RSRC2:USER_SGPR: 2
; COMPUTE_PGM_RSRC2:TRAP_HANDLER: 0
; COMPUTE_PGM_RSRC2:TGID_X_EN: 1
; COMPUTE_PGM_RSRC2:TGID_Y_EN: 0
; COMPUTE_PGM_RSRC2:TGID_Z_EN: 0
; COMPUTE_PGM_RSRC2:TIDIG_COMP_CNT: 0
; COMPUTE_PGM_RSRC3_GFX90A:ACCUM_OFFSET: 0
; COMPUTE_PGM_RSRC3_GFX90A:TG_SPLIT: 0
	.section	.text._ZN7rocprim17ROCPRIM_400000_NS6detail17trampoline_kernelINS0_14default_configENS1_25partition_config_selectorILNS1_17partition_subalgoE9EllbEEZZNS1_14partition_implILS5_9ELb0ES3_jPlS8_PNS0_10empty_typeENS0_5tupleIJS8_S9_EEENSB_IJS8_SA_EEENS0_18inequality_wrapperIZN2at6native12_GLOBAL__N_124unique_dim_cuda_templateIiEESt5tupleIJNSF_6TensorESK_SK_EERKSK_lbbbEUlllE0_EEPmJS9_EEE10hipError_tPvRmT3_T4_T5_T6_T7_T9_mT8_P12ihipStream_tbDpT10_ENKUlT_T0_E_clISt17integral_constantIbLb1EES1A_EEDaS15_S16_EUlS15_E_NS1_11comp_targetILNS1_3genE3ELNS1_11target_archE908ELNS1_3gpuE7ELNS1_3repE0EEENS1_30default_config_static_selectorELNS0_4arch9wavefront6targetE1EEEvT1_,"axG",@progbits,_ZN7rocprim17ROCPRIM_400000_NS6detail17trampoline_kernelINS0_14default_configENS1_25partition_config_selectorILNS1_17partition_subalgoE9EllbEEZZNS1_14partition_implILS5_9ELb0ES3_jPlS8_PNS0_10empty_typeENS0_5tupleIJS8_S9_EEENSB_IJS8_SA_EEENS0_18inequality_wrapperIZN2at6native12_GLOBAL__N_124unique_dim_cuda_templateIiEESt5tupleIJNSF_6TensorESK_SK_EERKSK_lbbbEUlllE0_EEPmJS9_EEE10hipError_tPvRmT3_T4_T5_T6_T7_T9_mT8_P12ihipStream_tbDpT10_ENKUlT_T0_E_clISt17integral_constantIbLb1EES1A_EEDaS15_S16_EUlS15_E_NS1_11comp_targetILNS1_3genE3ELNS1_11target_archE908ELNS1_3gpuE7ELNS1_3repE0EEENS1_30default_config_static_selectorELNS0_4arch9wavefront6targetE1EEEvT1_,comdat
	.globl	_ZN7rocprim17ROCPRIM_400000_NS6detail17trampoline_kernelINS0_14default_configENS1_25partition_config_selectorILNS1_17partition_subalgoE9EllbEEZZNS1_14partition_implILS5_9ELb0ES3_jPlS8_PNS0_10empty_typeENS0_5tupleIJS8_S9_EEENSB_IJS8_SA_EEENS0_18inequality_wrapperIZN2at6native12_GLOBAL__N_124unique_dim_cuda_templateIiEESt5tupleIJNSF_6TensorESK_SK_EERKSK_lbbbEUlllE0_EEPmJS9_EEE10hipError_tPvRmT3_T4_T5_T6_T7_T9_mT8_P12ihipStream_tbDpT10_ENKUlT_T0_E_clISt17integral_constantIbLb1EES1A_EEDaS15_S16_EUlS15_E_NS1_11comp_targetILNS1_3genE3ELNS1_11target_archE908ELNS1_3gpuE7ELNS1_3repE0EEENS1_30default_config_static_selectorELNS0_4arch9wavefront6targetE1EEEvT1_ ; -- Begin function _ZN7rocprim17ROCPRIM_400000_NS6detail17trampoline_kernelINS0_14default_configENS1_25partition_config_selectorILNS1_17partition_subalgoE9EllbEEZZNS1_14partition_implILS5_9ELb0ES3_jPlS8_PNS0_10empty_typeENS0_5tupleIJS8_S9_EEENSB_IJS8_SA_EEENS0_18inequality_wrapperIZN2at6native12_GLOBAL__N_124unique_dim_cuda_templateIiEESt5tupleIJNSF_6TensorESK_SK_EERKSK_lbbbEUlllE0_EEPmJS9_EEE10hipError_tPvRmT3_T4_T5_T6_T7_T9_mT8_P12ihipStream_tbDpT10_ENKUlT_T0_E_clISt17integral_constantIbLb1EES1A_EEDaS15_S16_EUlS15_E_NS1_11comp_targetILNS1_3genE3ELNS1_11target_archE908ELNS1_3gpuE7ELNS1_3repE0EEENS1_30default_config_static_selectorELNS0_4arch9wavefront6targetE1EEEvT1_
	.p2align	8
	.type	_ZN7rocprim17ROCPRIM_400000_NS6detail17trampoline_kernelINS0_14default_configENS1_25partition_config_selectorILNS1_17partition_subalgoE9EllbEEZZNS1_14partition_implILS5_9ELb0ES3_jPlS8_PNS0_10empty_typeENS0_5tupleIJS8_S9_EEENSB_IJS8_SA_EEENS0_18inequality_wrapperIZN2at6native12_GLOBAL__N_124unique_dim_cuda_templateIiEESt5tupleIJNSF_6TensorESK_SK_EERKSK_lbbbEUlllE0_EEPmJS9_EEE10hipError_tPvRmT3_T4_T5_T6_T7_T9_mT8_P12ihipStream_tbDpT10_ENKUlT_T0_E_clISt17integral_constantIbLb1EES1A_EEDaS15_S16_EUlS15_E_NS1_11comp_targetILNS1_3genE3ELNS1_11target_archE908ELNS1_3gpuE7ELNS1_3repE0EEENS1_30default_config_static_selectorELNS0_4arch9wavefront6targetE1EEEvT1_,@function
_ZN7rocprim17ROCPRIM_400000_NS6detail17trampoline_kernelINS0_14default_configENS1_25partition_config_selectorILNS1_17partition_subalgoE9EllbEEZZNS1_14partition_implILS5_9ELb0ES3_jPlS8_PNS0_10empty_typeENS0_5tupleIJS8_S9_EEENSB_IJS8_SA_EEENS0_18inequality_wrapperIZN2at6native12_GLOBAL__N_124unique_dim_cuda_templateIiEESt5tupleIJNSF_6TensorESK_SK_EERKSK_lbbbEUlllE0_EEPmJS9_EEE10hipError_tPvRmT3_T4_T5_T6_T7_T9_mT8_P12ihipStream_tbDpT10_ENKUlT_T0_E_clISt17integral_constantIbLb1EES1A_EEDaS15_S16_EUlS15_E_NS1_11comp_targetILNS1_3genE3ELNS1_11target_archE908ELNS1_3gpuE7ELNS1_3repE0EEENS1_30default_config_static_selectorELNS0_4arch9wavefront6targetE1EEEvT1_: ; @_ZN7rocprim17ROCPRIM_400000_NS6detail17trampoline_kernelINS0_14default_configENS1_25partition_config_selectorILNS1_17partition_subalgoE9EllbEEZZNS1_14partition_implILS5_9ELb0ES3_jPlS8_PNS0_10empty_typeENS0_5tupleIJS8_S9_EEENSB_IJS8_SA_EEENS0_18inequality_wrapperIZN2at6native12_GLOBAL__N_124unique_dim_cuda_templateIiEESt5tupleIJNSF_6TensorESK_SK_EERKSK_lbbbEUlllE0_EEPmJS9_EEE10hipError_tPvRmT3_T4_T5_T6_T7_T9_mT8_P12ihipStream_tbDpT10_ENKUlT_T0_E_clISt17integral_constantIbLb1EES1A_EEDaS15_S16_EUlS15_E_NS1_11comp_targetILNS1_3genE3ELNS1_11target_archE908ELNS1_3gpuE7ELNS1_3repE0EEENS1_30default_config_static_selectorELNS0_4arch9wavefront6targetE1EEEvT1_
; %bb.0:
	.section	.rodata,"a",@progbits
	.p2align	6, 0x0
	.amdhsa_kernel _ZN7rocprim17ROCPRIM_400000_NS6detail17trampoline_kernelINS0_14default_configENS1_25partition_config_selectorILNS1_17partition_subalgoE9EllbEEZZNS1_14partition_implILS5_9ELb0ES3_jPlS8_PNS0_10empty_typeENS0_5tupleIJS8_S9_EEENSB_IJS8_SA_EEENS0_18inequality_wrapperIZN2at6native12_GLOBAL__N_124unique_dim_cuda_templateIiEESt5tupleIJNSF_6TensorESK_SK_EERKSK_lbbbEUlllE0_EEPmJS9_EEE10hipError_tPvRmT3_T4_T5_T6_T7_T9_mT8_P12ihipStream_tbDpT10_ENKUlT_T0_E_clISt17integral_constantIbLb1EES1A_EEDaS15_S16_EUlS15_E_NS1_11comp_targetILNS1_3genE3ELNS1_11target_archE908ELNS1_3gpuE7ELNS1_3repE0EEENS1_30default_config_static_selectorELNS0_4arch9wavefront6targetE1EEEvT1_
		.amdhsa_group_segment_fixed_size 0
		.amdhsa_private_segment_fixed_size 0
		.amdhsa_kernarg_size 136
		.amdhsa_user_sgpr_count 2
		.amdhsa_user_sgpr_dispatch_ptr 0
		.amdhsa_user_sgpr_queue_ptr 0
		.amdhsa_user_sgpr_kernarg_segment_ptr 1
		.amdhsa_user_sgpr_dispatch_id 0
		.amdhsa_user_sgpr_kernarg_preload_length 0
		.amdhsa_user_sgpr_kernarg_preload_offset 0
		.amdhsa_user_sgpr_private_segment_size 0
		.amdhsa_uses_dynamic_stack 0
		.amdhsa_enable_private_segment 0
		.amdhsa_system_sgpr_workgroup_id_x 1
		.amdhsa_system_sgpr_workgroup_id_y 0
		.amdhsa_system_sgpr_workgroup_id_z 0
		.amdhsa_system_sgpr_workgroup_info 0
		.amdhsa_system_vgpr_workitem_id 0
		.amdhsa_next_free_vgpr 1
		.amdhsa_next_free_sgpr 0
		.amdhsa_accum_offset 4
		.amdhsa_reserve_vcc 0
		.amdhsa_float_round_mode_32 0
		.amdhsa_float_round_mode_16_64 0
		.amdhsa_float_denorm_mode_32 3
		.amdhsa_float_denorm_mode_16_64 3
		.amdhsa_dx10_clamp 1
		.amdhsa_ieee_mode 1
		.amdhsa_fp16_overflow 0
		.amdhsa_tg_split 0
		.amdhsa_exception_fp_ieee_invalid_op 0
		.amdhsa_exception_fp_denorm_src 0
		.amdhsa_exception_fp_ieee_div_zero 0
		.amdhsa_exception_fp_ieee_overflow 0
		.amdhsa_exception_fp_ieee_underflow 0
		.amdhsa_exception_fp_ieee_inexact 0
		.amdhsa_exception_int_div_zero 0
	.end_amdhsa_kernel
	.section	.text._ZN7rocprim17ROCPRIM_400000_NS6detail17trampoline_kernelINS0_14default_configENS1_25partition_config_selectorILNS1_17partition_subalgoE9EllbEEZZNS1_14partition_implILS5_9ELb0ES3_jPlS8_PNS0_10empty_typeENS0_5tupleIJS8_S9_EEENSB_IJS8_SA_EEENS0_18inequality_wrapperIZN2at6native12_GLOBAL__N_124unique_dim_cuda_templateIiEESt5tupleIJNSF_6TensorESK_SK_EERKSK_lbbbEUlllE0_EEPmJS9_EEE10hipError_tPvRmT3_T4_T5_T6_T7_T9_mT8_P12ihipStream_tbDpT10_ENKUlT_T0_E_clISt17integral_constantIbLb1EES1A_EEDaS15_S16_EUlS15_E_NS1_11comp_targetILNS1_3genE3ELNS1_11target_archE908ELNS1_3gpuE7ELNS1_3repE0EEENS1_30default_config_static_selectorELNS0_4arch9wavefront6targetE1EEEvT1_,"axG",@progbits,_ZN7rocprim17ROCPRIM_400000_NS6detail17trampoline_kernelINS0_14default_configENS1_25partition_config_selectorILNS1_17partition_subalgoE9EllbEEZZNS1_14partition_implILS5_9ELb0ES3_jPlS8_PNS0_10empty_typeENS0_5tupleIJS8_S9_EEENSB_IJS8_SA_EEENS0_18inequality_wrapperIZN2at6native12_GLOBAL__N_124unique_dim_cuda_templateIiEESt5tupleIJNSF_6TensorESK_SK_EERKSK_lbbbEUlllE0_EEPmJS9_EEE10hipError_tPvRmT3_T4_T5_T6_T7_T9_mT8_P12ihipStream_tbDpT10_ENKUlT_T0_E_clISt17integral_constantIbLb1EES1A_EEDaS15_S16_EUlS15_E_NS1_11comp_targetILNS1_3genE3ELNS1_11target_archE908ELNS1_3gpuE7ELNS1_3repE0EEENS1_30default_config_static_selectorELNS0_4arch9wavefront6targetE1EEEvT1_,comdat
.Lfunc_end487:
	.size	_ZN7rocprim17ROCPRIM_400000_NS6detail17trampoline_kernelINS0_14default_configENS1_25partition_config_selectorILNS1_17partition_subalgoE9EllbEEZZNS1_14partition_implILS5_9ELb0ES3_jPlS8_PNS0_10empty_typeENS0_5tupleIJS8_S9_EEENSB_IJS8_SA_EEENS0_18inequality_wrapperIZN2at6native12_GLOBAL__N_124unique_dim_cuda_templateIiEESt5tupleIJNSF_6TensorESK_SK_EERKSK_lbbbEUlllE0_EEPmJS9_EEE10hipError_tPvRmT3_T4_T5_T6_T7_T9_mT8_P12ihipStream_tbDpT10_ENKUlT_T0_E_clISt17integral_constantIbLb1EES1A_EEDaS15_S16_EUlS15_E_NS1_11comp_targetILNS1_3genE3ELNS1_11target_archE908ELNS1_3gpuE7ELNS1_3repE0EEENS1_30default_config_static_selectorELNS0_4arch9wavefront6targetE1EEEvT1_, .Lfunc_end487-_ZN7rocprim17ROCPRIM_400000_NS6detail17trampoline_kernelINS0_14default_configENS1_25partition_config_selectorILNS1_17partition_subalgoE9EllbEEZZNS1_14partition_implILS5_9ELb0ES3_jPlS8_PNS0_10empty_typeENS0_5tupleIJS8_S9_EEENSB_IJS8_SA_EEENS0_18inequality_wrapperIZN2at6native12_GLOBAL__N_124unique_dim_cuda_templateIiEESt5tupleIJNSF_6TensorESK_SK_EERKSK_lbbbEUlllE0_EEPmJS9_EEE10hipError_tPvRmT3_T4_T5_T6_T7_T9_mT8_P12ihipStream_tbDpT10_ENKUlT_T0_E_clISt17integral_constantIbLb1EES1A_EEDaS15_S16_EUlS15_E_NS1_11comp_targetILNS1_3genE3ELNS1_11target_archE908ELNS1_3gpuE7ELNS1_3repE0EEENS1_30default_config_static_selectorELNS0_4arch9wavefront6targetE1EEEvT1_
                                        ; -- End function
	.section	.AMDGPU.csdata,"",@progbits
; Kernel info:
; codeLenInByte = 0
; NumSgprs: 6
; NumVgprs: 0
; NumAgprs: 0
; TotalNumVgprs: 0
; ScratchSize: 0
; MemoryBound: 0
; FloatMode: 240
; IeeeMode: 1
; LDSByteSize: 0 bytes/workgroup (compile time only)
; SGPRBlocks: 0
; VGPRBlocks: 0
; NumSGPRsForWavesPerEU: 6
; NumVGPRsForWavesPerEU: 1
; AccumOffset: 4
; Occupancy: 8
; WaveLimiterHint : 0
; COMPUTE_PGM_RSRC2:SCRATCH_EN: 0
; COMPUTE_PGM_RSRC2:USER_SGPR: 2
; COMPUTE_PGM_RSRC2:TRAP_HANDLER: 0
; COMPUTE_PGM_RSRC2:TGID_X_EN: 1
; COMPUTE_PGM_RSRC2:TGID_Y_EN: 0
; COMPUTE_PGM_RSRC2:TGID_Z_EN: 0
; COMPUTE_PGM_RSRC2:TIDIG_COMP_CNT: 0
; COMPUTE_PGM_RSRC3_GFX90A:ACCUM_OFFSET: 0
; COMPUTE_PGM_RSRC3_GFX90A:TG_SPLIT: 0
	.section	.text._ZN7rocprim17ROCPRIM_400000_NS6detail17trampoline_kernelINS0_14default_configENS1_25partition_config_selectorILNS1_17partition_subalgoE9EllbEEZZNS1_14partition_implILS5_9ELb0ES3_jPlS8_PNS0_10empty_typeENS0_5tupleIJS8_S9_EEENSB_IJS8_SA_EEENS0_18inequality_wrapperIZN2at6native12_GLOBAL__N_124unique_dim_cuda_templateIiEESt5tupleIJNSF_6TensorESK_SK_EERKSK_lbbbEUlllE0_EEPmJS9_EEE10hipError_tPvRmT3_T4_T5_T6_T7_T9_mT8_P12ihipStream_tbDpT10_ENKUlT_T0_E_clISt17integral_constantIbLb1EES1A_EEDaS15_S16_EUlS15_E_NS1_11comp_targetILNS1_3genE2ELNS1_11target_archE906ELNS1_3gpuE6ELNS1_3repE0EEENS1_30default_config_static_selectorELNS0_4arch9wavefront6targetE1EEEvT1_,"axG",@progbits,_ZN7rocprim17ROCPRIM_400000_NS6detail17trampoline_kernelINS0_14default_configENS1_25partition_config_selectorILNS1_17partition_subalgoE9EllbEEZZNS1_14partition_implILS5_9ELb0ES3_jPlS8_PNS0_10empty_typeENS0_5tupleIJS8_S9_EEENSB_IJS8_SA_EEENS0_18inequality_wrapperIZN2at6native12_GLOBAL__N_124unique_dim_cuda_templateIiEESt5tupleIJNSF_6TensorESK_SK_EERKSK_lbbbEUlllE0_EEPmJS9_EEE10hipError_tPvRmT3_T4_T5_T6_T7_T9_mT8_P12ihipStream_tbDpT10_ENKUlT_T0_E_clISt17integral_constantIbLb1EES1A_EEDaS15_S16_EUlS15_E_NS1_11comp_targetILNS1_3genE2ELNS1_11target_archE906ELNS1_3gpuE6ELNS1_3repE0EEENS1_30default_config_static_selectorELNS0_4arch9wavefront6targetE1EEEvT1_,comdat
	.globl	_ZN7rocprim17ROCPRIM_400000_NS6detail17trampoline_kernelINS0_14default_configENS1_25partition_config_selectorILNS1_17partition_subalgoE9EllbEEZZNS1_14partition_implILS5_9ELb0ES3_jPlS8_PNS0_10empty_typeENS0_5tupleIJS8_S9_EEENSB_IJS8_SA_EEENS0_18inequality_wrapperIZN2at6native12_GLOBAL__N_124unique_dim_cuda_templateIiEESt5tupleIJNSF_6TensorESK_SK_EERKSK_lbbbEUlllE0_EEPmJS9_EEE10hipError_tPvRmT3_T4_T5_T6_T7_T9_mT8_P12ihipStream_tbDpT10_ENKUlT_T0_E_clISt17integral_constantIbLb1EES1A_EEDaS15_S16_EUlS15_E_NS1_11comp_targetILNS1_3genE2ELNS1_11target_archE906ELNS1_3gpuE6ELNS1_3repE0EEENS1_30default_config_static_selectorELNS0_4arch9wavefront6targetE1EEEvT1_ ; -- Begin function _ZN7rocprim17ROCPRIM_400000_NS6detail17trampoline_kernelINS0_14default_configENS1_25partition_config_selectorILNS1_17partition_subalgoE9EllbEEZZNS1_14partition_implILS5_9ELb0ES3_jPlS8_PNS0_10empty_typeENS0_5tupleIJS8_S9_EEENSB_IJS8_SA_EEENS0_18inequality_wrapperIZN2at6native12_GLOBAL__N_124unique_dim_cuda_templateIiEESt5tupleIJNSF_6TensorESK_SK_EERKSK_lbbbEUlllE0_EEPmJS9_EEE10hipError_tPvRmT3_T4_T5_T6_T7_T9_mT8_P12ihipStream_tbDpT10_ENKUlT_T0_E_clISt17integral_constantIbLb1EES1A_EEDaS15_S16_EUlS15_E_NS1_11comp_targetILNS1_3genE2ELNS1_11target_archE906ELNS1_3gpuE6ELNS1_3repE0EEENS1_30default_config_static_selectorELNS0_4arch9wavefront6targetE1EEEvT1_
	.p2align	8
	.type	_ZN7rocprim17ROCPRIM_400000_NS6detail17trampoline_kernelINS0_14default_configENS1_25partition_config_selectorILNS1_17partition_subalgoE9EllbEEZZNS1_14partition_implILS5_9ELb0ES3_jPlS8_PNS0_10empty_typeENS0_5tupleIJS8_S9_EEENSB_IJS8_SA_EEENS0_18inequality_wrapperIZN2at6native12_GLOBAL__N_124unique_dim_cuda_templateIiEESt5tupleIJNSF_6TensorESK_SK_EERKSK_lbbbEUlllE0_EEPmJS9_EEE10hipError_tPvRmT3_T4_T5_T6_T7_T9_mT8_P12ihipStream_tbDpT10_ENKUlT_T0_E_clISt17integral_constantIbLb1EES1A_EEDaS15_S16_EUlS15_E_NS1_11comp_targetILNS1_3genE2ELNS1_11target_archE906ELNS1_3gpuE6ELNS1_3repE0EEENS1_30default_config_static_selectorELNS0_4arch9wavefront6targetE1EEEvT1_,@function
_ZN7rocprim17ROCPRIM_400000_NS6detail17trampoline_kernelINS0_14default_configENS1_25partition_config_selectorILNS1_17partition_subalgoE9EllbEEZZNS1_14partition_implILS5_9ELb0ES3_jPlS8_PNS0_10empty_typeENS0_5tupleIJS8_S9_EEENSB_IJS8_SA_EEENS0_18inequality_wrapperIZN2at6native12_GLOBAL__N_124unique_dim_cuda_templateIiEESt5tupleIJNSF_6TensorESK_SK_EERKSK_lbbbEUlllE0_EEPmJS9_EEE10hipError_tPvRmT3_T4_T5_T6_T7_T9_mT8_P12ihipStream_tbDpT10_ENKUlT_T0_E_clISt17integral_constantIbLb1EES1A_EEDaS15_S16_EUlS15_E_NS1_11comp_targetILNS1_3genE2ELNS1_11target_archE906ELNS1_3gpuE6ELNS1_3repE0EEENS1_30default_config_static_selectorELNS0_4arch9wavefront6targetE1EEEvT1_: ; @_ZN7rocprim17ROCPRIM_400000_NS6detail17trampoline_kernelINS0_14default_configENS1_25partition_config_selectorILNS1_17partition_subalgoE9EllbEEZZNS1_14partition_implILS5_9ELb0ES3_jPlS8_PNS0_10empty_typeENS0_5tupleIJS8_S9_EEENSB_IJS8_SA_EEENS0_18inequality_wrapperIZN2at6native12_GLOBAL__N_124unique_dim_cuda_templateIiEESt5tupleIJNSF_6TensorESK_SK_EERKSK_lbbbEUlllE0_EEPmJS9_EEE10hipError_tPvRmT3_T4_T5_T6_T7_T9_mT8_P12ihipStream_tbDpT10_ENKUlT_T0_E_clISt17integral_constantIbLb1EES1A_EEDaS15_S16_EUlS15_E_NS1_11comp_targetILNS1_3genE2ELNS1_11target_archE906ELNS1_3gpuE6ELNS1_3repE0EEENS1_30default_config_static_selectorELNS0_4arch9wavefront6targetE1EEEvT1_
; %bb.0:
	.section	.rodata,"a",@progbits
	.p2align	6, 0x0
	.amdhsa_kernel _ZN7rocprim17ROCPRIM_400000_NS6detail17trampoline_kernelINS0_14default_configENS1_25partition_config_selectorILNS1_17partition_subalgoE9EllbEEZZNS1_14partition_implILS5_9ELb0ES3_jPlS8_PNS0_10empty_typeENS0_5tupleIJS8_S9_EEENSB_IJS8_SA_EEENS0_18inequality_wrapperIZN2at6native12_GLOBAL__N_124unique_dim_cuda_templateIiEESt5tupleIJNSF_6TensorESK_SK_EERKSK_lbbbEUlllE0_EEPmJS9_EEE10hipError_tPvRmT3_T4_T5_T6_T7_T9_mT8_P12ihipStream_tbDpT10_ENKUlT_T0_E_clISt17integral_constantIbLb1EES1A_EEDaS15_S16_EUlS15_E_NS1_11comp_targetILNS1_3genE2ELNS1_11target_archE906ELNS1_3gpuE6ELNS1_3repE0EEENS1_30default_config_static_selectorELNS0_4arch9wavefront6targetE1EEEvT1_
		.amdhsa_group_segment_fixed_size 0
		.amdhsa_private_segment_fixed_size 0
		.amdhsa_kernarg_size 136
		.amdhsa_user_sgpr_count 2
		.amdhsa_user_sgpr_dispatch_ptr 0
		.amdhsa_user_sgpr_queue_ptr 0
		.amdhsa_user_sgpr_kernarg_segment_ptr 1
		.amdhsa_user_sgpr_dispatch_id 0
		.amdhsa_user_sgpr_kernarg_preload_length 0
		.amdhsa_user_sgpr_kernarg_preload_offset 0
		.amdhsa_user_sgpr_private_segment_size 0
		.amdhsa_uses_dynamic_stack 0
		.amdhsa_enable_private_segment 0
		.amdhsa_system_sgpr_workgroup_id_x 1
		.amdhsa_system_sgpr_workgroup_id_y 0
		.amdhsa_system_sgpr_workgroup_id_z 0
		.amdhsa_system_sgpr_workgroup_info 0
		.amdhsa_system_vgpr_workitem_id 0
		.amdhsa_next_free_vgpr 1
		.amdhsa_next_free_sgpr 0
		.amdhsa_accum_offset 4
		.amdhsa_reserve_vcc 0
		.amdhsa_float_round_mode_32 0
		.amdhsa_float_round_mode_16_64 0
		.amdhsa_float_denorm_mode_32 3
		.amdhsa_float_denorm_mode_16_64 3
		.amdhsa_dx10_clamp 1
		.amdhsa_ieee_mode 1
		.amdhsa_fp16_overflow 0
		.amdhsa_tg_split 0
		.amdhsa_exception_fp_ieee_invalid_op 0
		.amdhsa_exception_fp_denorm_src 0
		.amdhsa_exception_fp_ieee_div_zero 0
		.amdhsa_exception_fp_ieee_overflow 0
		.amdhsa_exception_fp_ieee_underflow 0
		.amdhsa_exception_fp_ieee_inexact 0
		.amdhsa_exception_int_div_zero 0
	.end_amdhsa_kernel
	.section	.text._ZN7rocprim17ROCPRIM_400000_NS6detail17trampoline_kernelINS0_14default_configENS1_25partition_config_selectorILNS1_17partition_subalgoE9EllbEEZZNS1_14partition_implILS5_9ELb0ES3_jPlS8_PNS0_10empty_typeENS0_5tupleIJS8_S9_EEENSB_IJS8_SA_EEENS0_18inequality_wrapperIZN2at6native12_GLOBAL__N_124unique_dim_cuda_templateIiEESt5tupleIJNSF_6TensorESK_SK_EERKSK_lbbbEUlllE0_EEPmJS9_EEE10hipError_tPvRmT3_T4_T5_T6_T7_T9_mT8_P12ihipStream_tbDpT10_ENKUlT_T0_E_clISt17integral_constantIbLb1EES1A_EEDaS15_S16_EUlS15_E_NS1_11comp_targetILNS1_3genE2ELNS1_11target_archE906ELNS1_3gpuE6ELNS1_3repE0EEENS1_30default_config_static_selectorELNS0_4arch9wavefront6targetE1EEEvT1_,"axG",@progbits,_ZN7rocprim17ROCPRIM_400000_NS6detail17trampoline_kernelINS0_14default_configENS1_25partition_config_selectorILNS1_17partition_subalgoE9EllbEEZZNS1_14partition_implILS5_9ELb0ES3_jPlS8_PNS0_10empty_typeENS0_5tupleIJS8_S9_EEENSB_IJS8_SA_EEENS0_18inequality_wrapperIZN2at6native12_GLOBAL__N_124unique_dim_cuda_templateIiEESt5tupleIJNSF_6TensorESK_SK_EERKSK_lbbbEUlllE0_EEPmJS9_EEE10hipError_tPvRmT3_T4_T5_T6_T7_T9_mT8_P12ihipStream_tbDpT10_ENKUlT_T0_E_clISt17integral_constantIbLb1EES1A_EEDaS15_S16_EUlS15_E_NS1_11comp_targetILNS1_3genE2ELNS1_11target_archE906ELNS1_3gpuE6ELNS1_3repE0EEENS1_30default_config_static_selectorELNS0_4arch9wavefront6targetE1EEEvT1_,comdat
.Lfunc_end488:
	.size	_ZN7rocprim17ROCPRIM_400000_NS6detail17trampoline_kernelINS0_14default_configENS1_25partition_config_selectorILNS1_17partition_subalgoE9EllbEEZZNS1_14partition_implILS5_9ELb0ES3_jPlS8_PNS0_10empty_typeENS0_5tupleIJS8_S9_EEENSB_IJS8_SA_EEENS0_18inequality_wrapperIZN2at6native12_GLOBAL__N_124unique_dim_cuda_templateIiEESt5tupleIJNSF_6TensorESK_SK_EERKSK_lbbbEUlllE0_EEPmJS9_EEE10hipError_tPvRmT3_T4_T5_T6_T7_T9_mT8_P12ihipStream_tbDpT10_ENKUlT_T0_E_clISt17integral_constantIbLb1EES1A_EEDaS15_S16_EUlS15_E_NS1_11comp_targetILNS1_3genE2ELNS1_11target_archE906ELNS1_3gpuE6ELNS1_3repE0EEENS1_30default_config_static_selectorELNS0_4arch9wavefront6targetE1EEEvT1_, .Lfunc_end488-_ZN7rocprim17ROCPRIM_400000_NS6detail17trampoline_kernelINS0_14default_configENS1_25partition_config_selectorILNS1_17partition_subalgoE9EllbEEZZNS1_14partition_implILS5_9ELb0ES3_jPlS8_PNS0_10empty_typeENS0_5tupleIJS8_S9_EEENSB_IJS8_SA_EEENS0_18inequality_wrapperIZN2at6native12_GLOBAL__N_124unique_dim_cuda_templateIiEESt5tupleIJNSF_6TensorESK_SK_EERKSK_lbbbEUlllE0_EEPmJS9_EEE10hipError_tPvRmT3_T4_T5_T6_T7_T9_mT8_P12ihipStream_tbDpT10_ENKUlT_T0_E_clISt17integral_constantIbLb1EES1A_EEDaS15_S16_EUlS15_E_NS1_11comp_targetILNS1_3genE2ELNS1_11target_archE906ELNS1_3gpuE6ELNS1_3repE0EEENS1_30default_config_static_selectorELNS0_4arch9wavefront6targetE1EEEvT1_
                                        ; -- End function
	.section	.AMDGPU.csdata,"",@progbits
; Kernel info:
; codeLenInByte = 0
; NumSgprs: 6
; NumVgprs: 0
; NumAgprs: 0
; TotalNumVgprs: 0
; ScratchSize: 0
; MemoryBound: 0
; FloatMode: 240
; IeeeMode: 1
; LDSByteSize: 0 bytes/workgroup (compile time only)
; SGPRBlocks: 0
; VGPRBlocks: 0
; NumSGPRsForWavesPerEU: 6
; NumVGPRsForWavesPerEU: 1
; AccumOffset: 4
; Occupancy: 8
; WaveLimiterHint : 0
; COMPUTE_PGM_RSRC2:SCRATCH_EN: 0
; COMPUTE_PGM_RSRC2:USER_SGPR: 2
; COMPUTE_PGM_RSRC2:TRAP_HANDLER: 0
; COMPUTE_PGM_RSRC2:TGID_X_EN: 1
; COMPUTE_PGM_RSRC2:TGID_Y_EN: 0
; COMPUTE_PGM_RSRC2:TGID_Z_EN: 0
; COMPUTE_PGM_RSRC2:TIDIG_COMP_CNT: 0
; COMPUTE_PGM_RSRC3_GFX90A:ACCUM_OFFSET: 0
; COMPUTE_PGM_RSRC3_GFX90A:TG_SPLIT: 0
	.section	.text._ZN7rocprim17ROCPRIM_400000_NS6detail17trampoline_kernelINS0_14default_configENS1_25partition_config_selectorILNS1_17partition_subalgoE9EllbEEZZNS1_14partition_implILS5_9ELb0ES3_jPlS8_PNS0_10empty_typeENS0_5tupleIJS8_S9_EEENSB_IJS8_SA_EEENS0_18inequality_wrapperIZN2at6native12_GLOBAL__N_124unique_dim_cuda_templateIiEESt5tupleIJNSF_6TensorESK_SK_EERKSK_lbbbEUlllE0_EEPmJS9_EEE10hipError_tPvRmT3_T4_T5_T6_T7_T9_mT8_P12ihipStream_tbDpT10_ENKUlT_T0_E_clISt17integral_constantIbLb1EES1A_EEDaS15_S16_EUlS15_E_NS1_11comp_targetILNS1_3genE10ELNS1_11target_archE1200ELNS1_3gpuE4ELNS1_3repE0EEENS1_30default_config_static_selectorELNS0_4arch9wavefront6targetE1EEEvT1_,"axG",@progbits,_ZN7rocprim17ROCPRIM_400000_NS6detail17trampoline_kernelINS0_14default_configENS1_25partition_config_selectorILNS1_17partition_subalgoE9EllbEEZZNS1_14partition_implILS5_9ELb0ES3_jPlS8_PNS0_10empty_typeENS0_5tupleIJS8_S9_EEENSB_IJS8_SA_EEENS0_18inequality_wrapperIZN2at6native12_GLOBAL__N_124unique_dim_cuda_templateIiEESt5tupleIJNSF_6TensorESK_SK_EERKSK_lbbbEUlllE0_EEPmJS9_EEE10hipError_tPvRmT3_T4_T5_T6_T7_T9_mT8_P12ihipStream_tbDpT10_ENKUlT_T0_E_clISt17integral_constantIbLb1EES1A_EEDaS15_S16_EUlS15_E_NS1_11comp_targetILNS1_3genE10ELNS1_11target_archE1200ELNS1_3gpuE4ELNS1_3repE0EEENS1_30default_config_static_selectorELNS0_4arch9wavefront6targetE1EEEvT1_,comdat
	.globl	_ZN7rocprim17ROCPRIM_400000_NS6detail17trampoline_kernelINS0_14default_configENS1_25partition_config_selectorILNS1_17partition_subalgoE9EllbEEZZNS1_14partition_implILS5_9ELb0ES3_jPlS8_PNS0_10empty_typeENS0_5tupleIJS8_S9_EEENSB_IJS8_SA_EEENS0_18inequality_wrapperIZN2at6native12_GLOBAL__N_124unique_dim_cuda_templateIiEESt5tupleIJNSF_6TensorESK_SK_EERKSK_lbbbEUlllE0_EEPmJS9_EEE10hipError_tPvRmT3_T4_T5_T6_T7_T9_mT8_P12ihipStream_tbDpT10_ENKUlT_T0_E_clISt17integral_constantIbLb1EES1A_EEDaS15_S16_EUlS15_E_NS1_11comp_targetILNS1_3genE10ELNS1_11target_archE1200ELNS1_3gpuE4ELNS1_3repE0EEENS1_30default_config_static_selectorELNS0_4arch9wavefront6targetE1EEEvT1_ ; -- Begin function _ZN7rocprim17ROCPRIM_400000_NS6detail17trampoline_kernelINS0_14default_configENS1_25partition_config_selectorILNS1_17partition_subalgoE9EllbEEZZNS1_14partition_implILS5_9ELb0ES3_jPlS8_PNS0_10empty_typeENS0_5tupleIJS8_S9_EEENSB_IJS8_SA_EEENS0_18inequality_wrapperIZN2at6native12_GLOBAL__N_124unique_dim_cuda_templateIiEESt5tupleIJNSF_6TensorESK_SK_EERKSK_lbbbEUlllE0_EEPmJS9_EEE10hipError_tPvRmT3_T4_T5_T6_T7_T9_mT8_P12ihipStream_tbDpT10_ENKUlT_T0_E_clISt17integral_constantIbLb1EES1A_EEDaS15_S16_EUlS15_E_NS1_11comp_targetILNS1_3genE10ELNS1_11target_archE1200ELNS1_3gpuE4ELNS1_3repE0EEENS1_30default_config_static_selectorELNS0_4arch9wavefront6targetE1EEEvT1_
	.p2align	8
	.type	_ZN7rocprim17ROCPRIM_400000_NS6detail17trampoline_kernelINS0_14default_configENS1_25partition_config_selectorILNS1_17partition_subalgoE9EllbEEZZNS1_14partition_implILS5_9ELb0ES3_jPlS8_PNS0_10empty_typeENS0_5tupleIJS8_S9_EEENSB_IJS8_SA_EEENS0_18inequality_wrapperIZN2at6native12_GLOBAL__N_124unique_dim_cuda_templateIiEESt5tupleIJNSF_6TensorESK_SK_EERKSK_lbbbEUlllE0_EEPmJS9_EEE10hipError_tPvRmT3_T4_T5_T6_T7_T9_mT8_P12ihipStream_tbDpT10_ENKUlT_T0_E_clISt17integral_constantIbLb1EES1A_EEDaS15_S16_EUlS15_E_NS1_11comp_targetILNS1_3genE10ELNS1_11target_archE1200ELNS1_3gpuE4ELNS1_3repE0EEENS1_30default_config_static_selectorELNS0_4arch9wavefront6targetE1EEEvT1_,@function
_ZN7rocprim17ROCPRIM_400000_NS6detail17trampoline_kernelINS0_14default_configENS1_25partition_config_selectorILNS1_17partition_subalgoE9EllbEEZZNS1_14partition_implILS5_9ELb0ES3_jPlS8_PNS0_10empty_typeENS0_5tupleIJS8_S9_EEENSB_IJS8_SA_EEENS0_18inequality_wrapperIZN2at6native12_GLOBAL__N_124unique_dim_cuda_templateIiEESt5tupleIJNSF_6TensorESK_SK_EERKSK_lbbbEUlllE0_EEPmJS9_EEE10hipError_tPvRmT3_T4_T5_T6_T7_T9_mT8_P12ihipStream_tbDpT10_ENKUlT_T0_E_clISt17integral_constantIbLb1EES1A_EEDaS15_S16_EUlS15_E_NS1_11comp_targetILNS1_3genE10ELNS1_11target_archE1200ELNS1_3gpuE4ELNS1_3repE0EEENS1_30default_config_static_selectorELNS0_4arch9wavefront6targetE1EEEvT1_: ; @_ZN7rocprim17ROCPRIM_400000_NS6detail17trampoline_kernelINS0_14default_configENS1_25partition_config_selectorILNS1_17partition_subalgoE9EllbEEZZNS1_14partition_implILS5_9ELb0ES3_jPlS8_PNS0_10empty_typeENS0_5tupleIJS8_S9_EEENSB_IJS8_SA_EEENS0_18inequality_wrapperIZN2at6native12_GLOBAL__N_124unique_dim_cuda_templateIiEESt5tupleIJNSF_6TensorESK_SK_EERKSK_lbbbEUlllE0_EEPmJS9_EEE10hipError_tPvRmT3_T4_T5_T6_T7_T9_mT8_P12ihipStream_tbDpT10_ENKUlT_T0_E_clISt17integral_constantIbLb1EES1A_EEDaS15_S16_EUlS15_E_NS1_11comp_targetILNS1_3genE10ELNS1_11target_archE1200ELNS1_3gpuE4ELNS1_3repE0EEENS1_30default_config_static_selectorELNS0_4arch9wavefront6targetE1EEEvT1_
; %bb.0:
	.section	.rodata,"a",@progbits
	.p2align	6, 0x0
	.amdhsa_kernel _ZN7rocprim17ROCPRIM_400000_NS6detail17trampoline_kernelINS0_14default_configENS1_25partition_config_selectorILNS1_17partition_subalgoE9EllbEEZZNS1_14partition_implILS5_9ELb0ES3_jPlS8_PNS0_10empty_typeENS0_5tupleIJS8_S9_EEENSB_IJS8_SA_EEENS0_18inequality_wrapperIZN2at6native12_GLOBAL__N_124unique_dim_cuda_templateIiEESt5tupleIJNSF_6TensorESK_SK_EERKSK_lbbbEUlllE0_EEPmJS9_EEE10hipError_tPvRmT3_T4_T5_T6_T7_T9_mT8_P12ihipStream_tbDpT10_ENKUlT_T0_E_clISt17integral_constantIbLb1EES1A_EEDaS15_S16_EUlS15_E_NS1_11comp_targetILNS1_3genE10ELNS1_11target_archE1200ELNS1_3gpuE4ELNS1_3repE0EEENS1_30default_config_static_selectorELNS0_4arch9wavefront6targetE1EEEvT1_
		.amdhsa_group_segment_fixed_size 0
		.amdhsa_private_segment_fixed_size 0
		.amdhsa_kernarg_size 136
		.amdhsa_user_sgpr_count 2
		.amdhsa_user_sgpr_dispatch_ptr 0
		.amdhsa_user_sgpr_queue_ptr 0
		.amdhsa_user_sgpr_kernarg_segment_ptr 1
		.amdhsa_user_sgpr_dispatch_id 0
		.amdhsa_user_sgpr_kernarg_preload_length 0
		.amdhsa_user_sgpr_kernarg_preload_offset 0
		.amdhsa_user_sgpr_private_segment_size 0
		.amdhsa_uses_dynamic_stack 0
		.amdhsa_enable_private_segment 0
		.amdhsa_system_sgpr_workgroup_id_x 1
		.amdhsa_system_sgpr_workgroup_id_y 0
		.amdhsa_system_sgpr_workgroup_id_z 0
		.amdhsa_system_sgpr_workgroup_info 0
		.amdhsa_system_vgpr_workitem_id 0
		.amdhsa_next_free_vgpr 1
		.amdhsa_next_free_sgpr 0
		.amdhsa_accum_offset 4
		.amdhsa_reserve_vcc 0
		.amdhsa_float_round_mode_32 0
		.amdhsa_float_round_mode_16_64 0
		.amdhsa_float_denorm_mode_32 3
		.amdhsa_float_denorm_mode_16_64 3
		.amdhsa_dx10_clamp 1
		.amdhsa_ieee_mode 1
		.amdhsa_fp16_overflow 0
		.amdhsa_tg_split 0
		.amdhsa_exception_fp_ieee_invalid_op 0
		.amdhsa_exception_fp_denorm_src 0
		.amdhsa_exception_fp_ieee_div_zero 0
		.amdhsa_exception_fp_ieee_overflow 0
		.amdhsa_exception_fp_ieee_underflow 0
		.amdhsa_exception_fp_ieee_inexact 0
		.amdhsa_exception_int_div_zero 0
	.end_amdhsa_kernel
	.section	.text._ZN7rocprim17ROCPRIM_400000_NS6detail17trampoline_kernelINS0_14default_configENS1_25partition_config_selectorILNS1_17partition_subalgoE9EllbEEZZNS1_14partition_implILS5_9ELb0ES3_jPlS8_PNS0_10empty_typeENS0_5tupleIJS8_S9_EEENSB_IJS8_SA_EEENS0_18inequality_wrapperIZN2at6native12_GLOBAL__N_124unique_dim_cuda_templateIiEESt5tupleIJNSF_6TensorESK_SK_EERKSK_lbbbEUlllE0_EEPmJS9_EEE10hipError_tPvRmT3_T4_T5_T6_T7_T9_mT8_P12ihipStream_tbDpT10_ENKUlT_T0_E_clISt17integral_constantIbLb1EES1A_EEDaS15_S16_EUlS15_E_NS1_11comp_targetILNS1_3genE10ELNS1_11target_archE1200ELNS1_3gpuE4ELNS1_3repE0EEENS1_30default_config_static_selectorELNS0_4arch9wavefront6targetE1EEEvT1_,"axG",@progbits,_ZN7rocprim17ROCPRIM_400000_NS6detail17trampoline_kernelINS0_14default_configENS1_25partition_config_selectorILNS1_17partition_subalgoE9EllbEEZZNS1_14partition_implILS5_9ELb0ES3_jPlS8_PNS0_10empty_typeENS0_5tupleIJS8_S9_EEENSB_IJS8_SA_EEENS0_18inequality_wrapperIZN2at6native12_GLOBAL__N_124unique_dim_cuda_templateIiEESt5tupleIJNSF_6TensorESK_SK_EERKSK_lbbbEUlllE0_EEPmJS9_EEE10hipError_tPvRmT3_T4_T5_T6_T7_T9_mT8_P12ihipStream_tbDpT10_ENKUlT_T0_E_clISt17integral_constantIbLb1EES1A_EEDaS15_S16_EUlS15_E_NS1_11comp_targetILNS1_3genE10ELNS1_11target_archE1200ELNS1_3gpuE4ELNS1_3repE0EEENS1_30default_config_static_selectorELNS0_4arch9wavefront6targetE1EEEvT1_,comdat
.Lfunc_end489:
	.size	_ZN7rocprim17ROCPRIM_400000_NS6detail17trampoline_kernelINS0_14default_configENS1_25partition_config_selectorILNS1_17partition_subalgoE9EllbEEZZNS1_14partition_implILS5_9ELb0ES3_jPlS8_PNS0_10empty_typeENS0_5tupleIJS8_S9_EEENSB_IJS8_SA_EEENS0_18inequality_wrapperIZN2at6native12_GLOBAL__N_124unique_dim_cuda_templateIiEESt5tupleIJNSF_6TensorESK_SK_EERKSK_lbbbEUlllE0_EEPmJS9_EEE10hipError_tPvRmT3_T4_T5_T6_T7_T9_mT8_P12ihipStream_tbDpT10_ENKUlT_T0_E_clISt17integral_constantIbLb1EES1A_EEDaS15_S16_EUlS15_E_NS1_11comp_targetILNS1_3genE10ELNS1_11target_archE1200ELNS1_3gpuE4ELNS1_3repE0EEENS1_30default_config_static_selectorELNS0_4arch9wavefront6targetE1EEEvT1_, .Lfunc_end489-_ZN7rocprim17ROCPRIM_400000_NS6detail17trampoline_kernelINS0_14default_configENS1_25partition_config_selectorILNS1_17partition_subalgoE9EllbEEZZNS1_14partition_implILS5_9ELb0ES3_jPlS8_PNS0_10empty_typeENS0_5tupleIJS8_S9_EEENSB_IJS8_SA_EEENS0_18inequality_wrapperIZN2at6native12_GLOBAL__N_124unique_dim_cuda_templateIiEESt5tupleIJNSF_6TensorESK_SK_EERKSK_lbbbEUlllE0_EEPmJS9_EEE10hipError_tPvRmT3_T4_T5_T6_T7_T9_mT8_P12ihipStream_tbDpT10_ENKUlT_T0_E_clISt17integral_constantIbLb1EES1A_EEDaS15_S16_EUlS15_E_NS1_11comp_targetILNS1_3genE10ELNS1_11target_archE1200ELNS1_3gpuE4ELNS1_3repE0EEENS1_30default_config_static_selectorELNS0_4arch9wavefront6targetE1EEEvT1_
                                        ; -- End function
	.section	.AMDGPU.csdata,"",@progbits
; Kernel info:
; codeLenInByte = 0
; NumSgprs: 6
; NumVgprs: 0
; NumAgprs: 0
; TotalNumVgprs: 0
; ScratchSize: 0
; MemoryBound: 0
; FloatMode: 240
; IeeeMode: 1
; LDSByteSize: 0 bytes/workgroup (compile time only)
; SGPRBlocks: 0
; VGPRBlocks: 0
; NumSGPRsForWavesPerEU: 6
; NumVGPRsForWavesPerEU: 1
; AccumOffset: 4
; Occupancy: 8
; WaveLimiterHint : 0
; COMPUTE_PGM_RSRC2:SCRATCH_EN: 0
; COMPUTE_PGM_RSRC2:USER_SGPR: 2
; COMPUTE_PGM_RSRC2:TRAP_HANDLER: 0
; COMPUTE_PGM_RSRC2:TGID_X_EN: 1
; COMPUTE_PGM_RSRC2:TGID_Y_EN: 0
; COMPUTE_PGM_RSRC2:TGID_Z_EN: 0
; COMPUTE_PGM_RSRC2:TIDIG_COMP_CNT: 0
; COMPUTE_PGM_RSRC3_GFX90A:ACCUM_OFFSET: 0
; COMPUTE_PGM_RSRC3_GFX90A:TG_SPLIT: 0
	.section	.text._ZN7rocprim17ROCPRIM_400000_NS6detail17trampoline_kernelINS0_14default_configENS1_25partition_config_selectorILNS1_17partition_subalgoE9EllbEEZZNS1_14partition_implILS5_9ELb0ES3_jPlS8_PNS0_10empty_typeENS0_5tupleIJS8_S9_EEENSB_IJS8_SA_EEENS0_18inequality_wrapperIZN2at6native12_GLOBAL__N_124unique_dim_cuda_templateIiEESt5tupleIJNSF_6TensorESK_SK_EERKSK_lbbbEUlllE0_EEPmJS9_EEE10hipError_tPvRmT3_T4_T5_T6_T7_T9_mT8_P12ihipStream_tbDpT10_ENKUlT_T0_E_clISt17integral_constantIbLb1EES1A_EEDaS15_S16_EUlS15_E_NS1_11comp_targetILNS1_3genE9ELNS1_11target_archE1100ELNS1_3gpuE3ELNS1_3repE0EEENS1_30default_config_static_selectorELNS0_4arch9wavefront6targetE1EEEvT1_,"axG",@progbits,_ZN7rocprim17ROCPRIM_400000_NS6detail17trampoline_kernelINS0_14default_configENS1_25partition_config_selectorILNS1_17partition_subalgoE9EllbEEZZNS1_14partition_implILS5_9ELb0ES3_jPlS8_PNS0_10empty_typeENS0_5tupleIJS8_S9_EEENSB_IJS8_SA_EEENS0_18inequality_wrapperIZN2at6native12_GLOBAL__N_124unique_dim_cuda_templateIiEESt5tupleIJNSF_6TensorESK_SK_EERKSK_lbbbEUlllE0_EEPmJS9_EEE10hipError_tPvRmT3_T4_T5_T6_T7_T9_mT8_P12ihipStream_tbDpT10_ENKUlT_T0_E_clISt17integral_constantIbLb1EES1A_EEDaS15_S16_EUlS15_E_NS1_11comp_targetILNS1_3genE9ELNS1_11target_archE1100ELNS1_3gpuE3ELNS1_3repE0EEENS1_30default_config_static_selectorELNS0_4arch9wavefront6targetE1EEEvT1_,comdat
	.globl	_ZN7rocprim17ROCPRIM_400000_NS6detail17trampoline_kernelINS0_14default_configENS1_25partition_config_selectorILNS1_17partition_subalgoE9EllbEEZZNS1_14partition_implILS5_9ELb0ES3_jPlS8_PNS0_10empty_typeENS0_5tupleIJS8_S9_EEENSB_IJS8_SA_EEENS0_18inequality_wrapperIZN2at6native12_GLOBAL__N_124unique_dim_cuda_templateIiEESt5tupleIJNSF_6TensorESK_SK_EERKSK_lbbbEUlllE0_EEPmJS9_EEE10hipError_tPvRmT3_T4_T5_T6_T7_T9_mT8_P12ihipStream_tbDpT10_ENKUlT_T0_E_clISt17integral_constantIbLb1EES1A_EEDaS15_S16_EUlS15_E_NS1_11comp_targetILNS1_3genE9ELNS1_11target_archE1100ELNS1_3gpuE3ELNS1_3repE0EEENS1_30default_config_static_selectorELNS0_4arch9wavefront6targetE1EEEvT1_ ; -- Begin function _ZN7rocprim17ROCPRIM_400000_NS6detail17trampoline_kernelINS0_14default_configENS1_25partition_config_selectorILNS1_17partition_subalgoE9EllbEEZZNS1_14partition_implILS5_9ELb0ES3_jPlS8_PNS0_10empty_typeENS0_5tupleIJS8_S9_EEENSB_IJS8_SA_EEENS0_18inequality_wrapperIZN2at6native12_GLOBAL__N_124unique_dim_cuda_templateIiEESt5tupleIJNSF_6TensorESK_SK_EERKSK_lbbbEUlllE0_EEPmJS9_EEE10hipError_tPvRmT3_T4_T5_T6_T7_T9_mT8_P12ihipStream_tbDpT10_ENKUlT_T0_E_clISt17integral_constantIbLb1EES1A_EEDaS15_S16_EUlS15_E_NS1_11comp_targetILNS1_3genE9ELNS1_11target_archE1100ELNS1_3gpuE3ELNS1_3repE0EEENS1_30default_config_static_selectorELNS0_4arch9wavefront6targetE1EEEvT1_
	.p2align	8
	.type	_ZN7rocprim17ROCPRIM_400000_NS6detail17trampoline_kernelINS0_14default_configENS1_25partition_config_selectorILNS1_17partition_subalgoE9EllbEEZZNS1_14partition_implILS5_9ELb0ES3_jPlS8_PNS0_10empty_typeENS0_5tupleIJS8_S9_EEENSB_IJS8_SA_EEENS0_18inequality_wrapperIZN2at6native12_GLOBAL__N_124unique_dim_cuda_templateIiEESt5tupleIJNSF_6TensorESK_SK_EERKSK_lbbbEUlllE0_EEPmJS9_EEE10hipError_tPvRmT3_T4_T5_T6_T7_T9_mT8_P12ihipStream_tbDpT10_ENKUlT_T0_E_clISt17integral_constantIbLb1EES1A_EEDaS15_S16_EUlS15_E_NS1_11comp_targetILNS1_3genE9ELNS1_11target_archE1100ELNS1_3gpuE3ELNS1_3repE0EEENS1_30default_config_static_selectorELNS0_4arch9wavefront6targetE1EEEvT1_,@function
_ZN7rocprim17ROCPRIM_400000_NS6detail17trampoline_kernelINS0_14default_configENS1_25partition_config_selectorILNS1_17partition_subalgoE9EllbEEZZNS1_14partition_implILS5_9ELb0ES3_jPlS8_PNS0_10empty_typeENS0_5tupleIJS8_S9_EEENSB_IJS8_SA_EEENS0_18inequality_wrapperIZN2at6native12_GLOBAL__N_124unique_dim_cuda_templateIiEESt5tupleIJNSF_6TensorESK_SK_EERKSK_lbbbEUlllE0_EEPmJS9_EEE10hipError_tPvRmT3_T4_T5_T6_T7_T9_mT8_P12ihipStream_tbDpT10_ENKUlT_T0_E_clISt17integral_constantIbLb1EES1A_EEDaS15_S16_EUlS15_E_NS1_11comp_targetILNS1_3genE9ELNS1_11target_archE1100ELNS1_3gpuE3ELNS1_3repE0EEENS1_30default_config_static_selectorELNS0_4arch9wavefront6targetE1EEEvT1_: ; @_ZN7rocprim17ROCPRIM_400000_NS6detail17trampoline_kernelINS0_14default_configENS1_25partition_config_selectorILNS1_17partition_subalgoE9EllbEEZZNS1_14partition_implILS5_9ELb0ES3_jPlS8_PNS0_10empty_typeENS0_5tupleIJS8_S9_EEENSB_IJS8_SA_EEENS0_18inequality_wrapperIZN2at6native12_GLOBAL__N_124unique_dim_cuda_templateIiEESt5tupleIJNSF_6TensorESK_SK_EERKSK_lbbbEUlllE0_EEPmJS9_EEE10hipError_tPvRmT3_T4_T5_T6_T7_T9_mT8_P12ihipStream_tbDpT10_ENKUlT_T0_E_clISt17integral_constantIbLb1EES1A_EEDaS15_S16_EUlS15_E_NS1_11comp_targetILNS1_3genE9ELNS1_11target_archE1100ELNS1_3gpuE3ELNS1_3repE0EEENS1_30default_config_static_selectorELNS0_4arch9wavefront6targetE1EEEvT1_
; %bb.0:
	.section	.rodata,"a",@progbits
	.p2align	6, 0x0
	.amdhsa_kernel _ZN7rocprim17ROCPRIM_400000_NS6detail17trampoline_kernelINS0_14default_configENS1_25partition_config_selectorILNS1_17partition_subalgoE9EllbEEZZNS1_14partition_implILS5_9ELb0ES3_jPlS8_PNS0_10empty_typeENS0_5tupleIJS8_S9_EEENSB_IJS8_SA_EEENS0_18inequality_wrapperIZN2at6native12_GLOBAL__N_124unique_dim_cuda_templateIiEESt5tupleIJNSF_6TensorESK_SK_EERKSK_lbbbEUlllE0_EEPmJS9_EEE10hipError_tPvRmT3_T4_T5_T6_T7_T9_mT8_P12ihipStream_tbDpT10_ENKUlT_T0_E_clISt17integral_constantIbLb1EES1A_EEDaS15_S16_EUlS15_E_NS1_11comp_targetILNS1_3genE9ELNS1_11target_archE1100ELNS1_3gpuE3ELNS1_3repE0EEENS1_30default_config_static_selectorELNS0_4arch9wavefront6targetE1EEEvT1_
		.amdhsa_group_segment_fixed_size 0
		.amdhsa_private_segment_fixed_size 0
		.amdhsa_kernarg_size 136
		.amdhsa_user_sgpr_count 2
		.amdhsa_user_sgpr_dispatch_ptr 0
		.amdhsa_user_sgpr_queue_ptr 0
		.amdhsa_user_sgpr_kernarg_segment_ptr 1
		.amdhsa_user_sgpr_dispatch_id 0
		.amdhsa_user_sgpr_kernarg_preload_length 0
		.amdhsa_user_sgpr_kernarg_preload_offset 0
		.amdhsa_user_sgpr_private_segment_size 0
		.amdhsa_uses_dynamic_stack 0
		.amdhsa_enable_private_segment 0
		.amdhsa_system_sgpr_workgroup_id_x 1
		.amdhsa_system_sgpr_workgroup_id_y 0
		.amdhsa_system_sgpr_workgroup_id_z 0
		.amdhsa_system_sgpr_workgroup_info 0
		.amdhsa_system_vgpr_workitem_id 0
		.amdhsa_next_free_vgpr 1
		.amdhsa_next_free_sgpr 0
		.amdhsa_accum_offset 4
		.amdhsa_reserve_vcc 0
		.amdhsa_float_round_mode_32 0
		.amdhsa_float_round_mode_16_64 0
		.amdhsa_float_denorm_mode_32 3
		.amdhsa_float_denorm_mode_16_64 3
		.amdhsa_dx10_clamp 1
		.amdhsa_ieee_mode 1
		.amdhsa_fp16_overflow 0
		.amdhsa_tg_split 0
		.amdhsa_exception_fp_ieee_invalid_op 0
		.amdhsa_exception_fp_denorm_src 0
		.amdhsa_exception_fp_ieee_div_zero 0
		.amdhsa_exception_fp_ieee_overflow 0
		.amdhsa_exception_fp_ieee_underflow 0
		.amdhsa_exception_fp_ieee_inexact 0
		.amdhsa_exception_int_div_zero 0
	.end_amdhsa_kernel
	.section	.text._ZN7rocprim17ROCPRIM_400000_NS6detail17trampoline_kernelINS0_14default_configENS1_25partition_config_selectorILNS1_17partition_subalgoE9EllbEEZZNS1_14partition_implILS5_9ELb0ES3_jPlS8_PNS0_10empty_typeENS0_5tupleIJS8_S9_EEENSB_IJS8_SA_EEENS0_18inequality_wrapperIZN2at6native12_GLOBAL__N_124unique_dim_cuda_templateIiEESt5tupleIJNSF_6TensorESK_SK_EERKSK_lbbbEUlllE0_EEPmJS9_EEE10hipError_tPvRmT3_T4_T5_T6_T7_T9_mT8_P12ihipStream_tbDpT10_ENKUlT_T0_E_clISt17integral_constantIbLb1EES1A_EEDaS15_S16_EUlS15_E_NS1_11comp_targetILNS1_3genE9ELNS1_11target_archE1100ELNS1_3gpuE3ELNS1_3repE0EEENS1_30default_config_static_selectorELNS0_4arch9wavefront6targetE1EEEvT1_,"axG",@progbits,_ZN7rocprim17ROCPRIM_400000_NS6detail17trampoline_kernelINS0_14default_configENS1_25partition_config_selectorILNS1_17partition_subalgoE9EllbEEZZNS1_14partition_implILS5_9ELb0ES3_jPlS8_PNS0_10empty_typeENS0_5tupleIJS8_S9_EEENSB_IJS8_SA_EEENS0_18inequality_wrapperIZN2at6native12_GLOBAL__N_124unique_dim_cuda_templateIiEESt5tupleIJNSF_6TensorESK_SK_EERKSK_lbbbEUlllE0_EEPmJS9_EEE10hipError_tPvRmT3_T4_T5_T6_T7_T9_mT8_P12ihipStream_tbDpT10_ENKUlT_T0_E_clISt17integral_constantIbLb1EES1A_EEDaS15_S16_EUlS15_E_NS1_11comp_targetILNS1_3genE9ELNS1_11target_archE1100ELNS1_3gpuE3ELNS1_3repE0EEENS1_30default_config_static_selectorELNS0_4arch9wavefront6targetE1EEEvT1_,comdat
.Lfunc_end490:
	.size	_ZN7rocprim17ROCPRIM_400000_NS6detail17trampoline_kernelINS0_14default_configENS1_25partition_config_selectorILNS1_17partition_subalgoE9EllbEEZZNS1_14partition_implILS5_9ELb0ES3_jPlS8_PNS0_10empty_typeENS0_5tupleIJS8_S9_EEENSB_IJS8_SA_EEENS0_18inequality_wrapperIZN2at6native12_GLOBAL__N_124unique_dim_cuda_templateIiEESt5tupleIJNSF_6TensorESK_SK_EERKSK_lbbbEUlllE0_EEPmJS9_EEE10hipError_tPvRmT3_T4_T5_T6_T7_T9_mT8_P12ihipStream_tbDpT10_ENKUlT_T0_E_clISt17integral_constantIbLb1EES1A_EEDaS15_S16_EUlS15_E_NS1_11comp_targetILNS1_3genE9ELNS1_11target_archE1100ELNS1_3gpuE3ELNS1_3repE0EEENS1_30default_config_static_selectorELNS0_4arch9wavefront6targetE1EEEvT1_, .Lfunc_end490-_ZN7rocprim17ROCPRIM_400000_NS6detail17trampoline_kernelINS0_14default_configENS1_25partition_config_selectorILNS1_17partition_subalgoE9EllbEEZZNS1_14partition_implILS5_9ELb0ES3_jPlS8_PNS0_10empty_typeENS0_5tupleIJS8_S9_EEENSB_IJS8_SA_EEENS0_18inequality_wrapperIZN2at6native12_GLOBAL__N_124unique_dim_cuda_templateIiEESt5tupleIJNSF_6TensorESK_SK_EERKSK_lbbbEUlllE0_EEPmJS9_EEE10hipError_tPvRmT3_T4_T5_T6_T7_T9_mT8_P12ihipStream_tbDpT10_ENKUlT_T0_E_clISt17integral_constantIbLb1EES1A_EEDaS15_S16_EUlS15_E_NS1_11comp_targetILNS1_3genE9ELNS1_11target_archE1100ELNS1_3gpuE3ELNS1_3repE0EEENS1_30default_config_static_selectorELNS0_4arch9wavefront6targetE1EEEvT1_
                                        ; -- End function
	.section	.AMDGPU.csdata,"",@progbits
; Kernel info:
; codeLenInByte = 0
; NumSgprs: 6
; NumVgprs: 0
; NumAgprs: 0
; TotalNumVgprs: 0
; ScratchSize: 0
; MemoryBound: 0
; FloatMode: 240
; IeeeMode: 1
; LDSByteSize: 0 bytes/workgroup (compile time only)
; SGPRBlocks: 0
; VGPRBlocks: 0
; NumSGPRsForWavesPerEU: 6
; NumVGPRsForWavesPerEU: 1
; AccumOffset: 4
; Occupancy: 8
; WaveLimiterHint : 0
; COMPUTE_PGM_RSRC2:SCRATCH_EN: 0
; COMPUTE_PGM_RSRC2:USER_SGPR: 2
; COMPUTE_PGM_RSRC2:TRAP_HANDLER: 0
; COMPUTE_PGM_RSRC2:TGID_X_EN: 1
; COMPUTE_PGM_RSRC2:TGID_Y_EN: 0
; COMPUTE_PGM_RSRC2:TGID_Z_EN: 0
; COMPUTE_PGM_RSRC2:TIDIG_COMP_CNT: 0
; COMPUTE_PGM_RSRC3_GFX90A:ACCUM_OFFSET: 0
; COMPUTE_PGM_RSRC3_GFX90A:TG_SPLIT: 0
	.section	.text._ZN7rocprim17ROCPRIM_400000_NS6detail17trampoline_kernelINS0_14default_configENS1_25partition_config_selectorILNS1_17partition_subalgoE9EllbEEZZNS1_14partition_implILS5_9ELb0ES3_jPlS8_PNS0_10empty_typeENS0_5tupleIJS8_S9_EEENSB_IJS8_SA_EEENS0_18inequality_wrapperIZN2at6native12_GLOBAL__N_124unique_dim_cuda_templateIiEESt5tupleIJNSF_6TensorESK_SK_EERKSK_lbbbEUlllE0_EEPmJS9_EEE10hipError_tPvRmT3_T4_T5_T6_T7_T9_mT8_P12ihipStream_tbDpT10_ENKUlT_T0_E_clISt17integral_constantIbLb1EES1A_EEDaS15_S16_EUlS15_E_NS1_11comp_targetILNS1_3genE8ELNS1_11target_archE1030ELNS1_3gpuE2ELNS1_3repE0EEENS1_30default_config_static_selectorELNS0_4arch9wavefront6targetE1EEEvT1_,"axG",@progbits,_ZN7rocprim17ROCPRIM_400000_NS6detail17trampoline_kernelINS0_14default_configENS1_25partition_config_selectorILNS1_17partition_subalgoE9EllbEEZZNS1_14partition_implILS5_9ELb0ES3_jPlS8_PNS0_10empty_typeENS0_5tupleIJS8_S9_EEENSB_IJS8_SA_EEENS0_18inequality_wrapperIZN2at6native12_GLOBAL__N_124unique_dim_cuda_templateIiEESt5tupleIJNSF_6TensorESK_SK_EERKSK_lbbbEUlllE0_EEPmJS9_EEE10hipError_tPvRmT3_T4_T5_T6_T7_T9_mT8_P12ihipStream_tbDpT10_ENKUlT_T0_E_clISt17integral_constantIbLb1EES1A_EEDaS15_S16_EUlS15_E_NS1_11comp_targetILNS1_3genE8ELNS1_11target_archE1030ELNS1_3gpuE2ELNS1_3repE0EEENS1_30default_config_static_selectorELNS0_4arch9wavefront6targetE1EEEvT1_,comdat
	.globl	_ZN7rocprim17ROCPRIM_400000_NS6detail17trampoline_kernelINS0_14default_configENS1_25partition_config_selectorILNS1_17partition_subalgoE9EllbEEZZNS1_14partition_implILS5_9ELb0ES3_jPlS8_PNS0_10empty_typeENS0_5tupleIJS8_S9_EEENSB_IJS8_SA_EEENS0_18inequality_wrapperIZN2at6native12_GLOBAL__N_124unique_dim_cuda_templateIiEESt5tupleIJNSF_6TensorESK_SK_EERKSK_lbbbEUlllE0_EEPmJS9_EEE10hipError_tPvRmT3_T4_T5_T6_T7_T9_mT8_P12ihipStream_tbDpT10_ENKUlT_T0_E_clISt17integral_constantIbLb1EES1A_EEDaS15_S16_EUlS15_E_NS1_11comp_targetILNS1_3genE8ELNS1_11target_archE1030ELNS1_3gpuE2ELNS1_3repE0EEENS1_30default_config_static_selectorELNS0_4arch9wavefront6targetE1EEEvT1_ ; -- Begin function _ZN7rocprim17ROCPRIM_400000_NS6detail17trampoline_kernelINS0_14default_configENS1_25partition_config_selectorILNS1_17partition_subalgoE9EllbEEZZNS1_14partition_implILS5_9ELb0ES3_jPlS8_PNS0_10empty_typeENS0_5tupleIJS8_S9_EEENSB_IJS8_SA_EEENS0_18inequality_wrapperIZN2at6native12_GLOBAL__N_124unique_dim_cuda_templateIiEESt5tupleIJNSF_6TensorESK_SK_EERKSK_lbbbEUlllE0_EEPmJS9_EEE10hipError_tPvRmT3_T4_T5_T6_T7_T9_mT8_P12ihipStream_tbDpT10_ENKUlT_T0_E_clISt17integral_constantIbLb1EES1A_EEDaS15_S16_EUlS15_E_NS1_11comp_targetILNS1_3genE8ELNS1_11target_archE1030ELNS1_3gpuE2ELNS1_3repE0EEENS1_30default_config_static_selectorELNS0_4arch9wavefront6targetE1EEEvT1_
	.p2align	8
	.type	_ZN7rocprim17ROCPRIM_400000_NS6detail17trampoline_kernelINS0_14default_configENS1_25partition_config_selectorILNS1_17partition_subalgoE9EllbEEZZNS1_14partition_implILS5_9ELb0ES3_jPlS8_PNS0_10empty_typeENS0_5tupleIJS8_S9_EEENSB_IJS8_SA_EEENS0_18inequality_wrapperIZN2at6native12_GLOBAL__N_124unique_dim_cuda_templateIiEESt5tupleIJNSF_6TensorESK_SK_EERKSK_lbbbEUlllE0_EEPmJS9_EEE10hipError_tPvRmT3_T4_T5_T6_T7_T9_mT8_P12ihipStream_tbDpT10_ENKUlT_T0_E_clISt17integral_constantIbLb1EES1A_EEDaS15_S16_EUlS15_E_NS1_11comp_targetILNS1_3genE8ELNS1_11target_archE1030ELNS1_3gpuE2ELNS1_3repE0EEENS1_30default_config_static_selectorELNS0_4arch9wavefront6targetE1EEEvT1_,@function
_ZN7rocprim17ROCPRIM_400000_NS6detail17trampoline_kernelINS0_14default_configENS1_25partition_config_selectorILNS1_17partition_subalgoE9EllbEEZZNS1_14partition_implILS5_9ELb0ES3_jPlS8_PNS0_10empty_typeENS0_5tupleIJS8_S9_EEENSB_IJS8_SA_EEENS0_18inequality_wrapperIZN2at6native12_GLOBAL__N_124unique_dim_cuda_templateIiEESt5tupleIJNSF_6TensorESK_SK_EERKSK_lbbbEUlllE0_EEPmJS9_EEE10hipError_tPvRmT3_T4_T5_T6_T7_T9_mT8_P12ihipStream_tbDpT10_ENKUlT_T0_E_clISt17integral_constantIbLb1EES1A_EEDaS15_S16_EUlS15_E_NS1_11comp_targetILNS1_3genE8ELNS1_11target_archE1030ELNS1_3gpuE2ELNS1_3repE0EEENS1_30default_config_static_selectorELNS0_4arch9wavefront6targetE1EEEvT1_: ; @_ZN7rocprim17ROCPRIM_400000_NS6detail17trampoline_kernelINS0_14default_configENS1_25partition_config_selectorILNS1_17partition_subalgoE9EllbEEZZNS1_14partition_implILS5_9ELb0ES3_jPlS8_PNS0_10empty_typeENS0_5tupleIJS8_S9_EEENSB_IJS8_SA_EEENS0_18inequality_wrapperIZN2at6native12_GLOBAL__N_124unique_dim_cuda_templateIiEESt5tupleIJNSF_6TensorESK_SK_EERKSK_lbbbEUlllE0_EEPmJS9_EEE10hipError_tPvRmT3_T4_T5_T6_T7_T9_mT8_P12ihipStream_tbDpT10_ENKUlT_T0_E_clISt17integral_constantIbLb1EES1A_EEDaS15_S16_EUlS15_E_NS1_11comp_targetILNS1_3genE8ELNS1_11target_archE1030ELNS1_3gpuE2ELNS1_3repE0EEENS1_30default_config_static_selectorELNS0_4arch9wavefront6targetE1EEEvT1_
; %bb.0:
	.section	.rodata,"a",@progbits
	.p2align	6, 0x0
	.amdhsa_kernel _ZN7rocprim17ROCPRIM_400000_NS6detail17trampoline_kernelINS0_14default_configENS1_25partition_config_selectorILNS1_17partition_subalgoE9EllbEEZZNS1_14partition_implILS5_9ELb0ES3_jPlS8_PNS0_10empty_typeENS0_5tupleIJS8_S9_EEENSB_IJS8_SA_EEENS0_18inequality_wrapperIZN2at6native12_GLOBAL__N_124unique_dim_cuda_templateIiEESt5tupleIJNSF_6TensorESK_SK_EERKSK_lbbbEUlllE0_EEPmJS9_EEE10hipError_tPvRmT3_T4_T5_T6_T7_T9_mT8_P12ihipStream_tbDpT10_ENKUlT_T0_E_clISt17integral_constantIbLb1EES1A_EEDaS15_S16_EUlS15_E_NS1_11comp_targetILNS1_3genE8ELNS1_11target_archE1030ELNS1_3gpuE2ELNS1_3repE0EEENS1_30default_config_static_selectorELNS0_4arch9wavefront6targetE1EEEvT1_
		.amdhsa_group_segment_fixed_size 0
		.amdhsa_private_segment_fixed_size 0
		.amdhsa_kernarg_size 136
		.amdhsa_user_sgpr_count 2
		.amdhsa_user_sgpr_dispatch_ptr 0
		.amdhsa_user_sgpr_queue_ptr 0
		.amdhsa_user_sgpr_kernarg_segment_ptr 1
		.amdhsa_user_sgpr_dispatch_id 0
		.amdhsa_user_sgpr_kernarg_preload_length 0
		.amdhsa_user_sgpr_kernarg_preload_offset 0
		.amdhsa_user_sgpr_private_segment_size 0
		.amdhsa_uses_dynamic_stack 0
		.amdhsa_enable_private_segment 0
		.amdhsa_system_sgpr_workgroup_id_x 1
		.amdhsa_system_sgpr_workgroup_id_y 0
		.amdhsa_system_sgpr_workgroup_id_z 0
		.amdhsa_system_sgpr_workgroup_info 0
		.amdhsa_system_vgpr_workitem_id 0
		.amdhsa_next_free_vgpr 1
		.amdhsa_next_free_sgpr 0
		.amdhsa_accum_offset 4
		.amdhsa_reserve_vcc 0
		.amdhsa_float_round_mode_32 0
		.amdhsa_float_round_mode_16_64 0
		.amdhsa_float_denorm_mode_32 3
		.amdhsa_float_denorm_mode_16_64 3
		.amdhsa_dx10_clamp 1
		.amdhsa_ieee_mode 1
		.amdhsa_fp16_overflow 0
		.amdhsa_tg_split 0
		.amdhsa_exception_fp_ieee_invalid_op 0
		.amdhsa_exception_fp_denorm_src 0
		.amdhsa_exception_fp_ieee_div_zero 0
		.amdhsa_exception_fp_ieee_overflow 0
		.amdhsa_exception_fp_ieee_underflow 0
		.amdhsa_exception_fp_ieee_inexact 0
		.amdhsa_exception_int_div_zero 0
	.end_amdhsa_kernel
	.section	.text._ZN7rocprim17ROCPRIM_400000_NS6detail17trampoline_kernelINS0_14default_configENS1_25partition_config_selectorILNS1_17partition_subalgoE9EllbEEZZNS1_14partition_implILS5_9ELb0ES3_jPlS8_PNS0_10empty_typeENS0_5tupleIJS8_S9_EEENSB_IJS8_SA_EEENS0_18inequality_wrapperIZN2at6native12_GLOBAL__N_124unique_dim_cuda_templateIiEESt5tupleIJNSF_6TensorESK_SK_EERKSK_lbbbEUlllE0_EEPmJS9_EEE10hipError_tPvRmT3_T4_T5_T6_T7_T9_mT8_P12ihipStream_tbDpT10_ENKUlT_T0_E_clISt17integral_constantIbLb1EES1A_EEDaS15_S16_EUlS15_E_NS1_11comp_targetILNS1_3genE8ELNS1_11target_archE1030ELNS1_3gpuE2ELNS1_3repE0EEENS1_30default_config_static_selectorELNS0_4arch9wavefront6targetE1EEEvT1_,"axG",@progbits,_ZN7rocprim17ROCPRIM_400000_NS6detail17trampoline_kernelINS0_14default_configENS1_25partition_config_selectorILNS1_17partition_subalgoE9EllbEEZZNS1_14partition_implILS5_9ELb0ES3_jPlS8_PNS0_10empty_typeENS0_5tupleIJS8_S9_EEENSB_IJS8_SA_EEENS0_18inequality_wrapperIZN2at6native12_GLOBAL__N_124unique_dim_cuda_templateIiEESt5tupleIJNSF_6TensorESK_SK_EERKSK_lbbbEUlllE0_EEPmJS9_EEE10hipError_tPvRmT3_T4_T5_T6_T7_T9_mT8_P12ihipStream_tbDpT10_ENKUlT_T0_E_clISt17integral_constantIbLb1EES1A_EEDaS15_S16_EUlS15_E_NS1_11comp_targetILNS1_3genE8ELNS1_11target_archE1030ELNS1_3gpuE2ELNS1_3repE0EEENS1_30default_config_static_selectorELNS0_4arch9wavefront6targetE1EEEvT1_,comdat
.Lfunc_end491:
	.size	_ZN7rocprim17ROCPRIM_400000_NS6detail17trampoline_kernelINS0_14default_configENS1_25partition_config_selectorILNS1_17partition_subalgoE9EllbEEZZNS1_14partition_implILS5_9ELb0ES3_jPlS8_PNS0_10empty_typeENS0_5tupleIJS8_S9_EEENSB_IJS8_SA_EEENS0_18inequality_wrapperIZN2at6native12_GLOBAL__N_124unique_dim_cuda_templateIiEESt5tupleIJNSF_6TensorESK_SK_EERKSK_lbbbEUlllE0_EEPmJS9_EEE10hipError_tPvRmT3_T4_T5_T6_T7_T9_mT8_P12ihipStream_tbDpT10_ENKUlT_T0_E_clISt17integral_constantIbLb1EES1A_EEDaS15_S16_EUlS15_E_NS1_11comp_targetILNS1_3genE8ELNS1_11target_archE1030ELNS1_3gpuE2ELNS1_3repE0EEENS1_30default_config_static_selectorELNS0_4arch9wavefront6targetE1EEEvT1_, .Lfunc_end491-_ZN7rocprim17ROCPRIM_400000_NS6detail17trampoline_kernelINS0_14default_configENS1_25partition_config_selectorILNS1_17partition_subalgoE9EllbEEZZNS1_14partition_implILS5_9ELb0ES3_jPlS8_PNS0_10empty_typeENS0_5tupleIJS8_S9_EEENSB_IJS8_SA_EEENS0_18inequality_wrapperIZN2at6native12_GLOBAL__N_124unique_dim_cuda_templateIiEESt5tupleIJNSF_6TensorESK_SK_EERKSK_lbbbEUlllE0_EEPmJS9_EEE10hipError_tPvRmT3_T4_T5_T6_T7_T9_mT8_P12ihipStream_tbDpT10_ENKUlT_T0_E_clISt17integral_constantIbLb1EES1A_EEDaS15_S16_EUlS15_E_NS1_11comp_targetILNS1_3genE8ELNS1_11target_archE1030ELNS1_3gpuE2ELNS1_3repE0EEENS1_30default_config_static_selectorELNS0_4arch9wavefront6targetE1EEEvT1_
                                        ; -- End function
	.section	.AMDGPU.csdata,"",@progbits
; Kernel info:
; codeLenInByte = 0
; NumSgprs: 6
; NumVgprs: 0
; NumAgprs: 0
; TotalNumVgprs: 0
; ScratchSize: 0
; MemoryBound: 0
; FloatMode: 240
; IeeeMode: 1
; LDSByteSize: 0 bytes/workgroup (compile time only)
; SGPRBlocks: 0
; VGPRBlocks: 0
; NumSGPRsForWavesPerEU: 6
; NumVGPRsForWavesPerEU: 1
; AccumOffset: 4
; Occupancy: 8
; WaveLimiterHint : 0
; COMPUTE_PGM_RSRC2:SCRATCH_EN: 0
; COMPUTE_PGM_RSRC2:USER_SGPR: 2
; COMPUTE_PGM_RSRC2:TRAP_HANDLER: 0
; COMPUTE_PGM_RSRC2:TGID_X_EN: 1
; COMPUTE_PGM_RSRC2:TGID_Y_EN: 0
; COMPUTE_PGM_RSRC2:TGID_Z_EN: 0
; COMPUTE_PGM_RSRC2:TIDIG_COMP_CNT: 0
; COMPUTE_PGM_RSRC3_GFX90A:ACCUM_OFFSET: 0
; COMPUTE_PGM_RSRC3_GFX90A:TG_SPLIT: 0
	.section	.text._ZN7rocprim17ROCPRIM_400000_NS6detail17trampoline_kernelINS0_14default_configENS1_25partition_config_selectorILNS1_17partition_subalgoE9EllbEEZZNS1_14partition_implILS5_9ELb0ES3_jPlS8_PNS0_10empty_typeENS0_5tupleIJS8_S9_EEENSB_IJS8_SA_EEENS0_18inequality_wrapperIZN2at6native12_GLOBAL__N_124unique_dim_cuda_templateIiEESt5tupleIJNSF_6TensorESK_SK_EERKSK_lbbbEUlllE0_EEPmJS9_EEE10hipError_tPvRmT3_T4_T5_T6_T7_T9_mT8_P12ihipStream_tbDpT10_ENKUlT_T0_E_clISt17integral_constantIbLb1EES19_IbLb0EEEEDaS15_S16_EUlS15_E_NS1_11comp_targetILNS1_3genE0ELNS1_11target_archE4294967295ELNS1_3gpuE0ELNS1_3repE0EEENS1_30default_config_static_selectorELNS0_4arch9wavefront6targetE1EEEvT1_,"axG",@progbits,_ZN7rocprim17ROCPRIM_400000_NS6detail17trampoline_kernelINS0_14default_configENS1_25partition_config_selectorILNS1_17partition_subalgoE9EllbEEZZNS1_14partition_implILS5_9ELb0ES3_jPlS8_PNS0_10empty_typeENS0_5tupleIJS8_S9_EEENSB_IJS8_SA_EEENS0_18inequality_wrapperIZN2at6native12_GLOBAL__N_124unique_dim_cuda_templateIiEESt5tupleIJNSF_6TensorESK_SK_EERKSK_lbbbEUlllE0_EEPmJS9_EEE10hipError_tPvRmT3_T4_T5_T6_T7_T9_mT8_P12ihipStream_tbDpT10_ENKUlT_T0_E_clISt17integral_constantIbLb1EES19_IbLb0EEEEDaS15_S16_EUlS15_E_NS1_11comp_targetILNS1_3genE0ELNS1_11target_archE4294967295ELNS1_3gpuE0ELNS1_3repE0EEENS1_30default_config_static_selectorELNS0_4arch9wavefront6targetE1EEEvT1_,comdat
	.globl	_ZN7rocprim17ROCPRIM_400000_NS6detail17trampoline_kernelINS0_14default_configENS1_25partition_config_selectorILNS1_17partition_subalgoE9EllbEEZZNS1_14partition_implILS5_9ELb0ES3_jPlS8_PNS0_10empty_typeENS0_5tupleIJS8_S9_EEENSB_IJS8_SA_EEENS0_18inequality_wrapperIZN2at6native12_GLOBAL__N_124unique_dim_cuda_templateIiEESt5tupleIJNSF_6TensorESK_SK_EERKSK_lbbbEUlllE0_EEPmJS9_EEE10hipError_tPvRmT3_T4_T5_T6_T7_T9_mT8_P12ihipStream_tbDpT10_ENKUlT_T0_E_clISt17integral_constantIbLb1EES19_IbLb0EEEEDaS15_S16_EUlS15_E_NS1_11comp_targetILNS1_3genE0ELNS1_11target_archE4294967295ELNS1_3gpuE0ELNS1_3repE0EEENS1_30default_config_static_selectorELNS0_4arch9wavefront6targetE1EEEvT1_ ; -- Begin function _ZN7rocprim17ROCPRIM_400000_NS6detail17trampoline_kernelINS0_14default_configENS1_25partition_config_selectorILNS1_17partition_subalgoE9EllbEEZZNS1_14partition_implILS5_9ELb0ES3_jPlS8_PNS0_10empty_typeENS0_5tupleIJS8_S9_EEENSB_IJS8_SA_EEENS0_18inequality_wrapperIZN2at6native12_GLOBAL__N_124unique_dim_cuda_templateIiEESt5tupleIJNSF_6TensorESK_SK_EERKSK_lbbbEUlllE0_EEPmJS9_EEE10hipError_tPvRmT3_T4_T5_T6_T7_T9_mT8_P12ihipStream_tbDpT10_ENKUlT_T0_E_clISt17integral_constantIbLb1EES19_IbLb0EEEEDaS15_S16_EUlS15_E_NS1_11comp_targetILNS1_3genE0ELNS1_11target_archE4294967295ELNS1_3gpuE0ELNS1_3repE0EEENS1_30default_config_static_selectorELNS0_4arch9wavefront6targetE1EEEvT1_
	.p2align	8
	.type	_ZN7rocprim17ROCPRIM_400000_NS6detail17trampoline_kernelINS0_14default_configENS1_25partition_config_selectorILNS1_17partition_subalgoE9EllbEEZZNS1_14partition_implILS5_9ELb0ES3_jPlS8_PNS0_10empty_typeENS0_5tupleIJS8_S9_EEENSB_IJS8_SA_EEENS0_18inequality_wrapperIZN2at6native12_GLOBAL__N_124unique_dim_cuda_templateIiEESt5tupleIJNSF_6TensorESK_SK_EERKSK_lbbbEUlllE0_EEPmJS9_EEE10hipError_tPvRmT3_T4_T5_T6_T7_T9_mT8_P12ihipStream_tbDpT10_ENKUlT_T0_E_clISt17integral_constantIbLb1EES19_IbLb0EEEEDaS15_S16_EUlS15_E_NS1_11comp_targetILNS1_3genE0ELNS1_11target_archE4294967295ELNS1_3gpuE0ELNS1_3repE0EEENS1_30default_config_static_selectorELNS0_4arch9wavefront6targetE1EEEvT1_,@function
_ZN7rocprim17ROCPRIM_400000_NS6detail17trampoline_kernelINS0_14default_configENS1_25partition_config_selectorILNS1_17partition_subalgoE9EllbEEZZNS1_14partition_implILS5_9ELb0ES3_jPlS8_PNS0_10empty_typeENS0_5tupleIJS8_S9_EEENSB_IJS8_SA_EEENS0_18inequality_wrapperIZN2at6native12_GLOBAL__N_124unique_dim_cuda_templateIiEESt5tupleIJNSF_6TensorESK_SK_EERKSK_lbbbEUlllE0_EEPmJS9_EEE10hipError_tPvRmT3_T4_T5_T6_T7_T9_mT8_P12ihipStream_tbDpT10_ENKUlT_T0_E_clISt17integral_constantIbLb1EES19_IbLb0EEEEDaS15_S16_EUlS15_E_NS1_11comp_targetILNS1_3genE0ELNS1_11target_archE4294967295ELNS1_3gpuE0ELNS1_3repE0EEENS1_30default_config_static_selectorELNS0_4arch9wavefront6targetE1EEEvT1_: ; @_ZN7rocprim17ROCPRIM_400000_NS6detail17trampoline_kernelINS0_14default_configENS1_25partition_config_selectorILNS1_17partition_subalgoE9EllbEEZZNS1_14partition_implILS5_9ELb0ES3_jPlS8_PNS0_10empty_typeENS0_5tupleIJS8_S9_EEENSB_IJS8_SA_EEENS0_18inequality_wrapperIZN2at6native12_GLOBAL__N_124unique_dim_cuda_templateIiEESt5tupleIJNSF_6TensorESK_SK_EERKSK_lbbbEUlllE0_EEPmJS9_EEE10hipError_tPvRmT3_T4_T5_T6_T7_T9_mT8_P12ihipStream_tbDpT10_ENKUlT_T0_E_clISt17integral_constantIbLb1EES19_IbLb0EEEEDaS15_S16_EUlS15_E_NS1_11comp_targetILNS1_3genE0ELNS1_11target_archE4294967295ELNS1_3gpuE0ELNS1_3repE0EEENS1_30default_config_static_selectorELNS0_4arch9wavefront6targetE1EEEvT1_
; %bb.0:
	.section	.rodata,"a",@progbits
	.p2align	6, 0x0
	.amdhsa_kernel _ZN7rocprim17ROCPRIM_400000_NS6detail17trampoline_kernelINS0_14default_configENS1_25partition_config_selectorILNS1_17partition_subalgoE9EllbEEZZNS1_14partition_implILS5_9ELb0ES3_jPlS8_PNS0_10empty_typeENS0_5tupleIJS8_S9_EEENSB_IJS8_SA_EEENS0_18inequality_wrapperIZN2at6native12_GLOBAL__N_124unique_dim_cuda_templateIiEESt5tupleIJNSF_6TensorESK_SK_EERKSK_lbbbEUlllE0_EEPmJS9_EEE10hipError_tPvRmT3_T4_T5_T6_T7_T9_mT8_P12ihipStream_tbDpT10_ENKUlT_T0_E_clISt17integral_constantIbLb1EES19_IbLb0EEEEDaS15_S16_EUlS15_E_NS1_11comp_targetILNS1_3genE0ELNS1_11target_archE4294967295ELNS1_3gpuE0ELNS1_3repE0EEENS1_30default_config_static_selectorELNS0_4arch9wavefront6targetE1EEEvT1_
		.amdhsa_group_segment_fixed_size 0
		.amdhsa_private_segment_fixed_size 0
		.amdhsa_kernarg_size 120
		.amdhsa_user_sgpr_count 2
		.amdhsa_user_sgpr_dispatch_ptr 0
		.amdhsa_user_sgpr_queue_ptr 0
		.amdhsa_user_sgpr_kernarg_segment_ptr 1
		.amdhsa_user_sgpr_dispatch_id 0
		.amdhsa_user_sgpr_kernarg_preload_length 0
		.amdhsa_user_sgpr_kernarg_preload_offset 0
		.amdhsa_user_sgpr_private_segment_size 0
		.amdhsa_uses_dynamic_stack 0
		.amdhsa_enable_private_segment 0
		.amdhsa_system_sgpr_workgroup_id_x 1
		.amdhsa_system_sgpr_workgroup_id_y 0
		.amdhsa_system_sgpr_workgroup_id_z 0
		.amdhsa_system_sgpr_workgroup_info 0
		.amdhsa_system_vgpr_workitem_id 0
		.amdhsa_next_free_vgpr 1
		.amdhsa_next_free_sgpr 0
		.amdhsa_accum_offset 4
		.amdhsa_reserve_vcc 0
		.amdhsa_float_round_mode_32 0
		.amdhsa_float_round_mode_16_64 0
		.amdhsa_float_denorm_mode_32 3
		.amdhsa_float_denorm_mode_16_64 3
		.amdhsa_dx10_clamp 1
		.amdhsa_ieee_mode 1
		.amdhsa_fp16_overflow 0
		.amdhsa_tg_split 0
		.amdhsa_exception_fp_ieee_invalid_op 0
		.amdhsa_exception_fp_denorm_src 0
		.amdhsa_exception_fp_ieee_div_zero 0
		.amdhsa_exception_fp_ieee_overflow 0
		.amdhsa_exception_fp_ieee_underflow 0
		.amdhsa_exception_fp_ieee_inexact 0
		.amdhsa_exception_int_div_zero 0
	.end_amdhsa_kernel
	.section	.text._ZN7rocprim17ROCPRIM_400000_NS6detail17trampoline_kernelINS0_14default_configENS1_25partition_config_selectorILNS1_17partition_subalgoE9EllbEEZZNS1_14partition_implILS5_9ELb0ES3_jPlS8_PNS0_10empty_typeENS0_5tupleIJS8_S9_EEENSB_IJS8_SA_EEENS0_18inequality_wrapperIZN2at6native12_GLOBAL__N_124unique_dim_cuda_templateIiEESt5tupleIJNSF_6TensorESK_SK_EERKSK_lbbbEUlllE0_EEPmJS9_EEE10hipError_tPvRmT3_T4_T5_T6_T7_T9_mT8_P12ihipStream_tbDpT10_ENKUlT_T0_E_clISt17integral_constantIbLb1EES19_IbLb0EEEEDaS15_S16_EUlS15_E_NS1_11comp_targetILNS1_3genE0ELNS1_11target_archE4294967295ELNS1_3gpuE0ELNS1_3repE0EEENS1_30default_config_static_selectorELNS0_4arch9wavefront6targetE1EEEvT1_,"axG",@progbits,_ZN7rocprim17ROCPRIM_400000_NS6detail17trampoline_kernelINS0_14default_configENS1_25partition_config_selectorILNS1_17partition_subalgoE9EllbEEZZNS1_14partition_implILS5_9ELb0ES3_jPlS8_PNS0_10empty_typeENS0_5tupleIJS8_S9_EEENSB_IJS8_SA_EEENS0_18inequality_wrapperIZN2at6native12_GLOBAL__N_124unique_dim_cuda_templateIiEESt5tupleIJNSF_6TensorESK_SK_EERKSK_lbbbEUlllE0_EEPmJS9_EEE10hipError_tPvRmT3_T4_T5_T6_T7_T9_mT8_P12ihipStream_tbDpT10_ENKUlT_T0_E_clISt17integral_constantIbLb1EES19_IbLb0EEEEDaS15_S16_EUlS15_E_NS1_11comp_targetILNS1_3genE0ELNS1_11target_archE4294967295ELNS1_3gpuE0ELNS1_3repE0EEENS1_30default_config_static_selectorELNS0_4arch9wavefront6targetE1EEEvT1_,comdat
.Lfunc_end492:
	.size	_ZN7rocprim17ROCPRIM_400000_NS6detail17trampoline_kernelINS0_14default_configENS1_25partition_config_selectorILNS1_17partition_subalgoE9EllbEEZZNS1_14partition_implILS5_9ELb0ES3_jPlS8_PNS0_10empty_typeENS0_5tupleIJS8_S9_EEENSB_IJS8_SA_EEENS0_18inequality_wrapperIZN2at6native12_GLOBAL__N_124unique_dim_cuda_templateIiEESt5tupleIJNSF_6TensorESK_SK_EERKSK_lbbbEUlllE0_EEPmJS9_EEE10hipError_tPvRmT3_T4_T5_T6_T7_T9_mT8_P12ihipStream_tbDpT10_ENKUlT_T0_E_clISt17integral_constantIbLb1EES19_IbLb0EEEEDaS15_S16_EUlS15_E_NS1_11comp_targetILNS1_3genE0ELNS1_11target_archE4294967295ELNS1_3gpuE0ELNS1_3repE0EEENS1_30default_config_static_selectorELNS0_4arch9wavefront6targetE1EEEvT1_, .Lfunc_end492-_ZN7rocprim17ROCPRIM_400000_NS6detail17trampoline_kernelINS0_14default_configENS1_25partition_config_selectorILNS1_17partition_subalgoE9EllbEEZZNS1_14partition_implILS5_9ELb0ES3_jPlS8_PNS0_10empty_typeENS0_5tupleIJS8_S9_EEENSB_IJS8_SA_EEENS0_18inequality_wrapperIZN2at6native12_GLOBAL__N_124unique_dim_cuda_templateIiEESt5tupleIJNSF_6TensorESK_SK_EERKSK_lbbbEUlllE0_EEPmJS9_EEE10hipError_tPvRmT3_T4_T5_T6_T7_T9_mT8_P12ihipStream_tbDpT10_ENKUlT_T0_E_clISt17integral_constantIbLb1EES19_IbLb0EEEEDaS15_S16_EUlS15_E_NS1_11comp_targetILNS1_3genE0ELNS1_11target_archE4294967295ELNS1_3gpuE0ELNS1_3repE0EEENS1_30default_config_static_selectorELNS0_4arch9wavefront6targetE1EEEvT1_
                                        ; -- End function
	.section	.AMDGPU.csdata,"",@progbits
; Kernel info:
; codeLenInByte = 0
; NumSgprs: 6
; NumVgprs: 0
; NumAgprs: 0
; TotalNumVgprs: 0
; ScratchSize: 0
; MemoryBound: 0
; FloatMode: 240
; IeeeMode: 1
; LDSByteSize: 0 bytes/workgroup (compile time only)
; SGPRBlocks: 0
; VGPRBlocks: 0
; NumSGPRsForWavesPerEU: 6
; NumVGPRsForWavesPerEU: 1
; AccumOffset: 4
; Occupancy: 8
; WaveLimiterHint : 0
; COMPUTE_PGM_RSRC2:SCRATCH_EN: 0
; COMPUTE_PGM_RSRC2:USER_SGPR: 2
; COMPUTE_PGM_RSRC2:TRAP_HANDLER: 0
; COMPUTE_PGM_RSRC2:TGID_X_EN: 1
; COMPUTE_PGM_RSRC2:TGID_Y_EN: 0
; COMPUTE_PGM_RSRC2:TGID_Z_EN: 0
; COMPUTE_PGM_RSRC2:TIDIG_COMP_CNT: 0
; COMPUTE_PGM_RSRC3_GFX90A:ACCUM_OFFSET: 0
; COMPUTE_PGM_RSRC3_GFX90A:TG_SPLIT: 0
	.section	.text._ZN7rocprim17ROCPRIM_400000_NS6detail17trampoline_kernelINS0_14default_configENS1_25partition_config_selectorILNS1_17partition_subalgoE9EllbEEZZNS1_14partition_implILS5_9ELb0ES3_jPlS8_PNS0_10empty_typeENS0_5tupleIJS8_S9_EEENSB_IJS8_SA_EEENS0_18inequality_wrapperIZN2at6native12_GLOBAL__N_124unique_dim_cuda_templateIiEESt5tupleIJNSF_6TensorESK_SK_EERKSK_lbbbEUlllE0_EEPmJS9_EEE10hipError_tPvRmT3_T4_T5_T6_T7_T9_mT8_P12ihipStream_tbDpT10_ENKUlT_T0_E_clISt17integral_constantIbLb1EES19_IbLb0EEEEDaS15_S16_EUlS15_E_NS1_11comp_targetILNS1_3genE5ELNS1_11target_archE942ELNS1_3gpuE9ELNS1_3repE0EEENS1_30default_config_static_selectorELNS0_4arch9wavefront6targetE1EEEvT1_,"axG",@progbits,_ZN7rocprim17ROCPRIM_400000_NS6detail17trampoline_kernelINS0_14default_configENS1_25partition_config_selectorILNS1_17partition_subalgoE9EllbEEZZNS1_14partition_implILS5_9ELb0ES3_jPlS8_PNS0_10empty_typeENS0_5tupleIJS8_S9_EEENSB_IJS8_SA_EEENS0_18inequality_wrapperIZN2at6native12_GLOBAL__N_124unique_dim_cuda_templateIiEESt5tupleIJNSF_6TensorESK_SK_EERKSK_lbbbEUlllE0_EEPmJS9_EEE10hipError_tPvRmT3_T4_T5_T6_T7_T9_mT8_P12ihipStream_tbDpT10_ENKUlT_T0_E_clISt17integral_constantIbLb1EES19_IbLb0EEEEDaS15_S16_EUlS15_E_NS1_11comp_targetILNS1_3genE5ELNS1_11target_archE942ELNS1_3gpuE9ELNS1_3repE0EEENS1_30default_config_static_selectorELNS0_4arch9wavefront6targetE1EEEvT1_,comdat
	.globl	_ZN7rocprim17ROCPRIM_400000_NS6detail17trampoline_kernelINS0_14default_configENS1_25partition_config_selectorILNS1_17partition_subalgoE9EllbEEZZNS1_14partition_implILS5_9ELb0ES3_jPlS8_PNS0_10empty_typeENS0_5tupleIJS8_S9_EEENSB_IJS8_SA_EEENS0_18inequality_wrapperIZN2at6native12_GLOBAL__N_124unique_dim_cuda_templateIiEESt5tupleIJNSF_6TensorESK_SK_EERKSK_lbbbEUlllE0_EEPmJS9_EEE10hipError_tPvRmT3_T4_T5_T6_T7_T9_mT8_P12ihipStream_tbDpT10_ENKUlT_T0_E_clISt17integral_constantIbLb1EES19_IbLb0EEEEDaS15_S16_EUlS15_E_NS1_11comp_targetILNS1_3genE5ELNS1_11target_archE942ELNS1_3gpuE9ELNS1_3repE0EEENS1_30default_config_static_selectorELNS0_4arch9wavefront6targetE1EEEvT1_ ; -- Begin function _ZN7rocprim17ROCPRIM_400000_NS6detail17trampoline_kernelINS0_14default_configENS1_25partition_config_selectorILNS1_17partition_subalgoE9EllbEEZZNS1_14partition_implILS5_9ELb0ES3_jPlS8_PNS0_10empty_typeENS0_5tupleIJS8_S9_EEENSB_IJS8_SA_EEENS0_18inequality_wrapperIZN2at6native12_GLOBAL__N_124unique_dim_cuda_templateIiEESt5tupleIJNSF_6TensorESK_SK_EERKSK_lbbbEUlllE0_EEPmJS9_EEE10hipError_tPvRmT3_T4_T5_T6_T7_T9_mT8_P12ihipStream_tbDpT10_ENKUlT_T0_E_clISt17integral_constantIbLb1EES19_IbLb0EEEEDaS15_S16_EUlS15_E_NS1_11comp_targetILNS1_3genE5ELNS1_11target_archE942ELNS1_3gpuE9ELNS1_3repE0EEENS1_30default_config_static_selectorELNS0_4arch9wavefront6targetE1EEEvT1_
	.p2align	8
	.type	_ZN7rocprim17ROCPRIM_400000_NS6detail17trampoline_kernelINS0_14default_configENS1_25partition_config_selectorILNS1_17partition_subalgoE9EllbEEZZNS1_14partition_implILS5_9ELb0ES3_jPlS8_PNS0_10empty_typeENS0_5tupleIJS8_S9_EEENSB_IJS8_SA_EEENS0_18inequality_wrapperIZN2at6native12_GLOBAL__N_124unique_dim_cuda_templateIiEESt5tupleIJNSF_6TensorESK_SK_EERKSK_lbbbEUlllE0_EEPmJS9_EEE10hipError_tPvRmT3_T4_T5_T6_T7_T9_mT8_P12ihipStream_tbDpT10_ENKUlT_T0_E_clISt17integral_constantIbLb1EES19_IbLb0EEEEDaS15_S16_EUlS15_E_NS1_11comp_targetILNS1_3genE5ELNS1_11target_archE942ELNS1_3gpuE9ELNS1_3repE0EEENS1_30default_config_static_selectorELNS0_4arch9wavefront6targetE1EEEvT1_,@function
_ZN7rocprim17ROCPRIM_400000_NS6detail17trampoline_kernelINS0_14default_configENS1_25partition_config_selectorILNS1_17partition_subalgoE9EllbEEZZNS1_14partition_implILS5_9ELb0ES3_jPlS8_PNS0_10empty_typeENS0_5tupleIJS8_S9_EEENSB_IJS8_SA_EEENS0_18inequality_wrapperIZN2at6native12_GLOBAL__N_124unique_dim_cuda_templateIiEESt5tupleIJNSF_6TensorESK_SK_EERKSK_lbbbEUlllE0_EEPmJS9_EEE10hipError_tPvRmT3_T4_T5_T6_T7_T9_mT8_P12ihipStream_tbDpT10_ENKUlT_T0_E_clISt17integral_constantIbLb1EES19_IbLb0EEEEDaS15_S16_EUlS15_E_NS1_11comp_targetILNS1_3genE5ELNS1_11target_archE942ELNS1_3gpuE9ELNS1_3repE0EEENS1_30default_config_static_selectorELNS0_4arch9wavefront6targetE1EEEvT1_: ; @_ZN7rocprim17ROCPRIM_400000_NS6detail17trampoline_kernelINS0_14default_configENS1_25partition_config_selectorILNS1_17partition_subalgoE9EllbEEZZNS1_14partition_implILS5_9ELb0ES3_jPlS8_PNS0_10empty_typeENS0_5tupleIJS8_S9_EEENSB_IJS8_SA_EEENS0_18inequality_wrapperIZN2at6native12_GLOBAL__N_124unique_dim_cuda_templateIiEESt5tupleIJNSF_6TensorESK_SK_EERKSK_lbbbEUlllE0_EEPmJS9_EEE10hipError_tPvRmT3_T4_T5_T6_T7_T9_mT8_P12ihipStream_tbDpT10_ENKUlT_T0_E_clISt17integral_constantIbLb1EES19_IbLb0EEEEDaS15_S16_EUlS15_E_NS1_11comp_targetILNS1_3genE5ELNS1_11target_archE942ELNS1_3gpuE9ELNS1_3repE0EEENS1_30default_config_static_selectorELNS0_4arch9wavefront6targetE1EEEvT1_
; %bb.0:
	s_load_dwordx8 s[20:27], s[0:1], 0x40
	s_load_dwordx4 s[4:7], s[0:1], 0x8
	s_load_dwordx2 s[10:11], s[0:1], 0x18
	s_load_dword s3, s[0:1], 0x70
	s_mul_i32 s12, s2, 0xe00
	s_waitcnt lgkmcnt(0)
	v_mov_b32_e32 v2, s24
	s_lshl_b64 s[14:15], s[6:7], 3
	s_add_u32 s18, s4, s14
	s_mul_i32 s4, s3, 0xe00
	s_addc_u32 s19, s5, s15
	s_add_i32 s8, s3, -1
	s_add_i32 s3, s4, s6
	s_sub_i32 s3, s24, s3
	s_addk_i32 s3, 0xe00
	s_add_u32 s4, s6, s4
	s_addc_u32 s5, s7, 0
	v_mov_b32_e32 v3, s25
	s_cmp_eq_u32 s2, s8
	s_load_dwordx2 s[22:23], s[22:23], 0x0
	v_cmp_ge_u64_e32 vcc, s[4:5], v[2:3]
	s_cselect_b64 s[24:25], -1, 0
	s_mov_b32 s13, 0
	s_and_b64 s[8:9], s[24:25], vcc
	s_xor_b64 s[34:35], s[8:9], -1
	s_lshl_b64 s[16:17], s[12:13], 3
	s_add_u32 s12, s18, s16
	s_mov_b64 s[4:5], -1
	s_addc_u32 s13, s19, s17
	s_and_b64 vcc, exec, s[34:35]
	s_cbranch_vccz .LBB493_2
; %bb.1:
	v_lshlrev_b32_e32 v2, 3, v0
	v_mov_b32_e32 v3, 0
	v_lshl_add_u64 v[4:5], s[12:13], 0, v[2:3]
	v_add_co_u32_e32 v8, vcc, 0x1000, v4
	global_load_dwordx2 v[6:7], v2, s[12:13]
	s_nop 0
	v_addc_co_u32_e32 v9, vcc, 0, v5, vcc
	v_add_co_u32_e32 v10, vcc, 0x2000, v4
	s_mov_b64 s[4:5], 0
	s_nop 0
	v_addc_co_u32_e32 v11, vcc, 0, v5, vcc
	v_add_co_u32_e32 v12, vcc, 0x3000, v4
	s_nop 1
	v_addc_co_u32_e32 v13, vcc, 0, v5, vcc
	v_add_co_u32_e32 v14, vcc, 0x4000, v4
	s_nop 1
	v_addc_co_u32_e32 v15, vcc, 0, v5, vcc
	global_load_dwordx2 v[16:17], v[8:9], off
	global_load_dwordx2 v[18:19], v[10:11], off
	;; [unrolled: 1-line block ×4, first 2 shown]
	v_add_co_u32_e32 v8, vcc, 0x5000, v4
	s_nop 1
	v_addc_co_u32_e32 v9, vcc, 0, v5, vcc
	v_add_co_u32_e32 v4, vcc, 0x6000, v4
	global_load_dwordx2 v[8:9], v[8:9], off
	s_nop 0
	v_addc_co_u32_e32 v5, vcc, 0, v5, vcc
	global_load_dwordx2 v[4:5], v[4:5], off
	s_waitcnt vmcnt(5)
	ds_write2st64_b64 v2, v[6:7], v[16:17] offset1:8
	s_waitcnt vmcnt(3)
	ds_write2st64_b64 v2, v[18:19], v[20:21] offset0:16 offset1:24
	s_waitcnt vmcnt(1)
	ds_write2st64_b64 v2, v[22:23], v[8:9] offset0:32 offset1:40
	s_waitcnt vmcnt(0)
	ds_write_b64 v2, v[4:5] offset:24576
	s_waitcnt lgkmcnt(0)
	s_barrier
.LBB493_2:
	s_load_dwordx4 s[28:31], s[0:1], 0x60
	s_andn2_b64 vcc, exec, s[4:5]
	v_cmp_gt_u32_e64 s[4:5], s3, v0
	s_cbranch_vccnz .LBB493_18
; %bb.3:
                                        ; implicit-def: $vgpr2_vgpr3_vgpr4_vgpr5_vgpr6_vgpr7_vgpr8_vgpr9_vgpr10_vgpr11_vgpr12_vgpr13_vgpr14_vgpr15_vgpr16_vgpr17
	s_and_saveexec_b64 s[18:19], s[4:5]
	s_cbranch_execz .LBB493_5
; %bb.4:
	v_lshlrev_b32_e32 v1, 3, v0
	global_load_dwordx2 v[2:3], v1, s[12:13]
.LBB493_5:
	s_or_b64 exec, exec, s[18:19]
	v_or_b32_e32 v1, 0x200, v0
	v_cmp_gt_u32_e32 vcc, s3, v1
	s_and_saveexec_b64 s[4:5], vcc
	s_cbranch_execz .LBB493_7
; %bb.6:
	v_lshlrev_b32_e32 v1, 3, v1
	global_load_dwordx2 v[4:5], v1, s[12:13]
.LBB493_7:
	s_or_b64 exec, exec, s[4:5]
	v_or_b32_e32 v1, 0x400, v0
	v_cmp_gt_u32_e32 vcc, s3, v1
	s_and_saveexec_b64 s[4:5], vcc
	s_cbranch_execz .LBB493_9
; %bb.8:
	v_lshlrev_b32_e32 v1, 3, v1
	global_load_dwordx2 v[6:7], v1, s[12:13]
.LBB493_9:
	s_or_b64 exec, exec, s[4:5]
	v_or_b32_e32 v1, 0x600, v0
	v_cmp_gt_u32_e32 vcc, s3, v1
	s_and_saveexec_b64 s[4:5], vcc
	s_cbranch_execz .LBB493_11
; %bb.10:
	v_lshlrev_b32_e32 v1, 3, v1
	global_load_dwordx2 v[8:9], v1, s[12:13]
.LBB493_11:
	s_or_b64 exec, exec, s[4:5]
	v_or_b32_e32 v1, 0x800, v0
	v_cmp_gt_u32_e32 vcc, s3, v1
	s_and_saveexec_b64 s[4:5], vcc
	s_cbranch_execz .LBB493_13
; %bb.12:
	v_lshlrev_b32_e32 v1, 3, v1
	global_load_dwordx2 v[10:11], v1, s[12:13]
.LBB493_13:
	s_or_b64 exec, exec, s[4:5]
	v_or_b32_e32 v1, 0xa00, v0
	v_cmp_gt_u32_e32 vcc, s3, v1
	s_and_saveexec_b64 s[4:5], vcc
	s_cbranch_execz .LBB493_15
; %bb.14:
	v_lshlrev_b32_e32 v1, 3, v1
	global_load_dwordx2 v[12:13], v1, s[12:13]
.LBB493_15:
	s_or_b64 exec, exec, s[4:5]
	v_or_b32_e32 v1, 0xc00, v0
	v_cmp_gt_u32_e32 vcc, s3, v1
	s_and_saveexec_b64 s[4:5], vcc
	s_cbranch_execz .LBB493_17
; %bb.16:
	v_lshlrev_b32_e32 v1, 3, v1
	global_load_dwordx2 v[14:15], v1, s[12:13]
.LBB493_17:
	s_or_b64 exec, exec, s[4:5]
	v_lshlrev_b32_e32 v1, 3, v0
	s_waitcnt vmcnt(0)
	ds_write2st64_b64 v1, v[2:3], v[4:5] offset1:8
	ds_write2st64_b64 v1, v[6:7], v[8:9] offset0:16 offset1:24
	ds_write2st64_b64 v1, v[10:11], v[12:13] offset0:32 offset1:40
	ds_write_b64 v1, v[14:15] offset:24576
	s_waitcnt lgkmcnt(0)
	s_barrier
.LBB493_18:
	v_mul_u32_u24_e32 v1, 7, v0
	v_lshlrev_b32_e32 v44, 3, v1
	s_waitcnt lgkmcnt(0)
	ds_read2_b64 v[22:25], v44 offset1:1
	ds_read2_b64 v[18:21], v44 offset0:2 offset1:3
	ds_read2_b64 v[14:17], v44 offset0:4 offset1:5
	ds_read_b64 v[28:29], v44 offset:48
	s_add_u32 s4, s10, s14
	s_addc_u32 s5, s11, s15
	s_add_u32 s4, s4, s16
	s_addc_u32 s5, s5, s17
	s_mov_b64 s[10:11], -1
	s_and_b64 vcc, exec, s[34:35]
	s_waitcnt lgkmcnt(0)
	s_barrier
	s_cbranch_vccz .LBB493_20
; %bb.19:
	v_lshlrev_b32_e32 v2, 3, v0
	v_mov_b32_e32 v3, 0
	v_lshl_add_u64 v[4:5], s[4:5], 0, v[2:3]
	v_add_co_u32_e32 v8, vcc, 0x1000, v4
	global_load_dwordx2 v[6:7], v2, s[4:5]
	s_nop 0
	v_addc_co_u32_e32 v9, vcc, 0, v5, vcc
	v_add_co_u32_e32 v10, vcc, 0x2000, v4
	s_mov_b64 s[10:11], 0
	s_nop 0
	v_addc_co_u32_e32 v11, vcc, 0, v5, vcc
	v_add_co_u32_e32 v12, vcc, 0x3000, v4
	s_nop 1
	v_addc_co_u32_e32 v13, vcc, 0, v5, vcc
	v_add_co_u32_e32 v26, vcc, 0x4000, v4
	s_nop 1
	v_addc_co_u32_e32 v27, vcc, 0, v5, vcc
	global_load_dwordx2 v[30:31], v[8:9], off
	global_load_dwordx2 v[32:33], v[10:11], off
	;; [unrolled: 1-line block ×4, first 2 shown]
	v_add_co_u32_e32 v8, vcc, 0x5000, v4
	s_nop 1
	v_addc_co_u32_e32 v9, vcc, 0, v5, vcc
	v_add_co_u32_e32 v4, vcc, 0x6000, v4
	global_load_dwordx2 v[8:9], v[8:9], off
	s_nop 0
	v_addc_co_u32_e32 v5, vcc, 0, v5, vcc
	global_load_dwordx2 v[4:5], v[4:5], off
	s_waitcnt vmcnt(5)
	ds_write2st64_b64 v2, v[6:7], v[30:31] offset1:8
	s_waitcnt vmcnt(3)
	ds_write2st64_b64 v2, v[32:33], v[34:35] offset0:16 offset1:24
	s_waitcnt vmcnt(1)
	ds_write2st64_b64 v2, v[36:37], v[8:9] offset0:32 offset1:40
	s_waitcnt vmcnt(0)
	ds_write_b64 v2, v[4:5] offset:24576
	s_waitcnt lgkmcnt(0)
	s_barrier
.LBB493_20:
	s_andn2_b64 vcc, exec, s[10:11]
	s_cbranch_vccnz .LBB493_36
; %bb.21:
	v_cmp_gt_u32_e32 vcc, s3, v0
                                        ; implicit-def: $vgpr2_vgpr3
	s_and_saveexec_b64 s[10:11], vcc
	s_cbranch_execz .LBB493_23
; %bb.22:
	v_lshlrev_b32_e32 v2, 3, v0
	global_load_dwordx2 v[2:3], v2, s[4:5]
.LBB493_23:
	s_or_b64 exec, exec, s[10:11]
	v_or_b32_e32 v6, 0x200, v0
	v_cmp_gt_u32_e32 vcc, s3, v6
                                        ; implicit-def: $vgpr4_vgpr5
	s_and_saveexec_b64 s[10:11], vcc
	s_cbranch_execz .LBB493_25
; %bb.24:
	v_lshlrev_b32_e32 v4, 3, v6
	global_load_dwordx2 v[4:5], v4, s[4:5]
.LBB493_25:
	s_or_b64 exec, exec, s[10:11]
	v_or_b32_e32 v8, 0x400, v0
	v_cmp_gt_u32_e32 vcc, s3, v8
                                        ; implicit-def: $vgpr6_vgpr7
	s_and_saveexec_b64 s[10:11], vcc
	s_cbranch_execz .LBB493_27
; %bb.26:
	v_lshlrev_b32_e32 v6, 3, v8
	global_load_dwordx2 v[6:7], v6, s[4:5]
.LBB493_27:
	s_or_b64 exec, exec, s[10:11]
	v_or_b32_e32 v10, 0x600, v0
	v_cmp_gt_u32_e32 vcc, s3, v10
                                        ; implicit-def: $vgpr8_vgpr9
	s_and_saveexec_b64 s[10:11], vcc
	s_cbranch_execz .LBB493_29
; %bb.28:
	v_lshlrev_b32_e32 v8, 3, v10
	global_load_dwordx2 v[8:9], v8, s[4:5]
.LBB493_29:
	s_or_b64 exec, exec, s[10:11]
	v_or_b32_e32 v12, 0x800, v0
	v_cmp_gt_u32_e32 vcc, s3, v12
                                        ; implicit-def: $vgpr10_vgpr11
	s_and_saveexec_b64 s[10:11], vcc
	s_cbranch_execz .LBB493_31
; %bb.30:
	v_lshlrev_b32_e32 v10, 3, v12
	global_load_dwordx2 v[10:11], v10, s[4:5]
.LBB493_31:
	s_or_b64 exec, exec, s[10:11]
	v_or_b32_e32 v26, 0xa00, v0
	v_cmp_gt_u32_e32 vcc, s3, v26
                                        ; implicit-def: $vgpr12_vgpr13
	s_and_saveexec_b64 s[10:11], vcc
	s_cbranch_execz .LBB493_33
; %bb.32:
	v_lshlrev_b32_e32 v12, 3, v26
	global_load_dwordx2 v[12:13], v12, s[4:5]
.LBB493_33:
	s_or_b64 exec, exec, s[10:11]
	v_or_b32_e32 v30, 0xc00, v0
	v_cmp_gt_u32_e32 vcc, s3, v30
                                        ; implicit-def: $vgpr26_vgpr27
	s_and_saveexec_b64 s[10:11], vcc
	s_cbranch_execz .LBB493_35
; %bb.34:
	v_lshlrev_b32_e32 v26, 3, v30
	global_load_dwordx2 v[26:27], v26, s[4:5]
.LBB493_35:
	s_or_b64 exec, exec, s[10:11]
	s_movk_i32 s4, 0xffd0
	v_mad_i32_i24 v30, v0, s4, v44
	s_waitcnt vmcnt(0)
	ds_write2st64_b64 v30, v[2:3], v[4:5] offset1:8
	ds_write2st64_b64 v30, v[6:7], v[8:9] offset0:16 offset1:24
	ds_write2st64_b64 v30, v[10:11], v[12:13] offset0:32 offset1:40
	ds_write_b64 v30, v[26:27] offset:24576
	s_waitcnt lgkmcnt(0)
	s_barrier
.LBB493_36:
	ds_read2_b64 v[10:13], v44 offset1:1
	ds_read2_b64 v[6:9], v44 offset0:2 offset1:3
	ds_read2_b64 v[2:5], v44 offset0:4 offset1:5
	ds_read_b64 v[26:27], v44 offset:48
	s_cmp_lg_u32 s2, 0
	s_cselect_b64 s[16:17], -1, 0
	s_cmp_lg_u64 s[6:7], 0
	s_cselect_b64 s[4:5], -1, 0
	s_or_b64 s[4:5], s[16:17], s[4:5]
	v_add_u32_e32 v41, 1, v1
	v_add_u32_e32 v38, 2, v1
	;; [unrolled: 1-line block ×6, first 2 shown]
	s_mov_b64 s[10:11], 0
	s_and_b64 vcc, exec, s[4:5]
	v_cmp_gt_i64_e64 s[4:5], s[26:27], 0
	s_waitcnt lgkmcnt(0)
	s_barrier
	s_cbranch_vccz .LBB493_45
; %bb.37:
	s_add_u32 s6, s12, -8
	s_addc_u32 s7, s13, -1
	s_load_dwordx2 s[6:7], s[6:7], 0x0
	v_cndmask_b32_e64 v30, 0, 1, s[4:5]
	v_lshlrev_b32_e32 v45, 3, v0
	s_and_b64 vcc, exec, s[34:35]
	v_cmp_ne_u32_e64 s[4:5], 1, v30
	ds_write_b64 v45, v[28:29]
	s_cbranch_vccz .LBB493_47
; %bb.38:
	v_mul_lo_u32 v32, v17, s26
	v_mul_lo_u32 v33, v16, s27
	v_mad_u64_u32 v[30:31], s[12:13], v16, s26, 0
	v_add3_u32 v31, v31, v33, v32
	s_and_b64 vcc, exec, s[4:5]
	v_lshl_add_u64 v[30:31], v[30:31], 2, s[28:29]
	s_cbranch_vccnz .LBB493_50
; %bb.39:
	v_mul_lo_u32 v34, v29, s26
	v_mul_lo_u32 v35, v28, s27
	v_mad_u64_u32 v[32:33], s[10:11], v28, s26, 0
	v_add3_u32 v33, v33, v35, v34
	v_lshl_add_u64 v[32:33], v[32:33], 2, s[28:29]
	global_load_dword v34, v[30:31], off
	global_load_dword v35, v[32:33], off
	s_mov_b64 s[10:11], -1
	s_waitcnt vmcnt(0)
	v_cmp_eq_u32_e32 vcc, v34, v35
	s_and_saveexec_b64 s[12:13], vcc
	s_cbranch_execz .LBB493_49
; %bb.40:
	s_add_u32 s10, s26, -1
	v_lshl_add_u64 v[32:33], v[32:33], 0, 4
	v_lshl_add_u64 v[34:35], v[30:31], 0, 4
	s_addc_u32 s11, s27, -1
	s_mov_b64 s[14:15], 0
	s_mov_b64 s[36:37], 0
                                        ; implicit-def: $sgpr18_sgpr19
	s_branch .LBB493_43
.LBB493_41:                             ;   in Loop: Header=BB493_43 Depth=1
	global_load_dword v36, v[34:35], off
	global_load_dword v37, v[32:33], off
	s_add_u32 s36, s36, 1
	s_addc_u32 s37, s37, 0
	s_andn2_b64 s[18:19], s[18:19], exec
	v_lshl_add_u64 v[32:33], v[32:33], 0, 4
	v_lshl_add_u64 v[34:35], v[34:35], 0, 4
	s_waitcnt vmcnt(0)
	v_cmp_ne_u32_e32 vcc, v36, v37
	s_and_b64 s[38:39], vcc, exec
	s_or_b64 s[18:19], s[18:19], s[38:39]
.LBB493_42:                             ;   in Loop: Header=BB493_43 Depth=1
	s_and_b64 s[38:39], exec, s[18:19]
	s_or_b64 s[14:15], s[38:39], s[14:15]
	v_mov_b64_e32 v[36:37], s[36:37]
	s_andn2_b64 exec, exec, s[14:15]
	s_cbranch_execz .LBB493_48
.LBB493_43:                             ; =>This Inner Loop Header: Depth=1
	s_or_b64 s[18:19], s[18:19], exec
	s_cmp_eq_u64 s[10:11], s[36:37]
	s_cbranch_scc0 .LBB493_41
; %bb.44:                               ;   in Loop: Header=BB493_43 Depth=1
                                        ; implicit-def: $vgpr32_vgpr33
                                        ; implicit-def: $vgpr34_vgpr35
	s_mov_b64 s[36:37], s[26:27]
	s_branch .LBB493_42
.LBB493_45:
                                        ; implicit-def: $sgpr18_sgpr19
                                        ; implicit-def: $vgpr48
                                        ; implicit-def: $vgpr47
                                        ; implicit-def: $vgpr46
                                        ; implicit-def: $vgpr34
	s_branch .LBB493_188
.LBB493_46:
                                        ; implicit-def: $vgpr30_vgpr31
	s_branch .LBB493_336
.LBB493_47:
                                        ; implicit-def: $sgpr18_sgpr19
                                        ; implicit-def: $vgpr48
                                        ; implicit-def: $vgpr47
                                        ; implicit-def: $vgpr46
                                        ; implicit-def: $vgpr34
	s_cbranch_execnz .LBB493_107
	s_branch .LBB493_187
.LBB493_48:
	s_or_b64 exec, exec, s[14:15]
	v_cmp_gt_i64_e32 vcc, s[26:27], v[36:37]
	s_orn2_b64 s[10:11], vcc, exec
.LBB493_49:
	s_or_b64 exec, exec, s[12:13]
.LBB493_50:
	v_mul_lo_u32 v34, v15, s26
	v_mul_lo_u32 v35, v14, s27
	v_mad_u64_u32 v[32:33], s[12:13], v14, s26, 0
	v_add3_u32 v33, v33, v35, v34
	s_mov_b64 s[12:13], 0
	s_and_b64 vcc, exec, s[4:5]
	v_lshl_add_u64 v[32:33], v[32:33], 2, s[28:29]
	s_mov_b64 s[14:15], 0
	s_cbranch_vccnz .LBB493_59
; %bb.51:
	global_load_dword v34, v[32:33], off
	global_load_dword v35, v[30:31], off
	s_mov_b64 s[14:15], -1
	s_waitcnt vmcnt(0)
	v_cmp_eq_u32_e32 vcc, v34, v35
	s_and_saveexec_b64 s[18:19], vcc
	s_cbranch_execz .LBB493_58
; %bb.52:
	s_add_u32 s14, s26, -1
	v_lshl_add_u64 v[30:31], v[30:31], 0, 4
	v_lshl_add_u64 v[34:35], v[32:33], 0, 4
	s_addc_u32 s15, s27, -1
	s_mov_b64 s[36:37], 0
	s_mov_b64 s[40:41], 0
                                        ; implicit-def: $sgpr38_sgpr39
	s_branch .LBB493_55
.LBB493_53:                             ;   in Loop: Header=BB493_55 Depth=1
	global_load_dword v36, v[34:35], off
	global_load_dword v37, v[30:31], off
	s_add_u32 s40, s40, 1
	s_addc_u32 s41, s41, 0
	s_andn2_b64 s[38:39], s[38:39], exec
	v_lshl_add_u64 v[30:31], v[30:31], 0, 4
	v_lshl_add_u64 v[34:35], v[34:35], 0, 4
	s_waitcnt vmcnt(0)
	v_cmp_ne_u32_e32 vcc, v36, v37
	s_and_b64 s[42:43], vcc, exec
	s_or_b64 s[38:39], s[38:39], s[42:43]
.LBB493_54:                             ;   in Loop: Header=BB493_55 Depth=1
	s_and_b64 s[42:43], exec, s[38:39]
	s_or_b64 s[36:37], s[42:43], s[36:37]
	v_mov_b64_e32 v[36:37], s[40:41]
	s_andn2_b64 exec, exec, s[36:37]
	s_cbranch_execz .LBB493_57
.LBB493_55:                             ; =>This Inner Loop Header: Depth=1
	s_or_b64 s[38:39], s[38:39], exec
	s_cmp_eq_u64 s[14:15], s[40:41]
	s_cbranch_scc0 .LBB493_53
; %bb.56:                               ;   in Loop: Header=BB493_55 Depth=1
                                        ; implicit-def: $vgpr30_vgpr31
                                        ; implicit-def: $vgpr34_vgpr35
	s_mov_b64 s[40:41], s[26:27]
	s_branch .LBB493_54
.LBB493_57:
	s_or_b64 exec, exec, s[36:37]
	v_cmp_gt_i64_e32 vcc, s[26:27], v[36:37]
	s_orn2_b64 s[14:15], vcc, exec
.LBB493_58:
	s_or_b64 exec, exec, s[18:19]
.LBB493_59:
	v_mul_lo_u32 v34, v21, s26
	v_mul_lo_u32 v35, v20, s27
	v_mad_u64_u32 v[30:31], s[18:19], v20, s26, 0
	v_add3_u32 v31, v31, v35, v34
	s_and_b64 vcc, exec, s[4:5]
	v_lshl_add_u64 v[30:31], v[30:31], 2, s[28:29]
	s_cbranch_vccnz .LBB493_68
; %bb.60:
	global_load_dword v34, v[30:31], off
	global_load_dword v35, v[32:33], off
	s_mov_b64 s[12:13], -1
	s_waitcnt vmcnt(0)
	v_cmp_eq_u32_e32 vcc, v34, v35
	s_and_saveexec_b64 s[18:19], vcc
	s_cbranch_execz .LBB493_67
; %bb.61:
	s_add_u32 s12, s26, -1
	v_lshl_add_u64 v[32:33], v[32:33], 0, 4
	v_lshl_add_u64 v[34:35], v[30:31], 0, 4
	s_addc_u32 s13, s27, -1
	s_mov_b64 s[36:37], 0
	s_mov_b64 s[40:41], 0
                                        ; implicit-def: $sgpr38_sgpr39
	s_branch .LBB493_64
.LBB493_62:                             ;   in Loop: Header=BB493_64 Depth=1
	global_load_dword v36, v[34:35], off
	global_load_dword v37, v[32:33], off
	s_add_u32 s40, s40, 1
	s_addc_u32 s41, s41, 0
	s_andn2_b64 s[38:39], s[38:39], exec
	v_lshl_add_u64 v[32:33], v[32:33], 0, 4
	v_lshl_add_u64 v[34:35], v[34:35], 0, 4
	s_waitcnt vmcnt(0)
	v_cmp_ne_u32_e32 vcc, v36, v37
	s_and_b64 s[42:43], vcc, exec
	s_or_b64 s[38:39], s[38:39], s[42:43]
.LBB493_63:                             ;   in Loop: Header=BB493_64 Depth=1
	s_and_b64 s[42:43], exec, s[38:39]
	s_or_b64 s[36:37], s[42:43], s[36:37]
	v_mov_b64_e32 v[36:37], s[40:41]
	s_andn2_b64 exec, exec, s[36:37]
	s_cbranch_execz .LBB493_66
.LBB493_64:                             ; =>This Inner Loop Header: Depth=1
	s_or_b64 s[38:39], s[38:39], exec
	s_cmp_eq_u64 s[12:13], s[40:41]
	s_cbranch_scc0 .LBB493_62
; %bb.65:                               ;   in Loop: Header=BB493_64 Depth=1
                                        ; implicit-def: $vgpr32_vgpr33
                                        ; implicit-def: $vgpr34_vgpr35
	s_mov_b64 s[40:41], s[26:27]
	s_branch .LBB493_63
.LBB493_66:
	s_or_b64 exec, exec, s[36:37]
	v_cmp_gt_i64_e32 vcc, s[26:27], v[36:37]
	s_orn2_b64 s[12:13], vcc, exec
.LBB493_67:
	s_or_b64 exec, exec, s[18:19]
.LBB493_68:
	v_mul_lo_u32 v34, v19, s26
	v_mul_lo_u32 v35, v18, s27
	v_mad_u64_u32 v[32:33], s[18:19], v18, s26, 0
	v_add3_u32 v33, v33, v35, v34
	s_mov_b64 s[18:19], 0
	s_and_b64 vcc, exec, s[4:5]
	v_lshl_add_u64 v[34:35], v[32:33], 2, s[28:29]
	s_mov_b64 s[36:37], 0
	s_cbranch_vccnz .LBB493_77
; %bb.69:
	global_load_dword v32, v[34:35], off
	global_load_dword v33, v[30:31], off
	s_mov_b64 s[36:37], -1
	s_waitcnt vmcnt(0)
	v_cmp_eq_u32_e32 vcc, v32, v33
	s_and_saveexec_b64 s[38:39], vcc
	s_cbranch_execz .LBB493_76
; %bb.70:
	s_add_u32 s36, s26, -1
	v_lshl_add_u64 v[30:31], v[30:31], 0, 4
	v_lshl_add_u64 v[32:33], v[34:35], 0, 4
	s_addc_u32 s37, s27, -1
	s_mov_b64 s[40:41], 0
	s_mov_b64 s[44:45], 0
                                        ; implicit-def: $sgpr42_sgpr43
	s_branch .LBB493_73
.LBB493_71:                             ;   in Loop: Header=BB493_73 Depth=1
	global_load_dword v36, v[32:33], off
	global_load_dword v37, v[30:31], off
	s_add_u32 s44, s44, 1
	s_addc_u32 s45, s45, 0
	s_andn2_b64 s[42:43], s[42:43], exec
	v_lshl_add_u64 v[30:31], v[30:31], 0, 4
	v_lshl_add_u64 v[32:33], v[32:33], 0, 4
	s_waitcnt vmcnt(0)
	v_cmp_ne_u32_e32 vcc, v36, v37
	s_and_b64 s[46:47], vcc, exec
	s_or_b64 s[42:43], s[42:43], s[46:47]
.LBB493_72:                             ;   in Loop: Header=BB493_73 Depth=1
	s_and_b64 s[46:47], exec, s[42:43]
	s_or_b64 s[40:41], s[46:47], s[40:41]
	v_mov_b64_e32 v[36:37], s[44:45]
	s_andn2_b64 exec, exec, s[40:41]
	s_cbranch_execz .LBB493_75
.LBB493_73:                             ; =>This Inner Loop Header: Depth=1
	s_or_b64 s[42:43], s[42:43], exec
	s_cmp_eq_u64 s[36:37], s[44:45]
	s_cbranch_scc0 .LBB493_71
; %bb.74:                               ;   in Loop: Header=BB493_73 Depth=1
                                        ; implicit-def: $vgpr30_vgpr31
                                        ; implicit-def: $vgpr32_vgpr33
	s_mov_b64 s[44:45], s[26:27]
	s_branch .LBB493_72
.LBB493_75:
	s_or_b64 exec, exec, s[40:41]
	v_cmp_gt_i64_e32 vcc, s[26:27], v[36:37]
	s_orn2_b64 s[36:37], vcc, exec
.LBB493_76:
	s_or_b64 exec, exec, s[38:39]
.LBB493_77:
	v_mul_lo_u32 v32, v25, s26
	v_mul_lo_u32 v33, v24, s27
	v_mad_u64_u32 v[30:31], s[38:39], v24, s26, 0
	v_add3_u32 v31, v31, v33, v32
	s_and_b64 vcc, exec, s[4:5]
	v_lshl_add_u64 v[32:33], v[30:31], 2, s[28:29]
	s_cbranch_vccnz .LBB493_86
; %bb.78:
	global_load_dword v30, v[32:33], off
	global_load_dword v31, v[34:35], off
	s_mov_b64 s[18:19], -1
	s_waitcnt vmcnt(0)
	v_cmp_eq_u32_e32 vcc, v30, v31
	s_and_saveexec_b64 s[38:39], vcc
	s_cbranch_execz .LBB493_85
; %bb.79:
	s_add_u32 s18, s26, -1
	v_lshl_add_u64 v[30:31], v[34:35], 0, 4
	v_lshl_add_u64 v[34:35], v[32:33], 0, 4
	s_addc_u32 s19, s27, -1
	s_mov_b64 s[40:41], 0
	s_mov_b64 s[44:45], 0
                                        ; implicit-def: $sgpr42_sgpr43
	s_branch .LBB493_82
.LBB493_80:                             ;   in Loop: Header=BB493_82 Depth=1
	global_load_dword v36, v[34:35], off
	global_load_dword v37, v[30:31], off
	s_add_u32 s44, s44, 1
	s_addc_u32 s45, s45, 0
	s_andn2_b64 s[42:43], s[42:43], exec
	v_lshl_add_u64 v[30:31], v[30:31], 0, 4
	v_lshl_add_u64 v[34:35], v[34:35], 0, 4
	s_waitcnt vmcnt(0)
	v_cmp_ne_u32_e32 vcc, v36, v37
	s_and_b64 s[46:47], vcc, exec
	s_or_b64 s[42:43], s[42:43], s[46:47]
.LBB493_81:                             ;   in Loop: Header=BB493_82 Depth=1
	s_and_b64 s[46:47], exec, s[42:43]
	s_or_b64 s[40:41], s[46:47], s[40:41]
	v_mov_b64_e32 v[36:37], s[44:45]
	s_andn2_b64 exec, exec, s[40:41]
	s_cbranch_execz .LBB493_84
.LBB493_82:                             ; =>This Inner Loop Header: Depth=1
	s_or_b64 s[42:43], s[42:43], exec
	s_cmp_eq_u64 s[18:19], s[44:45]
	s_cbranch_scc0 .LBB493_80
; %bb.83:                               ;   in Loop: Header=BB493_82 Depth=1
                                        ; implicit-def: $vgpr30_vgpr31
                                        ; implicit-def: $vgpr34_vgpr35
	s_mov_b64 s[44:45], s[26:27]
	s_branch .LBB493_81
.LBB493_84:
	s_or_b64 exec, exec, s[40:41]
	v_cmp_gt_i64_e32 vcc, s[26:27], v[36:37]
	s_orn2_b64 s[18:19], vcc, exec
.LBB493_85:
	s_or_b64 exec, exec, s[38:39]
.LBB493_86:
	v_mul_lo_u32 v34, v23, s26
	v_mul_lo_u32 v35, v22, s27
	v_mad_u64_u32 v[30:31], s[38:39], v22, s26, 0
	v_add3_u32 v31, v31, v35, v34
	s_mov_b64 s[40:41], 0
	s_and_b64 vcc, exec, s[4:5]
	v_lshl_add_u64 v[30:31], v[30:31], 2, s[28:29]
	s_cbranch_vccnz .LBB493_95
; %bb.87:
	global_load_dword v34, v[30:31], off
	global_load_dword v35, v[32:33], off
	s_mov_b64 s[40:41], -1
	s_waitcnt vmcnt(0)
	v_cmp_eq_u32_e32 vcc, v34, v35
	s_and_saveexec_b64 s[38:39], vcc
	s_cbranch_execz .LBB493_94
; %bb.88:
	s_add_u32 s40, s26, -1
	v_lshl_add_u64 v[32:33], v[32:33], 0, 4
	v_lshl_add_u64 v[34:35], v[30:31], 0, 4
	s_addc_u32 s41, s27, -1
	s_mov_b64 s[42:43], 0
	s_mov_b64 s[46:47], 0
                                        ; implicit-def: $sgpr44_sgpr45
	s_branch .LBB493_91
.LBB493_89:                             ;   in Loop: Header=BB493_91 Depth=1
	global_load_dword v36, v[34:35], off
	global_load_dword v37, v[32:33], off
	s_add_u32 s46, s46, 1
	s_addc_u32 s47, s47, 0
	s_andn2_b64 s[44:45], s[44:45], exec
	v_lshl_add_u64 v[32:33], v[32:33], 0, 4
	v_lshl_add_u64 v[34:35], v[34:35], 0, 4
	s_waitcnt vmcnt(0)
	v_cmp_ne_u32_e32 vcc, v36, v37
	s_and_b64 s[48:49], vcc, exec
	s_or_b64 s[44:45], s[44:45], s[48:49]
.LBB493_90:                             ;   in Loop: Header=BB493_91 Depth=1
	s_and_b64 s[48:49], exec, s[44:45]
	s_or_b64 s[42:43], s[48:49], s[42:43]
	v_mov_b64_e32 v[36:37], s[46:47]
	s_andn2_b64 exec, exec, s[42:43]
	s_cbranch_execz .LBB493_93
.LBB493_91:                             ; =>This Inner Loop Header: Depth=1
	s_or_b64 s[44:45], s[44:45], exec
	s_cmp_eq_u64 s[40:41], s[46:47]
	s_cbranch_scc0 .LBB493_89
; %bb.92:                               ;   in Loop: Header=BB493_91 Depth=1
                                        ; implicit-def: $vgpr32_vgpr33
                                        ; implicit-def: $vgpr34_vgpr35
	s_mov_b64 s[46:47], s[26:27]
	s_branch .LBB493_90
.LBB493_93:
	s_or_b64 exec, exec, s[42:43]
	v_cmp_gt_i64_e32 vcc, s[26:27], v[36:37]
	s_orn2_b64 s[40:41], vcc, exec
.LBB493_94:
	s_or_b64 exec, exec, s[38:39]
.LBB493_95:
	v_cmp_ne_u32_e32 vcc, 0, v0
	s_waitcnt lgkmcnt(0)
	v_mov_b64_e32 v[32:33], s[6:7]
	s_barrier
	s_and_saveexec_b64 s[38:39], vcc
	s_cbranch_execz .LBB493_97
; %bb.96:
	v_add_u32_e32 v32, -8, v45
	ds_read_b64 v[32:33], v32
.LBB493_97:
	s_or_b64 exec, exec, s[38:39]
	v_cndmask_b32_e64 v35, 0, 1, s[36:37]
	v_cndmask_b32_e64 v34, 0, 1, s[18:19]
	;; [unrolled: 1-line block ×3, first 2 shown]
	v_lshlrev_b16_e32 v35, 8, v35
	v_lshlrev_b16_e32 v36, 8, v36
	v_or_b32_sdwa v37, v34, v35 dst_sel:WORD_1 dst_unused:UNUSED_PAD src0_sel:DWORD src1_sel:DWORD
	s_mov_b64 s[36:37], 0
	s_and_b64 vcc, exec, s[4:5]
	s_mov_b64 s[18:19], 0
	s_cbranch_vccnz .LBB493_106
; %bb.98:
	s_waitcnt lgkmcnt(0)
	v_mul_lo_u32 v34, v33, s26
	v_mul_lo_u32 v35, v32, s27
	v_mad_u64_u32 v[32:33], s[18:19], v32, s26, 0
	v_add3_u32 v33, v33, v35, v34
	v_lshl_add_u64 v[32:33], v[32:33], 2, s[28:29]
	global_load_dword v34, v[32:33], off
	global_load_dword v35, v[30:31], off
	s_mov_b64 s[18:19], -1
	s_waitcnt vmcnt(0)
	v_cmp_eq_u32_e32 vcc, v34, v35
	s_and_saveexec_b64 s[38:39], vcc
	s_cbranch_execz .LBB493_105
; %bb.99:
	s_add_u32 s18, s26, -1
	v_lshl_add_u64 v[30:31], v[30:31], 0, 4
	v_lshl_add_u64 v[32:33], v[32:33], 0, 4
	s_addc_u32 s19, s27, -1
	s_mov_b64 s[40:41], 0
	s_mov_b64 s[44:45], 0
                                        ; implicit-def: $sgpr42_sgpr43
	s_branch .LBB493_102
.LBB493_100:                            ;   in Loop: Header=BB493_102 Depth=1
	global_load_dword v34, v[32:33], off
	global_load_dword v35, v[30:31], off
	s_add_u32 s44, s44, 1
	s_addc_u32 s45, s45, 0
	s_andn2_b64 s[42:43], s[42:43], exec
	v_lshl_add_u64 v[30:31], v[30:31], 0, 4
	v_lshl_add_u64 v[32:33], v[32:33], 0, 4
	s_waitcnt vmcnt(0)
	v_cmp_ne_u32_e32 vcc, v34, v35
	s_and_b64 s[46:47], vcc, exec
	s_or_b64 s[42:43], s[42:43], s[46:47]
.LBB493_101:                            ;   in Loop: Header=BB493_102 Depth=1
	s_and_b64 s[46:47], exec, s[42:43]
	s_or_b64 s[40:41], s[46:47], s[40:41]
	v_mov_b64_e32 v[34:35], s[44:45]
	s_andn2_b64 exec, exec, s[40:41]
	s_cbranch_execz .LBB493_104
.LBB493_102:                            ; =>This Inner Loop Header: Depth=1
	s_or_b64 s[42:43], s[42:43], exec
	s_cmp_eq_u64 s[18:19], s[44:45]
	s_cbranch_scc0 .LBB493_100
; %bb.103:                              ;   in Loop: Header=BB493_102 Depth=1
                                        ; implicit-def: $vgpr30_vgpr31
                                        ; implicit-def: $vgpr32_vgpr33
	s_mov_b64 s[44:45], s[26:27]
	s_branch .LBB493_101
.LBB493_104:
	s_or_b64 exec, exec, s[40:41]
	v_cmp_gt_i64_e32 vcc, s[26:27], v[34:35]
	s_orn2_b64 s[18:19], vcc, exec
.LBB493_105:
	s_or_b64 exec, exec, s[38:39]
.LBB493_106:
	v_cndmask_b32_e64 v46, 0, 1, s[12:13]
	v_cndmask_b32_e64 v47, 0, 1, s[14:15]
	;; [unrolled: 1-line block ×3, first 2 shown]
	v_or_b32_e32 v34, v36, v37
	s_and_b64 vcc, exec, s[36:37]
	s_cbranch_vccz .LBB493_187
.LBB493_107:
	v_cmp_gt_u32_e32 vcc, s3, v40
	s_mov_b64 s[12:13], 0
	s_mov_b64 s[10:11], 0
	s_and_saveexec_b64 s[14:15], vcc
	s_cbranch_execz .LBB493_118
; %bb.108:
	s_and_b64 vcc, exec, s[4:5]
	s_mov_b64 s[18:19], 0
	s_cbranch_vccnz .LBB493_117
; %bb.109:
	s_waitcnt lgkmcnt(0)
	v_mul_lo_u32 v32, v17, s26
	v_mul_lo_u32 v33, v16, s27
	v_mad_u64_u32 v[30:31], s[10:11], v16, s26, 0
	v_add3_u32 v31, v31, v33, v32
	v_mul_lo_u32 v32, v29, s26
	v_mul_lo_u32 v33, v28, s27
	v_mad_u64_u32 v[34:35], s[10:11], v28, s26, 0
	v_add3_u32 v35, v35, v33, v32
	v_lshl_add_u64 v[32:33], v[30:31], 2, s[28:29]
	v_lshl_add_u64 v[30:31], v[34:35], 2, s[28:29]
	global_load_dword v34, v[32:33], off
	global_load_dword v35, v[30:31], off
	s_mov_b64 s[18:19], -1
	s_waitcnt vmcnt(0)
	v_cmp_eq_u32_e32 vcc, v34, v35
	s_and_saveexec_b64 s[10:11], vcc
	s_cbranch_execz .LBB493_116
; %bb.110:
	s_add_u32 s18, s26, -1
	v_lshl_add_u64 v[30:31], v[30:31], 0, 4
	v_lshl_add_u64 v[32:33], v[32:33], 0, 4
	s_addc_u32 s19, s27, -1
	s_mov_b64 s[36:37], 0
	s_mov_b64 s[40:41], 0
                                        ; implicit-def: $sgpr38_sgpr39
	s_branch .LBB493_113
.LBB493_111:                            ;   in Loop: Header=BB493_113 Depth=1
	global_load_dword v34, v[32:33], off
	global_load_dword v35, v[30:31], off
	s_add_u32 s40, s40, 1
	s_addc_u32 s41, s41, 0
	s_andn2_b64 s[38:39], s[38:39], exec
	v_lshl_add_u64 v[30:31], v[30:31], 0, 4
	v_lshl_add_u64 v[32:33], v[32:33], 0, 4
	s_waitcnt vmcnt(0)
	v_cmp_ne_u32_e32 vcc, v34, v35
	s_and_b64 s[42:43], vcc, exec
	s_or_b64 s[38:39], s[38:39], s[42:43]
.LBB493_112:                            ;   in Loop: Header=BB493_113 Depth=1
	s_and_b64 s[42:43], exec, s[38:39]
	s_or_b64 s[36:37], s[42:43], s[36:37]
	v_mov_b64_e32 v[34:35], s[40:41]
	s_andn2_b64 exec, exec, s[36:37]
	s_cbranch_execz .LBB493_115
.LBB493_113:                            ; =>This Inner Loop Header: Depth=1
	s_or_b64 s[38:39], s[38:39], exec
	s_cmp_eq_u64 s[18:19], s[40:41]
	s_cbranch_scc0 .LBB493_111
; %bb.114:                              ;   in Loop: Header=BB493_113 Depth=1
                                        ; implicit-def: $vgpr30_vgpr31
                                        ; implicit-def: $vgpr32_vgpr33
	s_mov_b64 s[40:41], s[26:27]
	s_branch .LBB493_112
.LBB493_115:
	s_or_b64 exec, exec, s[36:37]
	v_cmp_gt_i64_e32 vcc, s[26:27], v[34:35]
	s_orn2_b64 s[18:19], vcc, exec
.LBB493_116:
	s_or_b64 exec, exec, s[10:11]
.LBB493_117:
	s_and_b64 s[10:11], s[18:19], exec
.LBB493_118:
	s_or_b64 exec, exec, s[14:15]
	v_cmp_gt_u32_e32 vcc, s3, v43
	s_and_saveexec_b64 s[14:15], vcc
	s_cbranch_execz .LBB493_129
; %bb.119:
	s_and_b64 vcc, exec, s[4:5]
	s_mov_b64 s[18:19], 0
	s_cbranch_vccnz .LBB493_128
; %bb.120:
	s_waitcnt lgkmcnt(0)
	v_mul_lo_u32 v32, v15, s26
	v_mul_lo_u32 v33, v14, s27
	v_mad_u64_u32 v[30:31], s[12:13], v14, s26, 0
	v_add3_u32 v31, v31, v33, v32
	v_mul_lo_u32 v32, v17, s26
	v_mul_lo_u32 v33, v16, s27
	v_mad_u64_u32 v[34:35], s[12:13], v16, s26, 0
	v_add3_u32 v35, v35, v33, v32
	v_lshl_add_u64 v[32:33], v[30:31], 2, s[28:29]
	v_lshl_add_u64 v[30:31], v[34:35], 2, s[28:29]
	global_load_dword v34, v[32:33], off
	global_load_dword v35, v[30:31], off
	s_mov_b64 s[18:19], -1
	s_waitcnt vmcnt(0)
	v_cmp_eq_u32_e32 vcc, v34, v35
	s_and_saveexec_b64 s[12:13], vcc
	s_cbranch_execz .LBB493_127
; %bb.121:
	s_add_u32 s18, s26, -1
	v_lshl_add_u64 v[30:31], v[30:31], 0, 4
	v_lshl_add_u64 v[32:33], v[32:33], 0, 4
	s_addc_u32 s19, s27, -1
	s_mov_b64 s[36:37], 0
	s_mov_b64 s[40:41], 0
                                        ; implicit-def: $sgpr38_sgpr39
	s_branch .LBB493_124
.LBB493_122:                            ;   in Loop: Header=BB493_124 Depth=1
	global_load_dword v34, v[32:33], off
	global_load_dword v35, v[30:31], off
	s_add_u32 s40, s40, 1
	s_addc_u32 s41, s41, 0
	s_andn2_b64 s[38:39], s[38:39], exec
	v_lshl_add_u64 v[30:31], v[30:31], 0, 4
	v_lshl_add_u64 v[32:33], v[32:33], 0, 4
	s_waitcnt vmcnt(0)
	v_cmp_ne_u32_e32 vcc, v34, v35
	s_and_b64 s[42:43], vcc, exec
	s_or_b64 s[38:39], s[38:39], s[42:43]
.LBB493_123:                            ;   in Loop: Header=BB493_124 Depth=1
	s_and_b64 s[42:43], exec, s[38:39]
	s_or_b64 s[36:37], s[42:43], s[36:37]
	v_mov_b64_e32 v[34:35], s[40:41]
	s_andn2_b64 exec, exec, s[36:37]
	s_cbranch_execz .LBB493_126
.LBB493_124:                            ; =>This Inner Loop Header: Depth=1
	s_or_b64 s[38:39], s[38:39], exec
	s_cmp_eq_u64 s[18:19], s[40:41]
	s_cbranch_scc0 .LBB493_122
; %bb.125:                              ;   in Loop: Header=BB493_124 Depth=1
                                        ; implicit-def: $vgpr30_vgpr31
                                        ; implicit-def: $vgpr32_vgpr33
	s_mov_b64 s[40:41], s[26:27]
	s_branch .LBB493_123
.LBB493_126:
	s_or_b64 exec, exec, s[36:37]
	v_cmp_gt_i64_e32 vcc, s[26:27], v[34:35]
	s_orn2_b64 s[18:19], vcc, exec
.LBB493_127:
	s_or_b64 exec, exec, s[12:13]
.LBB493_128:
	s_and_b64 s[12:13], s[18:19], exec
.LBB493_129:
	s_or_b64 exec, exec, s[14:15]
	v_cmp_gt_u32_e32 vcc, s3, v39
	s_mov_b64 s[18:19], 0
	s_mov_b64 s[14:15], 0
	s_and_saveexec_b64 s[36:37], vcc
	s_cbranch_execz .LBB493_140
; %bb.130:
	s_and_b64 vcc, exec, s[4:5]
	s_mov_b64 s[38:39], 0
	s_cbranch_vccnz .LBB493_139
; %bb.131:
	s_waitcnt lgkmcnt(0)
	v_mul_lo_u32 v32, v21, s26
	v_mul_lo_u32 v33, v20, s27
	v_mad_u64_u32 v[30:31], s[14:15], v20, s26, 0
	v_add3_u32 v31, v31, v33, v32
	v_mul_lo_u32 v32, v15, s26
	v_mul_lo_u32 v33, v14, s27
	v_mad_u64_u32 v[34:35], s[14:15], v14, s26, 0
	v_add3_u32 v35, v35, v33, v32
	v_lshl_add_u64 v[32:33], v[30:31], 2, s[28:29]
	v_lshl_add_u64 v[30:31], v[34:35], 2, s[28:29]
	global_load_dword v34, v[32:33], off
	global_load_dword v35, v[30:31], off
	s_mov_b64 s[38:39], -1
	s_waitcnt vmcnt(0)
	v_cmp_eq_u32_e32 vcc, v34, v35
	s_and_saveexec_b64 s[14:15], vcc
	s_cbranch_execz .LBB493_138
; %bb.132:
	s_add_u32 s38, s26, -1
	v_lshl_add_u64 v[30:31], v[30:31], 0, 4
	v_lshl_add_u64 v[32:33], v[32:33], 0, 4
	s_addc_u32 s39, s27, -1
	s_mov_b64 s[40:41], 0
	s_mov_b64 s[44:45], 0
                                        ; implicit-def: $sgpr42_sgpr43
	s_branch .LBB493_135
.LBB493_133:                            ;   in Loop: Header=BB493_135 Depth=1
	global_load_dword v34, v[32:33], off
	global_load_dword v35, v[30:31], off
	s_add_u32 s44, s44, 1
	s_addc_u32 s45, s45, 0
	s_andn2_b64 s[42:43], s[42:43], exec
	v_lshl_add_u64 v[30:31], v[30:31], 0, 4
	v_lshl_add_u64 v[32:33], v[32:33], 0, 4
	s_waitcnt vmcnt(0)
	v_cmp_ne_u32_e32 vcc, v34, v35
	s_and_b64 s[46:47], vcc, exec
	s_or_b64 s[42:43], s[42:43], s[46:47]
.LBB493_134:                            ;   in Loop: Header=BB493_135 Depth=1
	s_and_b64 s[46:47], exec, s[42:43]
	s_or_b64 s[40:41], s[46:47], s[40:41]
	v_mov_b64_e32 v[34:35], s[44:45]
	s_andn2_b64 exec, exec, s[40:41]
	s_cbranch_execz .LBB493_137
.LBB493_135:                            ; =>This Inner Loop Header: Depth=1
	s_or_b64 s[42:43], s[42:43], exec
	s_cmp_eq_u64 s[38:39], s[44:45]
	s_cbranch_scc0 .LBB493_133
; %bb.136:                              ;   in Loop: Header=BB493_135 Depth=1
                                        ; implicit-def: $vgpr30_vgpr31
                                        ; implicit-def: $vgpr32_vgpr33
	s_mov_b64 s[44:45], s[26:27]
	s_branch .LBB493_134
.LBB493_137:
	s_or_b64 exec, exec, s[40:41]
	v_cmp_gt_i64_e32 vcc, s[26:27], v[34:35]
	s_orn2_b64 s[38:39], vcc, exec
.LBB493_138:
	s_or_b64 exec, exec, s[14:15]
.LBB493_139:
	s_and_b64 s[14:15], s[38:39], exec
.LBB493_140:
	s_or_b64 exec, exec, s[36:37]
	v_cmp_gt_u32_e32 vcc, s3, v42
	s_and_saveexec_b64 s[36:37], vcc
	s_cbranch_execz .LBB493_151
; %bb.141:
	s_and_b64 vcc, exec, s[4:5]
	s_mov_b64 s[38:39], 0
	s_cbranch_vccnz .LBB493_150
; %bb.142:
	s_waitcnt lgkmcnt(0)
	v_mul_lo_u32 v32, v19, s26
	v_mul_lo_u32 v33, v18, s27
	v_mad_u64_u32 v[30:31], s[18:19], v18, s26, 0
	v_add3_u32 v31, v31, v33, v32
	v_mul_lo_u32 v32, v21, s26
	v_mul_lo_u32 v33, v20, s27
	v_mad_u64_u32 v[34:35], s[18:19], v20, s26, 0
	v_add3_u32 v35, v35, v33, v32
	v_lshl_add_u64 v[32:33], v[30:31], 2, s[28:29]
	v_lshl_add_u64 v[30:31], v[34:35], 2, s[28:29]
	global_load_dword v34, v[32:33], off
	global_load_dword v35, v[30:31], off
	s_mov_b64 s[38:39], -1
	s_waitcnt vmcnt(0)
	v_cmp_eq_u32_e32 vcc, v34, v35
	s_and_saveexec_b64 s[18:19], vcc
	s_cbranch_execz .LBB493_149
; %bb.143:
	s_add_u32 s38, s26, -1
	v_lshl_add_u64 v[30:31], v[30:31], 0, 4
	v_lshl_add_u64 v[32:33], v[32:33], 0, 4
	s_addc_u32 s39, s27, -1
	s_mov_b64 s[40:41], 0
	s_mov_b64 s[44:45], 0
                                        ; implicit-def: $sgpr42_sgpr43
	s_branch .LBB493_146
.LBB493_144:                            ;   in Loop: Header=BB493_146 Depth=1
	global_load_dword v34, v[32:33], off
	global_load_dword v35, v[30:31], off
	s_add_u32 s44, s44, 1
	s_addc_u32 s45, s45, 0
	s_andn2_b64 s[42:43], s[42:43], exec
	v_lshl_add_u64 v[30:31], v[30:31], 0, 4
	v_lshl_add_u64 v[32:33], v[32:33], 0, 4
	s_waitcnt vmcnt(0)
	v_cmp_ne_u32_e32 vcc, v34, v35
	s_and_b64 s[46:47], vcc, exec
	s_or_b64 s[42:43], s[42:43], s[46:47]
.LBB493_145:                            ;   in Loop: Header=BB493_146 Depth=1
	s_and_b64 s[46:47], exec, s[42:43]
	s_or_b64 s[40:41], s[46:47], s[40:41]
	v_mov_b64_e32 v[34:35], s[44:45]
	s_andn2_b64 exec, exec, s[40:41]
	s_cbranch_execz .LBB493_148
.LBB493_146:                            ; =>This Inner Loop Header: Depth=1
	s_or_b64 s[42:43], s[42:43], exec
	s_cmp_eq_u64 s[38:39], s[44:45]
	s_cbranch_scc0 .LBB493_144
; %bb.147:                              ;   in Loop: Header=BB493_146 Depth=1
                                        ; implicit-def: $vgpr30_vgpr31
                                        ; implicit-def: $vgpr32_vgpr33
	s_mov_b64 s[44:45], s[26:27]
	s_branch .LBB493_145
.LBB493_148:
	s_or_b64 exec, exec, s[40:41]
	v_cmp_gt_i64_e32 vcc, s[26:27], v[34:35]
	s_orn2_b64 s[38:39], vcc, exec
.LBB493_149:
	s_or_b64 exec, exec, s[18:19]
.LBB493_150:
	s_and_b64 s[18:19], s[38:39], exec
.LBB493_151:
	s_or_b64 exec, exec, s[36:37]
	v_cmp_gt_u32_e32 vcc, s3, v38
	s_mov_b64 s[36:37], 0
	s_mov_b64 s[38:39], 0
	s_and_saveexec_b64 s[40:41], vcc
	s_cbranch_execz .LBB493_162
; %bb.152:
	s_and_b64 vcc, exec, s[4:5]
	s_mov_b64 s[42:43], 0
	s_cbranch_vccnz .LBB493_161
; %bb.153:
	s_waitcnt lgkmcnt(0)
	v_mul_lo_u32 v32, v25, s26
	v_mul_lo_u32 v33, v24, s27
	v_mad_u64_u32 v[30:31], s[38:39], v24, s26, 0
	v_add3_u32 v31, v31, v33, v32
	v_mul_lo_u32 v32, v19, s26
	v_mul_lo_u32 v33, v18, s27
	v_mad_u64_u32 v[34:35], s[38:39], v18, s26, 0
	v_add3_u32 v35, v35, v33, v32
	v_lshl_add_u64 v[32:33], v[30:31], 2, s[28:29]
	v_lshl_add_u64 v[30:31], v[34:35], 2, s[28:29]
	global_load_dword v34, v[32:33], off
	global_load_dword v35, v[30:31], off
	s_mov_b64 s[42:43], -1
	s_waitcnt vmcnt(0)
	v_cmp_eq_u32_e32 vcc, v34, v35
	s_and_saveexec_b64 s[38:39], vcc
	s_cbranch_execz .LBB493_160
; %bb.154:
	s_add_u32 s42, s26, -1
	v_lshl_add_u64 v[30:31], v[30:31], 0, 4
	v_lshl_add_u64 v[32:33], v[32:33], 0, 4
	s_addc_u32 s43, s27, -1
	s_mov_b64 s[44:45], 0
	s_mov_b64 s[48:49], 0
                                        ; implicit-def: $sgpr46_sgpr47
	s_branch .LBB493_157
.LBB493_155:                            ;   in Loop: Header=BB493_157 Depth=1
	global_load_dword v34, v[32:33], off
	global_load_dword v35, v[30:31], off
	s_add_u32 s48, s48, 1
	s_addc_u32 s49, s49, 0
	s_andn2_b64 s[46:47], s[46:47], exec
	v_lshl_add_u64 v[30:31], v[30:31], 0, 4
	v_lshl_add_u64 v[32:33], v[32:33], 0, 4
	s_waitcnt vmcnt(0)
	v_cmp_ne_u32_e32 vcc, v34, v35
	s_and_b64 s[50:51], vcc, exec
	s_or_b64 s[46:47], s[46:47], s[50:51]
.LBB493_156:                            ;   in Loop: Header=BB493_157 Depth=1
	s_and_b64 s[50:51], exec, s[46:47]
	s_or_b64 s[44:45], s[50:51], s[44:45]
	v_mov_b64_e32 v[34:35], s[48:49]
	s_andn2_b64 exec, exec, s[44:45]
	s_cbranch_execz .LBB493_159
.LBB493_157:                            ; =>This Inner Loop Header: Depth=1
	s_or_b64 s[46:47], s[46:47], exec
	s_cmp_eq_u64 s[42:43], s[48:49]
	s_cbranch_scc0 .LBB493_155
; %bb.158:                              ;   in Loop: Header=BB493_157 Depth=1
                                        ; implicit-def: $vgpr30_vgpr31
                                        ; implicit-def: $vgpr32_vgpr33
	s_mov_b64 s[48:49], s[26:27]
	s_branch .LBB493_156
.LBB493_159:
	s_or_b64 exec, exec, s[44:45]
	v_cmp_gt_i64_e32 vcc, s[26:27], v[34:35]
	s_orn2_b64 s[42:43], vcc, exec
.LBB493_160:
	s_or_b64 exec, exec, s[38:39]
.LBB493_161:
	s_and_b64 s[38:39], s[42:43], exec
.LBB493_162:
	s_or_b64 exec, exec, s[40:41]
	v_cmp_gt_u32_e32 vcc, s3, v41
	s_and_saveexec_b64 s[40:41], vcc
	s_cbranch_execz .LBB493_173
; %bb.163:
	s_and_b64 vcc, exec, s[4:5]
	s_mov_b64 s[42:43], 0
	s_cbranch_vccnz .LBB493_172
; %bb.164:
	s_waitcnt lgkmcnt(0)
	v_mul_lo_u32 v32, v23, s26
	v_mul_lo_u32 v33, v22, s27
	v_mad_u64_u32 v[30:31], s[36:37], v22, s26, 0
	v_add3_u32 v31, v31, v33, v32
	v_mul_lo_u32 v32, v25, s26
	v_mul_lo_u32 v33, v24, s27
	v_mad_u64_u32 v[34:35], s[36:37], v24, s26, 0
	v_add3_u32 v35, v35, v33, v32
	v_lshl_add_u64 v[32:33], v[30:31], 2, s[28:29]
	v_lshl_add_u64 v[30:31], v[34:35], 2, s[28:29]
	global_load_dword v34, v[32:33], off
	global_load_dword v35, v[30:31], off
	s_mov_b64 s[42:43], -1
	s_waitcnt vmcnt(0)
	v_cmp_eq_u32_e32 vcc, v34, v35
	s_and_saveexec_b64 s[36:37], vcc
	s_cbranch_execz .LBB493_171
; %bb.165:
	s_add_u32 s42, s26, -1
	v_lshl_add_u64 v[30:31], v[30:31], 0, 4
	v_lshl_add_u64 v[32:33], v[32:33], 0, 4
	s_addc_u32 s43, s27, -1
	s_mov_b64 s[44:45], 0
	s_mov_b64 s[48:49], 0
                                        ; implicit-def: $sgpr46_sgpr47
	s_branch .LBB493_168
.LBB493_166:                            ;   in Loop: Header=BB493_168 Depth=1
	global_load_dword v34, v[32:33], off
	global_load_dword v35, v[30:31], off
	s_add_u32 s48, s48, 1
	s_addc_u32 s49, s49, 0
	s_andn2_b64 s[46:47], s[46:47], exec
	v_lshl_add_u64 v[30:31], v[30:31], 0, 4
	v_lshl_add_u64 v[32:33], v[32:33], 0, 4
	s_waitcnt vmcnt(0)
	v_cmp_ne_u32_e32 vcc, v34, v35
	s_and_b64 s[50:51], vcc, exec
	s_or_b64 s[46:47], s[46:47], s[50:51]
.LBB493_167:                            ;   in Loop: Header=BB493_168 Depth=1
	s_and_b64 s[50:51], exec, s[46:47]
	s_or_b64 s[44:45], s[50:51], s[44:45]
	v_mov_b64_e32 v[34:35], s[48:49]
	s_andn2_b64 exec, exec, s[44:45]
	s_cbranch_execz .LBB493_170
.LBB493_168:                            ; =>This Inner Loop Header: Depth=1
	s_or_b64 s[46:47], s[46:47], exec
	s_cmp_eq_u64 s[42:43], s[48:49]
	s_cbranch_scc0 .LBB493_166
; %bb.169:                              ;   in Loop: Header=BB493_168 Depth=1
                                        ; implicit-def: $vgpr30_vgpr31
                                        ; implicit-def: $vgpr32_vgpr33
	s_mov_b64 s[48:49], s[26:27]
	s_branch .LBB493_167
.LBB493_170:
	s_or_b64 exec, exec, s[44:45]
	v_cmp_gt_i64_e32 vcc, s[26:27], v[34:35]
	s_orn2_b64 s[42:43], vcc, exec
.LBB493_171:
	s_or_b64 exec, exec, s[36:37]
.LBB493_172:
	s_and_b64 s[36:37], s[42:43], exec
.LBB493_173:
	s_or_b64 exec, exec, s[40:41]
	v_cmp_ne_u32_e32 vcc, 0, v0
	s_waitcnt lgkmcnt(0)
	v_mov_b64_e32 v[30:31], s[6:7]
	s_barrier
	s_and_saveexec_b64 s[6:7], vcc
	s_cbranch_execz .LBB493_175
; %bb.174:
	v_add_u32_e32 v30, -8, v45
	ds_read_b64 v[30:31], v30
.LBB493_175:
	s_or_b64 exec, exec, s[6:7]
	v_cndmask_b32_e64 v33, 0, 1, s[18:19]
	v_cndmask_b32_e64 v32, 0, 1, s[38:39]
	;; [unrolled: 1-line block ×3, first 2 shown]
	v_lshlrev_b16_e32 v33, 8, v33
	v_cmp_gt_u32_e32 vcc, s3, v1
	v_lshlrev_b16_e32 v36, 8, v34
	v_or_b32_sdwa v37, v32, v33 dst_sel:WORD_1 dst_unused:UNUSED_PAD src0_sel:DWORD src1_sel:DWORD
	s_mov_b64 s[18:19], 0
	s_and_saveexec_b64 s[6:7], vcc
	s_cbranch_execz .LBB493_186
; %bb.176:
	s_and_b64 vcc, exec, s[4:5]
	s_cbranch_vccnz .LBB493_185
; %bb.177:
	s_waitcnt lgkmcnt(0)
	v_mul_lo_u32 v32, v31, s26
	v_mul_lo_u32 v33, v30, s27
	v_mad_u64_u32 v[30:31], s[4:5], v30, s26, 0
	v_add3_u32 v31, v31, v33, v32
	v_mul_lo_u32 v32, v23, s26
	v_mul_lo_u32 v33, v22, s27
	v_mad_u64_u32 v[34:35], s[4:5], v22, s26, 0
	v_add3_u32 v35, v35, v33, v32
	v_lshl_add_u64 v[32:33], v[30:31], 2, s[28:29]
	v_lshl_add_u64 v[30:31], v[34:35], 2, s[28:29]
	global_load_dword v34, v[32:33], off
	global_load_dword v35, v[30:31], off
	s_mov_b64 s[18:19], -1
	s_waitcnt vmcnt(0)
	v_cmp_eq_u32_e32 vcc, v34, v35
	s_and_saveexec_b64 s[4:5], vcc
	s_cbranch_execz .LBB493_184
; %bb.178:
	s_add_u32 s18, s26, -1
	v_lshl_add_u64 v[30:31], v[30:31], 0, 4
	v_lshl_add_u64 v[32:33], v[32:33], 0, 4
	s_addc_u32 s19, s27, -1
	s_mov_b64 s[36:37], 0
	s_mov_b64 s[40:41], 0
                                        ; implicit-def: $sgpr38_sgpr39
	s_branch .LBB493_181
.LBB493_179:                            ;   in Loop: Header=BB493_181 Depth=1
	global_load_dword v34, v[32:33], off
	global_load_dword v35, v[30:31], off
	s_add_u32 s40, s40, 1
	s_addc_u32 s41, s41, 0
	s_andn2_b64 s[38:39], s[38:39], exec
	v_lshl_add_u64 v[30:31], v[30:31], 0, 4
	v_lshl_add_u64 v[32:33], v[32:33], 0, 4
	s_waitcnt vmcnt(0)
	v_cmp_ne_u32_e32 vcc, v34, v35
	s_and_b64 s[42:43], vcc, exec
	s_or_b64 s[38:39], s[38:39], s[42:43]
.LBB493_180:                            ;   in Loop: Header=BB493_181 Depth=1
	s_and_b64 s[42:43], exec, s[38:39]
	s_or_b64 s[36:37], s[42:43], s[36:37]
	v_mov_b64_e32 v[34:35], s[40:41]
	s_andn2_b64 exec, exec, s[36:37]
	s_cbranch_execz .LBB493_183
.LBB493_181:                            ; =>This Inner Loop Header: Depth=1
	s_or_b64 s[38:39], s[38:39], exec
	s_cmp_eq_u64 s[18:19], s[40:41]
	s_cbranch_scc0 .LBB493_179
; %bb.182:                              ;   in Loop: Header=BB493_181 Depth=1
                                        ; implicit-def: $vgpr30_vgpr31
                                        ; implicit-def: $vgpr32_vgpr33
	s_mov_b64 s[40:41], s[26:27]
	s_branch .LBB493_180
.LBB493_183:
	s_or_b64 exec, exec, s[36:37]
	v_cmp_gt_i64_e32 vcc, s[26:27], v[34:35]
	s_orn2_b64 s[18:19], vcc, exec
.LBB493_184:
	s_or_b64 exec, exec, s[4:5]
.LBB493_185:
	s_and_b64 s[18:19], s[18:19], exec
.LBB493_186:
	s_or_b64 exec, exec, s[6:7]
	v_cndmask_b32_e64 v46, 0, 1, s[14:15]
	v_cndmask_b32_e64 v47, 0, 1, s[12:13]
	v_cndmask_b32_e64 v48, 0, 1, s[10:11]
	v_or_b32_e32 v34, v36, v37
.LBB493_187:
	s_mov_b64 s[10:11], -1
	s_cbranch_execnz .LBB493_46
.LBB493_188:
	s_movk_i32 s4, 0xffd0
	v_mad_i32_i24 v44, v0, s4, v44
	s_mov_b64 s[12:13], 0
	s_waitcnt lgkmcnt(0)
	v_cmp_gt_i64_e64 s[6:7], s[26:27], 0
	s_and_b64 vcc, exec, s[34:35]
	ds_write_b64 v44, v[28:29]
	s_cbranch_vccz .LBB493_196
; %bb.189:
	v_mul_lo_u32 v32, v17, s26
	v_mul_lo_u32 v33, v16, s27
	v_mad_u64_u32 v[30:31], s[4:5], v16, s26, 0
	v_add3_u32 v31, v31, v33, v32
	v_cndmask_b32_e64 v32, 0, 1, s[6:7]
	v_cmp_ne_u32_e64 s[4:5], 1, v32
	s_andn2_b64 vcc, exec, s[6:7]
	v_lshl_add_u64 v[30:31], v[30:31], 2, s[28:29]
	s_cbranch_vccnz .LBB493_199
; %bb.190:
	v_mul_lo_u32 v34, v29, s26
	v_mul_lo_u32 v35, v28, s27
	v_mad_u64_u32 v[32:33], s[12:13], v28, s26, 0
	v_add3_u32 v33, v33, v35, v34
	v_lshl_add_u64 v[32:33], v[32:33], 2, s[28:29]
	global_load_dword v34, v[30:31], off
	global_load_dword v35, v[32:33], off
	s_mov_b64 s[12:13], -1
	s_waitcnt vmcnt(0)
	v_cmp_eq_u32_e32 vcc, v34, v35
	s_and_saveexec_b64 s[14:15], vcc
	s_cbranch_execz .LBB493_198
; %bb.191:
	s_add_u32 s12, s26, -1
	v_lshl_add_u64 v[32:33], v[32:33], 0, 4
	v_lshl_add_u64 v[34:35], v[30:31], 0, 4
	s_addc_u32 s13, s27, -1
	s_mov_b64 s[18:19], 0
	s_mov_b64 s[38:39], 0
                                        ; implicit-def: $sgpr36_sgpr37
	s_branch .LBB493_194
.LBB493_192:                            ;   in Loop: Header=BB493_194 Depth=1
	global_load_dword v36, v[34:35], off
	global_load_dword v37, v[32:33], off
	s_add_u32 s38, s38, 1
	s_addc_u32 s39, s39, 0
	s_andn2_b64 s[36:37], s[36:37], exec
	v_lshl_add_u64 v[32:33], v[32:33], 0, 4
	v_lshl_add_u64 v[34:35], v[34:35], 0, 4
	s_waitcnt vmcnt(0)
	v_cmp_ne_u32_e32 vcc, v36, v37
	s_and_b64 s[40:41], vcc, exec
	s_or_b64 s[36:37], s[36:37], s[40:41]
.LBB493_193:                            ;   in Loop: Header=BB493_194 Depth=1
	s_and_b64 s[40:41], exec, s[36:37]
	s_or_b64 s[18:19], s[40:41], s[18:19]
	v_mov_b64_e32 v[36:37], s[38:39]
	s_andn2_b64 exec, exec, s[18:19]
	s_cbranch_execz .LBB493_197
.LBB493_194:                            ; =>This Inner Loop Header: Depth=1
	s_or_b64 s[36:37], s[36:37], exec
	s_cmp_eq_u64 s[12:13], s[38:39]
	s_cbranch_scc0 .LBB493_192
; %bb.195:                              ;   in Loop: Header=BB493_194 Depth=1
                                        ; implicit-def: $vgpr32_vgpr33
                                        ; implicit-def: $vgpr34_vgpr35
	s_mov_b64 s[38:39], s[26:27]
	s_branch .LBB493_193
.LBB493_196:
                                        ; implicit-def: $sgpr18_sgpr19
                                        ; implicit-def: $vgpr48
                                        ; implicit-def: $vgpr47
                                        ; implicit-def: $vgpr46
                                        ; implicit-def: $vgpr34
                                        ; implicit-def: $vgpr30_vgpr31
	s_cbranch_execnz .LBB493_256
	s_branch .LBB493_336
.LBB493_197:
	s_or_b64 exec, exec, s[18:19]
	v_cmp_gt_i64_e32 vcc, s[26:27], v[36:37]
	s_orn2_b64 s[12:13], vcc, exec
.LBB493_198:
	s_or_b64 exec, exec, s[14:15]
.LBB493_199:
	v_mul_lo_u32 v34, v15, s26
	v_mul_lo_u32 v35, v14, s27
	v_mad_u64_u32 v[32:33], s[14:15], v14, s26, 0
	v_add3_u32 v33, v33, v35, v34
	s_mov_b64 s[14:15], 0
	s_and_b64 vcc, exec, s[4:5]
	v_lshl_add_u64 v[32:33], v[32:33], 2, s[28:29]
	s_mov_b64 s[18:19], 0
	s_cbranch_vccnz .LBB493_208
; %bb.200:
	global_load_dword v34, v[32:33], off
	global_load_dword v35, v[30:31], off
	s_mov_b64 s[18:19], -1
	s_waitcnt vmcnt(0)
	v_cmp_eq_u32_e32 vcc, v34, v35
	s_and_saveexec_b64 s[36:37], vcc
	s_cbranch_execz .LBB493_207
; %bb.201:
	s_add_u32 s18, s26, -1
	v_lshl_add_u64 v[30:31], v[30:31], 0, 4
	v_lshl_add_u64 v[34:35], v[32:33], 0, 4
	s_addc_u32 s19, s27, -1
	s_mov_b64 s[38:39], 0
	s_mov_b64 s[42:43], 0
                                        ; implicit-def: $sgpr40_sgpr41
	s_branch .LBB493_204
.LBB493_202:                            ;   in Loop: Header=BB493_204 Depth=1
	global_load_dword v36, v[34:35], off
	global_load_dword v37, v[30:31], off
	s_add_u32 s42, s42, 1
	s_addc_u32 s43, s43, 0
	s_andn2_b64 s[40:41], s[40:41], exec
	v_lshl_add_u64 v[30:31], v[30:31], 0, 4
	v_lshl_add_u64 v[34:35], v[34:35], 0, 4
	s_waitcnt vmcnt(0)
	v_cmp_ne_u32_e32 vcc, v36, v37
	s_and_b64 s[44:45], vcc, exec
	s_or_b64 s[40:41], s[40:41], s[44:45]
.LBB493_203:                            ;   in Loop: Header=BB493_204 Depth=1
	s_and_b64 s[44:45], exec, s[40:41]
	s_or_b64 s[38:39], s[44:45], s[38:39]
	v_mov_b64_e32 v[36:37], s[42:43]
	s_andn2_b64 exec, exec, s[38:39]
	s_cbranch_execz .LBB493_206
.LBB493_204:                            ; =>This Inner Loop Header: Depth=1
	s_or_b64 s[40:41], s[40:41], exec
	s_cmp_eq_u64 s[18:19], s[42:43]
	s_cbranch_scc0 .LBB493_202
; %bb.205:                              ;   in Loop: Header=BB493_204 Depth=1
                                        ; implicit-def: $vgpr30_vgpr31
                                        ; implicit-def: $vgpr34_vgpr35
	s_mov_b64 s[42:43], s[26:27]
	s_branch .LBB493_203
.LBB493_206:
	s_or_b64 exec, exec, s[38:39]
	v_cmp_gt_i64_e32 vcc, s[26:27], v[36:37]
	s_orn2_b64 s[18:19], vcc, exec
.LBB493_207:
	s_or_b64 exec, exec, s[36:37]
.LBB493_208:
	v_mul_lo_u32 v34, v21, s26
	v_mul_lo_u32 v35, v20, s27
	v_mad_u64_u32 v[30:31], s[36:37], v20, s26, 0
	v_add3_u32 v31, v31, v35, v34
	s_and_b64 vcc, exec, s[4:5]
	v_lshl_add_u64 v[30:31], v[30:31], 2, s[28:29]
	s_cbranch_vccnz .LBB493_217
; %bb.209:
	global_load_dword v34, v[30:31], off
	global_load_dword v35, v[32:33], off
	s_mov_b64 s[14:15], -1
	s_waitcnt vmcnt(0)
	v_cmp_eq_u32_e32 vcc, v34, v35
	s_and_saveexec_b64 s[36:37], vcc
	s_cbranch_execz .LBB493_216
; %bb.210:
	s_add_u32 s14, s26, -1
	v_lshl_add_u64 v[32:33], v[32:33], 0, 4
	v_lshl_add_u64 v[34:35], v[30:31], 0, 4
	s_addc_u32 s15, s27, -1
	s_mov_b64 s[38:39], 0
	s_mov_b64 s[42:43], 0
                                        ; implicit-def: $sgpr40_sgpr41
	s_branch .LBB493_213
.LBB493_211:                            ;   in Loop: Header=BB493_213 Depth=1
	global_load_dword v36, v[34:35], off
	global_load_dword v37, v[32:33], off
	s_add_u32 s42, s42, 1
	s_addc_u32 s43, s43, 0
	s_andn2_b64 s[40:41], s[40:41], exec
	v_lshl_add_u64 v[32:33], v[32:33], 0, 4
	v_lshl_add_u64 v[34:35], v[34:35], 0, 4
	s_waitcnt vmcnt(0)
	v_cmp_ne_u32_e32 vcc, v36, v37
	s_and_b64 s[44:45], vcc, exec
	s_or_b64 s[40:41], s[40:41], s[44:45]
.LBB493_212:                            ;   in Loop: Header=BB493_213 Depth=1
	s_and_b64 s[44:45], exec, s[40:41]
	s_or_b64 s[38:39], s[44:45], s[38:39]
	v_mov_b64_e32 v[36:37], s[42:43]
	s_andn2_b64 exec, exec, s[38:39]
	s_cbranch_execz .LBB493_215
.LBB493_213:                            ; =>This Inner Loop Header: Depth=1
	s_or_b64 s[40:41], s[40:41], exec
	s_cmp_eq_u64 s[14:15], s[42:43]
	s_cbranch_scc0 .LBB493_211
; %bb.214:                              ;   in Loop: Header=BB493_213 Depth=1
                                        ; implicit-def: $vgpr32_vgpr33
                                        ; implicit-def: $vgpr34_vgpr35
	s_mov_b64 s[42:43], s[26:27]
	s_branch .LBB493_212
.LBB493_215:
	s_or_b64 exec, exec, s[38:39]
	v_cmp_gt_i64_e32 vcc, s[26:27], v[36:37]
	s_orn2_b64 s[14:15], vcc, exec
.LBB493_216:
	s_or_b64 exec, exec, s[36:37]
.LBB493_217:
	v_mul_lo_u32 v34, v19, s26
	v_mul_lo_u32 v35, v18, s27
	v_mad_u64_u32 v[32:33], s[36:37], v18, s26, 0
	v_add3_u32 v33, v33, v35, v34
	s_mov_b64 s[36:37], 0
	s_and_b64 vcc, exec, s[4:5]
	v_lshl_add_u64 v[32:33], v[32:33], 2, s[28:29]
	s_mov_b64 s[38:39], 0
	s_cbranch_vccnz .LBB493_226
; %bb.218:
	global_load_dword v34, v[32:33], off
	global_load_dword v35, v[30:31], off
	s_mov_b64 s[38:39], -1
	s_waitcnt vmcnt(0)
	v_cmp_eq_u32_e32 vcc, v34, v35
	s_and_saveexec_b64 s[40:41], vcc
	s_cbranch_execz .LBB493_225
; %bb.219:
	s_add_u32 s38, s26, -1
	v_lshl_add_u64 v[30:31], v[30:31], 0, 4
	v_lshl_add_u64 v[34:35], v[32:33], 0, 4
	s_addc_u32 s39, s27, -1
	s_mov_b64 s[42:43], 0
	s_mov_b64 s[46:47], 0
                                        ; implicit-def: $sgpr44_sgpr45
	s_branch .LBB493_222
.LBB493_220:                            ;   in Loop: Header=BB493_222 Depth=1
	global_load_dword v36, v[34:35], off
	global_load_dword v37, v[30:31], off
	s_add_u32 s46, s46, 1
	s_addc_u32 s47, s47, 0
	s_andn2_b64 s[44:45], s[44:45], exec
	v_lshl_add_u64 v[30:31], v[30:31], 0, 4
	v_lshl_add_u64 v[34:35], v[34:35], 0, 4
	s_waitcnt vmcnt(0)
	v_cmp_ne_u32_e32 vcc, v36, v37
	s_and_b64 s[48:49], vcc, exec
	s_or_b64 s[44:45], s[44:45], s[48:49]
.LBB493_221:                            ;   in Loop: Header=BB493_222 Depth=1
	s_and_b64 s[48:49], exec, s[44:45]
	s_or_b64 s[42:43], s[48:49], s[42:43]
	v_mov_b64_e32 v[36:37], s[46:47]
	s_andn2_b64 exec, exec, s[42:43]
	s_cbranch_execz .LBB493_224
.LBB493_222:                            ; =>This Inner Loop Header: Depth=1
	s_or_b64 s[44:45], s[44:45], exec
	s_cmp_eq_u64 s[38:39], s[46:47]
	s_cbranch_scc0 .LBB493_220
; %bb.223:                              ;   in Loop: Header=BB493_222 Depth=1
                                        ; implicit-def: $vgpr30_vgpr31
                                        ; implicit-def: $vgpr34_vgpr35
	s_mov_b64 s[46:47], s[26:27]
	s_branch .LBB493_221
.LBB493_224:
	s_or_b64 exec, exec, s[42:43]
	v_cmp_gt_i64_e32 vcc, s[26:27], v[36:37]
	s_orn2_b64 s[38:39], vcc, exec
.LBB493_225:
	s_or_b64 exec, exec, s[40:41]
.LBB493_226:
	v_mul_lo_u32 v34, v25, s26
	v_mul_lo_u32 v35, v24, s27
	v_mad_u64_u32 v[30:31], s[40:41], v24, s26, 0
	v_add3_u32 v31, v31, v35, v34
	s_and_b64 vcc, exec, s[4:5]
	v_lshl_add_u64 v[30:31], v[30:31], 2, s[28:29]
	s_cbranch_vccnz .LBB493_235
; %bb.227:
	global_load_dword v34, v[30:31], off
	global_load_dword v35, v[32:33], off
	s_mov_b64 s[36:37], -1
	s_waitcnt vmcnt(0)
	v_cmp_eq_u32_e32 vcc, v34, v35
	s_and_saveexec_b64 s[40:41], vcc
	s_cbranch_execz .LBB493_234
; %bb.228:
	s_add_u32 s36, s26, -1
	v_lshl_add_u64 v[32:33], v[32:33], 0, 4
	v_lshl_add_u64 v[34:35], v[30:31], 0, 4
	s_addc_u32 s37, s27, -1
	s_mov_b64 s[42:43], 0
	s_mov_b64 s[46:47], 0
                                        ; implicit-def: $sgpr44_sgpr45
	s_branch .LBB493_231
.LBB493_229:                            ;   in Loop: Header=BB493_231 Depth=1
	global_load_dword v36, v[34:35], off
	global_load_dword v37, v[32:33], off
	s_add_u32 s46, s46, 1
	s_addc_u32 s47, s47, 0
	s_andn2_b64 s[44:45], s[44:45], exec
	v_lshl_add_u64 v[32:33], v[32:33], 0, 4
	v_lshl_add_u64 v[34:35], v[34:35], 0, 4
	s_waitcnt vmcnt(0)
	v_cmp_ne_u32_e32 vcc, v36, v37
	s_and_b64 s[48:49], vcc, exec
	s_or_b64 s[44:45], s[44:45], s[48:49]
.LBB493_230:                            ;   in Loop: Header=BB493_231 Depth=1
	s_and_b64 s[48:49], exec, s[44:45]
	s_or_b64 s[42:43], s[48:49], s[42:43]
	v_mov_b64_e32 v[36:37], s[46:47]
	s_andn2_b64 exec, exec, s[42:43]
	s_cbranch_execz .LBB493_233
.LBB493_231:                            ; =>This Inner Loop Header: Depth=1
	s_or_b64 s[44:45], s[44:45], exec
	s_cmp_eq_u64 s[36:37], s[46:47]
	s_cbranch_scc0 .LBB493_229
; %bb.232:                              ;   in Loop: Header=BB493_231 Depth=1
                                        ; implicit-def: $vgpr32_vgpr33
                                        ; implicit-def: $vgpr34_vgpr35
	s_mov_b64 s[46:47], s[26:27]
	s_branch .LBB493_230
.LBB493_233:
	s_or_b64 exec, exec, s[42:43]
	v_cmp_gt_i64_e32 vcc, s[26:27], v[36:37]
	s_orn2_b64 s[36:37], vcc, exec
.LBB493_234:
	s_or_b64 exec, exec, s[40:41]
.LBB493_235:
	v_mul_lo_u32 v34, v23, s26
	v_mul_lo_u32 v35, v22, s27
	v_mad_u64_u32 v[32:33], s[40:41], v22, s26, 0
	v_add3_u32 v33, v33, v35, v34
	s_and_b64 vcc, exec, s[4:5]
	s_mov_b64 s[42:43], 0
	s_cbranch_vccnz .LBB493_244
; %bb.236:
	v_lshl_add_u64 v[34:35], v[32:33], 2, s[28:29]
	global_load_dword v36, v[34:35], off
	global_load_dword v37, v[30:31], off
	s_mov_b64 s[42:43], -1
	s_waitcnt vmcnt(0)
	v_cmp_eq_u32_e32 vcc, v36, v37
	s_and_saveexec_b64 s[40:41], vcc
	s_cbranch_execz .LBB493_243
; %bb.237:
	s_add_u32 s42, s26, -1
	v_lshl_add_u64 v[30:31], v[30:31], 0, 4
	v_lshl_add_u64 v[34:35], v[34:35], 0, 4
	s_addc_u32 s43, s27, -1
	s_mov_b64 s[44:45], 0
	s_mov_b64 s[48:49], 0
                                        ; implicit-def: $sgpr46_sgpr47
	s_branch .LBB493_240
.LBB493_238:                            ;   in Loop: Header=BB493_240 Depth=1
	global_load_dword v36, v[34:35], off
	global_load_dword v37, v[30:31], off
	s_add_u32 s48, s48, 1
	s_addc_u32 s49, s49, 0
	s_andn2_b64 s[46:47], s[46:47], exec
	v_lshl_add_u64 v[30:31], v[30:31], 0, 4
	v_lshl_add_u64 v[34:35], v[34:35], 0, 4
	s_waitcnt vmcnt(0)
	v_cmp_ne_u32_e32 vcc, v36, v37
	s_and_b64 s[50:51], vcc, exec
	s_or_b64 s[46:47], s[46:47], s[50:51]
.LBB493_239:                            ;   in Loop: Header=BB493_240 Depth=1
	s_and_b64 s[50:51], exec, s[46:47]
	s_or_b64 s[44:45], s[50:51], s[44:45]
	v_mov_b64_e32 v[36:37], s[48:49]
	s_andn2_b64 exec, exec, s[44:45]
	s_cbranch_execz .LBB493_242
.LBB493_240:                            ; =>This Inner Loop Header: Depth=1
	s_or_b64 s[46:47], s[46:47], exec
	s_cmp_eq_u64 s[42:43], s[48:49]
	s_cbranch_scc0 .LBB493_238
; %bb.241:                              ;   in Loop: Header=BB493_240 Depth=1
                                        ; implicit-def: $vgpr30_vgpr31
                                        ; implicit-def: $vgpr34_vgpr35
	s_mov_b64 s[48:49], s[26:27]
	s_branch .LBB493_239
.LBB493_242:
	s_or_b64 exec, exec, s[44:45]
	v_cmp_gt_i64_e32 vcc, s[26:27], v[36:37]
	s_orn2_b64 s[42:43], vcc, exec
.LBB493_243:
	s_or_b64 exec, exec, s[40:41]
.LBB493_244:
	v_cndmask_b32_e64 v31, 0, 1, s[38:39]
	v_cndmask_b32_e64 v30, 0, 1, s[36:37]
	;; [unrolled: 1-line block ×3, first 2 shown]
	v_lshlrev_b16_e32 v31, 8, v31
	v_cndmask_b32_e64 v46, 0, 1, s[14:15]
	v_cndmask_b32_e64 v34, 0, 1, s[42:43]
	v_or_b32_sdwa v30, v30, v31 dst_sel:WORD_1 dst_unused:UNUSED_PAD src0_sel:DWORD src1_sel:DWORD
	v_lshlrev_b16_e32 v31, 8, v47
	v_lshlrev_b16_e32 v34, 8, v34
	v_or_b32_e32 v31, v46, v31
	v_or_b32_e32 v34, 1, v34
	v_and_b32_e32 v31, 0xffff, v31
	v_cndmask_b32_e64 v48, 0, 1, s[12:13]
	v_or_b32_sdwa v30, v34, v30 dst_sel:DWORD dst_unused:UNUSED_PAD src0_sel:WORD_0 src1_sel:DWORD
	v_lshl_or_b32 v31, v48, 16, v31
	v_cmp_ne_u32_e32 vcc, 0, v0
	s_waitcnt lgkmcnt(0)
	s_barrier
	s_waitcnt lgkmcnt(0)
                                        ; implicit-def: $sgpr18_sgpr19
                                        ; implicit-def: $vgpr34
	s_and_saveexec_b64 s[12:13], vcc
	s_xor_b64 s[12:13], exec, s[12:13]
	s_cbranch_execz .LBB493_255
; %bb.245:
	s_mov_b32 s33, 0x3020104
	s_and_b64 vcc, exec, s[4:5]
	s_mov_b64 s[14:15], 0
	s_cbranch_vccnz .LBB493_254
; %bb.246:
	v_add_u32_e32 v31, -8, v44
	ds_read_b64 v[34:35], v31
	v_lshl_add_u64 v[32:33], v[32:33], 2, s[28:29]
	s_mov_b64 s[14:15], -1
	s_waitcnt lgkmcnt(0)
	v_mul_lo_u32 v31, v35, s26
	v_mul_lo_u32 v36, v34, s27
	v_mad_u64_u32 v[34:35], s[4:5], v34, s26, 0
	v_add3_u32 v35, v35, v36, v31
	v_lshl_add_u64 v[34:35], v[34:35], 2, s[28:29]
	global_load_dword v31, v[34:35], off
	global_load_dword v36, v[32:33], off
	s_waitcnt vmcnt(0)
	v_cmp_eq_u32_e32 vcc, v31, v36
	s_and_saveexec_b64 s[4:5], vcc
	s_cbranch_execz .LBB493_253
; %bb.247:
	s_add_u32 s14, s26, -1
	v_lshl_add_u64 v[32:33], v[32:33], 0, 4
	v_lshl_add_u64 v[34:35], v[34:35], 0, 4
	s_addc_u32 s15, s27, -1
	s_mov_b64 s[18:19], 0
	s_mov_b64 s[38:39], 0
                                        ; implicit-def: $sgpr36_sgpr37
	s_branch .LBB493_250
.LBB493_248:                            ;   in Loop: Header=BB493_250 Depth=1
	global_load_dword v31, v[34:35], off
	global_load_dword v36, v[32:33], off
	s_add_u32 s38, s38, 1
	s_addc_u32 s39, s39, 0
	s_andn2_b64 s[36:37], s[36:37], exec
	v_lshl_add_u64 v[32:33], v[32:33], 0, 4
	v_lshl_add_u64 v[34:35], v[34:35], 0, 4
	s_waitcnt vmcnt(0)
	v_cmp_ne_u32_e32 vcc, v31, v36
	s_and_b64 s[40:41], vcc, exec
	s_or_b64 s[36:37], s[36:37], s[40:41]
.LBB493_249:                            ;   in Loop: Header=BB493_250 Depth=1
	s_and_b64 s[40:41], exec, s[36:37]
	s_or_b64 s[18:19], s[40:41], s[18:19]
	v_mov_b64_e32 v[36:37], s[38:39]
	s_andn2_b64 exec, exec, s[18:19]
	s_cbranch_execz .LBB493_252
.LBB493_250:                            ; =>This Inner Loop Header: Depth=1
	s_or_b64 s[36:37], s[36:37], exec
	s_cmp_eq_u64 s[14:15], s[38:39]
	s_cbranch_scc0 .LBB493_248
; %bb.251:                              ;   in Loop: Header=BB493_250 Depth=1
                                        ; implicit-def: $vgpr32_vgpr33
                                        ; implicit-def: $vgpr34_vgpr35
	s_mov_b64 s[38:39], s[26:27]
	s_branch .LBB493_249
.LBB493_252:
	s_or_b64 exec, exec, s[18:19]
	v_cmp_gt_i64_e32 vcc, s[26:27], v[36:37]
	s_orn2_b64 s[14:15], vcc, exec
.LBB493_253:
	s_or_b64 exec, exec, s[4:5]
.LBB493_254:
	v_perm_b32 v34, v30, v30, s33
	s_and_b64 s[18:19], s[14:15], exec
	s_or_b64 s[10:11], s[10:11], exec
                                        ; implicit-def: $vgpr30_vgpr31
.LBB493_255:
	s_or_b64 exec, exec, s[12:13]
	s_branch .LBB493_336
.LBB493_256:
	v_cmp_gt_u32_e32 vcc, s3, v40
	s_mov_b64 s[12:13], 0
	s_mov_b64 s[4:5], 0
	s_and_saveexec_b64 s[14:15], vcc
	s_cbranch_execz .LBB493_267
; %bb.257:
	s_andn2_b64 vcc, exec, s[6:7]
	s_mov_b64 s[18:19], 0
	s_cbranch_vccnz .LBB493_266
; %bb.258:
	v_mul_lo_u32 v32, v17, s26
	v_mul_lo_u32 v33, v16, s27
	v_mad_u64_u32 v[30:31], s[4:5], v16, s26, 0
	v_add3_u32 v31, v31, v33, v32
	v_mul_lo_u32 v32, v29, s26
	v_mul_lo_u32 v33, v28, s27
	v_mad_u64_u32 v[34:35], s[4:5], v28, s26, 0
	v_add3_u32 v35, v35, v33, v32
	v_lshl_add_u64 v[32:33], v[30:31], 2, s[28:29]
	v_lshl_add_u64 v[30:31], v[34:35], 2, s[28:29]
	global_load_dword v34, v[32:33], off
	global_load_dword v35, v[30:31], off
	s_mov_b64 s[18:19], -1
	s_waitcnt vmcnt(0)
	v_cmp_eq_u32_e32 vcc, v34, v35
	s_and_saveexec_b64 s[4:5], vcc
	s_cbranch_execz .LBB493_265
; %bb.259:
	s_add_u32 s18, s26, -1
	v_lshl_add_u64 v[30:31], v[30:31], 0, 4
	v_lshl_add_u64 v[32:33], v[32:33], 0, 4
	s_addc_u32 s19, s27, -1
	s_mov_b64 s[36:37], 0
	s_mov_b64 s[40:41], 0
                                        ; implicit-def: $sgpr38_sgpr39
	s_branch .LBB493_262
.LBB493_260:                            ;   in Loop: Header=BB493_262 Depth=1
	global_load_dword v34, v[32:33], off
	global_load_dword v35, v[30:31], off
	s_add_u32 s40, s40, 1
	s_addc_u32 s41, s41, 0
	s_andn2_b64 s[38:39], s[38:39], exec
	v_lshl_add_u64 v[30:31], v[30:31], 0, 4
	v_lshl_add_u64 v[32:33], v[32:33], 0, 4
	s_waitcnt vmcnt(0)
	v_cmp_ne_u32_e32 vcc, v34, v35
	s_and_b64 s[42:43], vcc, exec
	s_or_b64 s[38:39], s[38:39], s[42:43]
.LBB493_261:                            ;   in Loop: Header=BB493_262 Depth=1
	s_and_b64 s[42:43], exec, s[38:39]
	s_or_b64 s[36:37], s[42:43], s[36:37]
	v_mov_b64_e32 v[34:35], s[40:41]
	s_andn2_b64 exec, exec, s[36:37]
	s_cbranch_execz .LBB493_264
.LBB493_262:                            ; =>This Inner Loop Header: Depth=1
	s_or_b64 s[38:39], s[38:39], exec
	s_cmp_eq_u64 s[18:19], s[40:41]
	s_cbranch_scc0 .LBB493_260
; %bb.263:                              ;   in Loop: Header=BB493_262 Depth=1
                                        ; implicit-def: $vgpr30_vgpr31
                                        ; implicit-def: $vgpr32_vgpr33
	s_mov_b64 s[40:41], s[26:27]
	s_branch .LBB493_261
.LBB493_264:
	s_or_b64 exec, exec, s[36:37]
	v_cmp_gt_i64_e32 vcc, s[26:27], v[34:35]
	s_orn2_b64 s[18:19], vcc, exec
.LBB493_265:
	s_or_b64 exec, exec, s[4:5]
.LBB493_266:
	s_and_b64 s[4:5], s[18:19], exec
.LBB493_267:
	s_or_b64 exec, exec, s[14:15]
	v_cmp_gt_u32_e32 vcc, s3, v43
	s_and_saveexec_b64 s[14:15], vcc
	s_cbranch_execz .LBB493_278
; %bb.268:
	s_andn2_b64 vcc, exec, s[6:7]
	s_mov_b64 s[18:19], 0
	s_cbranch_vccnz .LBB493_277
; %bb.269:
	v_mul_lo_u32 v32, v15, s26
	v_mul_lo_u32 v33, v14, s27
	v_mad_u64_u32 v[30:31], s[12:13], v14, s26, 0
	v_add3_u32 v31, v31, v33, v32
	v_mul_lo_u32 v32, v17, s26
	v_mul_lo_u32 v33, v16, s27
	v_mad_u64_u32 v[34:35], s[12:13], v16, s26, 0
	v_add3_u32 v35, v35, v33, v32
	v_lshl_add_u64 v[32:33], v[30:31], 2, s[28:29]
	v_lshl_add_u64 v[30:31], v[34:35], 2, s[28:29]
	global_load_dword v34, v[32:33], off
	global_load_dword v35, v[30:31], off
	s_mov_b64 s[18:19], -1
	s_waitcnt vmcnt(0)
	v_cmp_eq_u32_e32 vcc, v34, v35
	s_and_saveexec_b64 s[12:13], vcc
	s_cbranch_execz .LBB493_276
; %bb.270:
	s_add_u32 s18, s26, -1
	v_lshl_add_u64 v[30:31], v[30:31], 0, 4
	v_lshl_add_u64 v[32:33], v[32:33], 0, 4
	s_addc_u32 s19, s27, -1
	s_mov_b64 s[36:37], 0
	s_mov_b64 s[40:41], 0
                                        ; implicit-def: $sgpr38_sgpr39
	s_branch .LBB493_273
.LBB493_271:                            ;   in Loop: Header=BB493_273 Depth=1
	global_load_dword v34, v[32:33], off
	global_load_dword v35, v[30:31], off
	s_add_u32 s40, s40, 1
	s_addc_u32 s41, s41, 0
	s_andn2_b64 s[38:39], s[38:39], exec
	v_lshl_add_u64 v[30:31], v[30:31], 0, 4
	v_lshl_add_u64 v[32:33], v[32:33], 0, 4
	s_waitcnt vmcnt(0)
	v_cmp_ne_u32_e32 vcc, v34, v35
	s_and_b64 s[42:43], vcc, exec
	s_or_b64 s[38:39], s[38:39], s[42:43]
.LBB493_272:                            ;   in Loop: Header=BB493_273 Depth=1
	s_and_b64 s[42:43], exec, s[38:39]
	s_or_b64 s[36:37], s[42:43], s[36:37]
	v_mov_b64_e32 v[34:35], s[40:41]
	s_andn2_b64 exec, exec, s[36:37]
	s_cbranch_execz .LBB493_275
.LBB493_273:                            ; =>This Inner Loop Header: Depth=1
	s_or_b64 s[38:39], s[38:39], exec
	s_cmp_eq_u64 s[18:19], s[40:41]
	s_cbranch_scc0 .LBB493_271
; %bb.274:                              ;   in Loop: Header=BB493_273 Depth=1
                                        ; implicit-def: $vgpr30_vgpr31
                                        ; implicit-def: $vgpr32_vgpr33
	s_mov_b64 s[40:41], s[26:27]
	s_branch .LBB493_272
.LBB493_275:
	s_or_b64 exec, exec, s[36:37]
	v_cmp_gt_i64_e32 vcc, s[26:27], v[34:35]
	s_orn2_b64 s[18:19], vcc, exec
.LBB493_276:
	s_or_b64 exec, exec, s[12:13]
.LBB493_277:
	s_and_b64 s[12:13], s[18:19], exec
.LBB493_278:
	s_or_b64 exec, exec, s[14:15]
	v_cmp_gt_u32_e32 vcc, s3, v39
	s_mov_b64 s[18:19], 0
	s_mov_b64 s[14:15], 0
	s_and_saveexec_b64 s[36:37], vcc
	s_cbranch_execz .LBB493_289
; %bb.279:
	s_andn2_b64 vcc, exec, s[6:7]
	s_mov_b64 s[38:39], 0
	s_cbranch_vccnz .LBB493_288
; %bb.280:
	v_mul_lo_u32 v32, v21, s26
	v_mul_lo_u32 v33, v20, s27
	v_mad_u64_u32 v[30:31], s[14:15], v20, s26, 0
	v_add3_u32 v31, v31, v33, v32
	v_mul_lo_u32 v32, v15, s26
	v_mul_lo_u32 v33, v14, s27
	v_mad_u64_u32 v[34:35], s[14:15], v14, s26, 0
	v_add3_u32 v35, v35, v33, v32
	v_lshl_add_u64 v[32:33], v[30:31], 2, s[28:29]
	v_lshl_add_u64 v[30:31], v[34:35], 2, s[28:29]
	global_load_dword v34, v[32:33], off
	global_load_dword v35, v[30:31], off
	s_mov_b64 s[38:39], -1
	s_waitcnt vmcnt(0)
	v_cmp_eq_u32_e32 vcc, v34, v35
	s_and_saveexec_b64 s[14:15], vcc
	s_cbranch_execz .LBB493_287
; %bb.281:
	s_add_u32 s38, s26, -1
	v_lshl_add_u64 v[30:31], v[30:31], 0, 4
	v_lshl_add_u64 v[32:33], v[32:33], 0, 4
	s_addc_u32 s39, s27, -1
	s_mov_b64 s[40:41], 0
	s_mov_b64 s[44:45], 0
                                        ; implicit-def: $sgpr42_sgpr43
	s_branch .LBB493_284
.LBB493_282:                            ;   in Loop: Header=BB493_284 Depth=1
	global_load_dword v34, v[32:33], off
	global_load_dword v35, v[30:31], off
	s_add_u32 s44, s44, 1
	s_addc_u32 s45, s45, 0
	s_andn2_b64 s[42:43], s[42:43], exec
	v_lshl_add_u64 v[30:31], v[30:31], 0, 4
	v_lshl_add_u64 v[32:33], v[32:33], 0, 4
	s_waitcnt vmcnt(0)
	v_cmp_ne_u32_e32 vcc, v34, v35
	s_and_b64 s[46:47], vcc, exec
	s_or_b64 s[42:43], s[42:43], s[46:47]
.LBB493_283:                            ;   in Loop: Header=BB493_284 Depth=1
	s_and_b64 s[46:47], exec, s[42:43]
	s_or_b64 s[40:41], s[46:47], s[40:41]
	v_mov_b64_e32 v[34:35], s[44:45]
	s_andn2_b64 exec, exec, s[40:41]
	s_cbranch_execz .LBB493_286
.LBB493_284:                            ; =>This Inner Loop Header: Depth=1
	s_or_b64 s[42:43], s[42:43], exec
	s_cmp_eq_u64 s[38:39], s[44:45]
	s_cbranch_scc0 .LBB493_282
; %bb.285:                              ;   in Loop: Header=BB493_284 Depth=1
                                        ; implicit-def: $vgpr30_vgpr31
                                        ; implicit-def: $vgpr32_vgpr33
	s_mov_b64 s[44:45], s[26:27]
	s_branch .LBB493_283
.LBB493_286:
	s_or_b64 exec, exec, s[40:41]
	v_cmp_gt_i64_e32 vcc, s[26:27], v[34:35]
	s_orn2_b64 s[38:39], vcc, exec
.LBB493_287:
	s_or_b64 exec, exec, s[14:15]
.LBB493_288:
	s_and_b64 s[14:15], s[38:39], exec
.LBB493_289:
	s_or_b64 exec, exec, s[36:37]
	v_cmp_gt_u32_e32 vcc, s3, v42
	s_and_saveexec_b64 s[36:37], vcc
	s_cbranch_execz .LBB493_300
; %bb.290:
	s_andn2_b64 vcc, exec, s[6:7]
	s_mov_b64 s[38:39], 0
	s_cbranch_vccnz .LBB493_299
; %bb.291:
	v_mul_lo_u32 v32, v19, s26
	v_mul_lo_u32 v33, v18, s27
	v_mad_u64_u32 v[30:31], s[18:19], v18, s26, 0
	v_add3_u32 v31, v31, v33, v32
	v_mul_lo_u32 v32, v21, s26
	v_mul_lo_u32 v33, v20, s27
	v_mad_u64_u32 v[34:35], s[18:19], v20, s26, 0
	v_add3_u32 v35, v35, v33, v32
	v_lshl_add_u64 v[32:33], v[30:31], 2, s[28:29]
	v_lshl_add_u64 v[30:31], v[34:35], 2, s[28:29]
	global_load_dword v34, v[32:33], off
	global_load_dword v35, v[30:31], off
	s_mov_b64 s[38:39], -1
	s_waitcnt vmcnt(0)
	v_cmp_eq_u32_e32 vcc, v34, v35
	s_and_saveexec_b64 s[18:19], vcc
	s_cbranch_execz .LBB493_298
; %bb.292:
	s_add_u32 s38, s26, -1
	v_lshl_add_u64 v[30:31], v[30:31], 0, 4
	v_lshl_add_u64 v[32:33], v[32:33], 0, 4
	s_addc_u32 s39, s27, -1
	s_mov_b64 s[40:41], 0
	s_mov_b64 s[44:45], 0
                                        ; implicit-def: $sgpr42_sgpr43
	s_branch .LBB493_295
.LBB493_293:                            ;   in Loop: Header=BB493_295 Depth=1
	global_load_dword v34, v[32:33], off
	global_load_dword v35, v[30:31], off
	s_add_u32 s44, s44, 1
	s_addc_u32 s45, s45, 0
	s_andn2_b64 s[42:43], s[42:43], exec
	v_lshl_add_u64 v[30:31], v[30:31], 0, 4
	v_lshl_add_u64 v[32:33], v[32:33], 0, 4
	s_waitcnt vmcnt(0)
	v_cmp_ne_u32_e32 vcc, v34, v35
	s_and_b64 s[46:47], vcc, exec
	s_or_b64 s[42:43], s[42:43], s[46:47]
.LBB493_294:                            ;   in Loop: Header=BB493_295 Depth=1
	s_and_b64 s[46:47], exec, s[42:43]
	s_or_b64 s[40:41], s[46:47], s[40:41]
	v_mov_b64_e32 v[34:35], s[44:45]
	s_andn2_b64 exec, exec, s[40:41]
	s_cbranch_execz .LBB493_297
.LBB493_295:                            ; =>This Inner Loop Header: Depth=1
	s_or_b64 s[42:43], s[42:43], exec
	s_cmp_eq_u64 s[38:39], s[44:45]
	s_cbranch_scc0 .LBB493_293
; %bb.296:                              ;   in Loop: Header=BB493_295 Depth=1
                                        ; implicit-def: $vgpr30_vgpr31
                                        ; implicit-def: $vgpr32_vgpr33
	s_mov_b64 s[44:45], s[26:27]
	s_branch .LBB493_294
.LBB493_297:
	s_or_b64 exec, exec, s[40:41]
	v_cmp_gt_i64_e32 vcc, s[26:27], v[34:35]
	s_orn2_b64 s[38:39], vcc, exec
.LBB493_298:
	s_or_b64 exec, exec, s[18:19]
.LBB493_299:
	s_and_b64 s[18:19], s[38:39], exec
.LBB493_300:
	s_or_b64 exec, exec, s[36:37]
	v_cmp_gt_u32_e32 vcc, s3, v38
	s_mov_b64 s[36:37], 0
	s_mov_b64 s[38:39], 0
	s_and_saveexec_b64 s[40:41], vcc
	s_cbranch_execz .LBB493_311
; %bb.301:
	s_andn2_b64 vcc, exec, s[6:7]
	s_mov_b64 s[42:43], 0
	s_cbranch_vccnz .LBB493_310
; %bb.302:
	v_mul_lo_u32 v32, v25, s26
	v_mul_lo_u32 v33, v24, s27
	v_mad_u64_u32 v[30:31], s[38:39], v24, s26, 0
	v_add3_u32 v31, v31, v33, v32
	v_mul_lo_u32 v32, v19, s26
	v_mul_lo_u32 v33, v18, s27
	v_mad_u64_u32 v[34:35], s[38:39], v18, s26, 0
	v_add3_u32 v35, v35, v33, v32
	v_lshl_add_u64 v[32:33], v[30:31], 2, s[28:29]
	v_lshl_add_u64 v[30:31], v[34:35], 2, s[28:29]
	global_load_dword v34, v[32:33], off
	global_load_dword v35, v[30:31], off
	s_mov_b64 s[42:43], -1
	s_waitcnt vmcnt(0)
	v_cmp_eq_u32_e32 vcc, v34, v35
	s_and_saveexec_b64 s[38:39], vcc
	s_cbranch_execz .LBB493_309
; %bb.303:
	s_add_u32 s42, s26, -1
	v_lshl_add_u64 v[30:31], v[30:31], 0, 4
	v_lshl_add_u64 v[32:33], v[32:33], 0, 4
	s_addc_u32 s43, s27, -1
	s_mov_b64 s[44:45], 0
	s_mov_b64 s[48:49], 0
                                        ; implicit-def: $sgpr46_sgpr47
	s_branch .LBB493_306
.LBB493_304:                            ;   in Loop: Header=BB493_306 Depth=1
	global_load_dword v34, v[32:33], off
	global_load_dword v35, v[30:31], off
	s_add_u32 s48, s48, 1
	s_addc_u32 s49, s49, 0
	s_andn2_b64 s[46:47], s[46:47], exec
	v_lshl_add_u64 v[30:31], v[30:31], 0, 4
	v_lshl_add_u64 v[32:33], v[32:33], 0, 4
	s_waitcnt vmcnt(0)
	v_cmp_ne_u32_e32 vcc, v34, v35
	s_and_b64 s[50:51], vcc, exec
	s_or_b64 s[46:47], s[46:47], s[50:51]
.LBB493_305:                            ;   in Loop: Header=BB493_306 Depth=1
	s_and_b64 s[50:51], exec, s[46:47]
	s_or_b64 s[44:45], s[50:51], s[44:45]
	v_mov_b64_e32 v[34:35], s[48:49]
	s_andn2_b64 exec, exec, s[44:45]
	s_cbranch_execz .LBB493_308
.LBB493_306:                            ; =>This Inner Loop Header: Depth=1
	s_or_b64 s[46:47], s[46:47], exec
	s_cmp_eq_u64 s[42:43], s[48:49]
	s_cbranch_scc0 .LBB493_304
; %bb.307:                              ;   in Loop: Header=BB493_306 Depth=1
                                        ; implicit-def: $vgpr30_vgpr31
                                        ; implicit-def: $vgpr32_vgpr33
	s_mov_b64 s[48:49], s[26:27]
	s_branch .LBB493_305
.LBB493_308:
	s_or_b64 exec, exec, s[44:45]
	v_cmp_gt_i64_e32 vcc, s[26:27], v[34:35]
	s_orn2_b64 s[42:43], vcc, exec
.LBB493_309:
	s_or_b64 exec, exec, s[38:39]
.LBB493_310:
	s_and_b64 s[38:39], s[42:43], exec
.LBB493_311:
	s_or_b64 exec, exec, s[40:41]
	v_cmp_gt_u32_e32 vcc, s3, v41
	s_and_saveexec_b64 s[40:41], vcc
	s_cbranch_execz .LBB493_322
; %bb.312:
	s_andn2_b64 vcc, exec, s[6:7]
	s_mov_b64 s[42:43], 0
	s_cbranch_vccnz .LBB493_321
; %bb.313:
	v_mul_lo_u32 v32, v23, s26
	v_mul_lo_u32 v33, v22, s27
	v_mad_u64_u32 v[30:31], s[36:37], v22, s26, 0
	v_add3_u32 v31, v31, v33, v32
	v_mul_lo_u32 v32, v25, s26
	v_mul_lo_u32 v33, v24, s27
	v_mad_u64_u32 v[34:35], s[36:37], v24, s26, 0
	v_add3_u32 v35, v35, v33, v32
	v_lshl_add_u64 v[32:33], v[30:31], 2, s[28:29]
	v_lshl_add_u64 v[30:31], v[34:35], 2, s[28:29]
	global_load_dword v34, v[32:33], off
	global_load_dword v35, v[30:31], off
	s_mov_b64 s[42:43], -1
	s_waitcnt vmcnt(0)
	v_cmp_eq_u32_e32 vcc, v34, v35
	s_and_saveexec_b64 s[36:37], vcc
	s_cbranch_execz .LBB493_320
; %bb.314:
	s_add_u32 s42, s26, -1
	v_lshl_add_u64 v[30:31], v[30:31], 0, 4
	v_lshl_add_u64 v[32:33], v[32:33], 0, 4
	s_addc_u32 s43, s27, -1
	s_mov_b64 s[44:45], 0
	s_mov_b64 s[48:49], 0
                                        ; implicit-def: $sgpr46_sgpr47
	s_branch .LBB493_317
.LBB493_315:                            ;   in Loop: Header=BB493_317 Depth=1
	global_load_dword v34, v[32:33], off
	global_load_dword v35, v[30:31], off
	s_add_u32 s48, s48, 1
	s_addc_u32 s49, s49, 0
	s_andn2_b64 s[46:47], s[46:47], exec
	v_lshl_add_u64 v[30:31], v[30:31], 0, 4
	v_lshl_add_u64 v[32:33], v[32:33], 0, 4
	s_waitcnt vmcnt(0)
	v_cmp_ne_u32_e32 vcc, v34, v35
	s_and_b64 s[50:51], vcc, exec
	s_or_b64 s[46:47], s[46:47], s[50:51]
.LBB493_316:                            ;   in Loop: Header=BB493_317 Depth=1
	s_and_b64 s[50:51], exec, s[46:47]
	s_or_b64 s[44:45], s[50:51], s[44:45]
	v_mov_b64_e32 v[34:35], s[48:49]
	s_andn2_b64 exec, exec, s[44:45]
	s_cbranch_execz .LBB493_319
.LBB493_317:                            ; =>This Inner Loop Header: Depth=1
	s_or_b64 s[46:47], s[46:47], exec
	s_cmp_eq_u64 s[42:43], s[48:49]
	s_cbranch_scc0 .LBB493_315
; %bb.318:                              ;   in Loop: Header=BB493_317 Depth=1
                                        ; implicit-def: $vgpr30_vgpr31
                                        ; implicit-def: $vgpr32_vgpr33
	s_mov_b64 s[48:49], s[26:27]
	s_branch .LBB493_316
.LBB493_319:
	s_or_b64 exec, exec, s[44:45]
	v_cmp_gt_i64_e32 vcc, s[26:27], v[34:35]
	s_orn2_b64 s[42:43], vcc, exec
.LBB493_320:
	s_or_b64 exec, exec, s[36:37]
.LBB493_321:
	s_and_b64 s[36:37], s[42:43], exec
.LBB493_322:
	s_or_b64 exec, exec, s[40:41]
	v_cndmask_b32_e64 v31, 0, 1, s[18:19]
	v_cndmask_b32_e64 v30, 0, 1, s[38:39]
	;; [unrolled: 1-line block ×3, first 2 shown]
	v_lshlrev_b16_e32 v31, 8, v31
	v_cndmask_b32_e64 v46, 0, 1, s[14:15]
	v_cndmask_b32_e64 v32, 0, 1, s[36:37]
	v_or_b32_sdwa v30, v30, v31 dst_sel:WORD_1 dst_unused:UNUSED_PAD src0_sel:DWORD src1_sel:DWORD
	v_lshlrev_b16_e32 v31, 8, v47
	v_lshlrev_b16_e32 v32, 8, v32
	v_or_b32_e32 v31, v46, v31
	v_or_b32_e32 v32, 1, v32
	v_and_b32_e32 v31, 0xffff, v31
	v_cndmask_b32_e64 v48, 0, 1, s[4:5]
	v_or_b32_sdwa v30, v32, v30 dst_sel:DWORD dst_unused:UNUSED_PAD src0_sel:WORD_0 src1_sel:DWORD
	v_lshl_or_b32 v31, v48, 16, v31
	v_cmp_ne_u32_e32 vcc, 0, v0
	s_waitcnt lgkmcnt(0)
	s_barrier
	s_waitcnt lgkmcnt(0)
                                        ; implicit-def: $sgpr18_sgpr19
                                        ; implicit-def: $vgpr34
	s_and_saveexec_b64 s[4:5], vcc
	s_cbranch_execz .LBB493_335
; %bb.323:
	v_cmp_gt_u32_e32 vcc, s3, v1
	s_mov_b32 s33, 0x3020104
	s_mov_b64 s[14:15], 0
	s_and_saveexec_b64 s[12:13], vcc
	s_cbranch_execz .LBB493_334
; %bb.324:
	s_andn2_b64 vcc, exec, s[6:7]
	s_cbranch_vccnz .LBB493_333
; %bb.325:
	v_add_u32_e32 v31, -8, v44
	ds_read_b64 v[32:33], v31
	v_mul_lo_u32 v31, v23, s26
	v_mad_u64_u32 v[36:37], s[6:7], v22, s26, 0
	s_mov_b64 s[14:15], -1
	s_waitcnt lgkmcnt(0)
	v_mul_lo_u32 v34, v33, s26
	v_mul_lo_u32 v35, v32, s27
	v_mad_u64_u32 v[32:33], s[6:7], v32, s26, 0
	v_add3_u32 v33, v33, v35, v34
	v_mul_lo_u32 v34, v22, s27
	v_add3_u32 v37, v37, v34, v31
	v_lshl_add_u64 v[34:35], v[32:33], 2, s[28:29]
	v_lshl_add_u64 v[32:33], v[36:37], 2, s[28:29]
	global_load_dword v31, v[34:35], off
	global_load_dword v36, v[32:33], off
	s_waitcnt vmcnt(0)
	v_cmp_eq_u32_e32 vcc, v31, v36
	s_and_saveexec_b64 s[6:7], vcc
	s_cbranch_execz .LBB493_332
; %bb.326:
	s_add_u32 s14, s26, -1
	v_lshl_add_u64 v[32:33], v[32:33], 0, 4
	v_lshl_add_u64 v[34:35], v[34:35], 0, 4
	s_addc_u32 s15, s27, -1
	s_mov_b64 s[18:19], 0
	s_mov_b64 s[36:37], 0
                                        ; implicit-def: $sgpr28_sgpr29
	s_branch .LBB493_329
.LBB493_327:                            ;   in Loop: Header=BB493_329 Depth=1
	global_load_dword v31, v[34:35], off
	global_load_dword v36, v[32:33], off
	s_add_u32 s36, s36, 1
	s_addc_u32 s37, s37, 0
	s_andn2_b64 s[28:29], s[28:29], exec
	v_lshl_add_u64 v[32:33], v[32:33], 0, 4
	v_lshl_add_u64 v[34:35], v[34:35], 0, 4
	s_waitcnt vmcnt(0)
	v_cmp_ne_u32_e32 vcc, v31, v36
	s_and_b64 s[38:39], vcc, exec
	s_or_b64 s[28:29], s[28:29], s[38:39]
.LBB493_328:                            ;   in Loop: Header=BB493_329 Depth=1
	s_and_b64 s[38:39], exec, s[28:29]
	s_or_b64 s[18:19], s[38:39], s[18:19]
	v_mov_b64_e32 v[36:37], s[36:37]
	s_andn2_b64 exec, exec, s[18:19]
	s_cbranch_execz .LBB493_331
.LBB493_329:                            ; =>This Inner Loop Header: Depth=1
	s_or_b64 s[28:29], s[28:29], exec
	s_cmp_eq_u64 s[14:15], s[36:37]
	s_cbranch_scc0 .LBB493_327
; %bb.330:                              ;   in Loop: Header=BB493_329 Depth=1
                                        ; implicit-def: $vgpr32_vgpr33
                                        ; implicit-def: $vgpr34_vgpr35
	s_mov_b64 s[36:37], s[26:27]
	s_branch .LBB493_328
.LBB493_331:
	s_or_b64 exec, exec, s[18:19]
	v_cmp_gt_i64_e32 vcc, s[26:27], v[36:37]
	s_orn2_b64 s[14:15], vcc, exec
.LBB493_332:
	s_or_b64 exec, exec, s[6:7]
.LBB493_333:
	s_and_b64 s[14:15], s[14:15], exec
.LBB493_334:
	s_or_b64 exec, exec, s[12:13]
	v_perm_b32 v34, v30, v30, s33
	s_and_b64 s[18:19], s[14:15], exec
	s_or_b64 s[10:11], s[10:11], exec
                                        ; implicit-def: $vgpr30_vgpr31
.LBB493_335:
	s_or_b64 exec, exec, s[4:5]
.LBB493_336:
	s_and_saveexec_b64 s[4:5], s[10:11]
	s_cbranch_execz .LBB493_338
; %bb.337:
	s_waitcnt lgkmcnt(0)
	v_lshlrev_b16_e32 v31, 8, v47
	v_and_b32_e32 v32, 0xff, v48
	v_or_b32_sdwa v31, v46, v31 dst_sel:DWORD dst_unused:UNUSED_PAD src0_sel:BYTE_0 src1_sel:DWORD
	v_lshlrev_b32_e32 v32, 16, v32
	s_movk_i32 s6, 0xff
	v_or_b32_sdwa v31, v31, v32 dst_sel:DWORD dst_unused:UNUSED_PAD src0_sel:WORD_0 src1_sel:DWORD
	v_lshrrev_b32_e32 v32, 24, v34
	v_lshlrev_b16_e32 v32, 8, v32
	v_and_b32_sdwa v33, v34, s6 dst_sel:DWORD dst_unused:UNUSED_PAD src0_sel:WORD_1 src1_sel:DWORD
	v_or_b32_sdwa v32, v33, v32 dst_sel:WORD_1 dst_unused:UNUSED_PAD src0_sel:DWORD src1_sel:DWORD
	v_mov_b32_e32 v33, 8
	v_cndmask_b32_e64 v30, 0, 1, s[18:19]
	v_lshrrev_b32_sdwa v33, v33, v34 dst_sel:BYTE_1 dst_unused:UNUSED_PAD src0_sel:DWORD src1_sel:DWORD
	s_nop 0
	v_or_b32_e32 v30, v30, v33
	v_or_b32_sdwa v30, v30, v32 dst_sel:DWORD dst_unused:UNUSED_PAD src0_sel:WORD_0 src1_sel:DWORD
.LBB493_338:
	s_or_b64 exec, exec, s[4:5]
	s_andn2_b64 vcc, exec, s[8:9]
	s_cbranch_vccnz .LBB493_340
; %bb.339:
	s_waitcnt lgkmcnt(0)
	v_and_b32_e32 v32, 0xffff0000, v30
	v_cmp_gt_u32_e32 vcc, s3, v1
	s_mov_b32 s4, 0x40c0100
	s_nop 0
	v_cndmask_b32_e32 v1, v32, v30, vcc
	v_and_b32_e32 v1, 0xffff00ff, v1
	v_cmp_gt_u32_e32 vcc, s3, v41
	s_nop 1
	v_cndmask_b32_e32 v1, v1, v30, vcc
	v_lshrrev_b32_e32 v32, 24, v1
	v_perm_b32 v1, v32, v1, s4
	v_cmp_gt_u32_e32 vcc, s3, v38
	v_and_b32_e32 v32, 0xffffff00, v31
	s_nop 0
	v_cndmask_b32_e32 v1, v1, v30, vcc
	v_and_b32_e32 v1, 0xffffff, v1
	v_cmp_gt_u32_e32 vcc, s3, v42
	s_nop 1
	v_cndmask_b32_e32 v1, v1, v30, vcc
	v_cmp_gt_u32_e32 vcc, s3, v39
	s_nop 1
	v_cndmask_b32_e32 v32, v32, v31, vcc
	v_and_b32_e32 v32, 0xffff00ff, v32
	v_cndmask_b32_e32 v1, v1, v30, vcc
	v_cmp_gt_u32_e32 vcc, s3, v43
	s_nop 1
	v_cndmask_b32_e32 v32, v32, v31, vcc
	v_lshrrev_b32_e32 v33, 24, v32
	v_cndmask_b32_e32 v1, v1, v30, vcc
	v_perm_b32 v32, v33, v32, s4
	v_cmp_gt_u32_e32 vcc, s3, v40
	s_mov_b32 s3, 0x3020104
	s_nop 0
	v_cndmask_b32_e32 v1, v1, v30, vcc
	v_cndmask_b32_e32 v30, v32, v31, vcc
	v_mov_b32_e32 v31, 8
	v_lshrrev_b32_sdwa v31, v31, v30 dst_sel:BYTE_1 dst_unused:UNUSED_PAD src0_sel:DWORD src1_sel:DWORD
	s_nop 0
	v_or_b32_sdwa v31, v30, v31 dst_sel:DWORD dst_unused:UNUSED_PAD src0_sel:BYTE_0 src1_sel:DWORD
	v_and_b32_e32 v31, 0xffff, v31
	v_bfe_u32 v30, v30, 16, 8
	v_lshl_or_b32 v31, v30, 16, v31
	v_perm_b32 v30, v1, v1, s3
.LBB493_340:
	s_waitcnt lgkmcnt(0)
	v_and_b32_e32 v1, 0xff, v30
	v_bfe_u32 v43, v30, 8, 8
	v_bfe_u32 v45, v30, 16, 8
	v_alignbit_b32 v32, v31, v30, 24
	v_and_b32_e32 v47, 0xff, v32
	v_and_b32_e32 v48, 0xff, v31
	v_add3_u32 v33, v43, v1, v45
	v_bfe_u32 v49, v31, 8, 8
	v_bfe_u32 v32, v31, 16, 8
	v_add3_u32 v33, v33, v47, v48
	v_add3_u32 v52, v33, v49, v32
	v_mbcnt_lo_u32_b32 v32, -1, 0
	v_mbcnt_hi_u32_b32 v50, -1, v32
	v_and_b32_e32 v32, 15, v50
	v_cmp_eq_u32_e64 s[14:15], 0, v32
	v_cmp_lt_u32_e64 s[12:13], 1, v32
	v_cmp_lt_u32_e64 s[10:11], 3, v32
	;; [unrolled: 1-line block ×3, first 2 shown]
	v_and_b32_e32 v32, 16, v50
	v_cmp_eq_u32_e64 s[6:7], 0, v32
	v_or_b32_e32 v32, 63, v0
	v_cmp_lt_u32_e64 s[18:19], 31, v50
	v_lshrrev_b32_e32 v51, 6, v0
	v_cmp_eq_u32_e64 s[4:5], v32, v0
	s_and_b64 vcc, exec, s[16:17]
	s_barrier
	s_cbranch_vccz .LBB493_371
; %bb.341:
	v_mov_b32_dpp v32, v52 row_shr:1 row_mask:0xf bank_mask:0xf
	v_cndmask_b32_e64 v32, v32, 0, s[14:15]
	v_add_u32_e32 v32, v32, v52
	s_nop 1
	v_mov_b32_dpp v33, v32 row_shr:2 row_mask:0xf bank_mask:0xf
	v_cndmask_b32_e64 v33, 0, v33, s[12:13]
	v_add_u32_e32 v32, v32, v33
	s_nop 1
	;; [unrolled: 4-line block ×4, first 2 shown]
	v_mov_b32_dpp v33, v32 row_bcast:15 row_mask:0xf bank_mask:0xf
	v_cndmask_b32_e64 v33, v33, 0, s[6:7]
	v_add_u32_e32 v32, v32, v33
	s_nop 1
	v_mov_b32_dpp v33, v32 row_bcast:31 row_mask:0xf bank_mask:0xf
	v_cndmask_b32_e64 v33, 0, v33, s[18:19]
	v_add_u32_e32 v32, v32, v33
	s_and_saveexec_b64 s[16:17], s[4:5]
	s_cbranch_execz .LBB493_343
; %bb.342:
	v_lshlrev_b32_e32 v33, 2, v51
	ds_write_b32 v33, v32
.LBB493_343:
	s_or_b64 exec, exec, s[16:17]
	v_cmp_gt_u32_e32 vcc, 8, v0
	s_waitcnt lgkmcnt(0)
	s_barrier
	s_and_saveexec_b64 s[16:17], vcc
	s_cbranch_execz .LBB493_345
; %bb.344:
	v_lshlrev_b32_e32 v33, 2, v0
	ds_read_b32 v34, v33
	v_and_b32_e32 v35, 7, v50
	v_cmp_ne_u32_e32 vcc, 0, v35
	s_waitcnt lgkmcnt(0)
	v_mov_b32_dpp v36, v34 row_shr:1 row_mask:0xf bank_mask:0xf
	v_cndmask_b32_e32 v36, 0, v36, vcc
	v_add_u32_e32 v34, v36, v34
	v_cmp_lt_u32_e32 vcc, 1, v35
	s_nop 0
	v_mov_b32_dpp v36, v34 row_shr:2 row_mask:0xf bank_mask:0xf
	v_cndmask_b32_e32 v36, 0, v36, vcc
	v_add_u32_e32 v34, v34, v36
	v_cmp_lt_u32_e32 vcc, 3, v35
	s_nop 0
	v_mov_b32_dpp v36, v34 row_shr:4 row_mask:0xf bank_mask:0xf
	v_cndmask_b32_e32 v35, 0, v36, vcc
	v_add_u32_e32 v34, v34, v35
	ds_write_b32 v33, v34
.LBB493_345:
	s_or_b64 exec, exec, s[16:17]
	v_cmp_gt_u32_e32 vcc, 64, v0
	v_cmp_lt_u32_e64 s[16:17], 63, v0
	s_waitcnt lgkmcnt(0)
	s_barrier
	s_waitcnt lgkmcnt(0)
                                        ; implicit-def: $vgpr42
	s_and_saveexec_b64 s[26:27], s[16:17]
	s_cbranch_execz .LBB493_347
; %bb.346:
	v_lshl_add_u32 v33, v51, 2, -4
	ds_read_b32 v42, v33
	s_waitcnt lgkmcnt(0)
	v_add_u32_e32 v32, v42, v32
.LBB493_347:
	s_or_b64 exec, exec, s[26:27]
	v_add_u32_e32 v33, -1, v50
	v_and_b32_e32 v34, 64, v50
	v_cmp_lt_i32_e64 s[16:17], v33, v34
	s_nop 1
	v_cndmask_b32_e64 v33, v33, v50, s[16:17]
	v_lshlrev_b32_e32 v33, 2, v33
	ds_bpermute_b32 v44, v33, v32
	v_cmp_eq_u32_e64 s[16:17], 0, v50
	s_and_saveexec_b64 s[26:27], vcc
	s_cbranch_execz .LBB493_370
; %bb.348:
	v_mov_b32_e32 v41, 0
	ds_read_b32 v32, v41 offset:28
	s_and_saveexec_b64 s[28:29], s[16:17]
	s_cbranch_execz .LBB493_350
; %bb.349:
	s_add_i32 s36, s2, 64
	s_mov_b32 s37, 0
	s_lshl_b64 s[36:37], s[36:37], 3
	s_add_u32 s36, s30, s36
	v_mov_b32_e32 v33, 1
	s_addc_u32 s37, s31, s37
	s_waitcnt lgkmcnt(0)
	global_store_dwordx2 v41, v[32:33], s[36:37] sc1
.LBB493_350:
	s_or_b64 exec, exec, s[28:29]
	v_xad_u32 v34, v50, -1, s2
	v_add_u32_e32 v40, 64, v34
	v_lshl_add_u64 v[36:37], v[40:41], 3, s[30:31]
	global_load_dwordx2 v[38:39], v[36:37], off sc1
	s_waitcnt vmcnt(0)
	v_cmp_eq_u16_sdwa s[36:37], v39, v41 src0_sel:BYTE_0 src1_sel:DWORD
	s_and_saveexec_b64 s[28:29], s[36:37]
	s_cbranch_execz .LBB493_356
; %bb.351:
	s_mov_b32 s3, 1
	s_mov_b64 s[36:37], 0
	v_mov_b32_e32 v33, 0
.LBB493_352:                            ; =>This Loop Header: Depth=1
                                        ;     Child Loop BB493_353 Depth 2
	s_max_u32 s33, s3, 1
.LBB493_353:                            ;   Parent Loop BB493_352 Depth=1
                                        ; =>  This Inner Loop Header: Depth=2
	s_add_i32 s33, s33, -1
	s_cmp_eq_u32 s33, 0
	s_sleep 1
	s_cbranch_scc0 .LBB493_353
; %bb.354:                              ;   in Loop: Header=BB493_352 Depth=1
	global_load_dwordx2 v[38:39], v[36:37], off sc1
	s_cmp_lt_u32 s3, 32
	s_cselect_b64 s[38:39], -1, 0
	s_cmp_lg_u64 s[38:39], 0
	s_addc_u32 s3, s3, 0
	s_waitcnt vmcnt(0)
	v_cmp_ne_u16_sdwa s[38:39], v39, v33 src0_sel:BYTE_0 src1_sel:DWORD
	s_or_b64 s[36:37], s[38:39], s[36:37]
	s_andn2_b64 exec, exec, s[36:37]
	s_cbranch_execnz .LBB493_352
; %bb.355:
	s_or_b64 exec, exec, s[36:37]
.LBB493_356:
	s_or_b64 exec, exec, s[28:29]
	v_and_b32_e32 v46, 63, v50
	v_mov_b32_e32 v33, 2
	v_cmp_ne_u32_e32 vcc, 63, v46
	v_cmp_eq_u16_sdwa s[28:29], v39, v33 src0_sel:BYTE_0 src1_sel:DWORD
	v_lshlrev_b64 v[36:37], v50, -1
	v_addc_co_u32_e32 v41, vcc, 0, v50, vcc
	v_and_b32_e32 v35, s29, v37
	v_lshlrev_b32_e32 v53, 2, v41
	v_or_b32_e32 v35, 0x80000000, v35
	ds_bpermute_b32 v41, v53, v38
	v_and_b32_e32 v40, s28, v36
	v_ffbl_b32_e32 v35, v35
	v_add_u32_e32 v35, 32, v35
	v_ffbl_b32_e32 v40, v40
	v_min_u32_e32 v35, v40, v35
	v_cmp_lt_u32_e32 vcc, v46, v35
	v_add_u32_e32 v55, 2, v46
	v_add_u32_e32 v57, 4, v46
	s_waitcnt lgkmcnt(0)
	v_cndmask_b32_e32 v40, 0, v41, vcc
	v_cmp_gt_u32_e32 vcc, 62, v46
	v_add_u32_e32 v38, v40, v38
	v_add_u32_e32 v59, 8, v46
	v_cndmask_b32_e64 v40, 0, 1, vcc
	v_lshlrev_b32_e32 v40, 1, v40
	v_add_lshl_u32 v54, v40, v50, 2
	ds_bpermute_b32 v40, v54, v38
	v_cmp_le_u32_e32 vcc, v55, v35
	v_add_u32_e32 v62, 16, v46
	v_add_u32_e32 v64, 32, v46
	s_waitcnt lgkmcnt(0)
	v_cndmask_b32_e32 v40, 0, v40, vcc
	v_cmp_gt_u32_e32 vcc, 60, v46
	v_add_u32_e32 v38, v38, v40
	s_nop 0
	v_cndmask_b32_e64 v40, 0, 1, vcc
	v_lshlrev_b32_e32 v40, 2, v40
	v_add_lshl_u32 v56, v40, v50, 2
	ds_bpermute_b32 v40, v56, v38
	v_cmp_le_u32_e32 vcc, v57, v35
	s_waitcnt lgkmcnt(0)
	s_nop 0
	v_cndmask_b32_e32 v40, 0, v40, vcc
	v_cmp_gt_u32_e32 vcc, 56, v46
	v_add_u32_e32 v38, v38, v40
	s_nop 0
	v_cndmask_b32_e64 v40, 0, 1, vcc
	v_lshlrev_b32_e32 v40, 3, v40
	v_add_lshl_u32 v58, v40, v50, 2
	ds_bpermute_b32 v40, v58, v38
	v_cmp_le_u32_e32 vcc, v59, v35
	s_waitcnt lgkmcnt(0)
	s_nop 0
	;; [unrolled: 11-line block ×4, first 2 shown]
	v_cndmask_b32_e32 v35, 0, v40, vcc
	v_add_u32_e32 v38, v38, v35
	v_mov_b32_e32 v35, 0
	s_branch .LBB493_358
.LBB493_357:                            ;   in Loop: Header=BB493_358 Depth=1
	s_or_b64 exec, exec, s[28:29]
	v_cmp_eq_u16_sdwa s[28:29], v39, v33 src0_sel:BYTE_0 src1_sel:DWORD
	ds_bpermute_b32 v65, v53, v38
	v_subrev_u32_e32 v34, 64, v34
	v_and_b32_e32 v40, s29, v37
	v_or_b32_e32 v40, 0x80000000, v40
	v_and_b32_e32 v41, s28, v36
	v_ffbl_b32_e32 v40, v40
	v_add_u32_e32 v40, 32, v40
	v_ffbl_b32_e32 v41, v41
	v_min_u32_e32 v40, v41, v40
	v_cmp_lt_u32_e32 vcc, v46, v40
	s_waitcnt lgkmcnt(0)
	s_nop 0
	v_cndmask_b32_e32 v41, 0, v65, vcc
	v_add_u32_e32 v38, v41, v38
	ds_bpermute_b32 v41, v54, v38
	v_cmp_le_u32_e32 vcc, v55, v40
	s_waitcnt lgkmcnt(0)
	s_nop 0
	v_cndmask_b32_e32 v41, 0, v41, vcc
	v_add_u32_e32 v38, v38, v41
	ds_bpermute_b32 v41, v56, v38
	v_cmp_le_u32_e32 vcc, v57, v40
	;; [unrolled: 6-line block ×5, first 2 shown]
	s_waitcnt lgkmcnt(0)
	s_nop 0
	v_cndmask_b32_e32 v40, 0, v41, vcc
	v_add3_u32 v38, v40, v60, v38
.LBB493_358:                            ; =>This Loop Header: Depth=1
                                        ;     Child Loop BB493_361 Depth 2
                                        ;       Child Loop BB493_362 Depth 3
	v_cmp_ne_u16_sdwa s[28:29], v39, v33 src0_sel:BYTE_0 src1_sel:DWORD
	v_mov_b32_e32 v60, v38
	s_nop 0
	v_cndmask_b32_e64 v39, 0, 1, s[28:29]
	;;#ASMSTART
	;;#ASMEND
	s_nop 0
	v_cmp_ne_u32_e32 vcc, 0, v39
	s_cmp_lg_u64 vcc, exec
	s_cbranch_scc1 .LBB493_365
; %bb.359:                              ;   in Loop: Header=BB493_358 Depth=1
	v_lshl_add_u64 v[40:41], v[34:35], 3, s[30:31]
	global_load_dwordx2 v[38:39], v[40:41], off sc1
	s_waitcnt vmcnt(0)
	v_cmp_eq_u16_sdwa s[36:37], v39, v35 src0_sel:BYTE_0 src1_sel:DWORD
	s_and_saveexec_b64 s[28:29], s[36:37]
	s_cbranch_execz .LBB493_357
; %bb.360:                              ;   in Loop: Header=BB493_358 Depth=1
	s_mov_b32 s3, 1
	s_mov_b64 s[36:37], 0
.LBB493_361:                            ;   Parent Loop BB493_358 Depth=1
                                        ; =>  This Loop Header: Depth=2
                                        ;       Child Loop BB493_362 Depth 3
	s_max_u32 s33, s3, 1
.LBB493_362:                            ;   Parent Loop BB493_358 Depth=1
                                        ;     Parent Loop BB493_361 Depth=2
                                        ; =>    This Inner Loop Header: Depth=3
	s_add_i32 s33, s33, -1
	s_cmp_eq_u32 s33, 0
	s_sleep 1
	s_cbranch_scc0 .LBB493_362
; %bb.363:                              ;   in Loop: Header=BB493_361 Depth=2
	global_load_dwordx2 v[38:39], v[40:41], off sc1
	s_cmp_lt_u32 s3, 32
	s_cselect_b64 s[38:39], -1, 0
	s_cmp_lg_u64 s[38:39], 0
	s_addc_u32 s3, s3, 0
	s_waitcnt vmcnt(0)
	v_cmp_ne_u16_sdwa s[38:39], v39, v35 src0_sel:BYTE_0 src1_sel:DWORD
	s_or_b64 s[36:37], s[38:39], s[36:37]
	s_andn2_b64 exec, exec, s[36:37]
	s_cbranch_execnz .LBB493_361
; %bb.364:                              ;   in Loop: Header=BB493_358 Depth=1
	s_or_b64 exec, exec, s[36:37]
	s_branch .LBB493_357
.LBB493_365:                            ;   in Loop: Header=BB493_358 Depth=1
                                        ; implicit-def: $vgpr38
                                        ; implicit-def: $vgpr39
	s_cbranch_execz .LBB493_358
; %bb.366:
	s_and_saveexec_b64 s[28:29], s[16:17]
	s_cbranch_execz .LBB493_368
; %bb.367:
	s_add_i32 s2, s2, 64
	s_mov_b32 s3, 0
	s_lshl_b64 s[2:3], s[2:3], 3
	s_add_u32 s2, s30, s2
	v_add_u32_e32 v34, v60, v32
	v_mov_b32_e32 v35, 2
	s_addc_u32 s3, s31, s3
	v_mov_b32_e32 v33, 0
	global_store_dwordx2 v33, v[34:35], s[2:3] sc1
	s_movk_i32 s2, 0x7000
	v_add_u32_e64 v33, s2, 0
	ds_write2_b32 v33, v32, v60 offset1:2
.LBB493_368:
	s_or_b64 exec, exec, s[28:29]
	v_cmp_eq_u32_e32 vcc, 0, v0
	s_and_b64 exec, exec, vcc
	s_cbranch_execz .LBB493_370
; %bb.369:
	v_mov_b32_e32 v32, 0
	ds_write_b32 v32, v60 offset:28
.LBB493_370:
	s_or_b64 exec, exec, s[26:27]
	v_mov_b32_e32 v32, 0
	s_waitcnt lgkmcnt(0)
	s_barrier
	ds_read_b32 v32, v32 offset:28
	v_cndmask_b32_e64 v33, v44, v42, s[16:17]
	v_cmp_ne_u32_e32 vcc, 0, v0
	s_movk_i32 s2, 0x7000
	s_waitcnt lgkmcnt(0)
	v_cndmask_b32_e32 v33, 0, v33, vcc
	v_add_u32_e32 v46, v32, v33
	v_add_u32_e64 v32, s2, 0
	v_add_u32_e32 v44, v46, v1
	s_barrier
	ds_read2_b32 v[32:33], v32 offset1:2
	v_add_u32_e32 v42, v44, v43
	v_add_u32_e32 v40, v42, v45
	v_add_u32_e32 v38, v40, v47
	v_add_u32_e32 v36, v38, v48
	v_add_u32_e32 v34, v36, v49
	s_waitcnt lgkmcnt(0)
	v_readfirstlane_b32 s26, v32
	v_readfirstlane_b32 s16, v33
	v_lshrrev_b64 v[32:33], 24, v[30:31]
	s_branch .LBB493_381
.LBB493_371:
                                        ; implicit-def: $vgpr34
                                        ; implicit-def: $vgpr36
                                        ; implicit-def: $vgpr38
                                        ; implicit-def: $vgpr40
                                        ; implicit-def: $vgpr42
                                        ; implicit-def: $vgpr44
                                        ; implicit-def: $vgpr46
                                        ; implicit-def: $sgpr16
                                        ; implicit-def: $sgpr26
	v_lshrrev_b64 v[32:33], 24, v[30:31]
	s_cbranch_execz .LBB493_381
; %bb.372:
	s_nop 0
	v_mov_b32_dpp v33, v52 row_shr:1 row_mask:0xf bank_mask:0xf
	v_cndmask_b32_e64 v33, v33, 0, s[14:15]
	v_add_u32_e32 v33, v33, v52
	s_nop 1
	v_mov_b32_dpp v34, v33 row_shr:2 row_mask:0xf bank_mask:0xf
	v_cndmask_b32_e64 v34, 0, v34, s[12:13]
	v_add_u32_e32 v33, v33, v34
	;; [unrolled: 4-line block ×4, first 2 shown]
	s_nop 1
	v_mov_b32_dpp v34, v33 row_bcast:15 row_mask:0xf bank_mask:0xf
	v_cndmask_b32_e64 v34, v34, 0, s[6:7]
	v_add_u32_e32 v33, v33, v34
	s_nop 1
	v_mov_b32_dpp v34, v33 row_bcast:31 row_mask:0xf bank_mask:0xf
	v_cndmask_b32_e64 v34, 0, v34, s[18:19]
	v_add_u32_e32 v33, v33, v34
	s_and_saveexec_b64 s[2:3], s[4:5]
	s_cbranch_execz .LBB493_374
; %bb.373:
	v_lshlrev_b32_e32 v34, 2, v51
	ds_write_b32 v34, v33
.LBB493_374:
	s_or_b64 exec, exec, s[2:3]
	v_cmp_gt_u32_e32 vcc, 8, v0
	s_waitcnt lgkmcnt(0)
	s_barrier
	s_and_saveexec_b64 s[2:3], vcc
	s_cbranch_execz .LBB493_376
; %bb.375:
	v_lshlrev_b32_e32 v34, 2, v0
	ds_read_b32 v35, v34
	v_and_b32_e32 v36, 7, v50
	v_cmp_ne_u32_e32 vcc, 0, v36
	s_waitcnt lgkmcnt(0)
	v_mov_b32_dpp v37, v35 row_shr:1 row_mask:0xf bank_mask:0xf
	v_cndmask_b32_e32 v37, 0, v37, vcc
	v_add_u32_e32 v35, v37, v35
	v_cmp_lt_u32_e32 vcc, 1, v36
	s_nop 0
	v_mov_b32_dpp v37, v35 row_shr:2 row_mask:0xf bank_mask:0xf
	v_cndmask_b32_e32 v37, 0, v37, vcc
	v_add_u32_e32 v35, v35, v37
	v_cmp_lt_u32_e32 vcc, 3, v36
	s_nop 0
	v_mov_b32_dpp v37, v35 row_shr:4 row_mask:0xf bank_mask:0xf
	v_cndmask_b32_e32 v36, 0, v37, vcc
	v_add_u32_e32 v35, v35, v36
	ds_write_b32 v34, v35
.LBB493_376:
	s_or_b64 exec, exec, s[2:3]
	v_cmp_lt_u32_e32 vcc, 63, v0
	v_mov_b32_e32 v35, 0
	v_mov_b32_e32 v34, 0
	s_waitcnt lgkmcnt(0)
	s_barrier
	s_and_saveexec_b64 s[2:3], vcc
	s_cbranch_execz .LBB493_378
; %bb.377:
	v_lshl_add_u32 v34, v51, 2, -4
	ds_read_b32 v34, v34
.LBB493_378:
	s_or_b64 exec, exec, s[2:3]
	v_add_u32_e32 v36, -1, v50
	v_and_b32_e32 v37, 64, v50
	v_cmp_lt_i32_e32 vcc, v36, v37
	s_waitcnt lgkmcnt(0)
	v_add_u32_e32 v33, v34, v33
	ds_read_b32 v35, v35 offset:28
	v_cndmask_b32_e32 v36, v36, v50, vcc
	v_lshlrev_b32_e32 v36, 2, v36
	ds_bpermute_b32 v33, v36, v33
	s_mov_b32 s16, 0
	v_cmp_eq_u32_e32 vcc, 0, v0
	s_waitcnt lgkmcnt(1)
	v_readfirstlane_b32 s26, v35
	s_and_saveexec_b64 s[2:3], vcc
	s_cbranch_execz .LBB493_380
; %bb.379:
	v_mov_b32_e32 v35, 0
	v_mov_b32_e32 v36, s26
	;; [unrolled: 1-line block ×3, first 2 shown]
	global_store_dwordx2 v35, v[36:37], s[30:31] offset:512 sc1
.LBB493_380:
	s_or_b64 exec, exec, s[2:3]
	v_cmp_eq_u32_e64 s[2:3], 0, v50
	s_waitcnt lgkmcnt(0)
	s_barrier
	v_cndmask_b32_e64 v33, v33, v34, s[2:3]
	v_cndmask_b32_e64 v46, v33, 0, vcc
	v_add_u32_e32 v44, v46, v1
	v_add_u32_e32 v42, v44, v43
	;; [unrolled: 1-line block ×6, first 2 shown]
.LBB493_381:
	s_load_dwordx4 s[4:7], s[0:1], 0x28
	s_cmpk_lt_u32 s26, 0x201
	s_cselect_b64 s[2:3], -1, 0
	v_lshrrev_b32_e32 v33, 8, v30
	v_lshrrev_b32_e32 v1, 8, v31
	s_mov_b64 s[0:1], -1
	s_and_b64 vcc, exec, s[2:3]
	s_cbranch_vccz .LBB493_404
; %bb.382:
	s_add_i32 s8, s16, s26
	v_cmp_gt_u32_e32 vcc, s8, v46
	s_or_b64 s[10:11], s[34:35], vcc
	s_and_saveexec_b64 s[0:1], s[10:11]
	s_cbranch_execz .LBB493_385
; %bb.383:
	v_and_b32_e32 v35, 1, v30
	v_cmp_eq_u32_e32 vcc, 1, v35
	s_and_b64 exec, exec, vcc
	s_cbranch_execz .LBB493_385
; %bb.384:
	s_lshl_b64 s[10:11], s[22:23], 3
	s_waitcnt lgkmcnt(0)
	s_add_u32 s10, s4, s10
	s_addc_u32 s11, s5, s11
	v_mov_b32_e32 v47, 0
	v_lshl_add_u64 v[48:49], v[46:47], 3, s[10:11]
	global_store_dwordx2 v[48:49], v[22:23], off
.LBB493_385:
	s_or_b64 exec, exec, s[0:1]
	v_cmp_gt_u32_e32 vcc, s8, v44
	s_or_b64 s[10:11], s[34:35], vcc
	s_and_saveexec_b64 s[0:1], s[10:11]
	s_cbranch_execz .LBB493_388
; %bb.386:
	v_and_b32_e32 v35, 1, v33
	v_cmp_eq_u32_e32 vcc, 1, v35
	s_and_b64 exec, exec, vcc
	s_cbranch_execz .LBB493_388
; %bb.387:
	s_lshl_b64 s[10:11], s[22:23], 3
	s_waitcnt lgkmcnt(0)
	s_add_u32 s10, s4, s10
	s_addc_u32 s11, s5, s11
	v_mov_b32_e32 v45, 0
	v_lshl_add_u64 v[48:49], v[44:45], 3, s[10:11]
	global_store_dwordx2 v[48:49], v[24:25], off
.LBB493_388:
	s_or_b64 exec, exec, s[0:1]
	v_cmp_gt_u32_e32 vcc, s8, v42
	s_or_b64 s[10:11], s[34:35], vcc
	s_and_saveexec_b64 s[0:1], s[10:11]
	s_cbranch_execz .LBB493_391
; %bb.389:
	v_mov_b32_e32 v35, 1
	v_and_b32_sdwa v35, v35, v30 dst_sel:DWORD dst_unused:UNUSED_PAD src0_sel:DWORD src1_sel:WORD_1
	v_cmp_eq_u32_e32 vcc, 1, v35
	s_and_b64 exec, exec, vcc
	s_cbranch_execz .LBB493_391
; %bb.390:
	s_lshl_b64 s[10:11], s[22:23], 3
	s_waitcnt lgkmcnt(0)
	s_add_u32 s10, s4, s10
	s_addc_u32 s11, s5, s11
	v_mov_b32_e32 v43, 0
	v_lshl_add_u64 v[48:49], v[42:43], 3, s[10:11]
	global_store_dwordx2 v[48:49], v[18:19], off
.LBB493_391:
	s_or_b64 exec, exec, s[0:1]
	v_cmp_gt_u32_e32 vcc, s8, v40
	s_or_b64 s[10:11], s[34:35], vcc
	s_and_saveexec_b64 s[0:1], s[10:11]
	s_cbranch_execz .LBB493_394
; %bb.392:
	v_and_b32_e32 v35, 1, v32
	v_cmp_eq_u32_e32 vcc, 1, v35
	s_and_b64 exec, exec, vcc
	s_cbranch_execz .LBB493_394
; %bb.393:
	s_lshl_b64 s[10:11], s[22:23], 3
	s_waitcnt lgkmcnt(0)
	s_add_u32 s10, s4, s10
	s_addc_u32 s11, s5, s11
	v_mov_b32_e32 v41, 0
	v_lshl_add_u64 v[48:49], v[40:41], 3, s[10:11]
	global_store_dwordx2 v[48:49], v[20:21], off
.LBB493_394:
	s_or_b64 exec, exec, s[0:1]
	v_cmp_gt_u32_e32 vcc, s8, v38
	s_or_b64 s[10:11], s[34:35], vcc
	s_and_saveexec_b64 s[0:1], s[10:11]
	s_cbranch_execz .LBB493_397
; %bb.395:
	v_and_b32_e32 v35, 1, v31
	v_cmp_eq_u32_e32 vcc, 1, v35
	s_and_b64 exec, exec, vcc
	s_cbranch_execz .LBB493_397
; %bb.396:
	s_lshl_b64 s[10:11], s[22:23], 3
	s_waitcnt lgkmcnt(0)
	s_add_u32 s10, s4, s10
	s_addc_u32 s11, s5, s11
	v_mov_b32_e32 v39, 0
	v_lshl_add_u64 v[48:49], v[38:39], 3, s[10:11]
	global_store_dwordx2 v[48:49], v[14:15], off
.LBB493_397:
	;; [unrolled: 19-line block ×3, first 2 shown]
	s_or_b64 exec, exec, s[0:1]
	v_cmp_gt_u32_e32 vcc, s8, v34
	s_or_b64 s[8:9], s[34:35], vcc
	s_and_saveexec_b64 s[0:1], s[8:9]
	s_cbranch_execz .LBB493_403
; %bb.401:
	v_mov_b32_e32 v35, 1
	v_and_b32_sdwa v35, v35, v31 dst_sel:DWORD dst_unused:UNUSED_PAD src0_sel:DWORD src1_sel:WORD_1
	v_cmp_eq_u32_e32 vcc, 1, v35
	s_and_b64 exec, exec, vcc
	s_cbranch_execz .LBB493_403
; %bb.402:
	s_lshl_b64 s[8:9], s[22:23], 3
	s_waitcnt lgkmcnt(0)
	s_add_u32 s8, s4, s8
	s_addc_u32 s9, s5, s9
	v_mov_b32_e32 v35, 0
	v_lshl_add_u64 v[48:49], v[34:35], 3, s[8:9]
	global_store_dwordx2 v[48:49], v[28:29], off
.LBB493_403:
	s_or_b64 exec, exec, s[0:1]
	s_mov_b64 s[0:1], 0
.LBB493_404:
	v_and_b32_e32 v48, 1, v30
	s_and_b64 vcc, exec, s[0:1]
	v_cmp_eq_u32_e64 s[0:1], 1, v48
	s_cbranch_vccz .LBB493_423
; %bb.405:
	s_and_saveexec_b64 s[8:9], s[0:1]
	s_cbranch_execz .LBB493_407
; %bb.406:
	v_subrev_u32_e32 v35, s16, v46
	v_lshlrev_b32_e32 v35, 3, v35
	ds_write_b64 v35, v[22:23]
.LBB493_407:
	s_or_b64 exec, exec, s[8:9]
	v_and_b32_e32 v22, 1, v33
	v_cmp_eq_u32_e32 vcc, 1, v22
	s_and_saveexec_b64 s[0:1], vcc
	s_cbranch_execz .LBB493_409
; %bb.408:
	v_subrev_u32_e32 v22, s16, v44
	v_lshlrev_b32_e32 v22, 3, v22
	ds_write_b64 v22, v[24:25]
.LBB493_409:
	s_or_b64 exec, exec, s[0:1]
	v_mov_b32_e32 v22, 1
	v_and_b32_sdwa v22, v22, v30 dst_sel:DWORD dst_unused:UNUSED_PAD src0_sel:DWORD src1_sel:WORD_1
	v_cmp_eq_u32_e32 vcc, 1, v22
	s_and_saveexec_b64 s[0:1], vcc
	s_cbranch_execz .LBB493_411
; %bb.410:
	v_subrev_u32_e32 v22, s16, v42
	v_lshlrev_b32_e32 v22, 3, v22
	ds_write_b64 v22, v[18:19]
.LBB493_411:
	s_or_b64 exec, exec, s[0:1]
	v_and_b32_e32 v18, 1, v32
	v_cmp_eq_u32_e32 vcc, 1, v18
	s_and_saveexec_b64 s[0:1], vcc
	s_cbranch_execz .LBB493_413
; %bb.412:
	v_subrev_u32_e32 v18, s16, v40
	v_lshlrev_b32_e32 v18, 3, v18
	ds_write_b64 v18, v[20:21]
.LBB493_413:
	s_or_b64 exec, exec, s[0:1]
	v_and_b32_e32 v18, 1, v31
	;; [unrolled: 10-line block ×3, first 2 shown]
	v_cmp_eq_u32_e32 vcc, 1, v14
	s_and_saveexec_b64 s[0:1], vcc
	s_cbranch_execz .LBB493_417
; %bb.416:
	v_subrev_u32_e32 v14, s16, v36
	v_lshlrev_b32_e32 v14, 3, v14
	ds_write_b64 v14, v[16:17]
.LBB493_417:
	s_or_b64 exec, exec, s[0:1]
	v_mov_b32_e32 v14, 1
	v_and_b32_sdwa v14, v14, v31 dst_sel:DWORD dst_unused:UNUSED_PAD src0_sel:DWORD src1_sel:WORD_1
	v_cmp_eq_u32_e32 vcc, 1, v14
	s_and_saveexec_b64 s[0:1], vcc
	s_cbranch_execz .LBB493_419
; %bb.418:
	v_subrev_u32_e32 v14, s16, v34
	v_lshlrev_b32_e32 v14, 3, v14
	ds_write_b64 v14, v[28:29]
.LBB493_419:
	s_or_b64 exec, exec, s[0:1]
	v_cmp_gt_u32_e32 vcc, s26, v0
	s_waitcnt lgkmcnt(0)
	s_barrier
	s_and_saveexec_b64 s[0:1], vcc
	s_cbranch_execz .LBB493_422
; %bb.420:
	s_mov_b32 s17, 0
	s_lshl_b64 s[8:9], s[22:23], 3
	s_lshl_b64 s[10:11], s[16:17], 3
	s_add_u32 s8, s8, s10
	s_addc_u32 s9, s9, s11
	s_add_u32 s4, s4, s8
	v_lshlrev_b32_e32 v14, 3, v0
	v_mov_b32_e32 v15, 0
	s_addc_u32 s5, s5, s9
	v_lshl_add_u64 v[16:17], s[4:5], 0, v[14:15]
	s_mov_b64 s[4:5], 0
	s_mov_b64 s[8:9], 0x1000
	v_mov_b32_e32 v15, v0
.LBB493_421:                            ; =>This Inner Loop Header: Depth=1
	ds_read_b64 v[18:19], v14
	v_add_u32_e32 v15, 0x200, v15
	v_cmp_le_u32_e32 vcc, s26, v15
	v_add_u32_e32 v14, 0x1000, v14
	s_or_b64 s[4:5], vcc, s[4:5]
	s_waitcnt lgkmcnt(0)
	global_store_dwordx2 v[16:17], v[18:19], off
	v_lshl_add_u64 v[16:17], v[16:17], 0, s[8:9]
	s_andn2_b64 exec, exec, s[4:5]
	s_cbranch_execnz .LBB493_421
.LBB493_422:
	s_or_b64 exec, exec, s[0:1]
.LBB493_423:
	s_mov_b64 s[0:1], -1
	s_and_b64 vcc, exec, s[2:3]
	s_waitcnt lgkmcnt(0)
	s_barrier
	s_cbranch_vccnz .LBB493_427
; %bb.424:
	s_and_b64 vcc, exec, s[0:1]
	s_cbranch_vccnz .LBB493_449
.LBB493_425:
	v_cmp_eq_u32_e32 vcc, 0, v0
	s_and_b64 s[0:1], vcc, s[24:25]
	s_and_saveexec_b64 s[2:3], s[0:1]
	s_cbranch_execnz .LBB493_467
.LBB493_426:
	s_endpgm
.LBB493_427:
	s_add_i32 s2, s16, s26
	v_cmp_gt_u32_e32 vcc, s2, v46
	s_or_b64 s[4:5], s[34:35], vcc
	s_and_saveexec_b64 s[0:1], s[4:5]
	s_cbranch_execz .LBB493_430
; %bb.428:
	v_cmp_eq_u32_e32 vcc, 1, v48
	s_and_b64 exec, exec, vcc
	s_cbranch_execz .LBB493_430
; %bb.429:
	s_lshl_b64 s[4:5], s[22:23], 3
	s_add_u32 s4, s6, s4
	s_addc_u32 s5, s7, s5
	v_mov_b32_e32 v47, 0
	v_lshl_add_u64 v[14:15], v[46:47], 3, s[4:5]
	global_store_dwordx2 v[14:15], v[10:11], off
.LBB493_430:
	s_or_b64 exec, exec, s[0:1]
	v_cmp_gt_u32_e32 vcc, s2, v44
	s_or_b64 s[4:5], s[34:35], vcc
	s_and_saveexec_b64 s[0:1], s[4:5]
	s_cbranch_execz .LBB493_433
; %bb.431:
	v_and_b32_e32 v14, 1, v33
	v_cmp_eq_u32_e32 vcc, 1, v14
	s_and_b64 exec, exec, vcc
	s_cbranch_execz .LBB493_433
; %bb.432:
	s_lshl_b64 s[4:5], s[22:23], 3
	s_add_u32 s4, s6, s4
	s_addc_u32 s5, s7, s5
	v_mov_b32_e32 v45, 0
	v_lshl_add_u64 v[14:15], v[44:45], 3, s[4:5]
	global_store_dwordx2 v[14:15], v[12:13], off
.LBB493_433:
	s_or_b64 exec, exec, s[0:1]
	v_cmp_gt_u32_e32 vcc, s2, v42
	s_or_b64 s[4:5], s[34:35], vcc
	s_and_saveexec_b64 s[0:1], s[4:5]
	s_cbranch_execz .LBB493_436
; %bb.434:
	v_mov_b32_e32 v14, 1
	v_and_b32_sdwa v14, v14, v30 dst_sel:DWORD dst_unused:UNUSED_PAD src0_sel:DWORD src1_sel:WORD_1
	v_cmp_eq_u32_e32 vcc, 1, v14
	s_and_b64 exec, exec, vcc
	s_cbranch_execz .LBB493_436
; %bb.435:
	s_lshl_b64 s[4:5], s[22:23], 3
	s_add_u32 s4, s6, s4
	s_addc_u32 s5, s7, s5
	v_mov_b32_e32 v43, 0
	v_lshl_add_u64 v[14:15], v[42:43], 3, s[4:5]
	global_store_dwordx2 v[14:15], v[6:7], off
.LBB493_436:
	s_or_b64 exec, exec, s[0:1]
	v_cmp_gt_u32_e32 vcc, s2, v40
	s_or_b64 s[4:5], s[34:35], vcc
	s_and_saveexec_b64 s[0:1], s[4:5]
	s_cbranch_execz .LBB493_439
; %bb.437:
	v_and_b32_e32 v14, 1, v32
	v_cmp_eq_u32_e32 vcc, 1, v14
	s_and_b64 exec, exec, vcc
	s_cbranch_execz .LBB493_439
; %bb.438:
	s_lshl_b64 s[4:5], s[22:23], 3
	s_add_u32 s4, s6, s4
	s_addc_u32 s5, s7, s5
	v_mov_b32_e32 v41, 0
	v_lshl_add_u64 v[14:15], v[40:41], 3, s[4:5]
	global_store_dwordx2 v[14:15], v[8:9], off
.LBB493_439:
	s_or_b64 exec, exec, s[0:1]
	v_cmp_gt_u32_e32 vcc, s2, v38
	s_or_b64 s[4:5], s[34:35], vcc
	s_and_saveexec_b64 s[0:1], s[4:5]
	s_cbranch_execz .LBB493_442
; %bb.440:
	v_and_b32_e32 v14, 1, v31
	v_cmp_eq_u32_e32 vcc, 1, v14
	s_and_b64 exec, exec, vcc
	s_cbranch_execz .LBB493_442
; %bb.441:
	s_lshl_b64 s[4:5], s[22:23], 3
	s_add_u32 s4, s6, s4
	s_addc_u32 s5, s7, s5
	v_mov_b32_e32 v39, 0
	v_lshl_add_u64 v[14:15], v[38:39], 3, s[4:5]
	global_store_dwordx2 v[14:15], v[2:3], off
.LBB493_442:
	;; [unrolled: 18-line block ×3, first 2 shown]
	s_or_b64 exec, exec, s[0:1]
	v_cmp_gt_u32_e32 vcc, s2, v34
	s_or_b64 s[2:3], s[34:35], vcc
	s_and_saveexec_b64 s[0:1], s[2:3]
	s_cbranch_execz .LBB493_448
; %bb.446:
	v_mov_b32_e32 v14, 1
	v_and_b32_sdwa v14, v14, v31 dst_sel:DWORD dst_unused:UNUSED_PAD src0_sel:DWORD src1_sel:WORD_1
	v_cmp_eq_u32_e32 vcc, 1, v14
	s_and_b64 exec, exec, vcc
	s_cbranch_execz .LBB493_448
; %bb.447:
	s_lshl_b64 s[2:3], s[22:23], 3
	s_add_u32 s2, s6, s2
	s_addc_u32 s3, s7, s3
	v_mov_b32_e32 v35, 0
	v_lshl_add_u64 v[14:15], v[34:35], 3, s[2:3]
	global_store_dwordx2 v[14:15], v[26:27], off
.LBB493_448:
	s_or_b64 exec, exec, s[0:1]
	s_branch .LBB493_425
.LBB493_449:
	v_cmp_eq_u32_e32 vcc, 1, v48
	s_and_saveexec_b64 s[0:1], vcc
	s_cbranch_execz .LBB493_451
; %bb.450:
	v_subrev_u32_e32 v14, s16, v46
	v_lshlrev_b32_e32 v14, 3, v14
	ds_write_b64 v14, v[10:11]
.LBB493_451:
	s_or_b64 exec, exec, s[0:1]
	v_and_b32_e32 v10, 1, v33
	v_cmp_eq_u32_e32 vcc, 1, v10
	s_and_saveexec_b64 s[0:1], vcc
	s_cbranch_execz .LBB493_453
; %bb.452:
	v_subrev_u32_e32 v10, s16, v44
	v_lshlrev_b32_e32 v10, 3, v10
	ds_write_b64 v10, v[12:13]
.LBB493_453:
	s_or_b64 exec, exec, s[0:1]
	v_mov_b32_e32 v10, 1
	v_and_b32_sdwa v10, v10, v30 dst_sel:DWORD dst_unused:UNUSED_PAD src0_sel:DWORD src1_sel:WORD_1
	v_cmp_eq_u32_e32 vcc, 1, v10
	s_and_saveexec_b64 s[0:1], vcc
	s_cbranch_execz .LBB493_455
; %bb.454:
	v_subrev_u32_e32 v10, s16, v42
	v_lshlrev_b32_e32 v10, 3, v10
	ds_write_b64 v10, v[6:7]
.LBB493_455:
	s_or_b64 exec, exec, s[0:1]
	v_and_b32_e32 v6, 1, v32
	v_cmp_eq_u32_e32 vcc, 1, v6
	s_and_saveexec_b64 s[0:1], vcc
	s_cbranch_execz .LBB493_457
; %bb.456:
	v_subrev_u32_e32 v6, s16, v40
	v_lshlrev_b32_e32 v6, 3, v6
	ds_write_b64 v6, v[8:9]
.LBB493_457:
	s_or_b64 exec, exec, s[0:1]
	v_and_b32_e32 v6, 1, v31
	;; [unrolled: 10-line block ×3, first 2 shown]
	v_cmp_eq_u32_e32 vcc, 1, v1
	s_and_saveexec_b64 s[0:1], vcc
	s_cbranch_execz .LBB493_461
; %bb.460:
	v_subrev_u32_e32 v1, s16, v36
	v_lshlrev_b32_e32 v1, 3, v1
	ds_write_b64 v1, v[4:5]
.LBB493_461:
	s_or_b64 exec, exec, s[0:1]
	v_mov_b32_e32 v1, 1
	v_and_b32_sdwa v1, v1, v31 dst_sel:DWORD dst_unused:UNUSED_PAD src0_sel:DWORD src1_sel:WORD_1
	v_cmp_eq_u32_e32 vcc, 1, v1
	s_and_saveexec_b64 s[0:1], vcc
	s_cbranch_execz .LBB493_463
; %bb.462:
	v_subrev_u32_e32 v1, s16, v34
	v_lshlrev_b32_e32 v1, 3, v1
	ds_write_b64 v1, v[26:27]
.LBB493_463:
	s_or_b64 exec, exec, s[0:1]
	v_cmp_gt_u32_e32 vcc, s26, v0
	s_waitcnt lgkmcnt(0)
	s_barrier
	s_and_saveexec_b64 s[0:1], vcc
	s_cbranch_execz .LBB493_466
; %bb.464:
	s_mov_b32 s17, 0
	s_lshl_b64 s[2:3], s[22:23], 3
	s_lshl_b64 s[4:5], s[16:17], 3
	s_add_u32 s2, s2, s4
	s_addc_u32 s3, s3, s5
	s_add_u32 s2, s6, s2
	v_lshlrev_b32_e32 v2, 3, v0
	v_mov_b32_e32 v3, 0
	s_addc_u32 s3, s7, s3
	v_lshl_add_u64 v[4:5], s[2:3], 0, v[2:3]
	s_mov_b64 s[2:3], 0
	s_mov_b64 s[4:5], 0x1000
	v_mov_b32_e32 v1, v0
.LBB493_465:                            ; =>This Inner Loop Header: Depth=1
	ds_read_b64 v[6:7], v2
	v_add_u32_e32 v1, 0x200, v1
	v_cmp_le_u32_e32 vcc, s26, v1
	v_add_u32_e32 v2, 0x1000, v2
	s_or_b64 s[2:3], vcc, s[2:3]
	s_waitcnt lgkmcnt(0)
	global_store_dwordx2 v[4:5], v[6:7], off
	v_lshl_add_u64 v[4:5], v[4:5], 0, s[4:5]
	s_andn2_b64 exec, exec, s[2:3]
	s_cbranch_execnz .LBB493_465
.LBB493_466:
	s_or_b64 exec, exec, s[0:1]
	v_cmp_eq_u32_e32 vcc, 0, v0
	s_and_b64 s[0:1], vcc, s[24:25]
	s_and_saveexec_b64 s[2:3], s[0:1]
	s_cbranch_execz .LBB493_426
.LBB493_467:
	s_add_u32 s0, s22, s26
	s_addc_u32 s1, s23, 0
	s_add_u32 s0, s0, s16
	s_addc_u32 s1, s1, 0
	v_mov_b32_e32 v2, 0
	v_mov_b64_e32 v[0:1], s[0:1]
	global_store_dwordx2 v2, v[0:1], s[20:21]
	s_endpgm
	.section	.rodata,"a",@progbits
	.p2align	6, 0x0
	.amdhsa_kernel _ZN7rocprim17ROCPRIM_400000_NS6detail17trampoline_kernelINS0_14default_configENS1_25partition_config_selectorILNS1_17partition_subalgoE9EllbEEZZNS1_14partition_implILS5_9ELb0ES3_jPlS8_PNS0_10empty_typeENS0_5tupleIJS8_S9_EEENSB_IJS8_SA_EEENS0_18inequality_wrapperIZN2at6native12_GLOBAL__N_124unique_dim_cuda_templateIiEESt5tupleIJNSF_6TensorESK_SK_EERKSK_lbbbEUlllE0_EEPmJS9_EEE10hipError_tPvRmT3_T4_T5_T6_T7_T9_mT8_P12ihipStream_tbDpT10_ENKUlT_T0_E_clISt17integral_constantIbLb1EES19_IbLb0EEEEDaS15_S16_EUlS15_E_NS1_11comp_targetILNS1_3genE5ELNS1_11target_archE942ELNS1_3gpuE9ELNS1_3repE0EEENS1_30default_config_static_selectorELNS0_4arch9wavefront6targetE1EEEvT1_
		.amdhsa_group_segment_fixed_size 28684
		.amdhsa_private_segment_fixed_size 0
		.amdhsa_kernarg_size 120
		.amdhsa_user_sgpr_count 2
		.amdhsa_user_sgpr_dispatch_ptr 0
		.amdhsa_user_sgpr_queue_ptr 0
		.amdhsa_user_sgpr_kernarg_segment_ptr 1
		.amdhsa_user_sgpr_dispatch_id 0
		.amdhsa_user_sgpr_kernarg_preload_length 0
		.amdhsa_user_sgpr_kernarg_preload_offset 0
		.amdhsa_user_sgpr_private_segment_size 0
		.amdhsa_uses_dynamic_stack 0
		.amdhsa_enable_private_segment 0
		.amdhsa_system_sgpr_workgroup_id_x 1
		.amdhsa_system_sgpr_workgroup_id_y 0
		.amdhsa_system_sgpr_workgroup_id_z 0
		.amdhsa_system_sgpr_workgroup_info 0
		.amdhsa_system_vgpr_workitem_id 0
		.amdhsa_next_free_vgpr 66
		.amdhsa_next_free_sgpr 52
		.amdhsa_accum_offset 68
		.amdhsa_reserve_vcc 1
		.amdhsa_float_round_mode_32 0
		.amdhsa_float_round_mode_16_64 0
		.amdhsa_float_denorm_mode_32 3
		.amdhsa_float_denorm_mode_16_64 3
		.amdhsa_dx10_clamp 1
		.amdhsa_ieee_mode 1
		.amdhsa_fp16_overflow 0
		.amdhsa_tg_split 0
		.amdhsa_exception_fp_ieee_invalid_op 0
		.amdhsa_exception_fp_denorm_src 0
		.amdhsa_exception_fp_ieee_div_zero 0
		.amdhsa_exception_fp_ieee_overflow 0
		.amdhsa_exception_fp_ieee_underflow 0
		.amdhsa_exception_fp_ieee_inexact 0
		.amdhsa_exception_int_div_zero 0
	.end_amdhsa_kernel
	.section	.text._ZN7rocprim17ROCPRIM_400000_NS6detail17trampoline_kernelINS0_14default_configENS1_25partition_config_selectorILNS1_17partition_subalgoE9EllbEEZZNS1_14partition_implILS5_9ELb0ES3_jPlS8_PNS0_10empty_typeENS0_5tupleIJS8_S9_EEENSB_IJS8_SA_EEENS0_18inequality_wrapperIZN2at6native12_GLOBAL__N_124unique_dim_cuda_templateIiEESt5tupleIJNSF_6TensorESK_SK_EERKSK_lbbbEUlllE0_EEPmJS9_EEE10hipError_tPvRmT3_T4_T5_T6_T7_T9_mT8_P12ihipStream_tbDpT10_ENKUlT_T0_E_clISt17integral_constantIbLb1EES19_IbLb0EEEEDaS15_S16_EUlS15_E_NS1_11comp_targetILNS1_3genE5ELNS1_11target_archE942ELNS1_3gpuE9ELNS1_3repE0EEENS1_30default_config_static_selectorELNS0_4arch9wavefront6targetE1EEEvT1_,"axG",@progbits,_ZN7rocprim17ROCPRIM_400000_NS6detail17trampoline_kernelINS0_14default_configENS1_25partition_config_selectorILNS1_17partition_subalgoE9EllbEEZZNS1_14partition_implILS5_9ELb0ES3_jPlS8_PNS0_10empty_typeENS0_5tupleIJS8_S9_EEENSB_IJS8_SA_EEENS0_18inequality_wrapperIZN2at6native12_GLOBAL__N_124unique_dim_cuda_templateIiEESt5tupleIJNSF_6TensorESK_SK_EERKSK_lbbbEUlllE0_EEPmJS9_EEE10hipError_tPvRmT3_T4_T5_T6_T7_T9_mT8_P12ihipStream_tbDpT10_ENKUlT_T0_E_clISt17integral_constantIbLb1EES19_IbLb0EEEEDaS15_S16_EUlS15_E_NS1_11comp_targetILNS1_3genE5ELNS1_11target_archE942ELNS1_3gpuE9ELNS1_3repE0EEENS1_30default_config_static_selectorELNS0_4arch9wavefront6targetE1EEEvT1_,comdat
.Lfunc_end493:
	.size	_ZN7rocprim17ROCPRIM_400000_NS6detail17trampoline_kernelINS0_14default_configENS1_25partition_config_selectorILNS1_17partition_subalgoE9EllbEEZZNS1_14partition_implILS5_9ELb0ES3_jPlS8_PNS0_10empty_typeENS0_5tupleIJS8_S9_EEENSB_IJS8_SA_EEENS0_18inequality_wrapperIZN2at6native12_GLOBAL__N_124unique_dim_cuda_templateIiEESt5tupleIJNSF_6TensorESK_SK_EERKSK_lbbbEUlllE0_EEPmJS9_EEE10hipError_tPvRmT3_T4_T5_T6_T7_T9_mT8_P12ihipStream_tbDpT10_ENKUlT_T0_E_clISt17integral_constantIbLb1EES19_IbLb0EEEEDaS15_S16_EUlS15_E_NS1_11comp_targetILNS1_3genE5ELNS1_11target_archE942ELNS1_3gpuE9ELNS1_3repE0EEENS1_30default_config_static_selectorELNS0_4arch9wavefront6targetE1EEEvT1_, .Lfunc_end493-_ZN7rocprim17ROCPRIM_400000_NS6detail17trampoline_kernelINS0_14default_configENS1_25partition_config_selectorILNS1_17partition_subalgoE9EllbEEZZNS1_14partition_implILS5_9ELb0ES3_jPlS8_PNS0_10empty_typeENS0_5tupleIJS8_S9_EEENSB_IJS8_SA_EEENS0_18inequality_wrapperIZN2at6native12_GLOBAL__N_124unique_dim_cuda_templateIiEESt5tupleIJNSF_6TensorESK_SK_EERKSK_lbbbEUlllE0_EEPmJS9_EEE10hipError_tPvRmT3_T4_T5_T6_T7_T9_mT8_P12ihipStream_tbDpT10_ENKUlT_T0_E_clISt17integral_constantIbLb1EES19_IbLb0EEEEDaS15_S16_EUlS15_E_NS1_11comp_targetILNS1_3genE5ELNS1_11target_archE942ELNS1_3gpuE9ELNS1_3repE0EEENS1_30default_config_static_selectorELNS0_4arch9wavefront6targetE1EEEvT1_
                                        ; -- End function
	.section	.AMDGPU.csdata,"",@progbits
; Kernel info:
; codeLenInByte = 14472
; NumSgprs: 58
; NumVgprs: 66
; NumAgprs: 0
; TotalNumVgprs: 66
; ScratchSize: 0
; MemoryBound: 0
; FloatMode: 240
; IeeeMode: 1
; LDSByteSize: 28684 bytes/workgroup (compile time only)
; SGPRBlocks: 7
; VGPRBlocks: 8
; NumSGPRsForWavesPerEU: 58
; NumVGPRsForWavesPerEU: 66
; AccumOffset: 68
; Occupancy: 4
; WaveLimiterHint : 1
; COMPUTE_PGM_RSRC2:SCRATCH_EN: 0
; COMPUTE_PGM_RSRC2:USER_SGPR: 2
; COMPUTE_PGM_RSRC2:TRAP_HANDLER: 0
; COMPUTE_PGM_RSRC2:TGID_X_EN: 1
; COMPUTE_PGM_RSRC2:TGID_Y_EN: 0
; COMPUTE_PGM_RSRC2:TGID_Z_EN: 0
; COMPUTE_PGM_RSRC2:TIDIG_COMP_CNT: 0
; COMPUTE_PGM_RSRC3_GFX90A:ACCUM_OFFSET: 16
; COMPUTE_PGM_RSRC3_GFX90A:TG_SPLIT: 0
	.section	.text._ZN7rocprim17ROCPRIM_400000_NS6detail17trampoline_kernelINS0_14default_configENS1_25partition_config_selectorILNS1_17partition_subalgoE9EllbEEZZNS1_14partition_implILS5_9ELb0ES3_jPlS8_PNS0_10empty_typeENS0_5tupleIJS8_S9_EEENSB_IJS8_SA_EEENS0_18inequality_wrapperIZN2at6native12_GLOBAL__N_124unique_dim_cuda_templateIiEESt5tupleIJNSF_6TensorESK_SK_EERKSK_lbbbEUlllE0_EEPmJS9_EEE10hipError_tPvRmT3_T4_T5_T6_T7_T9_mT8_P12ihipStream_tbDpT10_ENKUlT_T0_E_clISt17integral_constantIbLb1EES19_IbLb0EEEEDaS15_S16_EUlS15_E_NS1_11comp_targetILNS1_3genE4ELNS1_11target_archE910ELNS1_3gpuE8ELNS1_3repE0EEENS1_30default_config_static_selectorELNS0_4arch9wavefront6targetE1EEEvT1_,"axG",@progbits,_ZN7rocprim17ROCPRIM_400000_NS6detail17trampoline_kernelINS0_14default_configENS1_25partition_config_selectorILNS1_17partition_subalgoE9EllbEEZZNS1_14partition_implILS5_9ELb0ES3_jPlS8_PNS0_10empty_typeENS0_5tupleIJS8_S9_EEENSB_IJS8_SA_EEENS0_18inequality_wrapperIZN2at6native12_GLOBAL__N_124unique_dim_cuda_templateIiEESt5tupleIJNSF_6TensorESK_SK_EERKSK_lbbbEUlllE0_EEPmJS9_EEE10hipError_tPvRmT3_T4_T5_T6_T7_T9_mT8_P12ihipStream_tbDpT10_ENKUlT_T0_E_clISt17integral_constantIbLb1EES19_IbLb0EEEEDaS15_S16_EUlS15_E_NS1_11comp_targetILNS1_3genE4ELNS1_11target_archE910ELNS1_3gpuE8ELNS1_3repE0EEENS1_30default_config_static_selectorELNS0_4arch9wavefront6targetE1EEEvT1_,comdat
	.globl	_ZN7rocprim17ROCPRIM_400000_NS6detail17trampoline_kernelINS0_14default_configENS1_25partition_config_selectorILNS1_17partition_subalgoE9EllbEEZZNS1_14partition_implILS5_9ELb0ES3_jPlS8_PNS0_10empty_typeENS0_5tupleIJS8_S9_EEENSB_IJS8_SA_EEENS0_18inequality_wrapperIZN2at6native12_GLOBAL__N_124unique_dim_cuda_templateIiEESt5tupleIJNSF_6TensorESK_SK_EERKSK_lbbbEUlllE0_EEPmJS9_EEE10hipError_tPvRmT3_T4_T5_T6_T7_T9_mT8_P12ihipStream_tbDpT10_ENKUlT_T0_E_clISt17integral_constantIbLb1EES19_IbLb0EEEEDaS15_S16_EUlS15_E_NS1_11comp_targetILNS1_3genE4ELNS1_11target_archE910ELNS1_3gpuE8ELNS1_3repE0EEENS1_30default_config_static_selectorELNS0_4arch9wavefront6targetE1EEEvT1_ ; -- Begin function _ZN7rocprim17ROCPRIM_400000_NS6detail17trampoline_kernelINS0_14default_configENS1_25partition_config_selectorILNS1_17partition_subalgoE9EllbEEZZNS1_14partition_implILS5_9ELb0ES3_jPlS8_PNS0_10empty_typeENS0_5tupleIJS8_S9_EEENSB_IJS8_SA_EEENS0_18inequality_wrapperIZN2at6native12_GLOBAL__N_124unique_dim_cuda_templateIiEESt5tupleIJNSF_6TensorESK_SK_EERKSK_lbbbEUlllE0_EEPmJS9_EEE10hipError_tPvRmT3_T4_T5_T6_T7_T9_mT8_P12ihipStream_tbDpT10_ENKUlT_T0_E_clISt17integral_constantIbLb1EES19_IbLb0EEEEDaS15_S16_EUlS15_E_NS1_11comp_targetILNS1_3genE4ELNS1_11target_archE910ELNS1_3gpuE8ELNS1_3repE0EEENS1_30default_config_static_selectorELNS0_4arch9wavefront6targetE1EEEvT1_
	.p2align	8
	.type	_ZN7rocprim17ROCPRIM_400000_NS6detail17trampoline_kernelINS0_14default_configENS1_25partition_config_selectorILNS1_17partition_subalgoE9EllbEEZZNS1_14partition_implILS5_9ELb0ES3_jPlS8_PNS0_10empty_typeENS0_5tupleIJS8_S9_EEENSB_IJS8_SA_EEENS0_18inequality_wrapperIZN2at6native12_GLOBAL__N_124unique_dim_cuda_templateIiEESt5tupleIJNSF_6TensorESK_SK_EERKSK_lbbbEUlllE0_EEPmJS9_EEE10hipError_tPvRmT3_T4_T5_T6_T7_T9_mT8_P12ihipStream_tbDpT10_ENKUlT_T0_E_clISt17integral_constantIbLb1EES19_IbLb0EEEEDaS15_S16_EUlS15_E_NS1_11comp_targetILNS1_3genE4ELNS1_11target_archE910ELNS1_3gpuE8ELNS1_3repE0EEENS1_30default_config_static_selectorELNS0_4arch9wavefront6targetE1EEEvT1_,@function
_ZN7rocprim17ROCPRIM_400000_NS6detail17trampoline_kernelINS0_14default_configENS1_25partition_config_selectorILNS1_17partition_subalgoE9EllbEEZZNS1_14partition_implILS5_9ELb0ES3_jPlS8_PNS0_10empty_typeENS0_5tupleIJS8_S9_EEENSB_IJS8_SA_EEENS0_18inequality_wrapperIZN2at6native12_GLOBAL__N_124unique_dim_cuda_templateIiEESt5tupleIJNSF_6TensorESK_SK_EERKSK_lbbbEUlllE0_EEPmJS9_EEE10hipError_tPvRmT3_T4_T5_T6_T7_T9_mT8_P12ihipStream_tbDpT10_ENKUlT_T0_E_clISt17integral_constantIbLb1EES19_IbLb0EEEEDaS15_S16_EUlS15_E_NS1_11comp_targetILNS1_3genE4ELNS1_11target_archE910ELNS1_3gpuE8ELNS1_3repE0EEENS1_30default_config_static_selectorELNS0_4arch9wavefront6targetE1EEEvT1_: ; @_ZN7rocprim17ROCPRIM_400000_NS6detail17trampoline_kernelINS0_14default_configENS1_25partition_config_selectorILNS1_17partition_subalgoE9EllbEEZZNS1_14partition_implILS5_9ELb0ES3_jPlS8_PNS0_10empty_typeENS0_5tupleIJS8_S9_EEENSB_IJS8_SA_EEENS0_18inequality_wrapperIZN2at6native12_GLOBAL__N_124unique_dim_cuda_templateIiEESt5tupleIJNSF_6TensorESK_SK_EERKSK_lbbbEUlllE0_EEPmJS9_EEE10hipError_tPvRmT3_T4_T5_T6_T7_T9_mT8_P12ihipStream_tbDpT10_ENKUlT_T0_E_clISt17integral_constantIbLb1EES19_IbLb0EEEEDaS15_S16_EUlS15_E_NS1_11comp_targetILNS1_3genE4ELNS1_11target_archE910ELNS1_3gpuE8ELNS1_3repE0EEENS1_30default_config_static_selectorELNS0_4arch9wavefront6targetE1EEEvT1_
; %bb.0:
	.section	.rodata,"a",@progbits
	.p2align	6, 0x0
	.amdhsa_kernel _ZN7rocprim17ROCPRIM_400000_NS6detail17trampoline_kernelINS0_14default_configENS1_25partition_config_selectorILNS1_17partition_subalgoE9EllbEEZZNS1_14partition_implILS5_9ELb0ES3_jPlS8_PNS0_10empty_typeENS0_5tupleIJS8_S9_EEENSB_IJS8_SA_EEENS0_18inequality_wrapperIZN2at6native12_GLOBAL__N_124unique_dim_cuda_templateIiEESt5tupleIJNSF_6TensorESK_SK_EERKSK_lbbbEUlllE0_EEPmJS9_EEE10hipError_tPvRmT3_T4_T5_T6_T7_T9_mT8_P12ihipStream_tbDpT10_ENKUlT_T0_E_clISt17integral_constantIbLb1EES19_IbLb0EEEEDaS15_S16_EUlS15_E_NS1_11comp_targetILNS1_3genE4ELNS1_11target_archE910ELNS1_3gpuE8ELNS1_3repE0EEENS1_30default_config_static_selectorELNS0_4arch9wavefront6targetE1EEEvT1_
		.amdhsa_group_segment_fixed_size 0
		.amdhsa_private_segment_fixed_size 0
		.amdhsa_kernarg_size 120
		.amdhsa_user_sgpr_count 2
		.amdhsa_user_sgpr_dispatch_ptr 0
		.amdhsa_user_sgpr_queue_ptr 0
		.amdhsa_user_sgpr_kernarg_segment_ptr 1
		.amdhsa_user_sgpr_dispatch_id 0
		.amdhsa_user_sgpr_kernarg_preload_length 0
		.amdhsa_user_sgpr_kernarg_preload_offset 0
		.amdhsa_user_sgpr_private_segment_size 0
		.amdhsa_uses_dynamic_stack 0
		.amdhsa_enable_private_segment 0
		.amdhsa_system_sgpr_workgroup_id_x 1
		.amdhsa_system_sgpr_workgroup_id_y 0
		.amdhsa_system_sgpr_workgroup_id_z 0
		.amdhsa_system_sgpr_workgroup_info 0
		.amdhsa_system_vgpr_workitem_id 0
		.amdhsa_next_free_vgpr 1
		.amdhsa_next_free_sgpr 0
		.amdhsa_accum_offset 4
		.amdhsa_reserve_vcc 0
		.amdhsa_float_round_mode_32 0
		.amdhsa_float_round_mode_16_64 0
		.amdhsa_float_denorm_mode_32 3
		.amdhsa_float_denorm_mode_16_64 3
		.amdhsa_dx10_clamp 1
		.amdhsa_ieee_mode 1
		.amdhsa_fp16_overflow 0
		.amdhsa_tg_split 0
		.amdhsa_exception_fp_ieee_invalid_op 0
		.amdhsa_exception_fp_denorm_src 0
		.amdhsa_exception_fp_ieee_div_zero 0
		.amdhsa_exception_fp_ieee_overflow 0
		.amdhsa_exception_fp_ieee_underflow 0
		.amdhsa_exception_fp_ieee_inexact 0
		.amdhsa_exception_int_div_zero 0
	.end_amdhsa_kernel
	.section	.text._ZN7rocprim17ROCPRIM_400000_NS6detail17trampoline_kernelINS0_14default_configENS1_25partition_config_selectorILNS1_17partition_subalgoE9EllbEEZZNS1_14partition_implILS5_9ELb0ES3_jPlS8_PNS0_10empty_typeENS0_5tupleIJS8_S9_EEENSB_IJS8_SA_EEENS0_18inequality_wrapperIZN2at6native12_GLOBAL__N_124unique_dim_cuda_templateIiEESt5tupleIJNSF_6TensorESK_SK_EERKSK_lbbbEUlllE0_EEPmJS9_EEE10hipError_tPvRmT3_T4_T5_T6_T7_T9_mT8_P12ihipStream_tbDpT10_ENKUlT_T0_E_clISt17integral_constantIbLb1EES19_IbLb0EEEEDaS15_S16_EUlS15_E_NS1_11comp_targetILNS1_3genE4ELNS1_11target_archE910ELNS1_3gpuE8ELNS1_3repE0EEENS1_30default_config_static_selectorELNS0_4arch9wavefront6targetE1EEEvT1_,"axG",@progbits,_ZN7rocprim17ROCPRIM_400000_NS6detail17trampoline_kernelINS0_14default_configENS1_25partition_config_selectorILNS1_17partition_subalgoE9EllbEEZZNS1_14partition_implILS5_9ELb0ES3_jPlS8_PNS0_10empty_typeENS0_5tupleIJS8_S9_EEENSB_IJS8_SA_EEENS0_18inequality_wrapperIZN2at6native12_GLOBAL__N_124unique_dim_cuda_templateIiEESt5tupleIJNSF_6TensorESK_SK_EERKSK_lbbbEUlllE0_EEPmJS9_EEE10hipError_tPvRmT3_T4_T5_T6_T7_T9_mT8_P12ihipStream_tbDpT10_ENKUlT_T0_E_clISt17integral_constantIbLb1EES19_IbLb0EEEEDaS15_S16_EUlS15_E_NS1_11comp_targetILNS1_3genE4ELNS1_11target_archE910ELNS1_3gpuE8ELNS1_3repE0EEENS1_30default_config_static_selectorELNS0_4arch9wavefront6targetE1EEEvT1_,comdat
.Lfunc_end494:
	.size	_ZN7rocprim17ROCPRIM_400000_NS6detail17trampoline_kernelINS0_14default_configENS1_25partition_config_selectorILNS1_17partition_subalgoE9EllbEEZZNS1_14partition_implILS5_9ELb0ES3_jPlS8_PNS0_10empty_typeENS0_5tupleIJS8_S9_EEENSB_IJS8_SA_EEENS0_18inequality_wrapperIZN2at6native12_GLOBAL__N_124unique_dim_cuda_templateIiEESt5tupleIJNSF_6TensorESK_SK_EERKSK_lbbbEUlllE0_EEPmJS9_EEE10hipError_tPvRmT3_T4_T5_T6_T7_T9_mT8_P12ihipStream_tbDpT10_ENKUlT_T0_E_clISt17integral_constantIbLb1EES19_IbLb0EEEEDaS15_S16_EUlS15_E_NS1_11comp_targetILNS1_3genE4ELNS1_11target_archE910ELNS1_3gpuE8ELNS1_3repE0EEENS1_30default_config_static_selectorELNS0_4arch9wavefront6targetE1EEEvT1_, .Lfunc_end494-_ZN7rocprim17ROCPRIM_400000_NS6detail17trampoline_kernelINS0_14default_configENS1_25partition_config_selectorILNS1_17partition_subalgoE9EllbEEZZNS1_14partition_implILS5_9ELb0ES3_jPlS8_PNS0_10empty_typeENS0_5tupleIJS8_S9_EEENSB_IJS8_SA_EEENS0_18inequality_wrapperIZN2at6native12_GLOBAL__N_124unique_dim_cuda_templateIiEESt5tupleIJNSF_6TensorESK_SK_EERKSK_lbbbEUlllE0_EEPmJS9_EEE10hipError_tPvRmT3_T4_T5_T6_T7_T9_mT8_P12ihipStream_tbDpT10_ENKUlT_T0_E_clISt17integral_constantIbLb1EES19_IbLb0EEEEDaS15_S16_EUlS15_E_NS1_11comp_targetILNS1_3genE4ELNS1_11target_archE910ELNS1_3gpuE8ELNS1_3repE0EEENS1_30default_config_static_selectorELNS0_4arch9wavefront6targetE1EEEvT1_
                                        ; -- End function
	.section	.AMDGPU.csdata,"",@progbits
; Kernel info:
; codeLenInByte = 0
; NumSgprs: 6
; NumVgprs: 0
; NumAgprs: 0
; TotalNumVgprs: 0
; ScratchSize: 0
; MemoryBound: 0
; FloatMode: 240
; IeeeMode: 1
; LDSByteSize: 0 bytes/workgroup (compile time only)
; SGPRBlocks: 0
; VGPRBlocks: 0
; NumSGPRsForWavesPerEU: 6
; NumVGPRsForWavesPerEU: 1
; AccumOffset: 4
; Occupancy: 8
; WaveLimiterHint : 0
; COMPUTE_PGM_RSRC2:SCRATCH_EN: 0
; COMPUTE_PGM_RSRC2:USER_SGPR: 2
; COMPUTE_PGM_RSRC2:TRAP_HANDLER: 0
; COMPUTE_PGM_RSRC2:TGID_X_EN: 1
; COMPUTE_PGM_RSRC2:TGID_Y_EN: 0
; COMPUTE_PGM_RSRC2:TGID_Z_EN: 0
; COMPUTE_PGM_RSRC2:TIDIG_COMP_CNT: 0
; COMPUTE_PGM_RSRC3_GFX90A:ACCUM_OFFSET: 0
; COMPUTE_PGM_RSRC3_GFX90A:TG_SPLIT: 0
	.section	.text._ZN7rocprim17ROCPRIM_400000_NS6detail17trampoline_kernelINS0_14default_configENS1_25partition_config_selectorILNS1_17partition_subalgoE9EllbEEZZNS1_14partition_implILS5_9ELb0ES3_jPlS8_PNS0_10empty_typeENS0_5tupleIJS8_S9_EEENSB_IJS8_SA_EEENS0_18inequality_wrapperIZN2at6native12_GLOBAL__N_124unique_dim_cuda_templateIiEESt5tupleIJNSF_6TensorESK_SK_EERKSK_lbbbEUlllE0_EEPmJS9_EEE10hipError_tPvRmT3_T4_T5_T6_T7_T9_mT8_P12ihipStream_tbDpT10_ENKUlT_T0_E_clISt17integral_constantIbLb1EES19_IbLb0EEEEDaS15_S16_EUlS15_E_NS1_11comp_targetILNS1_3genE3ELNS1_11target_archE908ELNS1_3gpuE7ELNS1_3repE0EEENS1_30default_config_static_selectorELNS0_4arch9wavefront6targetE1EEEvT1_,"axG",@progbits,_ZN7rocprim17ROCPRIM_400000_NS6detail17trampoline_kernelINS0_14default_configENS1_25partition_config_selectorILNS1_17partition_subalgoE9EllbEEZZNS1_14partition_implILS5_9ELb0ES3_jPlS8_PNS0_10empty_typeENS0_5tupleIJS8_S9_EEENSB_IJS8_SA_EEENS0_18inequality_wrapperIZN2at6native12_GLOBAL__N_124unique_dim_cuda_templateIiEESt5tupleIJNSF_6TensorESK_SK_EERKSK_lbbbEUlllE0_EEPmJS9_EEE10hipError_tPvRmT3_T4_T5_T6_T7_T9_mT8_P12ihipStream_tbDpT10_ENKUlT_T0_E_clISt17integral_constantIbLb1EES19_IbLb0EEEEDaS15_S16_EUlS15_E_NS1_11comp_targetILNS1_3genE3ELNS1_11target_archE908ELNS1_3gpuE7ELNS1_3repE0EEENS1_30default_config_static_selectorELNS0_4arch9wavefront6targetE1EEEvT1_,comdat
	.globl	_ZN7rocprim17ROCPRIM_400000_NS6detail17trampoline_kernelINS0_14default_configENS1_25partition_config_selectorILNS1_17partition_subalgoE9EllbEEZZNS1_14partition_implILS5_9ELb0ES3_jPlS8_PNS0_10empty_typeENS0_5tupleIJS8_S9_EEENSB_IJS8_SA_EEENS0_18inequality_wrapperIZN2at6native12_GLOBAL__N_124unique_dim_cuda_templateIiEESt5tupleIJNSF_6TensorESK_SK_EERKSK_lbbbEUlllE0_EEPmJS9_EEE10hipError_tPvRmT3_T4_T5_T6_T7_T9_mT8_P12ihipStream_tbDpT10_ENKUlT_T0_E_clISt17integral_constantIbLb1EES19_IbLb0EEEEDaS15_S16_EUlS15_E_NS1_11comp_targetILNS1_3genE3ELNS1_11target_archE908ELNS1_3gpuE7ELNS1_3repE0EEENS1_30default_config_static_selectorELNS0_4arch9wavefront6targetE1EEEvT1_ ; -- Begin function _ZN7rocprim17ROCPRIM_400000_NS6detail17trampoline_kernelINS0_14default_configENS1_25partition_config_selectorILNS1_17partition_subalgoE9EllbEEZZNS1_14partition_implILS5_9ELb0ES3_jPlS8_PNS0_10empty_typeENS0_5tupleIJS8_S9_EEENSB_IJS8_SA_EEENS0_18inequality_wrapperIZN2at6native12_GLOBAL__N_124unique_dim_cuda_templateIiEESt5tupleIJNSF_6TensorESK_SK_EERKSK_lbbbEUlllE0_EEPmJS9_EEE10hipError_tPvRmT3_T4_T5_T6_T7_T9_mT8_P12ihipStream_tbDpT10_ENKUlT_T0_E_clISt17integral_constantIbLb1EES19_IbLb0EEEEDaS15_S16_EUlS15_E_NS1_11comp_targetILNS1_3genE3ELNS1_11target_archE908ELNS1_3gpuE7ELNS1_3repE0EEENS1_30default_config_static_selectorELNS0_4arch9wavefront6targetE1EEEvT1_
	.p2align	8
	.type	_ZN7rocprim17ROCPRIM_400000_NS6detail17trampoline_kernelINS0_14default_configENS1_25partition_config_selectorILNS1_17partition_subalgoE9EllbEEZZNS1_14partition_implILS5_9ELb0ES3_jPlS8_PNS0_10empty_typeENS0_5tupleIJS8_S9_EEENSB_IJS8_SA_EEENS0_18inequality_wrapperIZN2at6native12_GLOBAL__N_124unique_dim_cuda_templateIiEESt5tupleIJNSF_6TensorESK_SK_EERKSK_lbbbEUlllE0_EEPmJS9_EEE10hipError_tPvRmT3_T4_T5_T6_T7_T9_mT8_P12ihipStream_tbDpT10_ENKUlT_T0_E_clISt17integral_constantIbLb1EES19_IbLb0EEEEDaS15_S16_EUlS15_E_NS1_11comp_targetILNS1_3genE3ELNS1_11target_archE908ELNS1_3gpuE7ELNS1_3repE0EEENS1_30default_config_static_selectorELNS0_4arch9wavefront6targetE1EEEvT1_,@function
_ZN7rocprim17ROCPRIM_400000_NS6detail17trampoline_kernelINS0_14default_configENS1_25partition_config_selectorILNS1_17partition_subalgoE9EllbEEZZNS1_14partition_implILS5_9ELb0ES3_jPlS8_PNS0_10empty_typeENS0_5tupleIJS8_S9_EEENSB_IJS8_SA_EEENS0_18inequality_wrapperIZN2at6native12_GLOBAL__N_124unique_dim_cuda_templateIiEESt5tupleIJNSF_6TensorESK_SK_EERKSK_lbbbEUlllE0_EEPmJS9_EEE10hipError_tPvRmT3_T4_T5_T6_T7_T9_mT8_P12ihipStream_tbDpT10_ENKUlT_T0_E_clISt17integral_constantIbLb1EES19_IbLb0EEEEDaS15_S16_EUlS15_E_NS1_11comp_targetILNS1_3genE3ELNS1_11target_archE908ELNS1_3gpuE7ELNS1_3repE0EEENS1_30default_config_static_selectorELNS0_4arch9wavefront6targetE1EEEvT1_: ; @_ZN7rocprim17ROCPRIM_400000_NS6detail17trampoline_kernelINS0_14default_configENS1_25partition_config_selectorILNS1_17partition_subalgoE9EllbEEZZNS1_14partition_implILS5_9ELb0ES3_jPlS8_PNS0_10empty_typeENS0_5tupleIJS8_S9_EEENSB_IJS8_SA_EEENS0_18inequality_wrapperIZN2at6native12_GLOBAL__N_124unique_dim_cuda_templateIiEESt5tupleIJNSF_6TensorESK_SK_EERKSK_lbbbEUlllE0_EEPmJS9_EEE10hipError_tPvRmT3_T4_T5_T6_T7_T9_mT8_P12ihipStream_tbDpT10_ENKUlT_T0_E_clISt17integral_constantIbLb1EES19_IbLb0EEEEDaS15_S16_EUlS15_E_NS1_11comp_targetILNS1_3genE3ELNS1_11target_archE908ELNS1_3gpuE7ELNS1_3repE0EEENS1_30default_config_static_selectorELNS0_4arch9wavefront6targetE1EEEvT1_
; %bb.0:
	.section	.rodata,"a",@progbits
	.p2align	6, 0x0
	.amdhsa_kernel _ZN7rocprim17ROCPRIM_400000_NS6detail17trampoline_kernelINS0_14default_configENS1_25partition_config_selectorILNS1_17partition_subalgoE9EllbEEZZNS1_14partition_implILS5_9ELb0ES3_jPlS8_PNS0_10empty_typeENS0_5tupleIJS8_S9_EEENSB_IJS8_SA_EEENS0_18inequality_wrapperIZN2at6native12_GLOBAL__N_124unique_dim_cuda_templateIiEESt5tupleIJNSF_6TensorESK_SK_EERKSK_lbbbEUlllE0_EEPmJS9_EEE10hipError_tPvRmT3_T4_T5_T6_T7_T9_mT8_P12ihipStream_tbDpT10_ENKUlT_T0_E_clISt17integral_constantIbLb1EES19_IbLb0EEEEDaS15_S16_EUlS15_E_NS1_11comp_targetILNS1_3genE3ELNS1_11target_archE908ELNS1_3gpuE7ELNS1_3repE0EEENS1_30default_config_static_selectorELNS0_4arch9wavefront6targetE1EEEvT1_
		.amdhsa_group_segment_fixed_size 0
		.amdhsa_private_segment_fixed_size 0
		.amdhsa_kernarg_size 120
		.amdhsa_user_sgpr_count 2
		.amdhsa_user_sgpr_dispatch_ptr 0
		.amdhsa_user_sgpr_queue_ptr 0
		.amdhsa_user_sgpr_kernarg_segment_ptr 1
		.amdhsa_user_sgpr_dispatch_id 0
		.amdhsa_user_sgpr_kernarg_preload_length 0
		.amdhsa_user_sgpr_kernarg_preload_offset 0
		.amdhsa_user_sgpr_private_segment_size 0
		.amdhsa_uses_dynamic_stack 0
		.amdhsa_enable_private_segment 0
		.amdhsa_system_sgpr_workgroup_id_x 1
		.amdhsa_system_sgpr_workgroup_id_y 0
		.amdhsa_system_sgpr_workgroup_id_z 0
		.amdhsa_system_sgpr_workgroup_info 0
		.amdhsa_system_vgpr_workitem_id 0
		.amdhsa_next_free_vgpr 1
		.amdhsa_next_free_sgpr 0
		.amdhsa_accum_offset 4
		.amdhsa_reserve_vcc 0
		.amdhsa_float_round_mode_32 0
		.amdhsa_float_round_mode_16_64 0
		.amdhsa_float_denorm_mode_32 3
		.amdhsa_float_denorm_mode_16_64 3
		.amdhsa_dx10_clamp 1
		.amdhsa_ieee_mode 1
		.amdhsa_fp16_overflow 0
		.amdhsa_tg_split 0
		.amdhsa_exception_fp_ieee_invalid_op 0
		.amdhsa_exception_fp_denorm_src 0
		.amdhsa_exception_fp_ieee_div_zero 0
		.amdhsa_exception_fp_ieee_overflow 0
		.amdhsa_exception_fp_ieee_underflow 0
		.amdhsa_exception_fp_ieee_inexact 0
		.amdhsa_exception_int_div_zero 0
	.end_amdhsa_kernel
	.section	.text._ZN7rocprim17ROCPRIM_400000_NS6detail17trampoline_kernelINS0_14default_configENS1_25partition_config_selectorILNS1_17partition_subalgoE9EllbEEZZNS1_14partition_implILS5_9ELb0ES3_jPlS8_PNS0_10empty_typeENS0_5tupleIJS8_S9_EEENSB_IJS8_SA_EEENS0_18inequality_wrapperIZN2at6native12_GLOBAL__N_124unique_dim_cuda_templateIiEESt5tupleIJNSF_6TensorESK_SK_EERKSK_lbbbEUlllE0_EEPmJS9_EEE10hipError_tPvRmT3_T4_T5_T6_T7_T9_mT8_P12ihipStream_tbDpT10_ENKUlT_T0_E_clISt17integral_constantIbLb1EES19_IbLb0EEEEDaS15_S16_EUlS15_E_NS1_11comp_targetILNS1_3genE3ELNS1_11target_archE908ELNS1_3gpuE7ELNS1_3repE0EEENS1_30default_config_static_selectorELNS0_4arch9wavefront6targetE1EEEvT1_,"axG",@progbits,_ZN7rocprim17ROCPRIM_400000_NS6detail17trampoline_kernelINS0_14default_configENS1_25partition_config_selectorILNS1_17partition_subalgoE9EllbEEZZNS1_14partition_implILS5_9ELb0ES3_jPlS8_PNS0_10empty_typeENS0_5tupleIJS8_S9_EEENSB_IJS8_SA_EEENS0_18inequality_wrapperIZN2at6native12_GLOBAL__N_124unique_dim_cuda_templateIiEESt5tupleIJNSF_6TensorESK_SK_EERKSK_lbbbEUlllE0_EEPmJS9_EEE10hipError_tPvRmT3_T4_T5_T6_T7_T9_mT8_P12ihipStream_tbDpT10_ENKUlT_T0_E_clISt17integral_constantIbLb1EES19_IbLb0EEEEDaS15_S16_EUlS15_E_NS1_11comp_targetILNS1_3genE3ELNS1_11target_archE908ELNS1_3gpuE7ELNS1_3repE0EEENS1_30default_config_static_selectorELNS0_4arch9wavefront6targetE1EEEvT1_,comdat
.Lfunc_end495:
	.size	_ZN7rocprim17ROCPRIM_400000_NS6detail17trampoline_kernelINS0_14default_configENS1_25partition_config_selectorILNS1_17partition_subalgoE9EllbEEZZNS1_14partition_implILS5_9ELb0ES3_jPlS8_PNS0_10empty_typeENS0_5tupleIJS8_S9_EEENSB_IJS8_SA_EEENS0_18inequality_wrapperIZN2at6native12_GLOBAL__N_124unique_dim_cuda_templateIiEESt5tupleIJNSF_6TensorESK_SK_EERKSK_lbbbEUlllE0_EEPmJS9_EEE10hipError_tPvRmT3_T4_T5_T6_T7_T9_mT8_P12ihipStream_tbDpT10_ENKUlT_T0_E_clISt17integral_constantIbLb1EES19_IbLb0EEEEDaS15_S16_EUlS15_E_NS1_11comp_targetILNS1_3genE3ELNS1_11target_archE908ELNS1_3gpuE7ELNS1_3repE0EEENS1_30default_config_static_selectorELNS0_4arch9wavefront6targetE1EEEvT1_, .Lfunc_end495-_ZN7rocprim17ROCPRIM_400000_NS6detail17trampoline_kernelINS0_14default_configENS1_25partition_config_selectorILNS1_17partition_subalgoE9EllbEEZZNS1_14partition_implILS5_9ELb0ES3_jPlS8_PNS0_10empty_typeENS0_5tupleIJS8_S9_EEENSB_IJS8_SA_EEENS0_18inequality_wrapperIZN2at6native12_GLOBAL__N_124unique_dim_cuda_templateIiEESt5tupleIJNSF_6TensorESK_SK_EERKSK_lbbbEUlllE0_EEPmJS9_EEE10hipError_tPvRmT3_T4_T5_T6_T7_T9_mT8_P12ihipStream_tbDpT10_ENKUlT_T0_E_clISt17integral_constantIbLb1EES19_IbLb0EEEEDaS15_S16_EUlS15_E_NS1_11comp_targetILNS1_3genE3ELNS1_11target_archE908ELNS1_3gpuE7ELNS1_3repE0EEENS1_30default_config_static_selectorELNS0_4arch9wavefront6targetE1EEEvT1_
                                        ; -- End function
	.section	.AMDGPU.csdata,"",@progbits
; Kernel info:
; codeLenInByte = 0
; NumSgprs: 6
; NumVgprs: 0
; NumAgprs: 0
; TotalNumVgprs: 0
; ScratchSize: 0
; MemoryBound: 0
; FloatMode: 240
; IeeeMode: 1
; LDSByteSize: 0 bytes/workgroup (compile time only)
; SGPRBlocks: 0
; VGPRBlocks: 0
; NumSGPRsForWavesPerEU: 6
; NumVGPRsForWavesPerEU: 1
; AccumOffset: 4
; Occupancy: 8
; WaveLimiterHint : 0
; COMPUTE_PGM_RSRC2:SCRATCH_EN: 0
; COMPUTE_PGM_RSRC2:USER_SGPR: 2
; COMPUTE_PGM_RSRC2:TRAP_HANDLER: 0
; COMPUTE_PGM_RSRC2:TGID_X_EN: 1
; COMPUTE_PGM_RSRC2:TGID_Y_EN: 0
; COMPUTE_PGM_RSRC2:TGID_Z_EN: 0
; COMPUTE_PGM_RSRC2:TIDIG_COMP_CNT: 0
; COMPUTE_PGM_RSRC3_GFX90A:ACCUM_OFFSET: 0
; COMPUTE_PGM_RSRC3_GFX90A:TG_SPLIT: 0
	.section	.text._ZN7rocprim17ROCPRIM_400000_NS6detail17trampoline_kernelINS0_14default_configENS1_25partition_config_selectorILNS1_17partition_subalgoE9EllbEEZZNS1_14partition_implILS5_9ELb0ES3_jPlS8_PNS0_10empty_typeENS0_5tupleIJS8_S9_EEENSB_IJS8_SA_EEENS0_18inequality_wrapperIZN2at6native12_GLOBAL__N_124unique_dim_cuda_templateIiEESt5tupleIJNSF_6TensorESK_SK_EERKSK_lbbbEUlllE0_EEPmJS9_EEE10hipError_tPvRmT3_T4_T5_T6_T7_T9_mT8_P12ihipStream_tbDpT10_ENKUlT_T0_E_clISt17integral_constantIbLb1EES19_IbLb0EEEEDaS15_S16_EUlS15_E_NS1_11comp_targetILNS1_3genE2ELNS1_11target_archE906ELNS1_3gpuE6ELNS1_3repE0EEENS1_30default_config_static_selectorELNS0_4arch9wavefront6targetE1EEEvT1_,"axG",@progbits,_ZN7rocprim17ROCPRIM_400000_NS6detail17trampoline_kernelINS0_14default_configENS1_25partition_config_selectorILNS1_17partition_subalgoE9EllbEEZZNS1_14partition_implILS5_9ELb0ES3_jPlS8_PNS0_10empty_typeENS0_5tupleIJS8_S9_EEENSB_IJS8_SA_EEENS0_18inequality_wrapperIZN2at6native12_GLOBAL__N_124unique_dim_cuda_templateIiEESt5tupleIJNSF_6TensorESK_SK_EERKSK_lbbbEUlllE0_EEPmJS9_EEE10hipError_tPvRmT3_T4_T5_T6_T7_T9_mT8_P12ihipStream_tbDpT10_ENKUlT_T0_E_clISt17integral_constantIbLb1EES19_IbLb0EEEEDaS15_S16_EUlS15_E_NS1_11comp_targetILNS1_3genE2ELNS1_11target_archE906ELNS1_3gpuE6ELNS1_3repE0EEENS1_30default_config_static_selectorELNS0_4arch9wavefront6targetE1EEEvT1_,comdat
	.globl	_ZN7rocprim17ROCPRIM_400000_NS6detail17trampoline_kernelINS0_14default_configENS1_25partition_config_selectorILNS1_17partition_subalgoE9EllbEEZZNS1_14partition_implILS5_9ELb0ES3_jPlS8_PNS0_10empty_typeENS0_5tupleIJS8_S9_EEENSB_IJS8_SA_EEENS0_18inequality_wrapperIZN2at6native12_GLOBAL__N_124unique_dim_cuda_templateIiEESt5tupleIJNSF_6TensorESK_SK_EERKSK_lbbbEUlllE0_EEPmJS9_EEE10hipError_tPvRmT3_T4_T5_T6_T7_T9_mT8_P12ihipStream_tbDpT10_ENKUlT_T0_E_clISt17integral_constantIbLb1EES19_IbLb0EEEEDaS15_S16_EUlS15_E_NS1_11comp_targetILNS1_3genE2ELNS1_11target_archE906ELNS1_3gpuE6ELNS1_3repE0EEENS1_30default_config_static_selectorELNS0_4arch9wavefront6targetE1EEEvT1_ ; -- Begin function _ZN7rocprim17ROCPRIM_400000_NS6detail17trampoline_kernelINS0_14default_configENS1_25partition_config_selectorILNS1_17partition_subalgoE9EllbEEZZNS1_14partition_implILS5_9ELb0ES3_jPlS8_PNS0_10empty_typeENS0_5tupleIJS8_S9_EEENSB_IJS8_SA_EEENS0_18inequality_wrapperIZN2at6native12_GLOBAL__N_124unique_dim_cuda_templateIiEESt5tupleIJNSF_6TensorESK_SK_EERKSK_lbbbEUlllE0_EEPmJS9_EEE10hipError_tPvRmT3_T4_T5_T6_T7_T9_mT8_P12ihipStream_tbDpT10_ENKUlT_T0_E_clISt17integral_constantIbLb1EES19_IbLb0EEEEDaS15_S16_EUlS15_E_NS1_11comp_targetILNS1_3genE2ELNS1_11target_archE906ELNS1_3gpuE6ELNS1_3repE0EEENS1_30default_config_static_selectorELNS0_4arch9wavefront6targetE1EEEvT1_
	.p2align	8
	.type	_ZN7rocprim17ROCPRIM_400000_NS6detail17trampoline_kernelINS0_14default_configENS1_25partition_config_selectorILNS1_17partition_subalgoE9EllbEEZZNS1_14partition_implILS5_9ELb0ES3_jPlS8_PNS0_10empty_typeENS0_5tupleIJS8_S9_EEENSB_IJS8_SA_EEENS0_18inequality_wrapperIZN2at6native12_GLOBAL__N_124unique_dim_cuda_templateIiEESt5tupleIJNSF_6TensorESK_SK_EERKSK_lbbbEUlllE0_EEPmJS9_EEE10hipError_tPvRmT3_T4_T5_T6_T7_T9_mT8_P12ihipStream_tbDpT10_ENKUlT_T0_E_clISt17integral_constantIbLb1EES19_IbLb0EEEEDaS15_S16_EUlS15_E_NS1_11comp_targetILNS1_3genE2ELNS1_11target_archE906ELNS1_3gpuE6ELNS1_3repE0EEENS1_30default_config_static_selectorELNS0_4arch9wavefront6targetE1EEEvT1_,@function
_ZN7rocprim17ROCPRIM_400000_NS6detail17trampoline_kernelINS0_14default_configENS1_25partition_config_selectorILNS1_17partition_subalgoE9EllbEEZZNS1_14partition_implILS5_9ELb0ES3_jPlS8_PNS0_10empty_typeENS0_5tupleIJS8_S9_EEENSB_IJS8_SA_EEENS0_18inequality_wrapperIZN2at6native12_GLOBAL__N_124unique_dim_cuda_templateIiEESt5tupleIJNSF_6TensorESK_SK_EERKSK_lbbbEUlllE0_EEPmJS9_EEE10hipError_tPvRmT3_T4_T5_T6_T7_T9_mT8_P12ihipStream_tbDpT10_ENKUlT_T0_E_clISt17integral_constantIbLb1EES19_IbLb0EEEEDaS15_S16_EUlS15_E_NS1_11comp_targetILNS1_3genE2ELNS1_11target_archE906ELNS1_3gpuE6ELNS1_3repE0EEENS1_30default_config_static_selectorELNS0_4arch9wavefront6targetE1EEEvT1_: ; @_ZN7rocprim17ROCPRIM_400000_NS6detail17trampoline_kernelINS0_14default_configENS1_25partition_config_selectorILNS1_17partition_subalgoE9EllbEEZZNS1_14partition_implILS5_9ELb0ES3_jPlS8_PNS0_10empty_typeENS0_5tupleIJS8_S9_EEENSB_IJS8_SA_EEENS0_18inequality_wrapperIZN2at6native12_GLOBAL__N_124unique_dim_cuda_templateIiEESt5tupleIJNSF_6TensorESK_SK_EERKSK_lbbbEUlllE0_EEPmJS9_EEE10hipError_tPvRmT3_T4_T5_T6_T7_T9_mT8_P12ihipStream_tbDpT10_ENKUlT_T0_E_clISt17integral_constantIbLb1EES19_IbLb0EEEEDaS15_S16_EUlS15_E_NS1_11comp_targetILNS1_3genE2ELNS1_11target_archE906ELNS1_3gpuE6ELNS1_3repE0EEENS1_30default_config_static_selectorELNS0_4arch9wavefront6targetE1EEEvT1_
; %bb.0:
	.section	.rodata,"a",@progbits
	.p2align	6, 0x0
	.amdhsa_kernel _ZN7rocprim17ROCPRIM_400000_NS6detail17trampoline_kernelINS0_14default_configENS1_25partition_config_selectorILNS1_17partition_subalgoE9EllbEEZZNS1_14partition_implILS5_9ELb0ES3_jPlS8_PNS0_10empty_typeENS0_5tupleIJS8_S9_EEENSB_IJS8_SA_EEENS0_18inequality_wrapperIZN2at6native12_GLOBAL__N_124unique_dim_cuda_templateIiEESt5tupleIJNSF_6TensorESK_SK_EERKSK_lbbbEUlllE0_EEPmJS9_EEE10hipError_tPvRmT3_T4_T5_T6_T7_T9_mT8_P12ihipStream_tbDpT10_ENKUlT_T0_E_clISt17integral_constantIbLb1EES19_IbLb0EEEEDaS15_S16_EUlS15_E_NS1_11comp_targetILNS1_3genE2ELNS1_11target_archE906ELNS1_3gpuE6ELNS1_3repE0EEENS1_30default_config_static_selectorELNS0_4arch9wavefront6targetE1EEEvT1_
		.amdhsa_group_segment_fixed_size 0
		.amdhsa_private_segment_fixed_size 0
		.amdhsa_kernarg_size 120
		.amdhsa_user_sgpr_count 2
		.amdhsa_user_sgpr_dispatch_ptr 0
		.amdhsa_user_sgpr_queue_ptr 0
		.amdhsa_user_sgpr_kernarg_segment_ptr 1
		.amdhsa_user_sgpr_dispatch_id 0
		.amdhsa_user_sgpr_kernarg_preload_length 0
		.amdhsa_user_sgpr_kernarg_preload_offset 0
		.amdhsa_user_sgpr_private_segment_size 0
		.amdhsa_uses_dynamic_stack 0
		.amdhsa_enable_private_segment 0
		.amdhsa_system_sgpr_workgroup_id_x 1
		.amdhsa_system_sgpr_workgroup_id_y 0
		.amdhsa_system_sgpr_workgroup_id_z 0
		.amdhsa_system_sgpr_workgroup_info 0
		.amdhsa_system_vgpr_workitem_id 0
		.amdhsa_next_free_vgpr 1
		.amdhsa_next_free_sgpr 0
		.amdhsa_accum_offset 4
		.amdhsa_reserve_vcc 0
		.amdhsa_float_round_mode_32 0
		.amdhsa_float_round_mode_16_64 0
		.amdhsa_float_denorm_mode_32 3
		.amdhsa_float_denorm_mode_16_64 3
		.amdhsa_dx10_clamp 1
		.amdhsa_ieee_mode 1
		.amdhsa_fp16_overflow 0
		.amdhsa_tg_split 0
		.amdhsa_exception_fp_ieee_invalid_op 0
		.amdhsa_exception_fp_denorm_src 0
		.amdhsa_exception_fp_ieee_div_zero 0
		.amdhsa_exception_fp_ieee_overflow 0
		.amdhsa_exception_fp_ieee_underflow 0
		.amdhsa_exception_fp_ieee_inexact 0
		.amdhsa_exception_int_div_zero 0
	.end_amdhsa_kernel
	.section	.text._ZN7rocprim17ROCPRIM_400000_NS6detail17trampoline_kernelINS0_14default_configENS1_25partition_config_selectorILNS1_17partition_subalgoE9EllbEEZZNS1_14partition_implILS5_9ELb0ES3_jPlS8_PNS0_10empty_typeENS0_5tupleIJS8_S9_EEENSB_IJS8_SA_EEENS0_18inequality_wrapperIZN2at6native12_GLOBAL__N_124unique_dim_cuda_templateIiEESt5tupleIJNSF_6TensorESK_SK_EERKSK_lbbbEUlllE0_EEPmJS9_EEE10hipError_tPvRmT3_T4_T5_T6_T7_T9_mT8_P12ihipStream_tbDpT10_ENKUlT_T0_E_clISt17integral_constantIbLb1EES19_IbLb0EEEEDaS15_S16_EUlS15_E_NS1_11comp_targetILNS1_3genE2ELNS1_11target_archE906ELNS1_3gpuE6ELNS1_3repE0EEENS1_30default_config_static_selectorELNS0_4arch9wavefront6targetE1EEEvT1_,"axG",@progbits,_ZN7rocprim17ROCPRIM_400000_NS6detail17trampoline_kernelINS0_14default_configENS1_25partition_config_selectorILNS1_17partition_subalgoE9EllbEEZZNS1_14partition_implILS5_9ELb0ES3_jPlS8_PNS0_10empty_typeENS0_5tupleIJS8_S9_EEENSB_IJS8_SA_EEENS0_18inequality_wrapperIZN2at6native12_GLOBAL__N_124unique_dim_cuda_templateIiEESt5tupleIJNSF_6TensorESK_SK_EERKSK_lbbbEUlllE0_EEPmJS9_EEE10hipError_tPvRmT3_T4_T5_T6_T7_T9_mT8_P12ihipStream_tbDpT10_ENKUlT_T0_E_clISt17integral_constantIbLb1EES19_IbLb0EEEEDaS15_S16_EUlS15_E_NS1_11comp_targetILNS1_3genE2ELNS1_11target_archE906ELNS1_3gpuE6ELNS1_3repE0EEENS1_30default_config_static_selectorELNS0_4arch9wavefront6targetE1EEEvT1_,comdat
.Lfunc_end496:
	.size	_ZN7rocprim17ROCPRIM_400000_NS6detail17trampoline_kernelINS0_14default_configENS1_25partition_config_selectorILNS1_17partition_subalgoE9EllbEEZZNS1_14partition_implILS5_9ELb0ES3_jPlS8_PNS0_10empty_typeENS0_5tupleIJS8_S9_EEENSB_IJS8_SA_EEENS0_18inequality_wrapperIZN2at6native12_GLOBAL__N_124unique_dim_cuda_templateIiEESt5tupleIJNSF_6TensorESK_SK_EERKSK_lbbbEUlllE0_EEPmJS9_EEE10hipError_tPvRmT3_T4_T5_T6_T7_T9_mT8_P12ihipStream_tbDpT10_ENKUlT_T0_E_clISt17integral_constantIbLb1EES19_IbLb0EEEEDaS15_S16_EUlS15_E_NS1_11comp_targetILNS1_3genE2ELNS1_11target_archE906ELNS1_3gpuE6ELNS1_3repE0EEENS1_30default_config_static_selectorELNS0_4arch9wavefront6targetE1EEEvT1_, .Lfunc_end496-_ZN7rocprim17ROCPRIM_400000_NS6detail17trampoline_kernelINS0_14default_configENS1_25partition_config_selectorILNS1_17partition_subalgoE9EllbEEZZNS1_14partition_implILS5_9ELb0ES3_jPlS8_PNS0_10empty_typeENS0_5tupleIJS8_S9_EEENSB_IJS8_SA_EEENS0_18inequality_wrapperIZN2at6native12_GLOBAL__N_124unique_dim_cuda_templateIiEESt5tupleIJNSF_6TensorESK_SK_EERKSK_lbbbEUlllE0_EEPmJS9_EEE10hipError_tPvRmT3_T4_T5_T6_T7_T9_mT8_P12ihipStream_tbDpT10_ENKUlT_T0_E_clISt17integral_constantIbLb1EES19_IbLb0EEEEDaS15_S16_EUlS15_E_NS1_11comp_targetILNS1_3genE2ELNS1_11target_archE906ELNS1_3gpuE6ELNS1_3repE0EEENS1_30default_config_static_selectorELNS0_4arch9wavefront6targetE1EEEvT1_
                                        ; -- End function
	.section	.AMDGPU.csdata,"",@progbits
; Kernel info:
; codeLenInByte = 0
; NumSgprs: 6
; NumVgprs: 0
; NumAgprs: 0
; TotalNumVgprs: 0
; ScratchSize: 0
; MemoryBound: 0
; FloatMode: 240
; IeeeMode: 1
; LDSByteSize: 0 bytes/workgroup (compile time only)
; SGPRBlocks: 0
; VGPRBlocks: 0
; NumSGPRsForWavesPerEU: 6
; NumVGPRsForWavesPerEU: 1
; AccumOffset: 4
; Occupancy: 8
; WaveLimiterHint : 0
; COMPUTE_PGM_RSRC2:SCRATCH_EN: 0
; COMPUTE_PGM_RSRC2:USER_SGPR: 2
; COMPUTE_PGM_RSRC2:TRAP_HANDLER: 0
; COMPUTE_PGM_RSRC2:TGID_X_EN: 1
; COMPUTE_PGM_RSRC2:TGID_Y_EN: 0
; COMPUTE_PGM_RSRC2:TGID_Z_EN: 0
; COMPUTE_PGM_RSRC2:TIDIG_COMP_CNT: 0
; COMPUTE_PGM_RSRC3_GFX90A:ACCUM_OFFSET: 0
; COMPUTE_PGM_RSRC3_GFX90A:TG_SPLIT: 0
	.section	.text._ZN7rocprim17ROCPRIM_400000_NS6detail17trampoline_kernelINS0_14default_configENS1_25partition_config_selectorILNS1_17partition_subalgoE9EllbEEZZNS1_14partition_implILS5_9ELb0ES3_jPlS8_PNS0_10empty_typeENS0_5tupleIJS8_S9_EEENSB_IJS8_SA_EEENS0_18inequality_wrapperIZN2at6native12_GLOBAL__N_124unique_dim_cuda_templateIiEESt5tupleIJNSF_6TensorESK_SK_EERKSK_lbbbEUlllE0_EEPmJS9_EEE10hipError_tPvRmT3_T4_T5_T6_T7_T9_mT8_P12ihipStream_tbDpT10_ENKUlT_T0_E_clISt17integral_constantIbLb1EES19_IbLb0EEEEDaS15_S16_EUlS15_E_NS1_11comp_targetILNS1_3genE10ELNS1_11target_archE1200ELNS1_3gpuE4ELNS1_3repE0EEENS1_30default_config_static_selectorELNS0_4arch9wavefront6targetE1EEEvT1_,"axG",@progbits,_ZN7rocprim17ROCPRIM_400000_NS6detail17trampoline_kernelINS0_14default_configENS1_25partition_config_selectorILNS1_17partition_subalgoE9EllbEEZZNS1_14partition_implILS5_9ELb0ES3_jPlS8_PNS0_10empty_typeENS0_5tupleIJS8_S9_EEENSB_IJS8_SA_EEENS0_18inequality_wrapperIZN2at6native12_GLOBAL__N_124unique_dim_cuda_templateIiEESt5tupleIJNSF_6TensorESK_SK_EERKSK_lbbbEUlllE0_EEPmJS9_EEE10hipError_tPvRmT3_T4_T5_T6_T7_T9_mT8_P12ihipStream_tbDpT10_ENKUlT_T0_E_clISt17integral_constantIbLb1EES19_IbLb0EEEEDaS15_S16_EUlS15_E_NS1_11comp_targetILNS1_3genE10ELNS1_11target_archE1200ELNS1_3gpuE4ELNS1_3repE0EEENS1_30default_config_static_selectorELNS0_4arch9wavefront6targetE1EEEvT1_,comdat
	.globl	_ZN7rocprim17ROCPRIM_400000_NS6detail17trampoline_kernelINS0_14default_configENS1_25partition_config_selectorILNS1_17partition_subalgoE9EllbEEZZNS1_14partition_implILS5_9ELb0ES3_jPlS8_PNS0_10empty_typeENS0_5tupleIJS8_S9_EEENSB_IJS8_SA_EEENS0_18inequality_wrapperIZN2at6native12_GLOBAL__N_124unique_dim_cuda_templateIiEESt5tupleIJNSF_6TensorESK_SK_EERKSK_lbbbEUlllE0_EEPmJS9_EEE10hipError_tPvRmT3_T4_T5_T6_T7_T9_mT8_P12ihipStream_tbDpT10_ENKUlT_T0_E_clISt17integral_constantIbLb1EES19_IbLb0EEEEDaS15_S16_EUlS15_E_NS1_11comp_targetILNS1_3genE10ELNS1_11target_archE1200ELNS1_3gpuE4ELNS1_3repE0EEENS1_30default_config_static_selectorELNS0_4arch9wavefront6targetE1EEEvT1_ ; -- Begin function _ZN7rocprim17ROCPRIM_400000_NS6detail17trampoline_kernelINS0_14default_configENS1_25partition_config_selectorILNS1_17partition_subalgoE9EllbEEZZNS1_14partition_implILS5_9ELb0ES3_jPlS8_PNS0_10empty_typeENS0_5tupleIJS8_S9_EEENSB_IJS8_SA_EEENS0_18inequality_wrapperIZN2at6native12_GLOBAL__N_124unique_dim_cuda_templateIiEESt5tupleIJNSF_6TensorESK_SK_EERKSK_lbbbEUlllE0_EEPmJS9_EEE10hipError_tPvRmT3_T4_T5_T6_T7_T9_mT8_P12ihipStream_tbDpT10_ENKUlT_T0_E_clISt17integral_constantIbLb1EES19_IbLb0EEEEDaS15_S16_EUlS15_E_NS1_11comp_targetILNS1_3genE10ELNS1_11target_archE1200ELNS1_3gpuE4ELNS1_3repE0EEENS1_30default_config_static_selectorELNS0_4arch9wavefront6targetE1EEEvT1_
	.p2align	8
	.type	_ZN7rocprim17ROCPRIM_400000_NS6detail17trampoline_kernelINS0_14default_configENS1_25partition_config_selectorILNS1_17partition_subalgoE9EllbEEZZNS1_14partition_implILS5_9ELb0ES3_jPlS8_PNS0_10empty_typeENS0_5tupleIJS8_S9_EEENSB_IJS8_SA_EEENS0_18inequality_wrapperIZN2at6native12_GLOBAL__N_124unique_dim_cuda_templateIiEESt5tupleIJNSF_6TensorESK_SK_EERKSK_lbbbEUlllE0_EEPmJS9_EEE10hipError_tPvRmT3_T4_T5_T6_T7_T9_mT8_P12ihipStream_tbDpT10_ENKUlT_T0_E_clISt17integral_constantIbLb1EES19_IbLb0EEEEDaS15_S16_EUlS15_E_NS1_11comp_targetILNS1_3genE10ELNS1_11target_archE1200ELNS1_3gpuE4ELNS1_3repE0EEENS1_30default_config_static_selectorELNS0_4arch9wavefront6targetE1EEEvT1_,@function
_ZN7rocprim17ROCPRIM_400000_NS6detail17trampoline_kernelINS0_14default_configENS1_25partition_config_selectorILNS1_17partition_subalgoE9EllbEEZZNS1_14partition_implILS5_9ELb0ES3_jPlS8_PNS0_10empty_typeENS0_5tupleIJS8_S9_EEENSB_IJS8_SA_EEENS0_18inequality_wrapperIZN2at6native12_GLOBAL__N_124unique_dim_cuda_templateIiEESt5tupleIJNSF_6TensorESK_SK_EERKSK_lbbbEUlllE0_EEPmJS9_EEE10hipError_tPvRmT3_T4_T5_T6_T7_T9_mT8_P12ihipStream_tbDpT10_ENKUlT_T0_E_clISt17integral_constantIbLb1EES19_IbLb0EEEEDaS15_S16_EUlS15_E_NS1_11comp_targetILNS1_3genE10ELNS1_11target_archE1200ELNS1_3gpuE4ELNS1_3repE0EEENS1_30default_config_static_selectorELNS0_4arch9wavefront6targetE1EEEvT1_: ; @_ZN7rocprim17ROCPRIM_400000_NS6detail17trampoline_kernelINS0_14default_configENS1_25partition_config_selectorILNS1_17partition_subalgoE9EllbEEZZNS1_14partition_implILS5_9ELb0ES3_jPlS8_PNS0_10empty_typeENS0_5tupleIJS8_S9_EEENSB_IJS8_SA_EEENS0_18inequality_wrapperIZN2at6native12_GLOBAL__N_124unique_dim_cuda_templateIiEESt5tupleIJNSF_6TensorESK_SK_EERKSK_lbbbEUlllE0_EEPmJS9_EEE10hipError_tPvRmT3_T4_T5_T6_T7_T9_mT8_P12ihipStream_tbDpT10_ENKUlT_T0_E_clISt17integral_constantIbLb1EES19_IbLb0EEEEDaS15_S16_EUlS15_E_NS1_11comp_targetILNS1_3genE10ELNS1_11target_archE1200ELNS1_3gpuE4ELNS1_3repE0EEENS1_30default_config_static_selectorELNS0_4arch9wavefront6targetE1EEEvT1_
; %bb.0:
	.section	.rodata,"a",@progbits
	.p2align	6, 0x0
	.amdhsa_kernel _ZN7rocprim17ROCPRIM_400000_NS6detail17trampoline_kernelINS0_14default_configENS1_25partition_config_selectorILNS1_17partition_subalgoE9EllbEEZZNS1_14partition_implILS5_9ELb0ES3_jPlS8_PNS0_10empty_typeENS0_5tupleIJS8_S9_EEENSB_IJS8_SA_EEENS0_18inequality_wrapperIZN2at6native12_GLOBAL__N_124unique_dim_cuda_templateIiEESt5tupleIJNSF_6TensorESK_SK_EERKSK_lbbbEUlllE0_EEPmJS9_EEE10hipError_tPvRmT3_T4_T5_T6_T7_T9_mT8_P12ihipStream_tbDpT10_ENKUlT_T0_E_clISt17integral_constantIbLb1EES19_IbLb0EEEEDaS15_S16_EUlS15_E_NS1_11comp_targetILNS1_3genE10ELNS1_11target_archE1200ELNS1_3gpuE4ELNS1_3repE0EEENS1_30default_config_static_selectorELNS0_4arch9wavefront6targetE1EEEvT1_
		.amdhsa_group_segment_fixed_size 0
		.amdhsa_private_segment_fixed_size 0
		.amdhsa_kernarg_size 120
		.amdhsa_user_sgpr_count 2
		.amdhsa_user_sgpr_dispatch_ptr 0
		.amdhsa_user_sgpr_queue_ptr 0
		.amdhsa_user_sgpr_kernarg_segment_ptr 1
		.amdhsa_user_sgpr_dispatch_id 0
		.amdhsa_user_sgpr_kernarg_preload_length 0
		.amdhsa_user_sgpr_kernarg_preload_offset 0
		.amdhsa_user_sgpr_private_segment_size 0
		.amdhsa_uses_dynamic_stack 0
		.amdhsa_enable_private_segment 0
		.amdhsa_system_sgpr_workgroup_id_x 1
		.amdhsa_system_sgpr_workgroup_id_y 0
		.amdhsa_system_sgpr_workgroup_id_z 0
		.amdhsa_system_sgpr_workgroup_info 0
		.amdhsa_system_vgpr_workitem_id 0
		.amdhsa_next_free_vgpr 1
		.amdhsa_next_free_sgpr 0
		.amdhsa_accum_offset 4
		.amdhsa_reserve_vcc 0
		.amdhsa_float_round_mode_32 0
		.amdhsa_float_round_mode_16_64 0
		.amdhsa_float_denorm_mode_32 3
		.amdhsa_float_denorm_mode_16_64 3
		.amdhsa_dx10_clamp 1
		.amdhsa_ieee_mode 1
		.amdhsa_fp16_overflow 0
		.amdhsa_tg_split 0
		.amdhsa_exception_fp_ieee_invalid_op 0
		.amdhsa_exception_fp_denorm_src 0
		.amdhsa_exception_fp_ieee_div_zero 0
		.amdhsa_exception_fp_ieee_overflow 0
		.amdhsa_exception_fp_ieee_underflow 0
		.amdhsa_exception_fp_ieee_inexact 0
		.amdhsa_exception_int_div_zero 0
	.end_amdhsa_kernel
	.section	.text._ZN7rocprim17ROCPRIM_400000_NS6detail17trampoline_kernelINS0_14default_configENS1_25partition_config_selectorILNS1_17partition_subalgoE9EllbEEZZNS1_14partition_implILS5_9ELb0ES3_jPlS8_PNS0_10empty_typeENS0_5tupleIJS8_S9_EEENSB_IJS8_SA_EEENS0_18inequality_wrapperIZN2at6native12_GLOBAL__N_124unique_dim_cuda_templateIiEESt5tupleIJNSF_6TensorESK_SK_EERKSK_lbbbEUlllE0_EEPmJS9_EEE10hipError_tPvRmT3_T4_T5_T6_T7_T9_mT8_P12ihipStream_tbDpT10_ENKUlT_T0_E_clISt17integral_constantIbLb1EES19_IbLb0EEEEDaS15_S16_EUlS15_E_NS1_11comp_targetILNS1_3genE10ELNS1_11target_archE1200ELNS1_3gpuE4ELNS1_3repE0EEENS1_30default_config_static_selectorELNS0_4arch9wavefront6targetE1EEEvT1_,"axG",@progbits,_ZN7rocprim17ROCPRIM_400000_NS6detail17trampoline_kernelINS0_14default_configENS1_25partition_config_selectorILNS1_17partition_subalgoE9EllbEEZZNS1_14partition_implILS5_9ELb0ES3_jPlS8_PNS0_10empty_typeENS0_5tupleIJS8_S9_EEENSB_IJS8_SA_EEENS0_18inequality_wrapperIZN2at6native12_GLOBAL__N_124unique_dim_cuda_templateIiEESt5tupleIJNSF_6TensorESK_SK_EERKSK_lbbbEUlllE0_EEPmJS9_EEE10hipError_tPvRmT3_T4_T5_T6_T7_T9_mT8_P12ihipStream_tbDpT10_ENKUlT_T0_E_clISt17integral_constantIbLb1EES19_IbLb0EEEEDaS15_S16_EUlS15_E_NS1_11comp_targetILNS1_3genE10ELNS1_11target_archE1200ELNS1_3gpuE4ELNS1_3repE0EEENS1_30default_config_static_selectorELNS0_4arch9wavefront6targetE1EEEvT1_,comdat
.Lfunc_end497:
	.size	_ZN7rocprim17ROCPRIM_400000_NS6detail17trampoline_kernelINS0_14default_configENS1_25partition_config_selectorILNS1_17partition_subalgoE9EllbEEZZNS1_14partition_implILS5_9ELb0ES3_jPlS8_PNS0_10empty_typeENS0_5tupleIJS8_S9_EEENSB_IJS8_SA_EEENS0_18inequality_wrapperIZN2at6native12_GLOBAL__N_124unique_dim_cuda_templateIiEESt5tupleIJNSF_6TensorESK_SK_EERKSK_lbbbEUlllE0_EEPmJS9_EEE10hipError_tPvRmT3_T4_T5_T6_T7_T9_mT8_P12ihipStream_tbDpT10_ENKUlT_T0_E_clISt17integral_constantIbLb1EES19_IbLb0EEEEDaS15_S16_EUlS15_E_NS1_11comp_targetILNS1_3genE10ELNS1_11target_archE1200ELNS1_3gpuE4ELNS1_3repE0EEENS1_30default_config_static_selectorELNS0_4arch9wavefront6targetE1EEEvT1_, .Lfunc_end497-_ZN7rocprim17ROCPRIM_400000_NS6detail17trampoline_kernelINS0_14default_configENS1_25partition_config_selectorILNS1_17partition_subalgoE9EllbEEZZNS1_14partition_implILS5_9ELb0ES3_jPlS8_PNS0_10empty_typeENS0_5tupleIJS8_S9_EEENSB_IJS8_SA_EEENS0_18inequality_wrapperIZN2at6native12_GLOBAL__N_124unique_dim_cuda_templateIiEESt5tupleIJNSF_6TensorESK_SK_EERKSK_lbbbEUlllE0_EEPmJS9_EEE10hipError_tPvRmT3_T4_T5_T6_T7_T9_mT8_P12ihipStream_tbDpT10_ENKUlT_T0_E_clISt17integral_constantIbLb1EES19_IbLb0EEEEDaS15_S16_EUlS15_E_NS1_11comp_targetILNS1_3genE10ELNS1_11target_archE1200ELNS1_3gpuE4ELNS1_3repE0EEENS1_30default_config_static_selectorELNS0_4arch9wavefront6targetE1EEEvT1_
                                        ; -- End function
	.section	.AMDGPU.csdata,"",@progbits
; Kernel info:
; codeLenInByte = 0
; NumSgprs: 6
; NumVgprs: 0
; NumAgprs: 0
; TotalNumVgprs: 0
; ScratchSize: 0
; MemoryBound: 0
; FloatMode: 240
; IeeeMode: 1
; LDSByteSize: 0 bytes/workgroup (compile time only)
; SGPRBlocks: 0
; VGPRBlocks: 0
; NumSGPRsForWavesPerEU: 6
; NumVGPRsForWavesPerEU: 1
; AccumOffset: 4
; Occupancy: 8
; WaveLimiterHint : 0
; COMPUTE_PGM_RSRC2:SCRATCH_EN: 0
; COMPUTE_PGM_RSRC2:USER_SGPR: 2
; COMPUTE_PGM_RSRC2:TRAP_HANDLER: 0
; COMPUTE_PGM_RSRC2:TGID_X_EN: 1
; COMPUTE_PGM_RSRC2:TGID_Y_EN: 0
; COMPUTE_PGM_RSRC2:TGID_Z_EN: 0
; COMPUTE_PGM_RSRC2:TIDIG_COMP_CNT: 0
; COMPUTE_PGM_RSRC3_GFX90A:ACCUM_OFFSET: 0
; COMPUTE_PGM_RSRC3_GFX90A:TG_SPLIT: 0
	.section	.text._ZN7rocprim17ROCPRIM_400000_NS6detail17trampoline_kernelINS0_14default_configENS1_25partition_config_selectorILNS1_17partition_subalgoE9EllbEEZZNS1_14partition_implILS5_9ELb0ES3_jPlS8_PNS0_10empty_typeENS0_5tupleIJS8_S9_EEENSB_IJS8_SA_EEENS0_18inequality_wrapperIZN2at6native12_GLOBAL__N_124unique_dim_cuda_templateIiEESt5tupleIJNSF_6TensorESK_SK_EERKSK_lbbbEUlllE0_EEPmJS9_EEE10hipError_tPvRmT3_T4_T5_T6_T7_T9_mT8_P12ihipStream_tbDpT10_ENKUlT_T0_E_clISt17integral_constantIbLb1EES19_IbLb0EEEEDaS15_S16_EUlS15_E_NS1_11comp_targetILNS1_3genE9ELNS1_11target_archE1100ELNS1_3gpuE3ELNS1_3repE0EEENS1_30default_config_static_selectorELNS0_4arch9wavefront6targetE1EEEvT1_,"axG",@progbits,_ZN7rocprim17ROCPRIM_400000_NS6detail17trampoline_kernelINS0_14default_configENS1_25partition_config_selectorILNS1_17partition_subalgoE9EllbEEZZNS1_14partition_implILS5_9ELb0ES3_jPlS8_PNS0_10empty_typeENS0_5tupleIJS8_S9_EEENSB_IJS8_SA_EEENS0_18inequality_wrapperIZN2at6native12_GLOBAL__N_124unique_dim_cuda_templateIiEESt5tupleIJNSF_6TensorESK_SK_EERKSK_lbbbEUlllE0_EEPmJS9_EEE10hipError_tPvRmT3_T4_T5_T6_T7_T9_mT8_P12ihipStream_tbDpT10_ENKUlT_T0_E_clISt17integral_constantIbLb1EES19_IbLb0EEEEDaS15_S16_EUlS15_E_NS1_11comp_targetILNS1_3genE9ELNS1_11target_archE1100ELNS1_3gpuE3ELNS1_3repE0EEENS1_30default_config_static_selectorELNS0_4arch9wavefront6targetE1EEEvT1_,comdat
	.globl	_ZN7rocprim17ROCPRIM_400000_NS6detail17trampoline_kernelINS0_14default_configENS1_25partition_config_selectorILNS1_17partition_subalgoE9EllbEEZZNS1_14partition_implILS5_9ELb0ES3_jPlS8_PNS0_10empty_typeENS0_5tupleIJS8_S9_EEENSB_IJS8_SA_EEENS0_18inequality_wrapperIZN2at6native12_GLOBAL__N_124unique_dim_cuda_templateIiEESt5tupleIJNSF_6TensorESK_SK_EERKSK_lbbbEUlllE0_EEPmJS9_EEE10hipError_tPvRmT3_T4_T5_T6_T7_T9_mT8_P12ihipStream_tbDpT10_ENKUlT_T0_E_clISt17integral_constantIbLb1EES19_IbLb0EEEEDaS15_S16_EUlS15_E_NS1_11comp_targetILNS1_3genE9ELNS1_11target_archE1100ELNS1_3gpuE3ELNS1_3repE0EEENS1_30default_config_static_selectorELNS0_4arch9wavefront6targetE1EEEvT1_ ; -- Begin function _ZN7rocprim17ROCPRIM_400000_NS6detail17trampoline_kernelINS0_14default_configENS1_25partition_config_selectorILNS1_17partition_subalgoE9EllbEEZZNS1_14partition_implILS5_9ELb0ES3_jPlS8_PNS0_10empty_typeENS0_5tupleIJS8_S9_EEENSB_IJS8_SA_EEENS0_18inequality_wrapperIZN2at6native12_GLOBAL__N_124unique_dim_cuda_templateIiEESt5tupleIJNSF_6TensorESK_SK_EERKSK_lbbbEUlllE0_EEPmJS9_EEE10hipError_tPvRmT3_T4_T5_T6_T7_T9_mT8_P12ihipStream_tbDpT10_ENKUlT_T0_E_clISt17integral_constantIbLb1EES19_IbLb0EEEEDaS15_S16_EUlS15_E_NS1_11comp_targetILNS1_3genE9ELNS1_11target_archE1100ELNS1_3gpuE3ELNS1_3repE0EEENS1_30default_config_static_selectorELNS0_4arch9wavefront6targetE1EEEvT1_
	.p2align	8
	.type	_ZN7rocprim17ROCPRIM_400000_NS6detail17trampoline_kernelINS0_14default_configENS1_25partition_config_selectorILNS1_17partition_subalgoE9EllbEEZZNS1_14partition_implILS5_9ELb0ES3_jPlS8_PNS0_10empty_typeENS0_5tupleIJS8_S9_EEENSB_IJS8_SA_EEENS0_18inequality_wrapperIZN2at6native12_GLOBAL__N_124unique_dim_cuda_templateIiEESt5tupleIJNSF_6TensorESK_SK_EERKSK_lbbbEUlllE0_EEPmJS9_EEE10hipError_tPvRmT3_T4_T5_T6_T7_T9_mT8_P12ihipStream_tbDpT10_ENKUlT_T0_E_clISt17integral_constantIbLb1EES19_IbLb0EEEEDaS15_S16_EUlS15_E_NS1_11comp_targetILNS1_3genE9ELNS1_11target_archE1100ELNS1_3gpuE3ELNS1_3repE0EEENS1_30default_config_static_selectorELNS0_4arch9wavefront6targetE1EEEvT1_,@function
_ZN7rocprim17ROCPRIM_400000_NS6detail17trampoline_kernelINS0_14default_configENS1_25partition_config_selectorILNS1_17partition_subalgoE9EllbEEZZNS1_14partition_implILS5_9ELb0ES3_jPlS8_PNS0_10empty_typeENS0_5tupleIJS8_S9_EEENSB_IJS8_SA_EEENS0_18inequality_wrapperIZN2at6native12_GLOBAL__N_124unique_dim_cuda_templateIiEESt5tupleIJNSF_6TensorESK_SK_EERKSK_lbbbEUlllE0_EEPmJS9_EEE10hipError_tPvRmT3_T4_T5_T6_T7_T9_mT8_P12ihipStream_tbDpT10_ENKUlT_T0_E_clISt17integral_constantIbLb1EES19_IbLb0EEEEDaS15_S16_EUlS15_E_NS1_11comp_targetILNS1_3genE9ELNS1_11target_archE1100ELNS1_3gpuE3ELNS1_3repE0EEENS1_30default_config_static_selectorELNS0_4arch9wavefront6targetE1EEEvT1_: ; @_ZN7rocprim17ROCPRIM_400000_NS6detail17trampoline_kernelINS0_14default_configENS1_25partition_config_selectorILNS1_17partition_subalgoE9EllbEEZZNS1_14partition_implILS5_9ELb0ES3_jPlS8_PNS0_10empty_typeENS0_5tupleIJS8_S9_EEENSB_IJS8_SA_EEENS0_18inequality_wrapperIZN2at6native12_GLOBAL__N_124unique_dim_cuda_templateIiEESt5tupleIJNSF_6TensorESK_SK_EERKSK_lbbbEUlllE0_EEPmJS9_EEE10hipError_tPvRmT3_T4_T5_T6_T7_T9_mT8_P12ihipStream_tbDpT10_ENKUlT_T0_E_clISt17integral_constantIbLb1EES19_IbLb0EEEEDaS15_S16_EUlS15_E_NS1_11comp_targetILNS1_3genE9ELNS1_11target_archE1100ELNS1_3gpuE3ELNS1_3repE0EEENS1_30default_config_static_selectorELNS0_4arch9wavefront6targetE1EEEvT1_
; %bb.0:
	.section	.rodata,"a",@progbits
	.p2align	6, 0x0
	.amdhsa_kernel _ZN7rocprim17ROCPRIM_400000_NS6detail17trampoline_kernelINS0_14default_configENS1_25partition_config_selectorILNS1_17partition_subalgoE9EllbEEZZNS1_14partition_implILS5_9ELb0ES3_jPlS8_PNS0_10empty_typeENS0_5tupleIJS8_S9_EEENSB_IJS8_SA_EEENS0_18inequality_wrapperIZN2at6native12_GLOBAL__N_124unique_dim_cuda_templateIiEESt5tupleIJNSF_6TensorESK_SK_EERKSK_lbbbEUlllE0_EEPmJS9_EEE10hipError_tPvRmT3_T4_T5_T6_T7_T9_mT8_P12ihipStream_tbDpT10_ENKUlT_T0_E_clISt17integral_constantIbLb1EES19_IbLb0EEEEDaS15_S16_EUlS15_E_NS1_11comp_targetILNS1_3genE9ELNS1_11target_archE1100ELNS1_3gpuE3ELNS1_3repE0EEENS1_30default_config_static_selectorELNS0_4arch9wavefront6targetE1EEEvT1_
		.amdhsa_group_segment_fixed_size 0
		.amdhsa_private_segment_fixed_size 0
		.amdhsa_kernarg_size 120
		.amdhsa_user_sgpr_count 2
		.amdhsa_user_sgpr_dispatch_ptr 0
		.amdhsa_user_sgpr_queue_ptr 0
		.amdhsa_user_sgpr_kernarg_segment_ptr 1
		.amdhsa_user_sgpr_dispatch_id 0
		.amdhsa_user_sgpr_kernarg_preload_length 0
		.amdhsa_user_sgpr_kernarg_preload_offset 0
		.amdhsa_user_sgpr_private_segment_size 0
		.amdhsa_uses_dynamic_stack 0
		.amdhsa_enable_private_segment 0
		.amdhsa_system_sgpr_workgroup_id_x 1
		.amdhsa_system_sgpr_workgroup_id_y 0
		.amdhsa_system_sgpr_workgroup_id_z 0
		.amdhsa_system_sgpr_workgroup_info 0
		.amdhsa_system_vgpr_workitem_id 0
		.amdhsa_next_free_vgpr 1
		.amdhsa_next_free_sgpr 0
		.amdhsa_accum_offset 4
		.amdhsa_reserve_vcc 0
		.amdhsa_float_round_mode_32 0
		.amdhsa_float_round_mode_16_64 0
		.amdhsa_float_denorm_mode_32 3
		.amdhsa_float_denorm_mode_16_64 3
		.amdhsa_dx10_clamp 1
		.amdhsa_ieee_mode 1
		.amdhsa_fp16_overflow 0
		.amdhsa_tg_split 0
		.amdhsa_exception_fp_ieee_invalid_op 0
		.amdhsa_exception_fp_denorm_src 0
		.amdhsa_exception_fp_ieee_div_zero 0
		.amdhsa_exception_fp_ieee_overflow 0
		.amdhsa_exception_fp_ieee_underflow 0
		.amdhsa_exception_fp_ieee_inexact 0
		.amdhsa_exception_int_div_zero 0
	.end_amdhsa_kernel
	.section	.text._ZN7rocprim17ROCPRIM_400000_NS6detail17trampoline_kernelINS0_14default_configENS1_25partition_config_selectorILNS1_17partition_subalgoE9EllbEEZZNS1_14partition_implILS5_9ELb0ES3_jPlS8_PNS0_10empty_typeENS0_5tupleIJS8_S9_EEENSB_IJS8_SA_EEENS0_18inequality_wrapperIZN2at6native12_GLOBAL__N_124unique_dim_cuda_templateIiEESt5tupleIJNSF_6TensorESK_SK_EERKSK_lbbbEUlllE0_EEPmJS9_EEE10hipError_tPvRmT3_T4_T5_T6_T7_T9_mT8_P12ihipStream_tbDpT10_ENKUlT_T0_E_clISt17integral_constantIbLb1EES19_IbLb0EEEEDaS15_S16_EUlS15_E_NS1_11comp_targetILNS1_3genE9ELNS1_11target_archE1100ELNS1_3gpuE3ELNS1_3repE0EEENS1_30default_config_static_selectorELNS0_4arch9wavefront6targetE1EEEvT1_,"axG",@progbits,_ZN7rocprim17ROCPRIM_400000_NS6detail17trampoline_kernelINS0_14default_configENS1_25partition_config_selectorILNS1_17partition_subalgoE9EllbEEZZNS1_14partition_implILS5_9ELb0ES3_jPlS8_PNS0_10empty_typeENS0_5tupleIJS8_S9_EEENSB_IJS8_SA_EEENS0_18inequality_wrapperIZN2at6native12_GLOBAL__N_124unique_dim_cuda_templateIiEESt5tupleIJNSF_6TensorESK_SK_EERKSK_lbbbEUlllE0_EEPmJS9_EEE10hipError_tPvRmT3_T4_T5_T6_T7_T9_mT8_P12ihipStream_tbDpT10_ENKUlT_T0_E_clISt17integral_constantIbLb1EES19_IbLb0EEEEDaS15_S16_EUlS15_E_NS1_11comp_targetILNS1_3genE9ELNS1_11target_archE1100ELNS1_3gpuE3ELNS1_3repE0EEENS1_30default_config_static_selectorELNS0_4arch9wavefront6targetE1EEEvT1_,comdat
.Lfunc_end498:
	.size	_ZN7rocprim17ROCPRIM_400000_NS6detail17trampoline_kernelINS0_14default_configENS1_25partition_config_selectorILNS1_17partition_subalgoE9EllbEEZZNS1_14partition_implILS5_9ELb0ES3_jPlS8_PNS0_10empty_typeENS0_5tupleIJS8_S9_EEENSB_IJS8_SA_EEENS0_18inequality_wrapperIZN2at6native12_GLOBAL__N_124unique_dim_cuda_templateIiEESt5tupleIJNSF_6TensorESK_SK_EERKSK_lbbbEUlllE0_EEPmJS9_EEE10hipError_tPvRmT3_T4_T5_T6_T7_T9_mT8_P12ihipStream_tbDpT10_ENKUlT_T0_E_clISt17integral_constantIbLb1EES19_IbLb0EEEEDaS15_S16_EUlS15_E_NS1_11comp_targetILNS1_3genE9ELNS1_11target_archE1100ELNS1_3gpuE3ELNS1_3repE0EEENS1_30default_config_static_selectorELNS0_4arch9wavefront6targetE1EEEvT1_, .Lfunc_end498-_ZN7rocprim17ROCPRIM_400000_NS6detail17trampoline_kernelINS0_14default_configENS1_25partition_config_selectorILNS1_17partition_subalgoE9EllbEEZZNS1_14partition_implILS5_9ELb0ES3_jPlS8_PNS0_10empty_typeENS0_5tupleIJS8_S9_EEENSB_IJS8_SA_EEENS0_18inequality_wrapperIZN2at6native12_GLOBAL__N_124unique_dim_cuda_templateIiEESt5tupleIJNSF_6TensorESK_SK_EERKSK_lbbbEUlllE0_EEPmJS9_EEE10hipError_tPvRmT3_T4_T5_T6_T7_T9_mT8_P12ihipStream_tbDpT10_ENKUlT_T0_E_clISt17integral_constantIbLb1EES19_IbLb0EEEEDaS15_S16_EUlS15_E_NS1_11comp_targetILNS1_3genE9ELNS1_11target_archE1100ELNS1_3gpuE3ELNS1_3repE0EEENS1_30default_config_static_selectorELNS0_4arch9wavefront6targetE1EEEvT1_
                                        ; -- End function
	.section	.AMDGPU.csdata,"",@progbits
; Kernel info:
; codeLenInByte = 0
; NumSgprs: 6
; NumVgprs: 0
; NumAgprs: 0
; TotalNumVgprs: 0
; ScratchSize: 0
; MemoryBound: 0
; FloatMode: 240
; IeeeMode: 1
; LDSByteSize: 0 bytes/workgroup (compile time only)
; SGPRBlocks: 0
; VGPRBlocks: 0
; NumSGPRsForWavesPerEU: 6
; NumVGPRsForWavesPerEU: 1
; AccumOffset: 4
; Occupancy: 8
; WaveLimiterHint : 0
; COMPUTE_PGM_RSRC2:SCRATCH_EN: 0
; COMPUTE_PGM_RSRC2:USER_SGPR: 2
; COMPUTE_PGM_RSRC2:TRAP_HANDLER: 0
; COMPUTE_PGM_RSRC2:TGID_X_EN: 1
; COMPUTE_PGM_RSRC2:TGID_Y_EN: 0
; COMPUTE_PGM_RSRC2:TGID_Z_EN: 0
; COMPUTE_PGM_RSRC2:TIDIG_COMP_CNT: 0
; COMPUTE_PGM_RSRC3_GFX90A:ACCUM_OFFSET: 0
; COMPUTE_PGM_RSRC3_GFX90A:TG_SPLIT: 0
	.section	.text._ZN7rocprim17ROCPRIM_400000_NS6detail17trampoline_kernelINS0_14default_configENS1_25partition_config_selectorILNS1_17partition_subalgoE9EllbEEZZNS1_14partition_implILS5_9ELb0ES3_jPlS8_PNS0_10empty_typeENS0_5tupleIJS8_S9_EEENSB_IJS8_SA_EEENS0_18inequality_wrapperIZN2at6native12_GLOBAL__N_124unique_dim_cuda_templateIiEESt5tupleIJNSF_6TensorESK_SK_EERKSK_lbbbEUlllE0_EEPmJS9_EEE10hipError_tPvRmT3_T4_T5_T6_T7_T9_mT8_P12ihipStream_tbDpT10_ENKUlT_T0_E_clISt17integral_constantIbLb1EES19_IbLb0EEEEDaS15_S16_EUlS15_E_NS1_11comp_targetILNS1_3genE8ELNS1_11target_archE1030ELNS1_3gpuE2ELNS1_3repE0EEENS1_30default_config_static_selectorELNS0_4arch9wavefront6targetE1EEEvT1_,"axG",@progbits,_ZN7rocprim17ROCPRIM_400000_NS6detail17trampoline_kernelINS0_14default_configENS1_25partition_config_selectorILNS1_17partition_subalgoE9EllbEEZZNS1_14partition_implILS5_9ELb0ES3_jPlS8_PNS0_10empty_typeENS0_5tupleIJS8_S9_EEENSB_IJS8_SA_EEENS0_18inequality_wrapperIZN2at6native12_GLOBAL__N_124unique_dim_cuda_templateIiEESt5tupleIJNSF_6TensorESK_SK_EERKSK_lbbbEUlllE0_EEPmJS9_EEE10hipError_tPvRmT3_T4_T5_T6_T7_T9_mT8_P12ihipStream_tbDpT10_ENKUlT_T0_E_clISt17integral_constantIbLb1EES19_IbLb0EEEEDaS15_S16_EUlS15_E_NS1_11comp_targetILNS1_3genE8ELNS1_11target_archE1030ELNS1_3gpuE2ELNS1_3repE0EEENS1_30default_config_static_selectorELNS0_4arch9wavefront6targetE1EEEvT1_,comdat
	.globl	_ZN7rocprim17ROCPRIM_400000_NS6detail17trampoline_kernelINS0_14default_configENS1_25partition_config_selectorILNS1_17partition_subalgoE9EllbEEZZNS1_14partition_implILS5_9ELb0ES3_jPlS8_PNS0_10empty_typeENS0_5tupleIJS8_S9_EEENSB_IJS8_SA_EEENS0_18inequality_wrapperIZN2at6native12_GLOBAL__N_124unique_dim_cuda_templateIiEESt5tupleIJNSF_6TensorESK_SK_EERKSK_lbbbEUlllE0_EEPmJS9_EEE10hipError_tPvRmT3_T4_T5_T6_T7_T9_mT8_P12ihipStream_tbDpT10_ENKUlT_T0_E_clISt17integral_constantIbLb1EES19_IbLb0EEEEDaS15_S16_EUlS15_E_NS1_11comp_targetILNS1_3genE8ELNS1_11target_archE1030ELNS1_3gpuE2ELNS1_3repE0EEENS1_30default_config_static_selectorELNS0_4arch9wavefront6targetE1EEEvT1_ ; -- Begin function _ZN7rocprim17ROCPRIM_400000_NS6detail17trampoline_kernelINS0_14default_configENS1_25partition_config_selectorILNS1_17partition_subalgoE9EllbEEZZNS1_14partition_implILS5_9ELb0ES3_jPlS8_PNS0_10empty_typeENS0_5tupleIJS8_S9_EEENSB_IJS8_SA_EEENS0_18inequality_wrapperIZN2at6native12_GLOBAL__N_124unique_dim_cuda_templateIiEESt5tupleIJNSF_6TensorESK_SK_EERKSK_lbbbEUlllE0_EEPmJS9_EEE10hipError_tPvRmT3_T4_T5_T6_T7_T9_mT8_P12ihipStream_tbDpT10_ENKUlT_T0_E_clISt17integral_constantIbLb1EES19_IbLb0EEEEDaS15_S16_EUlS15_E_NS1_11comp_targetILNS1_3genE8ELNS1_11target_archE1030ELNS1_3gpuE2ELNS1_3repE0EEENS1_30default_config_static_selectorELNS0_4arch9wavefront6targetE1EEEvT1_
	.p2align	8
	.type	_ZN7rocprim17ROCPRIM_400000_NS6detail17trampoline_kernelINS0_14default_configENS1_25partition_config_selectorILNS1_17partition_subalgoE9EllbEEZZNS1_14partition_implILS5_9ELb0ES3_jPlS8_PNS0_10empty_typeENS0_5tupleIJS8_S9_EEENSB_IJS8_SA_EEENS0_18inequality_wrapperIZN2at6native12_GLOBAL__N_124unique_dim_cuda_templateIiEESt5tupleIJNSF_6TensorESK_SK_EERKSK_lbbbEUlllE0_EEPmJS9_EEE10hipError_tPvRmT3_T4_T5_T6_T7_T9_mT8_P12ihipStream_tbDpT10_ENKUlT_T0_E_clISt17integral_constantIbLb1EES19_IbLb0EEEEDaS15_S16_EUlS15_E_NS1_11comp_targetILNS1_3genE8ELNS1_11target_archE1030ELNS1_3gpuE2ELNS1_3repE0EEENS1_30default_config_static_selectorELNS0_4arch9wavefront6targetE1EEEvT1_,@function
_ZN7rocprim17ROCPRIM_400000_NS6detail17trampoline_kernelINS0_14default_configENS1_25partition_config_selectorILNS1_17partition_subalgoE9EllbEEZZNS1_14partition_implILS5_9ELb0ES3_jPlS8_PNS0_10empty_typeENS0_5tupleIJS8_S9_EEENSB_IJS8_SA_EEENS0_18inequality_wrapperIZN2at6native12_GLOBAL__N_124unique_dim_cuda_templateIiEESt5tupleIJNSF_6TensorESK_SK_EERKSK_lbbbEUlllE0_EEPmJS9_EEE10hipError_tPvRmT3_T4_T5_T6_T7_T9_mT8_P12ihipStream_tbDpT10_ENKUlT_T0_E_clISt17integral_constantIbLb1EES19_IbLb0EEEEDaS15_S16_EUlS15_E_NS1_11comp_targetILNS1_3genE8ELNS1_11target_archE1030ELNS1_3gpuE2ELNS1_3repE0EEENS1_30default_config_static_selectorELNS0_4arch9wavefront6targetE1EEEvT1_: ; @_ZN7rocprim17ROCPRIM_400000_NS6detail17trampoline_kernelINS0_14default_configENS1_25partition_config_selectorILNS1_17partition_subalgoE9EllbEEZZNS1_14partition_implILS5_9ELb0ES3_jPlS8_PNS0_10empty_typeENS0_5tupleIJS8_S9_EEENSB_IJS8_SA_EEENS0_18inequality_wrapperIZN2at6native12_GLOBAL__N_124unique_dim_cuda_templateIiEESt5tupleIJNSF_6TensorESK_SK_EERKSK_lbbbEUlllE0_EEPmJS9_EEE10hipError_tPvRmT3_T4_T5_T6_T7_T9_mT8_P12ihipStream_tbDpT10_ENKUlT_T0_E_clISt17integral_constantIbLb1EES19_IbLb0EEEEDaS15_S16_EUlS15_E_NS1_11comp_targetILNS1_3genE8ELNS1_11target_archE1030ELNS1_3gpuE2ELNS1_3repE0EEENS1_30default_config_static_selectorELNS0_4arch9wavefront6targetE1EEEvT1_
; %bb.0:
	.section	.rodata,"a",@progbits
	.p2align	6, 0x0
	.amdhsa_kernel _ZN7rocprim17ROCPRIM_400000_NS6detail17trampoline_kernelINS0_14default_configENS1_25partition_config_selectorILNS1_17partition_subalgoE9EllbEEZZNS1_14partition_implILS5_9ELb0ES3_jPlS8_PNS0_10empty_typeENS0_5tupleIJS8_S9_EEENSB_IJS8_SA_EEENS0_18inequality_wrapperIZN2at6native12_GLOBAL__N_124unique_dim_cuda_templateIiEESt5tupleIJNSF_6TensorESK_SK_EERKSK_lbbbEUlllE0_EEPmJS9_EEE10hipError_tPvRmT3_T4_T5_T6_T7_T9_mT8_P12ihipStream_tbDpT10_ENKUlT_T0_E_clISt17integral_constantIbLb1EES19_IbLb0EEEEDaS15_S16_EUlS15_E_NS1_11comp_targetILNS1_3genE8ELNS1_11target_archE1030ELNS1_3gpuE2ELNS1_3repE0EEENS1_30default_config_static_selectorELNS0_4arch9wavefront6targetE1EEEvT1_
		.amdhsa_group_segment_fixed_size 0
		.amdhsa_private_segment_fixed_size 0
		.amdhsa_kernarg_size 120
		.amdhsa_user_sgpr_count 2
		.amdhsa_user_sgpr_dispatch_ptr 0
		.amdhsa_user_sgpr_queue_ptr 0
		.amdhsa_user_sgpr_kernarg_segment_ptr 1
		.amdhsa_user_sgpr_dispatch_id 0
		.amdhsa_user_sgpr_kernarg_preload_length 0
		.amdhsa_user_sgpr_kernarg_preload_offset 0
		.amdhsa_user_sgpr_private_segment_size 0
		.amdhsa_uses_dynamic_stack 0
		.amdhsa_enable_private_segment 0
		.amdhsa_system_sgpr_workgroup_id_x 1
		.amdhsa_system_sgpr_workgroup_id_y 0
		.amdhsa_system_sgpr_workgroup_id_z 0
		.amdhsa_system_sgpr_workgroup_info 0
		.amdhsa_system_vgpr_workitem_id 0
		.amdhsa_next_free_vgpr 1
		.amdhsa_next_free_sgpr 0
		.amdhsa_accum_offset 4
		.amdhsa_reserve_vcc 0
		.amdhsa_float_round_mode_32 0
		.amdhsa_float_round_mode_16_64 0
		.amdhsa_float_denorm_mode_32 3
		.amdhsa_float_denorm_mode_16_64 3
		.amdhsa_dx10_clamp 1
		.amdhsa_ieee_mode 1
		.amdhsa_fp16_overflow 0
		.amdhsa_tg_split 0
		.amdhsa_exception_fp_ieee_invalid_op 0
		.amdhsa_exception_fp_denorm_src 0
		.amdhsa_exception_fp_ieee_div_zero 0
		.amdhsa_exception_fp_ieee_overflow 0
		.amdhsa_exception_fp_ieee_underflow 0
		.amdhsa_exception_fp_ieee_inexact 0
		.amdhsa_exception_int_div_zero 0
	.end_amdhsa_kernel
	.section	.text._ZN7rocprim17ROCPRIM_400000_NS6detail17trampoline_kernelINS0_14default_configENS1_25partition_config_selectorILNS1_17partition_subalgoE9EllbEEZZNS1_14partition_implILS5_9ELb0ES3_jPlS8_PNS0_10empty_typeENS0_5tupleIJS8_S9_EEENSB_IJS8_SA_EEENS0_18inequality_wrapperIZN2at6native12_GLOBAL__N_124unique_dim_cuda_templateIiEESt5tupleIJNSF_6TensorESK_SK_EERKSK_lbbbEUlllE0_EEPmJS9_EEE10hipError_tPvRmT3_T4_T5_T6_T7_T9_mT8_P12ihipStream_tbDpT10_ENKUlT_T0_E_clISt17integral_constantIbLb1EES19_IbLb0EEEEDaS15_S16_EUlS15_E_NS1_11comp_targetILNS1_3genE8ELNS1_11target_archE1030ELNS1_3gpuE2ELNS1_3repE0EEENS1_30default_config_static_selectorELNS0_4arch9wavefront6targetE1EEEvT1_,"axG",@progbits,_ZN7rocprim17ROCPRIM_400000_NS6detail17trampoline_kernelINS0_14default_configENS1_25partition_config_selectorILNS1_17partition_subalgoE9EllbEEZZNS1_14partition_implILS5_9ELb0ES3_jPlS8_PNS0_10empty_typeENS0_5tupleIJS8_S9_EEENSB_IJS8_SA_EEENS0_18inequality_wrapperIZN2at6native12_GLOBAL__N_124unique_dim_cuda_templateIiEESt5tupleIJNSF_6TensorESK_SK_EERKSK_lbbbEUlllE0_EEPmJS9_EEE10hipError_tPvRmT3_T4_T5_T6_T7_T9_mT8_P12ihipStream_tbDpT10_ENKUlT_T0_E_clISt17integral_constantIbLb1EES19_IbLb0EEEEDaS15_S16_EUlS15_E_NS1_11comp_targetILNS1_3genE8ELNS1_11target_archE1030ELNS1_3gpuE2ELNS1_3repE0EEENS1_30default_config_static_selectorELNS0_4arch9wavefront6targetE1EEEvT1_,comdat
.Lfunc_end499:
	.size	_ZN7rocprim17ROCPRIM_400000_NS6detail17trampoline_kernelINS0_14default_configENS1_25partition_config_selectorILNS1_17partition_subalgoE9EllbEEZZNS1_14partition_implILS5_9ELb0ES3_jPlS8_PNS0_10empty_typeENS0_5tupleIJS8_S9_EEENSB_IJS8_SA_EEENS0_18inequality_wrapperIZN2at6native12_GLOBAL__N_124unique_dim_cuda_templateIiEESt5tupleIJNSF_6TensorESK_SK_EERKSK_lbbbEUlllE0_EEPmJS9_EEE10hipError_tPvRmT3_T4_T5_T6_T7_T9_mT8_P12ihipStream_tbDpT10_ENKUlT_T0_E_clISt17integral_constantIbLb1EES19_IbLb0EEEEDaS15_S16_EUlS15_E_NS1_11comp_targetILNS1_3genE8ELNS1_11target_archE1030ELNS1_3gpuE2ELNS1_3repE0EEENS1_30default_config_static_selectorELNS0_4arch9wavefront6targetE1EEEvT1_, .Lfunc_end499-_ZN7rocprim17ROCPRIM_400000_NS6detail17trampoline_kernelINS0_14default_configENS1_25partition_config_selectorILNS1_17partition_subalgoE9EllbEEZZNS1_14partition_implILS5_9ELb0ES3_jPlS8_PNS0_10empty_typeENS0_5tupleIJS8_S9_EEENSB_IJS8_SA_EEENS0_18inequality_wrapperIZN2at6native12_GLOBAL__N_124unique_dim_cuda_templateIiEESt5tupleIJNSF_6TensorESK_SK_EERKSK_lbbbEUlllE0_EEPmJS9_EEE10hipError_tPvRmT3_T4_T5_T6_T7_T9_mT8_P12ihipStream_tbDpT10_ENKUlT_T0_E_clISt17integral_constantIbLb1EES19_IbLb0EEEEDaS15_S16_EUlS15_E_NS1_11comp_targetILNS1_3genE8ELNS1_11target_archE1030ELNS1_3gpuE2ELNS1_3repE0EEENS1_30default_config_static_selectorELNS0_4arch9wavefront6targetE1EEEvT1_
                                        ; -- End function
	.section	.AMDGPU.csdata,"",@progbits
; Kernel info:
; codeLenInByte = 0
; NumSgprs: 6
; NumVgprs: 0
; NumAgprs: 0
; TotalNumVgprs: 0
; ScratchSize: 0
; MemoryBound: 0
; FloatMode: 240
; IeeeMode: 1
; LDSByteSize: 0 bytes/workgroup (compile time only)
; SGPRBlocks: 0
; VGPRBlocks: 0
; NumSGPRsForWavesPerEU: 6
; NumVGPRsForWavesPerEU: 1
; AccumOffset: 4
; Occupancy: 8
; WaveLimiterHint : 0
; COMPUTE_PGM_RSRC2:SCRATCH_EN: 0
; COMPUTE_PGM_RSRC2:USER_SGPR: 2
; COMPUTE_PGM_RSRC2:TRAP_HANDLER: 0
; COMPUTE_PGM_RSRC2:TGID_X_EN: 1
; COMPUTE_PGM_RSRC2:TGID_Y_EN: 0
; COMPUTE_PGM_RSRC2:TGID_Z_EN: 0
; COMPUTE_PGM_RSRC2:TIDIG_COMP_CNT: 0
; COMPUTE_PGM_RSRC3_GFX90A:ACCUM_OFFSET: 0
; COMPUTE_PGM_RSRC3_GFX90A:TG_SPLIT: 0
	.section	.text._ZN7rocprim17ROCPRIM_400000_NS6detail17trampoline_kernelINS0_14default_configENS1_25partition_config_selectorILNS1_17partition_subalgoE9EllbEEZZNS1_14partition_implILS5_9ELb0ES3_jPlS8_PNS0_10empty_typeENS0_5tupleIJS8_S9_EEENSB_IJS8_SA_EEENS0_18inequality_wrapperIZN2at6native12_GLOBAL__N_124unique_dim_cuda_templateIiEESt5tupleIJNSF_6TensorESK_SK_EERKSK_lbbbEUlllE0_EEPmJS9_EEE10hipError_tPvRmT3_T4_T5_T6_T7_T9_mT8_P12ihipStream_tbDpT10_ENKUlT_T0_E_clISt17integral_constantIbLb0EES19_IbLb1EEEEDaS15_S16_EUlS15_E_NS1_11comp_targetILNS1_3genE0ELNS1_11target_archE4294967295ELNS1_3gpuE0ELNS1_3repE0EEENS1_30default_config_static_selectorELNS0_4arch9wavefront6targetE1EEEvT1_,"axG",@progbits,_ZN7rocprim17ROCPRIM_400000_NS6detail17trampoline_kernelINS0_14default_configENS1_25partition_config_selectorILNS1_17partition_subalgoE9EllbEEZZNS1_14partition_implILS5_9ELb0ES3_jPlS8_PNS0_10empty_typeENS0_5tupleIJS8_S9_EEENSB_IJS8_SA_EEENS0_18inequality_wrapperIZN2at6native12_GLOBAL__N_124unique_dim_cuda_templateIiEESt5tupleIJNSF_6TensorESK_SK_EERKSK_lbbbEUlllE0_EEPmJS9_EEE10hipError_tPvRmT3_T4_T5_T6_T7_T9_mT8_P12ihipStream_tbDpT10_ENKUlT_T0_E_clISt17integral_constantIbLb0EES19_IbLb1EEEEDaS15_S16_EUlS15_E_NS1_11comp_targetILNS1_3genE0ELNS1_11target_archE4294967295ELNS1_3gpuE0ELNS1_3repE0EEENS1_30default_config_static_selectorELNS0_4arch9wavefront6targetE1EEEvT1_,comdat
	.globl	_ZN7rocprim17ROCPRIM_400000_NS6detail17trampoline_kernelINS0_14default_configENS1_25partition_config_selectorILNS1_17partition_subalgoE9EllbEEZZNS1_14partition_implILS5_9ELb0ES3_jPlS8_PNS0_10empty_typeENS0_5tupleIJS8_S9_EEENSB_IJS8_SA_EEENS0_18inequality_wrapperIZN2at6native12_GLOBAL__N_124unique_dim_cuda_templateIiEESt5tupleIJNSF_6TensorESK_SK_EERKSK_lbbbEUlllE0_EEPmJS9_EEE10hipError_tPvRmT3_T4_T5_T6_T7_T9_mT8_P12ihipStream_tbDpT10_ENKUlT_T0_E_clISt17integral_constantIbLb0EES19_IbLb1EEEEDaS15_S16_EUlS15_E_NS1_11comp_targetILNS1_3genE0ELNS1_11target_archE4294967295ELNS1_3gpuE0ELNS1_3repE0EEENS1_30default_config_static_selectorELNS0_4arch9wavefront6targetE1EEEvT1_ ; -- Begin function _ZN7rocprim17ROCPRIM_400000_NS6detail17trampoline_kernelINS0_14default_configENS1_25partition_config_selectorILNS1_17partition_subalgoE9EllbEEZZNS1_14partition_implILS5_9ELb0ES3_jPlS8_PNS0_10empty_typeENS0_5tupleIJS8_S9_EEENSB_IJS8_SA_EEENS0_18inequality_wrapperIZN2at6native12_GLOBAL__N_124unique_dim_cuda_templateIiEESt5tupleIJNSF_6TensorESK_SK_EERKSK_lbbbEUlllE0_EEPmJS9_EEE10hipError_tPvRmT3_T4_T5_T6_T7_T9_mT8_P12ihipStream_tbDpT10_ENKUlT_T0_E_clISt17integral_constantIbLb0EES19_IbLb1EEEEDaS15_S16_EUlS15_E_NS1_11comp_targetILNS1_3genE0ELNS1_11target_archE4294967295ELNS1_3gpuE0ELNS1_3repE0EEENS1_30default_config_static_selectorELNS0_4arch9wavefront6targetE1EEEvT1_
	.p2align	8
	.type	_ZN7rocprim17ROCPRIM_400000_NS6detail17trampoline_kernelINS0_14default_configENS1_25partition_config_selectorILNS1_17partition_subalgoE9EllbEEZZNS1_14partition_implILS5_9ELb0ES3_jPlS8_PNS0_10empty_typeENS0_5tupleIJS8_S9_EEENSB_IJS8_SA_EEENS0_18inequality_wrapperIZN2at6native12_GLOBAL__N_124unique_dim_cuda_templateIiEESt5tupleIJNSF_6TensorESK_SK_EERKSK_lbbbEUlllE0_EEPmJS9_EEE10hipError_tPvRmT3_T4_T5_T6_T7_T9_mT8_P12ihipStream_tbDpT10_ENKUlT_T0_E_clISt17integral_constantIbLb0EES19_IbLb1EEEEDaS15_S16_EUlS15_E_NS1_11comp_targetILNS1_3genE0ELNS1_11target_archE4294967295ELNS1_3gpuE0ELNS1_3repE0EEENS1_30default_config_static_selectorELNS0_4arch9wavefront6targetE1EEEvT1_,@function
_ZN7rocprim17ROCPRIM_400000_NS6detail17trampoline_kernelINS0_14default_configENS1_25partition_config_selectorILNS1_17partition_subalgoE9EllbEEZZNS1_14partition_implILS5_9ELb0ES3_jPlS8_PNS0_10empty_typeENS0_5tupleIJS8_S9_EEENSB_IJS8_SA_EEENS0_18inequality_wrapperIZN2at6native12_GLOBAL__N_124unique_dim_cuda_templateIiEESt5tupleIJNSF_6TensorESK_SK_EERKSK_lbbbEUlllE0_EEPmJS9_EEE10hipError_tPvRmT3_T4_T5_T6_T7_T9_mT8_P12ihipStream_tbDpT10_ENKUlT_T0_E_clISt17integral_constantIbLb0EES19_IbLb1EEEEDaS15_S16_EUlS15_E_NS1_11comp_targetILNS1_3genE0ELNS1_11target_archE4294967295ELNS1_3gpuE0ELNS1_3repE0EEENS1_30default_config_static_selectorELNS0_4arch9wavefront6targetE1EEEvT1_: ; @_ZN7rocprim17ROCPRIM_400000_NS6detail17trampoline_kernelINS0_14default_configENS1_25partition_config_selectorILNS1_17partition_subalgoE9EllbEEZZNS1_14partition_implILS5_9ELb0ES3_jPlS8_PNS0_10empty_typeENS0_5tupleIJS8_S9_EEENSB_IJS8_SA_EEENS0_18inequality_wrapperIZN2at6native12_GLOBAL__N_124unique_dim_cuda_templateIiEESt5tupleIJNSF_6TensorESK_SK_EERKSK_lbbbEUlllE0_EEPmJS9_EEE10hipError_tPvRmT3_T4_T5_T6_T7_T9_mT8_P12ihipStream_tbDpT10_ENKUlT_T0_E_clISt17integral_constantIbLb0EES19_IbLb1EEEEDaS15_S16_EUlS15_E_NS1_11comp_targetILNS1_3genE0ELNS1_11target_archE4294967295ELNS1_3gpuE0ELNS1_3repE0EEENS1_30default_config_static_selectorELNS0_4arch9wavefront6targetE1EEEvT1_
; %bb.0:
	.section	.rodata,"a",@progbits
	.p2align	6, 0x0
	.amdhsa_kernel _ZN7rocprim17ROCPRIM_400000_NS6detail17trampoline_kernelINS0_14default_configENS1_25partition_config_selectorILNS1_17partition_subalgoE9EllbEEZZNS1_14partition_implILS5_9ELb0ES3_jPlS8_PNS0_10empty_typeENS0_5tupleIJS8_S9_EEENSB_IJS8_SA_EEENS0_18inequality_wrapperIZN2at6native12_GLOBAL__N_124unique_dim_cuda_templateIiEESt5tupleIJNSF_6TensorESK_SK_EERKSK_lbbbEUlllE0_EEPmJS9_EEE10hipError_tPvRmT3_T4_T5_T6_T7_T9_mT8_P12ihipStream_tbDpT10_ENKUlT_T0_E_clISt17integral_constantIbLb0EES19_IbLb1EEEEDaS15_S16_EUlS15_E_NS1_11comp_targetILNS1_3genE0ELNS1_11target_archE4294967295ELNS1_3gpuE0ELNS1_3repE0EEENS1_30default_config_static_selectorELNS0_4arch9wavefront6targetE1EEEvT1_
		.amdhsa_group_segment_fixed_size 0
		.amdhsa_private_segment_fixed_size 0
		.amdhsa_kernarg_size 136
		.amdhsa_user_sgpr_count 2
		.amdhsa_user_sgpr_dispatch_ptr 0
		.amdhsa_user_sgpr_queue_ptr 0
		.amdhsa_user_sgpr_kernarg_segment_ptr 1
		.amdhsa_user_sgpr_dispatch_id 0
		.amdhsa_user_sgpr_kernarg_preload_length 0
		.amdhsa_user_sgpr_kernarg_preload_offset 0
		.amdhsa_user_sgpr_private_segment_size 0
		.amdhsa_uses_dynamic_stack 0
		.amdhsa_enable_private_segment 0
		.amdhsa_system_sgpr_workgroup_id_x 1
		.amdhsa_system_sgpr_workgroup_id_y 0
		.amdhsa_system_sgpr_workgroup_id_z 0
		.amdhsa_system_sgpr_workgroup_info 0
		.amdhsa_system_vgpr_workitem_id 0
		.amdhsa_next_free_vgpr 1
		.amdhsa_next_free_sgpr 0
		.amdhsa_accum_offset 4
		.amdhsa_reserve_vcc 0
		.amdhsa_float_round_mode_32 0
		.amdhsa_float_round_mode_16_64 0
		.amdhsa_float_denorm_mode_32 3
		.amdhsa_float_denorm_mode_16_64 3
		.amdhsa_dx10_clamp 1
		.amdhsa_ieee_mode 1
		.amdhsa_fp16_overflow 0
		.amdhsa_tg_split 0
		.amdhsa_exception_fp_ieee_invalid_op 0
		.amdhsa_exception_fp_denorm_src 0
		.amdhsa_exception_fp_ieee_div_zero 0
		.amdhsa_exception_fp_ieee_overflow 0
		.amdhsa_exception_fp_ieee_underflow 0
		.amdhsa_exception_fp_ieee_inexact 0
		.amdhsa_exception_int_div_zero 0
	.end_amdhsa_kernel
	.section	.text._ZN7rocprim17ROCPRIM_400000_NS6detail17trampoline_kernelINS0_14default_configENS1_25partition_config_selectorILNS1_17partition_subalgoE9EllbEEZZNS1_14partition_implILS5_9ELb0ES3_jPlS8_PNS0_10empty_typeENS0_5tupleIJS8_S9_EEENSB_IJS8_SA_EEENS0_18inequality_wrapperIZN2at6native12_GLOBAL__N_124unique_dim_cuda_templateIiEESt5tupleIJNSF_6TensorESK_SK_EERKSK_lbbbEUlllE0_EEPmJS9_EEE10hipError_tPvRmT3_T4_T5_T6_T7_T9_mT8_P12ihipStream_tbDpT10_ENKUlT_T0_E_clISt17integral_constantIbLb0EES19_IbLb1EEEEDaS15_S16_EUlS15_E_NS1_11comp_targetILNS1_3genE0ELNS1_11target_archE4294967295ELNS1_3gpuE0ELNS1_3repE0EEENS1_30default_config_static_selectorELNS0_4arch9wavefront6targetE1EEEvT1_,"axG",@progbits,_ZN7rocprim17ROCPRIM_400000_NS6detail17trampoline_kernelINS0_14default_configENS1_25partition_config_selectorILNS1_17partition_subalgoE9EllbEEZZNS1_14partition_implILS5_9ELb0ES3_jPlS8_PNS0_10empty_typeENS0_5tupleIJS8_S9_EEENSB_IJS8_SA_EEENS0_18inequality_wrapperIZN2at6native12_GLOBAL__N_124unique_dim_cuda_templateIiEESt5tupleIJNSF_6TensorESK_SK_EERKSK_lbbbEUlllE0_EEPmJS9_EEE10hipError_tPvRmT3_T4_T5_T6_T7_T9_mT8_P12ihipStream_tbDpT10_ENKUlT_T0_E_clISt17integral_constantIbLb0EES19_IbLb1EEEEDaS15_S16_EUlS15_E_NS1_11comp_targetILNS1_3genE0ELNS1_11target_archE4294967295ELNS1_3gpuE0ELNS1_3repE0EEENS1_30default_config_static_selectorELNS0_4arch9wavefront6targetE1EEEvT1_,comdat
.Lfunc_end500:
	.size	_ZN7rocprim17ROCPRIM_400000_NS6detail17trampoline_kernelINS0_14default_configENS1_25partition_config_selectorILNS1_17partition_subalgoE9EllbEEZZNS1_14partition_implILS5_9ELb0ES3_jPlS8_PNS0_10empty_typeENS0_5tupleIJS8_S9_EEENSB_IJS8_SA_EEENS0_18inequality_wrapperIZN2at6native12_GLOBAL__N_124unique_dim_cuda_templateIiEESt5tupleIJNSF_6TensorESK_SK_EERKSK_lbbbEUlllE0_EEPmJS9_EEE10hipError_tPvRmT3_T4_T5_T6_T7_T9_mT8_P12ihipStream_tbDpT10_ENKUlT_T0_E_clISt17integral_constantIbLb0EES19_IbLb1EEEEDaS15_S16_EUlS15_E_NS1_11comp_targetILNS1_3genE0ELNS1_11target_archE4294967295ELNS1_3gpuE0ELNS1_3repE0EEENS1_30default_config_static_selectorELNS0_4arch9wavefront6targetE1EEEvT1_, .Lfunc_end500-_ZN7rocprim17ROCPRIM_400000_NS6detail17trampoline_kernelINS0_14default_configENS1_25partition_config_selectorILNS1_17partition_subalgoE9EllbEEZZNS1_14partition_implILS5_9ELb0ES3_jPlS8_PNS0_10empty_typeENS0_5tupleIJS8_S9_EEENSB_IJS8_SA_EEENS0_18inequality_wrapperIZN2at6native12_GLOBAL__N_124unique_dim_cuda_templateIiEESt5tupleIJNSF_6TensorESK_SK_EERKSK_lbbbEUlllE0_EEPmJS9_EEE10hipError_tPvRmT3_T4_T5_T6_T7_T9_mT8_P12ihipStream_tbDpT10_ENKUlT_T0_E_clISt17integral_constantIbLb0EES19_IbLb1EEEEDaS15_S16_EUlS15_E_NS1_11comp_targetILNS1_3genE0ELNS1_11target_archE4294967295ELNS1_3gpuE0ELNS1_3repE0EEENS1_30default_config_static_selectorELNS0_4arch9wavefront6targetE1EEEvT1_
                                        ; -- End function
	.section	.AMDGPU.csdata,"",@progbits
; Kernel info:
; codeLenInByte = 0
; NumSgprs: 6
; NumVgprs: 0
; NumAgprs: 0
; TotalNumVgprs: 0
; ScratchSize: 0
; MemoryBound: 0
; FloatMode: 240
; IeeeMode: 1
; LDSByteSize: 0 bytes/workgroup (compile time only)
; SGPRBlocks: 0
; VGPRBlocks: 0
; NumSGPRsForWavesPerEU: 6
; NumVGPRsForWavesPerEU: 1
; AccumOffset: 4
; Occupancy: 8
; WaveLimiterHint : 0
; COMPUTE_PGM_RSRC2:SCRATCH_EN: 0
; COMPUTE_PGM_RSRC2:USER_SGPR: 2
; COMPUTE_PGM_RSRC2:TRAP_HANDLER: 0
; COMPUTE_PGM_RSRC2:TGID_X_EN: 1
; COMPUTE_PGM_RSRC2:TGID_Y_EN: 0
; COMPUTE_PGM_RSRC2:TGID_Z_EN: 0
; COMPUTE_PGM_RSRC2:TIDIG_COMP_CNT: 0
; COMPUTE_PGM_RSRC3_GFX90A:ACCUM_OFFSET: 0
; COMPUTE_PGM_RSRC3_GFX90A:TG_SPLIT: 0
	.section	.text._ZN7rocprim17ROCPRIM_400000_NS6detail17trampoline_kernelINS0_14default_configENS1_25partition_config_selectorILNS1_17partition_subalgoE9EllbEEZZNS1_14partition_implILS5_9ELb0ES3_jPlS8_PNS0_10empty_typeENS0_5tupleIJS8_S9_EEENSB_IJS8_SA_EEENS0_18inequality_wrapperIZN2at6native12_GLOBAL__N_124unique_dim_cuda_templateIiEESt5tupleIJNSF_6TensorESK_SK_EERKSK_lbbbEUlllE0_EEPmJS9_EEE10hipError_tPvRmT3_T4_T5_T6_T7_T9_mT8_P12ihipStream_tbDpT10_ENKUlT_T0_E_clISt17integral_constantIbLb0EES19_IbLb1EEEEDaS15_S16_EUlS15_E_NS1_11comp_targetILNS1_3genE5ELNS1_11target_archE942ELNS1_3gpuE9ELNS1_3repE0EEENS1_30default_config_static_selectorELNS0_4arch9wavefront6targetE1EEEvT1_,"axG",@progbits,_ZN7rocprim17ROCPRIM_400000_NS6detail17trampoline_kernelINS0_14default_configENS1_25partition_config_selectorILNS1_17partition_subalgoE9EllbEEZZNS1_14partition_implILS5_9ELb0ES3_jPlS8_PNS0_10empty_typeENS0_5tupleIJS8_S9_EEENSB_IJS8_SA_EEENS0_18inequality_wrapperIZN2at6native12_GLOBAL__N_124unique_dim_cuda_templateIiEESt5tupleIJNSF_6TensorESK_SK_EERKSK_lbbbEUlllE0_EEPmJS9_EEE10hipError_tPvRmT3_T4_T5_T6_T7_T9_mT8_P12ihipStream_tbDpT10_ENKUlT_T0_E_clISt17integral_constantIbLb0EES19_IbLb1EEEEDaS15_S16_EUlS15_E_NS1_11comp_targetILNS1_3genE5ELNS1_11target_archE942ELNS1_3gpuE9ELNS1_3repE0EEENS1_30default_config_static_selectorELNS0_4arch9wavefront6targetE1EEEvT1_,comdat
	.globl	_ZN7rocprim17ROCPRIM_400000_NS6detail17trampoline_kernelINS0_14default_configENS1_25partition_config_selectorILNS1_17partition_subalgoE9EllbEEZZNS1_14partition_implILS5_9ELb0ES3_jPlS8_PNS0_10empty_typeENS0_5tupleIJS8_S9_EEENSB_IJS8_SA_EEENS0_18inequality_wrapperIZN2at6native12_GLOBAL__N_124unique_dim_cuda_templateIiEESt5tupleIJNSF_6TensorESK_SK_EERKSK_lbbbEUlllE0_EEPmJS9_EEE10hipError_tPvRmT3_T4_T5_T6_T7_T9_mT8_P12ihipStream_tbDpT10_ENKUlT_T0_E_clISt17integral_constantIbLb0EES19_IbLb1EEEEDaS15_S16_EUlS15_E_NS1_11comp_targetILNS1_3genE5ELNS1_11target_archE942ELNS1_3gpuE9ELNS1_3repE0EEENS1_30default_config_static_selectorELNS0_4arch9wavefront6targetE1EEEvT1_ ; -- Begin function _ZN7rocprim17ROCPRIM_400000_NS6detail17trampoline_kernelINS0_14default_configENS1_25partition_config_selectorILNS1_17partition_subalgoE9EllbEEZZNS1_14partition_implILS5_9ELb0ES3_jPlS8_PNS0_10empty_typeENS0_5tupleIJS8_S9_EEENSB_IJS8_SA_EEENS0_18inequality_wrapperIZN2at6native12_GLOBAL__N_124unique_dim_cuda_templateIiEESt5tupleIJNSF_6TensorESK_SK_EERKSK_lbbbEUlllE0_EEPmJS9_EEE10hipError_tPvRmT3_T4_T5_T6_T7_T9_mT8_P12ihipStream_tbDpT10_ENKUlT_T0_E_clISt17integral_constantIbLb0EES19_IbLb1EEEEDaS15_S16_EUlS15_E_NS1_11comp_targetILNS1_3genE5ELNS1_11target_archE942ELNS1_3gpuE9ELNS1_3repE0EEENS1_30default_config_static_selectorELNS0_4arch9wavefront6targetE1EEEvT1_
	.p2align	8
	.type	_ZN7rocprim17ROCPRIM_400000_NS6detail17trampoline_kernelINS0_14default_configENS1_25partition_config_selectorILNS1_17partition_subalgoE9EllbEEZZNS1_14partition_implILS5_9ELb0ES3_jPlS8_PNS0_10empty_typeENS0_5tupleIJS8_S9_EEENSB_IJS8_SA_EEENS0_18inequality_wrapperIZN2at6native12_GLOBAL__N_124unique_dim_cuda_templateIiEESt5tupleIJNSF_6TensorESK_SK_EERKSK_lbbbEUlllE0_EEPmJS9_EEE10hipError_tPvRmT3_T4_T5_T6_T7_T9_mT8_P12ihipStream_tbDpT10_ENKUlT_T0_E_clISt17integral_constantIbLb0EES19_IbLb1EEEEDaS15_S16_EUlS15_E_NS1_11comp_targetILNS1_3genE5ELNS1_11target_archE942ELNS1_3gpuE9ELNS1_3repE0EEENS1_30default_config_static_selectorELNS0_4arch9wavefront6targetE1EEEvT1_,@function
_ZN7rocprim17ROCPRIM_400000_NS6detail17trampoline_kernelINS0_14default_configENS1_25partition_config_selectorILNS1_17partition_subalgoE9EllbEEZZNS1_14partition_implILS5_9ELb0ES3_jPlS8_PNS0_10empty_typeENS0_5tupleIJS8_S9_EEENSB_IJS8_SA_EEENS0_18inequality_wrapperIZN2at6native12_GLOBAL__N_124unique_dim_cuda_templateIiEESt5tupleIJNSF_6TensorESK_SK_EERKSK_lbbbEUlllE0_EEPmJS9_EEE10hipError_tPvRmT3_T4_T5_T6_T7_T9_mT8_P12ihipStream_tbDpT10_ENKUlT_T0_E_clISt17integral_constantIbLb0EES19_IbLb1EEEEDaS15_S16_EUlS15_E_NS1_11comp_targetILNS1_3genE5ELNS1_11target_archE942ELNS1_3gpuE9ELNS1_3repE0EEENS1_30default_config_static_selectorELNS0_4arch9wavefront6targetE1EEEvT1_: ; @_ZN7rocprim17ROCPRIM_400000_NS6detail17trampoline_kernelINS0_14default_configENS1_25partition_config_selectorILNS1_17partition_subalgoE9EllbEEZZNS1_14partition_implILS5_9ELb0ES3_jPlS8_PNS0_10empty_typeENS0_5tupleIJS8_S9_EEENSB_IJS8_SA_EEENS0_18inequality_wrapperIZN2at6native12_GLOBAL__N_124unique_dim_cuda_templateIiEESt5tupleIJNSF_6TensorESK_SK_EERKSK_lbbbEUlllE0_EEPmJS9_EEE10hipError_tPvRmT3_T4_T5_T6_T7_T9_mT8_P12ihipStream_tbDpT10_ENKUlT_T0_E_clISt17integral_constantIbLb0EES19_IbLb1EEEEDaS15_S16_EUlS15_E_NS1_11comp_targetILNS1_3genE5ELNS1_11target_archE942ELNS1_3gpuE9ELNS1_3repE0EEENS1_30default_config_static_selectorELNS0_4arch9wavefront6targetE1EEEvT1_
; %bb.0:
	s_load_dwordx4 s[4:7], s[0:1], 0x8
	s_load_dwordx2 s[10:11], s[0:1], 0x18
	s_load_dwordx8 s[20:27], s[0:1], 0x40
	s_load_dwordx4 s[36:39], s[0:1], 0x60
	v_cmp_ne_u32_e64 s[2:3], 0, v0
	v_cmp_eq_u32_e64 s[18:19], 0, v0
	s_and_saveexec_b64 s[8:9], s[18:19]
	s_cbranch_execz .LBB501_4
; %bb.1:
	s_mov_b64 s[14:15], exec
	v_mbcnt_lo_u32_b32 v1, s14, 0
	v_mbcnt_hi_u32_b32 v1, s15, v1
	v_cmp_eq_u32_e32 vcc, 0, v1
                                        ; implicit-def: $vgpr2
	s_and_saveexec_b64 s[12:13], vcc
	s_cbranch_execz .LBB501_3
; %bb.2:
	s_load_dwordx2 s[16:17], s[0:1], 0x78
	s_bcnt1_i32_b64 s14, s[14:15]
	v_mov_b32_e32 v2, 0
	v_mov_b32_e32 v3, s14
	s_waitcnt lgkmcnt(0)
	global_atomic_add v2, v2, v3, s[16:17] sc0
.LBB501_3:
	s_or_b64 exec, exec, s[12:13]
	s_waitcnt vmcnt(0)
	v_readfirstlane_b32 s12, v2
	v_mov_b32_e32 v2, 0
	s_nop 0
	v_add_u32_e32 v1, s12, v1
	ds_write_b32 v2, v1
.LBB501_4:
	s_or_b64 exec, exec, s[8:9]
	v_mov_b32_e32 v3, 0
	s_load_dwordx4 s[28:31], s[0:1], 0x28
	s_load_dword s8, s[0:1], 0x70
	s_waitcnt lgkmcnt(0)
	s_barrier
	ds_read_b32 v1, v3
	s_waitcnt lgkmcnt(0)
	s_barrier
	global_load_dwordx2 v[4:5], v3, s[22:23]
	s_lshl_b64 s[12:13], s[6:7], 3
	s_mul_i32 s14, s8, 0xe00
	s_add_u32 s16, s4, s12
	s_addc_u32 s17, s5, s13
	s_add_i32 s4, s14, s6
	s_sub_i32 s54, s24, s4
	s_add_i32 s15, s8, -1
	s_addk_i32 s54, 0xe00
	s_add_u32 s4, s6, s14
	v_readfirstlane_b32 s33, v1
	s_addc_u32 s5, s7, 0
	v_mov_b32_e32 v6, s24
	v_mov_b32_e32 v7, s25
	s_cmp_eq_u32 s33, s15
	s_mov_b32 s9, 0
	s_mul_i32 s8, s33, 0xe00
	v_cmp_ge_u64_e32 vcc, s[4:5], v[6:7]
	s_cselect_b64 s[24:25], -1, 0
	s_lshl_b64 s[14:15], s[8:9], 3
	s_and_b64 s[8:9], vcc, s[24:25]
	s_xor_b64 s[34:35], s[8:9], -1
	s_add_u32 s4, s16, s14
	s_mov_b64 s[0:1], -1
	s_addc_u32 s5, s17, s15
	s_and_b64 vcc, exec, s[34:35]
	s_waitcnt vmcnt(0)
	v_readfirstlane_b32 s22, v4
	v_readfirstlane_b32 s23, v5
	s_cbranch_vccz .LBB501_6
; %bb.5:
	v_lshlrev_b32_e32 v2, 3, v0
	v_lshl_add_u64 v[4:5], s[4:5], 0, v[2:3]
	v_add_co_u32_e32 v8, vcc, 0x1000, v4
	global_load_dwordx2 v[6:7], v2, s[4:5]
	s_nop 0
	v_addc_co_u32_e32 v9, vcc, 0, v5, vcc
	v_add_co_u32_e32 v10, vcc, 0x2000, v4
	s_mov_b64 s[0:1], 0
	s_nop 0
	v_addc_co_u32_e32 v11, vcc, 0, v5, vcc
	v_add_co_u32_e32 v12, vcc, 0x3000, v4
	s_nop 1
	v_addc_co_u32_e32 v13, vcc, 0, v5, vcc
	v_add_co_u32_e32 v14, vcc, 0x4000, v4
	s_nop 1
	v_addc_co_u32_e32 v15, vcc, 0, v5, vcc
	global_load_dwordx2 v[16:17], v[8:9], off
	global_load_dwordx2 v[18:19], v[10:11], off
	;; [unrolled: 1-line block ×4, first 2 shown]
	v_add_co_u32_e32 v8, vcc, 0x5000, v4
	s_nop 1
	v_addc_co_u32_e32 v9, vcc, 0, v5, vcc
	v_add_co_u32_e32 v4, vcc, 0x6000, v4
	global_load_dwordx2 v[8:9], v[8:9], off
	s_nop 0
	v_addc_co_u32_e32 v5, vcc, 0, v5, vcc
	global_load_dwordx2 v[4:5], v[4:5], off
	s_waitcnt vmcnt(5)
	ds_write2st64_b64 v2, v[6:7], v[16:17] offset1:8
	s_waitcnt vmcnt(3)
	ds_write2st64_b64 v2, v[18:19], v[20:21] offset0:16 offset1:24
	s_waitcnt vmcnt(1)
	ds_write2st64_b64 v2, v[22:23], v[8:9] offset0:32 offset1:40
	s_waitcnt vmcnt(0)
	ds_write_b64 v2, v[4:5] offset:24576
	s_waitcnt lgkmcnt(0)
	s_barrier
.LBB501_6:
	s_andn2_b64 vcc, exec, s[0:1]
	v_cmp_gt_u32_e64 s[0:1], s54, v0
	s_cbranch_vccnz .LBB501_22
; %bb.7:
                                        ; implicit-def: $vgpr2_vgpr3_vgpr4_vgpr5_vgpr6_vgpr7_vgpr8_vgpr9_vgpr10_vgpr11_vgpr12_vgpr13_vgpr14_vgpr15_vgpr16_vgpr17
	s_and_saveexec_b64 s[16:17], s[0:1]
	s_cbranch_execz .LBB501_9
; %bb.8:
	v_lshlrev_b32_e32 v1, 3, v0
	global_load_dwordx2 v[2:3], v1, s[4:5]
.LBB501_9:
	s_or_b64 exec, exec, s[16:17]
	v_or_b32_e32 v1, 0x200, v0
	v_cmp_gt_u32_e32 vcc, s54, v1
	s_and_saveexec_b64 s[0:1], vcc
	s_cbranch_execz .LBB501_11
; %bb.10:
	v_lshlrev_b32_e32 v1, 3, v1
	global_load_dwordx2 v[4:5], v1, s[4:5]
.LBB501_11:
	s_or_b64 exec, exec, s[0:1]
	v_or_b32_e32 v1, 0x400, v0
	v_cmp_gt_u32_e32 vcc, s54, v1
	s_and_saveexec_b64 s[0:1], vcc
	;; [unrolled: 9-line block ×6, first 2 shown]
	s_cbranch_execz .LBB501_21
; %bb.20:
	v_lshlrev_b32_e32 v1, 3, v1
	global_load_dwordx2 v[14:15], v1, s[4:5]
.LBB501_21:
	s_or_b64 exec, exec, s[0:1]
	v_lshlrev_b32_e32 v1, 3, v0
	s_waitcnt vmcnt(0)
	ds_write2st64_b64 v1, v[2:3], v[4:5] offset1:8
	ds_write2st64_b64 v1, v[6:7], v[8:9] offset0:16 offset1:24
	ds_write2st64_b64 v1, v[10:11], v[12:13] offset0:32 offset1:40
	ds_write_b64 v1, v[14:15] offset:24576
	s_waitcnt lgkmcnt(0)
	s_barrier
.LBB501_22:
	v_mul_u32_u24_e32 v1, 7, v0
	v_lshlrev_b32_e32 v46, 3, v1
	ds_read2_b64 v[22:25], v46 offset1:1
	ds_read2_b64 v[18:21], v46 offset0:2 offset1:3
	ds_read2_b64 v[14:17], v46 offset0:4 offset1:5
	ds_read_b64 v[28:29], v46 offset:48
	s_add_u32 s0, s10, s12
	s_addc_u32 s1, s11, s13
	s_add_u32 s0, s0, s14
	s_addc_u32 s1, s1, s15
	s_mov_b64 s[10:11], -1
	s_and_b64 vcc, exec, s[34:35]
	s_waitcnt lgkmcnt(0)
	s_barrier
	s_cbranch_vccz .LBB501_24
; %bb.23:
	v_lshlrev_b32_e32 v2, 3, v0
	v_mov_b32_e32 v3, 0
	v_lshl_add_u64 v[4:5], s[0:1], 0, v[2:3]
	v_add_co_u32_e32 v8, vcc, 0x1000, v4
	global_load_dwordx2 v[6:7], v2, s[0:1]
	s_nop 0
	v_addc_co_u32_e32 v9, vcc, 0, v5, vcc
	v_add_co_u32_e32 v10, vcc, 0x2000, v4
	s_mov_b64 s[10:11], 0
	s_nop 0
	v_addc_co_u32_e32 v11, vcc, 0, v5, vcc
	v_add_co_u32_e32 v12, vcc, 0x3000, v4
	s_nop 1
	v_addc_co_u32_e32 v13, vcc, 0, v5, vcc
	v_add_co_u32_e32 v26, vcc, 0x4000, v4
	s_nop 1
	v_addc_co_u32_e32 v27, vcc, 0, v5, vcc
	global_load_dwordx2 v[30:31], v[8:9], off
	global_load_dwordx2 v[32:33], v[10:11], off
	;; [unrolled: 1-line block ×4, first 2 shown]
	v_add_co_u32_e32 v8, vcc, 0x5000, v4
	s_nop 1
	v_addc_co_u32_e32 v9, vcc, 0, v5, vcc
	v_add_co_u32_e32 v4, vcc, 0x6000, v4
	global_load_dwordx2 v[8:9], v[8:9], off
	s_nop 0
	v_addc_co_u32_e32 v5, vcc, 0, v5, vcc
	global_load_dwordx2 v[4:5], v[4:5], off
	s_waitcnt vmcnt(5)
	ds_write2st64_b64 v2, v[6:7], v[30:31] offset1:8
	s_waitcnt vmcnt(3)
	ds_write2st64_b64 v2, v[32:33], v[34:35] offset0:16 offset1:24
	s_waitcnt vmcnt(1)
	ds_write2st64_b64 v2, v[36:37], v[8:9] offset0:32 offset1:40
	s_waitcnt vmcnt(0)
	ds_write_b64 v2, v[4:5] offset:24576
	s_waitcnt lgkmcnt(0)
	s_barrier
.LBB501_24:
	s_andn2_b64 vcc, exec, s[10:11]
	s_cbranch_vccnz .LBB501_40
; %bb.25:
	v_cmp_gt_u32_e32 vcc, s54, v0
                                        ; implicit-def: $vgpr2_vgpr3
	s_and_saveexec_b64 s[10:11], vcc
	s_cbranch_execz .LBB501_27
; %bb.26:
	v_lshlrev_b32_e32 v2, 3, v0
	global_load_dwordx2 v[2:3], v2, s[0:1]
.LBB501_27:
	s_or_b64 exec, exec, s[10:11]
	v_or_b32_e32 v6, 0x200, v0
	v_cmp_gt_u32_e32 vcc, s54, v6
                                        ; implicit-def: $vgpr4_vgpr5
	s_and_saveexec_b64 s[10:11], vcc
	s_cbranch_execz .LBB501_29
; %bb.28:
	v_lshlrev_b32_e32 v4, 3, v6
	global_load_dwordx2 v[4:5], v4, s[0:1]
.LBB501_29:
	s_or_b64 exec, exec, s[10:11]
	v_or_b32_e32 v8, 0x400, v0
	v_cmp_gt_u32_e32 vcc, s54, v8
                                        ; implicit-def: $vgpr6_vgpr7
	s_and_saveexec_b64 s[10:11], vcc
	s_cbranch_execz .LBB501_31
; %bb.30:
	v_lshlrev_b32_e32 v6, 3, v8
	global_load_dwordx2 v[6:7], v6, s[0:1]
.LBB501_31:
	s_or_b64 exec, exec, s[10:11]
	v_or_b32_e32 v10, 0x600, v0
	v_cmp_gt_u32_e32 vcc, s54, v10
                                        ; implicit-def: $vgpr8_vgpr9
	s_and_saveexec_b64 s[10:11], vcc
	s_cbranch_execz .LBB501_33
; %bb.32:
	v_lshlrev_b32_e32 v8, 3, v10
	global_load_dwordx2 v[8:9], v8, s[0:1]
.LBB501_33:
	s_or_b64 exec, exec, s[10:11]
	v_or_b32_e32 v12, 0x800, v0
	v_cmp_gt_u32_e32 vcc, s54, v12
                                        ; implicit-def: $vgpr10_vgpr11
	s_and_saveexec_b64 s[10:11], vcc
	s_cbranch_execz .LBB501_35
; %bb.34:
	v_lshlrev_b32_e32 v10, 3, v12
	global_load_dwordx2 v[10:11], v10, s[0:1]
.LBB501_35:
	s_or_b64 exec, exec, s[10:11]
	v_or_b32_e32 v26, 0xa00, v0
	v_cmp_gt_u32_e32 vcc, s54, v26
                                        ; implicit-def: $vgpr12_vgpr13
	s_and_saveexec_b64 s[10:11], vcc
	s_cbranch_execz .LBB501_37
; %bb.36:
	v_lshlrev_b32_e32 v12, 3, v26
	global_load_dwordx2 v[12:13], v12, s[0:1]
.LBB501_37:
	s_or_b64 exec, exec, s[10:11]
	v_or_b32_e32 v30, 0xc00, v0
	v_cmp_gt_u32_e32 vcc, s54, v30
                                        ; implicit-def: $vgpr26_vgpr27
	s_and_saveexec_b64 s[10:11], vcc
	s_cbranch_execz .LBB501_39
; %bb.38:
	v_lshlrev_b32_e32 v26, 3, v30
	global_load_dwordx2 v[26:27], v26, s[0:1]
.LBB501_39:
	s_or_b64 exec, exec, s[10:11]
	s_movk_i32 s0, 0xffd0
	v_mad_i32_i24 v30, v0, s0, v46
	s_waitcnt vmcnt(0)
	ds_write2st64_b64 v30, v[2:3], v[4:5] offset1:8
	ds_write2st64_b64 v30, v[6:7], v[8:9] offset0:16 offset1:24
	ds_write2st64_b64 v30, v[10:11], v[12:13] offset0:32 offset1:40
	ds_write_b64 v30, v[26:27] offset:24576
	s_waitcnt lgkmcnt(0)
	s_barrier
.LBB501_40:
	ds_read2_b64 v[10:13], v46 offset1:1
	ds_read2_b64 v[6:9], v46 offset0:2 offset1:3
	ds_read2_b64 v[2:5], v46 offset0:4 offset1:5
	ds_read_b64 v[26:27], v46 offset:48
	s_cmp_lg_u32 s33, 0
	s_cselect_b64 s[0:1], -1, 0
	s_cmp_lg_u64 s[6:7], 0
	s_cselect_b64 s[6:7], -1, 0
	s_or_b64 s[6:7], s[6:7], s[0:1]
	v_add_u32_e32 v43, 1, v1
	v_add_u32_e32 v40, 2, v1
	;; [unrolled: 1-line block ×6, first 2 shown]
	s_mov_b64 s[10:11], 0
	s_and_b64 vcc, exec, s[6:7]
	v_cmp_gt_i64_e64 s[12:13], s[26:27], 0
	s_waitcnt lgkmcnt(0)
	s_barrier
	s_cbranch_vccz .LBB501_49
; %bb.41:
	v_mov_b32_e32 v30, 0
	global_load_dwordx2 v[30:31], v30, s[4:5] offset:-8
	v_cndmask_b32_e64 v32, 0, 1, s[12:13]
	v_lshlrev_b32_e32 v47, 3, v0
	s_mov_b64 s[6:7], 0
	s_and_b64 vcc, exec, s[34:35]
	v_cmp_ne_u32_e64 s[4:5], 1, v32
	ds_write_b64 v47, v[28:29]
	s_cbranch_vccz .LBB501_51
; %bb.42:
	v_mul_lo_u32 v34, v17, s26
	v_mul_lo_u32 v35, v16, s27
	v_mad_u64_u32 v[32:33], s[10:11], v16, s26, 0
	v_add3_u32 v33, v33, v35, v34
	s_and_b64 vcc, exec, s[4:5]
	v_lshl_add_u64 v[32:33], v[32:33], 2, s[36:37]
	s_cbranch_vccnz .LBB501_54
; %bb.43:
	v_mul_lo_u32 v36, v29, s26
	v_mul_lo_u32 v37, v28, s27
	v_mad_u64_u32 v[34:35], s[6:7], v28, s26, 0
	v_add3_u32 v35, v35, v37, v36
	v_lshl_add_u64 v[34:35], v[34:35], 2, s[36:37]
	global_load_dword v36, v[32:33], off
	global_load_dword v37, v[34:35], off
	s_mov_b64 s[6:7], -1
	s_waitcnt vmcnt(0)
	v_cmp_eq_u32_e32 vcc, v36, v37
	s_and_saveexec_b64 s[10:11], vcc
	s_cbranch_execz .LBB501_53
; %bb.44:
	s_add_u32 s6, s26, -1
	v_lshl_add_u64 v[34:35], v[34:35], 0, 4
	v_lshl_add_u64 v[36:37], v[32:33], 0, 4
	s_addc_u32 s7, s27, -1
	s_mov_b64 s[12:13], 0
	s_mov_b64 s[16:17], 0
                                        ; implicit-def: $sgpr14_sgpr15
	s_branch .LBB501_47
.LBB501_45:                             ;   in Loop: Header=BB501_47 Depth=1
	global_load_dword v38, v[36:37], off
	global_load_dword v39, v[34:35], off
	s_add_u32 s16, s16, 1
	s_addc_u32 s17, s17, 0
	s_andn2_b64 s[14:15], s[14:15], exec
	v_lshl_add_u64 v[34:35], v[34:35], 0, 4
	v_lshl_add_u64 v[36:37], v[36:37], 0, 4
	s_waitcnt vmcnt(0)
	v_cmp_ne_u32_e32 vcc, v38, v39
	s_and_b64 s[40:41], vcc, exec
	s_or_b64 s[14:15], s[14:15], s[40:41]
.LBB501_46:                             ;   in Loop: Header=BB501_47 Depth=1
	s_and_b64 s[40:41], exec, s[14:15]
	s_or_b64 s[12:13], s[40:41], s[12:13]
	v_mov_b64_e32 v[38:39], s[16:17]
	s_andn2_b64 exec, exec, s[12:13]
	s_cbranch_execz .LBB501_52
.LBB501_47:                             ; =>This Inner Loop Header: Depth=1
	s_or_b64 s[14:15], s[14:15], exec
	s_cmp_eq_u64 s[6:7], s[16:17]
	s_cbranch_scc0 .LBB501_45
; %bb.48:                               ;   in Loop: Header=BB501_47 Depth=1
                                        ; implicit-def: $vgpr34_vgpr35
                                        ; implicit-def: $vgpr36_vgpr37
	s_mov_b64 s[16:17], s[26:27]
	s_branch .LBB501_46
.LBB501_49:
                                        ; implicit-def: $sgpr14_sgpr15
                                        ; implicit-def: $vgpr49
                                        ; implicit-def: $vgpr48
                                        ; implicit-def: $vgpr39
                                        ; implicit-def: $vgpr34
	s_branch .LBB501_192
.LBB501_50:
                                        ; implicit-def: $vgpr30_vgpr31
	s_branch .LBB501_340
.LBB501_51:
                                        ; implicit-def: $sgpr14_sgpr15
                                        ; implicit-def: $vgpr49
                                        ; implicit-def: $vgpr48
                                        ; implicit-def: $vgpr39
                                        ; implicit-def: $vgpr34
	s_cbranch_execnz .LBB501_111
	s_branch .LBB501_191
.LBB501_52:
	s_or_b64 exec, exec, s[12:13]
	v_cmp_gt_i64_e32 vcc, s[26:27], v[38:39]
	s_orn2_b64 s[6:7], vcc, exec
.LBB501_53:
	s_or_b64 exec, exec, s[10:11]
.LBB501_54:
	v_mul_lo_u32 v36, v15, s26
	v_mul_lo_u32 v37, v14, s27
	v_mad_u64_u32 v[34:35], s[10:11], v14, s26, 0
	v_add3_u32 v35, v35, v37, v36
	s_mov_b64 s[10:11], 0
	s_and_b64 vcc, exec, s[4:5]
	v_lshl_add_u64 v[34:35], v[34:35], 2, s[36:37]
	s_mov_b64 s[12:13], 0
	s_cbranch_vccnz .LBB501_63
; %bb.55:
	global_load_dword v36, v[34:35], off
	global_load_dword v37, v[32:33], off
	s_mov_b64 s[12:13], -1
	s_waitcnt vmcnt(0)
	v_cmp_eq_u32_e32 vcc, v36, v37
	s_and_saveexec_b64 s[14:15], vcc
	s_cbranch_execz .LBB501_62
; %bb.56:
	s_add_u32 s12, s26, -1
	v_lshl_add_u64 v[32:33], v[32:33], 0, 4
	v_lshl_add_u64 v[36:37], v[34:35], 0, 4
	s_addc_u32 s13, s27, -1
	s_mov_b64 s[16:17], 0
	s_mov_b64 s[42:43], 0
                                        ; implicit-def: $sgpr40_sgpr41
	s_branch .LBB501_59
.LBB501_57:                             ;   in Loop: Header=BB501_59 Depth=1
	global_load_dword v38, v[36:37], off
	global_load_dword v39, v[32:33], off
	s_add_u32 s42, s42, 1
	s_addc_u32 s43, s43, 0
	s_andn2_b64 s[40:41], s[40:41], exec
	v_lshl_add_u64 v[32:33], v[32:33], 0, 4
	v_lshl_add_u64 v[36:37], v[36:37], 0, 4
	s_waitcnt vmcnt(0)
	v_cmp_ne_u32_e32 vcc, v38, v39
	s_and_b64 s[44:45], vcc, exec
	s_or_b64 s[40:41], s[40:41], s[44:45]
.LBB501_58:                             ;   in Loop: Header=BB501_59 Depth=1
	s_and_b64 s[44:45], exec, s[40:41]
	s_or_b64 s[16:17], s[44:45], s[16:17]
	v_mov_b64_e32 v[38:39], s[42:43]
	s_andn2_b64 exec, exec, s[16:17]
	s_cbranch_execz .LBB501_61
.LBB501_59:                             ; =>This Inner Loop Header: Depth=1
	s_or_b64 s[40:41], s[40:41], exec
	s_cmp_eq_u64 s[12:13], s[42:43]
	s_cbranch_scc0 .LBB501_57
; %bb.60:                               ;   in Loop: Header=BB501_59 Depth=1
                                        ; implicit-def: $vgpr32_vgpr33
                                        ; implicit-def: $vgpr36_vgpr37
	s_mov_b64 s[42:43], s[26:27]
	s_branch .LBB501_58
.LBB501_61:
	s_or_b64 exec, exec, s[16:17]
	v_cmp_gt_i64_e32 vcc, s[26:27], v[38:39]
	s_orn2_b64 s[12:13], vcc, exec
.LBB501_62:
	s_or_b64 exec, exec, s[14:15]
.LBB501_63:
	v_mul_lo_u32 v36, v21, s26
	v_mul_lo_u32 v37, v20, s27
	v_mad_u64_u32 v[32:33], s[14:15], v20, s26, 0
	v_add3_u32 v33, v33, v37, v36
	s_and_b64 vcc, exec, s[4:5]
	v_lshl_add_u64 v[32:33], v[32:33], 2, s[36:37]
	s_cbranch_vccnz .LBB501_72
; %bb.64:
	global_load_dword v36, v[32:33], off
	global_load_dword v37, v[34:35], off
	s_mov_b64 s[10:11], -1
	s_waitcnt vmcnt(0)
	v_cmp_eq_u32_e32 vcc, v36, v37
	s_and_saveexec_b64 s[14:15], vcc
	s_cbranch_execz .LBB501_71
; %bb.65:
	s_add_u32 s10, s26, -1
	v_lshl_add_u64 v[34:35], v[34:35], 0, 4
	v_lshl_add_u64 v[36:37], v[32:33], 0, 4
	s_addc_u32 s11, s27, -1
	s_mov_b64 s[16:17], 0
	s_mov_b64 s[42:43], 0
                                        ; implicit-def: $sgpr40_sgpr41
	s_branch .LBB501_68
.LBB501_66:                             ;   in Loop: Header=BB501_68 Depth=1
	global_load_dword v38, v[36:37], off
	global_load_dword v39, v[34:35], off
	s_add_u32 s42, s42, 1
	s_addc_u32 s43, s43, 0
	s_andn2_b64 s[40:41], s[40:41], exec
	v_lshl_add_u64 v[34:35], v[34:35], 0, 4
	v_lshl_add_u64 v[36:37], v[36:37], 0, 4
	s_waitcnt vmcnt(0)
	v_cmp_ne_u32_e32 vcc, v38, v39
	s_and_b64 s[44:45], vcc, exec
	s_or_b64 s[40:41], s[40:41], s[44:45]
.LBB501_67:                             ;   in Loop: Header=BB501_68 Depth=1
	s_and_b64 s[44:45], exec, s[40:41]
	s_or_b64 s[16:17], s[44:45], s[16:17]
	v_mov_b64_e32 v[38:39], s[42:43]
	s_andn2_b64 exec, exec, s[16:17]
	s_cbranch_execz .LBB501_70
.LBB501_68:                             ; =>This Inner Loop Header: Depth=1
	s_or_b64 s[40:41], s[40:41], exec
	s_cmp_eq_u64 s[10:11], s[42:43]
	s_cbranch_scc0 .LBB501_66
; %bb.69:                               ;   in Loop: Header=BB501_68 Depth=1
                                        ; implicit-def: $vgpr34_vgpr35
                                        ; implicit-def: $vgpr36_vgpr37
	s_mov_b64 s[42:43], s[26:27]
	s_branch .LBB501_67
.LBB501_70:
	s_or_b64 exec, exec, s[16:17]
	v_cmp_gt_i64_e32 vcc, s[26:27], v[38:39]
	s_orn2_b64 s[10:11], vcc, exec
.LBB501_71:
	s_or_b64 exec, exec, s[14:15]
.LBB501_72:
	v_mul_lo_u32 v36, v19, s26
	v_mul_lo_u32 v37, v18, s27
	v_mad_u64_u32 v[34:35], s[14:15], v18, s26, 0
	v_add3_u32 v35, v35, v37, v36
	s_mov_b64 s[14:15], 0
	s_and_b64 vcc, exec, s[4:5]
	v_lshl_add_u64 v[36:37], v[34:35], 2, s[36:37]
	s_mov_b64 s[16:17], 0
	s_cbranch_vccnz .LBB501_81
; %bb.73:
	global_load_dword v34, v[36:37], off
	global_load_dword v35, v[32:33], off
	s_mov_b64 s[16:17], -1
	s_waitcnt vmcnt(0)
	v_cmp_eq_u32_e32 vcc, v34, v35
	s_and_saveexec_b64 s[40:41], vcc
	s_cbranch_execz .LBB501_80
; %bb.74:
	s_add_u32 s16, s26, -1
	v_lshl_add_u64 v[32:33], v[32:33], 0, 4
	v_lshl_add_u64 v[34:35], v[36:37], 0, 4
	s_addc_u32 s17, s27, -1
	s_mov_b64 s[42:43], 0
	s_mov_b64 s[46:47], 0
                                        ; implicit-def: $sgpr44_sgpr45
	s_branch .LBB501_77
.LBB501_75:                             ;   in Loop: Header=BB501_77 Depth=1
	global_load_dword v38, v[34:35], off
	global_load_dword v39, v[32:33], off
	s_add_u32 s46, s46, 1
	s_addc_u32 s47, s47, 0
	s_andn2_b64 s[44:45], s[44:45], exec
	v_lshl_add_u64 v[32:33], v[32:33], 0, 4
	v_lshl_add_u64 v[34:35], v[34:35], 0, 4
	s_waitcnt vmcnt(0)
	v_cmp_ne_u32_e32 vcc, v38, v39
	s_and_b64 s[48:49], vcc, exec
	s_or_b64 s[44:45], s[44:45], s[48:49]
.LBB501_76:                             ;   in Loop: Header=BB501_77 Depth=1
	s_and_b64 s[48:49], exec, s[44:45]
	s_or_b64 s[42:43], s[48:49], s[42:43]
	v_mov_b64_e32 v[38:39], s[46:47]
	s_andn2_b64 exec, exec, s[42:43]
	s_cbranch_execz .LBB501_79
.LBB501_77:                             ; =>This Inner Loop Header: Depth=1
	s_or_b64 s[44:45], s[44:45], exec
	s_cmp_eq_u64 s[16:17], s[46:47]
	s_cbranch_scc0 .LBB501_75
; %bb.78:                               ;   in Loop: Header=BB501_77 Depth=1
                                        ; implicit-def: $vgpr32_vgpr33
                                        ; implicit-def: $vgpr34_vgpr35
	s_mov_b64 s[46:47], s[26:27]
	s_branch .LBB501_76
.LBB501_79:
	s_or_b64 exec, exec, s[42:43]
	v_cmp_gt_i64_e32 vcc, s[26:27], v[38:39]
	s_orn2_b64 s[16:17], vcc, exec
.LBB501_80:
	s_or_b64 exec, exec, s[40:41]
.LBB501_81:
	v_mul_lo_u32 v34, v25, s26
	v_mul_lo_u32 v35, v24, s27
	v_mad_u64_u32 v[32:33], s[40:41], v24, s26, 0
	v_add3_u32 v33, v33, v35, v34
	s_and_b64 vcc, exec, s[4:5]
	v_lshl_add_u64 v[34:35], v[32:33], 2, s[36:37]
	s_cbranch_vccnz .LBB501_90
; %bb.82:
	global_load_dword v32, v[34:35], off
	global_load_dword v33, v[36:37], off
	s_mov_b64 s[14:15], -1
	s_waitcnt vmcnt(0)
	v_cmp_eq_u32_e32 vcc, v32, v33
	s_and_saveexec_b64 s[40:41], vcc
	s_cbranch_execz .LBB501_89
; %bb.83:
	s_add_u32 s14, s26, -1
	v_lshl_add_u64 v[32:33], v[36:37], 0, 4
	v_lshl_add_u64 v[36:37], v[34:35], 0, 4
	s_addc_u32 s15, s27, -1
	s_mov_b64 s[42:43], 0
	s_mov_b64 s[46:47], 0
                                        ; implicit-def: $sgpr44_sgpr45
	s_branch .LBB501_86
.LBB501_84:                             ;   in Loop: Header=BB501_86 Depth=1
	global_load_dword v38, v[36:37], off
	global_load_dword v39, v[32:33], off
	s_add_u32 s46, s46, 1
	s_addc_u32 s47, s47, 0
	s_andn2_b64 s[44:45], s[44:45], exec
	v_lshl_add_u64 v[32:33], v[32:33], 0, 4
	v_lshl_add_u64 v[36:37], v[36:37], 0, 4
	s_waitcnt vmcnt(0)
	v_cmp_ne_u32_e32 vcc, v38, v39
	s_and_b64 s[48:49], vcc, exec
	s_or_b64 s[44:45], s[44:45], s[48:49]
.LBB501_85:                             ;   in Loop: Header=BB501_86 Depth=1
	s_and_b64 s[48:49], exec, s[44:45]
	s_or_b64 s[42:43], s[48:49], s[42:43]
	v_mov_b64_e32 v[38:39], s[46:47]
	s_andn2_b64 exec, exec, s[42:43]
	s_cbranch_execz .LBB501_88
.LBB501_86:                             ; =>This Inner Loop Header: Depth=1
	s_or_b64 s[44:45], s[44:45], exec
	s_cmp_eq_u64 s[14:15], s[46:47]
	s_cbranch_scc0 .LBB501_84
; %bb.87:                               ;   in Loop: Header=BB501_86 Depth=1
                                        ; implicit-def: $vgpr32_vgpr33
                                        ; implicit-def: $vgpr36_vgpr37
	s_mov_b64 s[46:47], s[26:27]
	s_branch .LBB501_85
.LBB501_88:
	s_or_b64 exec, exec, s[42:43]
	v_cmp_gt_i64_e32 vcc, s[26:27], v[38:39]
	s_orn2_b64 s[14:15], vcc, exec
.LBB501_89:
	s_or_b64 exec, exec, s[40:41]
.LBB501_90:
	v_mul_lo_u32 v36, v23, s26
	v_mul_lo_u32 v37, v22, s27
	v_mad_u64_u32 v[32:33], s[40:41], v22, s26, 0
	v_add3_u32 v33, v33, v37, v36
	s_mov_b64 s[42:43], 0
	s_and_b64 vcc, exec, s[4:5]
	v_lshl_add_u64 v[32:33], v[32:33], 2, s[36:37]
	s_cbranch_vccnz .LBB501_99
; %bb.91:
	global_load_dword v36, v[32:33], off
	global_load_dword v37, v[34:35], off
	s_mov_b64 s[42:43], -1
	s_waitcnt vmcnt(0)
	v_cmp_eq_u32_e32 vcc, v36, v37
	s_and_saveexec_b64 s[40:41], vcc
	s_cbranch_execz .LBB501_98
; %bb.92:
	s_add_u32 s42, s26, -1
	v_lshl_add_u64 v[34:35], v[34:35], 0, 4
	v_lshl_add_u64 v[36:37], v[32:33], 0, 4
	s_addc_u32 s43, s27, -1
	s_mov_b64 s[44:45], 0
	s_mov_b64 s[48:49], 0
                                        ; implicit-def: $sgpr46_sgpr47
	s_branch .LBB501_95
.LBB501_93:                             ;   in Loop: Header=BB501_95 Depth=1
	global_load_dword v38, v[36:37], off
	global_load_dword v39, v[34:35], off
	s_add_u32 s48, s48, 1
	s_addc_u32 s49, s49, 0
	s_andn2_b64 s[46:47], s[46:47], exec
	v_lshl_add_u64 v[34:35], v[34:35], 0, 4
	v_lshl_add_u64 v[36:37], v[36:37], 0, 4
	s_waitcnt vmcnt(0)
	v_cmp_ne_u32_e32 vcc, v38, v39
	s_and_b64 s[50:51], vcc, exec
	s_or_b64 s[46:47], s[46:47], s[50:51]
.LBB501_94:                             ;   in Loop: Header=BB501_95 Depth=1
	s_and_b64 s[50:51], exec, s[46:47]
	s_or_b64 s[44:45], s[50:51], s[44:45]
	v_mov_b64_e32 v[38:39], s[48:49]
	s_andn2_b64 exec, exec, s[44:45]
	s_cbranch_execz .LBB501_97
.LBB501_95:                             ; =>This Inner Loop Header: Depth=1
	s_or_b64 s[46:47], s[46:47], exec
	s_cmp_eq_u64 s[42:43], s[48:49]
	s_cbranch_scc0 .LBB501_93
; %bb.96:                               ;   in Loop: Header=BB501_95 Depth=1
                                        ; implicit-def: $vgpr34_vgpr35
                                        ; implicit-def: $vgpr36_vgpr37
	s_mov_b64 s[48:49], s[26:27]
	s_branch .LBB501_94
.LBB501_97:
	s_or_b64 exec, exec, s[44:45]
	v_cmp_gt_i64_e32 vcc, s[26:27], v[38:39]
	s_orn2_b64 s[42:43], vcc, exec
.LBB501_98:
	s_or_b64 exec, exec, s[40:41]
.LBB501_99:
	s_waitcnt vmcnt(0)
	v_mov_b64_e32 v[34:35], v[30:31]
	s_waitcnt lgkmcnt(0)
	s_barrier
	s_and_saveexec_b64 s[40:41], s[2:3]
	s_cbranch_execz .LBB501_101
; %bb.100:
	v_add_u32_e32 v34, -8, v47
	ds_read_b64 v[34:35], v34
.LBB501_101:
	s_or_b64 exec, exec, s[40:41]
	v_cndmask_b32_e64 v37, 0, 1, s[16:17]
	v_cndmask_b32_e64 v36, 0, 1, s[14:15]
	;; [unrolled: 1-line block ×3, first 2 shown]
	v_lshlrev_b16_e32 v37, 8, v37
	v_lshlrev_b16_e32 v38, 8, v38
	v_or_b32_sdwa v50, v36, v37 dst_sel:WORD_1 dst_unused:UNUSED_PAD src0_sel:DWORD src1_sel:DWORD
	s_mov_b64 s[16:17], 0
	s_and_b64 vcc, exec, s[4:5]
	s_mov_b64 s[14:15], 0
	s_cbranch_vccnz .LBB501_110
; %bb.102:
	s_waitcnt lgkmcnt(0)
	v_mul_lo_u32 v36, v35, s26
	v_mul_lo_u32 v37, v34, s27
	v_mad_u64_u32 v[34:35], s[14:15], v34, s26, 0
	v_add3_u32 v35, v35, v37, v36
	v_lshl_add_u64 v[34:35], v[34:35], 2, s[36:37]
	global_load_dword v36, v[34:35], off
	global_load_dword v37, v[32:33], off
	s_mov_b64 s[14:15], -1
	s_waitcnt vmcnt(0)
	v_cmp_eq_u32_e32 vcc, v36, v37
	s_and_saveexec_b64 s[40:41], vcc
	s_cbranch_execz .LBB501_109
; %bb.103:
	s_add_u32 s14, s26, -1
	v_lshl_add_u64 v[32:33], v[32:33], 0, 4
	v_lshl_add_u64 v[34:35], v[34:35], 0, 4
	s_addc_u32 s15, s27, -1
	s_mov_b64 s[42:43], 0
	s_mov_b64 s[46:47], 0
                                        ; implicit-def: $sgpr44_sgpr45
	s_branch .LBB501_106
.LBB501_104:                            ;   in Loop: Header=BB501_106 Depth=1
	global_load_dword v36, v[34:35], off
	global_load_dword v37, v[32:33], off
	s_add_u32 s46, s46, 1
	s_addc_u32 s47, s47, 0
	s_andn2_b64 s[44:45], s[44:45], exec
	v_lshl_add_u64 v[32:33], v[32:33], 0, 4
	v_lshl_add_u64 v[34:35], v[34:35], 0, 4
	s_waitcnt vmcnt(0)
	v_cmp_ne_u32_e32 vcc, v36, v37
	s_and_b64 s[48:49], vcc, exec
	s_or_b64 s[44:45], s[44:45], s[48:49]
.LBB501_105:                            ;   in Loop: Header=BB501_106 Depth=1
	s_and_b64 s[48:49], exec, s[44:45]
	s_or_b64 s[42:43], s[48:49], s[42:43]
	v_mov_b64_e32 v[36:37], s[46:47]
	s_andn2_b64 exec, exec, s[42:43]
	s_cbranch_execz .LBB501_108
.LBB501_106:                            ; =>This Inner Loop Header: Depth=1
	s_or_b64 s[44:45], s[44:45], exec
	s_cmp_eq_u64 s[14:15], s[46:47]
	s_cbranch_scc0 .LBB501_104
; %bb.107:                              ;   in Loop: Header=BB501_106 Depth=1
                                        ; implicit-def: $vgpr32_vgpr33
                                        ; implicit-def: $vgpr34_vgpr35
	s_mov_b64 s[46:47], s[26:27]
	s_branch .LBB501_105
.LBB501_108:
	s_or_b64 exec, exec, s[42:43]
	v_cmp_gt_i64_e32 vcc, s[26:27], v[36:37]
	s_orn2_b64 s[14:15], vcc, exec
.LBB501_109:
	s_or_b64 exec, exec, s[40:41]
.LBB501_110:
	v_cndmask_b32_e64 v39, 0, 1, s[10:11]
	v_cndmask_b32_e64 v48, 0, 1, s[12:13]
	;; [unrolled: 1-line block ×3, first 2 shown]
	s_waitcnt lgkmcnt(0)
	v_or_b32_e32 v34, v38, v50
	s_and_b64 vcc, exec, s[16:17]
	s_cbranch_vccz .LBB501_191
.LBB501_111:
	v_cmp_gt_u32_e32 vcc, s54, v42
	s_mov_b64 s[10:11], 0
	s_mov_b64 s[6:7], 0
	s_and_saveexec_b64 s[12:13], vcc
	s_cbranch_execz .LBB501_122
; %bb.112:
	s_and_b64 vcc, exec, s[4:5]
	s_mov_b64 s[14:15], 0
	s_cbranch_vccnz .LBB501_121
; %bb.113:
	v_mul_lo_u32 v34, v17, s26
	v_mul_lo_u32 v35, v16, s27
	v_mad_u64_u32 v[32:33], s[6:7], v16, s26, 0
	v_add3_u32 v33, v33, v35, v34
	v_mul_lo_u32 v34, v29, s26
	v_mul_lo_u32 v35, v28, s27
	v_mad_u64_u32 v[36:37], s[6:7], v28, s26, 0
	v_add3_u32 v37, v37, v35, v34
	v_lshl_add_u64 v[34:35], v[32:33], 2, s[36:37]
	v_lshl_add_u64 v[32:33], v[36:37], 2, s[36:37]
	global_load_dword v36, v[34:35], off
	global_load_dword v37, v[32:33], off
	s_mov_b64 s[14:15], -1
	s_waitcnt vmcnt(0)
	v_cmp_eq_u32_e32 vcc, v36, v37
	s_and_saveexec_b64 s[6:7], vcc
	s_cbranch_execz .LBB501_120
; %bb.114:
	s_add_u32 s14, s26, -1
	v_lshl_add_u64 v[32:33], v[32:33], 0, 4
	v_lshl_add_u64 v[34:35], v[34:35], 0, 4
	s_addc_u32 s15, s27, -1
	s_mov_b64 s[16:17], 0
	s_mov_b64 s[42:43], 0
                                        ; implicit-def: $sgpr40_sgpr41
	s_branch .LBB501_117
.LBB501_115:                            ;   in Loop: Header=BB501_117 Depth=1
	global_load_dword v36, v[34:35], off
	global_load_dword v37, v[32:33], off
	s_add_u32 s42, s42, 1
	s_addc_u32 s43, s43, 0
	s_andn2_b64 s[40:41], s[40:41], exec
	v_lshl_add_u64 v[32:33], v[32:33], 0, 4
	v_lshl_add_u64 v[34:35], v[34:35], 0, 4
	s_waitcnt vmcnt(0)
	v_cmp_ne_u32_e32 vcc, v36, v37
	s_and_b64 s[44:45], vcc, exec
	s_or_b64 s[40:41], s[40:41], s[44:45]
.LBB501_116:                            ;   in Loop: Header=BB501_117 Depth=1
	s_and_b64 s[44:45], exec, s[40:41]
	s_or_b64 s[16:17], s[44:45], s[16:17]
	v_mov_b64_e32 v[36:37], s[42:43]
	s_andn2_b64 exec, exec, s[16:17]
	s_cbranch_execz .LBB501_119
.LBB501_117:                            ; =>This Inner Loop Header: Depth=1
	s_or_b64 s[40:41], s[40:41], exec
	s_cmp_eq_u64 s[14:15], s[42:43]
	s_cbranch_scc0 .LBB501_115
; %bb.118:                              ;   in Loop: Header=BB501_117 Depth=1
                                        ; implicit-def: $vgpr32_vgpr33
                                        ; implicit-def: $vgpr34_vgpr35
	s_mov_b64 s[42:43], s[26:27]
	s_branch .LBB501_116
.LBB501_119:
	s_or_b64 exec, exec, s[16:17]
	v_cmp_gt_i64_e32 vcc, s[26:27], v[36:37]
	s_orn2_b64 s[14:15], vcc, exec
.LBB501_120:
	s_or_b64 exec, exec, s[6:7]
.LBB501_121:
	s_and_b64 s[6:7], s[14:15], exec
.LBB501_122:
	s_or_b64 exec, exec, s[12:13]
	v_cmp_gt_u32_e32 vcc, s54, v45
	s_and_saveexec_b64 s[12:13], vcc
	s_cbranch_execz .LBB501_133
; %bb.123:
	s_and_b64 vcc, exec, s[4:5]
	s_mov_b64 s[14:15], 0
	s_cbranch_vccnz .LBB501_132
; %bb.124:
	v_mul_lo_u32 v34, v15, s26
	v_mul_lo_u32 v35, v14, s27
	v_mad_u64_u32 v[32:33], s[10:11], v14, s26, 0
	v_add3_u32 v33, v33, v35, v34
	v_mul_lo_u32 v34, v17, s26
	v_mul_lo_u32 v35, v16, s27
	v_mad_u64_u32 v[36:37], s[10:11], v16, s26, 0
	v_add3_u32 v37, v37, v35, v34
	v_lshl_add_u64 v[34:35], v[32:33], 2, s[36:37]
	v_lshl_add_u64 v[32:33], v[36:37], 2, s[36:37]
	global_load_dword v36, v[34:35], off
	global_load_dword v37, v[32:33], off
	s_mov_b64 s[14:15], -1
	s_waitcnt vmcnt(0)
	v_cmp_eq_u32_e32 vcc, v36, v37
	s_and_saveexec_b64 s[10:11], vcc
	s_cbranch_execz .LBB501_131
; %bb.125:
	s_add_u32 s14, s26, -1
	v_lshl_add_u64 v[32:33], v[32:33], 0, 4
	v_lshl_add_u64 v[34:35], v[34:35], 0, 4
	s_addc_u32 s15, s27, -1
	s_mov_b64 s[16:17], 0
	s_mov_b64 s[42:43], 0
                                        ; implicit-def: $sgpr40_sgpr41
	s_branch .LBB501_128
.LBB501_126:                            ;   in Loop: Header=BB501_128 Depth=1
	global_load_dword v36, v[34:35], off
	global_load_dword v37, v[32:33], off
	s_add_u32 s42, s42, 1
	s_addc_u32 s43, s43, 0
	s_andn2_b64 s[40:41], s[40:41], exec
	v_lshl_add_u64 v[32:33], v[32:33], 0, 4
	v_lshl_add_u64 v[34:35], v[34:35], 0, 4
	s_waitcnt vmcnt(0)
	v_cmp_ne_u32_e32 vcc, v36, v37
	s_and_b64 s[44:45], vcc, exec
	s_or_b64 s[40:41], s[40:41], s[44:45]
.LBB501_127:                            ;   in Loop: Header=BB501_128 Depth=1
	s_and_b64 s[44:45], exec, s[40:41]
	s_or_b64 s[16:17], s[44:45], s[16:17]
	v_mov_b64_e32 v[36:37], s[42:43]
	s_andn2_b64 exec, exec, s[16:17]
	s_cbranch_execz .LBB501_130
.LBB501_128:                            ; =>This Inner Loop Header: Depth=1
	s_or_b64 s[40:41], s[40:41], exec
	s_cmp_eq_u64 s[14:15], s[42:43]
	s_cbranch_scc0 .LBB501_126
; %bb.129:                              ;   in Loop: Header=BB501_128 Depth=1
                                        ; implicit-def: $vgpr32_vgpr33
                                        ; implicit-def: $vgpr34_vgpr35
	s_mov_b64 s[42:43], s[26:27]
	s_branch .LBB501_127
.LBB501_130:
	s_or_b64 exec, exec, s[16:17]
	v_cmp_gt_i64_e32 vcc, s[26:27], v[36:37]
	s_orn2_b64 s[14:15], vcc, exec
.LBB501_131:
	s_or_b64 exec, exec, s[10:11]
.LBB501_132:
	s_and_b64 s[10:11], s[14:15], exec
.LBB501_133:
	s_or_b64 exec, exec, s[12:13]
	v_cmp_gt_u32_e32 vcc, s54, v41
	s_mov_b64 s[14:15], 0
	s_mov_b64 s[12:13], 0
	s_and_saveexec_b64 s[16:17], vcc
	s_cbranch_execz .LBB501_144
; %bb.134:
	s_and_b64 vcc, exec, s[4:5]
	s_mov_b64 s[40:41], 0
	s_cbranch_vccnz .LBB501_143
; %bb.135:
	v_mul_lo_u32 v34, v21, s26
	v_mul_lo_u32 v35, v20, s27
	v_mad_u64_u32 v[32:33], s[12:13], v20, s26, 0
	v_add3_u32 v33, v33, v35, v34
	v_mul_lo_u32 v34, v15, s26
	v_mul_lo_u32 v35, v14, s27
	v_mad_u64_u32 v[36:37], s[12:13], v14, s26, 0
	v_add3_u32 v37, v37, v35, v34
	v_lshl_add_u64 v[34:35], v[32:33], 2, s[36:37]
	v_lshl_add_u64 v[32:33], v[36:37], 2, s[36:37]
	global_load_dword v36, v[34:35], off
	global_load_dword v37, v[32:33], off
	s_mov_b64 s[40:41], -1
	s_waitcnt vmcnt(0)
	v_cmp_eq_u32_e32 vcc, v36, v37
	s_and_saveexec_b64 s[12:13], vcc
	s_cbranch_execz .LBB501_142
; %bb.136:
	s_add_u32 s40, s26, -1
	v_lshl_add_u64 v[32:33], v[32:33], 0, 4
	v_lshl_add_u64 v[34:35], v[34:35], 0, 4
	s_addc_u32 s41, s27, -1
	s_mov_b64 s[42:43], 0
	s_mov_b64 s[46:47], 0
                                        ; implicit-def: $sgpr44_sgpr45
	s_branch .LBB501_139
.LBB501_137:                            ;   in Loop: Header=BB501_139 Depth=1
	global_load_dword v36, v[34:35], off
	global_load_dword v37, v[32:33], off
	s_add_u32 s46, s46, 1
	s_addc_u32 s47, s47, 0
	s_andn2_b64 s[44:45], s[44:45], exec
	v_lshl_add_u64 v[32:33], v[32:33], 0, 4
	v_lshl_add_u64 v[34:35], v[34:35], 0, 4
	s_waitcnt vmcnt(0)
	v_cmp_ne_u32_e32 vcc, v36, v37
	s_and_b64 s[48:49], vcc, exec
	s_or_b64 s[44:45], s[44:45], s[48:49]
.LBB501_138:                            ;   in Loop: Header=BB501_139 Depth=1
	s_and_b64 s[48:49], exec, s[44:45]
	s_or_b64 s[42:43], s[48:49], s[42:43]
	v_mov_b64_e32 v[36:37], s[46:47]
	s_andn2_b64 exec, exec, s[42:43]
	s_cbranch_execz .LBB501_141
.LBB501_139:                            ; =>This Inner Loop Header: Depth=1
	s_or_b64 s[44:45], s[44:45], exec
	s_cmp_eq_u64 s[40:41], s[46:47]
	s_cbranch_scc0 .LBB501_137
; %bb.140:                              ;   in Loop: Header=BB501_139 Depth=1
                                        ; implicit-def: $vgpr32_vgpr33
                                        ; implicit-def: $vgpr34_vgpr35
	s_mov_b64 s[46:47], s[26:27]
	s_branch .LBB501_138
.LBB501_141:
	s_or_b64 exec, exec, s[42:43]
	v_cmp_gt_i64_e32 vcc, s[26:27], v[36:37]
	s_orn2_b64 s[40:41], vcc, exec
.LBB501_142:
	s_or_b64 exec, exec, s[12:13]
.LBB501_143:
	s_and_b64 s[12:13], s[40:41], exec
.LBB501_144:
	s_or_b64 exec, exec, s[16:17]
	v_cmp_gt_u32_e32 vcc, s54, v44
	s_and_saveexec_b64 s[16:17], vcc
	s_cbranch_execz .LBB501_155
; %bb.145:
	s_and_b64 vcc, exec, s[4:5]
	s_mov_b64 s[40:41], 0
	s_cbranch_vccnz .LBB501_154
; %bb.146:
	v_mul_lo_u32 v34, v19, s26
	v_mul_lo_u32 v35, v18, s27
	v_mad_u64_u32 v[32:33], s[14:15], v18, s26, 0
	v_add3_u32 v33, v33, v35, v34
	v_mul_lo_u32 v34, v21, s26
	v_mul_lo_u32 v35, v20, s27
	v_mad_u64_u32 v[36:37], s[14:15], v20, s26, 0
	v_add3_u32 v37, v37, v35, v34
	v_lshl_add_u64 v[34:35], v[32:33], 2, s[36:37]
	v_lshl_add_u64 v[32:33], v[36:37], 2, s[36:37]
	global_load_dword v36, v[34:35], off
	global_load_dword v37, v[32:33], off
	s_mov_b64 s[40:41], -1
	s_waitcnt vmcnt(0)
	v_cmp_eq_u32_e32 vcc, v36, v37
	s_and_saveexec_b64 s[14:15], vcc
	s_cbranch_execz .LBB501_153
; %bb.147:
	s_add_u32 s40, s26, -1
	v_lshl_add_u64 v[32:33], v[32:33], 0, 4
	v_lshl_add_u64 v[34:35], v[34:35], 0, 4
	s_addc_u32 s41, s27, -1
	s_mov_b64 s[42:43], 0
	s_mov_b64 s[46:47], 0
                                        ; implicit-def: $sgpr44_sgpr45
	s_branch .LBB501_150
.LBB501_148:                            ;   in Loop: Header=BB501_150 Depth=1
	global_load_dword v36, v[34:35], off
	global_load_dword v37, v[32:33], off
	s_add_u32 s46, s46, 1
	s_addc_u32 s47, s47, 0
	s_andn2_b64 s[44:45], s[44:45], exec
	v_lshl_add_u64 v[32:33], v[32:33], 0, 4
	v_lshl_add_u64 v[34:35], v[34:35], 0, 4
	s_waitcnt vmcnt(0)
	v_cmp_ne_u32_e32 vcc, v36, v37
	s_and_b64 s[48:49], vcc, exec
	s_or_b64 s[44:45], s[44:45], s[48:49]
.LBB501_149:                            ;   in Loop: Header=BB501_150 Depth=1
	s_and_b64 s[48:49], exec, s[44:45]
	s_or_b64 s[42:43], s[48:49], s[42:43]
	v_mov_b64_e32 v[36:37], s[46:47]
	s_andn2_b64 exec, exec, s[42:43]
	s_cbranch_execz .LBB501_152
.LBB501_150:                            ; =>This Inner Loop Header: Depth=1
	s_or_b64 s[44:45], s[44:45], exec
	s_cmp_eq_u64 s[40:41], s[46:47]
	s_cbranch_scc0 .LBB501_148
; %bb.151:                              ;   in Loop: Header=BB501_150 Depth=1
                                        ; implicit-def: $vgpr32_vgpr33
                                        ; implicit-def: $vgpr34_vgpr35
	s_mov_b64 s[46:47], s[26:27]
	s_branch .LBB501_149
.LBB501_152:
	s_or_b64 exec, exec, s[42:43]
	v_cmp_gt_i64_e32 vcc, s[26:27], v[36:37]
	s_orn2_b64 s[40:41], vcc, exec
.LBB501_153:
	s_or_b64 exec, exec, s[14:15]
.LBB501_154:
	s_and_b64 s[14:15], s[40:41], exec
.LBB501_155:
	s_or_b64 exec, exec, s[16:17]
	v_cmp_gt_u32_e32 vcc, s54, v40
	s_mov_b64 s[16:17], 0
	s_mov_b64 s[40:41], 0
	s_and_saveexec_b64 s[42:43], vcc
	s_cbranch_execz .LBB501_166
; %bb.156:
	s_and_b64 vcc, exec, s[4:5]
	s_mov_b64 s[44:45], 0
	s_cbranch_vccnz .LBB501_165
; %bb.157:
	v_mul_lo_u32 v34, v25, s26
	v_mul_lo_u32 v35, v24, s27
	v_mad_u64_u32 v[32:33], s[40:41], v24, s26, 0
	v_add3_u32 v33, v33, v35, v34
	v_mul_lo_u32 v34, v19, s26
	v_mul_lo_u32 v35, v18, s27
	v_mad_u64_u32 v[36:37], s[40:41], v18, s26, 0
	v_add3_u32 v37, v37, v35, v34
	v_lshl_add_u64 v[34:35], v[32:33], 2, s[36:37]
	v_lshl_add_u64 v[32:33], v[36:37], 2, s[36:37]
	global_load_dword v36, v[34:35], off
	global_load_dword v37, v[32:33], off
	s_mov_b64 s[44:45], -1
	s_waitcnt vmcnt(0)
	v_cmp_eq_u32_e32 vcc, v36, v37
	s_and_saveexec_b64 s[40:41], vcc
	s_cbranch_execz .LBB501_164
; %bb.158:
	s_add_u32 s44, s26, -1
	v_lshl_add_u64 v[32:33], v[32:33], 0, 4
	v_lshl_add_u64 v[34:35], v[34:35], 0, 4
	s_addc_u32 s45, s27, -1
	s_mov_b64 s[46:47], 0
	s_mov_b64 s[50:51], 0
                                        ; implicit-def: $sgpr48_sgpr49
	s_branch .LBB501_161
.LBB501_159:                            ;   in Loop: Header=BB501_161 Depth=1
	global_load_dword v36, v[34:35], off
	global_load_dword v37, v[32:33], off
	s_add_u32 s50, s50, 1
	s_addc_u32 s51, s51, 0
	s_andn2_b64 s[48:49], s[48:49], exec
	v_lshl_add_u64 v[32:33], v[32:33], 0, 4
	v_lshl_add_u64 v[34:35], v[34:35], 0, 4
	s_waitcnt vmcnt(0)
	v_cmp_ne_u32_e32 vcc, v36, v37
	s_and_b64 s[52:53], vcc, exec
	s_or_b64 s[48:49], s[48:49], s[52:53]
.LBB501_160:                            ;   in Loop: Header=BB501_161 Depth=1
	s_and_b64 s[52:53], exec, s[48:49]
	s_or_b64 s[46:47], s[52:53], s[46:47]
	v_mov_b64_e32 v[36:37], s[50:51]
	s_andn2_b64 exec, exec, s[46:47]
	s_cbranch_execz .LBB501_163
.LBB501_161:                            ; =>This Inner Loop Header: Depth=1
	s_or_b64 s[48:49], s[48:49], exec
	s_cmp_eq_u64 s[44:45], s[50:51]
	s_cbranch_scc0 .LBB501_159
; %bb.162:                              ;   in Loop: Header=BB501_161 Depth=1
                                        ; implicit-def: $vgpr32_vgpr33
                                        ; implicit-def: $vgpr34_vgpr35
	s_mov_b64 s[50:51], s[26:27]
	s_branch .LBB501_160
.LBB501_163:
	s_or_b64 exec, exec, s[46:47]
	v_cmp_gt_i64_e32 vcc, s[26:27], v[36:37]
	s_orn2_b64 s[44:45], vcc, exec
.LBB501_164:
	s_or_b64 exec, exec, s[40:41]
.LBB501_165:
	s_and_b64 s[40:41], s[44:45], exec
.LBB501_166:
	s_or_b64 exec, exec, s[42:43]
	v_cmp_gt_u32_e32 vcc, s54, v43
	s_and_saveexec_b64 s[42:43], vcc
	s_cbranch_execz .LBB501_177
; %bb.167:
	s_and_b64 vcc, exec, s[4:5]
	s_mov_b64 s[44:45], 0
	s_cbranch_vccnz .LBB501_176
; %bb.168:
	v_mul_lo_u32 v34, v23, s26
	v_mul_lo_u32 v35, v22, s27
	v_mad_u64_u32 v[32:33], s[16:17], v22, s26, 0
	v_add3_u32 v33, v33, v35, v34
	v_mul_lo_u32 v34, v25, s26
	v_mul_lo_u32 v35, v24, s27
	v_mad_u64_u32 v[36:37], s[16:17], v24, s26, 0
	v_add3_u32 v37, v37, v35, v34
	v_lshl_add_u64 v[34:35], v[32:33], 2, s[36:37]
	v_lshl_add_u64 v[32:33], v[36:37], 2, s[36:37]
	global_load_dword v36, v[34:35], off
	global_load_dword v37, v[32:33], off
	s_mov_b64 s[44:45], -1
	s_waitcnt vmcnt(0)
	v_cmp_eq_u32_e32 vcc, v36, v37
	s_and_saveexec_b64 s[16:17], vcc
	s_cbranch_execz .LBB501_175
; %bb.169:
	s_add_u32 s44, s26, -1
	v_lshl_add_u64 v[32:33], v[32:33], 0, 4
	v_lshl_add_u64 v[34:35], v[34:35], 0, 4
	s_addc_u32 s45, s27, -1
	s_mov_b64 s[46:47], 0
	s_mov_b64 s[50:51], 0
                                        ; implicit-def: $sgpr48_sgpr49
	s_branch .LBB501_172
.LBB501_170:                            ;   in Loop: Header=BB501_172 Depth=1
	global_load_dword v36, v[34:35], off
	global_load_dword v37, v[32:33], off
	s_add_u32 s50, s50, 1
	s_addc_u32 s51, s51, 0
	s_andn2_b64 s[48:49], s[48:49], exec
	v_lshl_add_u64 v[32:33], v[32:33], 0, 4
	v_lshl_add_u64 v[34:35], v[34:35], 0, 4
	s_waitcnt vmcnt(0)
	v_cmp_ne_u32_e32 vcc, v36, v37
	s_and_b64 s[52:53], vcc, exec
	s_or_b64 s[48:49], s[48:49], s[52:53]
.LBB501_171:                            ;   in Loop: Header=BB501_172 Depth=1
	s_and_b64 s[52:53], exec, s[48:49]
	s_or_b64 s[46:47], s[52:53], s[46:47]
	v_mov_b64_e32 v[36:37], s[50:51]
	s_andn2_b64 exec, exec, s[46:47]
	s_cbranch_execz .LBB501_174
.LBB501_172:                            ; =>This Inner Loop Header: Depth=1
	s_or_b64 s[48:49], s[48:49], exec
	s_cmp_eq_u64 s[44:45], s[50:51]
	s_cbranch_scc0 .LBB501_170
; %bb.173:                              ;   in Loop: Header=BB501_172 Depth=1
                                        ; implicit-def: $vgpr32_vgpr33
                                        ; implicit-def: $vgpr34_vgpr35
	s_mov_b64 s[50:51], s[26:27]
	s_branch .LBB501_171
.LBB501_174:
	s_or_b64 exec, exec, s[46:47]
	v_cmp_gt_i64_e32 vcc, s[26:27], v[36:37]
	s_orn2_b64 s[44:45], vcc, exec
.LBB501_175:
	s_or_b64 exec, exec, s[16:17]
.LBB501_176:
	s_and_b64 s[16:17], s[44:45], exec
.LBB501_177:
	s_or_b64 exec, exec, s[42:43]
	s_waitcnt lgkmcnt(0)
	s_barrier
	s_and_saveexec_b64 s[42:43], s[2:3]
	s_cbranch_execz .LBB501_179
; %bb.178:
	s_waitcnt vmcnt(0)
	v_add_u32_e32 v30, -8, v47
	ds_read_b64 v[30:31], v30
.LBB501_179:
	s_or_b64 exec, exec, s[42:43]
	v_cndmask_b32_e64 v33, 0, 1, s[14:15]
	v_cndmask_b32_e64 v32, 0, 1, s[40:41]
	;; [unrolled: 1-line block ×3, first 2 shown]
	v_lshlrev_b16_e32 v33, 8, v33
	v_cmp_gt_u32_e32 vcc, s54, v1
	v_lshlrev_b16_e32 v36, 8, v34
	v_or_b32_sdwa v37, v32, v33 dst_sel:WORD_1 dst_unused:UNUSED_PAD src0_sel:DWORD src1_sel:DWORD
	s_mov_b64 s[14:15], 0
	s_and_saveexec_b64 s[16:17], vcc
	s_cbranch_execz .LBB501_190
; %bb.180:
	s_and_b64 vcc, exec, s[4:5]
	s_cbranch_vccnz .LBB501_189
; %bb.181:
	s_waitcnt vmcnt(0) lgkmcnt(0)
	v_mul_lo_u32 v32, v31, s26
	v_mul_lo_u32 v33, v30, s27
	v_mad_u64_u32 v[30:31], s[4:5], v30, s26, 0
	v_add3_u32 v31, v31, v33, v32
	v_mul_lo_u32 v32, v23, s26
	v_mul_lo_u32 v33, v22, s27
	v_mad_u64_u32 v[34:35], s[4:5], v22, s26, 0
	v_add3_u32 v35, v35, v33, v32
	v_lshl_add_u64 v[32:33], v[30:31], 2, s[36:37]
	v_lshl_add_u64 v[30:31], v[34:35], 2, s[36:37]
	global_load_dword v34, v[32:33], off
	global_load_dword v35, v[30:31], off
	s_mov_b64 s[14:15], -1
	s_waitcnt vmcnt(0)
	v_cmp_eq_u32_e32 vcc, v34, v35
	s_and_saveexec_b64 s[4:5], vcc
	s_cbranch_execz .LBB501_188
; %bb.182:
	s_add_u32 s14, s26, -1
	v_lshl_add_u64 v[30:31], v[30:31], 0, 4
	v_lshl_add_u64 v[32:33], v[32:33], 0, 4
	s_addc_u32 s15, s27, -1
	s_mov_b64 s[40:41], 0
	s_mov_b64 s[44:45], 0
                                        ; implicit-def: $sgpr42_sgpr43
	s_branch .LBB501_185
.LBB501_183:                            ;   in Loop: Header=BB501_185 Depth=1
	global_load_dword v34, v[32:33], off
	global_load_dword v35, v[30:31], off
	s_add_u32 s44, s44, 1
	s_addc_u32 s45, s45, 0
	s_andn2_b64 s[42:43], s[42:43], exec
	v_lshl_add_u64 v[30:31], v[30:31], 0, 4
	v_lshl_add_u64 v[32:33], v[32:33], 0, 4
	s_waitcnt vmcnt(0)
	v_cmp_ne_u32_e32 vcc, v34, v35
	s_and_b64 s[46:47], vcc, exec
	s_or_b64 s[42:43], s[42:43], s[46:47]
.LBB501_184:                            ;   in Loop: Header=BB501_185 Depth=1
	s_and_b64 s[46:47], exec, s[42:43]
	s_or_b64 s[40:41], s[46:47], s[40:41]
	v_mov_b64_e32 v[34:35], s[44:45]
	s_andn2_b64 exec, exec, s[40:41]
	s_cbranch_execz .LBB501_187
.LBB501_185:                            ; =>This Inner Loop Header: Depth=1
	s_or_b64 s[42:43], s[42:43], exec
	s_cmp_eq_u64 s[14:15], s[44:45]
	s_cbranch_scc0 .LBB501_183
; %bb.186:                              ;   in Loop: Header=BB501_185 Depth=1
                                        ; implicit-def: $vgpr30_vgpr31
                                        ; implicit-def: $vgpr32_vgpr33
	s_mov_b64 s[44:45], s[26:27]
	s_branch .LBB501_184
.LBB501_187:
	s_or_b64 exec, exec, s[40:41]
	v_cmp_gt_i64_e32 vcc, s[26:27], v[34:35]
	s_orn2_b64 s[14:15], vcc, exec
.LBB501_188:
	s_or_b64 exec, exec, s[4:5]
.LBB501_189:
	s_and_b64 s[14:15], s[14:15], exec
.LBB501_190:
	s_or_b64 exec, exec, s[16:17]
	v_cndmask_b32_e64 v39, 0, 1, s[12:13]
	v_cndmask_b32_e64 v48, 0, 1, s[10:11]
	;; [unrolled: 1-line block ×3, first 2 shown]
	v_or_b32_e32 v34, v36, v37
.LBB501_191:
	s_mov_b64 s[10:11], -1
	s_cbranch_execnz .LBB501_50
.LBB501_192:
	s_movk_i32 s4, 0xffd0
	v_mad_i32_i24 v38, v0, s4, v46
	s_mov_b64 s[12:13], 0
	v_cmp_gt_i64_e64 s[6:7], s[26:27], 0
	s_and_b64 vcc, exec, s[34:35]
	ds_write_b64 v38, v[28:29]
	s_cbranch_vccz .LBB501_200
; %bb.193:
	v_mul_lo_u32 v32, v17, s26
	v_mul_lo_u32 v33, v16, s27
	s_waitcnt vmcnt(0) lgkmcnt(1)
	v_mad_u64_u32 v[30:31], s[4:5], v16, s26, 0
	v_add3_u32 v31, v31, v33, v32
	v_cndmask_b32_e64 v32, 0, 1, s[6:7]
	v_cmp_ne_u32_e64 s[4:5], 1, v32
	s_andn2_b64 vcc, exec, s[6:7]
	v_lshl_add_u64 v[30:31], v[30:31], 2, s[36:37]
	s_cbranch_vccnz .LBB501_203
; %bb.194:
	v_mul_lo_u32 v34, v29, s26
	v_mul_lo_u32 v35, v28, s27
	v_mad_u64_u32 v[32:33], s[12:13], v28, s26, 0
	v_add3_u32 v33, v33, v35, v34
	v_lshl_add_u64 v[32:33], v[32:33], 2, s[36:37]
	global_load_dword v34, v[30:31], off
	global_load_dword v35, v[32:33], off
	s_mov_b64 s[12:13], -1
	s_waitcnt vmcnt(0)
	v_cmp_eq_u32_e32 vcc, v34, v35
	s_and_saveexec_b64 s[14:15], vcc
	s_cbranch_execz .LBB501_202
; %bb.195:
	s_add_u32 s12, s26, -1
	v_lshl_add_u64 v[32:33], v[32:33], 0, 4
	v_lshl_add_u64 v[34:35], v[30:31], 0, 4
	s_addc_u32 s13, s27, -1
	s_mov_b64 s[16:17], 0
	s_mov_b64 s[42:43], 0
                                        ; implicit-def: $sgpr40_sgpr41
	s_branch .LBB501_198
.LBB501_196:                            ;   in Loop: Header=BB501_198 Depth=1
	global_load_dword v36, v[34:35], off
	global_load_dword v37, v[32:33], off
	s_add_u32 s42, s42, 1
	s_addc_u32 s43, s43, 0
	s_andn2_b64 s[40:41], s[40:41], exec
	v_lshl_add_u64 v[32:33], v[32:33], 0, 4
	v_lshl_add_u64 v[34:35], v[34:35], 0, 4
	s_waitcnt vmcnt(0)
	v_cmp_ne_u32_e32 vcc, v36, v37
	s_and_b64 s[44:45], vcc, exec
	s_or_b64 s[40:41], s[40:41], s[44:45]
.LBB501_197:                            ;   in Loop: Header=BB501_198 Depth=1
	s_and_b64 s[44:45], exec, s[40:41]
	s_or_b64 s[16:17], s[44:45], s[16:17]
	v_mov_b64_e32 v[36:37], s[42:43]
	s_andn2_b64 exec, exec, s[16:17]
	s_cbranch_execz .LBB501_201
.LBB501_198:                            ; =>This Inner Loop Header: Depth=1
	s_or_b64 s[40:41], s[40:41], exec
	s_cmp_eq_u64 s[12:13], s[42:43]
	s_cbranch_scc0 .LBB501_196
; %bb.199:                              ;   in Loop: Header=BB501_198 Depth=1
                                        ; implicit-def: $vgpr32_vgpr33
                                        ; implicit-def: $vgpr34_vgpr35
	s_mov_b64 s[42:43], s[26:27]
	s_branch .LBB501_197
.LBB501_200:
                                        ; implicit-def: $sgpr14_sgpr15
                                        ; implicit-def: $vgpr49
                                        ; implicit-def: $vgpr48
                                        ; implicit-def: $vgpr39
                                        ; implicit-def: $vgpr34
                                        ; implicit-def: $vgpr30_vgpr31
	s_cbranch_execnz .LBB501_260
	s_branch .LBB501_340
.LBB501_201:
	s_or_b64 exec, exec, s[16:17]
	v_cmp_gt_i64_e32 vcc, s[26:27], v[36:37]
	s_orn2_b64 s[12:13], vcc, exec
.LBB501_202:
	s_or_b64 exec, exec, s[14:15]
.LBB501_203:
	v_mul_lo_u32 v34, v15, s26
	v_mul_lo_u32 v35, v14, s27
	v_mad_u64_u32 v[32:33], s[14:15], v14, s26, 0
	v_add3_u32 v33, v33, v35, v34
	s_mov_b64 s[14:15], 0
	s_and_b64 vcc, exec, s[4:5]
	v_lshl_add_u64 v[32:33], v[32:33], 2, s[36:37]
	s_mov_b64 s[16:17], 0
	s_cbranch_vccnz .LBB501_212
; %bb.204:
	global_load_dword v34, v[32:33], off
	global_load_dword v35, v[30:31], off
	s_mov_b64 s[16:17], -1
	s_waitcnt vmcnt(0)
	v_cmp_eq_u32_e32 vcc, v34, v35
	s_and_saveexec_b64 s[40:41], vcc
	s_cbranch_execz .LBB501_211
; %bb.205:
	s_add_u32 s16, s26, -1
	v_lshl_add_u64 v[30:31], v[30:31], 0, 4
	v_lshl_add_u64 v[34:35], v[32:33], 0, 4
	s_addc_u32 s17, s27, -1
	s_mov_b64 s[42:43], 0
	s_mov_b64 s[46:47], 0
                                        ; implicit-def: $sgpr44_sgpr45
	s_branch .LBB501_208
.LBB501_206:                            ;   in Loop: Header=BB501_208 Depth=1
	global_load_dword v36, v[34:35], off
	global_load_dword v37, v[30:31], off
	s_add_u32 s46, s46, 1
	s_addc_u32 s47, s47, 0
	s_andn2_b64 s[44:45], s[44:45], exec
	v_lshl_add_u64 v[30:31], v[30:31], 0, 4
	v_lshl_add_u64 v[34:35], v[34:35], 0, 4
	s_waitcnt vmcnt(0)
	v_cmp_ne_u32_e32 vcc, v36, v37
	s_and_b64 s[48:49], vcc, exec
	s_or_b64 s[44:45], s[44:45], s[48:49]
.LBB501_207:                            ;   in Loop: Header=BB501_208 Depth=1
	s_and_b64 s[48:49], exec, s[44:45]
	s_or_b64 s[42:43], s[48:49], s[42:43]
	v_mov_b64_e32 v[36:37], s[46:47]
	s_andn2_b64 exec, exec, s[42:43]
	s_cbranch_execz .LBB501_210
.LBB501_208:                            ; =>This Inner Loop Header: Depth=1
	s_or_b64 s[44:45], s[44:45], exec
	s_cmp_eq_u64 s[16:17], s[46:47]
	s_cbranch_scc0 .LBB501_206
; %bb.209:                              ;   in Loop: Header=BB501_208 Depth=1
                                        ; implicit-def: $vgpr30_vgpr31
                                        ; implicit-def: $vgpr34_vgpr35
	s_mov_b64 s[46:47], s[26:27]
	s_branch .LBB501_207
.LBB501_210:
	s_or_b64 exec, exec, s[42:43]
	v_cmp_gt_i64_e32 vcc, s[26:27], v[36:37]
	s_orn2_b64 s[16:17], vcc, exec
.LBB501_211:
	s_or_b64 exec, exec, s[40:41]
.LBB501_212:
	v_mul_lo_u32 v34, v21, s26
	v_mul_lo_u32 v35, v20, s27
	v_mad_u64_u32 v[30:31], s[40:41], v20, s26, 0
	v_add3_u32 v31, v31, v35, v34
	s_and_b64 vcc, exec, s[4:5]
	v_lshl_add_u64 v[30:31], v[30:31], 2, s[36:37]
	s_cbranch_vccnz .LBB501_221
; %bb.213:
	global_load_dword v34, v[30:31], off
	global_load_dword v35, v[32:33], off
	s_mov_b64 s[14:15], -1
	s_waitcnt vmcnt(0)
	v_cmp_eq_u32_e32 vcc, v34, v35
	s_and_saveexec_b64 s[40:41], vcc
	s_cbranch_execz .LBB501_220
; %bb.214:
	s_add_u32 s14, s26, -1
	v_lshl_add_u64 v[32:33], v[32:33], 0, 4
	v_lshl_add_u64 v[34:35], v[30:31], 0, 4
	s_addc_u32 s15, s27, -1
	s_mov_b64 s[42:43], 0
	s_mov_b64 s[46:47], 0
                                        ; implicit-def: $sgpr44_sgpr45
	s_branch .LBB501_217
.LBB501_215:                            ;   in Loop: Header=BB501_217 Depth=1
	global_load_dword v36, v[34:35], off
	global_load_dword v37, v[32:33], off
	s_add_u32 s46, s46, 1
	s_addc_u32 s47, s47, 0
	s_andn2_b64 s[44:45], s[44:45], exec
	v_lshl_add_u64 v[32:33], v[32:33], 0, 4
	v_lshl_add_u64 v[34:35], v[34:35], 0, 4
	s_waitcnt vmcnt(0)
	v_cmp_ne_u32_e32 vcc, v36, v37
	s_and_b64 s[48:49], vcc, exec
	s_or_b64 s[44:45], s[44:45], s[48:49]
.LBB501_216:                            ;   in Loop: Header=BB501_217 Depth=1
	s_and_b64 s[48:49], exec, s[44:45]
	s_or_b64 s[42:43], s[48:49], s[42:43]
	v_mov_b64_e32 v[36:37], s[46:47]
	s_andn2_b64 exec, exec, s[42:43]
	s_cbranch_execz .LBB501_219
.LBB501_217:                            ; =>This Inner Loop Header: Depth=1
	s_or_b64 s[44:45], s[44:45], exec
	s_cmp_eq_u64 s[14:15], s[46:47]
	s_cbranch_scc0 .LBB501_215
; %bb.218:                              ;   in Loop: Header=BB501_217 Depth=1
                                        ; implicit-def: $vgpr32_vgpr33
                                        ; implicit-def: $vgpr34_vgpr35
	s_mov_b64 s[46:47], s[26:27]
	s_branch .LBB501_216
.LBB501_219:
	s_or_b64 exec, exec, s[42:43]
	v_cmp_gt_i64_e32 vcc, s[26:27], v[36:37]
	s_orn2_b64 s[14:15], vcc, exec
.LBB501_220:
	s_or_b64 exec, exec, s[40:41]
.LBB501_221:
	v_mul_lo_u32 v34, v19, s26
	v_mul_lo_u32 v35, v18, s27
	v_mad_u64_u32 v[32:33], s[40:41], v18, s26, 0
	v_add3_u32 v33, v33, v35, v34
	s_mov_b64 s[40:41], 0
	s_and_b64 vcc, exec, s[4:5]
	v_lshl_add_u64 v[32:33], v[32:33], 2, s[36:37]
	s_mov_b64 s[42:43], 0
	s_cbranch_vccnz .LBB501_230
; %bb.222:
	global_load_dword v34, v[32:33], off
	global_load_dword v35, v[30:31], off
	s_mov_b64 s[42:43], -1
	s_waitcnt vmcnt(0)
	v_cmp_eq_u32_e32 vcc, v34, v35
	s_and_saveexec_b64 s[44:45], vcc
	s_cbranch_execz .LBB501_229
; %bb.223:
	s_add_u32 s42, s26, -1
	v_lshl_add_u64 v[30:31], v[30:31], 0, 4
	v_lshl_add_u64 v[34:35], v[32:33], 0, 4
	s_addc_u32 s43, s27, -1
	s_mov_b64 s[46:47], 0
	s_mov_b64 s[50:51], 0
                                        ; implicit-def: $sgpr48_sgpr49
	s_branch .LBB501_226
.LBB501_224:                            ;   in Loop: Header=BB501_226 Depth=1
	global_load_dword v36, v[34:35], off
	global_load_dword v37, v[30:31], off
	s_add_u32 s50, s50, 1
	s_addc_u32 s51, s51, 0
	s_andn2_b64 s[48:49], s[48:49], exec
	v_lshl_add_u64 v[30:31], v[30:31], 0, 4
	v_lshl_add_u64 v[34:35], v[34:35], 0, 4
	s_waitcnt vmcnt(0)
	v_cmp_ne_u32_e32 vcc, v36, v37
	s_and_b64 s[52:53], vcc, exec
	s_or_b64 s[48:49], s[48:49], s[52:53]
.LBB501_225:                            ;   in Loop: Header=BB501_226 Depth=1
	s_and_b64 s[52:53], exec, s[48:49]
	s_or_b64 s[46:47], s[52:53], s[46:47]
	v_mov_b64_e32 v[36:37], s[50:51]
	s_andn2_b64 exec, exec, s[46:47]
	s_cbranch_execz .LBB501_228
.LBB501_226:                            ; =>This Inner Loop Header: Depth=1
	s_or_b64 s[48:49], s[48:49], exec
	s_cmp_eq_u64 s[42:43], s[50:51]
	s_cbranch_scc0 .LBB501_224
; %bb.227:                              ;   in Loop: Header=BB501_226 Depth=1
                                        ; implicit-def: $vgpr30_vgpr31
                                        ; implicit-def: $vgpr34_vgpr35
	s_mov_b64 s[50:51], s[26:27]
	s_branch .LBB501_225
.LBB501_228:
	s_or_b64 exec, exec, s[46:47]
	v_cmp_gt_i64_e32 vcc, s[26:27], v[36:37]
	s_orn2_b64 s[42:43], vcc, exec
.LBB501_229:
	s_or_b64 exec, exec, s[44:45]
.LBB501_230:
	v_mul_lo_u32 v34, v25, s26
	v_mul_lo_u32 v35, v24, s27
	v_mad_u64_u32 v[30:31], s[44:45], v24, s26, 0
	v_add3_u32 v31, v31, v35, v34
	s_and_b64 vcc, exec, s[4:5]
	v_lshl_add_u64 v[30:31], v[30:31], 2, s[36:37]
	s_cbranch_vccnz .LBB501_239
; %bb.231:
	global_load_dword v34, v[30:31], off
	global_load_dword v35, v[32:33], off
	s_mov_b64 s[40:41], -1
	s_waitcnt vmcnt(0)
	v_cmp_eq_u32_e32 vcc, v34, v35
	s_and_saveexec_b64 s[44:45], vcc
	s_cbranch_execz .LBB501_238
; %bb.232:
	s_add_u32 s40, s26, -1
	v_lshl_add_u64 v[32:33], v[32:33], 0, 4
	v_lshl_add_u64 v[34:35], v[30:31], 0, 4
	s_addc_u32 s41, s27, -1
	s_mov_b64 s[46:47], 0
	s_mov_b64 s[50:51], 0
                                        ; implicit-def: $sgpr48_sgpr49
	s_branch .LBB501_235
.LBB501_233:                            ;   in Loop: Header=BB501_235 Depth=1
	global_load_dword v36, v[34:35], off
	global_load_dword v37, v[32:33], off
	s_add_u32 s50, s50, 1
	s_addc_u32 s51, s51, 0
	s_andn2_b64 s[48:49], s[48:49], exec
	v_lshl_add_u64 v[32:33], v[32:33], 0, 4
	v_lshl_add_u64 v[34:35], v[34:35], 0, 4
	s_waitcnt vmcnt(0)
	v_cmp_ne_u32_e32 vcc, v36, v37
	s_and_b64 s[52:53], vcc, exec
	s_or_b64 s[48:49], s[48:49], s[52:53]
.LBB501_234:                            ;   in Loop: Header=BB501_235 Depth=1
	s_and_b64 s[52:53], exec, s[48:49]
	s_or_b64 s[46:47], s[52:53], s[46:47]
	v_mov_b64_e32 v[36:37], s[50:51]
	s_andn2_b64 exec, exec, s[46:47]
	s_cbranch_execz .LBB501_237
.LBB501_235:                            ; =>This Inner Loop Header: Depth=1
	s_or_b64 s[48:49], s[48:49], exec
	s_cmp_eq_u64 s[40:41], s[50:51]
	s_cbranch_scc0 .LBB501_233
; %bb.236:                              ;   in Loop: Header=BB501_235 Depth=1
                                        ; implicit-def: $vgpr32_vgpr33
                                        ; implicit-def: $vgpr34_vgpr35
	s_mov_b64 s[50:51], s[26:27]
	s_branch .LBB501_234
.LBB501_237:
	s_or_b64 exec, exec, s[46:47]
	v_cmp_gt_i64_e32 vcc, s[26:27], v[36:37]
	s_orn2_b64 s[40:41], vcc, exec
.LBB501_238:
	s_or_b64 exec, exec, s[44:45]
.LBB501_239:
	v_mul_lo_u32 v34, v23, s26
	v_mul_lo_u32 v35, v22, s27
	v_mad_u64_u32 v[32:33], s[44:45], v22, s26, 0
	v_add3_u32 v33, v33, v35, v34
	s_and_b64 vcc, exec, s[4:5]
	s_mov_b64 s[46:47], 0
	s_cbranch_vccnz .LBB501_248
; %bb.240:
	v_lshl_add_u64 v[34:35], v[32:33], 2, s[36:37]
	global_load_dword v36, v[34:35], off
	global_load_dword v37, v[30:31], off
	s_mov_b64 s[46:47], -1
	s_waitcnt vmcnt(0)
	v_cmp_eq_u32_e32 vcc, v36, v37
	s_and_saveexec_b64 s[44:45], vcc
	s_cbranch_execz .LBB501_247
; %bb.241:
	s_add_u32 s46, s26, -1
	v_lshl_add_u64 v[30:31], v[30:31], 0, 4
	v_lshl_add_u64 v[34:35], v[34:35], 0, 4
	s_addc_u32 s47, s27, -1
	s_mov_b64 s[48:49], 0
	s_mov_b64 s[52:53], 0
                                        ; implicit-def: $sgpr50_sgpr51
	s_branch .LBB501_244
.LBB501_242:                            ;   in Loop: Header=BB501_244 Depth=1
	global_load_dword v36, v[34:35], off
	global_load_dword v37, v[30:31], off
	s_add_u32 s52, s52, 1
	s_addc_u32 s53, s53, 0
	s_andn2_b64 s[50:51], s[50:51], exec
	v_lshl_add_u64 v[30:31], v[30:31], 0, 4
	v_lshl_add_u64 v[34:35], v[34:35], 0, 4
	s_waitcnt vmcnt(0)
	v_cmp_ne_u32_e32 vcc, v36, v37
	s_and_b64 s[56:57], vcc, exec
	s_or_b64 s[50:51], s[50:51], s[56:57]
.LBB501_243:                            ;   in Loop: Header=BB501_244 Depth=1
	s_and_b64 s[56:57], exec, s[50:51]
	s_or_b64 s[48:49], s[56:57], s[48:49]
	v_mov_b64_e32 v[36:37], s[52:53]
	s_andn2_b64 exec, exec, s[48:49]
	s_cbranch_execz .LBB501_246
.LBB501_244:                            ; =>This Inner Loop Header: Depth=1
	s_or_b64 s[50:51], s[50:51], exec
	s_cmp_eq_u64 s[46:47], s[52:53]
	s_cbranch_scc0 .LBB501_242
; %bb.245:                              ;   in Loop: Header=BB501_244 Depth=1
                                        ; implicit-def: $vgpr30_vgpr31
                                        ; implicit-def: $vgpr34_vgpr35
	s_mov_b64 s[52:53], s[26:27]
	s_branch .LBB501_243
.LBB501_246:
	s_or_b64 exec, exec, s[48:49]
	v_cmp_gt_i64_e32 vcc, s[26:27], v[36:37]
	s_orn2_b64 s[46:47], vcc, exec
.LBB501_247:
	s_or_b64 exec, exec, s[44:45]
.LBB501_248:
	v_cndmask_b32_e64 v31, 0, 1, s[42:43]
	v_cndmask_b32_e64 v30, 0, 1, s[40:41]
	;; [unrolled: 1-line block ×3, first 2 shown]
	v_lshlrev_b16_e32 v31, 8, v31
	v_cndmask_b32_e64 v39, 0, 1, s[14:15]
	v_cndmask_b32_e64 v34, 0, 1, s[46:47]
	v_or_b32_sdwa v30, v30, v31 dst_sel:WORD_1 dst_unused:UNUSED_PAD src0_sel:DWORD src1_sel:DWORD
	v_lshlrev_b16_e32 v31, 8, v48
	v_lshlrev_b16_e32 v34, 8, v34
	v_or_b32_e32 v31, v39, v31
	v_or_b32_e32 v34, 1, v34
	v_and_b32_e32 v31, 0xffff, v31
	v_cndmask_b32_e64 v49, 0, 1, s[12:13]
	v_or_b32_sdwa v30, v34, v30 dst_sel:DWORD dst_unused:UNUSED_PAD src0_sel:WORD_0 src1_sel:DWORD
	v_lshl_or_b32 v31, v49, 16, v31
	s_waitcnt lgkmcnt(0)
	s_barrier
	s_waitcnt lgkmcnt(0)
                                        ; implicit-def: $sgpr14_sgpr15
                                        ; implicit-def: $vgpr34
	s_and_saveexec_b64 s[12:13], s[2:3]
	s_xor_b64 s[12:13], exec, s[12:13]
	s_cbranch_execz .LBB501_259
; %bb.249:
	s_mov_b32 s44, 0x3020104
	s_and_b64 vcc, exec, s[4:5]
	s_mov_b64 s[14:15], 0
	s_cbranch_vccnz .LBB501_258
; %bb.250:
	v_add_u32_e32 v31, -8, v38
	ds_read_b64 v[34:35], v31
	v_lshl_add_u64 v[32:33], v[32:33], 2, s[36:37]
	s_mov_b64 s[14:15], -1
	s_waitcnt lgkmcnt(0)
	v_mul_lo_u32 v31, v35, s26
	v_mul_lo_u32 v36, v34, s27
	v_mad_u64_u32 v[34:35], s[4:5], v34, s26, 0
	v_add3_u32 v35, v35, v36, v31
	v_lshl_add_u64 v[34:35], v[34:35], 2, s[36:37]
	global_load_dword v31, v[34:35], off
	global_load_dword v36, v[32:33], off
	s_waitcnt vmcnt(0)
	v_cmp_eq_u32_e32 vcc, v31, v36
	s_and_saveexec_b64 s[4:5], vcc
	s_cbranch_execz .LBB501_257
; %bb.251:
	s_add_u32 s14, s26, -1
	v_lshl_add_u64 v[32:33], v[32:33], 0, 4
	v_lshl_add_u64 v[34:35], v[34:35], 0, 4
	s_addc_u32 s15, s27, -1
	s_mov_b64 s[16:17], 0
	s_mov_b64 s[42:43], 0
                                        ; implicit-def: $sgpr40_sgpr41
	s_branch .LBB501_254
.LBB501_252:                            ;   in Loop: Header=BB501_254 Depth=1
	global_load_dword v31, v[34:35], off
	global_load_dword v36, v[32:33], off
	s_add_u32 s42, s42, 1
	s_addc_u32 s43, s43, 0
	s_andn2_b64 s[40:41], s[40:41], exec
	v_lshl_add_u64 v[32:33], v[32:33], 0, 4
	v_lshl_add_u64 v[34:35], v[34:35], 0, 4
	s_waitcnt vmcnt(0)
	v_cmp_ne_u32_e32 vcc, v31, v36
	s_and_b64 s[46:47], vcc, exec
	s_or_b64 s[40:41], s[40:41], s[46:47]
.LBB501_253:                            ;   in Loop: Header=BB501_254 Depth=1
	s_and_b64 s[46:47], exec, s[40:41]
	s_or_b64 s[16:17], s[46:47], s[16:17]
	v_mov_b64_e32 v[36:37], s[42:43]
	s_andn2_b64 exec, exec, s[16:17]
	s_cbranch_execz .LBB501_256
.LBB501_254:                            ; =>This Inner Loop Header: Depth=1
	s_or_b64 s[40:41], s[40:41], exec
	s_cmp_eq_u64 s[14:15], s[42:43]
	s_cbranch_scc0 .LBB501_252
; %bb.255:                              ;   in Loop: Header=BB501_254 Depth=1
                                        ; implicit-def: $vgpr32_vgpr33
                                        ; implicit-def: $vgpr34_vgpr35
	s_mov_b64 s[42:43], s[26:27]
	s_branch .LBB501_253
.LBB501_256:
	s_or_b64 exec, exec, s[16:17]
	v_cmp_gt_i64_e32 vcc, s[26:27], v[36:37]
	s_orn2_b64 s[14:15], vcc, exec
.LBB501_257:
	s_or_b64 exec, exec, s[4:5]
.LBB501_258:
	v_perm_b32 v34, v30, v30, s44
	s_and_b64 s[14:15], s[14:15], exec
	s_or_b64 s[10:11], s[10:11], exec
                                        ; implicit-def: $vgpr30_vgpr31
.LBB501_259:
	s_or_b64 exec, exec, s[12:13]
	s_branch .LBB501_340
.LBB501_260:
	v_cmp_gt_u32_e32 vcc, s54, v42
	s_mov_b64 s[12:13], 0
	s_mov_b64 s[4:5], 0
	s_and_saveexec_b64 s[14:15], vcc
	s_cbranch_execz .LBB501_271
; %bb.261:
	s_andn2_b64 vcc, exec, s[6:7]
	s_mov_b64 s[16:17], 0
	s_cbranch_vccnz .LBB501_270
; %bb.262:
	v_mul_lo_u32 v32, v17, s26
	v_mul_lo_u32 v33, v16, s27
	s_waitcnt vmcnt(0) lgkmcnt(1)
	v_mad_u64_u32 v[30:31], s[4:5], v16, s26, 0
	v_add3_u32 v31, v31, v33, v32
	v_mul_lo_u32 v32, v29, s26
	v_mul_lo_u32 v33, v28, s27
	v_mad_u64_u32 v[34:35], s[4:5], v28, s26, 0
	v_add3_u32 v35, v35, v33, v32
	v_lshl_add_u64 v[32:33], v[30:31], 2, s[36:37]
	v_lshl_add_u64 v[30:31], v[34:35], 2, s[36:37]
	global_load_dword v34, v[32:33], off
	global_load_dword v35, v[30:31], off
	s_mov_b64 s[16:17], -1
	s_waitcnt vmcnt(0)
	v_cmp_eq_u32_e32 vcc, v34, v35
	s_and_saveexec_b64 s[4:5], vcc
	s_cbranch_execz .LBB501_269
; %bb.263:
	s_add_u32 s16, s26, -1
	v_lshl_add_u64 v[30:31], v[30:31], 0, 4
	v_lshl_add_u64 v[32:33], v[32:33], 0, 4
	s_addc_u32 s17, s27, -1
	s_mov_b64 s[40:41], 0
	s_mov_b64 s[44:45], 0
                                        ; implicit-def: $sgpr42_sgpr43
	s_branch .LBB501_266
.LBB501_264:                            ;   in Loop: Header=BB501_266 Depth=1
	global_load_dword v34, v[32:33], off
	global_load_dword v35, v[30:31], off
	s_add_u32 s44, s44, 1
	s_addc_u32 s45, s45, 0
	s_andn2_b64 s[42:43], s[42:43], exec
	v_lshl_add_u64 v[30:31], v[30:31], 0, 4
	v_lshl_add_u64 v[32:33], v[32:33], 0, 4
	s_waitcnt vmcnt(0)
	v_cmp_ne_u32_e32 vcc, v34, v35
	s_and_b64 s[46:47], vcc, exec
	s_or_b64 s[42:43], s[42:43], s[46:47]
.LBB501_265:                            ;   in Loop: Header=BB501_266 Depth=1
	s_and_b64 s[46:47], exec, s[42:43]
	s_or_b64 s[40:41], s[46:47], s[40:41]
	v_mov_b64_e32 v[34:35], s[44:45]
	s_andn2_b64 exec, exec, s[40:41]
	s_cbranch_execz .LBB501_268
.LBB501_266:                            ; =>This Inner Loop Header: Depth=1
	s_or_b64 s[42:43], s[42:43], exec
	s_cmp_eq_u64 s[16:17], s[44:45]
	s_cbranch_scc0 .LBB501_264
; %bb.267:                              ;   in Loop: Header=BB501_266 Depth=1
                                        ; implicit-def: $vgpr30_vgpr31
                                        ; implicit-def: $vgpr32_vgpr33
	s_mov_b64 s[44:45], s[26:27]
	s_branch .LBB501_265
.LBB501_268:
	s_or_b64 exec, exec, s[40:41]
	v_cmp_gt_i64_e32 vcc, s[26:27], v[34:35]
	s_orn2_b64 s[16:17], vcc, exec
.LBB501_269:
	s_or_b64 exec, exec, s[4:5]
.LBB501_270:
	s_and_b64 s[4:5], s[16:17], exec
.LBB501_271:
	s_or_b64 exec, exec, s[14:15]
	v_cmp_gt_u32_e32 vcc, s54, v45
	s_and_saveexec_b64 s[14:15], vcc
	s_cbranch_execz .LBB501_282
; %bb.272:
	s_andn2_b64 vcc, exec, s[6:7]
	s_mov_b64 s[16:17], 0
	s_cbranch_vccnz .LBB501_281
; %bb.273:
	v_mul_lo_u32 v32, v15, s26
	v_mul_lo_u32 v33, v14, s27
	s_waitcnt vmcnt(0) lgkmcnt(1)
	v_mad_u64_u32 v[30:31], s[12:13], v14, s26, 0
	v_add3_u32 v31, v31, v33, v32
	v_mul_lo_u32 v32, v17, s26
	v_mul_lo_u32 v33, v16, s27
	v_mad_u64_u32 v[34:35], s[12:13], v16, s26, 0
	v_add3_u32 v35, v35, v33, v32
	v_lshl_add_u64 v[32:33], v[30:31], 2, s[36:37]
	v_lshl_add_u64 v[30:31], v[34:35], 2, s[36:37]
	global_load_dword v34, v[32:33], off
	global_load_dword v35, v[30:31], off
	s_mov_b64 s[16:17], -1
	s_waitcnt vmcnt(0)
	v_cmp_eq_u32_e32 vcc, v34, v35
	s_and_saveexec_b64 s[12:13], vcc
	s_cbranch_execz .LBB501_280
; %bb.274:
	s_add_u32 s16, s26, -1
	v_lshl_add_u64 v[30:31], v[30:31], 0, 4
	v_lshl_add_u64 v[32:33], v[32:33], 0, 4
	s_addc_u32 s17, s27, -1
	s_mov_b64 s[40:41], 0
	s_mov_b64 s[44:45], 0
                                        ; implicit-def: $sgpr42_sgpr43
	s_branch .LBB501_277
.LBB501_275:                            ;   in Loop: Header=BB501_277 Depth=1
	global_load_dword v34, v[32:33], off
	global_load_dword v35, v[30:31], off
	s_add_u32 s44, s44, 1
	s_addc_u32 s45, s45, 0
	s_andn2_b64 s[42:43], s[42:43], exec
	v_lshl_add_u64 v[30:31], v[30:31], 0, 4
	v_lshl_add_u64 v[32:33], v[32:33], 0, 4
	s_waitcnt vmcnt(0)
	v_cmp_ne_u32_e32 vcc, v34, v35
	s_and_b64 s[46:47], vcc, exec
	s_or_b64 s[42:43], s[42:43], s[46:47]
.LBB501_276:                            ;   in Loop: Header=BB501_277 Depth=1
	s_and_b64 s[46:47], exec, s[42:43]
	s_or_b64 s[40:41], s[46:47], s[40:41]
	v_mov_b64_e32 v[34:35], s[44:45]
	s_andn2_b64 exec, exec, s[40:41]
	s_cbranch_execz .LBB501_279
.LBB501_277:                            ; =>This Inner Loop Header: Depth=1
	s_or_b64 s[42:43], s[42:43], exec
	s_cmp_eq_u64 s[16:17], s[44:45]
	s_cbranch_scc0 .LBB501_275
; %bb.278:                              ;   in Loop: Header=BB501_277 Depth=1
                                        ; implicit-def: $vgpr30_vgpr31
                                        ; implicit-def: $vgpr32_vgpr33
	s_mov_b64 s[44:45], s[26:27]
	s_branch .LBB501_276
.LBB501_279:
	s_or_b64 exec, exec, s[40:41]
	v_cmp_gt_i64_e32 vcc, s[26:27], v[34:35]
	s_orn2_b64 s[16:17], vcc, exec
.LBB501_280:
	s_or_b64 exec, exec, s[12:13]
.LBB501_281:
	s_and_b64 s[12:13], s[16:17], exec
.LBB501_282:
	s_or_b64 exec, exec, s[14:15]
	v_cmp_gt_u32_e32 vcc, s54, v41
	s_mov_b64 s[16:17], 0
	s_mov_b64 s[14:15], 0
	s_and_saveexec_b64 s[40:41], vcc
	s_cbranch_execz .LBB501_293
; %bb.283:
	s_andn2_b64 vcc, exec, s[6:7]
	s_mov_b64 s[42:43], 0
	s_cbranch_vccnz .LBB501_292
; %bb.284:
	v_mul_lo_u32 v32, v21, s26
	v_mul_lo_u32 v33, v20, s27
	s_waitcnt vmcnt(0) lgkmcnt(1)
	v_mad_u64_u32 v[30:31], s[14:15], v20, s26, 0
	v_add3_u32 v31, v31, v33, v32
	v_mul_lo_u32 v32, v15, s26
	v_mul_lo_u32 v33, v14, s27
	v_mad_u64_u32 v[34:35], s[14:15], v14, s26, 0
	v_add3_u32 v35, v35, v33, v32
	v_lshl_add_u64 v[32:33], v[30:31], 2, s[36:37]
	v_lshl_add_u64 v[30:31], v[34:35], 2, s[36:37]
	global_load_dword v34, v[32:33], off
	global_load_dword v35, v[30:31], off
	s_mov_b64 s[42:43], -1
	s_waitcnt vmcnt(0)
	v_cmp_eq_u32_e32 vcc, v34, v35
	s_and_saveexec_b64 s[14:15], vcc
	s_cbranch_execz .LBB501_291
; %bb.285:
	s_add_u32 s42, s26, -1
	v_lshl_add_u64 v[30:31], v[30:31], 0, 4
	v_lshl_add_u64 v[32:33], v[32:33], 0, 4
	s_addc_u32 s43, s27, -1
	s_mov_b64 s[44:45], 0
	s_mov_b64 s[48:49], 0
                                        ; implicit-def: $sgpr46_sgpr47
	s_branch .LBB501_288
.LBB501_286:                            ;   in Loop: Header=BB501_288 Depth=1
	global_load_dword v34, v[32:33], off
	global_load_dword v35, v[30:31], off
	s_add_u32 s48, s48, 1
	s_addc_u32 s49, s49, 0
	s_andn2_b64 s[46:47], s[46:47], exec
	v_lshl_add_u64 v[30:31], v[30:31], 0, 4
	v_lshl_add_u64 v[32:33], v[32:33], 0, 4
	s_waitcnt vmcnt(0)
	v_cmp_ne_u32_e32 vcc, v34, v35
	s_and_b64 s[50:51], vcc, exec
	s_or_b64 s[46:47], s[46:47], s[50:51]
.LBB501_287:                            ;   in Loop: Header=BB501_288 Depth=1
	s_and_b64 s[50:51], exec, s[46:47]
	s_or_b64 s[44:45], s[50:51], s[44:45]
	v_mov_b64_e32 v[34:35], s[48:49]
	s_andn2_b64 exec, exec, s[44:45]
	s_cbranch_execz .LBB501_290
.LBB501_288:                            ; =>This Inner Loop Header: Depth=1
	s_or_b64 s[46:47], s[46:47], exec
	s_cmp_eq_u64 s[42:43], s[48:49]
	s_cbranch_scc0 .LBB501_286
; %bb.289:                              ;   in Loop: Header=BB501_288 Depth=1
                                        ; implicit-def: $vgpr30_vgpr31
                                        ; implicit-def: $vgpr32_vgpr33
	s_mov_b64 s[48:49], s[26:27]
	s_branch .LBB501_287
.LBB501_290:
	s_or_b64 exec, exec, s[44:45]
	v_cmp_gt_i64_e32 vcc, s[26:27], v[34:35]
	s_orn2_b64 s[42:43], vcc, exec
.LBB501_291:
	s_or_b64 exec, exec, s[14:15]
.LBB501_292:
	s_and_b64 s[14:15], s[42:43], exec
.LBB501_293:
	s_or_b64 exec, exec, s[40:41]
	v_cmp_gt_u32_e32 vcc, s54, v44
	s_and_saveexec_b64 s[40:41], vcc
	s_cbranch_execz .LBB501_304
; %bb.294:
	s_andn2_b64 vcc, exec, s[6:7]
	s_mov_b64 s[42:43], 0
	s_cbranch_vccnz .LBB501_303
; %bb.295:
	v_mul_lo_u32 v32, v19, s26
	v_mul_lo_u32 v33, v18, s27
	s_waitcnt vmcnt(0) lgkmcnt(1)
	v_mad_u64_u32 v[30:31], s[16:17], v18, s26, 0
	v_add3_u32 v31, v31, v33, v32
	v_mul_lo_u32 v32, v21, s26
	v_mul_lo_u32 v33, v20, s27
	v_mad_u64_u32 v[34:35], s[16:17], v20, s26, 0
	v_add3_u32 v35, v35, v33, v32
	v_lshl_add_u64 v[32:33], v[30:31], 2, s[36:37]
	v_lshl_add_u64 v[30:31], v[34:35], 2, s[36:37]
	global_load_dword v34, v[32:33], off
	global_load_dword v35, v[30:31], off
	s_mov_b64 s[42:43], -1
	s_waitcnt vmcnt(0)
	v_cmp_eq_u32_e32 vcc, v34, v35
	s_and_saveexec_b64 s[16:17], vcc
	s_cbranch_execz .LBB501_302
; %bb.296:
	s_add_u32 s42, s26, -1
	v_lshl_add_u64 v[30:31], v[30:31], 0, 4
	v_lshl_add_u64 v[32:33], v[32:33], 0, 4
	s_addc_u32 s43, s27, -1
	s_mov_b64 s[44:45], 0
	s_mov_b64 s[48:49], 0
                                        ; implicit-def: $sgpr46_sgpr47
	s_branch .LBB501_299
.LBB501_297:                            ;   in Loop: Header=BB501_299 Depth=1
	global_load_dword v34, v[32:33], off
	global_load_dword v35, v[30:31], off
	s_add_u32 s48, s48, 1
	s_addc_u32 s49, s49, 0
	s_andn2_b64 s[46:47], s[46:47], exec
	v_lshl_add_u64 v[30:31], v[30:31], 0, 4
	v_lshl_add_u64 v[32:33], v[32:33], 0, 4
	s_waitcnt vmcnt(0)
	v_cmp_ne_u32_e32 vcc, v34, v35
	s_and_b64 s[50:51], vcc, exec
	s_or_b64 s[46:47], s[46:47], s[50:51]
.LBB501_298:                            ;   in Loop: Header=BB501_299 Depth=1
	s_and_b64 s[50:51], exec, s[46:47]
	s_or_b64 s[44:45], s[50:51], s[44:45]
	v_mov_b64_e32 v[34:35], s[48:49]
	s_andn2_b64 exec, exec, s[44:45]
	s_cbranch_execz .LBB501_301
.LBB501_299:                            ; =>This Inner Loop Header: Depth=1
	s_or_b64 s[46:47], s[46:47], exec
	s_cmp_eq_u64 s[42:43], s[48:49]
	s_cbranch_scc0 .LBB501_297
; %bb.300:                              ;   in Loop: Header=BB501_299 Depth=1
                                        ; implicit-def: $vgpr30_vgpr31
                                        ; implicit-def: $vgpr32_vgpr33
	s_mov_b64 s[48:49], s[26:27]
	s_branch .LBB501_298
.LBB501_301:
	s_or_b64 exec, exec, s[44:45]
	v_cmp_gt_i64_e32 vcc, s[26:27], v[34:35]
	s_orn2_b64 s[42:43], vcc, exec
.LBB501_302:
	s_or_b64 exec, exec, s[16:17]
.LBB501_303:
	s_and_b64 s[16:17], s[42:43], exec
.LBB501_304:
	s_or_b64 exec, exec, s[40:41]
	v_cmp_gt_u32_e32 vcc, s54, v40
	s_mov_b64 s[40:41], 0
	s_mov_b64 s[42:43], 0
	s_and_saveexec_b64 s[44:45], vcc
	s_cbranch_execz .LBB501_315
; %bb.305:
	s_andn2_b64 vcc, exec, s[6:7]
	s_mov_b64 s[46:47], 0
	s_cbranch_vccnz .LBB501_314
; %bb.306:
	v_mul_lo_u32 v32, v25, s26
	v_mul_lo_u32 v33, v24, s27
	s_waitcnt vmcnt(0) lgkmcnt(1)
	v_mad_u64_u32 v[30:31], s[42:43], v24, s26, 0
	v_add3_u32 v31, v31, v33, v32
	v_mul_lo_u32 v32, v19, s26
	v_mul_lo_u32 v33, v18, s27
	v_mad_u64_u32 v[34:35], s[42:43], v18, s26, 0
	v_add3_u32 v35, v35, v33, v32
	v_lshl_add_u64 v[32:33], v[30:31], 2, s[36:37]
	v_lshl_add_u64 v[30:31], v[34:35], 2, s[36:37]
	global_load_dword v34, v[32:33], off
	global_load_dword v35, v[30:31], off
	s_mov_b64 s[46:47], -1
	s_waitcnt vmcnt(0)
	v_cmp_eq_u32_e32 vcc, v34, v35
	s_and_saveexec_b64 s[42:43], vcc
	s_cbranch_execz .LBB501_313
; %bb.307:
	s_add_u32 s46, s26, -1
	v_lshl_add_u64 v[30:31], v[30:31], 0, 4
	v_lshl_add_u64 v[32:33], v[32:33], 0, 4
	s_addc_u32 s47, s27, -1
	s_mov_b64 s[48:49], 0
	s_mov_b64 s[52:53], 0
                                        ; implicit-def: $sgpr50_sgpr51
	s_branch .LBB501_310
.LBB501_308:                            ;   in Loop: Header=BB501_310 Depth=1
	global_load_dword v34, v[32:33], off
	global_load_dword v35, v[30:31], off
	s_add_u32 s52, s52, 1
	s_addc_u32 s53, s53, 0
	s_andn2_b64 s[50:51], s[50:51], exec
	v_lshl_add_u64 v[30:31], v[30:31], 0, 4
	v_lshl_add_u64 v[32:33], v[32:33], 0, 4
	s_waitcnt vmcnt(0)
	v_cmp_ne_u32_e32 vcc, v34, v35
	s_and_b64 s[56:57], vcc, exec
	s_or_b64 s[50:51], s[50:51], s[56:57]
.LBB501_309:                            ;   in Loop: Header=BB501_310 Depth=1
	s_and_b64 s[56:57], exec, s[50:51]
	s_or_b64 s[48:49], s[56:57], s[48:49]
	v_mov_b64_e32 v[34:35], s[52:53]
	s_andn2_b64 exec, exec, s[48:49]
	s_cbranch_execz .LBB501_312
.LBB501_310:                            ; =>This Inner Loop Header: Depth=1
	s_or_b64 s[50:51], s[50:51], exec
	s_cmp_eq_u64 s[46:47], s[52:53]
	s_cbranch_scc0 .LBB501_308
; %bb.311:                              ;   in Loop: Header=BB501_310 Depth=1
                                        ; implicit-def: $vgpr30_vgpr31
                                        ; implicit-def: $vgpr32_vgpr33
	s_mov_b64 s[52:53], s[26:27]
	s_branch .LBB501_309
.LBB501_312:
	s_or_b64 exec, exec, s[48:49]
	v_cmp_gt_i64_e32 vcc, s[26:27], v[34:35]
	s_orn2_b64 s[46:47], vcc, exec
.LBB501_313:
	s_or_b64 exec, exec, s[42:43]
.LBB501_314:
	s_and_b64 s[42:43], s[46:47], exec
.LBB501_315:
	s_or_b64 exec, exec, s[44:45]
	v_cmp_gt_u32_e32 vcc, s54, v43
	s_and_saveexec_b64 s[44:45], vcc
	s_cbranch_execz .LBB501_326
; %bb.316:
	s_andn2_b64 vcc, exec, s[6:7]
	s_mov_b64 s[46:47], 0
	s_cbranch_vccnz .LBB501_325
; %bb.317:
	v_mul_lo_u32 v32, v23, s26
	v_mul_lo_u32 v33, v22, s27
	s_waitcnt vmcnt(0) lgkmcnt(1)
	v_mad_u64_u32 v[30:31], s[40:41], v22, s26, 0
	v_add3_u32 v31, v31, v33, v32
	v_mul_lo_u32 v32, v25, s26
	v_mul_lo_u32 v33, v24, s27
	v_mad_u64_u32 v[34:35], s[40:41], v24, s26, 0
	v_add3_u32 v35, v35, v33, v32
	v_lshl_add_u64 v[32:33], v[30:31], 2, s[36:37]
	v_lshl_add_u64 v[30:31], v[34:35], 2, s[36:37]
	global_load_dword v34, v[32:33], off
	global_load_dword v35, v[30:31], off
	s_mov_b64 s[46:47], -1
	s_waitcnt vmcnt(0)
	v_cmp_eq_u32_e32 vcc, v34, v35
	s_and_saveexec_b64 s[40:41], vcc
	s_cbranch_execz .LBB501_324
; %bb.318:
	s_add_u32 s46, s26, -1
	v_lshl_add_u64 v[30:31], v[30:31], 0, 4
	v_lshl_add_u64 v[32:33], v[32:33], 0, 4
	s_addc_u32 s47, s27, -1
	s_mov_b64 s[48:49], 0
	s_mov_b64 s[52:53], 0
                                        ; implicit-def: $sgpr50_sgpr51
	s_branch .LBB501_321
.LBB501_319:                            ;   in Loop: Header=BB501_321 Depth=1
	global_load_dword v34, v[32:33], off
	global_load_dword v35, v[30:31], off
	s_add_u32 s52, s52, 1
	s_addc_u32 s53, s53, 0
	s_andn2_b64 s[50:51], s[50:51], exec
	v_lshl_add_u64 v[30:31], v[30:31], 0, 4
	v_lshl_add_u64 v[32:33], v[32:33], 0, 4
	s_waitcnt vmcnt(0)
	v_cmp_ne_u32_e32 vcc, v34, v35
	s_and_b64 s[56:57], vcc, exec
	s_or_b64 s[50:51], s[50:51], s[56:57]
.LBB501_320:                            ;   in Loop: Header=BB501_321 Depth=1
	s_and_b64 s[56:57], exec, s[50:51]
	s_or_b64 s[48:49], s[56:57], s[48:49]
	v_mov_b64_e32 v[34:35], s[52:53]
	s_andn2_b64 exec, exec, s[48:49]
	s_cbranch_execz .LBB501_323
.LBB501_321:                            ; =>This Inner Loop Header: Depth=1
	s_or_b64 s[50:51], s[50:51], exec
	s_cmp_eq_u64 s[46:47], s[52:53]
	s_cbranch_scc0 .LBB501_319
; %bb.322:                              ;   in Loop: Header=BB501_321 Depth=1
                                        ; implicit-def: $vgpr30_vgpr31
                                        ; implicit-def: $vgpr32_vgpr33
	s_mov_b64 s[52:53], s[26:27]
	s_branch .LBB501_320
.LBB501_323:
	s_or_b64 exec, exec, s[48:49]
	v_cmp_gt_i64_e32 vcc, s[26:27], v[34:35]
	s_orn2_b64 s[46:47], vcc, exec
.LBB501_324:
	s_or_b64 exec, exec, s[40:41]
.LBB501_325:
	s_and_b64 s[40:41], s[46:47], exec
.LBB501_326:
	s_or_b64 exec, exec, s[44:45]
	s_waitcnt vmcnt(0) lgkmcnt(1)
	v_cndmask_b32_e64 v31, 0, 1, s[16:17]
	v_cndmask_b32_e64 v30, 0, 1, s[42:43]
	;; [unrolled: 1-line block ×3, first 2 shown]
	v_lshlrev_b16_e32 v31, 8, v31
	v_cndmask_b32_e64 v39, 0, 1, s[14:15]
	v_cndmask_b32_e64 v32, 0, 1, s[40:41]
	v_or_b32_sdwa v30, v30, v31 dst_sel:WORD_1 dst_unused:UNUSED_PAD src0_sel:DWORD src1_sel:DWORD
	v_lshlrev_b16_e32 v31, 8, v48
	v_lshlrev_b16_e32 v32, 8, v32
	v_or_b32_e32 v31, v39, v31
	v_or_b32_e32 v32, 1, v32
	v_and_b32_e32 v31, 0xffff, v31
	v_cndmask_b32_e64 v49, 0, 1, s[4:5]
	v_or_b32_sdwa v30, v32, v30 dst_sel:DWORD dst_unused:UNUSED_PAD src0_sel:WORD_0 src1_sel:DWORD
	v_lshl_or_b32 v31, v49, 16, v31
	s_waitcnt lgkmcnt(0)
	s_barrier
	s_waitcnt lgkmcnt(0)
                                        ; implicit-def: $sgpr14_sgpr15
                                        ; implicit-def: $vgpr34
	s_and_saveexec_b64 s[4:5], s[2:3]
	s_cbranch_execz .LBB501_339
; %bb.327:
	v_cmp_gt_u32_e32 vcc, s54, v1
	s_mov_b32 s40, 0x3020104
	s_mov_b64 s[12:13], 0
	s_and_saveexec_b64 s[2:3], vcc
	s_cbranch_execz .LBB501_338
; %bb.328:
	s_andn2_b64 vcc, exec, s[6:7]
	s_cbranch_vccnz .LBB501_337
; %bb.329:
	v_add_u32_e32 v31, -8, v38
	ds_read_b64 v[32:33], v31
	v_mul_lo_u32 v31, v23, s26
	v_mad_u64_u32 v[36:37], s[6:7], v22, s26, 0
	s_mov_b64 s[12:13], -1
	s_waitcnt lgkmcnt(0)
	v_mul_lo_u32 v34, v33, s26
	v_mul_lo_u32 v35, v32, s27
	v_mad_u64_u32 v[32:33], s[6:7], v32, s26, 0
	v_add3_u32 v33, v33, v35, v34
	v_mul_lo_u32 v34, v22, s27
	v_add3_u32 v37, v37, v34, v31
	v_lshl_add_u64 v[34:35], v[32:33], 2, s[36:37]
	v_lshl_add_u64 v[32:33], v[36:37], 2, s[36:37]
	global_load_dword v31, v[34:35], off
	global_load_dword v36, v[32:33], off
	s_waitcnt vmcnt(0)
	v_cmp_eq_u32_e32 vcc, v31, v36
	s_and_saveexec_b64 s[6:7], vcc
	s_cbranch_execz .LBB501_336
; %bb.330:
	s_add_u32 s12, s26, -1
	v_lshl_add_u64 v[32:33], v[32:33], 0, 4
	v_lshl_add_u64 v[34:35], v[34:35], 0, 4
	s_addc_u32 s13, s27, -1
	s_mov_b64 s[14:15], 0
	s_mov_b64 s[36:37], 0
                                        ; implicit-def: $sgpr16_sgpr17
	s_branch .LBB501_333
.LBB501_331:                            ;   in Loop: Header=BB501_333 Depth=1
	global_load_dword v31, v[34:35], off
	global_load_dword v36, v[32:33], off
	s_add_u32 s36, s36, 1
	s_addc_u32 s37, s37, 0
	s_andn2_b64 s[16:17], s[16:17], exec
	v_lshl_add_u64 v[32:33], v[32:33], 0, 4
	v_lshl_add_u64 v[34:35], v[34:35], 0, 4
	s_waitcnt vmcnt(0)
	v_cmp_ne_u32_e32 vcc, v31, v36
	s_and_b64 s[42:43], vcc, exec
	s_or_b64 s[16:17], s[16:17], s[42:43]
.LBB501_332:                            ;   in Loop: Header=BB501_333 Depth=1
	s_and_b64 s[42:43], exec, s[16:17]
	s_or_b64 s[14:15], s[42:43], s[14:15]
	v_mov_b64_e32 v[36:37], s[36:37]
	s_andn2_b64 exec, exec, s[14:15]
	s_cbranch_execz .LBB501_335
.LBB501_333:                            ; =>This Inner Loop Header: Depth=1
	s_or_b64 s[16:17], s[16:17], exec
	s_cmp_eq_u64 s[12:13], s[36:37]
	s_cbranch_scc0 .LBB501_331
; %bb.334:                              ;   in Loop: Header=BB501_333 Depth=1
                                        ; implicit-def: $vgpr32_vgpr33
                                        ; implicit-def: $vgpr34_vgpr35
	s_mov_b64 s[36:37], s[26:27]
	s_branch .LBB501_332
.LBB501_335:
	s_or_b64 exec, exec, s[14:15]
	v_cmp_gt_i64_e32 vcc, s[26:27], v[36:37]
	s_orn2_b64 s[12:13], vcc, exec
.LBB501_336:
	s_or_b64 exec, exec, s[6:7]
.LBB501_337:
	s_and_b64 s[12:13], s[12:13], exec
.LBB501_338:
	s_or_b64 exec, exec, s[2:3]
	v_perm_b32 v34, v30, v30, s40
	s_and_b64 s[14:15], s[12:13], exec
	s_or_b64 s[10:11], s[10:11], exec
                                        ; implicit-def: $vgpr30_vgpr31
.LBB501_339:
	s_or_b64 exec, exec, s[4:5]
.LBB501_340:
	s_and_saveexec_b64 s[2:3], s[10:11]
	s_cbranch_execz .LBB501_342
; %bb.341:
	s_waitcnt vmcnt(0) lgkmcnt(0)
	v_lshlrev_b16_e32 v31, 8, v48
	v_and_b32_e32 v32, 0xff, v49
	v_or_b32_sdwa v31, v39, v31 dst_sel:DWORD dst_unused:UNUSED_PAD src0_sel:BYTE_0 src1_sel:DWORD
	v_lshlrev_b32_e32 v32, 16, v32
	s_movk_i32 s4, 0xff
	v_or_b32_sdwa v31, v31, v32 dst_sel:DWORD dst_unused:UNUSED_PAD src0_sel:WORD_0 src1_sel:DWORD
	v_lshrrev_b32_e32 v32, 24, v34
	v_lshlrev_b16_e32 v32, 8, v32
	v_and_b32_sdwa v33, v34, s4 dst_sel:DWORD dst_unused:UNUSED_PAD src0_sel:WORD_1 src1_sel:DWORD
	v_or_b32_sdwa v32, v33, v32 dst_sel:WORD_1 dst_unused:UNUSED_PAD src0_sel:DWORD src1_sel:DWORD
	v_mov_b32_e32 v33, 8
	v_cndmask_b32_e64 v30, 0, 1, s[14:15]
	v_lshrrev_b32_sdwa v33, v33, v34 dst_sel:BYTE_1 dst_unused:UNUSED_PAD src0_sel:DWORD src1_sel:DWORD
	s_nop 0
	v_or_b32_e32 v30, v30, v33
	v_or_b32_sdwa v30, v30, v32 dst_sel:DWORD dst_unused:UNUSED_PAD src0_sel:WORD_0 src1_sel:DWORD
.LBB501_342:
	s_or_b64 exec, exec, s[2:3]
	s_andn2_b64 vcc, exec, s[8:9]
	s_cbranch_vccnz .LBB501_344
; %bb.343:
	s_waitcnt vmcnt(0) lgkmcnt(0)
	v_and_b32_e32 v32, 0xffff0000, v30
	v_cmp_gt_u32_e32 vcc, s54, v1
	s_mov_b32 s2, 0x40c0100
	s_nop 0
	v_cndmask_b32_e32 v1, v32, v30, vcc
	v_and_b32_e32 v1, 0xffff00ff, v1
	v_cmp_gt_u32_e32 vcc, s54, v43
	s_nop 1
	v_cndmask_b32_e32 v1, v1, v30, vcc
	v_lshrrev_b32_e32 v32, 24, v1
	v_perm_b32 v1, v32, v1, s2
	v_cmp_gt_u32_e32 vcc, s54, v40
	v_and_b32_e32 v32, 0xffffff00, v31
	s_nop 0
	v_cndmask_b32_e32 v1, v1, v30, vcc
	v_and_b32_e32 v1, 0xffffff, v1
	v_cmp_gt_u32_e32 vcc, s54, v44
	s_nop 1
	v_cndmask_b32_e32 v1, v1, v30, vcc
	v_cmp_gt_u32_e32 vcc, s54, v41
	s_nop 1
	v_cndmask_b32_e32 v32, v32, v31, vcc
	v_and_b32_e32 v32, 0xffff00ff, v32
	v_cndmask_b32_e32 v1, v1, v30, vcc
	v_cmp_gt_u32_e32 vcc, s54, v45
	s_nop 1
	v_cndmask_b32_e32 v32, v32, v31, vcc
	v_lshrrev_b32_e32 v33, 24, v32
	v_cndmask_b32_e32 v1, v1, v30, vcc
	v_perm_b32 v32, v33, v32, s2
	v_cmp_gt_u32_e32 vcc, s54, v42
	s_mov_b32 s2, 0x3020104
	s_nop 0
	v_cndmask_b32_e32 v1, v1, v30, vcc
	v_cndmask_b32_e32 v30, v32, v31, vcc
	v_mov_b32_e32 v31, 8
	v_lshrrev_b32_sdwa v31, v31, v30 dst_sel:BYTE_1 dst_unused:UNUSED_PAD src0_sel:DWORD src1_sel:DWORD
	s_nop 0
	v_or_b32_sdwa v31, v30, v31 dst_sel:DWORD dst_unused:UNUSED_PAD src0_sel:BYTE_0 src1_sel:DWORD
	v_and_b32_e32 v31, 0xffff, v31
	v_bfe_u32 v30, v30, 16, 8
	v_lshl_or_b32 v31, v30, 16, v31
	v_perm_b32 v30, v1, v1, s2
.LBB501_344:
	s_waitcnt vmcnt(0) lgkmcnt(0)
	v_and_b32_e32 v1, 0xff, v30
	v_bfe_u32 v43, v30, 8, 8
	v_bfe_u32 v45, v30, 16, 8
	v_alignbit_b32 v32, v31, v30, 24
	v_and_b32_e32 v47, 0xff, v32
	v_and_b32_e32 v48, 0xff, v31
	v_add3_u32 v33, v43, v1, v45
	v_bfe_u32 v49, v31, 8, 8
	v_bfe_u32 v32, v31, 16, 8
	v_add3_u32 v33, v33, v47, v48
	v_add3_u32 v52, v33, v49, v32
	v_mbcnt_lo_u32_b32 v32, -1, 0
	v_mbcnt_hi_u32_b32 v50, -1, v32
	v_and_b32_e32 v32, 15, v50
	v_cmp_eq_u32_e64 s[14:15], 0, v32
	v_cmp_lt_u32_e64 s[12:13], 1, v32
	v_cmp_lt_u32_e64 s[10:11], 3, v32
	;; [unrolled: 1-line block ×3, first 2 shown]
	v_and_b32_e32 v32, 16, v50
	v_cmp_eq_u32_e64 s[6:7], 0, v32
	v_or_b32_e32 v32, 63, v0
	v_cmp_lt_u32_e64 s[2:3], 31, v50
	v_lshrrev_b32_e32 v51, 6, v0
	v_cmp_eq_u32_e64 s[4:5], v32, v0
	s_and_b64 vcc, exec, s[0:1]
	s_barrier
	s_cbranch_vccz .LBB501_371
; %bb.345:
	v_mov_b32_dpp v32, v52 row_shr:1 row_mask:0xf bank_mask:0xf
	v_cndmask_b32_e64 v32, v32, 0, s[14:15]
	v_add_u32_e32 v32, v32, v52
	s_nop 1
	v_mov_b32_dpp v33, v32 row_shr:2 row_mask:0xf bank_mask:0xf
	v_cndmask_b32_e64 v33, 0, v33, s[12:13]
	v_add_u32_e32 v32, v32, v33
	s_nop 1
	;; [unrolled: 4-line block ×4, first 2 shown]
	v_mov_b32_dpp v33, v32 row_bcast:15 row_mask:0xf bank_mask:0xf
	v_cndmask_b32_e64 v33, v33, 0, s[6:7]
	v_add_u32_e32 v32, v32, v33
	s_nop 1
	v_mov_b32_dpp v33, v32 row_bcast:31 row_mask:0xf bank_mask:0xf
	v_cndmask_b32_e64 v33, 0, v33, s[2:3]
	v_add_u32_e32 v32, v32, v33
	s_and_saveexec_b64 s[0:1], s[4:5]
	s_cbranch_execz .LBB501_347
; %bb.346:
	v_lshlrev_b32_e32 v33, 2, v51
	ds_write_b32 v33, v32
.LBB501_347:
	s_or_b64 exec, exec, s[0:1]
	v_cmp_gt_u32_e32 vcc, 8, v0
	s_waitcnt lgkmcnt(0)
	s_barrier
	s_and_saveexec_b64 s[0:1], vcc
	s_cbranch_execz .LBB501_349
; %bb.348:
	v_lshlrev_b32_e32 v33, 2, v0
	ds_read_b32 v34, v33
	v_and_b32_e32 v35, 7, v50
	v_cmp_ne_u32_e32 vcc, 0, v35
	s_waitcnt lgkmcnt(0)
	v_mov_b32_dpp v36, v34 row_shr:1 row_mask:0xf bank_mask:0xf
	v_cndmask_b32_e32 v36, 0, v36, vcc
	v_add_u32_e32 v34, v36, v34
	v_cmp_lt_u32_e32 vcc, 1, v35
	s_nop 0
	v_mov_b32_dpp v36, v34 row_shr:2 row_mask:0xf bank_mask:0xf
	v_cndmask_b32_e32 v36, 0, v36, vcc
	v_add_u32_e32 v34, v34, v36
	v_cmp_lt_u32_e32 vcc, 3, v35
	s_nop 0
	v_mov_b32_dpp v36, v34 row_shr:4 row_mask:0xf bank_mask:0xf
	v_cndmask_b32_e32 v35, 0, v36, vcc
	v_add_u32_e32 v34, v34, v35
	ds_write_b32 v33, v34
.LBB501_349:
	s_or_b64 exec, exec, s[0:1]
	v_cmp_gt_u32_e32 vcc, 64, v0
	v_cmp_lt_u32_e64 s[0:1], 63, v0
	s_waitcnt lgkmcnt(0)
	s_barrier
	s_waitcnt lgkmcnt(0)
                                        ; implicit-def: $vgpr42
	s_and_saveexec_b64 s[16:17], s[0:1]
	s_cbranch_execz .LBB501_351
; %bb.350:
	v_lshl_add_u32 v33, v51, 2, -4
	ds_read_b32 v42, v33
	s_waitcnt lgkmcnt(0)
	v_add_u32_e32 v32, v42, v32
.LBB501_351:
	s_or_b64 exec, exec, s[16:17]
	v_add_u32_e32 v33, -1, v50
	v_and_b32_e32 v34, 64, v50
	v_cmp_lt_i32_e64 s[0:1], v33, v34
	v_cmp_eq_u32_e64 s[16:17], 0, v50
	s_nop 0
	v_cndmask_b32_e64 v33, v33, v50, s[0:1]
	v_lshlrev_b32_e32 v33, 2, v33
	ds_bpermute_b32 v44, v33, v32
	s_and_saveexec_b64 s[0:1], vcc
	s_cbranch_execz .LBB501_370
; %bb.352:
	v_mov_b32_e32 v39, 0
	ds_read_b32 v32, v39 offset:28
	s_and_saveexec_b64 s[26:27], s[16:17]
	s_cbranch_execz .LBB501_354
; %bb.353:
	s_add_i32 s36, s33, 64
	s_mov_b32 s37, 0
	s_lshl_b64 s[36:37], s[36:37], 3
	s_add_u32 s36, s38, s36
	v_mov_b32_e32 v33, 1
	s_addc_u32 s37, s39, s37
	s_waitcnt lgkmcnt(0)
	global_store_dwordx2 v39, v[32:33], s[36:37] sc1
.LBB501_354:
	s_or_b64 exec, exec, s[26:27]
	v_xad_u32 v34, v50, -1, s33
	v_add_u32_e32 v38, 64, v34
	v_lshl_add_u64 v[40:41], v[38:39], 3, s[38:39]
	global_load_dwordx2 v[36:37], v[40:41], off sc1
	s_waitcnt vmcnt(0)
	v_cmp_eq_u16_sdwa s[36:37], v37, v39 src0_sel:BYTE_0 src1_sel:DWORD
	s_and_saveexec_b64 s[26:27], s[36:37]
	s_cbranch_execz .LBB501_358
; %bb.355:
	s_mov_b64 s[36:37], 0
	v_mov_b32_e32 v33, 0
.LBB501_356:                            ; =>This Inner Loop Header: Depth=1
	global_load_dwordx2 v[36:37], v[40:41], off sc1
	s_waitcnt vmcnt(0)
	v_cmp_ne_u16_sdwa s[40:41], v37, v33 src0_sel:BYTE_0 src1_sel:DWORD
	s_or_b64 s[36:37], s[40:41], s[36:37]
	s_andn2_b64 exec, exec, s[36:37]
	s_cbranch_execnz .LBB501_356
; %bb.357:
	s_or_b64 exec, exec, s[36:37]
.LBB501_358:
	s_or_b64 exec, exec, s[26:27]
	v_and_b32_e32 v46, 63, v50
	v_mov_b32_e32 v33, 2
	v_cmp_ne_u32_e32 vcc, 63, v46
	v_cmp_eq_u16_sdwa s[26:27], v37, v33 src0_sel:BYTE_0 src1_sel:DWORD
	v_lshlrev_b64 v[38:39], v50, -1
	v_addc_co_u32_e32 v41, vcc, 0, v50, vcc
	v_and_b32_e32 v35, s27, v39
	v_lshlrev_b32_e32 v53, 2, v41
	v_or_b32_e32 v35, 0x80000000, v35
	ds_bpermute_b32 v41, v53, v36
	v_and_b32_e32 v40, s26, v38
	v_ffbl_b32_e32 v35, v35
	v_add_u32_e32 v35, 32, v35
	v_ffbl_b32_e32 v40, v40
	v_min_u32_e32 v35, v40, v35
	v_cmp_lt_u32_e32 vcc, v46, v35
	v_add_u32_e32 v55, 2, v46
	v_add_u32_e32 v57, 4, v46
	s_waitcnt lgkmcnt(0)
	v_cndmask_b32_e32 v40, 0, v41, vcc
	v_cmp_gt_u32_e32 vcc, 62, v46
	v_add_u32_e32 v36, v40, v36
	v_add_u32_e32 v59, 8, v46
	v_cndmask_b32_e64 v40, 0, 1, vcc
	v_lshlrev_b32_e32 v40, 1, v40
	v_add_lshl_u32 v54, v40, v50, 2
	ds_bpermute_b32 v40, v54, v36
	v_cmp_le_u32_e32 vcc, v55, v35
	v_add_u32_e32 v62, 16, v46
	v_add_u32_e32 v64, 32, v46
	s_waitcnt lgkmcnt(0)
	v_cndmask_b32_e32 v40, 0, v40, vcc
	v_cmp_gt_u32_e32 vcc, 60, v46
	v_add_u32_e32 v36, v36, v40
	s_nop 0
	v_cndmask_b32_e64 v40, 0, 1, vcc
	v_lshlrev_b32_e32 v40, 2, v40
	v_add_lshl_u32 v56, v40, v50, 2
	ds_bpermute_b32 v40, v56, v36
	v_cmp_le_u32_e32 vcc, v57, v35
	s_waitcnt lgkmcnt(0)
	s_nop 0
	v_cndmask_b32_e32 v40, 0, v40, vcc
	v_cmp_gt_u32_e32 vcc, 56, v46
	v_add_u32_e32 v36, v36, v40
	s_nop 0
	v_cndmask_b32_e64 v40, 0, 1, vcc
	v_lshlrev_b32_e32 v40, 3, v40
	v_add_lshl_u32 v58, v40, v50, 2
	ds_bpermute_b32 v40, v58, v36
	v_cmp_le_u32_e32 vcc, v59, v35
	s_waitcnt lgkmcnt(0)
	s_nop 0
	;; [unrolled: 11-line block ×4, first 2 shown]
	v_cndmask_b32_e32 v35, 0, v40, vcc
	v_add_u32_e32 v36, v36, v35
	v_mov_b32_e32 v35, 0
	s_branch .LBB501_360
.LBB501_359:                            ;   in Loop: Header=BB501_360 Depth=1
	s_or_b64 exec, exec, s[26:27]
	v_cmp_eq_u16_sdwa s[26:27], v37, v33 src0_sel:BYTE_0 src1_sel:DWORD
	ds_bpermute_b32 v65, v53, v36
	v_subrev_u32_e32 v34, 64, v34
	v_and_b32_e32 v40, s27, v39
	v_or_b32_e32 v40, 0x80000000, v40
	v_and_b32_e32 v41, s26, v38
	v_ffbl_b32_e32 v40, v40
	v_add_u32_e32 v40, 32, v40
	v_ffbl_b32_e32 v41, v41
	v_min_u32_e32 v40, v41, v40
	v_cmp_lt_u32_e32 vcc, v46, v40
	s_waitcnt lgkmcnt(0)
	s_nop 0
	v_cndmask_b32_e32 v41, 0, v65, vcc
	v_add_u32_e32 v36, v41, v36
	ds_bpermute_b32 v41, v54, v36
	v_cmp_le_u32_e32 vcc, v55, v40
	s_waitcnt lgkmcnt(0)
	s_nop 0
	v_cndmask_b32_e32 v41, 0, v41, vcc
	v_add_u32_e32 v36, v36, v41
	ds_bpermute_b32 v41, v56, v36
	v_cmp_le_u32_e32 vcc, v57, v40
	;; [unrolled: 6-line block ×5, first 2 shown]
	s_waitcnt lgkmcnt(0)
	s_nop 0
	v_cndmask_b32_e32 v40, 0, v41, vcc
	v_add3_u32 v36, v40, v60, v36
.LBB501_360:                            ; =>This Loop Header: Depth=1
                                        ;     Child Loop BB501_363 Depth 2
	v_cmp_ne_u16_sdwa s[26:27], v37, v33 src0_sel:BYTE_0 src1_sel:DWORD
	v_mov_b32_e32 v60, v36
	s_nop 0
	v_cndmask_b32_e64 v37, 0, 1, s[26:27]
	;;#ASMSTART
	;;#ASMEND
	s_nop 0
	v_cmp_ne_u32_e32 vcc, 0, v37
	s_cmp_lg_u64 vcc, exec
	s_cbranch_scc1 .LBB501_365
; %bb.361:                              ;   in Loop: Header=BB501_360 Depth=1
	v_lshl_add_u64 v[40:41], v[34:35], 3, s[38:39]
	global_load_dwordx2 v[36:37], v[40:41], off sc1
	s_waitcnt vmcnt(0)
	v_cmp_eq_u16_sdwa s[36:37], v37, v35 src0_sel:BYTE_0 src1_sel:DWORD
	s_and_saveexec_b64 s[26:27], s[36:37]
	s_cbranch_execz .LBB501_359
; %bb.362:                              ;   in Loop: Header=BB501_360 Depth=1
	s_mov_b64 s[36:37], 0
.LBB501_363:                            ;   Parent Loop BB501_360 Depth=1
                                        ; =>  This Inner Loop Header: Depth=2
	global_load_dwordx2 v[36:37], v[40:41], off sc1
	s_waitcnt vmcnt(0)
	v_cmp_ne_u16_sdwa s[40:41], v37, v35 src0_sel:BYTE_0 src1_sel:DWORD
	s_or_b64 s[36:37], s[40:41], s[36:37]
	s_andn2_b64 exec, exec, s[36:37]
	s_cbranch_execnz .LBB501_363
; %bb.364:                              ;   in Loop: Header=BB501_360 Depth=1
	s_or_b64 exec, exec, s[36:37]
	s_branch .LBB501_359
.LBB501_365:                            ;   in Loop: Header=BB501_360 Depth=1
                                        ; implicit-def: $vgpr36
                                        ; implicit-def: $vgpr37
	s_cbranch_execz .LBB501_360
; %bb.366:
	s_and_saveexec_b64 s[26:27], s[16:17]
	s_cbranch_execz .LBB501_368
; %bb.367:
	s_add_i32 s36, s33, 64
	s_mov_b32 s37, 0
	s_lshl_b64 s[36:37], s[36:37], 3
	s_add_u32 s36, s38, s36
	v_add_u32_e32 v34, v60, v32
	v_mov_b32_e32 v35, 2
	s_addc_u32 s37, s39, s37
	v_mov_b32_e32 v33, 0
	s_movk_i32 s33, 0x7000
	global_store_dwordx2 v33, v[34:35], s[36:37] sc1
	v_add_u32_e64 v33, s33, 0
	ds_write2_b32 v33, v32, v60 offset1:2
.LBB501_368:
	s_or_b64 exec, exec, s[26:27]
	s_and_b64 exec, exec, s[18:19]
	s_cbranch_execz .LBB501_370
; %bb.369:
	v_mov_b32_e32 v32, 0
	ds_write_b32 v32, v60 offset:28
.LBB501_370:
	s_or_b64 exec, exec, s[0:1]
	v_mov_b32_e32 v32, 0
	s_waitcnt lgkmcnt(0)
	s_barrier
	ds_read_b32 v32, v32 offset:28
	v_cndmask_b32_e64 v33, v44, v42, s[16:17]
	v_cndmask_b32_e64 v33, v33, 0, s[18:19]
	s_movk_i32 s0, 0x7000
	s_waitcnt lgkmcnt(0)
	v_add_u32_e32 v46, v32, v33
	v_add_u32_e64 v32, s0, 0
	v_add_u32_e32 v44, v46, v1
	s_barrier
	ds_read2_b32 v[32:33], v32 offset1:2
	v_add_u32_e32 v42, v44, v43
	v_add_u32_e32 v40, v42, v45
	;; [unrolled: 1-line block ×5, first 2 shown]
	s_waitcnt lgkmcnt(0)
	v_readfirstlane_b32 s26, v32
	v_readfirstlane_b32 s16, v33
	v_lshrrev_b64 v[32:33], 24, v[30:31]
	s_branch .LBB501_381
.LBB501_371:
                                        ; implicit-def: $vgpr34
                                        ; implicit-def: $vgpr36
                                        ; implicit-def: $vgpr38
                                        ; implicit-def: $vgpr40
                                        ; implicit-def: $vgpr42
                                        ; implicit-def: $vgpr44
                                        ; implicit-def: $vgpr46
                                        ; implicit-def: $sgpr16
                                        ; implicit-def: $sgpr26
	v_lshrrev_b64 v[32:33], 24, v[30:31]
	s_cbranch_execz .LBB501_381
; %bb.372:
	s_nop 0
	v_mov_b32_dpp v33, v52 row_shr:1 row_mask:0xf bank_mask:0xf
	v_cndmask_b32_e64 v33, v33, 0, s[14:15]
	v_add_u32_e32 v33, v33, v52
	s_nop 1
	v_mov_b32_dpp v34, v33 row_shr:2 row_mask:0xf bank_mask:0xf
	v_cndmask_b32_e64 v34, 0, v34, s[12:13]
	v_add_u32_e32 v33, v33, v34
	;; [unrolled: 4-line block ×4, first 2 shown]
	s_nop 1
	v_mov_b32_dpp v34, v33 row_bcast:15 row_mask:0xf bank_mask:0xf
	v_cndmask_b32_e64 v34, v34, 0, s[6:7]
	v_add_u32_e32 v33, v33, v34
	s_nop 1
	v_mov_b32_dpp v34, v33 row_bcast:31 row_mask:0xf bank_mask:0xf
	v_cndmask_b32_e64 v34, 0, v34, s[2:3]
	v_add_u32_e32 v33, v33, v34
	s_and_saveexec_b64 s[0:1], s[4:5]
	s_cbranch_execz .LBB501_374
; %bb.373:
	v_lshlrev_b32_e32 v34, 2, v51
	ds_write_b32 v34, v33
.LBB501_374:
	s_or_b64 exec, exec, s[0:1]
	v_cmp_gt_u32_e32 vcc, 8, v0
	s_waitcnt lgkmcnt(0)
	s_barrier
	s_and_saveexec_b64 s[0:1], vcc
	s_cbranch_execz .LBB501_376
; %bb.375:
	v_lshlrev_b32_e32 v34, 2, v0
	ds_read_b32 v35, v34
	v_and_b32_e32 v36, 7, v50
	v_cmp_ne_u32_e32 vcc, 0, v36
	s_waitcnt lgkmcnt(0)
	v_mov_b32_dpp v37, v35 row_shr:1 row_mask:0xf bank_mask:0xf
	v_cndmask_b32_e32 v37, 0, v37, vcc
	v_add_u32_e32 v35, v37, v35
	v_cmp_lt_u32_e32 vcc, 1, v36
	s_nop 0
	v_mov_b32_dpp v37, v35 row_shr:2 row_mask:0xf bank_mask:0xf
	v_cndmask_b32_e32 v37, 0, v37, vcc
	v_add_u32_e32 v35, v35, v37
	v_cmp_lt_u32_e32 vcc, 3, v36
	s_nop 0
	v_mov_b32_dpp v37, v35 row_shr:4 row_mask:0xf bank_mask:0xf
	v_cndmask_b32_e32 v36, 0, v37, vcc
	v_add_u32_e32 v35, v35, v36
	ds_write_b32 v34, v35
.LBB501_376:
	s_or_b64 exec, exec, s[0:1]
	v_cmp_lt_u32_e32 vcc, 63, v0
	v_mov_b32_e32 v35, 0
	v_mov_b32_e32 v34, 0
	s_waitcnt lgkmcnt(0)
	s_barrier
	s_and_saveexec_b64 s[0:1], vcc
	s_cbranch_execz .LBB501_378
; %bb.377:
	v_lshl_add_u32 v34, v51, 2, -4
	ds_read_b32 v34, v34
.LBB501_378:
	s_or_b64 exec, exec, s[0:1]
	v_add_u32_e32 v36, -1, v50
	v_and_b32_e32 v37, 64, v50
	v_cmp_lt_i32_e32 vcc, v36, v37
	s_waitcnt lgkmcnt(0)
	v_add_u32_e32 v33, v34, v33
	ds_read_b32 v35, v35 offset:28
	v_cndmask_b32_e32 v36, v36, v50, vcc
	v_lshlrev_b32_e32 v36, 2, v36
	ds_bpermute_b32 v33, v36, v33
	s_waitcnt lgkmcnt(1)
	v_readfirstlane_b32 s26, v35
	s_and_saveexec_b64 s[0:1], s[18:19]
	s_cbranch_execz .LBB501_380
; %bb.379:
	v_mov_b32_e32 v35, 0
	v_mov_b32_e32 v36, s26
	;; [unrolled: 1-line block ×3, first 2 shown]
	global_store_dwordx2 v35, v[36:37], s[38:39] offset:512 sc1
.LBB501_380:
	s_or_b64 exec, exec, s[0:1]
	v_cmp_eq_u32_e32 vcc, 0, v50
	s_mov_b32 s16, 0
	s_waitcnt lgkmcnt(0)
	v_cndmask_b32_e32 v33, v33, v34, vcc
	v_cndmask_b32_e64 v46, v33, 0, s[18:19]
	v_add_u32_e32 v44, v46, v1
	v_add_u32_e32 v42, v44, v43
	;; [unrolled: 1-line block ×6, first 2 shown]
	s_barrier
.LBB501_381:
	s_cmpk_lt_u32 s26, 0x201
	s_cselect_b64 s[2:3], -1, 0
	v_lshrrev_b32_e32 v33, 8, v30
	v_lshrrev_b32_e32 v1, 8, v31
	s_mov_b64 s[0:1], -1
	s_and_b64 vcc, exec, s[2:3]
	s_cbranch_vccz .LBB501_404
; %bb.382:
	s_add_i32 s4, s16, s26
	v_cmp_gt_u32_e32 vcc, s4, v46
	s_or_b64 s[6:7], s[34:35], vcc
	s_and_saveexec_b64 s[0:1], s[6:7]
	s_cbranch_execz .LBB501_385
; %bb.383:
	v_and_b32_e32 v35, 1, v30
	v_cmp_eq_u32_e32 vcc, 1, v35
	s_and_b64 exec, exec, vcc
	s_cbranch_execz .LBB501_385
; %bb.384:
	s_lshl_b64 s[6:7], s[22:23], 3
	s_add_u32 s6, s28, s6
	s_addc_u32 s7, s29, s7
	v_mov_b32_e32 v47, 0
	v_lshl_add_u64 v[48:49], v[46:47], 3, s[6:7]
	global_store_dwordx2 v[48:49], v[22:23], off
.LBB501_385:
	s_or_b64 exec, exec, s[0:1]
	v_cmp_gt_u32_e32 vcc, s4, v44
	s_or_b64 s[6:7], s[34:35], vcc
	s_and_saveexec_b64 s[0:1], s[6:7]
	s_cbranch_execz .LBB501_388
; %bb.386:
	v_and_b32_e32 v35, 1, v33
	v_cmp_eq_u32_e32 vcc, 1, v35
	s_and_b64 exec, exec, vcc
	s_cbranch_execz .LBB501_388
; %bb.387:
	s_lshl_b64 s[6:7], s[22:23], 3
	s_add_u32 s6, s28, s6
	s_addc_u32 s7, s29, s7
	v_mov_b32_e32 v45, 0
	v_lshl_add_u64 v[48:49], v[44:45], 3, s[6:7]
	global_store_dwordx2 v[48:49], v[24:25], off
.LBB501_388:
	s_or_b64 exec, exec, s[0:1]
	v_cmp_gt_u32_e32 vcc, s4, v42
	s_or_b64 s[6:7], s[34:35], vcc
	s_and_saveexec_b64 s[0:1], s[6:7]
	s_cbranch_execz .LBB501_391
; %bb.389:
	v_mov_b32_e32 v35, 1
	v_and_b32_sdwa v35, v35, v30 dst_sel:DWORD dst_unused:UNUSED_PAD src0_sel:DWORD src1_sel:WORD_1
	v_cmp_eq_u32_e32 vcc, 1, v35
	s_and_b64 exec, exec, vcc
	s_cbranch_execz .LBB501_391
; %bb.390:
	s_lshl_b64 s[6:7], s[22:23], 3
	s_add_u32 s6, s28, s6
	s_addc_u32 s7, s29, s7
	v_mov_b32_e32 v43, 0
	v_lshl_add_u64 v[48:49], v[42:43], 3, s[6:7]
	global_store_dwordx2 v[48:49], v[18:19], off
.LBB501_391:
	s_or_b64 exec, exec, s[0:1]
	v_cmp_gt_u32_e32 vcc, s4, v40
	s_or_b64 s[6:7], s[34:35], vcc
	s_and_saveexec_b64 s[0:1], s[6:7]
	s_cbranch_execz .LBB501_394
; %bb.392:
	v_and_b32_e32 v35, 1, v32
	v_cmp_eq_u32_e32 vcc, 1, v35
	s_and_b64 exec, exec, vcc
	s_cbranch_execz .LBB501_394
; %bb.393:
	s_lshl_b64 s[6:7], s[22:23], 3
	s_add_u32 s6, s28, s6
	s_addc_u32 s7, s29, s7
	v_mov_b32_e32 v41, 0
	v_lshl_add_u64 v[48:49], v[40:41], 3, s[6:7]
	global_store_dwordx2 v[48:49], v[20:21], off
.LBB501_394:
	s_or_b64 exec, exec, s[0:1]
	v_cmp_gt_u32_e32 vcc, s4, v38
	s_or_b64 s[6:7], s[34:35], vcc
	s_and_saveexec_b64 s[0:1], s[6:7]
	s_cbranch_execz .LBB501_397
; %bb.395:
	v_and_b32_e32 v35, 1, v31
	v_cmp_eq_u32_e32 vcc, 1, v35
	s_and_b64 exec, exec, vcc
	s_cbranch_execz .LBB501_397
; %bb.396:
	s_lshl_b64 s[6:7], s[22:23], 3
	s_add_u32 s6, s28, s6
	s_addc_u32 s7, s29, s7
	v_mov_b32_e32 v39, 0
	v_lshl_add_u64 v[48:49], v[38:39], 3, s[6:7]
	global_store_dwordx2 v[48:49], v[14:15], off
.LBB501_397:
	;; [unrolled: 18-line block ×3, first 2 shown]
	s_or_b64 exec, exec, s[0:1]
	v_cmp_gt_u32_e32 vcc, s4, v34
	s_or_b64 s[4:5], s[34:35], vcc
	s_and_saveexec_b64 s[0:1], s[4:5]
	s_cbranch_execz .LBB501_403
; %bb.401:
	v_mov_b32_e32 v35, 1
	v_and_b32_sdwa v35, v35, v31 dst_sel:DWORD dst_unused:UNUSED_PAD src0_sel:DWORD src1_sel:WORD_1
	v_cmp_eq_u32_e32 vcc, 1, v35
	s_and_b64 exec, exec, vcc
	s_cbranch_execz .LBB501_403
; %bb.402:
	s_lshl_b64 s[4:5], s[22:23], 3
	s_add_u32 s4, s28, s4
	s_addc_u32 s5, s29, s5
	v_mov_b32_e32 v35, 0
	v_lshl_add_u64 v[48:49], v[34:35], 3, s[4:5]
	global_store_dwordx2 v[48:49], v[28:29], off
.LBB501_403:
	s_or_b64 exec, exec, s[0:1]
	s_mov_b64 s[0:1], 0
.LBB501_404:
	v_and_b32_e32 v48, 1, v30
	s_and_b64 vcc, exec, s[0:1]
	v_cmp_eq_u32_e64 s[0:1], 1, v48
	s_cbranch_vccz .LBB501_423
; %bb.405:
	s_and_saveexec_b64 s[4:5], s[0:1]
	s_cbranch_execz .LBB501_407
; %bb.406:
	v_subrev_u32_e32 v35, s16, v46
	v_lshlrev_b32_e32 v35, 3, v35
	ds_write_b64 v35, v[22:23]
.LBB501_407:
	s_or_b64 exec, exec, s[4:5]
	v_and_b32_e32 v22, 1, v33
	v_cmp_eq_u32_e32 vcc, 1, v22
	s_and_saveexec_b64 s[0:1], vcc
	s_cbranch_execz .LBB501_409
; %bb.408:
	v_subrev_u32_e32 v22, s16, v44
	v_lshlrev_b32_e32 v22, 3, v22
	ds_write_b64 v22, v[24:25]
.LBB501_409:
	s_or_b64 exec, exec, s[0:1]
	v_mov_b32_e32 v22, 1
	v_and_b32_sdwa v22, v22, v30 dst_sel:DWORD dst_unused:UNUSED_PAD src0_sel:DWORD src1_sel:WORD_1
	v_cmp_eq_u32_e32 vcc, 1, v22
	s_and_saveexec_b64 s[0:1], vcc
	s_cbranch_execz .LBB501_411
; %bb.410:
	v_subrev_u32_e32 v22, s16, v42
	v_lshlrev_b32_e32 v22, 3, v22
	ds_write_b64 v22, v[18:19]
.LBB501_411:
	s_or_b64 exec, exec, s[0:1]
	v_and_b32_e32 v18, 1, v32
	v_cmp_eq_u32_e32 vcc, 1, v18
	s_and_saveexec_b64 s[0:1], vcc
	s_cbranch_execz .LBB501_413
; %bb.412:
	v_subrev_u32_e32 v18, s16, v40
	v_lshlrev_b32_e32 v18, 3, v18
	ds_write_b64 v18, v[20:21]
.LBB501_413:
	s_or_b64 exec, exec, s[0:1]
	v_and_b32_e32 v18, 1, v31
	;; [unrolled: 10-line block ×3, first 2 shown]
	v_cmp_eq_u32_e32 vcc, 1, v14
	s_and_saveexec_b64 s[0:1], vcc
	s_cbranch_execz .LBB501_417
; %bb.416:
	v_subrev_u32_e32 v14, s16, v36
	v_lshlrev_b32_e32 v14, 3, v14
	ds_write_b64 v14, v[16:17]
.LBB501_417:
	s_or_b64 exec, exec, s[0:1]
	v_mov_b32_e32 v14, 1
	v_and_b32_sdwa v14, v14, v31 dst_sel:DWORD dst_unused:UNUSED_PAD src0_sel:DWORD src1_sel:WORD_1
	v_cmp_eq_u32_e32 vcc, 1, v14
	s_and_saveexec_b64 s[0:1], vcc
	s_cbranch_execz .LBB501_419
; %bb.418:
	v_subrev_u32_e32 v14, s16, v34
	v_lshlrev_b32_e32 v14, 3, v14
	ds_write_b64 v14, v[28:29]
.LBB501_419:
	s_or_b64 exec, exec, s[0:1]
	v_cmp_gt_u32_e32 vcc, s26, v0
	s_waitcnt lgkmcnt(0)
	s_barrier
	s_and_saveexec_b64 s[0:1], vcc
	s_cbranch_execz .LBB501_422
; %bb.420:
	s_mov_b32 s17, 0
	s_lshl_b64 s[4:5], s[22:23], 3
	s_lshl_b64 s[6:7], s[16:17], 3
	s_add_u32 s4, s4, s6
	s_addc_u32 s5, s5, s7
	s_add_u32 s4, s28, s4
	v_lshlrev_b32_e32 v14, 3, v0
	v_mov_b32_e32 v15, 0
	s_addc_u32 s5, s29, s5
	v_lshl_add_u64 v[16:17], s[4:5], 0, v[14:15]
	s_mov_b64 s[4:5], 0
	s_mov_b64 s[6:7], 0x1000
	v_mov_b32_e32 v15, v0
.LBB501_421:                            ; =>This Inner Loop Header: Depth=1
	ds_read_b64 v[18:19], v14
	v_add_u32_e32 v15, 0x200, v15
	v_cmp_le_u32_e32 vcc, s26, v15
	v_add_u32_e32 v14, 0x1000, v14
	s_or_b64 s[4:5], vcc, s[4:5]
	s_waitcnt lgkmcnt(0)
	global_store_dwordx2 v[16:17], v[18:19], off
	v_lshl_add_u64 v[16:17], v[16:17], 0, s[6:7]
	s_andn2_b64 exec, exec, s[4:5]
	s_cbranch_execnz .LBB501_421
.LBB501_422:
	s_or_b64 exec, exec, s[0:1]
.LBB501_423:
	s_mov_b64 s[0:1], -1
	s_and_b64 vcc, exec, s[2:3]
	s_barrier
	s_cbranch_vccnz .LBB501_427
; %bb.424:
	s_and_b64 vcc, exec, s[0:1]
	s_cbranch_vccnz .LBB501_449
.LBB501_425:
	s_and_b64 s[0:1], s[18:19], s[24:25]
	s_and_saveexec_b64 s[2:3], s[0:1]
	s_cbranch_execnz .LBB501_467
.LBB501_426:
	s_endpgm
.LBB501_427:
	s_add_i32 s2, s16, s26
	v_cmp_gt_u32_e32 vcc, s2, v46
	s_or_b64 s[4:5], s[34:35], vcc
	s_and_saveexec_b64 s[0:1], s[4:5]
	s_cbranch_execz .LBB501_430
; %bb.428:
	v_cmp_eq_u32_e32 vcc, 1, v48
	s_and_b64 exec, exec, vcc
	s_cbranch_execz .LBB501_430
; %bb.429:
	s_lshl_b64 s[4:5], s[22:23], 3
	s_add_u32 s4, s30, s4
	s_addc_u32 s5, s31, s5
	v_mov_b32_e32 v47, 0
	v_lshl_add_u64 v[14:15], v[46:47], 3, s[4:5]
	global_store_dwordx2 v[14:15], v[10:11], off
.LBB501_430:
	s_or_b64 exec, exec, s[0:1]
	v_cmp_gt_u32_e32 vcc, s2, v44
	s_or_b64 s[4:5], s[34:35], vcc
	s_and_saveexec_b64 s[0:1], s[4:5]
	s_cbranch_execz .LBB501_433
; %bb.431:
	v_and_b32_e32 v14, 1, v33
	v_cmp_eq_u32_e32 vcc, 1, v14
	s_and_b64 exec, exec, vcc
	s_cbranch_execz .LBB501_433
; %bb.432:
	s_lshl_b64 s[4:5], s[22:23], 3
	s_add_u32 s4, s30, s4
	s_addc_u32 s5, s31, s5
	v_mov_b32_e32 v45, 0
	v_lshl_add_u64 v[14:15], v[44:45], 3, s[4:5]
	global_store_dwordx2 v[14:15], v[12:13], off
.LBB501_433:
	s_or_b64 exec, exec, s[0:1]
	v_cmp_gt_u32_e32 vcc, s2, v42
	s_or_b64 s[4:5], s[34:35], vcc
	s_and_saveexec_b64 s[0:1], s[4:5]
	s_cbranch_execz .LBB501_436
; %bb.434:
	v_mov_b32_e32 v14, 1
	v_and_b32_sdwa v14, v14, v30 dst_sel:DWORD dst_unused:UNUSED_PAD src0_sel:DWORD src1_sel:WORD_1
	v_cmp_eq_u32_e32 vcc, 1, v14
	s_and_b64 exec, exec, vcc
	s_cbranch_execz .LBB501_436
; %bb.435:
	s_lshl_b64 s[4:5], s[22:23], 3
	s_add_u32 s4, s30, s4
	s_addc_u32 s5, s31, s5
	v_mov_b32_e32 v43, 0
	v_lshl_add_u64 v[14:15], v[42:43], 3, s[4:5]
	global_store_dwordx2 v[14:15], v[6:7], off
.LBB501_436:
	s_or_b64 exec, exec, s[0:1]
	v_cmp_gt_u32_e32 vcc, s2, v40
	s_or_b64 s[4:5], s[34:35], vcc
	s_and_saveexec_b64 s[0:1], s[4:5]
	s_cbranch_execz .LBB501_439
; %bb.437:
	v_and_b32_e32 v14, 1, v32
	v_cmp_eq_u32_e32 vcc, 1, v14
	s_and_b64 exec, exec, vcc
	s_cbranch_execz .LBB501_439
; %bb.438:
	s_lshl_b64 s[4:5], s[22:23], 3
	s_add_u32 s4, s30, s4
	s_addc_u32 s5, s31, s5
	v_mov_b32_e32 v41, 0
	v_lshl_add_u64 v[14:15], v[40:41], 3, s[4:5]
	global_store_dwordx2 v[14:15], v[8:9], off
.LBB501_439:
	s_or_b64 exec, exec, s[0:1]
	v_cmp_gt_u32_e32 vcc, s2, v38
	s_or_b64 s[4:5], s[34:35], vcc
	s_and_saveexec_b64 s[0:1], s[4:5]
	s_cbranch_execz .LBB501_442
; %bb.440:
	v_and_b32_e32 v14, 1, v31
	v_cmp_eq_u32_e32 vcc, 1, v14
	s_and_b64 exec, exec, vcc
	s_cbranch_execz .LBB501_442
; %bb.441:
	s_lshl_b64 s[4:5], s[22:23], 3
	s_add_u32 s4, s30, s4
	s_addc_u32 s5, s31, s5
	v_mov_b32_e32 v39, 0
	v_lshl_add_u64 v[14:15], v[38:39], 3, s[4:5]
	global_store_dwordx2 v[14:15], v[2:3], off
.LBB501_442:
	;; [unrolled: 18-line block ×3, first 2 shown]
	s_or_b64 exec, exec, s[0:1]
	v_cmp_gt_u32_e32 vcc, s2, v34
	s_or_b64 s[2:3], s[34:35], vcc
	s_and_saveexec_b64 s[0:1], s[2:3]
	s_cbranch_execz .LBB501_448
; %bb.446:
	v_mov_b32_e32 v14, 1
	v_and_b32_sdwa v14, v14, v31 dst_sel:DWORD dst_unused:UNUSED_PAD src0_sel:DWORD src1_sel:WORD_1
	v_cmp_eq_u32_e32 vcc, 1, v14
	s_and_b64 exec, exec, vcc
	s_cbranch_execz .LBB501_448
; %bb.447:
	s_lshl_b64 s[2:3], s[22:23], 3
	s_add_u32 s2, s30, s2
	s_addc_u32 s3, s31, s3
	v_mov_b32_e32 v35, 0
	v_lshl_add_u64 v[14:15], v[34:35], 3, s[2:3]
	global_store_dwordx2 v[14:15], v[26:27], off
.LBB501_448:
	s_or_b64 exec, exec, s[0:1]
	s_branch .LBB501_425
.LBB501_449:
	v_cmp_eq_u32_e32 vcc, 1, v48
	s_and_saveexec_b64 s[0:1], vcc
	s_cbranch_execz .LBB501_451
; %bb.450:
	v_subrev_u32_e32 v14, s16, v46
	v_lshlrev_b32_e32 v14, 3, v14
	ds_write_b64 v14, v[10:11]
.LBB501_451:
	s_or_b64 exec, exec, s[0:1]
	v_and_b32_e32 v10, 1, v33
	v_cmp_eq_u32_e32 vcc, 1, v10
	s_and_saveexec_b64 s[0:1], vcc
	s_cbranch_execz .LBB501_453
; %bb.452:
	v_subrev_u32_e32 v10, s16, v44
	v_lshlrev_b32_e32 v10, 3, v10
	ds_write_b64 v10, v[12:13]
.LBB501_453:
	s_or_b64 exec, exec, s[0:1]
	v_mov_b32_e32 v10, 1
	v_and_b32_sdwa v10, v10, v30 dst_sel:DWORD dst_unused:UNUSED_PAD src0_sel:DWORD src1_sel:WORD_1
	v_cmp_eq_u32_e32 vcc, 1, v10
	s_and_saveexec_b64 s[0:1], vcc
	s_cbranch_execz .LBB501_455
; %bb.454:
	v_subrev_u32_e32 v10, s16, v42
	v_lshlrev_b32_e32 v10, 3, v10
	ds_write_b64 v10, v[6:7]
.LBB501_455:
	s_or_b64 exec, exec, s[0:1]
	v_and_b32_e32 v6, 1, v32
	v_cmp_eq_u32_e32 vcc, 1, v6
	s_and_saveexec_b64 s[0:1], vcc
	s_cbranch_execz .LBB501_457
; %bb.456:
	v_subrev_u32_e32 v6, s16, v40
	v_lshlrev_b32_e32 v6, 3, v6
	ds_write_b64 v6, v[8:9]
.LBB501_457:
	s_or_b64 exec, exec, s[0:1]
	v_and_b32_e32 v6, 1, v31
	;; [unrolled: 10-line block ×3, first 2 shown]
	v_cmp_eq_u32_e32 vcc, 1, v1
	s_and_saveexec_b64 s[0:1], vcc
	s_cbranch_execz .LBB501_461
; %bb.460:
	v_subrev_u32_e32 v1, s16, v36
	v_lshlrev_b32_e32 v1, 3, v1
	ds_write_b64 v1, v[4:5]
.LBB501_461:
	s_or_b64 exec, exec, s[0:1]
	v_mov_b32_e32 v1, 1
	v_and_b32_sdwa v1, v1, v31 dst_sel:DWORD dst_unused:UNUSED_PAD src0_sel:DWORD src1_sel:WORD_1
	v_cmp_eq_u32_e32 vcc, 1, v1
	s_and_saveexec_b64 s[0:1], vcc
	s_cbranch_execz .LBB501_463
; %bb.462:
	v_subrev_u32_e32 v1, s16, v34
	v_lshlrev_b32_e32 v1, 3, v1
	ds_write_b64 v1, v[26:27]
.LBB501_463:
	s_or_b64 exec, exec, s[0:1]
	v_cmp_gt_u32_e32 vcc, s26, v0
	s_waitcnt lgkmcnt(0)
	s_barrier
	s_and_saveexec_b64 s[0:1], vcc
	s_cbranch_execz .LBB501_466
; %bb.464:
	s_mov_b32 s17, 0
	s_lshl_b64 s[2:3], s[22:23], 3
	s_lshl_b64 s[4:5], s[16:17], 3
	s_add_u32 s2, s2, s4
	s_addc_u32 s3, s3, s5
	s_add_u32 s2, s30, s2
	v_lshlrev_b32_e32 v2, 3, v0
	v_mov_b32_e32 v3, 0
	s_addc_u32 s3, s31, s3
	v_lshl_add_u64 v[4:5], s[2:3], 0, v[2:3]
	s_mov_b64 s[2:3], 0
	s_mov_b64 s[4:5], 0x1000
.LBB501_465:                            ; =>This Inner Loop Header: Depth=1
	ds_read_b64 v[6:7], v2
	v_add_u32_e32 v0, 0x200, v0
	v_cmp_le_u32_e32 vcc, s26, v0
	v_add_u32_e32 v2, 0x1000, v2
	s_or_b64 s[2:3], vcc, s[2:3]
	s_waitcnt lgkmcnt(0)
	global_store_dwordx2 v[4:5], v[6:7], off
	v_lshl_add_u64 v[4:5], v[4:5], 0, s[4:5]
	s_andn2_b64 exec, exec, s[2:3]
	s_cbranch_execnz .LBB501_465
.LBB501_466:
	s_or_b64 exec, exec, s[0:1]
	s_and_b64 s[0:1], s[18:19], s[24:25]
	s_and_saveexec_b64 s[2:3], s[0:1]
	s_cbranch_execz .LBB501_426
.LBB501_467:
	s_add_u32 s0, s22, s26
	s_addc_u32 s1, s23, 0
	s_add_u32 s0, s0, s16
	s_addc_u32 s1, s1, 0
	v_mov_b32_e32 v2, 0
	v_mov_b64_e32 v[0:1], s[0:1]
	global_store_dwordx2 v2, v[0:1], s[20:21]
	s_endpgm
	.section	.rodata,"a",@progbits
	.p2align	6, 0x0
	.amdhsa_kernel _ZN7rocprim17ROCPRIM_400000_NS6detail17trampoline_kernelINS0_14default_configENS1_25partition_config_selectorILNS1_17partition_subalgoE9EllbEEZZNS1_14partition_implILS5_9ELb0ES3_jPlS8_PNS0_10empty_typeENS0_5tupleIJS8_S9_EEENSB_IJS8_SA_EEENS0_18inequality_wrapperIZN2at6native12_GLOBAL__N_124unique_dim_cuda_templateIiEESt5tupleIJNSF_6TensorESK_SK_EERKSK_lbbbEUlllE0_EEPmJS9_EEE10hipError_tPvRmT3_T4_T5_T6_T7_T9_mT8_P12ihipStream_tbDpT10_ENKUlT_T0_E_clISt17integral_constantIbLb0EES19_IbLb1EEEEDaS15_S16_EUlS15_E_NS1_11comp_targetILNS1_3genE5ELNS1_11target_archE942ELNS1_3gpuE9ELNS1_3repE0EEENS1_30default_config_static_selectorELNS0_4arch9wavefront6targetE1EEEvT1_
		.amdhsa_group_segment_fixed_size 28684
		.amdhsa_private_segment_fixed_size 0
		.amdhsa_kernarg_size 136
		.amdhsa_user_sgpr_count 2
		.amdhsa_user_sgpr_dispatch_ptr 0
		.amdhsa_user_sgpr_queue_ptr 0
		.amdhsa_user_sgpr_kernarg_segment_ptr 1
		.amdhsa_user_sgpr_dispatch_id 0
		.amdhsa_user_sgpr_kernarg_preload_length 0
		.amdhsa_user_sgpr_kernarg_preload_offset 0
		.amdhsa_user_sgpr_private_segment_size 0
		.amdhsa_uses_dynamic_stack 0
		.amdhsa_enable_private_segment 0
		.amdhsa_system_sgpr_workgroup_id_x 1
		.amdhsa_system_sgpr_workgroup_id_y 0
		.amdhsa_system_sgpr_workgroup_id_z 0
		.amdhsa_system_sgpr_workgroup_info 0
		.amdhsa_system_vgpr_workitem_id 0
		.amdhsa_next_free_vgpr 66
		.amdhsa_next_free_sgpr 58
		.amdhsa_accum_offset 68
		.amdhsa_reserve_vcc 1
		.amdhsa_float_round_mode_32 0
		.amdhsa_float_round_mode_16_64 0
		.amdhsa_float_denorm_mode_32 3
		.amdhsa_float_denorm_mode_16_64 3
		.amdhsa_dx10_clamp 1
		.amdhsa_ieee_mode 1
		.amdhsa_fp16_overflow 0
		.amdhsa_tg_split 0
		.amdhsa_exception_fp_ieee_invalid_op 0
		.amdhsa_exception_fp_denorm_src 0
		.amdhsa_exception_fp_ieee_div_zero 0
		.amdhsa_exception_fp_ieee_overflow 0
		.amdhsa_exception_fp_ieee_underflow 0
		.amdhsa_exception_fp_ieee_inexact 0
		.amdhsa_exception_int_div_zero 0
	.end_amdhsa_kernel
	.section	.text._ZN7rocprim17ROCPRIM_400000_NS6detail17trampoline_kernelINS0_14default_configENS1_25partition_config_selectorILNS1_17partition_subalgoE9EllbEEZZNS1_14partition_implILS5_9ELb0ES3_jPlS8_PNS0_10empty_typeENS0_5tupleIJS8_S9_EEENSB_IJS8_SA_EEENS0_18inequality_wrapperIZN2at6native12_GLOBAL__N_124unique_dim_cuda_templateIiEESt5tupleIJNSF_6TensorESK_SK_EERKSK_lbbbEUlllE0_EEPmJS9_EEE10hipError_tPvRmT3_T4_T5_T6_T7_T9_mT8_P12ihipStream_tbDpT10_ENKUlT_T0_E_clISt17integral_constantIbLb0EES19_IbLb1EEEEDaS15_S16_EUlS15_E_NS1_11comp_targetILNS1_3genE5ELNS1_11target_archE942ELNS1_3gpuE9ELNS1_3repE0EEENS1_30default_config_static_selectorELNS0_4arch9wavefront6targetE1EEEvT1_,"axG",@progbits,_ZN7rocprim17ROCPRIM_400000_NS6detail17trampoline_kernelINS0_14default_configENS1_25partition_config_selectorILNS1_17partition_subalgoE9EllbEEZZNS1_14partition_implILS5_9ELb0ES3_jPlS8_PNS0_10empty_typeENS0_5tupleIJS8_S9_EEENSB_IJS8_SA_EEENS0_18inequality_wrapperIZN2at6native12_GLOBAL__N_124unique_dim_cuda_templateIiEESt5tupleIJNSF_6TensorESK_SK_EERKSK_lbbbEUlllE0_EEPmJS9_EEE10hipError_tPvRmT3_T4_T5_T6_T7_T9_mT8_P12ihipStream_tbDpT10_ENKUlT_T0_E_clISt17integral_constantIbLb0EES19_IbLb1EEEEDaS15_S16_EUlS15_E_NS1_11comp_targetILNS1_3genE5ELNS1_11target_archE942ELNS1_3gpuE9ELNS1_3repE0EEENS1_30default_config_static_selectorELNS0_4arch9wavefront6targetE1EEEvT1_,comdat
.Lfunc_end501:
	.size	_ZN7rocprim17ROCPRIM_400000_NS6detail17trampoline_kernelINS0_14default_configENS1_25partition_config_selectorILNS1_17partition_subalgoE9EllbEEZZNS1_14partition_implILS5_9ELb0ES3_jPlS8_PNS0_10empty_typeENS0_5tupleIJS8_S9_EEENSB_IJS8_SA_EEENS0_18inequality_wrapperIZN2at6native12_GLOBAL__N_124unique_dim_cuda_templateIiEESt5tupleIJNSF_6TensorESK_SK_EERKSK_lbbbEUlllE0_EEPmJS9_EEE10hipError_tPvRmT3_T4_T5_T6_T7_T9_mT8_P12ihipStream_tbDpT10_ENKUlT_T0_E_clISt17integral_constantIbLb0EES19_IbLb1EEEEDaS15_S16_EUlS15_E_NS1_11comp_targetILNS1_3genE5ELNS1_11target_archE942ELNS1_3gpuE9ELNS1_3repE0EEENS1_30default_config_static_selectorELNS0_4arch9wavefront6targetE1EEEvT1_, .Lfunc_end501-_ZN7rocprim17ROCPRIM_400000_NS6detail17trampoline_kernelINS0_14default_configENS1_25partition_config_selectorILNS1_17partition_subalgoE9EllbEEZZNS1_14partition_implILS5_9ELb0ES3_jPlS8_PNS0_10empty_typeENS0_5tupleIJS8_S9_EEENSB_IJS8_SA_EEENS0_18inequality_wrapperIZN2at6native12_GLOBAL__N_124unique_dim_cuda_templateIiEESt5tupleIJNSF_6TensorESK_SK_EERKSK_lbbbEUlllE0_EEPmJS9_EEE10hipError_tPvRmT3_T4_T5_T6_T7_T9_mT8_P12ihipStream_tbDpT10_ENKUlT_T0_E_clISt17integral_constantIbLb0EES19_IbLb1EEEEDaS15_S16_EUlS15_E_NS1_11comp_targetILNS1_3genE5ELNS1_11target_archE942ELNS1_3gpuE9ELNS1_3repE0EEENS1_30default_config_static_selectorELNS0_4arch9wavefront6targetE1EEEvT1_
                                        ; -- End function
	.section	.AMDGPU.csdata,"",@progbits
; Kernel info:
; codeLenInByte = 14484
; NumSgprs: 64
; NumVgprs: 66
; NumAgprs: 0
; TotalNumVgprs: 66
; ScratchSize: 0
; MemoryBound: 0
; FloatMode: 240
; IeeeMode: 1
; LDSByteSize: 28684 bytes/workgroup (compile time only)
; SGPRBlocks: 7
; VGPRBlocks: 8
; NumSGPRsForWavesPerEU: 64
; NumVGPRsForWavesPerEU: 66
; AccumOffset: 68
; Occupancy: 4
; WaveLimiterHint : 1
; COMPUTE_PGM_RSRC2:SCRATCH_EN: 0
; COMPUTE_PGM_RSRC2:USER_SGPR: 2
; COMPUTE_PGM_RSRC2:TRAP_HANDLER: 0
; COMPUTE_PGM_RSRC2:TGID_X_EN: 1
; COMPUTE_PGM_RSRC2:TGID_Y_EN: 0
; COMPUTE_PGM_RSRC2:TGID_Z_EN: 0
; COMPUTE_PGM_RSRC2:TIDIG_COMP_CNT: 0
; COMPUTE_PGM_RSRC3_GFX90A:ACCUM_OFFSET: 16
; COMPUTE_PGM_RSRC3_GFX90A:TG_SPLIT: 0
	.section	.text._ZN7rocprim17ROCPRIM_400000_NS6detail17trampoline_kernelINS0_14default_configENS1_25partition_config_selectorILNS1_17partition_subalgoE9EllbEEZZNS1_14partition_implILS5_9ELb0ES3_jPlS8_PNS0_10empty_typeENS0_5tupleIJS8_S9_EEENSB_IJS8_SA_EEENS0_18inequality_wrapperIZN2at6native12_GLOBAL__N_124unique_dim_cuda_templateIiEESt5tupleIJNSF_6TensorESK_SK_EERKSK_lbbbEUlllE0_EEPmJS9_EEE10hipError_tPvRmT3_T4_T5_T6_T7_T9_mT8_P12ihipStream_tbDpT10_ENKUlT_T0_E_clISt17integral_constantIbLb0EES19_IbLb1EEEEDaS15_S16_EUlS15_E_NS1_11comp_targetILNS1_3genE4ELNS1_11target_archE910ELNS1_3gpuE8ELNS1_3repE0EEENS1_30default_config_static_selectorELNS0_4arch9wavefront6targetE1EEEvT1_,"axG",@progbits,_ZN7rocprim17ROCPRIM_400000_NS6detail17trampoline_kernelINS0_14default_configENS1_25partition_config_selectorILNS1_17partition_subalgoE9EllbEEZZNS1_14partition_implILS5_9ELb0ES3_jPlS8_PNS0_10empty_typeENS0_5tupleIJS8_S9_EEENSB_IJS8_SA_EEENS0_18inequality_wrapperIZN2at6native12_GLOBAL__N_124unique_dim_cuda_templateIiEESt5tupleIJNSF_6TensorESK_SK_EERKSK_lbbbEUlllE0_EEPmJS9_EEE10hipError_tPvRmT3_T4_T5_T6_T7_T9_mT8_P12ihipStream_tbDpT10_ENKUlT_T0_E_clISt17integral_constantIbLb0EES19_IbLb1EEEEDaS15_S16_EUlS15_E_NS1_11comp_targetILNS1_3genE4ELNS1_11target_archE910ELNS1_3gpuE8ELNS1_3repE0EEENS1_30default_config_static_selectorELNS0_4arch9wavefront6targetE1EEEvT1_,comdat
	.globl	_ZN7rocprim17ROCPRIM_400000_NS6detail17trampoline_kernelINS0_14default_configENS1_25partition_config_selectorILNS1_17partition_subalgoE9EllbEEZZNS1_14partition_implILS5_9ELb0ES3_jPlS8_PNS0_10empty_typeENS0_5tupleIJS8_S9_EEENSB_IJS8_SA_EEENS0_18inequality_wrapperIZN2at6native12_GLOBAL__N_124unique_dim_cuda_templateIiEESt5tupleIJNSF_6TensorESK_SK_EERKSK_lbbbEUlllE0_EEPmJS9_EEE10hipError_tPvRmT3_T4_T5_T6_T7_T9_mT8_P12ihipStream_tbDpT10_ENKUlT_T0_E_clISt17integral_constantIbLb0EES19_IbLb1EEEEDaS15_S16_EUlS15_E_NS1_11comp_targetILNS1_3genE4ELNS1_11target_archE910ELNS1_3gpuE8ELNS1_3repE0EEENS1_30default_config_static_selectorELNS0_4arch9wavefront6targetE1EEEvT1_ ; -- Begin function _ZN7rocprim17ROCPRIM_400000_NS6detail17trampoline_kernelINS0_14default_configENS1_25partition_config_selectorILNS1_17partition_subalgoE9EllbEEZZNS1_14partition_implILS5_9ELb0ES3_jPlS8_PNS0_10empty_typeENS0_5tupleIJS8_S9_EEENSB_IJS8_SA_EEENS0_18inequality_wrapperIZN2at6native12_GLOBAL__N_124unique_dim_cuda_templateIiEESt5tupleIJNSF_6TensorESK_SK_EERKSK_lbbbEUlllE0_EEPmJS9_EEE10hipError_tPvRmT3_T4_T5_T6_T7_T9_mT8_P12ihipStream_tbDpT10_ENKUlT_T0_E_clISt17integral_constantIbLb0EES19_IbLb1EEEEDaS15_S16_EUlS15_E_NS1_11comp_targetILNS1_3genE4ELNS1_11target_archE910ELNS1_3gpuE8ELNS1_3repE0EEENS1_30default_config_static_selectorELNS0_4arch9wavefront6targetE1EEEvT1_
	.p2align	8
	.type	_ZN7rocprim17ROCPRIM_400000_NS6detail17trampoline_kernelINS0_14default_configENS1_25partition_config_selectorILNS1_17partition_subalgoE9EllbEEZZNS1_14partition_implILS5_9ELb0ES3_jPlS8_PNS0_10empty_typeENS0_5tupleIJS8_S9_EEENSB_IJS8_SA_EEENS0_18inequality_wrapperIZN2at6native12_GLOBAL__N_124unique_dim_cuda_templateIiEESt5tupleIJNSF_6TensorESK_SK_EERKSK_lbbbEUlllE0_EEPmJS9_EEE10hipError_tPvRmT3_T4_T5_T6_T7_T9_mT8_P12ihipStream_tbDpT10_ENKUlT_T0_E_clISt17integral_constantIbLb0EES19_IbLb1EEEEDaS15_S16_EUlS15_E_NS1_11comp_targetILNS1_3genE4ELNS1_11target_archE910ELNS1_3gpuE8ELNS1_3repE0EEENS1_30default_config_static_selectorELNS0_4arch9wavefront6targetE1EEEvT1_,@function
_ZN7rocprim17ROCPRIM_400000_NS6detail17trampoline_kernelINS0_14default_configENS1_25partition_config_selectorILNS1_17partition_subalgoE9EllbEEZZNS1_14partition_implILS5_9ELb0ES3_jPlS8_PNS0_10empty_typeENS0_5tupleIJS8_S9_EEENSB_IJS8_SA_EEENS0_18inequality_wrapperIZN2at6native12_GLOBAL__N_124unique_dim_cuda_templateIiEESt5tupleIJNSF_6TensorESK_SK_EERKSK_lbbbEUlllE0_EEPmJS9_EEE10hipError_tPvRmT3_T4_T5_T6_T7_T9_mT8_P12ihipStream_tbDpT10_ENKUlT_T0_E_clISt17integral_constantIbLb0EES19_IbLb1EEEEDaS15_S16_EUlS15_E_NS1_11comp_targetILNS1_3genE4ELNS1_11target_archE910ELNS1_3gpuE8ELNS1_3repE0EEENS1_30default_config_static_selectorELNS0_4arch9wavefront6targetE1EEEvT1_: ; @_ZN7rocprim17ROCPRIM_400000_NS6detail17trampoline_kernelINS0_14default_configENS1_25partition_config_selectorILNS1_17partition_subalgoE9EllbEEZZNS1_14partition_implILS5_9ELb0ES3_jPlS8_PNS0_10empty_typeENS0_5tupleIJS8_S9_EEENSB_IJS8_SA_EEENS0_18inequality_wrapperIZN2at6native12_GLOBAL__N_124unique_dim_cuda_templateIiEESt5tupleIJNSF_6TensorESK_SK_EERKSK_lbbbEUlllE0_EEPmJS9_EEE10hipError_tPvRmT3_T4_T5_T6_T7_T9_mT8_P12ihipStream_tbDpT10_ENKUlT_T0_E_clISt17integral_constantIbLb0EES19_IbLb1EEEEDaS15_S16_EUlS15_E_NS1_11comp_targetILNS1_3genE4ELNS1_11target_archE910ELNS1_3gpuE8ELNS1_3repE0EEENS1_30default_config_static_selectorELNS0_4arch9wavefront6targetE1EEEvT1_
; %bb.0:
	.section	.rodata,"a",@progbits
	.p2align	6, 0x0
	.amdhsa_kernel _ZN7rocprim17ROCPRIM_400000_NS6detail17trampoline_kernelINS0_14default_configENS1_25partition_config_selectorILNS1_17partition_subalgoE9EllbEEZZNS1_14partition_implILS5_9ELb0ES3_jPlS8_PNS0_10empty_typeENS0_5tupleIJS8_S9_EEENSB_IJS8_SA_EEENS0_18inequality_wrapperIZN2at6native12_GLOBAL__N_124unique_dim_cuda_templateIiEESt5tupleIJNSF_6TensorESK_SK_EERKSK_lbbbEUlllE0_EEPmJS9_EEE10hipError_tPvRmT3_T4_T5_T6_T7_T9_mT8_P12ihipStream_tbDpT10_ENKUlT_T0_E_clISt17integral_constantIbLb0EES19_IbLb1EEEEDaS15_S16_EUlS15_E_NS1_11comp_targetILNS1_3genE4ELNS1_11target_archE910ELNS1_3gpuE8ELNS1_3repE0EEENS1_30default_config_static_selectorELNS0_4arch9wavefront6targetE1EEEvT1_
		.amdhsa_group_segment_fixed_size 0
		.amdhsa_private_segment_fixed_size 0
		.amdhsa_kernarg_size 136
		.amdhsa_user_sgpr_count 2
		.amdhsa_user_sgpr_dispatch_ptr 0
		.amdhsa_user_sgpr_queue_ptr 0
		.amdhsa_user_sgpr_kernarg_segment_ptr 1
		.amdhsa_user_sgpr_dispatch_id 0
		.amdhsa_user_sgpr_kernarg_preload_length 0
		.amdhsa_user_sgpr_kernarg_preload_offset 0
		.amdhsa_user_sgpr_private_segment_size 0
		.amdhsa_uses_dynamic_stack 0
		.amdhsa_enable_private_segment 0
		.amdhsa_system_sgpr_workgroup_id_x 1
		.amdhsa_system_sgpr_workgroup_id_y 0
		.amdhsa_system_sgpr_workgroup_id_z 0
		.amdhsa_system_sgpr_workgroup_info 0
		.amdhsa_system_vgpr_workitem_id 0
		.amdhsa_next_free_vgpr 1
		.amdhsa_next_free_sgpr 0
		.amdhsa_accum_offset 4
		.amdhsa_reserve_vcc 0
		.amdhsa_float_round_mode_32 0
		.amdhsa_float_round_mode_16_64 0
		.amdhsa_float_denorm_mode_32 3
		.amdhsa_float_denorm_mode_16_64 3
		.amdhsa_dx10_clamp 1
		.amdhsa_ieee_mode 1
		.amdhsa_fp16_overflow 0
		.amdhsa_tg_split 0
		.amdhsa_exception_fp_ieee_invalid_op 0
		.amdhsa_exception_fp_denorm_src 0
		.amdhsa_exception_fp_ieee_div_zero 0
		.amdhsa_exception_fp_ieee_overflow 0
		.amdhsa_exception_fp_ieee_underflow 0
		.amdhsa_exception_fp_ieee_inexact 0
		.amdhsa_exception_int_div_zero 0
	.end_amdhsa_kernel
	.section	.text._ZN7rocprim17ROCPRIM_400000_NS6detail17trampoline_kernelINS0_14default_configENS1_25partition_config_selectorILNS1_17partition_subalgoE9EllbEEZZNS1_14partition_implILS5_9ELb0ES3_jPlS8_PNS0_10empty_typeENS0_5tupleIJS8_S9_EEENSB_IJS8_SA_EEENS0_18inequality_wrapperIZN2at6native12_GLOBAL__N_124unique_dim_cuda_templateIiEESt5tupleIJNSF_6TensorESK_SK_EERKSK_lbbbEUlllE0_EEPmJS9_EEE10hipError_tPvRmT3_T4_T5_T6_T7_T9_mT8_P12ihipStream_tbDpT10_ENKUlT_T0_E_clISt17integral_constantIbLb0EES19_IbLb1EEEEDaS15_S16_EUlS15_E_NS1_11comp_targetILNS1_3genE4ELNS1_11target_archE910ELNS1_3gpuE8ELNS1_3repE0EEENS1_30default_config_static_selectorELNS0_4arch9wavefront6targetE1EEEvT1_,"axG",@progbits,_ZN7rocprim17ROCPRIM_400000_NS6detail17trampoline_kernelINS0_14default_configENS1_25partition_config_selectorILNS1_17partition_subalgoE9EllbEEZZNS1_14partition_implILS5_9ELb0ES3_jPlS8_PNS0_10empty_typeENS0_5tupleIJS8_S9_EEENSB_IJS8_SA_EEENS0_18inequality_wrapperIZN2at6native12_GLOBAL__N_124unique_dim_cuda_templateIiEESt5tupleIJNSF_6TensorESK_SK_EERKSK_lbbbEUlllE0_EEPmJS9_EEE10hipError_tPvRmT3_T4_T5_T6_T7_T9_mT8_P12ihipStream_tbDpT10_ENKUlT_T0_E_clISt17integral_constantIbLb0EES19_IbLb1EEEEDaS15_S16_EUlS15_E_NS1_11comp_targetILNS1_3genE4ELNS1_11target_archE910ELNS1_3gpuE8ELNS1_3repE0EEENS1_30default_config_static_selectorELNS0_4arch9wavefront6targetE1EEEvT1_,comdat
.Lfunc_end502:
	.size	_ZN7rocprim17ROCPRIM_400000_NS6detail17trampoline_kernelINS0_14default_configENS1_25partition_config_selectorILNS1_17partition_subalgoE9EllbEEZZNS1_14partition_implILS5_9ELb0ES3_jPlS8_PNS0_10empty_typeENS0_5tupleIJS8_S9_EEENSB_IJS8_SA_EEENS0_18inequality_wrapperIZN2at6native12_GLOBAL__N_124unique_dim_cuda_templateIiEESt5tupleIJNSF_6TensorESK_SK_EERKSK_lbbbEUlllE0_EEPmJS9_EEE10hipError_tPvRmT3_T4_T5_T6_T7_T9_mT8_P12ihipStream_tbDpT10_ENKUlT_T0_E_clISt17integral_constantIbLb0EES19_IbLb1EEEEDaS15_S16_EUlS15_E_NS1_11comp_targetILNS1_3genE4ELNS1_11target_archE910ELNS1_3gpuE8ELNS1_3repE0EEENS1_30default_config_static_selectorELNS0_4arch9wavefront6targetE1EEEvT1_, .Lfunc_end502-_ZN7rocprim17ROCPRIM_400000_NS6detail17trampoline_kernelINS0_14default_configENS1_25partition_config_selectorILNS1_17partition_subalgoE9EllbEEZZNS1_14partition_implILS5_9ELb0ES3_jPlS8_PNS0_10empty_typeENS0_5tupleIJS8_S9_EEENSB_IJS8_SA_EEENS0_18inequality_wrapperIZN2at6native12_GLOBAL__N_124unique_dim_cuda_templateIiEESt5tupleIJNSF_6TensorESK_SK_EERKSK_lbbbEUlllE0_EEPmJS9_EEE10hipError_tPvRmT3_T4_T5_T6_T7_T9_mT8_P12ihipStream_tbDpT10_ENKUlT_T0_E_clISt17integral_constantIbLb0EES19_IbLb1EEEEDaS15_S16_EUlS15_E_NS1_11comp_targetILNS1_3genE4ELNS1_11target_archE910ELNS1_3gpuE8ELNS1_3repE0EEENS1_30default_config_static_selectorELNS0_4arch9wavefront6targetE1EEEvT1_
                                        ; -- End function
	.section	.AMDGPU.csdata,"",@progbits
; Kernel info:
; codeLenInByte = 0
; NumSgprs: 6
; NumVgprs: 0
; NumAgprs: 0
; TotalNumVgprs: 0
; ScratchSize: 0
; MemoryBound: 0
; FloatMode: 240
; IeeeMode: 1
; LDSByteSize: 0 bytes/workgroup (compile time only)
; SGPRBlocks: 0
; VGPRBlocks: 0
; NumSGPRsForWavesPerEU: 6
; NumVGPRsForWavesPerEU: 1
; AccumOffset: 4
; Occupancy: 8
; WaveLimiterHint : 0
; COMPUTE_PGM_RSRC2:SCRATCH_EN: 0
; COMPUTE_PGM_RSRC2:USER_SGPR: 2
; COMPUTE_PGM_RSRC2:TRAP_HANDLER: 0
; COMPUTE_PGM_RSRC2:TGID_X_EN: 1
; COMPUTE_PGM_RSRC2:TGID_Y_EN: 0
; COMPUTE_PGM_RSRC2:TGID_Z_EN: 0
; COMPUTE_PGM_RSRC2:TIDIG_COMP_CNT: 0
; COMPUTE_PGM_RSRC3_GFX90A:ACCUM_OFFSET: 0
; COMPUTE_PGM_RSRC3_GFX90A:TG_SPLIT: 0
	.section	.text._ZN7rocprim17ROCPRIM_400000_NS6detail17trampoline_kernelINS0_14default_configENS1_25partition_config_selectorILNS1_17partition_subalgoE9EllbEEZZNS1_14partition_implILS5_9ELb0ES3_jPlS8_PNS0_10empty_typeENS0_5tupleIJS8_S9_EEENSB_IJS8_SA_EEENS0_18inequality_wrapperIZN2at6native12_GLOBAL__N_124unique_dim_cuda_templateIiEESt5tupleIJNSF_6TensorESK_SK_EERKSK_lbbbEUlllE0_EEPmJS9_EEE10hipError_tPvRmT3_T4_T5_T6_T7_T9_mT8_P12ihipStream_tbDpT10_ENKUlT_T0_E_clISt17integral_constantIbLb0EES19_IbLb1EEEEDaS15_S16_EUlS15_E_NS1_11comp_targetILNS1_3genE3ELNS1_11target_archE908ELNS1_3gpuE7ELNS1_3repE0EEENS1_30default_config_static_selectorELNS0_4arch9wavefront6targetE1EEEvT1_,"axG",@progbits,_ZN7rocprim17ROCPRIM_400000_NS6detail17trampoline_kernelINS0_14default_configENS1_25partition_config_selectorILNS1_17partition_subalgoE9EllbEEZZNS1_14partition_implILS5_9ELb0ES3_jPlS8_PNS0_10empty_typeENS0_5tupleIJS8_S9_EEENSB_IJS8_SA_EEENS0_18inequality_wrapperIZN2at6native12_GLOBAL__N_124unique_dim_cuda_templateIiEESt5tupleIJNSF_6TensorESK_SK_EERKSK_lbbbEUlllE0_EEPmJS9_EEE10hipError_tPvRmT3_T4_T5_T6_T7_T9_mT8_P12ihipStream_tbDpT10_ENKUlT_T0_E_clISt17integral_constantIbLb0EES19_IbLb1EEEEDaS15_S16_EUlS15_E_NS1_11comp_targetILNS1_3genE3ELNS1_11target_archE908ELNS1_3gpuE7ELNS1_3repE0EEENS1_30default_config_static_selectorELNS0_4arch9wavefront6targetE1EEEvT1_,comdat
	.globl	_ZN7rocprim17ROCPRIM_400000_NS6detail17trampoline_kernelINS0_14default_configENS1_25partition_config_selectorILNS1_17partition_subalgoE9EllbEEZZNS1_14partition_implILS5_9ELb0ES3_jPlS8_PNS0_10empty_typeENS0_5tupleIJS8_S9_EEENSB_IJS8_SA_EEENS0_18inequality_wrapperIZN2at6native12_GLOBAL__N_124unique_dim_cuda_templateIiEESt5tupleIJNSF_6TensorESK_SK_EERKSK_lbbbEUlllE0_EEPmJS9_EEE10hipError_tPvRmT3_T4_T5_T6_T7_T9_mT8_P12ihipStream_tbDpT10_ENKUlT_T0_E_clISt17integral_constantIbLb0EES19_IbLb1EEEEDaS15_S16_EUlS15_E_NS1_11comp_targetILNS1_3genE3ELNS1_11target_archE908ELNS1_3gpuE7ELNS1_3repE0EEENS1_30default_config_static_selectorELNS0_4arch9wavefront6targetE1EEEvT1_ ; -- Begin function _ZN7rocprim17ROCPRIM_400000_NS6detail17trampoline_kernelINS0_14default_configENS1_25partition_config_selectorILNS1_17partition_subalgoE9EllbEEZZNS1_14partition_implILS5_9ELb0ES3_jPlS8_PNS0_10empty_typeENS0_5tupleIJS8_S9_EEENSB_IJS8_SA_EEENS0_18inequality_wrapperIZN2at6native12_GLOBAL__N_124unique_dim_cuda_templateIiEESt5tupleIJNSF_6TensorESK_SK_EERKSK_lbbbEUlllE0_EEPmJS9_EEE10hipError_tPvRmT3_T4_T5_T6_T7_T9_mT8_P12ihipStream_tbDpT10_ENKUlT_T0_E_clISt17integral_constantIbLb0EES19_IbLb1EEEEDaS15_S16_EUlS15_E_NS1_11comp_targetILNS1_3genE3ELNS1_11target_archE908ELNS1_3gpuE7ELNS1_3repE0EEENS1_30default_config_static_selectorELNS0_4arch9wavefront6targetE1EEEvT1_
	.p2align	8
	.type	_ZN7rocprim17ROCPRIM_400000_NS6detail17trampoline_kernelINS0_14default_configENS1_25partition_config_selectorILNS1_17partition_subalgoE9EllbEEZZNS1_14partition_implILS5_9ELb0ES3_jPlS8_PNS0_10empty_typeENS0_5tupleIJS8_S9_EEENSB_IJS8_SA_EEENS0_18inequality_wrapperIZN2at6native12_GLOBAL__N_124unique_dim_cuda_templateIiEESt5tupleIJNSF_6TensorESK_SK_EERKSK_lbbbEUlllE0_EEPmJS9_EEE10hipError_tPvRmT3_T4_T5_T6_T7_T9_mT8_P12ihipStream_tbDpT10_ENKUlT_T0_E_clISt17integral_constantIbLb0EES19_IbLb1EEEEDaS15_S16_EUlS15_E_NS1_11comp_targetILNS1_3genE3ELNS1_11target_archE908ELNS1_3gpuE7ELNS1_3repE0EEENS1_30default_config_static_selectorELNS0_4arch9wavefront6targetE1EEEvT1_,@function
_ZN7rocprim17ROCPRIM_400000_NS6detail17trampoline_kernelINS0_14default_configENS1_25partition_config_selectorILNS1_17partition_subalgoE9EllbEEZZNS1_14partition_implILS5_9ELb0ES3_jPlS8_PNS0_10empty_typeENS0_5tupleIJS8_S9_EEENSB_IJS8_SA_EEENS0_18inequality_wrapperIZN2at6native12_GLOBAL__N_124unique_dim_cuda_templateIiEESt5tupleIJNSF_6TensorESK_SK_EERKSK_lbbbEUlllE0_EEPmJS9_EEE10hipError_tPvRmT3_T4_T5_T6_T7_T9_mT8_P12ihipStream_tbDpT10_ENKUlT_T0_E_clISt17integral_constantIbLb0EES19_IbLb1EEEEDaS15_S16_EUlS15_E_NS1_11comp_targetILNS1_3genE3ELNS1_11target_archE908ELNS1_3gpuE7ELNS1_3repE0EEENS1_30default_config_static_selectorELNS0_4arch9wavefront6targetE1EEEvT1_: ; @_ZN7rocprim17ROCPRIM_400000_NS6detail17trampoline_kernelINS0_14default_configENS1_25partition_config_selectorILNS1_17partition_subalgoE9EllbEEZZNS1_14partition_implILS5_9ELb0ES3_jPlS8_PNS0_10empty_typeENS0_5tupleIJS8_S9_EEENSB_IJS8_SA_EEENS0_18inequality_wrapperIZN2at6native12_GLOBAL__N_124unique_dim_cuda_templateIiEESt5tupleIJNSF_6TensorESK_SK_EERKSK_lbbbEUlllE0_EEPmJS9_EEE10hipError_tPvRmT3_T4_T5_T6_T7_T9_mT8_P12ihipStream_tbDpT10_ENKUlT_T0_E_clISt17integral_constantIbLb0EES19_IbLb1EEEEDaS15_S16_EUlS15_E_NS1_11comp_targetILNS1_3genE3ELNS1_11target_archE908ELNS1_3gpuE7ELNS1_3repE0EEENS1_30default_config_static_selectorELNS0_4arch9wavefront6targetE1EEEvT1_
; %bb.0:
	.section	.rodata,"a",@progbits
	.p2align	6, 0x0
	.amdhsa_kernel _ZN7rocprim17ROCPRIM_400000_NS6detail17trampoline_kernelINS0_14default_configENS1_25partition_config_selectorILNS1_17partition_subalgoE9EllbEEZZNS1_14partition_implILS5_9ELb0ES3_jPlS8_PNS0_10empty_typeENS0_5tupleIJS8_S9_EEENSB_IJS8_SA_EEENS0_18inequality_wrapperIZN2at6native12_GLOBAL__N_124unique_dim_cuda_templateIiEESt5tupleIJNSF_6TensorESK_SK_EERKSK_lbbbEUlllE0_EEPmJS9_EEE10hipError_tPvRmT3_T4_T5_T6_T7_T9_mT8_P12ihipStream_tbDpT10_ENKUlT_T0_E_clISt17integral_constantIbLb0EES19_IbLb1EEEEDaS15_S16_EUlS15_E_NS1_11comp_targetILNS1_3genE3ELNS1_11target_archE908ELNS1_3gpuE7ELNS1_3repE0EEENS1_30default_config_static_selectorELNS0_4arch9wavefront6targetE1EEEvT1_
		.amdhsa_group_segment_fixed_size 0
		.amdhsa_private_segment_fixed_size 0
		.amdhsa_kernarg_size 136
		.amdhsa_user_sgpr_count 2
		.amdhsa_user_sgpr_dispatch_ptr 0
		.amdhsa_user_sgpr_queue_ptr 0
		.amdhsa_user_sgpr_kernarg_segment_ptr 1
		.amdhsa_user_sgpr_dispatch_id 0
		.amdhsa_user_sgpr_kernarg_preload_length 0
		.amdhsa_user_sgpr_kernarg_preload_offset 0
		.amdhsa_user_sgpr_private_segment_size 0
		.amdhsa_uses_dynamic_stack 0
		.amdhsa_enable_private_segment 0
		.amdhsa_system_sgpr_workgroup_id_x 1
		.amdhsa_system_sgpr_workgroup_id_y 0
		.amdhsa_system_sgpr_workgroup_id_z 0
		.amdhsa_system_sgpr_workgroup_info 0
		.amdhsa_system_vgpr_workitem_id 0
		.amdhsa_next_free_vgpr 1
		.amdhsa_next_free_sgpr 0
		.amdhsa_accum_offset 4
		.amdhsa_reserve_vcc 0
		.amdhsa_float_round_mode_32 0
		.amdhsa_float_round_mode_16_64 0
		.amdhsa_float_denorm_mode_32 3
		.amdhsa_float_denorm_mode_16_64 3
		.amdhsa_dx10_clamp 1
		.amdhsa_ieee_mode 1
		.amdhsa_fp16_overflow 0
		.amdhsa_tg_split 0
		.amdhsa_exception_fp_ieee_invalid_op 0
		.amdhsa_exception_fp_denorm_src 0
		.amdhsa_exception_fp_ieee_div_zero 0
		.amdhsa_exception_fp_ieee_overflow 0
		.amdhsa_exception_fp_ieee_underflow 0
		.amdhsa_exception_fp_ieee_inexact 0
		.amdhsa_exception_int_div_zero 0
	.end_amdhsa_kernel
	.section	.text._ZN7rocprim17ROCPRIM_400000_NS6detail17trampoline_kernelINS0_14default_configENS1_25partition_config_selectorILNS1_17partition_subalgoE9EllbEEZZNS1_14partition_implILS5_9ELb0ES3_jPlS8_PNS0_10empty_typeENS0_5tupleIJS8_S9_EEENSB_IJS8_SA_EEENS0_18inequality_wrapperIZN2at6native12_GLOBAL__N_124unique_dim_cuda_templateIiEESt5tupleIJNSF_6TensorESK_SK_EERKSK_lbbbEUlllE0_EEPmJS9_EEE10hipError_tPvRmT3_T4_T5_T6_T7_T9_mT8_P12ihipStream_tbDpT10_ENKUlT_T0_E_clISt17integral_constantIbLb0EES19_IbLb1EEEEDaS15_S16_EUlS15_E_NS1_11comp_targetILNS1_3genE3ELNS1_11target_archE908ELNS1_3gpuE7ELNS1_3repE0EEENS1_30default_config_static_selectorELNS0_4arch9wavefront6targetE1EEEvT1_,"axG",@progbits,_ZN7rocprim17ROCPRIM_400000_NS6detail17trampoline_kernelINS0_14default_configENS1_25partition_config_selectorILNS1_17partition_subalgoE9EllbEEZZNS1_14partition_implILS5_9ELb0ES3_jPlS8_PNS0_10empty_typeENS0_5tupleIJS8_S9_EEENSB_IJS8_SA_EEENS0_18inequality_wrapperIZN2at6native12_GLOBAL__N_124unique_dim_cuda_templateIiEESt5tupleIJNSF_6TensorESK_SK_EERKSK_lbbbEUlllE0_EEPmJS9_EEE10hipError_tPvRmT3_T4_T5_T6_T7_T9_mT8_P12ihipStream_tbDpT10_ENKUlT_T0_E_clISt17integral_constantIbLb0EES19_IbLb1EEEEDaS15_S16_EUlS15_E_NS1_11comp_targetILNS1_3genE3ELNS1_11target_archE908ELNS1_3gpuE7ELNS1_3repE0EEENS1_30default_config_static_selectorELNS0_4arch9wavefront6targetE1EEEvT1_,comdat
.Lfunc_end503:
	.size	_ZN7rocprim17ROCPRIM_400000_NS6detail17trampoline_kernelINS0_14default_configENS1_25partition_config_selectorILNS1_17partition_subalgoE9EllbEEZZNS1_14partition_implILS5_9ELb0ES3_jPlS8_PNS0_10empty_typeENS0_5tupleIJS8_S9_EEENSB_IJS8_SA_EEENS0_18inequality_wrapperIZN2at6native12_GLOBAL__N_124unique_dim_cuda_templateIiEESt5tupleIJNSF_6TensorESK_SK_EERKSK_lbbbEUlllE0_EEPmJS9_EEE10hipError_tPvRmT3_T4_T5_T6_T7_T9_mT8_P12ihipStream_tbDpT10_ENKUlT_T0_E_clISt17integral_constantIbLb0EES19_IbLb1EEEEDaS15_S16_EUlS15_E_NS1_11comp_targetILNS1_3genE3ELNS1_11target_archE908ELNS1_3gpuE7ELNS1_3repE0EEENS1_30default_config_static_selectorELNS0_4arch9wavefront6targetE1EEEvT1_, .Lfunc_end503-_ZN7rocprim17ROCPRIM_400000_NS6detail17trampoline_kernelINS0_14default_configENS1_25partition_config_selectorILNS1_17partition_subalgoE9EllbEEZZNS1_14partition_implILS5_9ELb0ES3_jPlS8_PNS0_10empty_typeENS0_5tupleIJS8_S9_EEENSB_IJS8_SA_EEENS0_18inequality_wrapperIZN2at6native12_GLOBAL__N_124unique_dim_cuda_templateIiEESt5tupleIJNSF_6TensorESK_SK_EERKSK_lbbbEUlllE0_EEPmJS9_EEE10hipError_tPvRmT3_T4_T5_T6_T7_T9_mT8_P12ihipStream_tbDpT10_ENKUlT_T0_E_clISt17integral_constantIbLb0EES19_IbLb1EEEEDaS15_S16_EUlS15_E_NS1_11comp_targetILNS1_3genE3ELNS1_11target_archE908ELNS1_3gpuE7ELNS1_3repE0EEENS1_30default_config_static_selectorELNS0_4arch9wavefront6targetE1EEEvT1_
                                        ; -- End function
	.section	.AMDGPU.csdata,"",@progbits
; Kernel info:
; codeLenInByte = 0
; NumSgprs: 6
; NumVgprs: 0
; NumAgprs: 0
; TotalNumVgprs: 0
; ScratchSize: 0
; MemoryBound: 0
; FloatMode: 240
; IeeeMode: 1
; LDSByteSize: 0 bytes/workgroup (compile time only)
; SGPRBlocks: 0
; VGPRBlocks: 0
; NumSGPRsForWavesPerEU: 6
; NumVGPRsForWavesPerEU: 1
; AccumOffset: 4
; Occupancy: 8
; WaveLimiterHint : 0
; COMPUTE_PGM_RSRC2:SCRATCH_EN: 0
; COMPUTE_PGM_RSRC2:USER_SGPR: 2
; COMPUTE_PGM_RSRC2:TRAP_HANDLER: 0
; COMPUTE_PGM_RSRC2:TGID_X_EN: 1
; COMPUTE_PGM_RSRC2:TGID_Y_EN: 0
; COMPUTE_PGM_RSRC2:TGID_Z_EN: 0
; COMPUTE_PGM_RSRC2:TIDIG_COMP_CNT: 0
; COMPUTE_PGM_RSRC3_GFX90A:ACCUM_OFFSET: 0
; COMPUTE_PGM_RSRC3_GFX90A:TG_SPLIT: 0
	.section	.text._ZN7rocprim17ROCPRIM_400000_NS6detail17trampoline_kernelINS0_14default_configENS1_25partition_config_selectorILNS1_17partition_subalgoE9EllbEEZZNS1_14partition_implILS5_9ELb0ES3_jPlS8_PNS0_10empty_typeENS0_5tupleIJS8_S9_EEENSB_IJS8_SA_EEENS0_18inequality_wrapperIZN2at6native12_GLOBAL__N_124unique_dim_cuda_templateIiEESt5tupleIJNSF_6TensorESK_SK_EERKSK_lbbbEUlllE0_EEPmJS9_EEE10hipError_tPvRmT3_T4_T5_T6_T7_T9_mT8_P12ihipStream_tbDpT10_ENKUlT_T0_E_clISt17integral_constantIbLb0EES19_IbLb1EEEEDaS15_S16_EUlS15_E_NS1_11comp_targetILNS1_3genE2ELNS1_11target_archE906ELNS1_3gpuE6ELNS1_3repE0EEENS1_30default_config_static_selectorELNS0_4arch9wavefront6targetE1EEEvT1_,"axG",@progbits,_ZN7rocprim17ROCPRIM_400000_NS6detail17trampoline_kernelINS0_14default_configENS1_25partition_config_selectorILNS1_17partition_subalgoE9EllbEEZZNS1_14partition_implILS5_9ELb0ES3_jPlS8_PNS0_10empty_typeENS0_5tupleIJS8_S9_EEENSB_IJS8_SA_EEENS0_18inequality_wrapperIZN2at6native12_GLOBAL__N_124unique_dim_cuda_templateIiEESt5tupleIJNSF_6TensorESK_SK_EERKSK_lbbbEUlllE0_EEPmJS9_EEE10hipError_tPvRmT3_T4_T5_T6_T7_T9_mT8_P12ihipStream_tbDpT10_ENKUlT_T0_E_clISt17integral_constantIbLb0EES19_IbLb1EEEEDaS15_S16_EUlS15_E_NS1_11comp_targetILNS1_3genE2ELNS1_11target_archE906ELNS1_3gpuE6ELNS1_3repE0EEENS1_30default_config_static_selectorELNS0_4arch9wavefront6targetE1EEEvT1_,comdat
	.globl	_ZN7rocprim17ROCPRIM_400000_NS6detail17trampoline_kernelINS0_14default_configENS1_25partition_config_selectorILNS1_17partition_subalgoE9EllbEEZZNS1_14partition_implILS5_9ELb0ES3_jPlS8_PNS0_10empty_typeENS0_5tupleIJS8_S9_EEENSB_IJS8_SA_EEENS0_18inequality_wrapperIZN2at6native12_GLOBAL__N_124unique_dim_cuda_templateIiEESt5tupleIJNSF_6TensorESK_SK_EERKSK_lbbbEUlllE0_EEPmJS9_EEE10hipError_tPvRmT3_T4_T5_T6_T7_T9_mT8_P12ihipStream_tbDpT10_ENKUlT_T0_E_clISt17integral_constantIbLb0EES19_IbLb1EEEEDaS15_S16_EUlS15_E_NS1_11comp_targetILNS1_3genE2ELNS1_11target_archE906ELNS1_3gpuE6ELNS1_3repE0EEENS1_30default_config_static_selectorELNS0_4arch9wavefront6targetE1EEEvT1_ ; -- Begin function _ZN7rocprim17ROCPRIM_400000_NS6detail17trampoline_kernelINS0_14default_configENS1_25partition_config_selectorILNS1_17partition_subalgoE9EllbEEZZNS1_14partition_implILS5_9ELb0ES3_jPlS8_PNS0_10empty_typeENS0_5tupleIJS8_S9_EEENSB_IJS8_SA_EEENS0_18inequality_wrapperIZN2at6native12_GLOBAL__N_124unique_dim_cuda_templateIiEESt5tupleIJNSF_6TensorESK_SK_EERKSK_lbbbEUlllE0_EEPmJS9_EEE10hipError_tPvRmT3_T4_T5_T6_T7_T9_mT8_P12ihipStream_tbDpT10_ENKUlT_T0_E_clISt17integral_constantIbLb0EES19_IbLb1EEEEDaS15_S16_EUlS15_E_NS1_11comp_targetILNS1_3genE2ELNS1_11target_archE906ELNS1_3gpuE6ELNS1_3repE0EEENS1_30default_config_static_selectorELNS0_4arch9wavefront6targetE1EEEvT1_
	.p2align	8
	.type	_ZN7rocprim17ROCPRIM_400000_NS6detail17trampoline_kernelINS0_14default_configENS1_25partition_config_selectorILNS1_17partition_subalgoE9EllbEEZZNS1_14partition_implILS5_9ELb0ES3_jPlS8_PNS0_10empty_typeENS0_5tupleIJS8_S9_EEENSB_IJS8_SA_EEENS0_18inequality_wrapperIZN2at6native12_GLOBAL__N_124unique_dim_cuda_templateIiEESt5tupleIJNSF_6TensorESK_SK_EERKSK_lbbbEUlllE0_EEPmJS9_EEE10hipError_tPvRmT3_T4_T5_T6_T7_T9_mT8_P12ihipStream_tbDpT10_ENKUlT_T0_E_clISt17integral_constantIbLb0EES19_IbLb1EEEEDaS15_S16_EUlS15_E_NS1_11comp_targetILNS1_3genE2ELNS1_11target_archE906ELNS1_3gpuE6ELNS1_3repE0EEENS1_30default_config_static_selectorELNS0_4arch9wavefront6targetE1EEEvT1_,@function
_ZN7rocprim17ROCPRIM_400000_NS6detail17trampoline_kernelINS0_14default_configENS1_25partition_config_selectorILNS1_17partition_subalgoE9EllbEEZZNS1_14partition_implILS5_9ELb0ES3_jPlS8_PNS0_10empty_typeENS0_5tupleIJS8_S9_EEENSB_IJS8_SA_EEENS0_18inequality_wrapperIZN2at6native12_GLOBAL__N_124unique_dim_cuda_templateIiEESt5tupleIJNSF_6TensorESK_SK_EERKSK_lbbbEUlllE0_EEPmJS9_EEE10hipError_tPvRmT3_T4_T5_T6_T7_T9_mT8_P12ihipStream_tbDpT10_ENKUlT_T0_E_clISt17integral_constantIbLb0EES19_IbLb1EEEEDaS15_S16_EUlS15_E_NS1_11comp_targetILNS1_3genE2ELNS1_11target_archE906ELNS1_3gpuE6ELNS1_3repE0EEENS1_30default_config_static_selectorELNS0_4arch9wavefront6targetE1EEEvT1_: ; @_ZN7rocprim17ROCPRIM_400000_NS6detail17trampoline_kernelINS0_14default_configENS1_25partition_config_selectorILNS1_17partition_subalgoE9EllbEEZZNS1_14partition_implILS5_9ELb0ES3_jPlS8_PNS0_10empty_typeENS0_5tupleIJS8_S9_EEENSB_IJS8_SA_EEENS0_18inequality_wrapperIZN2at6native12_GLOBAL__N_124unique_dim_cuda_templateIiEESt5tupleIJNSF_6TensorESK_SK_EERKSK_lbbbEUlllE0_EEPmJS9_EEE10hipError_tPvRmT3_T4_T5_T6_T7_T9_mT8_P12ihipStream_tbDpT10_ENKUlT_T0_E_clISt17integral_constantIbLb0EES19_IbLb1EEEEDaS15_S16_EUlS15_E_NS1_11comp_targetILNS1_3genE2ELNS1_11target_archE906ELNS1_3gpuE6ELNS1_3repE0EEENS1_30default_config_static_selectorELNS0_4arch9wavefront6targetE1EEEvT1_
; %bb.0:
	.section	.rodata,"a",@progbits
	.p2align	6, 0x0
	.amdhsa_kernel _ZN7rocprim17ROCPRIM_400000_NS6detail17trampoline_kernelINS0_14default_configENS1_25partition_config_selectorILNS1_17partition_subalgoE9EllbEEZZNS1_14partition_implILS5_9ELb0ES3_jPlS8_PNS0_10empty_typeENS0_5tupleIJS8_S9_EEENSB_IJS8_SA_EEENS0_18inequality_wrapperIZN2at6native12_GLOBAL__N_124unique_dim_cuda_templateIiEESt5tupleIJNSF_6TensorESK_SK_EERKSK_lbbbEUlllE0_EEPmJS9_EEE10hipError_tPvRmT3_T4_T5_T6_T7_T9_mT8_P12ihipStream_tbDpT10_ENKUlT_T0_E_clISt17integral_constantIbLb0EES19_IbLb1EEEEDaS15_S16_EUlS15_E_NS1_11comp_targetILNS1_3genE2ELNS1_11target_archE906ELNS1_3gpuE6ELNS1_3repE0EEENS1_30default_config_static_selectorELNS0_4arch9wavefront6targetE1EEEvT1_
		.amdhsa_group_segment_fixed_size 0
		.amdhsa_private_segment_fixed_size 0
		.amdhsa_kernarg_size 136
		.amdhsa_user_sgpr_count 2
		.amdhsa_user_sgpr_dispatch_ptr 0
		.amdhsa_user_sgpr_queue_ptr 0
		.amdhsa_user_sgpr_kernarg_segment_ptr 1
		.amdhsa_user_sgpr_dispatch_id 0
		.amdhsa_user_sgpr_kernarg_preload_length 0
		.amdhsa_user_sgpr_kernarg_preload_offset 0
		.amdhsa_user_sgpr_private_segment_size 0
		.amdhsa_uses_dynamic_stack 0
		.amdhsa_enable_private_segment 0
		.amdhsa_system_sgpr_workgroup_id_x 1
		.amdhsa_system_sgpr_workgroup_id_y 0
		.amdhsa_system_sgpr_workgroup_id_z 0
		.amdhsa_system_sgpr_workgroup_info 0
		.amdhsa_system_vgpr_workitem_id 0
		.amdhsa_next_free_vgpr 1
		.amdhsa_next_free_sgpr 0
		.amdhsa_accum_offset 4
		.amdhsa_reserve_vcc 0
		.amdhsa_float_round_mode_32 0
		.amdhsa_float_round_mode_16_64 0
		.amdhsa_float_denorm_mode_32 3
		.amdhsa_float_denorm_mode_16_64 3
		.amdhsa_dx10_clamp 1
		.amdhsa_ieee_mode 1
		.amdhsa_fp16_overflow 0
		.amdhsa_tg_split 0
		.amdhsa_exception_fp_ieee_invalid_op 0
		.amdhsa_exception_fp_denorm_src 0
		.amdhsa_exception_fp_ieee_div_zero 0
		.amdhsa_exception_fp_ieee_overflow 0
		.amdhsa_exception_fp_ieee_underflow 0
		.amdhsa_exception_fp_ieee_inexact 0
		.amdhsa_exception_int_div_zero 0
	.end_amdhsa_kernel
	.section	.text._ZN7rocprim17ROCPRIM_400000_NS6detail17trampoline_kernelINS0_14default_configENS1_25partition_config_selectorILNS1_17partition_subalgoE9EllbEEZZNS1_14partition_implILS5_9ELb0ES3_jPlS8_PNS0_10empty_typeENS0_5tupleIJS8_S9_EEENSB_IJS8_SA_EEENS0_18inequality_wrapperIZN2at6native12_GLOBAL__N_124unique_dim_cuda_templateIiEESt5tupleIJNSF_6TensorESK_SK_EERKSK_lbbbEUlllE0_EEPmJS9_EEE10hipError_tPvRmT3_T4_T5_T6_T7_T9_mT8_P12ihipStream_tbDpT10_ENKUlT_T0_E_clISt17integral_constantIbLb0EES19_IbLb1EEEEDaS15_S16_EUlS15_E_NS1_11comp_targetILNS1_3genE2ELNS1_11target_archE906ELNS1_3gpuE6ELNS1_3repE0EEENS1_30default_config_static_selectorELNS0_4arch9wavefront6targetE1EEEvT1_,"axG",@progbits,_ZN7rocprim17ROCPRIM_400000_NS6detail17trampoline_kernelINS0_14default_configENS1_25partition_config_selectorILNS1_17partition_subalgoE9EllbEEZZNS1_14partition_implILS5_9ELb0ES3_jPlS8_PNS0_10empty_typeENS0_5tupleIJS8_S9_EEENSB_IJS8_SA_EEENS0_18inequality_wrapperIZN2at6native12_GLOBAL__N_124unique_dim_cuda_templateIiEESt5tupleIJNSF_6TensorESK_SK_EERKSK_lbbbEUlllE0_EEPmJS9_EEE10hipError_tPvRmT3_T4_T5_T6_T7_T9_mT8_P12ihipStream_tbDpT10_ENKUlT_T0_E_clISt17integral_constantIbLb0EES19_IbLb1EEEEDaS15_S16_EUlS15_E_NS1_11comp_targetILNS1_3genE2ELNS1_11target_archE906ELNS1_3gpuE6ELNS1_3repE0EEENS1_30default_config_static_selectorELNS0_4arch9wavefront6targetE1EEEvT1_,comdat
.Lfunc_end504:
	.size	_ZN7rocprim17ROCPRIM_400000_NS6detail17trampoline_kernelINS0_14default_configENS1_25partition_config_selectorILNS1_17partition_subalgoE9EllbEEZZNS1_14partition_implILS5_9ELb0ES3_jPlS8_PNS0_10empty_typeENS0_5tupleIJS8_S9_EEENSB_IJS8_SA_EEENS0_18inequality_wrapperIZN2at6native12_GLOBAL__N_124unique_dim_cuda_templateIiEESt5tupleIJNSF_6TensorESK_SK_EERKSK_lbbbEUlllE0_EEPmJS9_EEE10hipError_tPvRmT3_T4_T5_T6_T7_T9_mT8_P12ihipStream_tbDpT10_ENKUlT_T0_E_clISt17integral_constantIbLb0EES19_IbLb1EEEEDaS15_S16_EUlS15_E_NS1_11comp_targetILNS1_3genE2ELNS1_11target_archE906ELNS1_3gpuE6ELNS1_3repE0EEENS1_30default_config_static_selectorELNS0_4arch9wavefront6targetE1EEEvT1_, .Lfunc_end504-_ZN7rocprim17ROCPRIM_400000_NS6detail17trampoline_kernelINS0_14default_configENS1_25partition_config_selectorILNS1_17partition_subalgoE9EllbEEZZNS1_14partition_implILS5_9ELb0ES3_jPlS8_PNS0_10empty_typeENS0_5tupleIJS8_S9_EEENSB_IJS8_SA_EEENS0_18inequality_wrapperIZN2at6native12_GLOBAL__N_124unique_dim_cuda_templateIiEESt5tupleIJNSF_6TensorESK_SK_EERKSK_lbbbEUlllE0_EEPmJS9_EEE10hipError_tPvRmT3_T4_T5_T6_T7_T9_mT8_P12ihipStream_tbDpT10_ENKUlT_T0_E_clISt17integral_constantIbLb0EES19_IbLb1EEEEDaS15_S16_EUlS15_E_NS1_11comp_targetILNS1_3genE2ELNS1_11target_archE906ELNS1_3gpuE6ELNS1_3repE0EEENS1_30default_config_static_selectorELNS0_4arch9wavefront6targetE1EEEvT1_
                                        ; -- End function
	.section	.AMDGPU.csdata,"",@progbits
; Kernel info:
; codeLenInByte = 0
; NumSgprs: 6
; NumVgprs: 0
; NumAgprs: 0
; TotalNumVgprs: 0
; ScratchSize: 0
; MemoryBound: 0
; FloatMode: 240
; IeeeMode: 1
; LDSByteSize: 0 bytes/workgroup (compile time only)
; SGPRBlocks: 0
; VGPRBlocks: 0
; NumSGPRsForWavesPerEU: 6
; NumVGPRsForWavesPerEU: 1
; AccumOffset: 4
; Occupancy: 8
; WaveLimiterHint : 0
; COMPUTE_PGM_RSRC2:SCRATCH_EN: 0
; COMPUTE_PGM_RSRC2:USER_SGPR: 2
; COMPUTE_PGM_RSRC2:TRAP_HANDLER: 0
; COMPUTE_PGM_RSRC2:TGID_X_EN: 1
; COMPUTE_PGM_RSRC2:TGID_Y_EN: 0
; COMPUTE_PGM_RSRC2:TGID_Z_EN: 0
; COMPUTE_PGM_RSRC2:TIDIG_COMP_CNT: 0
; COMPUTE_PGM_RSRC3_GFX90A:ACCUM_OFFSET: 0
; COMPUTE_PGM_RSRC3_GFX90A:TG_SPLIT: 0
	.section	.text._ZN7rocprim17ROCPRIM_400000_NS6detail17trampoline_kernelINS0_14default_configENS1_25partition_config_selectorILNS1_17partition_subalgoE9EllbEEZZNS1_14partition_implILS5_9ELb0ES3_jPlS8_PNS0_10empty_typeENS0_5tupleIJS8_S9_EEENSB_IJS8_SA_EEENS0_18inequality_wrapperIZN2at6native12_GLOBAL__N_124unique_dim_cuda_templateIiEESt5tupleIJNSF_6TensorESK_SK_EERKSK_lbbbEUlllE0_EEPmJS9_EEE10hipError_tPvRmT3_T4_T5_T6_T7_T9_mT8_P12ihipStream_tbDpT10_ENKUlT_T0_E_clISt17integral_constantIbLb0EES19_IbLb1EEEEDaS15_S16_EUlS15_E_NS1_11comp_targetILNS1_3genE10ELNS1_11target_archE1200ELNS1_3gpuE4ELNS1_3repE0EEENS1_30default_config_static_selectorELNS0_4arch9wavefront6targetE1EEEvT1_,"axG",@progbits,_ZN7rocprim17ROCPRIM_400000_NS6detail17trampoline_kernelINS0_14default_configENS1_25partition_config_selectorILNS1_17partition_subalgoE9EllbEEZZNS1_14partition_implILS5_9ELb0ES3_jPlS8_PNS0_10empty_typeENS0_5tupleIJS8_S9_EEENSB_IJS8_SA_EEENS0_18inequality_wrapperIZN2at6native12_GLOBAL__N_124unique_dim_cuda_templateIiEESt5tupleIJNSF_6TensorESK_SK_EERKSK_lbbbEUlllE0_EEPmJS9_EEE10hipError_tPvRmT3_T4_T5_T6_T7_T9_mT8_P12ihipStream_tbDpT10_ENKUlT_T0_E_clISt17integral_constantIbLb0EES19_IbLb1EEEEDaS15_S16_EUlS15_E_NS1_11comp_targetILNS1_3genE10ELNS1_11target_archE1200ELNS1_3gpuE4ELNS1_3repE0EEENS1_30default_config_static_selectorELNS0_4arch9wavefront6targetE1EEEvT1_,comdat
	.globl	_ZN7rocprim17ROCPRIM_400000_NS6detail17trampoline_kernelINS0_14default_configENS1_25partition_config_selectorILNS1_17partition_subalgoE9EllbEEZZNS1_14partition_implILS5_9ELb0ES3_jPlS8_PNS0_10empty_typeENS0_5tupleIJS8_S9_EEENSB_IJS8_SA_EEENS0_18inequality_wrapperIZN2at6native12_GLOBAL__N_124unique_dim_cuda_templateIiEESt5tupleIJNSF_6TensorESK_SK_EERKSK_lbbbEUlllE0_EEPmJS9_EEE10hipError_tPvRmT3_T4_T5_T6_T7_T9_mT8_P12ihipStream_tbDpT10_ENKUlT_T0_E_clISt17integral_constantIbLb0EES19_IbLb1EEEEDaS15_S16_EUlS15_E_NS1_11comp_targetILNS1_3genE10ELNS1_11target_archE1200ELNS1_3gpuE4ELNS1_3repE0EEENS1_30default_config_static_selectorELNS0_4arch9wavefront6targetE1EEEvT1_ ; -- Begin function _ZN7rocprim17ROCPRIM_400000_NS6detail17trampoline_kernelINS0_14default_configENS1_25partition_config_selectorILNS1_17partition_subalgoE9EllbEEZZNS1_14partition_implILS5_9ELb0ES3_jPlS8_PNS0_10empty_typeENS0_5tupleIJS8_S9_EEENSB_IJS8_SA_EEENS0_18inequality_wrapperIZN2at6native12_GLOBAL__N_124unique_dim_cuda_templateIiEESt5tupleIJNSF_6TensorESK_SK_EERKSK_lbbbEUlllE0_EEPmJS9_EEE10hipError_tPvRmT3_T4_T5_T6_T7_T9_mT8_P12ihipStream_tbDpT10_ENKUlT_T0_E_clISt17integral_constantIbLb0EES19_IbLb1EEEEDaS15_S16_EUlS15_E_NS1_11comp_targetILNS1_3genE10ELNS1_11target_archE1200ELNS1_3gpuE4ELNS1_3repE0EEENS1_30default_config_static_selectorELNS0_4arch9wavefront6targetE1EEEvT1_
	.p2align	8
	.type	_ZN7rocprim17ROCPRIM_400000_NS6detail17trampoline_kernelINS0_14default_configENS1_25partition_config_selectorILNS1_17partition_subalgoE9EllbEEZZNS1_14partition_implILS5_9ELb0ES3_jPlS8_PNS0_10empty_typeENS0_5tupleIJS8_S9_EEENSB_IJS8_SA_EEENS0_18inequality_wrapperIZN2at6native12_GLOBAL__N_124unique_dim_cuda_templateIiEESt5tupleIJNSF_6TensorESK_SK_EERKSK_lbbbEUlllE0_EEPmJS9_EEE10hipError_tPvRmT3_T4_T5_T6_T7_T9_mT8_P12ihipStream_tbDpT10_ENKUlT_T0_E_clISt17integral_constantIbLb0EES19_IbLb1EEEEDaS15_S16_EUlS15_E_NS1_11comp_targetILNS1_3genE10ELNS1_11target_archE1200ELNS1_3gpuE4ELNS1_3repE0EEENS1_30default_config_static_selectorELNS0_4arch9wavefront6targetE1EEEvT1_,@function
_ZN7rocprim17ROCPRIM_400000_NS6detail17trampoline_kernelINS0_14default_configENS1_25partition_config_selectorILNS1_17partition_subalgoE9EllbEEZZNS1_14partition_implILS5_9ELb0ES3_jPlS8_PNS0_10empty_typeENS0_5tupleIJS8_S9_EEENSB_IJS8_SA_EEENS0_18inequality_wrapperIZN2at6native12_GLOBAL__N_124unique_dim_cuda_templateIiEESt5tupleIJNSF_6TensorESK_SK_EERKSK_lbbbEUlllE0_EEPmJS9_EEE10hipError_tPvRmT3_T4_T5_T6_T7_T9_mT8_P12ihipStream_tbDpT10_ENKUlT_T0_E_clISt17integral_constantIbLb0EES19_IbLb1EEEEDaS15_S16_EUlS15_E_NS1_11comp_targetILNS1_3genE10ELNS1_11target_archE1200ELNS1_3gpuE4ELNS1_3repE0EEENS1_30default_config_static_selectorELNS0_4arch9wavefront6targetE1EEEvT1_: ; @_ZN7rocprim17ROCPRIM_400000_NS6detail17trampoline_kernelINS0_14default_configENS1_25partition_config_selectorILNS1_17partition_subalgoE9EllbEEZZNS1_14partition_implILS5_9ELb0ES3_jPlS8_PNS0_10empty_typeENS0_5tupleIJS8_S9_EEENSB_IJS8_SA_EEENS0_18inequality_wrapperIZN2at6native12_GLOBAL__N_124unique_dim_cuda_templateIiEESt5tupleIJNSF_6TensorESK_SK_EERKSK_lbbbEUlllE0_EEPmJS9_EEE10hipError_tPvRmT3_T4_T5_T6_T7_T9_mT8_P12ihipStream_tbDpT10_ENKUlT_T0_E_clISt17integral_constantIbLb0EES19_IbLb1EEEEDaS15_S16_EUlS15_E_NS1_11comp_targetILNS1_3genE10ELNS1_11target_archE1200ELNS1_3gpuE4ELNS1_3repE0EEENS1_30default_config_static_selectorELNS0_4arch9wavefront6targetE1EEEvT1_
; %bb.0:
	.section	.rodata,"a",@progbits
	.p2align	6, 0x0
	.amdhsa_kernel _ZN7rocprim17ROCPRIM_400000_NS6detail17trampoline_kernelINS0_14default_configENS1_25partition_config_selectorILNS1_17partition_subalgoE9EllbEEZZNS1_14partition_implILS5_9ELb0ES3_jPlS8_PNS0_10empty_typeENS0_5tupleIJS8_S9_EEENSB_IJS8_SA_EEENS0_18inequality_wrapperIZN2at6native12_GLOBAL__N_124unique_dim_cuda_templateIiEESt5tupleIJNSF_6TensorESK_SK_EERKSK_lbbbEUlllE0_EEPmJS9_EEE10hipError_tPvRmT3_T4_T5_T6_T7_T9_mT8_P12ihipStream_tbDpT10_ENKUlT_T0_E_clISt17integral_constantIbLb0EES19_IbLb1EEEEDaS15_S16_EUlS15_E_NS1_11comp_targetILNS1_3genE10ELNS1_11target_archE1200ELNS1_3gpuE4ELNS1_3repE0EEENS1_30default_config_static_selectorELNS0_4arch9wavefront6targetE1EEEvT1_
		.amdhsa_group_segment_fixed_size 0
		.amdhsa_private_segment_fixed_size 0
		.amdhsa_kernarg_size 136
		.amdhsa_user_sgpr_count 2
		.amdhsa_user_sgpr_dispatch_ptr 0
		.amdhsa_user_sgpr_queue_ptr 0
		.amdhsa_user_sgpr_kernarg_segment_ptr 1
		.amdhsa_user_sgpr_dispatch_id 0
		.amdhsa_user_sgpr_kernarg_preload_length 0
		.amdhsa_user_sgpr_kernarg_preload_offset 0
		.amdhsa_user_sgpr_private_segment_size 0
		.amdhsa_uses_dynamic_stack 0
		.amdhsa_enable_private_segment 0
		.amdhsa_system_sgpr_workgroup_id_x 1
		.amdhsa_system_sgpr_workgroup_id_y 0
		.amdhsa_system_sgpr_workgroup_id_z 0
		.amdhsa_system_sgpr_workgroup_info 0
		.amdhsa_system_vgpr_workitem_id 0
		.amdhsa_next_free_vgpr 1
		.amdhsa_next_free_sgpr 0
		.amdhsa_accum_offset 4
		.amdhsa_reserve_vcc 0
		.amdhsa_float_round_mode_32 0
		.amdhsa_float_round_mode_16_64 0
		.amdhsa_float_denorm_mode_32 3
		.amdhsa_float_denorm_mode_16_64 3
		.amdhsa_dx10_clamp 1
		.amdhsa_ieee_mode 1
		.amdhsa_fp16_overflow 0
		.amdhsa_tg_split 0
		.amdhsa_exception_fp_ieee_invalid_op 0
		.amdhsa_exception_fp_denorm_src 0
		.amdhsa_exception_fp_ieee_div_zero 0
		.amdhsa_exception_fp_ieee_overflow 0
		.amdhsa_exception_fp_ieee_underflow 0
		.amdhsa_exception_fp_ieee_inexact 0
		.amdhsa_exception_int_div_zero 0
	.end_amdhsa_kernel
	.section	.text._ZN7rocprim17ROCPRIM_400000_NS6detail17trampoline_kernelINS0_14default_configENS1_25partition_config_selectorILNS1_17partition_subalgoE9EllbEEZZNS1_14partition_implILS5_9ELb0ES3_jPlS8_PNS0_10empty_typeENS0_5tupleIJS8_S9_EEENSB_IJS8_SA_EEENS0_18inequality_wrapperIZN2at6native12_GLOBAL__N_124unique_dim_cuda_templateIiEESt5tupleIJNSF_6TensorESK_SK_EERKSK_lbbbEUlllE0_EEPmJS9_EEE10hipError_tPvRmT3_T4_T5_T6_T7_T9_mT8_P12ihipStream_tbDpT10_ENKUlT_T0_E_clISt17integral_constantIbLb0EES19_IbLb1EEEEDaS15_S16_EUlS15_E_NS1_11comp_targetILNS1_3genE10ELNS1_11target_archE1200ELNS1_3gpuE4ELNS1_3repE0EEENS1_30default_config_static_selectorELNS0_4arch9wavefront6targetE1EEEvT1_,"axG",@progbits,_ZN7rocprim17ROCPRIM_400000_NS6detail17trampoline_kernelINS0_14default_configENS1_25partition_config_selectorILNS1_17partition_subalgoE9EllbEEZZNS1_14partition_implILS5_9ELb0ES3_jPlS8_PNS0_10empty_typeENS0_5tupleIJS8_S9_EEENSB_IJS8_SA_EEENS0_18inequality_wrapperIZN2at6native12_GLOBAL__N_124unique_dim_cuda_templateIiEESt5tupleIJNSF_6TensorESK_SK_EERKSK_lbbbEUlllE0_EEPmJS9_EEE10hipError_tPvRmT3_T4_T5_T6_T7_T9_mT8_P12ihipStream_tbDpT10_ENKUlT_T0_E_clISt17integral_constantIbLb0EES19_IbLb1EEEEDaS15_S16_EUlS15_E_NS1_11comp_targetILNS1_3genE10ELNS1_11target_archE1200ELNS1_3gpuE4ELNS1_3repE0EEENS1_30default_config_static_selectorELNS0_4arch9wavefront6targetE1EEEvT1_,comdat
.Lfunc_end505:
	.size	_ZN7rocprim17ROCPRIM_400000_NS6detail17trampoline_kernelINS0_14default_configENS1_25partition_config_selectorILNS1_17partition_subalgoE9EllbEEZZNS1_14partition_implILS5_9ELb0ES3_jPlS8_PNS0_10empty_typeENS0_5tupleIJS8_S9_EEENSB_IJS8_SA_EEENS0_18inequality_wrapperIZN2at6native12_GLOBAL__N_124unique_dim_cuda_templateIiEESt5tupleIJNSF_6TensorESK_SK_EERKSK_lbbbEUlllE0_EEPmJS9_EEE10hipError_tPvRmT3_T4_T5_T6_T7_T9_mT8_P12ihipStream_tbDpT10_ENKUlT_T0_E_clISt17integral_constantIbLb0EES19_IbLb1EEEEDaS15_S16_EUlS15_E_NS1_11comp_targetILNS1_3genE10ELNS1_11target_archE1200ELNS1_3gpuE4ELNS1_3repE0EEENS1_30default_config_static_selectorELNS0_4arch9wavefront6targetE1EEEvT1_, .Lfunc_end505-_ZN7rocprim17ROCPRIM_400000_NS6detail17trampoline_kernelINS0_14default_configENS1_25partition_config_selectorILNS1_17partition_subalgoE9EllbEEZZNS1_14partition_implILS5_9ELb0ES3_jPlS8_PNS0_10empty_typeENS0_5tupleIJS8_S9_EEENSB_IJS8_SA_EEENS0_18inequality_wrapperIZN2at6native12_GLOBAL__N_124unique_dim_cuda_templateIiEESt5tupleIJNSF_6TensorESK_SK_EERKSK_lbbbEUlllE0_EEPmJS9_EEE10hipError_tPvRmT3_T4_T5_T6_T7_T9_mT8_P12ihipStream_tbDpT10_ENKUlT_T0_E_clISt17integral_constantIbLb0EES19_IbLb1EEEEDaS15_S16_EUlS15_E_NS1_11comp_targetILNS1_3genE10ELNS1_11target_archE1200ELNS1_3gpuE4ELNS1_3repE0EEENS1_30default_config_static_selectorELNS0_4arch9wavefront6targetE1EEEvT1_
                                        ; -- End function
	.section	.AMDGPU.csdata,"",@progbits
; Kernel info:
; codeLenInByte = 0
; NumSgprs: 6
; NumVgprs: 0
; NumAgprs: 0
; TotalNumVgprs: 0
; ScratchSize: 0
; MemoryBound: 0
; FloatMode: 240
; IeeeMode: 1
; LDSByteSize: 0 bytes/workgroup (compile time only)
; SGPRBlocks: 0
; VGPRBlocks: 0
; NumSGPRsForWavesPerEU: 6
; NumVGPRsForWavesPerEU: 1
; AccumOffset: 4
; Occupancy: 8
; WaveLimiterHint : 0
; COMPUTE_PGM_RSRC2:SCRATCH_EN: 0
; COMPUTE_PGM_RSRC2:USER_SGPR: 2
; COMPUTE_PGM_RSRC2:TRAP_HANDLER: 0
; COMPUTE_PGM_RSRC2:TGID_X_EN: 1
; COMPUTE_PGM_RSRC2:TGID_Y_EN: 0
; COMPUTE_PGM_RSRC2:TGID_Z_EN: 0
; COMPUTE_PGM_RSRC2:TIDIG_COMP_CNT: 0
; COMPUTE_PGM_RSRC3_GFX90A:ACCUM_OFFSET: 0
; COMPUTE_PGM_RSRC3_GFX90A:TG_SPLIT: 0
	.section	.text._ZN7rocprim17ROCPRIM_400000_NS6detail17trampoline_kernelINS0_14default_configENS1_25partition_config_selectorILNS1_17partition_subalgoE9EllbEEZZNS1_14partition_implILS5_9ELb0ES3_jPlS8_PNS0_10empty_typeENS0_5tupleIJS8_S9_EEENSB_IJS8_SA_EEENS0_18inequality_wrapperIZN2at6native12_GLOBAL__N_124unique_dim_cuda_templateIiEESt5tupleIJNSF_6TensorESK_SK_EERKSK_lbbbEUlllE0_EEPmJS9_EEE10hipError_tPvRmT3_T4_T5_T6_T7_T9_mT8_P12ihipStream_tbDpT10_ENKUlT_T0_E_clISt17integral_constantIbLb0EES19_IbLb1EEEEDaS15_S16_EUlS15_E_NS1_11comp_targetILNS1_3genE9ELNS1_11target_archE1100ELNS1_3gpuE3ELNS1_3repE0EEENS1_30default_config_static_selectorELNS0_4arch9wavefront6targetE1EEEvT1_,"axG",@progbits,_ZN7rocprim17ROCPRIM_400000_NS6detail17trampoline_kernelINS0_14default_configENS1_25partition_config_selectorILNS1_17partition_subalgoE9EllbEEZZNS1_14partition_implILS5_9ELb0ES3_jPlS8_PNS0_10empty_typeENS0_5tupleIJS8_S9_EEENSB_IJS8_SA_EEENS0_18inequality_wrapperIZN2at6native12_GLOBAL__N_124unique_dim_cuda_templateIiEESt5tupleIJNSF_6TensorESK_SK_EERKSK_lbbbEUlllE0_EEPmJS9_EEE10hipError_tPvRmT3_T4_T5_T6_T7_T9_mT8_P12ihipStream_tbDpT10_ENKUlT_T0_E_clISt17integral_constantIbLb0EES19_IbLb1EEEEDaS15_S16_EUlS15_E_NS1_11comp_targetILNS1_3genE9ELNS1_11target_archE1100ELNS1_3gpuE3ELNS1_3repE0EEENS1_30default_config_static_selectorELNS0_4arch9wavefront6targetE1EEEvT1_,comdat
	.globl	_ZN7rocprim17ROCPRIM_400000_NS6detail17trampoline_kernelINS0_14default_configENS1_25partition_config_selectorILNS1_17partition_subalgoE9EllbEEZZNS1_14partition_implILS5_9ELb0ES3_jPlS8_PNS0_10empty_typeENS0_5tupleIJS8_S9_EEENSB_IJS8_SA_EEENS0_18inequality_wrapperIZN2at6native12_GLOBAL__N_124unique_dim_cuda_templateIiEESt5tupleIJNSF_6TensorESK_SK_EERKSK_lbbbEUlllE0_EEPmJS9_EEE10hipError_tPvRmT3_T4_T5_T6_T7_T9_mT8_P12ihipStream_tbDpT10_ENKUlT_T0_E_clISt17integral_constantIbLb0EES19_IbLb1EEEEDaS15_S16_EUlS15_E_NS1_11comp_targetILNS1_3genE9ELNS1_11target_archE1100ELNS1_3gpuE3ELNS1_3repE0EEENS1_30default_config_static_selectorELNS0_4arch9wavefront6targetE1EEEvT1_ ; -- Begin function _ZN7rocprim17ROCPRIM_400000_NS6detail17trampoline_kernelINS0_14default_configENS1_25partition_config_selectorILNS1_17partition_subalgoE9EllbEEZZNS1_14partition_implILS5_9ELb0ES3_jPlS8_PNS0_10empty_typeENS0_5tupleIJS8_S9_EEENSB_IJS8_SA_EEENS0_18inequality_wrapperIZN2at6native12_GLOBAL__N_124unique_dim_cuda_templateIiEESt5tupleIJNSF_6TensorESK_SK_EERKSK_lbbbEUlllE0_EEPmJS9_EEE10hipError_tPvRmT3_T4_T5_T6_T7_T9_mT8_P12ihipStream_tbDpT10_ENKUlT_T0_E_clISt17integral_constantIbLb0EES19_IbLb1EEEEDaS15_S16_EUlS15_E_NS1_11comp_targetILNS1_3genE9ELNS1_11target_archE1100ELNS1_3gpuE3ELNS1_3repE0EEENS1_30default_config_static_selectorELNS0_4arch9wavefront6targetE1EEEvT1_
	.p2align	8
	.type	_ZN7rocprim17ROCPRIM_400000_NS6detail17trampoline_kernelINS0_14default_configENS1_25partition_config_selectorILNS1_17partition_subalgoE9EllbEEZZNS1_14partition_implILS5_9ELb0ES3_jPlS8_PNS0_10empty_typeENS0_5tupleIJS8_S9_EEENSB_IJS8_SA_EEENS0_18inequality_wrapperIZN2at6native12_GLOBAL__N_124unique_dim_cuda_templateIiEESt5tupleIJNSF_6TensorESK_SK_EERKSK_lbbbEUlllE0_EEPmJS9_EEE10hipError_tPvRmT3_T4_T5_T6_T7_T9_mT8_P12ihipStream_tbDpT10_ENKUlT_T0_E_clISt17integral_constantIbLb0EES19_IbLb1EEEEDaS15_S16_EUlS15_E_NS1_11comp_targetILNS1_3genE9ELNS1_11target_archE1100ELNS1_3gpuE3ELNS1_3repE0EEENS1_30default_config_static_selectorELNS0_4arch9wavefront6targetE1EEEvT1_,@function
_ZN7rocprim17ROCPRIM_400000_NS6detail17trampoline_kernelINS0_14default_configENS1_25partition_config_selectorILNS1_17partition_subalgoE9EllbEEZZNS1_14partition_implILS5_9ELb0ES3_jPlS8_PNS0_10empty_typeENS0_5tupleIJS8_S9_EEENSB_IJS8_SA_EEENS0_18inequality_wrapperIZN2at6native12_GLOBAL__N_124unique_dim_cuda_templateIiEESt5tupleIJNSF_6TensorESK_SK_EERKSK_lbbbEUlllE0_EEPmJS9_EEE10hipError_tPvRmT3_T4_T5_T6_T7_T9_mT8_P12ihipStream_tbDpT10_ENKUlT_T0_E_clISt17integral_constantIbLb0EES19_IbLb1EEEEDaS15_S16_EUlS15_E_NS1_11comp_targetILNS1_3genE9ELNS1_11target_archE1100ELNS1_3gpuE3ELNS1_3repE0EEENS1_30default_config_static_selectorELNS0_4arch9wavefront6targetE1EEEvT1_: ; @_ZN7rocprim17ROCPRIM_400000_NS6detail17trampoline_kernelINS0_14default_configENS1_25partition_config_selectorILNS1_17partition_subalgoE9EllbEEZZNS1_14partition_implILS5_9ELb0ES3_jPlS8_PNS0_10empty_typeENS0_5tupleIJS8_S9_EEENSB_IJS8_SA_EEENS0_18inequality_wrapperIZN2at6native12_GLOBAL__N_124unique_dim_cuda_templateIiEESt5tupleIJNSF_6TensorESK_SK_EERKSK_lbbbEUlllE0_EEPmJS9_EEE10hipError_tPvRmT3_T4_T5_T6_T7_T9_mT8_P12ihipStream_tbDpT10_ENKUlT_T0_E_clISt17integral_constantIbLb0EES19_IbLb1EEEEDaS15_S16_EUlS15_E_NS1_11comp_targetILNS1_3genE9ELNS1_11target_archE1100ELNS1_3gpuE3ELNS1_3repE0EEENS1_30default_config_static_selectorELNS0_4arch9wavefront6targetE1EEEvT1_
; %bb.0:
	.section	.rodata,"a",@progbits
	.p2align	6, 0x0
	.amdhsa_kernel _ZN7rocprim17ROCPRIM_400000_NS6detail17trampoline_kernelINS0_14default_configENS1_25partition_config_selectorILNS1_17partition_subalgoE9EllbEEZZNS1_14partition_implILS5_9ELb0ES3_jPlS8_PNS0_10empty_typeENS0_5tupleIJS8_S9_EEENSB_IJS8_SA_EEENS0_18inequality_wrapperIZN2at6native12_GLOBAL__N_124unique_dim_cuda_templateIiEESt5tupleIJNSF_6TensorESK_SK_EERKSK_lbbbEUlllE0_EEPmJS9_EEE10hipError_tPvRmT3_T4_T5_T6_T7_T9_mT8_P12ihipStream_tbDpT10_ENKUlT_T0_E_clISt17integral_constantIbLb0EES19_IbLb1EEEEDaS15_S16_EUlS15_E_NS1_11comp_targetILNS1_3genE9ELNS1_11target_archE1100ELNS1_3gpuE3ELNS1_3repE0EEENS1_30default_config_static_selectorELNS0_4arch9wavefront6targetE1EEEvT1_
		.amdhsa_group_segment_fixed_size 0
		.amdhsa_private_segment_fixed_size 0
		.amdhsa_kernarg_size 136
		.amdhsa_user_sgpr_count 2
		.amdhsa_user_sgpr_dispatch_ptr 0
		.amdhsa_user_sgpr_queue_ptr 0
		.amdhsa_user_sgpr_kernarg_segment_ptr 1
		.amdhsa_user_sgpr_dispatch_id 0
		.amdhsa_user_sgpr_kernarg_preload_length 0
		.amdhsa_user_sgpr_kernarg_preload_offset 0
		.amdhsa_user_sgpr_private_segment_size 0
		.amdhsa_uses_dynamic_stack 0
		.amdhsa_enable_private_segment 0
		.amdhsa_system_sgpr_workgroup_id_x 1
		.amdhsa_system_sgpr_workgroup_id_y 0
		.amdhsa_system_sgpr_workgroup_id_z 0
		.amdhsa_system_sgpr_workgroup_info 0
		.amdhsa_system_vgpr_workitem_id 0
		.amdhsa_next_free_vgpr 1
		.amdhsa_next_free_sgpr 0
		.amdhsa_accum_offset 4
		.amdhsa_reserve_vcc 0
		.amdhsa_float_round_mode_32 0
		.amdhsa_float_round_mode_16_64 0
		.amdhsa_float_denorm_mode_32 3
		.amdhsa_float_denorm_mode_16_64 3
		.amdhsa_dx10_clamp 1
		.amdhsa_ieee_mode 1
		.amdhsa_fp16_overflow 0
		.amdhsa_tg_split 0
		.amdhsa_exception_fp_ieee_invalid_op 0
		.amdhsa_exception_fp_denorm_src 0
		.amdhsa_exception_fp_ieee_div_zero 0
		.amdhsa_exception_fp_ieee_overflow 0
		.amdhsa_exception_fp_ieee_underflow 0
		.amdhsa_exception_fp_ieee_inexact 0
		.amdhsa_exception_int_div_zero 0
	.end_amdhsa_kernel
	.section	.text._ZN7rocprim17ROCPRIM_400000_NS6detail17trampoline_kernelINS0_14default_configENS1_25partition_config_selectorILNS1_17partition_subalgoE9EllbEEZZNS1_14partition_implILS5_9ELb0ES3_jPlS8_PNS0_10empty_typeENS0_5tupleIJS8_S9_EEENSB_IJS8_SA_EEENS0_18inequality_wrapperIZN2at6native12_GLOBAL__N_124unique_dim_cuda_templateIiEESt5tupleIJNSF_6TensorESK_SK_EERKSK_lbbbEUlllE0_EEPmJS9_EEE10hipError_tPvRmT3_T4_T5_T6_T7_T9_mT8_P12ihipStream_tbDpT10_ENKUlT_T0_E_clISt17integral_constantIbLb0EES19_IbLb1EEEEDaS15_S16_EUlS15_E_NS1_11comp_targetILNS1_3genE9ELNS1_11target_archE1100ELNS1_3gpuE3ELNS1_3repE0EEENS1_30default_config_static_selectorELNS0_4arch9wavefront6targetE1EEEvT1_,"axG",@progbits,_ZN7rocprim17ROCPRIM_400000_NS6detail17trampoline_kernelINS0_14default_configENS1_25partition_config_selectorILNS1_17partition_subalgoE9EllbEEZZNS1_14partition_implILS5_9ELb0ES3_jPlS8_PNS0_10empty_typeENS0_5tupleIJS8_S9_EEENSB_IJS8_SA_EEENS0_18inequality_wrapperIZN2at6native12_GLOBAL__N_124unique_dim_cuda_templateIiEESt5tupleIJNSF_6TensorESK_SK_EERKSK_lbbbEUlllE0_EEPmJS9_EEE10hipError_tPvRmT3_T4_T5_T6_T7_T9_mT8_P12ihipStream_tbDpT10_ENKUlT_T0_E_clISt17integral_constantIbLb0EES19_IbLb1EEEEDaS15_S16_EUlS15_E_NS1_11comp_targetILNS1_3genE9ELNS1_11target_archE1100ELNS1_3gpuE3ELNS1_3repE0EEENS1_30default_config_static_selectorELNS0_4arch9wavefront6targetE1EEEvT1_,comdat
.Lfunc_end506:
	.size	_ZN7rocprim17ROCPRIM_400000_NS6detail17trampoline_kernelINS0_14default_configENS1_25partition_config_selectorILNS1_17partition_subalgoE9EllbEEZZNS1_14partition_implILS5_9ELb0ES3_jPlS8_PNS0_10empty_typeENS0_5tupleIJS8_S9_EEENSB_IJS8_SA_EEENS0_18inequality_wrapperIZN2at6native12_GLOBAL__N_124unique_dim_cuda_templateIiEESt5tupleIJNSF_6TensorESK_SK_EERKSK_lbbbEUlllE0_EEPmJS9_EEE10hipError_tPvRmT3_T4_T5_T6_T7_T9_mT8_P12ihipStream_tbDpT10_ENKUlT_T0_E_clISt17integral_constantIbLb0EES19_IbLb1EEEEDaS15_S16_EUlS15_E_NS1_11comp_targetILNS1_3genE9ELNS1_11target_archE1100ELNS1_3gpuE3ELNS1_3repE0EEENS1_30default_config_static_selectorELNS0_4arch9wavefront6targetE1EEEvT1_, .Lfunc_end506-_ZN7rocprim17ROCPRIM_400000_NS6detail17trampoline_kernelINS0_14default_configENS1_25partition_config_selectorILNS1_17partition_subalgoE9EllbEEZZNS1_14partition_implILS5_9ELb0ES3_jPlS8_PNS0_10empty_typeENS0_5tupleIJS8_S9_EEENSB_IJS8_SA_EEENS0_18inequality_wrapperIZN2at6native12_GLOBAL__N_124unique_dim_cuda_templateIiEESt5tupleIJNSF_6TensorESK_SK_EERKSK_lbbbEUlllE0_EEPmJS9_EEE10hipError_tPvRmT3_T4_T5_T6_T7_T9_mT8_P12ihipStream_tbDpT10_ENKUlT_T0_E_clISt17integral_constantIbLb0EES19_IbLb1EEEEDaS15_S16_EUlS15_E_NS1_11comp_targetILNS1_3genE9ELNS1_11target_archE1100ELNS1_3gpuE3ELNS1_3repE0EEENS1_30default_config_static_selectorELNS0_4arch9wavefront6targetE1EEEvT1_
                                        ; -- End function
	.section	.AMDGPU.csdata,"",@progbits
; Kernel info:
; codeLenInByte = 0
; NumSgprs: 6
; NumVgprs: 0
; NumAgprs: 0
; TotalNumVgprs: 0
; ScratchSize: 0
; MemoryBound: 0
; FloatMode: 240
; IeeeMode: 1
; LDSByteSize: 0 bytes/workgroup (compile time only)
; SGPRBlocks: 0
; VGPRBlocks: 0
; NumSGPRsForWavesPerEU: 6
; NumVGPRsForWavesPerEU: 1
; AccumOffset: 4
; Occupancy: 8
; WaveLimiterHint : 0
; COMPUTE_PGM_RSRC2:SCRATCH_EN: 0
; COMPUTE_PGM_RSRC2:USER_SGPR: 2
; COMPUTE_PGM_RSRC2:TRAP_HANDLER: 0
; COMPUTE_PGM_RSRC2:TGID_X_EN: 1
; COMPUTE_PGM_RSRC2:TGID_Y_EN: 0
; COMPUTE_PGM_RSRC2:TGID_Z_EN: 0
; COMPUTE_PGM_RSRC2:TIDIG_COMP_CNT: 0
; COMPUTE_PGM_RSRC3_GFX90A:ACCUM_OFFSET: 0
; COMPUTE_PGM_RSRC3_GFX90A:TG_SPLIT: 0
	.section	.text._ZN7rocprim17ROCPRIM_400000_NS6detail17trampoline_kernelINS0_14default_configENS1_25partition_config_selectorILNS1_17partition_subalgoE9EllbEEZZNS1_14partition_implILS5_9ELb0ES3_jPlS8_PNS0_10empty_typeENS0_5tupleIJS8_S9_EEENSB_IJS8_SA_EEENS0_18inequality_wrapperIZN2at6native12_GLOBAL__N_124unique_dim_cuda_templateIiEESt5tupleIJNSF_6TensorESK_SK_EERKSK_lbbbEUlllE0_EEPmJS9_EEE10hipError_tPvRmT3_T4_T5_T6_T7_T9_mT8_P12ihipStream_tbDpT10_ENKUlT_T0_E_clISt17integral_constantIbLb0EES19_IbLb1EEEEDaS15_S16_EUlS15_E_NS1_11comp_targetILNS1_3genE8ELNS1_11target_archE1030ELNS1_3gpuE2ELNS1_3repE0EEENS1_30default_config_static_selectorELNS0_4arch9wavefront6targetE1EEEvT1_,"axG",@progbits,_ZN7rocprim17ROCPRIM_400000_NS6detail17trampoline_kernelINS0_14default_configENS1_25partition_config_selectorILNS1_17partition_subalgoE9EllbEEZZNS1_14partition_implILS5_9ELb0ES3_jPlS8_PNS0_10empty_typeENS0_5tupleIJS8_S9_EEENSB_IJS8_SA_EEENS0_18inequality_wrapperIZN2at6native12_GLOBAL__N_124unique_dim_cuda_templateIiEESt5tupleIJNSF_6TensorESK_SK_EERKSK_lbbbEUlllE0_EEPmJS9_EEE10hipError_tPvRmT3_T4_T5_T6_T7_T9_mT8_P12ihipStream_tbDpT10_ENKUlT_T0_E_clISt17integral_constantIbLb0EES19_IbLb1EEEEDaS15_S16_EUlS15_E_NS1_11comp_targetILNS1_3genE8ELNS1_11target_archE1030ELNS1_3gpuE2ELNS1_3repE0EEENS1_30default_config_static_selectorELNS0_4arch9wavefront6targetE1EEEvT1_,comdat
	.globl	_ZN7rocprim17ROCPRIM_400000_NS6detail17trampoline_kernelINS0_14default_configENS1_25partition_config_selectorILNS1_17partition_subalgoE9EllbEEZZNS1_14partition_implILS5_9ELb0ES3_jPlS8_PNS0_10empty_typeENS0_5tupleIJS8_S9_EEENSB_IJS8_SA_EEENS0_18inequality_wrapperIZN2at6native12_GLOBAL__N_124unique_dim_cuda_templateIiEESt5tupleIJNSF_6TensorESK_SK_EERKSK_lbbbEUlllE0_EEPmJS9_EEE10hipError_tPvRmT3_T4_T5_T6_T7_T9_mT8_P12ihipStream_tbDpT10_ENKUlT_T0_E_clISt17integral_constantIbLb0EES19_IbLb1EEEEDaS15_S16_EUlS15_E_NS1_11comp_targetILNS1_3genE8ELNS1_11target_archE1030ELNS1_3gpuE2ELNS1_3repE0EEENS1_30default_config_static_selectorELNS0_4arch9wavefront6targetE1EEEvT1_ ; -- Begin function _ZN7rocprim17ROCPRIM_400000_NS6detail17trampoline_kernelINS0_14default_configENS1_25partition_config_selectorILNS1_17partition_subalgoE9EllbEEZZNS1_14partition_implILS5_9ELb0ES3_jPlS8_PNS0_10empty_typeENS0_5tupleIJS8_S9_EEENSB_IJS8_SA_EEENS0_18inequality_wrapperIZN2at6native12_GLOBAL__N_124unique_dim_cuda_templateIiEESt5tupleIJNSF_6TensorESK_SK_EERKSK_lbbbEUlllE0_EEPmJS9_EEE10hipError_tPvRmT3_T4_T5_T6_T7_T9_mT8_P12ihipStream_tbDpT10_ENKUlT_T0_E_clISt17integral_constantIbLb0EES19_IbLb1EEEEDaS15_S16_EUlS15_E_NS1_11comp_targetILNS1_3genE8ELNS1_11target_archE1030ELNS1_3gpuE2ELNS1_3repE0EEENS1_30default_config_static_selectorELNS0_4arch9wavefront6targetE1EEEvT1_
	.p2align	8
	.type	_ZN7rocprim17ROCPRIM_400000_NS6detail17trampoline_kernelINS0_14default_configENS1_25partition_config_selectorILNS1_17partition_subalgoE9EllbEEZZNS1_14partition_implILS5_9ELb0ES3_jPlS8_PNS0_10empty_typeENS0_5tupleIJS8_S9_EEENSB_IJS8_SA_EEENS0_18inequality_wrapperIZN2at6native12_GLOBAL__N_124unique_dim_cuda_templateIiEESt5tupleIJNSF_6TensorESK_SK_EERKSK_lbbbEUlllE0_EEPmJS9_EEE10hipError_tPvRmT3_T4_T5_T6_T7_T9_mT8_P12ihipStream_tbDpT10_ENKUlT_T0_E_clISt17integral_constantIbLb0EES19_IbLb1EEEEDaS15_S16_EUlS15_E_NS1_11comp_targetILNS1_3genE8ELNS1_11target_archE1030ELNS1_3gpuE2ELNS1_3repE0EEENS1_30default_config_static_selectorELNS0_4arch9wavefront6targetE1EEEvT1_,@function
_ZN7rocprim17ROCPRIM_400000_NS6detail17trampoline_kernelINS0_14default_configENS1_25partition_config_selectorILNS1_17partition_subalgoE9EllbEEZZNS1_14partition_implILS5_9ELb0ES3_jPlS8_PNS0_10empty_typeENS0_5tupleIJS8_S9_EEENSB_IJS8_SA_EEENS0_18inequality_wrapperIZN2at6native12_GLOBAL__N_124unique_dim_cuda_templateIiEESt5tupleIJNSF_6TensorESK_SK_EERKSK_lbbbEUlllE0_EEPmJS9_EEE10hipError_tPvRmT3_T4_T5_T6_T7_T9_mT8_P12ihipStream_tbDpT10_ENKUlT_T0_E_clISt17integral_constantIbLb0EES19_IbLb1EEEEDaS15_S16_EUlS15_E_NS1_11comp_targetILNS1_3genE8ELNS1_11target_archE1030ELNS1_3gpuE2ELNS1_3repE0EEENS1_30default_config_static_selectorELNS0_4arch9wavefront6targetE1EEEvT1_: ; @_ZN7rocprim17ROCPRIM_400000_NS6detail17trampoline_kernelINS0_14default_configENS1_25partition_config_selectorILNS1_17partition_subalgoE9EllbEEZZNS1_14partition_implILS5_9ELb0ES3_jPlS8_PNS0_10empty_typeENS0_5tupleIJS8_S9_EEENSB_IJS8_SA_EEENS0_18inequality_wrapperIZN2at6native12_GLOBAL__N_124unique_dim_cuda_templateIiEESt5tupleIJNSF_6TensorESK_SK_EERKSK_lbbbEUlllE0_EEPmJS9_EEE10hipError_tPvRmT3_T4_T5_T6_T7_T9_mT8_P12ihipStream_tbDpT10_ENKUlT_T0_E_clISt17integral_constantIbLb0EES19_IbLb1EEEEDaS15_S16_EUlS15_E_NS1_11comp_targetILNS1_3genE8ELNS1_11target_archE1030ELNS1_3gpuE2ELNS1_3repE0EEENS1_30default_config_static_selectorELNS0_4arch9wavefront6targetE1EEEvT1_
; %bb.0:
	.section	.rodata,"a",@progbits
	.p2align	6, 0x0
	.amdhsa_kernel _ZN7rocprim17ROCPRIM_400000_NS6detail17trampoline_kernelINS0_14default_configENS1_25partition_config_selectorILNS1_17partition_subalgoE9EllbEEZZNS1_14partition_implILS5_9ELb0ES3_jPlS8_PNS0_10empty_typeENS0_5tupleIJS8_S9_EEENSB_IJS8_SA_EEENS0_18inequality_wrapperIZN2at6native12_GLOBAL__N_124unique_dim_cuda_templateIiEESt5tupleIJNSF_6TensorESK_SK_EERKSK_lbbbEUlllE0_EEPmJS9_EEE10hipError_tPvRmT3_T4_T5_T6_T7_T9_mT8_P12ihipStream_tbDpT10_ENKUlT_T0_E_clISt17integral_constantIbLb0EES19_IbLb1EEEEDaS15_S16_EUlS15_E_NS1_11comp_targetILNS1_3genE8ELNS1_11target_archE1030ELNS1_3gpuE2ELNS1_3repE0EEENS1_30default_config_static_selectorELNS0_4arch9wavefront6targetE1EEEvT1_
		.amdhsa_group_segment_fixed_size 0
		.amdhsa_private_segment_fixed_size 0
		.amdhsa_kernarg_size 136
		.amdhsa_user_sgpr_count 2
		.amdhsa_user_sgpr_dispatch_ptr 0
		.amdhsa_user_sgpr_queue_ptr 0
		.amdhsa_user_sgpr_kernarg_segment_ptr 1
		.amdhsa_user_sgpr_dispatch_id 0
		.amdhsa_user_sgpr_kernarg_preload_length 0
		.amdhsa_user_sgpr_kernarg_preload_offset 0
		.amdhsa_user_sgpr_private_segment_size 0
		.amdhsa_uses_dynamic_stack 0
		.amdhsa_enable_private_segment 0
		.amdhsa_system_sgpr_workgroup_id_x 1
		.amdhsa_system_sgpr_workgroup_id_y 0
		.amdhsa_system_sgpr_workgroup_id_z 0
		.amdhsa_system_sgpr_workgroup_info 0
		.amdhsa_system_vgpr_workitem_id 0
		.amdhsa_next_free_vgpr 1
		.amdhsa_next_free_sgpr 0
		.amdhsa_accum_offset 4
		.amdhsa_reserve_vcc 0
		.amdhsa_float_round_mode_32 0
		.amdhsa_float_round_mode_16_64 0
		.amdhsa_float_denorm_mode_32 3
		.amdhsa_float_denorm_mode_16_64 3
		.amdhsa_dx10_clamp 1
		.amdhsa_ieee_mode 1
		.amdhsa_fp16_overflow 0
		.amdhsa_tg_split 0
		.amdhsa_exception_fp_ieee_invalid_op 0
		.amdhsa_exception_fp_denorm_src 0
		.amdhsa_exception_fp_ieee_div_zero 0
		.amdhsa_exception_fp_ieee_overflow 0
		.amdhsa_exception_fp_ieee_underflow 0
		.amdhsa_exception_fp_ieee_inexact 0
		.amdhsa_exception_int_div_zero 0
	.end_amdhsa_kernel
	.section	.text._ZN7rocprim17ROCPRIM_400000_NS6detail17trampoline_kernelINS0_14default_configENS1_25partition_config_selectorILNS1_17partition_subalgoE9EllbEEZZNS1_14partition_implILS5_9ELb0ES3_jPlS8_PNS0_10empty_typeENS0_5tupleIJS8_S9_EEENSB_IJS8_SA_EEENS0_18inequality_wrapperIZN2at6native12_GLOBAL__N_124unique_dim_cuda_templateIiEESt5tupleIJNSF_6TensorESK_SK_EERKSK_lbbbEUlllE0_EEPmJS9_EEE10hipError_tPvRmT3_T4_T5_T6_T7_T9_mT8_P12ihipStream_tbDpT10_ENKUlT_T0_E_clISt17integral_constantIbLb0EES19_IbLb1EEEEDaS15_S16_EUlS15_E_NS1_11comp_targetILNS1_3genE8ELNS1_11target_archE1030ELNS1_3gpuE2ELNS1_3repE0EEENS1_30default_config_static_selectorELNS0_4arch9wavefront6targetE1EEEvT1_,"axG",@progbits,_ZN7rocprim17ROCPRIM_400000_NS6detail17trampoline_kernelINS0_14default_configENS1_25partition_config_selectorILNS1_17partition_subalgoE9EllbEEZZNS1_14partition_implILS5_9ELb0ES3_jPlS8_PNS0_10empty_typeENS0_5tupleIJS8_S9_EEENSB_IJS8_SA_EEENS0_18inequality_wrapperIZN2at6native12_GLOBAL__N_124unique_dim_cuda_templateIiEESt5tupleIJNSF_6TensorESK_SK_EERKSK_lbbbEUlllE0_EEPmJS9_EEE10hipError_tPvRmT3_T4_T5_T6_T7_T9_mT8_P12ihipStream_tbDpT10_ENKUlT_T0_E_clISt17integral_constantIbLb0EES19_IbLb1EEEEDaS15_S16_EUlS15_E_NS1_11comp_targetILNS1_3genE8ELNS1_11target_archE1030ELNS1_3gpuE2ELNS1_3repE0EEENS1_30default_config_static_selectorELNS0_4arch9wavefront6targetE1EEEvT1_,comdat
.Lfunc_end507:
	.size	_ZN7rocprim17ROCPRIM_400000_NS6detail17trampoline_kernelINS0_14default_configENS1_25partition_config_selectorILNS1_17partition_subalgoE9EllbEEZZNS1_14partition_implILS5_9ELb0ES3_jPlS8_PNS0_10empty_typeENS0_5tupleIJS8_S9_EEENSB_IJS8_SA_EEENS0_18inequality_wrapperIZN2at6native12_GLOBAL__N_124unique_dim_cuda_templateIiEESt5tupleIJNSF_6TensorESK_SK_EERKSK_lbbbEUlllE0_EEPmJS9_EEE10hipError_tPvRmT3_T4_T5_T6_T7_T9_mT8_P12ihipStream_tbDpT10_ENKUlT_T0_E_clISt17integral_constantIbLb0EES19_IbLb1EEEEDaS15_S16_EUlS15_E_NS1_11comp_targetILNS1_3genE8ELNS1_11target_archE1030ELNS1_3gpuE2ELNS1_3repE0EEENS1_30default_config_static_selectorELNS0_4arch9wavefront6targetE1EEEvT1_, .Lfunc_end507-_ZN7rocprim17ROCPRIM_400000_NS6detail17trampoline_kernelINS0_14default_configENS1_25partition_config_selectorILNS1_17partition_subalgoE9EllbEEZZNS1_14partition_implILS5_9ELb0ES3_jPlS8_PNS0_10empty_typeENS0_5tupleIJS8_S9_EEENSB_IJS8_SA_EEENS0_18inequality_wrapperIZN2at6native12_GLOBAL__N_124unique_dim_cuda_templateIiEESt5tupleIJNSF_6TensorESK_SK_EERKSK_lbbbEUlllE0_EEPmJS9_EEE10hipError_tPvRmT3_T4_T5_T6_T7_T9_mT8_P12ihipStream_tbDpT10_ENKUlT_T0_E_clISt17integral_constantIbLb0EES19_IbLb1EEEEDaS15_S16_EUlS15_E_NS1_11comp_targetILNS1_3genE8ELNS1_11target_archE1030ELNS1_3gpuE2ELNS1_3repE0EEENS1_30default_config_static_selectorELNS0_4arch9wavefront6targetE1EEEvT1_
                                        ; -- End function
	.section	.AMDGPU.csdata,"",@progbits
; Kernel info:
; codeLenInByte = 0
; NumSgprs: 6
; NumVgprs: 0
; NumAgprs: 0
; TotalNumVgprs: 0
; ScratchSize: 0
; MemoryBound: 0
; FloatMode: 240
; IeeeMode: 1
; LDSByteSize: 0 bytes/workgroup (compile time only)
; SGPRBlocks: 0
; VGPRBlocks: 0
; NumSGPRsForWavesPerEU: 6
; NumVGPRsForWavesPerEU: 1
; AccumOffset: 4
; Occupancy: 8
; WaveLimiterHint : 0
; COMPUTE_PGM_RSRC2:SCRATCH_EN: 0
; COMPUTE_PGM_RSRC2:USER_SGPR: 2
; COMPUTE_PGM_RSRC2:TRAP_HANDLER: 0
; COMPUTE_PGM_RSRC2:TGID_X_EN: 1
; COMPUTE_PGM_RSRC2:TGID_Y_EN: 0
; COMPUTE_PGM_RSRC2:TGID_Z_EN: 0
; COMPUTE_PGM_RSRC2:TIDIG_COMP_CNT: 0
; COMPUTE_PGM_RSRC3_GFX90A:ACCUM_OFFSET: 0
; COMPUTE_PGM_RSRC3_GFX90A:TG_SPLIT: 0
	.section	.text._ZN7rocprim17ROCPRIM_400000_NS6detail17trampoline_kernelINS0_14default_configENS1_37merge_sort_block_sort_config_selectorIlNS0_10empty_typeEEEZNS1_21merge_sort_block_sortIS3_PlS8_PS5_S9_ZN2at6native12_GLOBAL__N_124unique_dim_cuda_templateIlEESt5tupleIJNSA_6TensorESF_SF_EERKSF_lbbbEUlllE_EE10hipError_tT0_T1_T2_T3_mRjT4_P12ihipStream_tbNS1_7vsmem_tEEUlT_E_NS1_11comp_targetILNS1_3genE0ELNS1_11target_archE4294967295ELNS1_3gpuE0ELNS1_3repE0EEENS1_30default_config_static_selectorELNS0_4arch9wavefront6targetE1EEEvSM_,"axG",@progbits,_ZN7rocprim17ROCPRIM_400000_NS6detail17trampoline_kernelINS0_14default_configENS1_37merge_sort_block_sort_config_selectorIlNS0_10empty_typeEEEZNS1_21merge_sort_block_sortIS3_PlS8_PS5_S9_ZN2at6native12_GLOBAL__N_124unique_dim_cuda_templateIlEESt5tupleIJNSA_6TensorESF_SF_EERKSF_lbbbEUlllE_EE10hipError_tT0_T1_T2_T3_mRjT4_P12ihipStream_tbNS1_7vsmem_tEEUlT_E_NS1_11comp_targetILNS1_3genE0ELNS1_11target_archE4294967295ELNS1_3gpuE0ELNS1_3repE0EEENS1_30default_config_static_selectorELNS0_4arch9wavefront6targetE1EEEvSM_,comdat
	.globl	_ZN7rocprim17ROCPRIM_400000_NS6detail17trampoline_kernelINS0_14default_configENS1_37merge_sort_block_sort_config_selectorIlNS0_10empty_typeEEEZNS1_21merge_sort_block_sortIS3_PlS8_PS5_S9_ZN2at6native12_GLOBAL__N_124unique_dim_cuda_templateIlEESt5tupleIJNSA_6TensorESF_SF_EERKSF_lbbbEUlllE_EE10hipError_tT0_T1_T2_T3_mRjT4_P12ihipStream_tbNS1_7vsmem_tEEUlT_E_NS1_11comp_targetILNS1_3genE0ELNS1_11target_archE4294967295ELNS1_3gpuE0ELNS1_3repE0EEENS1_30default_config_static_selectorELNS0_4arch9wavefront6targetE1EEEvSM_ ; -- Begin function _ZN7rocprim17ROCPRIM_400000_NS6detail17trampoline_kernelINS0_14default_configENS1_37merge_sort_block_sort_config_selectorIlNS0_10empty_typeEEEZNS1_21merge_sort_block_sortIS3_PlS8_PS5_S9_ZN2at6native12_GLOBAL__N_124unique_dim_cuda_templateIlEESt5tupleIJNSA_6TensorESF_SF_EERKSF_lbbbEUlllE_EE10hipError_tT0_T1_T2_T3_mRjT4_P12ihipStream_tbNS1_7vsmem_tEEUlT_E_NS1_11comp_targetILNS1_3genE0ELNS1_11target_archE4294967295ELNS1_3gpuE0ELNS1_3repE0EEENS1_30default_config_static_selectorELNS0_4arch9wavefront6targetE1EEEvSM_
	.p2align	8
	.type	_ZN7rocprim17ROCPRIM_400000_NS6detail17trampoline_kernelINS0_14default_configENS1_37merge_sort_block_sort_config_selectorIlNS0_10empty_typeEEEZNS1_21merge_sort_block_sortIS3_PlS8_PS5_S9_ZN2at6native12_GLOBAL__N_124unique_dim_cuda_templateIlEESt5tupleIJNSA_6TensorESF_SF_EERKSF_lbbbEUlllE_EE10hipError_tT0_T1_T2_T3_mRjT4_P12ihipStream_tbNS1_7vsmem_tEEUlT_E_NS1_11comp_targetILNS1_3genE0ELNS1_11target_archE4294967295ELNS1_3gpuE0ELNS1_3repE0EEENS1_30default_config_static_selectorELNS0_4arch9wavefront6targetE1EEEvSM_,@function
_ZN7rocprim17ROCPRIM_400000_NS6detail17trampoline_kernelINS0_14default_configENS1_37merge_sort_block_sort_config_selectorIlNS0_10empty_typeEEEZNS1_21merge_sort_block_sortIS3_PlS8_PS5_S9_ZN2at6native12_GLOBAL__N_124unique_dim_cuda_templateIlEESt5tupleIJNSA_6TensorESF_SF_EERKSF_lbbbEUlllE_EE10hipError_tT0_T1_T2_T3_mRjT4_P12ihipStream_tbNS1_7vsmem_tEEUlT_E_NS1_11comp_targetILNS1_3genE0ELNS1_11target_archE4294967295ELNS1_3gpuE0ELNS1_3repE0EEENS1_30default_config_static_selectorELNS0_4arch9wavefront6targetE1EEEvSM_: ; @_ZN7rocprim17ROCPRIM_400000_NS6detail17trampoline_kernelINS0_14default_configENS1_37merge_sort_block_sort_config_selectorIlNS0_10empty_typeEEEZNS1_21merge_sort_block_sortIS3_PlS8_PS5_S9_ZN2at6native12_GLOBAL__N_124unique_dim_cuda_templateIlEESt5tupleIJNSA_6TensorESF_SF_EERKSF_lbbbEUlllE_EE10hipError_tT0_T1_T2_T3_mRjT4_P12ihipStream_tbNS1_7vsmem_tEEUlT_E_NS1_11comp_targetILNS1_3genE0ELNS1_11target_archE4294967295ELNS1_3gpuE0ELNS1_3repE0EEENS1_30default_config_static_selectorELNS0_4arch9wavefront6targetE1EEEvSM_
; %bb.0:
	.section	.rodata,"a",@progbits
	.p2align	6, 0x0
	.amdhsa_kernel _ZN7rocprim17ROCPRIM_400000_NS6detail17trampoline_kernelINS0_14default_configENS1_37merge_sort_block_sort_config_selectorIlNS0_10empty_typeEEEZNS1_21merge_sort_block_sortIS3_PlS8_PS5_S9_ZN2at6native12_GLOBAL__N_124unique_dim_cuda_templateIlEESt5tupleIJNSA_6TensorESF_SF_EERKSF_lbbbEUlllE_EE10hipError_tT0_T1_T2_T3_mRjT4_P12ihipStream_tbNS1_7vsmem_tEEUlT_E_NS1_11comp_targetILNS1_3genE0ELNS1_11target_archE4294967295ELNS1_3gpuE0ELNS1_3repE0EEENS1_30default_config_static_selectorELNS0_4arch9wavefront6targetE1EEEvSM_
		.amdhsa_group_segment_fixed_size 0
		.amdhsa_private_segment_fixed_size 0
		.amdhsa_kernarg_size 72
		.amdhsa_user_sgpr_count 2
		.amdhsa_user_sgpr_dispatch_ptr 0
		.amdhsa_user_sgpr_queue_ptr 0
		.amdhsa_user_sgpr_kernarg_segment_ptr 1
		.amdhsa_user_sgpr_dispatch_id 0
		.amdhsa_user_sgpr_kernarg_preload_length 0
		.amdhsa_user_sgpr_kernarg_preload_offset 0
		.amdhsa_user_sgpr_private_segment_size 0
		.amdhsa_uses_dynamic_stack 0
		.amdhsa_enable_private_segment 0
		.amdhsa_system_sgpr_workgroup_id_x 1
		.amdhsa_system_sgpr_workgroup_id_y 0
		.amdhsa_system_sgpr_workgroup_id_z 0
		.amdhsa_system_sgpr_workgroup_info 0
		.amdhsa_system_vgpr_workitem_id 0
		.amdhsa_next_free_vgpr 1
		.amdhsa_next_free_sgpr 0
		.amdhsa_accum_offset 4
		.amdhsa_reserve_vcc 0
		.amdhsa_float_round_mode_32 0
		.amdhsa_float_round_mode_16_64 0
		.amdhsa_float_denorm_mode_32 3
		.amdhsa_float_denorm_mode_16_64 3
		.amdhsa_dx10_clamp 1
		.amdhsa_ieee_mode 1
		.amdhsa_fp16_overflow 0
		.amdhsa_tg_split 0
		.amdhsa_exception_fp_ieee_invalid_op 0
		.amdhsa_exception_fp_denorm_src 0
		.amdhsa_exception_fp_ieee_div_zero 0
		.amdhsa_exception_fp_ieee_overflow 0
		.amdhsa_exception_fp_ieee_underflow 0
		.amdhsa_exception_fp_ieee_inexact 0
		.amdhsa_exception_int_div_zero 0
	.end_amdhsa_kernel
	.section	.text._ZN7rocprim17ROCPRIM_400000_NS6detail17trampoline_kernelINS0_14default_configENS1_37merge_sort_block_sort_config_selectorIlNS0_10empty_typeEEEZNS1_21merge_sort_block_sortIS3_PlS8_PS5_S9_ZN2at6native12_GLOBAL__N_124unique_dim_cuda_templateIlEESt5tupleIJNSA_6TensorESF_SF_EERKSF_lbbbEUlllE_EE10hipError_tT0_T1_T2_T3_mRjT4_P12ihipStream_tbNS1_7vsmem_tEEUlT_E_NS1_11comp_targetILNS1_3genE0ELNS1_11target_archE4294967295ELNS1_3gpuE0ELNS1_3repE0EEENS1_30default_config_static_selectorELNS0_4arch9wavefront6targetE1EEEvSM_,"axG",@progbits,_ZN7rocprim17ROCPRIM_400000_NS6detail17trampoline_kernelINS0_14default_configENS1_37merge_sort_block_sort_config_selectorIlNS0_10empty_typeEEEZNS1_21merge_sort_block_sortIS3_PlS8_PS5_S9_ZN2at6native12_GLOBAL__N_124unique_dim_cuda_templateIlEESt5tupleIJNSA_6TensorESF_SF_EERKSF_lbbbEUlllE_EE10hipError_tT0_T1_T2_T3_mRjT4_P12ihipStream_tbNS1_7vsmem_tEEUlT_E_NS1_11comp_targetILNS1_3genE0ELNS1_11target_archE4294967295ELNS1_3gpuE0ELNS1_3repE0EEENS1_30default_config_static_selectorELNS0_4arch9wavefront6targetE1EEEvSM_,comdat
.Lfunc_end508:
	.size	_ZN7rocprim17ROCPRIM_400000_NS6detail17trampoline_kernelINS0_14default_configENS1_37merge_sort_block_sort_config_selectorIlNS0_10empty_typeEEEZNS1_21merge_sort_block_sortIS3_PlS8_PS5_S9_ZN2at6native12_GLOBAL__N_124unique_dim_cuda_templateIlEESt5tupleIJNSA_6TensorESF_SF_EERKSF_lbbbEUlllE_EE10hipError_tT0_T1_T2_T3_mRjT4_P12ihipStream_tbNS1_7vsmem_tEEUlT_E_NS1_11comp_targetILNS1_3genE0ELNS1_11target_archE4294967295ELNS1_3gpuE0ELNS1_3repE0EEENS1_30default_config_static_selectorELNS0_4arch9wavefront6targetE1EEEvSM_, .Lfunc_end508-_ZN7rocprim17ROCPRIM_400000_NS6detail17trampoline_kernelINS0_14default_configENS1_37merge_sort_block_sort_config_selectorIlNS0_10empty_typeEEEZNS1_21merge_sort_block_sortIS3_PlS8_PS5_S9_ZN2at6native12_GLOBAL__N_124unique_dim_cuda_templateIlEESt5tupleIJNSA_6TensorESF_SF_EERKSF_lbbbEUlllE_EE10hipError_tT0_T1_T2_T3_mRjT4_P12ihipStream_tbNS1_7vsmem_tEEUlT_E_NS1_11comp_targetILNS1_3genE0ELNS1_11target_archE4294967295ELNS1_3gpuE0ELNS1_3repE0EEENS1_30default_config_static_selectorELNS0_4arch9wavefront6targetE1EEEvSM_
                                        ; -- End function
	.section	.AMDGPU.csdata,"",@progbits
; Kernel info:
; codeLenInByte = 0
; NumSgprs: 6
; NumVgprs: 0
; NumAgprs: 0
; TotalNumVgprs: 0
; ScratchSize: 0
; MemoryBound: 0
; FloatMode: 240
; IeeeMode: 1
; LDSByteSize: 0 bytes/workgroup (compile time only)
; SGPRBlocks: 0
; VGPRBlocks: 0
; NumSGPRsForWavesPerEU: 6
; NumVGPRsForWavesPerEU: 1
; AccumOffset: 4
; Occupancy: 8
; WaveLimiterHint : 0
; COMPUTE_PGM_RSRC2:SCRATCH_EN: 0
; COMPUTE_PGM_RSRC2:USER_SGPR: 2
; COMPUTE_PGM_RSRC2:TRAP_HANDLER: 0
; COMPUTE_PGM_RSRC2:TGID_X_EN: 1
; COMPUTE_PGM_RSRC2:TGID_Y_EN: 0
; COMPUTE_PGM_RSRC2:TGID_Z_EN: 0
; COMPUTE_PGM_RSRC2:TIDIG_COMP_CNT: 0
; COMPUTE_PGM_RSRC3_GFX90A:ACCUM_OFFSET: 0
; COMPUTE_PGM_RSRC3_GFX90A:TG_SPLIT: 0
	.text
	.p2align	2                               ; -- Begin function _ZN7rocprim17ROCPRIM_400000_NS6detail15block_sort_implIlNS0_10empty_typeELj256ELj8ELNS0_4arch9wavefront6targetE1EvE4sortIPlS9_PS3_SA_ZN2at6native12_GLOBAL__N_124unique_dim_cuda_templateIlEESt5tupleIJNSB_6TensorESG_SG_EERKSG_lbbbEUlllE_EEvjbT_T0_T1_T2_T3_RNS7_12storage_typeE
	.type	_ZN7rocprim17ROCPRIM_400000_NS6detail15block_sort_implIlNS0_10empty_typeELj256ELj8ELNS0_4arch9wavefront6targetE1EvE4sortIPlS9_PS3_SA_ZN2at6native12_GLOBAL__N_124unique_dim_cuda_templateIlEESt5tupleIJNSB_6TensorESG_SG_EERKSG_lbbbEUlllE_EEvjbT_T0_T1_T2_T3_RNS7_12storage_typeE,@function
_ZN7rocprim17ROCPRIM_400000_NS6detail15block_sort_implIlNS0_10empty_typeELj256ELj8ELNS0_4arch9wavefront6targetE1EvE4sortIPlS9_PS3_SA_ZN2at6native12_GLOBAL__N_124unique_dim_cuda_templateIlEESt5tupleIJNSB_6TensorESG_SG_EERKSG_lbbbEUlllE_EEvjbT_T0_T1_T2_T3_RNS7_12storage_typeE: ; @_ZN7rocprim17ROCPRIM_400000_NS6detail15block_sort_implIlNS0_10empty_typeELj256ELj8ELNS0_4arch9wavefront6targetE1EvE4sortIPlS9_PS3_SA_ZN2at6native12_GLOBAL__N_124unique_dim_cuda_templateIlEESt5tupleIJNSB_6TensorESG_SG_EERKSG_lbbbEUlllE_EEvjbT_T0_T1_T2_T3_RNS7_12storage_typeE
; %bb.0:
	s_waitcnt vmcnt(0) expcnt(0) lgkmcnt(0)
	s_or_saveexec_b64 s[0:1], -1
	scratch_store_dword off, v40, s32       ; 4-byte Folded Spill
	s_mov_b64 exec, s[0:1]
	v_writelane_b32 v40, s34, 0
	v_writelane_b32 v40, s35, 1
	;; [unrolled: 1-line block ×36, first 2 shown]
	s_nop 1
	v_writelane_b32 v40, s31, 36
	v_and_b32_e32 v1, 1, v1
	v_cmp_eq_u32_e32 vcc, 1, v1
	v_and_b32_e32 v28, 0x3ff, v31
	s_xor_b64 s[0:1], vcc, -1
	s_mov_b64 s[38:39], 0
	v_bfe_u32 v64, v31, 10, 10
	v_bfe_u32 v65, v31, 20, 10
	v_lshlrev_b32_e32 v30, 3, v28
	v_lshrrev_b32_e32 v32, 5, v28
	v_lshrrev_b32_e32 v1, 2, v28
                                        ; implicit-def: $vgpr12_vgpr13
	s_and_saveexec_b64 s[2:3], s[0:1]
	s_xor_b64 s[6:7], exec, s[2:3]
	s_cbranch_execnz .LBB509_5
; %bb.1:
	s_andn2_saveexec_b64 s[40:41], s[6:7]
	s_cbranch_execnz .LBB509_705
.LBB509_2:
	s_or_b64 exec, exec, s[40:41]
	s_and_saveexec_b64 s[0:1], s[38:39]
	s_cbranch_execz .LBB509_4
.LBB509_3:
	s_waitcnt vmcnt(0) lgkmcnt(0)
	v_lshl_add_u64 v[0:1], v[28:29], 3, v[4:5]
	v_add_co_u32_e32 v0, vcc, 0x3000, v0
	s_nop 1
	v_addc_co_u32_e32 v1, vcc, 0, v1, vcc
	flat_store_dwordx2 v[0:1], v[12:13] offset:2048
.LBB509_4:
	s_or_b64 exec, exec, s[0:1]
	v_readlane_b32 s30, v40, 35
	v_readlane_b32 s31, v40, 36
	;; [unrolled: 1-line block ×37, first 2 shown]
	s_or_saveexec_b64 s[0:1], -1
	scratch_load_dword v40, off, s32        ; 4-byte Folded Reload
	s_mov_b64 exec, s[0:1]
	s_waitcnt vmcnt(0) lgkmcnt(0)
	s_setpc_b64 s[30:31]
.LBB509_5:
	v_mov_b32_e32 v29, 0
	v_mov_b32_e32 v31, v29
	v_lshl_add_u64 v[2:3], v[2:3], 0, v[30:31]
	v_add_co_u32_e32 v12, vcc, 0x1000, v2
	v_add_u32_e32 v26, 0x200, v28
	s_nop 0
	v_addc_co_u32_e32 v13, vcc, 0, v3, vcc
	flat_load_dwordx2 v[14:15], v[2:3]
	flat_load_dwordx2 v[16:17], v[2:3] offset:2048
	flat_load_dwordx2 v[18:19], v[12:13]
	flat_load_dwordx2 v[20:21], v[12:13] offset:2048
	v_add_co_u32_e32 v12, vcc, 0x2000, v2
	v_add_u32_e32 v27, 0x300, v28
	s_nop 0
	v_addc_co_u32_e32 v13, vcc, 0, v3, vcc
	v_add_co_u32_e32 v2, vcc, 0x3000, v2
	v_or_b32_e32 v31, 0x400, v28
	s_nop 0
	v_addc_co_u32_e32 v3, vcc, 0, v3, vcc
	flat_load_dwordx2 v[22:23], v[12:13]
	flat_load_dwordx2 v[54:55], v[12:13] offset:2048
	flat_load_dwordx2 v[66:67], v[2:3]
	flat_load_dwordx2 v[68:69], v[2:3] offset:2048
	v_add_u32_e32 v3, 0x100, v28
	v_add_u32_e32 v34, 0x500, v28
	;; [unrolled: 1-line block ×4, first 2 shown]
	v_add_lshl_u32 v0, v32, v28, 3
	v_add_lshl_u32 v2, v1, v30, 3
	v_mov_b32_e32 v1, v29
	v_lshrrev_b32_e32 v12, 5, v3
	v_lshrrev_b32_e32 v32, 5, v26
	;; [unrolled: 1-line block ×7, first 2 shown]
	v_mov_b32_e32 v3, v29
	v_mov_b32_e32 v13, v29
	;; [unrolled: 1-line block ×8, first 2 shown]
	v_lshl_add_u64 v[24:25], v[10:11], 0, v[0:1]
	v_add_lshl_u32 v12, v12, v28, 3
	v_add_lshl_u32 v32, v32, v26, 3
	v_add_lshl_u32 v36, v36, v27, 3
	v_add_lshl_u32 v38, v38, v31, 3
	v_add_lshl_u32 v48, v48, v34, 3
	v_add_lshl_u32 v50, v50, v35, 3
	v_add_lshl_u32 v70, v53, v52, 3
	v_lshl_add_u64 v[52:53], v[10:11], 0, v[2:3]
	v_lshl_add_u64 v[26:27], v[10:11], 0, v[12:13]
	;; [unrolled: 1-line block ×8, first 2 shown]
	v_cmp_lt_i64_e32 vcc, 0, v[6:7]
	s_waitcnt vmcnt(0) lgkmcnt(0)
	flat_store_dwordx2 v[24:25], v[14:15]
	flat_store_dwordx2 v[26:27], v[16:17] offset:2048
	flat_store_dwordx2 v[34:35], v[18:19]
	flat_store_dwordx2 v[32:33], v[20:21]
	;; [unrolled: 1-line block ×6, first 2 shown]
	s_waitcnt lgkmcnt(0)
	s_barrier
	flat_load_dwordx4 v[20:23], v[52:53]
	flat_load_dwordx4 v[16:19], v[52:53] offset:16
	flat_load_dwordx4 v[12:15], v[52:53] offset:32
	;; [unrolled: 1-line block ×3, first 2 shown]
	s_waitcnt lgkmcnt(0)
	s_barrier
	s_load_dwordx2 s[0:1], s[8:9], 0x0
	s_waitcnt lgkmcnt(0)
	s_cmp_lt_u32 s12, s0
	s_cselect_b32 s2, 12, 18
	s_cmp_lt_u32 s13, s1
	s_cselect_b32 s0, 14, 20
	s_add_u32 s0, s8, s0
	s_addc_u32 s1, s9, 0
	s_add_u32 s2, s8, s2
	s_addc_u32 s3, s9, 0
	global_load_ushort v31, v29, s[0:1]
	global_load_ushort v54, v29, s[2:3]
	s_movk_i32 s0, 0x800
	s_waitcnt vmcnt(0)
	v_mad_u32_u24 v31, v65, v31, v64
	v_mul_lo_u32 v31, v31, v54
	v_add_lshl_u32 v31, v31, v28, 3
	v_cmp_gt_u32_e64 s[0:1], s0, v31
	s_and_saveexec_b64 s[10:11], s[0:1]
	s_cbranch_execz .LBB509_231
; %bb.6:
	s_and_saveexec_b64 s[14:15], vcc
	s_cbranch_execnz .LBB509_34
; %bb.7:
	s_or_b64 exec, exec, s[14:15]
	s_and_saveexec_b64 s[14:15], vcc
	s_cbranch_execnz .LBB509_41
.LBB509_8:
	s_or_b64 exec, exec, s[14:15]
	s_and_saveexec_b64 s[14:15], vcc
	s_cbranch_execnz .LBB509_48
.LBB509_9:
	s_or_b64 exec, exec, s[14:15]
	s_and_saveexec_b64 s[14:15], vcc
	s_cbranch_execnz .LBB509_55
.LBB509_10:
	s_or_b64 exec, exec, s[14:15]
	s_and_saveexec_b64 s[0:1], vcc
	s_xor_b64 s[14:15], exec, s[0:1]
	s_cbranch_execnz .LBB509_62
.LBB509_11:
	s_or_b64 exec, exec, s[14:15]
	s_and_saveexec_b64 s[14:15], vcc
	s_cbranch_execnz .LBB509_69
.LBB509_12:
	s_or_b64 exec, exec, s[14:15]
	s_and_saveexec_b64 s[14:15], vcc
	s_cbranch_execnz .LBB509_76
.LBB509_13:
	s_or_b64 exec, exec, s[14:15]
	s_and_saveexec_b64 s[14:15], vcc
	s_cbranch_execnz .LBB509_83
.LBB509_14:
	s_or_b64 exec, exec, s[14:15]
	s_and_saveexec_b64 s[14:15], vcc
	s_cbranch_execnz .LBB509_90
.LBB509_15:
	s_or_b64 exec, exec, s[14:15]
	s_and_saveexec_b64 s[14:15], vcc
	s_cbranch_execnz .LBB509_97
.LBB509_16:
	s_or_b64 exec, exec, s[14:15]
	s_and_saveexec_b64 s[14:15], vcc
	s_cbranch_execnz .LBB509_104
.LBB509_17:
	s_or_b64 exec, exec, s[14:15]
	s_and_saveexec_b64 s[14:15], vcc
	s_cbranch_execnz .LBB509_111
.LBB509_18:
	s_or_b64 exec, exec, s[14:15]
	s_and_saveexec_b64 s[14:15], vcc
	s_cbranch_execnz .LBB509_118
.LBB509_19:
	s_or_b64 exec, exec, s[14:15]
	s_and_saveexec_b64 s[14:15], vcc
	s_cbranch_execnz .LBB509_125
.LBB509_20:
	s_or_b64 exec, exec, s[14:15]
	s_and_saveexec_b64 s[14:15], vcc
	s_cbranch_execnz .LBB509_132
.LBB509_21:
	s_or_b64 exec, exec, s[14:15]
	s_and_saveexec_b64 s[14:15], vcc
	s_cbranch_execnz .LBB509_139
.LBB509_22:
	s_or_b64 exec, exec, s[14:15]
	s_and_saveexec_b64 s[14:15], vcc
	s_cbranch_execnz .LBB509_146
.LBB509_23:
	s_or_b64 exec, exec, s[14:15]
	s_and_saveexec_b64 s[14:15], vcc
	s_cbranch_execnz .LBB509_153
.LBB509_24:
	s_or_b64 exec, exec, s[14:15]
	s_and_saveexec_b64 s[14:15], vcc
	s_cbranch_execnz .LBB509_160
.LBB509_25:
	s_or_b64 exec, exec, s[14:15]
	s_and_saveexec_b64 s[14:15], vcc
	s_cbranch_execnz .LBB509_167
.LBB509_26:
	s_or_b64 exec, exec, s[14:15]
	s_and_saveexec_b64 s[14:15], vcc
	s_cbranch_execnz .LBB509_174
.LBB509_27:
	s_or_b64 exec, exec, s[14:15]
	s_and_saveexec_b64 s[14:15], vcc
	s_cbranch_execnz .LBB509_181
.LBB509_28:
	s_or_b64 exec, exec, s[14:15]
	s_and_saveexec_b64 s[14:15], vcc
	s_cbranch_execnz .LBB509_188
.LBB509_29:
	s_or_b64 exec, exec, s[14:15]
	s_and_saveexec_b64 s[14:15], vcc
	s_cbranch_execnz .LBB509_195
.LBB509_30:
	s_or_b64 exec, exec, s[14:15]
	s_and_saveexec_b64 s[14:15], vcc
	s_cbranch_execnz .LBB509_202
.LBB509_31:
	s_or_b64 exec, exec, s[14:15]
	s_and_saveexec_b64 s[14:15], vcc
	s_cbranch_execnz .LBB509_209
.LBB509_32:
	s_or_b64 exec, exec, s[14:15]
	s_and_saveexec_b64 s[14:15], vcc
	s_cbranch_execnz .LBB509_216
.LBB509_33:
	s_or_b64 exec, exec, s[14:15]
	s_and_saveexec_b64 s[14:15], vcc
	s_cbranch_execnz .LBB509_223
	s_branch .LBB509_230
.LBB509_34:
	v_mul_lo_u32 v64, v21, v6
	v_mul_lo_u32 v65, v20, v7
	v_mad_u64_u32 v[54:55], s[0:1], v20, v6, 0
	v_add3_u32 v55, v55, v65, v64
	v_mul_lo_u32 v66, v23, v6
	v_mul_lo_u32 v67, v22, v7
	v_mad_u64_u32 v[64:65], s[0:1], v22, v6, 0
	v_add3_u32 v65, v65, v67, v66
	v_lshl_add_u64 v[54:55], v[54:55], 3, v[8:9]
	v_lshl_add_u64 v[64:65], v[64:65], 3, v[8:9]
	s_mov_b64 s[18:19], 0
	v_mov_b64_e32 v[66:67], v[6:7]
                                        ; implicit-def: $sgpr16_sgpr17
                                        ; implicit-def: $sgpr20_sgpr21
                                        ; implicit-def: $sgpr24_sgpr25
                                        ; implicit-def: $sgpr22_sgpr23
                                        ; implicit-def: $sgpr26_sgpr27
                                        ; implicit-def: $sgpr28_sgpr29
	s_branch .LBB509_36
.LBB509_35:                             ;   in Loop: Header=BB509_36 Depth=1
	s_or_b64 exec, exec, s[30:31]
	s_and_b64 s[0:1], exec, s[24:25]
	s_or_b64 s[18:19], s[0:1], s[18:19]
	s_andn2_b64 s[0:1], s[28:29], exec
	s_and_b64 s[4:5], s[26:27], exec
	s_or_b64 s[28:29], s[0:1], s[4:5]
	s_andn2_b64 s[0:1], s[20:21], exec
	s_and_b64 s[4:5], s[22:23], exec
	;; [unrolled: 3-line block ×3, first 2 shown]
	s_or_b64 s[16:17], s[0:1], s[2:3]
	s_andn2_b64 exec, exec, s[18:19]
	s_cbranch_execz .LBB509_38
.LBB509_36:                             ; =>This Inner Loop Header: Depth=1
	flat_load_dwordx2 v[68:69], v[64:65]
	flat_load_dwordx2 v[70:71], v[54:55]
	s_andn2_b64 s[26:27], s[26:27], exec
	s_or_b64 s[22:23], s[22:23], exec
	s_or_b64 s[24:25], s[24:25], exec
	s_waitcnt vmcnt(0) lgkmcnt(0)
	v_cmp_le_i64_e64 s[2:3], v[68:69], v[70:71]
	v_cmp_lt_i64_e64 s[0:1], v[68:69], v[70:71]
	s_and_b64 s[2:3], s[2:3], s[28:29]
	v_cmp_eq_u64_e64 s[4:5], v[68:69], v[70:71]
	s_or_b64 s[2:3], s[0:1], s[2:3]
	s_and_saveexec_b64 s[30:31], s[4:5]
	s_cbranch_execz .LBB509_35
; %bb.37:                               ;   in Loop: Header=BB509_36 Depth=1
	v_lshl_add_u64 v[66:67], v[66:67], 0, -1
	v_cmp_eq_u64_e64 s[0:1], 0, v[66:67]
	s_andn2_b64 s[4:5], s[26:27], exec
	s_and_b64 s[26:27], s[2:3], exec
	s_or_b64 s[26:27], s[4:5], s[26:27]
	s_andn2_b64 s[4:5], s[24:25], exec
	s_and_b64 s[0:1], s[0:1], exec
	v_lshl_add_u64 v[54:55], v[54:55], 0, 8
	v_lshl_add_u64 v[64:65], v[64:65], 0, 8
	s_andn2_b64 s[22:23], s[22:23], exec
	s_or_b64 s[24:25], s[4:5], s[0:1]
                                        ; implicit-def: $sgpr28_sgpr29
	s_branch .LBB509_35
.LBB509_38:
	s_or_b64 exec, exec, s[18:19]
	s_and_saveexec_b64 s[0:1], s[20:21]
	s_xor_b64 s[0:1], exec, s[0:1]
; %bb.39:
	v_cndmask_b32_e64 v55, v23, v21, s[16:17]
	v_cndmask_b32_e64 v54, v22, v20, s[16:17]
	v_cndmask_b32_e64 v21, v21, v23, s[16:17]
	v_cndmask_b32_e64 v20, v20, v22, s[16:17]
	v_mov_b64_e32 v[22:23], v[54:55]
; %bb.40:
	s_or_b64 exec, exec, s[0:1]
	s_or_b64 exec, exec, s[14:15]
	s_and_saveexec_b64 s[14:15], vcc
	s_cbranch_execz .LBB509_8
.LBB509_41:
	v_mul_lo_u32 v64, v17, v6
	v_mul_lo_u32 v65, v16, v7
	v_mad_u64_u32 v[54:55], s[0:1], v16, v6, 0
	v_add3_u32 v55, v55, v65, v64
	v_mul_lo_u32 v66, v19, v6
	v_mul_lo_u32 v67, v18, v7
	v_mad_u64_u32 v[64:65], s[0:1], v18, v6, 0
	v_add3_u32 v65, v65, v67, v66
	v_lshl_add_u64 v[54:55], v[54:55], 3, v[8:9]
	v_lshl_add_u64 v[64:65], v[64:65], 3, v[8:9]
	s_mov_b64 s[18:19], 0
	v_mov_b64_e32 v[66:67], v[6:7]
                                        ; implicit-def: $sgpr16_sgpr17
                                        ; implicit-def: $sgpr20_sgpr21
                                        ; implicit-def: $sgpr24_sgpr25
                                        ; implicit-def: $sgpr22_sgpr23
                                        ; implicit-def: $sgpr26_sgpr27
                                        ; implicit-def: $sgpr28_sgpr29
	s_branch .LBB509_43
.LBB509_42:                             ;   in Loop: Header=BB509_43 Depth=1
	s_or_b64 exec, exec, s[30:31]
	s_and_b64 s[0:1], exec, s[24:25]
	s_or_b64 s[18:19], s[0:1], s[18:19]
	s_andn2_b64 s[0:1], s[28:29], exec
	s_and_b64 s[4:5], s[26:27], exec
	s_or_b64 s[28:29], s[0:1], s[4:5]
	s_andn2_b64 s[0:1], s[20:21], exec
	s_and_b64 s[4:5], s[22:23], exec
	;; [unrolled: 3-line block ×3, first 2 shown]
	s_or_b64 s[16:17], s[0:1], s[2:3]
	s_andn2_b64 exec, exec, s[18:19]
	s_cbranch_execz .LBB509_45
.LBB509_43:                             ; =>This Inner Loop Header: Depth=1
	flat_load_dwordx2 v[68:69], v[64:65]
	flat_load_dwordx2 v[70:71], v[54:55]
	s_andn2_b64 s[26:27], s[26:27], exec
	s_or_b64 s[22:23], s[22:23], exec
	s_or_b64 s[24:25], s[24:25], exec
	s_waitcnt vmcnt(0) lgkmcnt(0)
	v_cmp_le_i64_e64 s[2:3], v[68:69], v[70:71]
	v_cmp_lt_i64_e64 s[0:1], v[68:69], v[70:71]
	s_and_b64 s[2:3], s[2:3], s[28:29]
	v_cmp_eq_u64_e64 s[4:5], v[68:69], v[70:71]
	s_or_b64 s[2:3], s[0:1], s[2:3]
	s_and_saveexec_b64 s[30:31], s[4:5]
	s_cbranch_execz .LBB509_42
; %bb.44:                               ;   in Loop: Header=BB509_43 Depth=1
	v_lshl_add_u64 v[66:67], v[66:67], 0, -1
	v_cmp_eq_u64_e64 s[0:1], 0, v[66:67]
	s_andn2_b64 s[4:5], s[26:27], exec
	s_and_b64 s[26:27], s[2:3], exec
	s_or_b64 s[26:27], s[4:5], s[26:27]
	s_andn2_b64 s[4:5], s[24:25], exec
	s_and_b64 s[0:1], s[0:1], exec
	v_lshl_add_u64 v[54:55], v[54:55], 0, 8
	v_lshl_add_u64 v[64:65], v[64:65], 0, 8
	s_andn2_b64 s[22:23], s[22:23], exec
	s_or_b64 s[24:25], s[4:5], s[0:1]
                                        ; implicit-def: $sgpr28_sgpr29
	s_branch .LBB509_42
.LBB509_45:
	s_or_b64 exec, exec, s[18:19]
	s_and_saveexec_b64 s[0:1], s[20:21]
	s_xor_b64 s[0:1], exec, s[0:1]
; %bb.46:
	v_cndmask_b32_e64 v55, v17, v19, s[16:17]
	v_cndmask_b32_e64 v54, v16, v18, s[16:17]
	;; [unrolled: 1-line block ×4, first 2 shown]
	v_mov_b64_e32 v[16:17], v[54:55]
; %bb.47:
	s_or_b64 exec, exec, s[0:1]
	s_or_b64 exec, exec, s[14:15]
	s_and_saveexec_b64 s[14:15], vcc
	s_cbranch_execz .LBB509_9
.LBB509_48:
	v_mul_lo_u32 v64, v13, v6
	v_mul_lo_u32 v65, v12, v7
	v_mad_u64_u32 v[54:55], s[0:1], v12, v6, 0
	v_add3_u32 v55, v55, v65, v64
	v_mul_lo_u32 v66, v15, v6
	v_mul_lo_u32 v67, v14, v7
	v_mad_u64_u32 v[64:65], s[0:1], v14, v6, 0
	v_add3_u32 v65, v65, v67, v66
	v_lshl_add_u64 v[54:55], v[54:55], 3, v[8:9]
	v_lshl_add_u64 v[64:65], v[64:65], 3, v[8:9]
	s_mov_b64 s[18:19], 0
	v_mov_b64_e32 v[66:67], v[6:7]
                                        ; implicit-def: $sgpr16_sgpr17
                                        ; implicit-def: $sgpr20_sgpr21
                                        ; implicit-def: $sgpr24_sgpr25
                                        ; implicit-def: $sgpr22_sgpr23
                                        ; implicit-def: $sgpr26_sgpr27
                                        ; implicit-def: $sgpr28_sgpr29
	s_branch .LBB509_50
.LBB509_49:                             ;   in Loop: Header=BB509_50 Depth=1
	s_or_b64 exec, exec, s[30:31]
	s_and_b64 s[0:1], exec, s[24:25]
	s_or_b64 s[18:19], s[0:1], s[18:19]
	s_andn2_b64 s[0:1], s[28:29], exec
	s_and_b64 s[4:5], s[26:27], exec
	s_or_b64 s[28:29], s[0:1], s[4:5]
	s_andn2_b64 s[0:1], s[20:21], exec
	s_and_b64 s[4:5], s[22:23], exec
	;; [unrolled: 3-line block ×3, first 2 shown]
	s_or_b64 s[16:17], s[0:1], s[2:3]
	s_andn2_b64 exec, exec, s[18:19]
	s_cbranch_execz .LBB509_52
.LBB509_50:                             ; =>This Inner Loop Header: Depth=1
	flat_load_dwordx2 v[68:69], v[64:65]
	flat_load_dwordx2 v[70:71], v[54:55]
	s_andn2_b64 s[26:27], s[26:27], exec
	s_or_b64 s[22:23], s[22:23], exec
	s_or_b64 s[24:25], s[24:25], exec
	s_waitcnt vmcnt(0) lgkmcnt(0)
	v_cmp_le_i64_e64 s[2:3], v[68:69], v[70:71]
	v_cmp_lt_i64_e64 s[0:1], v[68:69], v[70:71]
	s_and_b64 s[2:3], s[2:3], s[28:29]
	v_cmp_eq_u64_e64 s[4:5], v[68:69], v[70:71]
	s_or_b64 s[2:3], s[0:1], s[2:3]
	s_and_saveexec_b64 s[30:31], s[4:5]
	s_cbranch_execz .LBB509_49
; %bb.51:                               ;   in Loop: Header=BB509_50 Depth=1
	v_lshl_add_u64 v[66:67], v[66:67], 0, -1
	v_cmp_eq_u64_e64 s[0:1], 0, v[66:67]
	s_andn2_b64 s[4:5], s[26:27], exec
	s_and_b64 s[26:27], s[2:3], exec
	s_or_b64 s[26:27], s[4:5], s[26:27]
	s_andn2_b64 s[4:5], s[24:25], exec
	s_and_b64 s[0:1], s[0:1], exec
	v_lshl_add_u64 v[54:55], v[54:55], 0, 8
	v_lshl_add_u64 v[64:65], v[64:65], 0, 8
	s_andn2_b64 s[22:23], s[22:23], exec
	s_or_b64 s[24:25], s[4:5], s[0:1]
                                        ; implicit-def: $sgpr28_sgpr29
	s_branch .LBB509_49
.LBB509_52:
	s_or_b64 exec, exec, s[18:19]
	s_and_saveexec_b64 s[0:1], s[20:21]
	s_xor_b64 s[0:1], exec, s[0:1]
; %bb.53:
	v_cndmask_b32_e64 v55, v13, v15, s[16:17]
	v_cndmask_b32_e64 v54, v12, v14, s[16:17]
	;; [unrolled: 1-line block ×4, first 2 shown]
	v_mov_b64_e32 v[12:13], v[54:55]
; %bb.54:
	s_or_b64 exec, exec, s[0:1]
	s_or_b64 exec, exec, s[14:15]
	s_and_saveexec_b64 s[14:15], vcc
	s_cbranch_execz .LBB509_10
.LBB509_55:
	v_mul_lo_u32 v64, v1, v6
	v_mul_lo_u32 v65, v0, v7
	v_mad_u64_u32 v[54:55], s[0:1], v0, v6, 0
	v_add3_u32 v55, v55, v65, v64
	v_mul_lo_u32 v66, v3, v6
	v_mul_lo_u32 v67, v2, v7
	v_mad_u64_u32 v[64:65], s[0:1], v2, v6, 0
	v_add3_u32 v65, v65, v67, v66
	v_lshl_add_u64 v[54:55], v[54:55], 3, v[8:9]
	v_lshl_add_u64 v[64:65], v[64:65], 3, v[8:9]
	s_mov_b64 s[18:19], 0
	v_mov_b64_e32 v[66:67], v[6:7]
                                        ; implicit-def: $sgpr16_sgpr17
                                        ; implicit-def: $sgpr20_sgpr21
                                        ; implicit-def: $sgpr24_sgpr25
                                        ; implicit-def: $sgpr22_sgpr23
                                        ; implicit-def: $sgpr26_sgpr27
                                        ; implicit-def: $sgpr28_sgpr29
	s_branch .LBB509_57
.LBB509_56:                             ;   in Loop: Header=BB509_57 Depth=1
	s_or_b64 exec, exec, s[30:31]
	s_and_b64 s[0:1], exec, s[24:25]
	s_or_b64 s[18:19], s[0:1], s[18:19]
	s_andn2_b64 s[0:1], s[28:29], exec
	s_and_b64 s[4:5], s[26:27], exec
	s_or_b64 s[28:29], s[0:1], s[4:5]
	s_andn2_b64 s[0:1], s[20:21], exec
	s_and_b64 s[4:5], s[22:23], exec
	;; [unrolled: 3-line block ×3, first 2 shown]
	s_or_b64 s[16:17], s[0:1], s[2:3]
	s_andn2_b64 exec, exec, s[18:19]
	s_cbranch_execz .LBB509_59
.LBB509_57:                             ; =>This Inner Loop Header: Depth=1
	flat_load_dwordx2 v[68:69], v[64:65]
	flat_load_dwordx2 v[70:71], v[54:55]
	s_andn2_b64 s[26:27], s[26:27], exec
	s_or_b64 s[22:23], s[22:23], exec
	s_or_b64 s[24:25], s[24:25], exec
	s_waitcnt vmcnt(0) lgkmcnt(0)
	v_cmp_le_i64_e64 s[2:3], v[68:69], v[70:71]
	v_cmp_lt_i64_e64 s[0:1], v[68:69], v[70:71]
	s_and_b64 s[2:3], s[2:3], s[28:29]
	v_cmp_eq_u64_e64 s[4:5], v[68:69], v[70:71]
	s_or_b64 s[2:3], s[0:1], s[2:3]
	s_and_saveexec_b64 s[30:31], s[4:5]
	s_cbranch_execz .LBB509_56
; %bb.58:                               ;   in Loop: Header=BB509_57 Depth=1
	v_lshl_add_u64 v[66:67], v[66:67], 0, -1
	v_cmp_eq_u64_e64 s[0:1], 0, v[66:67]
	s_andn2_b64 s[4:5], s[26:27], exec
	s_and_b64 s[26:27], s[2:3], exec
	s_or_b64 s[26:27], s[4:5], s[26:27]
	s_andn2_b64 s[4:5], s[24:25], exec
	s_and_b64 s[0:1], s[0:1], exec
	v_lshl_add_u64 v[54:55], v[54:55], 0, 8
	v_lshl_add_u64 v[64:65], v[64:65], 0, 8
	s_andn2_b64 s[22:23], s[22:23], exec
	s_or_b64 s[24:25], s[4:5], s[0:1]
                                        ; implicit-def: $sgpr28_sgpr29
	s_branch .LBB509_56
.LBB509_59:
	s_or_b64 exec, exec, s[18:19]
	s_and_saveexec_b64 s[0:1], s[20:21]
	s_xor_b64 s[0:1], exec, s[0:1]
; %bb.60:
	v_cndmask_b32_e64 v55, v1, v3, s[16:17]
	v_cndmask_b32_e64 v54, v0, v2, s[16:17]
	;; [unrolled: 1-line block ×4, first 2 shown]
	v_mov_b64_e32 v[0:1], v[54:55]
; %bb.61:
	s_or_b64 exec, exec, s[0:1]
	s_or_b64 exec, exec, s[14:15]
	s_and_saveexec_b64 s[0:1], vcc
	s_xor_b64 s[14:15], exec, s[0:1]
	s_cbranch_execz .LBB509_11
.LBB509_62:
	v_mul_lo_u32 v64, v23, v6
	v_mul_lo_u32 v65, v22, v7
	v_mad_u64_u32 v[54:55], s[0:1], v22, v6, 0
	v_add3_u32 v55, v55, v65, v64
	v_mul_lo_u32 v66, v17, v6
	v_mul_lo_u32 v67, v16, v7
	v_mad_u64_u32 v[64:65], s[0:1], v16, v6, 0
	v_add3_u32 v65, v65, v67, v66
	v_lshl_add_u64 v[54:55], v[54:55], 3, v[8:9]
	v_lshl_add_u64 v[64:65], v[64:65], 3, v[8:9]
	s_mov_b64 s[18:19], 0
	v_mov_b64_e32 v[66:67], v[6:7]
                                        ; implicit-def: $sgpr16_sgpr17
                                        ; implicit-def: $sgpr20_sgpr21
                                        ; implicit-def: $sgpr24_sgpr25
                                        ; implicit-def: $sgpr22_sgpr23
                                        ; implicit-def: $sgpr26_sgpr27
                                        ; implicit-def: $sgpr28_sgpr29
	s_branch .LBB509_64
.LBB509_63:                             ;   in Loop: Header=BB509_64 Depth=1
	s_or_b64 exec, exec, s[30:31]
	s_and_b64 s[0:1], exec, s[24:25]
	s_or_b64 s[18:19], s[0:1], s[18:19]
	s_andn2_b64 s[0:1], s[28:29], exec
	s_and_b64 s[4:5], s[26:27], exec
	s_or_b64 s[28:29], s[0:1], s[4:5]
	s_andn2_b64 s[0:1], s[20:21], exec
	s_and_b64 s[4:5], s[22:23], exec
	;; [unrolled: 3-line block ×3, first 2 shown]
	s_or_b64 s[16:17], s[0:1], s[2:3]
	s_andn2_b64 exec, exec, s[18:19]
	s_cbranch_execz .LBB509_66
.LBB509_64:                             ; =>This Inner Loop Header: Depth=1
	flat_load_dwordx2 v[68:69], v[64:65]
	flat_load_dwordx2 v[70:71], v[54:55]
	s_andn2_b64 s[26:27], s[26:27], exec
	s_or_b64 s[22:23], s[22:23], exec
	s_or_b64 s[24:25], s[24:25], exec
	s_waitcnt vmcnt(0) lgkmcnt(0)
	v_cmp_le_i64_e64 s[2:3], v[68:69], v[70:71]
	v_cmp_lt_i64_e64 s[0:1], v[68:69], v[70:71]
	s_and_b64 s[2:3], s[2:3], s[28:29]
	v_cmp_eq_u64_e64 s[4:5], v[68:69], v[70:71]
	s_or_b64 s[2:3], s[0:1], s[2:3]
	s_and_saveexec_b64 s[30:31], s[4:5]
	s_cbranch_execz .LBB509_63
; %bb.65:                               ;   in Loop: Header=BB509_64 Depth=1
	v_lshl_add_u64 v[66:67], v[66:67], 0, -1
	v_cmp_eq_u64_e64 s[0:1], 0, v[66:67]
	s_andn2_b64 s[4:5], s[26:27], exec
	s_and_b64 s[26:27], s[2:3], exec
	s_or_b64 s[26:27], s[4:5], s[26:27]
	s_andn2_b64 s[4:5], s[24:25], exec
	s_and_b64 s[0:1], s[0:1], exec
	v_lshl_add_u64 v[54:55], v[54:55], 0, 8
	v_lshl_add_u64 v[64:65], v[64:65], 0, 8
	s_andn2_b64 s[22:23], s[22:23], exec
	s_or_b64 s[24:25], s[4:5], s[0:1]
                                        ; implicit-def: $sgpr28_sgpr29
	s_branch .LBB509_63
.LBB509_66:
	s_or_b64 exec, exec, s[18:19]
	s_and_saveexec_b64 s[0:1], s[20:21]
	s_xor_b64 s[0:1], exec, s[0:1]
; %bb.67:
	v_cndmask_b32_e64 v55, v23, v17, s[16:17]
	v_cndmask_b32_e64 v54, v22, v16, s[16:17]
	;; [unrolled: 1-line block ×4, first 2 shown]
	v_mov_b64_e32 v[22:23], v[54:55]
; %bb.68:
	s_or_b64 exec, exec, s[0:1]
	s_or_b64 exec, exec, s[14:15]
	s_and_saveexec_b64 s[14:15], vcc
	s_cbranch_execz .LBB509_12
.LBB509_69:
	v_mul_lo_u32 v64, v19, v6
	v_mul_lo_u32 v65, v18, v7
	v_mad_u64_u32 v[54:55], s[0:1], v18, v6, 0
	v_add3_u32 v55, v55, v65, v64
	v_mul_lo_u32 v66, v13, v6
	v_mul_lo_u32 v67, v12, v7
	v_mad_u64_u32 v[64:65], s[0:1], v12, v6, 0
	v_add3_u32 v65, v65, v67, v66
	v_lshl_add_u64 v[54:55], v[54:55], 3, v[8:9]
	v_lshl_add_u64 v[64:65], v[64:65], 3, v[8:9]
	s_mov_b64 s[18:19], 0
	v_mov_b64_e32 v[66:67], v[6:7]
                                        ; implicit-def: $sgpr16_sgpr17
                                        ; implicit-def: $sgpr20_sgpr21
                                        ; implicit-def: $sgpr24_sgpr25
                                        ; implicit-def: $sgpr22_sgpr23
                                        ; implicit-def: $sgpr26_sgpr27
                                        ; implicit-def: $sgpr28_sgpr29
	s_branch .LBB509_71
.LBB509_70:                             ;   in Loop: Header=BB509_71 Depth=1
	s_or_b64 exec, exec, s[30:31]
	s_and_b64 s[0:1], exec, s[24:25]
	s_or_b64 s[18:19], s[0:1], s[18:19]
	s_andn2_b64 s[0:1], s[28:29], exec
	s_and_b64 s[4:5], s[26:27], exec
	s_or_b64 s[28:29], s[0:1], s[4:5]
	s_andn2_b64 s[0:1], s[20:21], exec
	s_and_b64 s[4:5], s[22:23], exec
	;; [unrolled: 3-line block ×3, first 2 shown]
	s_or_b64 s[16:17], s[0:1], s[2:3]
	s_andn2_b64 exec, exec, s[18:19]
	s_cbranch_execz .LBB509_73
.LBB509_71:                             ; =>This Inner Loop Header: Depth=1
	flat_load_dwordx2 v[68:69], v[64:65]
	flat_load_dwordx2 v[70:71], v[54:55]
	s_andn2_b64 s[26:27], s[26:27], exec
	s_or_b64 s[22:23], s[22:23], exec
	s_or_b64 s[24:25], s[24:25], exec
	s_waitcnt vmcnt(0) lgkmcnt(0)
	v_cmp_le_i64_e64 s[2:3], v[68:69], v[70:71]
	v_cmp_lt_i64_e64 s[0:1], v[68:69], v[70:71]
	s_and_b64 s[2:3], s[2:3], s[28:29]
	v_cmp_eq_u64_e64 s[4:5], v[68:69], v[70:71]
	s_or_b64 s[2:3], s[0:1], s[2:3]
	s_and_saveexec_b64 s[30:31], s[4:5]
	s_cbranch_execz .LBB509_70
; %bb.72:                               ;   in Loop: Header=BB509_71 Depth=1
	v_lshl_add_u64 v[66:67], v[66:67], 0, -1
	v_cmp_eq_u64_e64 s[0:1], 0, v[66:67]
	s_andn2_b64 s[4:5], s[26:27], exec
	s_and_b64 s[26:27], s[2:3], exec
	s_or_b64 s[26:27], s[4:5], s[26:27]
	s_andn2_b64 s[4:5], s[24:25], exec
	s_and_b64 s[0:1], s[0:1], exec
	v_lshl_add_u64 v[54:55], v[54:55], 0, 8
	v_lshl_add_u64 v[64:65], v[64:65], 0, 8
	s_andn2_b64 s[22:23], s[22:23], exec
	s_or_b64 s[24:25], s[4:5], s[0:1]
                                        ; implicit-def: $sgpr28_sgpr29
	s_branch .LBB509_70
.LBB509_73:
	s_or_b64 exec, exec, s[18:19]
	s_and_saveexec_b64 s[0:1], s[20:21]
	s_xor_b64 s[0:1], exec, s[0:1]
; %bb.74:
	v_cndmask_b32_e64 v55, v19, v13, s[16:17]
	v_cndmask_b32_e64 v54, v18, v12, s[16:17]
	;; [unrolled: 1-line block ×4, first 2 shown]
	v_mov_b64_e32 v[18:19], v[54:55]
; %bb.75:
	s_or_b64 exec, exec, s[0:1]
	s_or_b64 exec, exec, s[14:15]
	s_and_saveexec_b64 s[14:15], vcc
	s_cbranch_execz .LBB509_13
.LBB509_76:
	v_mul_lo_u32 v64, v15, v6
	v_mul_lo_u32 v65, v14, v7
	v_mad_u64_u32 v[54:55], s[0:1], v14, v6, 0
	v_add3_u32 v55, v55, v65, v64
	v_mul_lo_u32 v66, v1, v6
	v_mul_lo_u32 v67, v0, v7
	v_mad_u64_u32 v[64:65], s[0:1], v0, v6, 0
	v_add3_u32 v65, v65, v67, v66
	v_lshl_add_u64 v[54:55], v[54:55], 3, v[8:9]
	v_lshl_add_u64 v[64:65], v[64:65], 3, v[8:9]
	s_mov_b64 s[18:19], 0
	v_mov_b64_e32 v[66:67], v[6:7]
                                        ; implicit-def: $sgpr16_sgpr17
                                        ; implicit-def: $sgpr20_sgpr21
                                        ; implicit-def: $sgpr24_sgpr25
                                        ; implicit-def: $sgpr22_sgpr23
                                        ; implicit-def: $sgpr26_sgpr27
                                        ; implicit-def: $sgpr28_sgpr29
	s_branch .LBB509_78
.LBB509_77:                             ;   in Loop: Header=BB509_78 Depth=1
	s_or_b64 exec, exec, s[30:31]
	s_and_b64 s[0:1], exec, s[24:25]
	s_or_b64 s[18:19], s[0:1], s[18:19]
	s_andn2_b64 s[0:1], s[28:29], exec
	s_and_b64 s[4:5], s[26:27], exec
	s_or_b64 s[28:29], s[0:1], s[4:5]
	s_andn2_b64 s[0:1], s[20:21], exec
	s_and_b64 s[4:5], s[22:23], exec
	;; [unrolled: 3-line block ×3, first 2 shown]
	s_or_b64 s[16:17], s[0:1], s[2:3]
	s_andn2_b64 exec, exec, s[18:19]
	s_cbranch_execz .LBB509_80
.LBB509_78:                             ; =>This Inner Loop Header: Depth=1
	flat_load_dwordx2 v[68:69], v[64:65]
	flat_load_dwordx2 v[70:71], v[54:55]
	s_andn2_b64 s[26:27], s[26:27], exec
	s_or_b64 s[22:23], s[22:23], exec
	s_or_b64 s[24:25], s[24:25], exec
	s_waitcnt vmcnt(0) lgkmcnt(0)
	v_cmp_le_i64_e64 s[2:3], v[68:69], v[70:71]
	v_cmp_lt_i64_e64 s[0:1], v[68:69], v[70:71]
	s_and_b64 s[2:3], s[2:3], s[28:29]
	v_cmp_eq_u64_e64 s[4:5], v[68:69], v[70:71]
	s_or_b64 s[2:3], s[0:1], s[2:3]
	s_and_saveexec_b64 s[30:31], s[4:5]
	s_cbranch_execz .LBB509_77
; %bb.79:                               ;   in Loop: Header=BB509_78 Depth=1
	v_lshl_add_u64 v[66:67], v[66:67], 0, -1
	v_cmp_eq_u64_e64 s[0:1], 0, v[66:67]
	s_andn2_b64 s[4:5], s[26:27], exec
	s_and_b64 s[26:27], s[2:3], exec
	s_or_b64 s[26:27], s[4:5], s[26:27]
	s_andn2_b64 s[4:5], s[24:25], exec
	s_and_b64 s[0:1], s[0:1], exec
	v_lshl_add_u64 v[54:55], v[54:55], 0, 8
	v_lshl_add_u64 v[64:65], v[64:65], 0, 8
	s_andn2_b64 s[22:23], s[22:23], exec
	s_or_b64 s[24:25], s[4:5], s[0:1]
                                        ; implicit-def: $sgpr28_sgpr29
	s_branch .LBB509_77
.LBB509_80:
	s_or_b64 exec, exec, s[18:19]
	s_and_saveexec_b64 s[0:1], s[20:21]
	s_xor_b64 s[0:1], exec, s[0:1]
; %bb.81:
	v_cndmask_b32_e64 v55, v15, v1, s[16:17]
	v_cndmask_b32_e64 v54, v14, v0, s[16:17]
	;; [unrolled: 1-line block ×4, first 2 shown]
	v_mov_b64_e32 v[14:15], v[54:55]
; %bb.82:
	s_or_b64 exec, exec, s[0:1]
	s_or_b64 exec, exec, s[14:15]
	s_and_saveexec_b64 s[14:15], vcc
	s_cbranch_execz .LBB509_14
.LBB509_83:
	v_mul_lo_u32 v64, v21, v6
	v_mul_lo_u32 v65, v20, v7
	v_mad_u64_u32 v[54:55], s[0:1], v20, v6, 0
	v_add3_u32 v55, v55, v65, v64
	v_mul_lo_u32 v66, v23, v6
	v_mul_lo_u32 v67, v22, v7
	v_mad_u64_u32 v[64:65], s[0:1], v22, v6, 0
	v_add3_u32 v65, v65, v67, v66
	v_lshl_add_u64 v[54:55], v[54:55], 3, v[8:9]
	v_lshl_add_u64 v[64:65], v[64:65], 3, v[8:9]
	s_mov_b64 s[18:19], 0
	v_mov_b64_e32 v[66:67], v[6:7]
                                        ; implicit-def: $sgpr16_sgpr17
                                        ; implicit-def: $sgpr20_sgpr21
                                        ; implicit-def: $sgpr24_sgpr25
                                        ; implicit-def: $sgpr22_sgpr23
                                        ; implicit-def: $sgpr26_sgpr27
                                        ; implicit-def: $sgpr28_sgpr29
	s_branch .LBB509_85
.LBB509_84:                             ;   in Loop: Header=BB509_85 Depth=1
	s_or_b64 exec, exec, s[30:31]
	s_and_b64 s[0:1], exec, s[24:25]
	s_or_b64 s[18:19], s[0:1], s[18:19]
	s_andn2_b64 s[0:1], s[28:29], exec
	s_and_b64 s[4:5], s[26:27], exec
	s_or_b64 s[28:29], s[0:1], s[4:5]
	s_andn2_b64 s[0:1], s[20:21], exec
	s_and_b64 s[4:5], s[22:23], exec
	;; [unrolled: 3-line block ×3, first 2 shown]
	s_or_b64 s[16:17], s[0:1], s[2:3]
	s_andn2_b64 exec, exec, s[18:19]
	s_cbranch_execz .LBB509_87
.LBB509_85:                             ; =>This Inner Loop Header: Depth=1
	flat_load_dwordx2 v[68:69], v[64:65]
	flat_load_dwordx2 v[70:71], v[54:55]
	s_andn2_b64 s[26:27], s[26:27], exec
	s_or_b64 s[22:23], s[22:23], exec
	s_or_b64 s[24:25], s[24:25], exec
	s_waitcnt vmcnt(0) lgkmcnt(0)
	v_cmp_le_i64_e64 s[2:3], v[68:69], v[70:71]
	v_cmp_lt_i64_e64 s[0:1], v[68:69], v[70:71]
	s_and_b64 s[2:3], s[2:3], s[28:29]
	v_cmp_eq_u64_e64 s[4:5], v[68:69], v[70:71]
	s_or_b64 s[2:3], s[0:1], s[2:3]
	s_and_saveexec_b64 s[30:31], s[4:5]
	s_cbranch_execz .LBB509_84
; %bb.86:                               ;   in Loop: Header=BB509_85 Depth=1
	v_lshl_add_u64 v[66:67], v[66:67], 0, -1
	v_cmp_eq_u64_e64 s[0:1], 0, v[66:67]
	s_andn2_b64 s[4:5], s[26:27], exec
	s_and_b64 s[26:27], s[2:3], exec
	s_or_b64 s[26:27], s[4:5], s[26:27]
	s_andn2_b64 s[4:5], s[24:25], exec
	s_and_b64 s[0:1], s[0:1], exec
	v_lshl_add_u64 v[54:55], v[54:55], 0, 8
	v_lshl_add_u64 v[64:65], v[64:65], 0, 8
	s_andn2_b64 s[22:23], s[22:23], exec
	s_or_b64 s[24:25], s[4:5], s[0:1]
                                        ; implicit-def: $sgpr28_sgpr29
	s_branch .LBB509_84
.LBB509_87:
	s_or_b64 exec, exec, s[18:19]
	s_and_saveexec_b64 s[0:1], s[20:21]
	s_xor_b64 s[0:1], exec, s[0:1]
; %bb.88:
	v_cndmask_b32_e64 v55, v23, v21, s[16:17]
	v_cndmask_b32_e64 v54, v22, v20, s[16:17]
	;; [unrolled: 1-line block ×4, first 2 shown]
	v_mov_b64_e32 v[22:23], v[54:55]
; %bb.89:
	s_or_b64 exec, exec, s[0:1]
	s_or_b64 exec, exec, s[14:15]
	s_and_saveexec_b64 s[14:15], vcc
	s_cbranch_execz .LBB509_15
.LBB509_90:
	v_mul_lo_u32 v64, v17, v6
	v_mul_lo_u32 v65, v16, v7
	v_mad_u64_u32 v[54:55], s[0:1], v16, v6, 0
	v_add3_u32 v55, v55, v65, v64
	v_mul_lo_u32 v66, v19, v6
	v_mul_lo_u32 v67, v18, v7
	v_mad_u64_u32 v[64:65], s[0:1], v18, v6, 0
	v_add3_u32 v65, v65, v67, v66
	v_lshl_add_u64 v[54:55], v[54:55], 3, v[8:9]
	v_lshl_add_u64 v[64:65], v[64:65], 3, v[8:9]
	s_mov_b64 s[18:19], 0
	v_mov_b64_e32 v[66:67], v[6:7]
                                        ; implicit-def: $sgpr16_sgpr17
                                        ; implicit-def: $sgpr20_sgpr21
                                        ; implicit-def: $sgpr24_sgpr25
                                        ; implicit-def: $sgpr22_sgpr23
                                        ; implicit-def: $sgpr26_sgpr27
                                        ; implicit-def: $sgpr28_sgpr29
	s_branch .LBB509_92
.LBB509_91:                             ;   in Loop: Header=BB509_92 Depth=1
	s_or_b64 exec, exec, s[30:31]
	s_and_b64 s[0:1], exec, s[24:25]
	s_or_b64 s[18:19], s[0:1], s[18:19]
	s_andn2_b64 s[0:1], s[28:29], exec
	s_and_b64 s[4:5], s[26:27], exec
	s_or_b64 s[28:29], s[0:1], s[4:5]
	s_andn2_b64 s[0:1], s[20:21], exec
	s_and_b64 s[4:5], s[22:23], exec
	;; [unrolled: 3-line block ×3, first 2 shown]
	s_or_b64 s[16:17], s[0:1], s[2:3]
	s_andn2_b64 exec, exec, s[18:19]
	s_cbranch_execz .LBB509_94
.LBB509_92:                             ; =>This Inner Loop Header: Depth=1
	flat_load_dwordx2 v[68:69], v[64:65]
	flat_load_dwordx2 v[70:71], v[54:55]
	s_andn2_b64 s[26:27], s[26:27], exec
	s_or_b64 s[22:23], s[22:23], exec
	s_or_b64 s[24:25], s[24:25], exec
	s_waitcnt vmcnt(0) lgkmcnt(0)
	v_cmp_le_i64_e64 s[2:3], v[68:69], v[70:71]
	v_cmp_lt_i64_e64 s[0:1], v[68:69], v[70:71]
	s_and_b64 s[2:3], s[2:3], s[28:29]
	v_cmp_eq_u64_e64 s[4:5], v[68:69], v[70:71]
	s_or_b64 s[2:3], s[0:1], s[2:3]
	s_and_saveexec_b64 s[30:31], s[4:5]
	s_cbranch_execz .LBB509_91
; %bb.93:                               ;   in Loop: Header=BB509_92 Depth=1
	v_lshl_add_u64 v[66:67], v[66:67], 0, -1
	v_cmp_eq_u64_e64 s[0:1], 0, v[66:67]
	s_andn2_b64 s[4:5], s[26:27], exec
	s_and_b64 s[26:27], s[2:3], exec
	s_or_b64 s[26:27], s[4:5], s[26:27]
	s_andn2_b64 s[4:5], s[24:25], exec
	s_and_b64 s[0:1], s[0:1], exec
	v_lshl_add_u64 v[54:55], v[54:55], 0, 8
	v_lshl_add_u64 v[64:65], v[64:65], 0, 8
	s_andn2_b64 s[22:23], s[22:23], exec
	s_or_b64 s[24:25], s[4:5], s[0:1]
                                        ; implicit-def: $sgpr28_sgpr29
	s_branch .LBB509_91
.LBB509_94:
	s_or_b64 exec, exec, s[18:19]
	s_and_saveexec_b64 s[0:1], s[20:21]
	s_xor_b64 s[0:1], exec, s[0:1]
; %bb.95:
	v_cndmask_b32_e64 v55, v17, v19, s[16:17]
	v_cndmask_b32_e64 v54, v16, v18, s[16:17]
	;; [unrolled: 1-line block ×4, first 2 shown]
	v_mov_b64_e32 v[16:17], v[54:55]
; %bb.96:
	s_or_b64 exec, exec, s[0:1]
	s_or_b64 exec, exec, s[14:15]
	s_and_saveexec_b64 s[14:15], vcc
	s_cbranch_execz .LBB509_16
.LBB509_97:
	v_mul_lo_u32 v64, v13, v6
	v_mul_lo_u32 v65, v12, v7
	v_mad_u64_u32 v[54:55], s[0:1], v12, v6, 0
	v_add3_u32 v55, v55, v65, v64
	v_mul_lo_u32 v66, v15, v6
	v_mul_lo_u32 v67, v14, v7
	v_mad_u64_u32 v[64:65], s[0:1], v14, v6, 0
	v_add3_u32 v65, v65, v67, v66
	v_lshl_add_u64 v[54:55], v[54:55], 3, v[8:9]
	v_lshl_add_u64 v[64:65], v[64:65], 3, v[8:9]
	s_mov_b64 s[18:19], 0
	v_mov_b64_e32 v[66:67], v[6:7]
                                        ; implicit-def: $sgpr16_sgpr17
                                        ; implicit-def: $sgpr20_sgpr21
                                        ; implicit-def: $sgpr24_sgpr25
                                        ; implicit-def: $sgpr22_sgpr23
                                        ; implicit-def: $sgpr26_sgpr27
                                        ; implicit-def: $sgpr28_sgpr29
	s_branch .LBB509_99
.LBB509_98:                             ;   in Loop: Header=BB509_99 Depth=1
	s_or_b64 exec, exec, s[30:31]
	s_and_b64 s[0:1], exec, s[24:25]
	s_or_b64 s[18:19], s[0:1], s[18:19]
	s_andn2_b64 s[0:1], s[28:29], exec
	s_and_b64 s[4:5], s[26:27], exec
	s_or_b64 s[28:29], s[0:1], s[4:5]
	s_andn2_b64 s[0:1], s[20:21], exec
	s_and_b64 s[4:5], s[22:23], exec
	;; [unrolled: 3-line block ×3, first 2 shown]
	s_or_b64 s[16:17], s[0:1], s[2:3]
	s_andn2_b64 exec, exec, s[18:19]
	s_cbranch_execz .LBB509_101
.LBB509_99:                             ; =>This Inner Loop Header: Depth=1
	flat_load_dwordx2 v[68:69], v[64:65]
	flat_load_dwordx2 v[70:71], v[54:55]
	s_andn2_b64 s[26:27], s[26:27], exec
	s_or_b64 s[22:23], s[22:23], exec
	s_or_b64 s[24:25], s[24:25], exec
	s_waitcnt vmcnt(0) lgkmcnt(0)
	v_cmp_le_i64_e64 s[2:3], v[68:69], v[70:71]
	v_cmp_lt_i64_e64 s[0:1], v[68:69], v[70:71]
	s_and_b64 s[2:3], s[2:3], s[28:29]
	v_cmp_eq_u64_e64 s[4:5], v[68:69], v[70:71]
	s_or_b64 s[2:3], s[0:1], s[2:3]
	s_and_saveexec_b64 s[30:31], s[4:5]
	s_cbranch_execz .LBB509_98
; %bb.100:                              ;   in Loop: Header=BB509_99 Depth=1
	v_lshl_add_u64 v[66:67], v[66:67], 0, -1
	v_cmp_eq_u64_e64 s[0:1], 0, v[66:67]
	s_andn2_b64 s[4:5], s[26:27], exec
	s_and_b64 s[26:27], s[2:3], exec
	s_or_b64 s[26:27], s[4:5], s[26:27]
	s_andn2_b64 s[4:5], s[24:25], exec
	s_and_b64 s[0:1], s[0:1], exec
	v_lshl_add_u64 v[54:55], v[54:55], 0, 8
	v_lshl_add_u64 v[64:65], v[64:65], 0, 8
	s_andn2_b64 s[22:23], s[22:23], exec
	s_or_b64 s[24:25], s[4:5], s[0:1]
                                        ; implicit-def: $sgpr28_sgpr29
	s_branch .LBB509_98
.LBB509_101:
	s_or_b64 exec, exec, s[18:19]
	s_and_saveexec_b64 s[0:1], s[20:21]
	s_xor_b64 s[0:1], exec, s[0:1]
; %bb.102:
	v_cndmask_b32_e64 v55, v13, v15, s[16:17]
	v_cndmask_b32_e64 v54, v12, v14, s[16:17]
	;; [unrolled: 1-line block ×4, first 2 shown]
	v_mov_b64_e32 v[12:13], v[54:55]
; %bb.103:
	s_or_b64 exec, exec, s[0:1]
	s_or_b64 exec, exec, s[14:15]
	s_and_saveexec_b64 s[14:15], vcc
	s_cbranch_execz .LBB509_17
.LBB509_104:
	v_mul_lo_u32 v64, v1, v6
	v_mul_lo_u32 v65, v0, v7
	v_mad_u64_u32 v[54:55], s[0:1], v0, v6, 0
	v_add3_u32 v55, v55, v65, v64
	v_mul_lo_u32 v66, v3, v6
	v_mul_lo_u32 v67, v2, v7
	v_mad_u64_u32 v[64:65], s[0:1], v2, v6, 0
	v_add3_u32 v65, v65, v67, v66
	v_lshl_add_u64 v[54:55], v[54:55], 3, v[8:9]
	v_lshl_add_u64 v[64:65], v[64:65], 3, v[8:9]
	s_mov_b64 s[18:19], 0
	v_mov_b64_e32 v[66:67], v[6:7]
                                        ; implicit-def: $sgpr16_sgpr17
                                        ; implicit-def: $sgpr20_sgpr21
                                        ; implicit-def: $sgpr24_sgpr25
                                        ; implicit-def: $sgpr22_sgpr23
                                        ; implicit-def: $sgpr26_sgpr27
                                        ; implicit-def: $sgpr28_sgpr29
	s_branch .LBB509_106
.LBB509_105:                            ;   in Loop: Header=BB509_106 Depth=1
	s_or_b64 exec, exec, s[30:31]
	s_and_b64 s[0:1], exec, s[24:25]
	s_or_b64 s[18:19], s[0:1], s[18:19]
	s_andn2_b64 s[0:1], s[28:29], exec
	s_and_b64 s[4:5], s[26:27], exec
	s_or_b64 s[28:29], s[0:1], s[4:5]
	s_andn2_b64 s[0:1], s[20:21], exec
	s_and_b64 s[4:5], s[22:23], exec
	;; [unrolled: 3-line block ×3, first 2 shown]
	s_or_b64 s[16:17], s[0:1], s[2:3]
	s_andn2_b64 exec, exec, s[18:19]
	s_cbranch_execz .LBB509_108
.LBB509_106:                            ; =>This Inner Loop Header: Depth=1
	flat_load_dwordx2 v[68:69], v[64:65]
	flat_load_dwordx2 v[70:71], v[54:55]
	s_andn2_b64 s[26:27], s[26:27], exec
	s_or_b64 s[22:23], s[22:23], exec
	s_or_b64 s[24:25], s[24:25], exec
	s_waitcnt vmcnt(0) lgkmcnt(0)
	v_cmp_le_i64_e64 s[2:3], v[68:69], v[70:71]
	v_cmp_lt_i64_e64 s[0:1], v[68:69], v[70:71]
	s_and_b64 s[2:3], s[2:3], s[28:29]
	v_cmp_eq_u64_e64 s[4:5], v[68:69], v[70:71]
	s_or_b64 s[2:3], s[0:1], s[2:3]
	s_and_saveexec_b64 s[30:31], s[4:5]
	s_cbranch_execz .LBB509_105
; %bb.107:                              ;   in Loop: Header=BB509_106 Depth=1
	v_lshl_add_u64 v[66:67], v[66:67], 0, -1
	v_cmp_eq_u64_e64 s[0:1], 0, v[66:67]
	s_andn2_b64 s[4:5], s[26:27], exec
	s_and_b64 s[26:27], s[2:3], exec
	s_or_b64 s[26:27], s[4:5], s[26:27]
	s_andn2_b64 s[4:5], s[24:25], exec
	s_and_b64 s[0:1], s[0:1], exec
	v_lshl_add_u64 v[54:55], v[54:55], 0, 8
	v_lshl_add_u64 v[64:65], v[64:65], 0, 8
	s_andn2_b64 s[22:23], s[22:23], exec
	s_or_b64 s[24:25], s[4:5], s[0:1]
                                        ; implicit-def: $sgpr28_sgpr29
	s_branch .LBB509_105
.LBB509_108:
	s_or_b64 exec, exec, s[18:19]
	s_and_saveexec_b64 s[0:1], s[20:21]
	s_xor_b64 s[0:1], exec, s[0:1]
; %bb.109:
	v_cndmask_b32_e64 v55, v1, v3, s[16:17]
	v_cndmask_b32_e64 v54, v0, v2, s[16:17]
	;; [unrolled: 1-line block ×4, first 2 shown]
	v_mov_b64_e32 v[0:1], v[54:55]
; %bb.110:
	s_or_b64 exec, exec, s[0:1]
	s_or_b64 exec, exec, s[14:15]
	s_and_saveexec_b64 s[14:15], vcc
	s_cbranch_execz .LBB509_18
.LBB509_111:
	v_mul_lo_u32 v64, v23, v6
	v_mul_lo_u32 v65, v22, v7
	v_mad_u64_u32 v[54:55], s[0:1], v22, v6, 0
	v_add3_u32 v55, v55, v65, v64
	v_mul_lo_u32 v66, v17, v6
	v_mul_lo_u32 v67, v16, v7
	v_mad_u64_u32 v[64:65], s[0:1], v16, v6, 0
	v_add3_u32 v65, v65, v67, v66
	v_lshl_add_u64 v[54:55], v[54:55], 3, v[8:9]
	v_lshl_add_u64 v[64:65], v[64:65], 3, v[8:9]
	s_mov_b64 s[18:19], 0
	v_mov_b64_e32 v[66:67], v[6:7]
                                        ; implicit-def: $sgpr16_sgpr17
                                        ; implicit-def: $sgpr20_sgpr21
                                        ; implicit-def: $sgpr24_sgpr25
                                        ; implicit-def: $sgpr22_sgpr23
                                        ; implicit-def: $sgpr26_sgpr27
                                        ; implicit-def: $sgpr28_sgpr29
	s_branch .LBB509_113
.LBB509_112:                            ;   in Loop: Header=BB509_113 Depth=1
	s_or_b64 exec, exec, s[30:31]
	s_and_b64 s[0:1], exec, s[24:25]
	s_or_b64 s[18:19], s[0:1], s[18:19]
	s_andn2_b64 s[0:1], s[28:29], exec
	s_and_b64 s[4:5], s[26:27], exec
	s_or_b64 s[28:29], s[0:1], s[4:5]
	s_andn2_b64 s[0:1], s[20:21], exec
	s_and_b64 s[4:5], s[22:23], exec
	;; [unrolled: 3-line block ×3, first 2 shown]
	s_or_b64 s[16:17], s[0:1], s[2:3]
	s_andn2_b64 exec, exec, s[18:19]
	s_cbranch_execz .LBB509_115
.LBB509_113:                            ; =>This Inner Loop Header: Depth=1
	flat_load_dwordx2 v[68:69], v[64:65]
	flat_load_dwordx2 v[70:71], v[54:55]
	s_andn2_b64 s[26:27], s[26:27], exec
	s_or_b64 s[22:23], s[22:23], exec
	s_or_b64 s[24:25], s[24:25], exec
	s_waitcnt vmcnt(0) lgkmcnt(0)
	v_cmp_le_i64_e64 s[2:3], v[68:69], v[70:71]
	v_cmp_lt_i64_e64 s[0:1], v[68:69], v[70:71]
	s_and_b64 s[2:3], s[2:3], s[28:29]
	v_cmp_eq_u64_e64 s[4:5], v[68:69], v[70:71]
	s_or_b64 s[2:3], s[0:1], s[2:3]
	s_and_saveexec_b64 s[30:31], s[4:5]
	s_cbranch_execz .LBB509_112
; %bb.114:                              ;   in Loop: Header=BB509_113 Depth=1
	v_lshl_add_u64 v[66:67], v[66:67], 0, -1
	v_cmp_eq_u64_e64 s[0:1], 0, v[66:67]
	s_andn2_b64 s[4:5], s[26:27], exec
	s_and_b64 s[26:27], s[2:3], exec
	s_or_b64 s[26:27], s[4:5], s[26:27]
	s_andn2_b64 s[4:5], s[24:25], exec
	s_and_b64 s[0:1], s[0:1], exec
	v_lshl_add_u64 v[54:55], v[54:55], 0, 8
	v_lshl_add_u64 v[64:65], v[64:65], 0, 8
	s_andn2_b64 s[22:23], s[22:23], exec
	s_or_b64 s[24:25], s[4:5], s[0:1]
                                        ; implicit-def: $sgpr28_sgpr29
	s_branch .LBB509_112
.LBB509_115:
	s_or_b64 exec, exec, s[18:19]
	s_and_saveexec_b64 s[0:1], s[20:21]
	s_xor_b64 s[0:1], exec, s[0:1]
; %bb.116:
	v_cndmask_b32_e64 v55, v23, v17, s[16:17]
	v_cndmask_b32_e64 v54, v22, v16, s[16:17]
	;; [unrolled: 1-line block ×4, first 2 shown]
	v_mov_b64_e32 v[22:23], v[54:55]
; %bb.117:
	s_or_b64 exec, exec, s[0:1]
	s_or_b64 exec, exec, s[14:15]
	s_and_saveexec_b64 s[14:15], vcc
	s_cbranch_execz .LBB509_19
.LBB509_118:
	v_mul_lo_u32 v64, v19, v6
	v_mul_lo_u32 v65, v18, v7
	v_mad_u64_u32 v[54:55], s[0:1], v18, v6, 0
	v_add3_u32 v55, v55, v65, v64
	v_mul_lo_u32 v66, v13, v6
	v_mul_lo_u32 v67, v12, v7
	v_mad_u64_u32 v[64:65], s[0:1], v12, v6, 0
	v_add3_u32 v65, v65, v67, v66
	v_lshl_add_u64 v[54:55], v[54:55], 3, v[8:9]
	v_lshl_add_u64 v[64:65], v[64:65], 3, v[8:9]
	s_mov_b64 s[18:19], 0
	v_mov_b64_e32 v[66:67], v[6:7]
                                        ; implicit-def: $sgpr16_sgpr17
                                        ; implicit-def: $sgpr20_sgpr21
                                        ; implicit-def: $sgpr24_sgpr25
                                        ; implicit-def: $sgpr22_sgpr23
                                        ; implicit-def: $sgpr26_sgpr27
                                        ; implicit-def: $sgpr28_sgpr29
	s_branch .LBB509_120
.LBB509_119:                            ;   in Loop: Header=BB509_120 Depth=1
	s_or_b64 exec, exec, s[30:31]
	s_and_b64 s[0:1], exec, s[24:25]
	s_or_b64 s[18:19], s[0:1], s[18:19]
	s_andn2_b64 s[0:1], s[28:29], exec
	s_and_b64 s[4:5], s[26:27], exec
	s_or_b64 s[28:29], s[0:1], s[4:5]
	s_andn2_b64 s[0:1], s[20:21], exec
	s_and_b64 s[4:5], s[22:23], exec
	;; [unrolled: 3-line block ×3, first 2 shown]
	s_or_b64 s[16:17], s[0:1], s[2:3]
	s_andn2_b64 exec, exec, s[18:19]
	s_cbranch_execz .LBB509_122
.LBB509_120:                            ; =>This Inner Loop Header: Depth=1
	flat_load_dwordx2 v[68:69], v[64:65]
	flat_load_dwordx2 v[70:71], v[54:55]
	s_andn2_b64 s[26:27], s[26:27], exec
	s_or_b64 s[22:23], s[22:23], exec
	s_or_b64 s[24:25], s[24:25], exec
	s_waitcnt vmcnt(0) lgkmcnt(0)
	v_cmp_le_i64_e64 s[2:3], v[68:69], v[70:71]
	v_cmp_lt_i64_e64 s[0:1], v[68:69], v[70:71]
	s_and_b64 s[2:3], s[2:3], s[28:29]
	v_cmp_eq_u64_e64 s[4:5], v[68:69], v[70:71]
	s_or_b64 s[2:3], s[0:1], s[2:3]
	s_and_saveexec_b64 s[30:31], s[4:5]
	s_cbranch_execz .LBB509_119
; %bb.121:                              ;   in Loop: Header=BB509_120 Depth=1
	v_lshl_add_u64 v[66:67], v[66:67], 0, -1
	v_cmp_eq_u64_e64 s[0:1], 0, v[66:67]
	s_andn2_b64 s[4:5], s[26:27], exec
	s_and_b64 s[26:27], s[2:3], exec
	s_or_b64 s[26:27], s[4:5], s[26:27]
	s_andn2_b64 s[4:5], s[24:25], exec
	s_and_b64 s[0:1], s[0:1], exec
	v_lshl_add_u64 v[54:55], v[54:55], 0, 8
	v_lshl_add_u64 v[64:65], v[64:65], 0, 8
	s_andn2_b64 s[22:23], s[22:23], exec
	s_or_b64 s[24:25], s[4:5], s[0:1]
                                        ; implicit-def: $sgpr28_sgpr29
	s_branch .LBB509_119
.LBB509_122:
	s_or_b64 exec, exec, s[18:19]
	s_and_saveexec_b64 s[0:1], s[20:21]
	s_xor_b64 s[0:1], exec, s[0:1]
; %bb.123:
	v_cndmask_b32_e64 v55, v19, v13, s[16:17]
	v_cndmask_b32_e64 v54, v18, v12, s[16:17]
	;; [unrolled: 1-line block ×4, first 2 shown]
	v_mov_b64_e32 v[18:19], v[54:55]
; %bb.124:
	s_or_b64 exec, exec, s[0:1]
	s_or_b64 exec, exec, s[14:15]
	s_and_saveexec_b64 s[14:15], vcc
	s_cbranch_execz .LBB509_20
.LBB509_125:
	v_mul_lo_u32 v64, v15, v6
	v_mul_lo_u32 v65, v14, v7
	v_mad_u64_u32 v[54:55], s[0:1], v14, v6, 0
	v_add3_u32 v55, v55, v65, v64
	v_mul_lo_u32 v66, v1, v6
	v_mul_lo_u32 v67, v0, v7
	v_mad_u64_u32 v[64:65], s[0:1], v0, v6, 0
	v_add3_u32 v65, v65, v67, v66
	v_lshl_add_u64 v[54:55], v[54:55], 3, v[8:9]
	v_lshl_add_u64 v[64:65], v[64:65], 3, v[8:9]
	s_mov_b64 s[18:19], 0
	v_mov_b64_e32 v[66:67], v[6:7]
                                        ; implicit-def: $sgpr16_sgpr17
                                        ; implicit-def: $sgpr20_sgpr21
                                        ; implicit-def: $sgpr24_sgpr25
                                        ; implicit-def: $sgpr22_sgpr23
                                        ; implicit-def: $sgpr26_sgpr27
                                        ; implicit-def: $sgpr28_sgpr29
	s_branch .LBB509_127
.LBB509_126:                            ;   in Loop: Header=BB509_127 Depth=1
	s_or_b64 exec, exec, s[30:31]
	s_and_b64 s[0:1], exec, s[24:25]
	s_or_b64 s[18:19], s[0:1], s[18:19]
	s_andn2_b64 s[0:1], s[28:29], exec
	s_and_b64 s[4:5], s[26:27], exec
	s_or_b64 s[28:29], s[0:1], s[4:5]
	s_andn2_b64 s[0:1], s[20:21], exec
	s_and_b64 s[4:5], s[22:23], exec
	;; [unrolled: 3-line block ×3, first 2 shown]
	s_or_b64 s[16:17], s[0:1], s[2:3]
	s_andn2_b64 exec, exec, s[18:19]
	s_cbranch_execz .LBB509_129
.LBB509_127:                            ; =>This Inner Loop Header: Depth=1
	flat_load_dwordx2 v[68:69], v[64:65]
	flat_load_dwordx2 v[70:71], v[54:55]
	s_andn2_b64 s[26:27], s[26:27], exec
	s_or_b64 s[22:23], s[22:23], exec
	s_or_b64 s[24:25], s[24:25], exec
	s_waitcnt vmcnt(0) lgkmcnt(0)
	v_cmp_le_i64_e64 s[2:3], v[68:69], v[70:71]
	v_cmp_lt_i64_e64 s[0:1], v[68:69], v[70:71]
	s_and_b64 s[2:3], s[2:3], s[28:29]
	v_cmp_eq_u64_e64 s[4:5], v[68:69], v[70:71]
	s_or_b64 s[2:3], s[0:1], s[2:3]
	s_and_saveexec_b64 s[30:31], s[4:5]
	s_cbranch_execz .LBB509_126
; %bb.128:                              ;   in Loop: Header=BB509_127 Depth=1
	v_lshl_add_u64 v[66:67], v[66:67], 0, -1
	v_cmp_eq_u64_e64 s[0:1], 0, v[66:67]
	s_andn2_b64 s[4:5], s[26:27], exec
	s_and_b64 s[26:27], s[2:3], exec
	s_or_b64 s[26:27], s[4:5], s[26:27]
	s_andn2_b64 s[4:5], s[24:25], exec
	s_and_b64 s[0:1], s[0:1], exec
	v_lshl_add_u64 v[54:55], v[54:55], 0, 8
	v_lshl_add_u64 v[64:65], v[64:65], 0, 8
	s_andn2_b64 s[22:23], s[22:23], exec
	s_or_b64 s[24:25], s[4:5], s[0:1]
                                        ; implicit-def: $sgpr28_sgpr29
	s_branch .LBB509_126
.LBB509_129:
	s_or_b64 exec, exec, s[18:19]
	s_and_saveexec_b64 s[0:1], s[20:21]
	s_xor_b64 s[0:1], exec, s[0:1]
; %bb.130:
	v_cndmask_b32_e64 v55, v15, v1, s[16:17]
	v_cndmask_b32_e64 v54, v14, v0, s[16:17]
	;; [unrolled: 1-line block ×4, first 2 shown]
	v_mov_b64_e32 v[14:15], v[54:55]
; %bb.131:
	s_or_b64 exec, exec, s[0:1]
	s_or_b64 exec, exec, s[14:15]
	s_and_saveexec_b64 s[14:15], vcc
	s_cbranch_execz .LBB509_21
.LBB509_132:
	v_mul_lo_u32 v64, v21, v6
	v_mul_lo_u32 v65, v20, v7
	v_mad_u64_u32 v[54:55], s[0:1], v20, v6, 0
	v_add3_u32 v55, v55, v65, v64
	v_mul_lo_u32 v66, v23, v6
	v_mul_lo_u32 v67, v22, v7
	v_mad_u64_u32 v[64:65], s[0:1], v22, v6, 0
	v_add3_u32 v65, v65, v67, v66
	v_lshl_add_u64 v[54:55], v[54:55], 3, v[8:9]
	v_lshl_add_u64 v[64:65], v[64:65], 3, v[8:9]
	s_mov_b64 s[18:19], 0
	v_mov_b64_e32 v[66:67], v[6:7]
                                        ; implicit-def: $sgpr16_sgpr17
                                        ; implicit-def: $sgpr20_sgpr21
                                        ; implicit-def: $sgpr24_sgpr25
                                        ; implicit-def: $sgpr22_sgpr23
                                        ; implicit-def: $sgpr26_sgpr27
                                        ; implicit-def: $sgpr28_sgpr29
	s_branch .LBB509_134
.LBB509_133:                            ;   in Loop: Header=BB509_134 Depth=1
	s_or_b64 exec, exec, s[30:31]
	s_and_b64 s[0:1], exec, s[24:25]
	s_or_b64 s[18:19], s[0:1], s[18:19]
	s_andn2_b64 s[0:1], s[28:29], exec
	s_and_b64 s[4:5], s[26:27], exec
	s_or_b64 s[28:29], s[0:1], s[4:5]
	s_andn2_b64 s[0:1], s[20:21], exec
	s_and_b64 s[4:5], s[22:23], exec
	s_or_b64 s[20:21], s[0:1], s[4:5]
	s_andn2_b64 s[0:1], s[16:17], exec
	s_and_b64 s[2:3], s[2:3], exec
	s_or_b64 s[16:17], s[0:1], s[2:3]
	s_andn2_b64 exec, exec, s[18:19]
	s_cbranch_execz .LBB509_136
.LBB509_134:                            ; =>This Inner Loop Header: Depth=1
	flat_load_dwordx2 v[68:69], v[64:65]
	flat_load_dwordx2 v[70:71], v[54:55]
	s_andn2_b64 s[26:27], s[26:27], exec
	s_or_b64 s[22:23], s[22:23], exec
	s_or_b64 s[24:25], s[24:25], exec
	s_waitcnt vmcnt(0) lgkmcnt(0)
	v_cmp_le_i64_e64 s[2:3], v[68:69], v[70:71]
	v_cmp_lt_i64_e64 s[0:1], v[68:69], v[70:71]
	s_and_b64 s[2:3], s[2:3], s[28:29]
	v_cmp_eq_u64_e64 s[4:5], v[68:69], v[70:71]
	s_or_b64 s[2:3], s[0:1], s[2:3]
	s_and_saveexec_b64 s[30:31], s[4:5]
	s_cbranch_execz .LBB509_133
; %bb.135:                              ;   in Loop: Header=BB509_134 Depth=1
	v_lshl_add_u64 v[66:67], v[66:67], 0, -1
	v_cmp_eq_u64_e64 s[0:1], 0, v[66:67]
	s_andn2_b64 s[4:5], s[26:27], exec
	s_and_b64 s[26:27], s[2:3], exec
	s_or_b64 s[26:27], s[4:5], s[26:27]
	s_andn2_b64 s[4:5], s[24:25], exec
	s_and_b64 s[0:1], s[0:1], exec
	v_lshl_add_u64 v[54:55], v[54:55], 0, 8
	v_lshl_add_u64 v[64:65], v[64:65], 0, 8
	s_andn2_b64 s[22:23], s[22:23], exec
	s_or_b64 s[24:25], s[4:5], s[0:1]
                                        ; implicit-def: $sgpr28_sgpr29
	s_branch .LBB509_133
.LBB509_136:
	s_or_b64 exec, exec, s[18:19]
	s_and_saveexec_b64 s[0:1], s[20:21]
	s_xor_b64 s[0:1], exec, s[0:1]
; %bb.137:
	v_cndmask_b32_e64 v55, v23, v21, s[16:17]
	v_cndmask_b32_e64 v54, v22, v20, s[16:17]
	;; [unrolled: 1-line block ×4, first 2 shown]
	v_mov_b64_e32 v[22:23], v[54:55]
; %bb.138:
	s_or_b64 exec, exec, s[0:1]
	s_or_b64 exec, exec, s[14:15]
	s_and_saveexec_b64 s[14:15], vcc
	s_cbranch_execz .LBB509_22
.LBB509_139:
	v_mul_lo_u32 v64, v17, v6
	v_mul_lo_u32 v65, v16, v7
	v_mad_u64_u32 v[54:55], s[0:1], v16, v6, 0
	v_add3_u32 v55, v55, v65, v64
	v_mul_lo_u32 v66, v19, v6
	v_mul_lo_u32 v67, v18, v7
	v_mad_u64_u32 v[64:65], s[0:1], v18, v6, 0
	v_add3_u32 v65, v65, v67, v66
	v_lshl_add_u64 v[54:55], v[54:55], 3, v[8:9]
	v_lshl_add_u64 v[64:65], v[64:65], 3, v[8:9]
	s_mov_b64 s[18:19], 0
	v_mov_b64_e32 v[66:67], v[6:7]
                                        ; implicit-def: $sgpr16_sgpr17
                                        ; implicit-def: $sgpr20_sgpr21
                                        ; implicit-def: $sgpr24_sgpr25
                                        ; implicit-def: $sgpr22_sgpr23
                                        ; implicit-def: $sgpr26_sgpr27
                                        ; implicit-def: $sgpr28_sgpr29
	s_branch .LBB509_141
.LBB509_140:                            ;   in Loop: Header=BB509_141 Depth=1
	s_or_b64 exec, exec, s[30:31]
	s_and_b64 s[0:1], exec, s[24:25]
	s_or_b64 s[18:19], s[0:1], s[18:19]
	s_andn2_b64 s[0:1], s[28:29], exec
	s_and_b64 s[4:5], s[26:27], exec
	s_or_b64 s[28:29], s[0:1], s[4:5]
	s_andn2_b64 s[0:1], s[20:21], exec
	s_and_b64 s[4:5], s[22:23], exec
	;; [unrolled: 3-line block ×3, first 2 shown]
	s_or_b64 s[16:17], s[0:1], s[2:3]
	s_andn2_b64 exec, exec, s[18:19]
	s_cbranch_execz .LBB509_143
.LBB509_141:                            ; =>This Inner Loop Header: Depth=1
	flat_load_dwordx2 v[68:69], v[64:65]
	flat_load_dwordx2 v[70:71], v[54:55]
	s_andn2_b64 s[26:27], s[26:27], exec
	s_or_b64 s[22:23], s[22:23], exec
	s_or_b64 s[24:25], s[24:25], exec
	s_waitcnt vmcnt(0) lgkmcnt(0)
	v_cmp_le_i64_e64 s[2:3], v[68:69], v[70:71]
	v_cmp_lt_i64_e64 s[0:1], v[68:69], v[70:71]
	s_and_b64 s[2:3], s[2:3], s[28:29]
	v_cmp_eq_u64_e64 s[4:5], v[68:69], v[70:71]
	s_or_b64 s[2:3], s[0:1], s[2:3]
	s_and_saveexec_b64 s[30:31], s[4:5]
	s_cbranch_execz .LBB509_140
; %bb.142:                              ;   in Loop: Header=BB509_141 Depth=1
	v_lshl_add_u64 v[66:67], v[66:67], 0, -1
	v_cmp_eq_u64_e64 s[0:1], 0, v[66:67]
	s_andn2_b64 s[4:5], s[26:27], exec
	s_and_b64 s[26:27], s[2:3], exec
	s_or_b64 s[26:27], s[4:5], s[26:27]
	s_andn2_b64 s[4:5], s[24:25], exec
	s_and_b64 s[0:1], s[0:1], exec
	v_lshl_add_u64 v[54:55], v[54:55], 0, 8
	v_lshl_add_u64 v[64:65], v[64:65], 0, 8
	s_andn2_b64 s[22:23], s[22:23], exec
	s_or_b64 s[24:25], s[4:5], s[0:1]
                                        ; implicit-def: $sgpr28_sgpr29
	s_branch .LBB509_140
.LBB509_143:
	s_or_b64 exec, exec, s[18:19]
	s_and_saveexec_b64 s[0:1], s[20:21]
	s_xor_b64 s[0:1], exec, s[0:1]
; %bb.144:
	v_cndmask_b32_e64 v55, v17, v19, s[16:17]
	v_cndmask_b32_e64 v54, v16, v18, s[16:17]
	;; [unrolled: 1-line block ×4, first 2 shown]
	v_mov_b64_e32 v[16:17], v[54:55]
; %bb.145:
	s_or_b64 exec, exec, s[0:1]
	s_or_b64 exec, exec, s[14:15]
	s_and_saveexec_b64 s[14:15], vcc
	s_cbranch_execz .LBB509_23
.LBB509_146:
	v_mul_lo_u32 v64, v13, v6
	v_mul_lo_u32 v65, v12, v7
	v_mad_u64_u32 v[54:55], s[0:1], v12, v6, 0
	v_add3_u32 v55, v55, v65, v64
	v_mul_lo_u32 v66, v15, v6
	v_mul_lo_u32 v67, v14, v7
	v_mad_u64_u32 v[64:65], s[0:1], v14, v6, 0
	v_add3_u32 v65, v65, v67, v66
	v_lshl_add_u64 v[54:55], v[54:55], 3, v[8:9]
	v_lshl_add_u64 v[64:65], v[64:65], 3, v[8:9]
	s_mov_b64 s[18:19], 0
	v_mov_b64_e32 v[66:67], v[6:7]
                                        ; implicit-def: $sgpr16_sgpr17
                                        ; implicit-def: $sgpr20_sgpr21
                                        ; implicit-def: $sgpr24_sgpr25
                                        ; implicit-def: $sgpr22_sgpr23
                                        ; implicit-def: $sgpr26_sgpr27
                                        ; implicit-def: $sgpr28_sgpr29
	s_branch .LBB509_148
.LBB509_147:                            ;   in Loop: Header=BB509_148 Depth=1
	s_or_b64 exec, exec, s[30:31]
	s_and_b64 s[0:1], exec, s[24:25]
	s_or_b64 s[18:19], s[0:1], s[18:19]
	s_andn2_b64 s[0:1], s[28:29], exec
	s_and_b64 s[4:5], s[26:27], exec
	s_or_b64 s[28:29], s[0:1], s[4:5]
	s_andn2_b64 s[0:1], s[20:21], exec
	s_and_b64 s[4:5], s[22:23], exec
	;; [unrolled: 3-line block ×3, first 2 shown]
	s_or_b64 s[16:17], s[0:1], s[2:3]
	s_andn2_b64 exec, exec, s[18:19]
	s_cbranch_execz .LBB509_150
.LBB509_148:                            ; =>This Inner Loop Header: Depth=1
	flat_load_dwordx2 v[68:69], v[64:65]
	flat_load_dwordx2 v[70:71], v[54:55]
	s_andn2_b64 s[26:27], s[26:27], exec
	s_or_b64 s[22:23], s[22:23], exec
	s_or_b64 s[24:25], s[24:25], exec
	s_waitcnt vmcnt(0) lgkmcnt(0)
	v_cmp_le_i64_e64 s[2:3], v[68:69], v[70:71]
	v_cmp_lt_i64_e64 s[0:1], v[68:69], v[70:71]
	s_and_b64 s[2:3], s[2:3], s[28:29]
	v_cmp_eq_u64_e64 s[4:5], v[68:69], v[70:71]
	s_or_b64 s[2:3], s[0:1], s[2:3]
	s_and_saveexec_b64 s[30:31], s[4:5]
	s_cbranch_execz .LBB509_147
; %bb.149:                              ;   in Loop: Header=BB509_148 Depth=1
	v_lshl_add_u64 v[66:67], v[66:67], 0, -1
	v_cmp_eq_u64_e64 s[0:1], 0, v[66:67]
	s_andn2_b64 s[4:5], s[26:27], exec
	s_and_b64 s[26:27], s[2:3], exec
	s_or_b64 s[26:27], s[4:5], s[26:27]
	s_andn2_b64 s[4:5], s[24:25], exec
	s_and_b64 s[0:1], s[0:1], exec
	v_lshl_add_u64 v[54:55], v[54:55], 0, 8
	v_lshl_add_u64 v[64:65], v[64:65], 0, 8
	s_andn2_b64 s[22:23], s[22:23], exec
	s_or_b64 s[24:25], s[4:5], s[0:1]
                                        ; implicit-def: $sgpr28_sgpr29
	s_branch .LBB509_147
.LBB509_150:
	s_or_b64 exec, exec, s[18:19]
	s_and_saveexec_b64 s[0:1], s[20:21]
	s_xor_b64 s[0:1], exec, s[0:1]
; %bb.151:
	v_cndmask_b32_e64 v55, v13, v15, s[16:17]
	v_cndmask_b32_e64 v54, v12, v14, s[16:17]
	;; [unrolled: 1-line block ×4, first 2 shown]
	v_mov_b64_e32 v[12:13], v[54:55]
; %bb.152:
	s_or_b64 exec, exec, s[0:1]
	s_or_b64 exec, exec, s[14:15]
	s_and_saveexec_b64 s[14:15], vcc
	s_cbranch_execz .LBB509_24
.LBB509_153:
	v_mul_lo_u32 v64, v1, v6
	v_mul_lo_u32 v65, v0, v7
	v_mad_u64_u32 v[54:55], s[0:1], v0, v6, 0
	v_add3_u32 v55, v55, v65, v64
	v_mul_lo_u32 v66, v3, v6
	v_mul_lo_u32 v67, v2, v7
	v_mad_u64_u32 v[64:65], s[0:1], v2, v6, 0
	v_add3_u32 v65, v65, v67, v66
	v_lshl_add_u64 v[54:55], v[54:55], 3, v[8:9]
	v_lshl_add_u64 v[64:65], v[64:65], 3, v[8:9]
	s_mov_b64 s[18:19], 0
	v_mov_b64_e32 v[66:67], v[6:7]
                                        ; implicit-def: $sgpr16_sgpr17
                                        ; implicit-def: $sgpr20_sgpr21
                                        ; implicit-def: $sgpr24_sgpr25
                                        ; implicit-def: $sgpr22_sgpr23
                                        ; implicit-def: $sgpr26_sgpr27
                                        ; implicit-def: $sgpr28_sgpr29
	s_branch .LBB509_155
.LBB509_154:                            ;   in Loop: Header=BB509_155 Depth=1
	s_or_b64 exec, exec, s[30:31]
	s_and_b64 s[0:1], exec, s[24:25]
	s_or_b64 s[18:19], s[0:1], s[18:19]
	s_andn2_b64 s[0:1], s[28:29], exec
	s_and_b64 s[4:5], s[26:27], exec
	s_or_b64 s[28:29], s[0:1], s[4:5]
	s_andn2_b64 s[0:1], s[20:21], exec
	s_and_b64 s[4:5], s[22:23], exec
	;; [unrolled: 3-line block ×3, first 2 shown]
	s_or_b64 s[16:17], s[0:1], s[2:3]
	s_andn2_b64 exec, exec, s[18:19]
	s_cbranch_execz .LBB509_157
.LBB509_155:                            ; =>This Inner Loop Header: Depth=1
	flat_load_dwordx2 v[68:69], v[64:65]
	flat_load_dwordx2 v[70:71], v[54:55]
	s_andn2_b64 s[26:27], s[26:27], exec
	s_or_b64 s[22:23], s[22:23], exec
	s_or_b64 s[24:25], s[24:25], exec
	s_waitcnt vmcnt(0) lgkmcnt(0)
	v_cmp_le_i64_e64 s[2:3], v[68:69], v[70:71]
	v_cmp_lt_i64_e64 s[0:1], v[68:69], v[70:71]
	s_and_b64 s[2:3], s[2:3], s[28:29]
	v_cmp_eq_u64_e64 s[4:5], v[68:69], v[70:71]
	s_or_b64 s[2:3], s[0:1], s[2:3]
	s_and_saveexec_b64 s[30:31], s[4:5]
	s_cbranch_execz .LBB509_154
; %bb.156:                              ;   in Loop: Header=BB509_155 Depth=1
	v_lshl_add_u64 v[66:67], v[66:67], 0, -1
	v_cmp_eq_u64_e64 s[0:1], 0, v[66:67]
	s_andn2_b64 s[4:5], s[26:27], exec
	s_and_b64 s[26:27], s[2:3], exec
	s_or_b64 s[26:27], s[4:5], s[26:27]
	s_andn2_b64 s[4:5], s[24:25], exec
	s_and_b64 s[0:1], s[0:1], exec
	v_lshl_add_u64 v[54:55], v[54:55], 0, 8
	v_lshl_add_u64 v[64:65], v[64:65], 0, 8
	s_andn2_b64 s[22:23], s[22:23], exec
	s_or_b64 s[24:25], s[4:5], s[0:1]
                                        ; implicit-def: $sgpr28_sgpr29
	s_branch .LBB509_154
.LBB509_157:
	s_or_b64 exec, exec, s[18:19]
	s_and_saveexec_b64 s[0:1], s[20:21]
	s_xor_b64 s[0:1], exec, s[0:1]
; %bb.158:
	v_cndmask_b32_e64 v55, v1, v3, s[16:17]
	v_cndmask_b32_e64 v54, v0, v2, s[16:17]
	;; [unrolled: 1-line block ×4, first 2 shown]
	v_mov_b64_e32 v[0:1], v[54:55]
; %bb.159:
	s_or_b64 exec, exec, s[0:1]
	s_or_b64 exec, exec, s[14:15]
	s_and_saveexec_b64 s[14:15], vcc
	s_cbranch_execz .LBB509_25
.LBB509_160:
	v_mul_lo_u32 v64, v23, v6
	v_mul_lo_u32 v65, v22, v7
	v_mad_u64_u32 v[54:55], s[0:1], v22, v6, 0
	v_add3_u32 v55, v55, v65, v64
	v_mul_lo_u32 v66, v17, v6
	v_mul_lo_u32 v67, v16, v7
	v_mad_u64_u32 v[64:65], s[0:1], v16, v6, 0
	v_add3_u32 v65, v65, v67, v66
	v_lshl_add_u64 v[54:55], v[54:55], 3, v[8:9]
	v_lshl_add_u64 v[64:65], v[64:65], 3, v[8:9]
	s_mov_b64 s[18:19], 0
	v_mov_b64_e32 v[66:67], v[6:7]
                                        ; implicit-def: $sgpr16_sgpr17
                                        ; implicit-def: $sgpr20_sgpr21
                                        ; implicit-def: $sgpr24_sgpr25
                                        ; implicit-def: $sgpr22_sgpr23
                                        ; implicit-def: $sgpr26_sgpr27
                                        ; implicit-def: $sgpr28_sgpr29
	s_branch .LBB509_162
.LBB509_161:                            ;   in Loop: Header=BB509_162 Depth=1
	s_or_b64 exec, exec, s[30:31]
	s_and_b64 s[0:1], exec, s[24:25]
	s_or_b64 s[18:19], s[0:1], s[18:19]
	s_andn2_b64 s[0:1], s[28:29], exec
	s_and_b64 s[4:5], s[26:27], exec
	s_or_b64 s[28:29], s[0:1], s[4:5]
	s_andn2_b64 s[0:1], s[20:21], exec
	s_and_b64 s[4:5], s[22:23], exec
	;; [unrolled: 3-line block ×3, first 2 shown]
	s_or_b64 s[16:17], s[0:1], s[2:3]
	s_andn2_b64 exec, exec, s[18:19]
	s_cbranch_execz .LBB509_164
.LBB509_162:                            ; =>This Inner Loop Header: Depth=1
	flat_load_dwordx2 v[68:69], v[64:65]
	flat_load_dwordx2 v[70:71], v[54:55]
	s_andn2_b64 s[26:27], s[26:27], exec
	s_or_b64 s[22:23], s[22:23], exec
	s_or_b64 s[24:25], s[24:25], exec
	s_waitcnt vmcnt(0) lgkmcnt(0)
	v_cmp_le_i64_e64 s[2:3], v[68:69], v[70:71]
	v_cmp_lt_i64_e64 s[0:1], v[68:69], v[70:71]
	s_and_b64 s[2:3], s[2:3], s[28:29]
	v_cmp_eq_u64_e64 s[4:5], v[68:69], v[70:71]
	s_or_b64 s[2:3], s[0:1], s[2:3]
	s_and_saveexec_b64 s[30:31], s[4:5]
	s_cbranch_execz .LBB509_161
; %bb.163:                              ;   in Loop: Header=BB509_162 Depth=1
	v_lshl_add_u64 v[66:67], v[66:67], 0, -1
	v_cmp_eq_u64_e64 s[0:1], 0, v[66:67]
	s_andn2_b64 s[4:5], s[26:27], exec
	s_and_b64 s[26:27], s[2:3], exec
	s_or_b64 s[26:27], s[4:5], s[26:27]
	s_andn2_b64 s[4:5], s[24:25], exec
	s_and_b64 s[0:1], s[0:1], exec
	v_lshl_add_u64 v[54:55], v[54:55], 0, 8
	v_lshl_add_u64 v[64:65], v[64:65], 0, 8
	s_andn2_b64 s[22:23], s[22:23], exec
	s_or_b64 s[24:25], s[4:5], s[0:1]
                                        ; implicit-def: $sgpr28_sgpr29
	s_branch .LBB509_161
.LBB509_164:
	s_or_b64 exec, exec, s[18:19]
	s_and_saveexec_b64 s[0:1], s[20:21]
	s_xor_b64 s[0:1], exec, s[0:1]
; %bb.165:
	v_cndmask_b32_e64 v55, v23, v17, s[16:17]
	v_cndmask_b32_e64 v54, v22, v16, s[16:17]
	;; [unrolled: 1-line block ×4, first 2 shown]
	v_mov_b64_e32 v[22:23], v[54:55]
; %bb.166:
	s_or_b64 exec, exec, s[0:1]
	s_or_b64 exec, exec, s[14:15]
	s_and_saveexec_b64 s[14:15], vcc
	s_cbranch_execz .LBB509_26
.LBB509_167:
	v_mul_lo_u32 v64, v19, v6
	v_mul_lo_u32 v65, v18, v7
	v_mad_u64_u32 v[54:55], s[0:1], v18, v6, 0
	v_add3_u32 v55, v55, v65, v64
	v_mul_lo_u32 v66, v13, v6
	v_mul_lo_u32 v67, v12, v7
	v_mad_u64_u32 v[64:65], s[0:1], v12, v6, 0
	v_add3_u32 v65, v65, v67, v66
	v_lshl_add_u64 v[54:55], v[54:55], 3, v[8:9]
	v_lshl_add_u64 v[64:65], v[64:65], 3, v[8:9]
	s_mov_b64 s[18:19], 0
	v_mov_b64_e32 v[66:67], v[6:7]
                                        ; implicit-def: $sgpr16_sgpr17
                                        ; implicit-def: $sgpr20_sgpr21
                                        ; implicit-def: $sgpr24_sgpr25
                                        ; implicit-def: $sgpr22_sgpr23
                                        ; implicit-def: $sgpr26_sgpr27
                                        ; implicit-def: $sgpr28_sgpr29
	s_branch .LBB509_169
.LBB509_168:                            ;   in Loop: Header=BB509_169 Depth=1
	s_or_b64 exec, exec, s[30:31]
	s_and_b64 s[0:1], exec, s[24:25]
	s_or_b64 s[18:19], s[0:1], s[18:19]
	s_andn2_b64 s[0:1], s[28:29], exec
	s_and_b64 s[4:5], s[26:27], exec
	s_or_b64 s[28:29], s[0:1], s[4:5]
	s_andn2_b64 s[0:1], s[20:21], exec
	s_and_b64 s[4:5], s[22:23], exec
	;; [unrolled: 3-line block ×3, first 2 shown]
	s_or_b64 s[16:17], s[0:1], s[2:3]
	s_andn2_b64 exec, exec, s[18:19]
	s_cbranch_execz .LBB509_171
.LBB509_169:                            ; =>This Inner Loop Header: Depth=1
	flat_load_dwordx2 v[68:69], v[64:65]
	flat_load_dwordx2 v[70:71], v[54:55]
	s_andn2_b64 s[26:27], s[26:27], exec
	s_or_b64 s[22:23], s[22:23], exec
	s_or_b64 s[24:25], s[24:25], exec
	s_waitcnt vmcnt(0) lgkmcnt(0)
	v_cmp_le_i64_e64 s[2:3], v[68:69], v[70:71]
	v_cmp_lt_i64_e64 s[0:1], v[68:69], v[70:71]
	s_and_b64 s[2:3], s[2:3], s[28:29]
	v_cmp_eq_u64_e64 s[4:5], v[68:69], v[70:71]
	s_or_b64 s[2:3], s[0:1], s[2:3]
	s_and_saveexec_b64 s[30:31], s[4:5]
	s_cbranch_execz .LBB509_168
; %bb.170:                              ;   in Loop: Header=BB509_169 Depth=1
	v_lshl_add_u64 v[66:67], v[66:67], 0, -1
	v_cmp_eq_u64_e64 s[0:1], 0, v[66:67]
	s_andn2_b64 s[4:5], s[26:27], exec
	s_and_b64 s[26:27], s[2:3], exec
	s_or_b64 s[26:27], s[4:5], s[26:27]
	s_andn2_b64 s[4:5], s[24:25], exec
	s_and_b64 s[0:1], s[0:1], exec
	v_lshl_add_u64 v[54:55], v[54:55], 0, 8
	v_lshl_add_u64 v[64:65], v[64:65], 0, 8
	s_andn2_b64 s[22:23], s[22:23], exec
	s_or_b64 s[24:25], s[4:5], s[0:1]
                                        ; implicit-def: $sgpr28_sgpr29
	s_branch .LBB509_168
.LBB509_171:
	s_or_b64 exec, exec, s[18:19]
	s_and_saveexec_b64 s[0:1], s[20:21]
	s_xor_b64 s[0:1], exec, s[0:1]
; %bb.172:
	v_cndmask_b32_e64 v55, v19, v13, s[16:17]
	v_cndmask_b32_e64 v54, v18, v12, s[16:17]
	;; [unrolled: 1-line block ×4, first 2 shown]
	v_mov_b64_e32 v[18:19], v[54:55]
; %bb.173:
	s_or_b64 exec, exec, s[0:1]
	s_or_b64 exec, exec, s[14:15]
	s_and_saveexec_b64 s[14:15], vcc
	s_cbranch_execz .LBB509_27
.LBB509_174:
	v_mul_lo_u32 v64, v15, v6
	v_mul_lo_u32 v65, v14, v7
	v_mad_u64_u32 v[54:55], s[0:1], v14, v6, 0
	v_add3_u32 v55, v55, v65, v64
	v_mul_lo_u32 v66, v1, v6
	v_mul_lo_u32 v67, v0, v7
	v_mad_u64_u32 v[64:65], s[0:1], v0, v6, 0
	v_add3_u32 v65, v65, v67, v66
	v_lshl_add_u64 v[54:55], v[54:55], 3, v[8:9]
	v_lshl_add_u64 v[64:65], v[64:65], 3, v[8:9]
	s_mov_b64 s[18:19], 0
	v_mov_b64_e32 v[66:67], v[6:7]
                                        ; implicit-def: $sgpr16_sgpr17
                                        ; implicit-def: $sgpr20_sgpr21
                                        ; implicit-def: $sgpr24_sgpr25
                                        ; implicit-def: $sgpr22_sgpr23
                                        ; implicit-def: $sgpr26_sgpr27
                                        ; implicit-def: $sgpr28_sgpr29
	s_branch .LBB509_176
.LBB509_175:                            ;   in Loop: Header=BB509_176 Depth=1
	s_or_b64 exec, exec, s[30:31]
	s_and_b64 s[0:1], exec, s[24:25]
	s_or_b64 s[18:19], s[0:1], s[18:19]
	s_andn2_b64 s[0:1], s[28:29], exec
	s_and_b64 s[4:5], s[26:27], exec
	s_or_b64 s[28:29], s[0:1], s[4:5]
	s_andn2_b64 s[0:1], s[20:21], exec
	s_and_b64 s[4:5], s[22:23], exec
	;; [unrolled: 3-line block ×3, first 2 shown]
	s_or_b64 s[16:17], s[0:1], s[2:3]
	s_andn2_b64 exec, exec, s[18:19]
	s_cbranch_execz .LBB509_178
.LBB509_176:                            ; =>This Inner Loop Header: Depth=1
	flat_load_dwordx2 v[68:69], v[64:65]
	flat_load_dwordx2 v[70:71], v[54:55]
	s_andn2_b64 s[26:27], s[26:27], exec
	s_or_b64 s[22:23], s[22:23], exec
	s_or_b64 s[24:25], s[24:25], exec
	s_waitcnt vmcnt(0) lgkmcnt(0)
	v_cmp_le_i64_e64 s[2:3], v[68:69], v[70:71]
	v_cmp_lt_i64_e64 s[0:1], v[68:69], v[70:71]
	s_and_b64 s[2:3], s[2:3], s[28:29]
	v_cmp_eq_u64_e64 s[4:5], v[68:69], v[70:71]
	s_or_b64 s[2:3], s[0:1], s[2:3]
	s_and_saveexec_b64 s[30:31], s[4:5]
	s_cbranch_execz .LBB509_175
; %bb.177:                              ;   in Loop: Header=BB509_176 Depth=1
	v_lshl_add_u64 v[66:67], v[66:67], 0, -1
	v_cmp_eq_u64_e64 s[0:1], 0, v[66:67]
	s_andn2_b64 s[4:5], s[26:27], exec
	s_and_b64 s[26:27], s[2:3], exec
	s_or_b64 s[26:27], s[4:5], s[26:27]
	s_andn2_b64 s[4:5], s[24:25], exec
	s_and_b64 s[0:1], s[0:1], exec
	v_lshl_add_u64 v[54:55], v[54:55], 0, 8
	v_lshl_add_u64 v[64:65], v[64:65], 0, 8
	s_andn2_b64 s[22:23], s[22:23], exec
	s_or_b64 s[24:25], s[4:5], s[0:1]
                                        ; implicit-def: $sgpr28_sgpr29
	s_branch .LBB509_175
.LBB509_178:
	s_or_b64 exec, exec, s[18:19]
	s_and_saveexec_b64 s[0:1], s[20:21]
	s_xor_b64 s[0:1], exec, s[0:1]
; %bb.179:
	v_cndmask_b32_e64 v55, v15, v1, s[16:17]
	v_cndmask_b32_e64 v54, v14, v0, s[16:17]
	;; [unrolled: 1-line block ×4, first 2 shown]
	v_mov_b64_e32 v[14:15], v[54:55]
; %bb.180:
	s_or_b64 exec, exec, s[0:1]
	s_or_b64 exec, exec, s[14:15]
	s_and_saveexec_b64 s[14:15], vcc
	s_cbranch_execz .LBB509_28
.LBB509_181:
	v_mul_lo_u32 v64, v21, v6
	v_mul_lo_u32 v65, v20, v7
	v_mad_u64_u32 v[54:55], s[0:1], v20, v6, 0
	v_add3_u32 v55, v55, v65, v64
	v_mul_lo_u32 v66, v23, v6
	v_mul_lo_u32 v67, v22, v7
	v_mad_u64_u32 v[64:65], s[0:1], v22, v6, 0
	v_add3_u32 v65, v65, v67, v66
	v_lshl_add_u64 v[54:55], v[54:55], 3, v[8:9]
	v_lshl_add_u64 v[64:65], v[64:65], 3, v[8:9]
	s_mov_b64 s[18:19], 0
	v_mov_b64_e32 v[66:67], v[6:7]
                                        ; implicit-def: $sgpr16_sgpr17
                                        ; implicit-def: $sgpr20_sgpr21
                                        ; implicit-def: $sgpr24_sgpr25
                                        ; implicit-def: $sgpr22_sgpr23
                                        ; implicit-def: $sgpr26_sgpr27
                                        ; implicit-def: $sgpr28_sgpr29
	s_branch .LBB509_183
.LBB509_182:                            ;   in Loop: Header=BB509_183 Depth=1
	s_or_b64 exec, exec, s[30:31]
	s_and_b64 s[0:1], exec, s[24:25]
	s_or_b64 s[18:19], s[0:1], s[18:19]
	s_andn2_b64 s[0:1], s[28:29], exec
	s_and_b64 s[4:5], s[26:27], exec
	s_or_b64 s[28:29], s[0:1], s[4:5]
	s_andn2_b64 s[0:1], s[20:21], exec
	s_and_b64 s[4:5], s[22:23], exec
	;; [unrolled: 3-line block ×3, first 2 shown]
	s_or_b64 s[16:17], s[0:1], s[2:3]
	s_andn2_b64 exec, exec, s[18:19]
	s_cbranch_execz .LBB509_185
.LBB509_183:                            ; =>This Inner Loop Header: Depth=1
	flat_load_dwordx2 v[68:69], v[64:65]
	flat_load_dwordx2 v[70:71], v[54:55]
	s_andn2_b64 s[26:27], s[26:27], exec
	s_or_b64 s[22:23], s[22:23], exec
	s_or_b64 s[24:25], s[24:25], exec
	s_waitcnt vmcnt(0) lgkmcnt(0)
	v_cmp_le_i64_e64 s[2:3], v[68:69], v[70:71]
	v_cmp_lt_i64_e64 s[0:1], v[68:69], v[70:71]
	s_and_b64 s[2:3], s[2:3], s[28:29]
	v_cmp_eq_u64_e64 s[4:5], v[68:69], v[70:71]
	s_or_b64 s[2:3], s[0:1], s[2:3]
	s_and_saveexec_b64 s[30:31], s[4:5]
	s_cbranch_execz .LBB509_182
; %bb.184:                              ;   in Loop: Header=BB509_183 Depth=1
	v_lshl_add_u64 v[66:67], v[66:67], 0, -1
	v_cmp_eq_u64_e64 s[0:1], 0, v[66:67]
	s_andn2_b64 s[4:5], s[26:27], exec
	s_and_b64 s[26:27], s[2:3], exec
	s_or_b64 s[26:27], s[4:5], s[26:27]
	s_andn2_b64 s[4:5], s[24:25], exec
	s_and_b64 s[0:1], s[0:1], exec
	v_lshl_add_u64 v[54:55], v[54:55], 0, 8
	v_lshl_add_u64 v[64:65], v[64:65], 0, 8
	s_andn2_b64 s[22:23], s[22:23], exec
	s_or_b64 s[24:25], s[4:5], s[0:1]
                                        ; implicit-def: $sgpr28_sgpr29
	s_branch .LBB509_182
.LBB509_185:
	s_or_b64 exec, exec, s[18:19]
	s_and_saveexec_b64 s[0:1], s[20:21]
	s_xor_b64 s[0:1], exec, s[0:1]
; %bb.186:
	v_cndmask_b32_e64 v55, v23, v21, s[16:17]
	v_cndmask_b32_e64 v54, v22, v20, s[16:17]
	v_cndmask_b32_e64 v21, v21, v23, s[16:17]
	v_cndmask_b32_e64 v20, v20, v22, s[16:17]
	v_mov_b64_e32 v[22:23], v[54:55]
; %bb.187:
	s_or_b64 exec, exec, s[0:1]
	s_or_b64 exec, exec, s[14:15]
	s_and_saveexec_b64 s[14:15], vcc
	s_cbranch_execz .LBB509_29
.LBB509_188:
	v_mul_lo_u32 v64, v17, v6
	v_mul_lo_u32 v65, v16, v7
	v_mad_u64_u32 v[54:55], s[0:1], v16, v6, 0
	v_add3_u32 v55, v55, v65, v64
	v_mul_lo_u32 v66, v19, v6
	v_mul_lo_u32 v67, v18, v7
	v_mad_u64_u32 v[64:65], s[0:1], v18, v6, 0
	v_add3_u32 v65, v65, v67, v66
	v_lshl_add_u64 v[54:55], v[54:55], 3, v[8:9]
	v_lshl_add_u64 v[64:65], v[64:65], 3, v[8:9]
	s_mov_b64 s[18:19], 0
	v_mov_b64_e32 v[66:67], v[6:7]
                                        ; implicit-def: $sgpr16_sgpr17
                                        ; implicit-def: $sgpr20_sgpr21
                                        ; implicit-def: $sgpr24_sgpr25
                                        ; implicit-def: $sgpr22_sgpr23
                                        ; implicit-def: $sgpr26_sgpr27
                                        ; implicit-def: $sgpr28_sgpr29
	s_branch .LBB509_190
.LBB509_189:                            ;   in Loop: Header=BB509_190 Depth=1
	s_or_b64 exec, exec, s[30:31]
	s_and_b64 s[0:1], exec, s[24:25]
	s_or_b64 s[18:19], s[0:1], s[18:19]
	s_andn2_b64 s[0:1], s[28:29], exec
	s_and_b64 s[4:5], s[26:27], exec
	s_or_b64 s[28:29], s[0:1], s[4:5]
	s_andn2_b64 s[0:1], s[20:21], exec
	s_and_b64 s[4:5], s[22:23], exec
	;; [unrolled: 3-line block ×3, first 2 shown]
	s_or_b64 s[16:17], s[0:1], s[2:3]
	s_andn2_b64 exec, exec, s[18:19]
	s_cbranch_execz .LBB509_192
.LBB509_190:                            ; =>This Inner Loop Header: Depth=1
	flat_load_dwordx2 v[68:69], v[64:65]
	flat_load_dwordx2 v[70:71], v[54:55]
	s_andn2_b64 s[26:27], s[26:27], exec
	s_or_b64 s[22:23], s[22:23], exec
	s_or_b64 s[24:25], s[24:25], exec
	s_waitcnt vmcnt(0) lgkmcnt(0)
	v_cmp_le_i64_e64 s[2:3], v[68:69], v[70:71]
	v_cmp_lt_i64_e64 s[0:1], v[68:69], v[70:71]
	s_and_b64 s[2:3], s[2:3], s[28:29]
	v_cmp_eq_u64_e64 s[4:5], v[68:69], v[70:71]
	s_or_b64 s[2:3], s[0:1], s[2:3]
	s_and_saveexec_b64 s[30:31], s[4:5]
	s_cbranch_execz .LBB509_189
; %bb.191:                              ;   in Loop: Header=BB509_190 Depth=1
	v_lshl_add_u64 v[66:67], v[66:67], 0, -1
	v_cmp_eq_u64_e64 s[0:1], 0, v[66:67]
	s_andn2_b64 s[4:5], s[26:27], exec
	s_and_b64 s[26:27], s[2:3], exec
	s_or_b64 s[26:27], s[4:5], s[26:27]
	s_andn2_b64 s[4:5], s[24:25], exec
	s_and_b64 s[0:1], s[0:1], exec
	v_lshl_add_u64 v[54:55], v[54:55], 0, 8
	v_lshl_add_u64 v[64:65], v[64:65], 0, 8
	s_andn2_b64 s[22:23], s[22:23], exec
	s_or_b64 s[24:25], s[4:5], s[0:1]
                                        ; implicit-def: $sgpr28_sgpr29
	s_branch .LBB509_189
.LBB509_192:
	s_or_b64 exec, exec, s[18:19]
	s_and_saveexec_b64 s[0:1], s[20:21]
	s_xor_b64 s[0:1], exec, s[0:1]
; %bb.193:
	v_cndmask_b32_e64 v55, v17, v19, s[16:17]
	v_cndmask_b32_e64 v54, v16, v18, s[16:17]
	;; [unrolled: 1-line block ×4, first 2 shown]
	v_mov_b64_e32 v[16:17], v[54:55]
; %bb.194:
	s_or_b64 exec, exec, s[0:1]
	s_or_b64 exec, exec, s[14:15]
	s_and_saveexec_b64 s[14:15], vcc
	s_cbranch_execz .LBB509_30
.LBB509_195:
	v_mul_lo_u32 v64, v13, v6
	v_mul_lo_u32 v65, v12, v7
	v_mad_u64_u32 v[54:55], s[0:1], v12, v6, 0
	v_add3_u32 v55, v55, v65, v64
	v_mul_lo_u32 v66, v15, v6
	v_mul_lo_u32 v67, v14, v7
	v_mad_u64_u32 v[64:65], s[0:1], v14, v6, 0
	v_add3_u32 v65, v65, v67, v66
	v_lshl_add_u64 v[54:55], v[54:55], 3, v[8:9]
	v_lshl_add_u64 v[64:65], v[64:65], 3, v[8:9]
	s_mov_b64 s[18:19], 0
	v_mov_b64_e32 v[66:67], v[6:7]
                                        ; implicit-def: $sgpr16_sgpr17
                                        ; implicit-def: $sgpr20_sgpr21
                                        ; implicit-def: $sgpr24_sgpr25
                                        ; implicit-def: $sgpr22_sgpr23
                                        ; implicit-def: $sgpr26_sgpr27
                                        ; implicit-def: $sgpr28_sgpr29
	s_branch .LBB509_197
.LBB509_196:                            ;   in Loop: Header=BB509_197 Depth=1
	s_or_b64 exec, exec, s[30:31]
	s_and_b64 s[0:1], exec, s[24:25]
	s_or_b64 s[18:19], s[0:1], s[18:19]
	s_andn2_b64 s[0:1], s[28:29], exec
	s_and_b64 s[4:5], s[26:27], exec
	s_or_b64 s[28:29], s[0:1], s[4:5]
	s_andn2_b64 s[0:1], s[20:21], exec
	s_and_b64 s[4:5], s[22:23], exec
	;; [unrolled: 3-line block ×3, first 2 shown]
	s_or_b64 s[16:17], s[0:1], s[2:3]
	s_andn2_b64 exec, exec, s[18:19]
	s_cbranch_execz .LBB509_199
.LBB509_197:                            ; =>This Inner Loop Header: Depth=1
	flat_load_dwordx2 v[68:69], v[64:65]
	flat_load_dwordx2 v[70:71], v[54:55]
	s_andn2_b64 s[26:27], s[26:27], exec
	s_or_b64 s[22:23], s[22:23], exec
	s_or_b64 s[24:25], s[24:25], exec
	s_waitcnt vmcnt(0) lgkmcnt(0)
	v_cmp_le_i64_e64 s[2:3], v[68:69], v[70:71]
	v_cmp_lt_i64_e64 s[0:1], v[68:69], v[70:71]
	s_and_b64 s[2:3], s[2:3], s[28:29]
	v_cmp_eq_u64_e64 s[4:5], v[68:69], v[70:71]
	s_or_b64 s[2:3], s[0:1], s[2:3]
	s_and_saveexec_b64 s[30:31], s[4:5]
	s_cbranch_execz .LBB509_196
; %bb.198:                              ;   in Loop: Header=BB509_197 Depth=1
	v_lshl_add_u64 v[66:67], v[66:67], 0, -1
	v_cmp_eq_u64_e64 s[0:1], 0, v[66:67]
	s_andn2_b64 s[4:5], s[26:27], exec
	s_and_b64 s[26:27], s[2:3], exec
	s_or_b64 s[26:27], s[4:5], s[26:27]
	s_andn2_b64 s[4:5], s[24:25], exec
	s_and_b64 s[0:1], s[0:1], exec
	v_lshl_add_u64 v[54:55], v[54:55], 0, 8
	v_lshl_add_u64 v[64:65], v[64:65], 0, 8
	s_andn2_b64 s[22:23], s[22:23], exec
	s_or_b64 s[24:25], s[4:5], s[0:1]
                                        ; implicit-def: $sgpr28_sgpr29
	s_branch .LBB509_196
.LBB509_199:
	s_or_b64 exec, exec, s[18:19]
	s_and_saveexec_b64 s[0:1], s[20:21]
	s_xor_b64 s[0:1], exec, s[0:1]
; %bb.200:
	v_cndmask_b32_e64 v55, v13, v15, s[16:17]
	v_cndmask_b32_e64 v54, v12, v14, s[16:17]
	v_cndmask_b32_e64 v15, v15, v13, s[16:17]
	v_cndmask_b32_e64 v14, v14, v12, s[16:17]
	v_mov_b64_e32 v[12:13], v[54:55]
; %bb.201:
	s_or_b64 exec, exec, s[0:1]
	s_or_b64 exec, exec, s[14:15]
	s_and_saveexec_b64 s[14:15], vcc
	s_cbranch_execz .LBB509_31
.LBB509_202:
	v_mul_lo_u32 v64, v1, v6
	v_mul_lo_u32 v65, v0, v7
	v_mad_u64_u32 v[54:55], s[0:1], v0, v6, 0
	v_add3_u32 v55, v55, v65, v64
	v_mul_lo_u32 v66, v3, v6
	v_mul_lo_u32 v67, v2, v7
	v_mad_u64_u32 v[64:65], s[0:1], v2, v6, 0
	v_add3_u32 v65, v65, v67, v66
	v_lshl_add_u64 v[54:55], v[54:55], 3, v[8:9]
	v_lshl_add_u64 v[64:65], v[64:65], 3, v[8:9]
	s_mov_b64 s[18:19], 0
	v_mov_b64_e32 v[66:67], v[6:7]
                                        ; implicit-def: $sgpr16_sgpr17
                                        ; implicit-def: $sgpr20_sgpr21
                                        ; implicit-def: $sgpr24_sgpr25
                                        ; implicit-def: $sgpr22_sgpr23
                                        ; implicit-def: $sgpr26_sgpr27
                                        ; implicit-def: $sgpr28_sgpr29
	s_branch .LBB509_204
.LBB509_203:                            ;   in Loop: Header=BB509_204 Depth=1
	s_or_b64 exec, exec, s[30:31]
	s_and_b64 s[0:1], exec, s[24:25]
	s_or_b64 s[18:19], s[0:1], s[18:19]
	s_andn2_b64 s[0:1], s[28:29], exec
	s_and_b64 s[4:5], s[26:27], exec
	s_or_b64 s[28:29], s[0:1], s[4:5]
	s_andn2_b64 s[0:1], s[20:21], exec
	s_and_b64 s[4:5], s[22:23], exec
	;; [unrolled: 3-line block ×3, first 2 shown]
	s_or_b64 s[16:17], s[0:1], s[2:3]
	s_andn2_b64 exec, exec, s[18:19]
	s_cbranch_execz .LBB509_206
.LBB509_204:                            ; =>This Inner Loop Header: Depth=1
	flat_load_dwordx2 v[68:69], v[64:65]
	flat_load_dwordx2 v[70:71], v[54:55]
	s_andn2_b64 s[26:27], s[26:27], exec
	s_or_b64 s[22:23], s[22:23], exec
	s_or_b64 s[24:25], s[24:25], exec
	s_waitcnt vmcnt(0) lgkmcnt(0)
	v_cmp_le_i64_e64 s[2:3], v[68:69], v[70:71]
	v_cmp_lt_i64_e64 s[0:1], v[68:69], v[70:71]
	s_and_b64 s[2:3], s[2:3], s[28:29]
	v_cmp_eq_u64_e64 s[4:5], v[68:69], v[70:71]
	s_or_b64 s[2:3], s[0:1], s[2:3]
	s_and_saveexec_b64 s[30:31], s[4:5]
	s_cbranch_execz .LBB509_203
; %bb.205:                              ;   in Loop: Header=BB509_204 Depth=1
	v_lshl_add_u64 v[66:67], v[66:67], 0, -1
	v_cmp_eq_u64_e64 s[0:1], 0, v[66:67]
	s_andn2_b64 s[4:5], s[26:27], exec
	s_and_b64 s[26:27], s[2:3], exec
	s_or_b64 s[26:27], s[4:5], s[26:27]
	s_andn2_b64 s[4:5], s[24:25], exec
	s_and_b64 s[0:1], s[0:1], exec
	v_lshl_add_u64 v[54:55], v[54:55], 0, 8
	v_lshl_add_u64 v[64:65], v[64:65], 0, 8
	s_andn2_b64 s[22:23], s[22:23], exec
	s_or_b64 s[24:25], s[4:5], s[0:1]
                                        ; implicit-def: $sgpr28_sgpr29
	s_branch .LBB509_203
.LBB509_206:
	s_or_b64 exec, exec, s[18:19]
	s_and_saveexec_b64 s[0:1], s[20:21]
	s_xor_b64 s[0:1], exec, s[0:1]
; %bb.207:
	v_cndmask_b32_e64 v55, v1, v3, s[16:17]
	v_cndmask_b32_e64 v54, v0, v2, s[16:17]
	;; [unrolled: 1-line block ×4, first 2 shown]
	v_mov_b64_e32 v[0:1], v[54:55]
; %bb.208:
	s_or_b64 exec, exec, s[0:1]
	s_or_b64 exec, exec, s[14:15]
	s_and_saveexec_b64 s[14:15], vcc
	s_cbranch_execz .LBB509_32
.LBB509_209:
	v_mul_lo_u32 v64, v23, v6
	v_mul_lo_u32 v65, v22, v7
	v_mad_u64_u32 v[54:55], s[0:1], v22, v6, 0
	v_add3_u32 v55, v55, v65, v64
	v_mul_lo_u32 v66, v17, v6
	v_mul_lo_u32 v67, v16, v7
	v_mad_u64_u32 v[64:65], s[0:1], v16, v6, 0
	v_add3_u32 v65, v65, v67, v66
	v_lshl_add_u64 v[54:55], v[54:55], 3, v[8:9]
	v_lshl_add_u64 v[64:65], v[64:65], 3, v[8:9]
	s_mov_b64 s[18:19], 0
	v_mov_b64_e32 v[66:67], v[6:7]
                                        ; implicit-def: $sgpr16_sgpr17
                                        ; implicit-def: $sgpr20_sgpr21
                                        ; implicit-def: $sgpr24_sgpr25
                                        ; implicit-def: $sgpr22_sgpr23
                                        ; implicit-def: $sgpr26_sgpr27
                                        ; implicit-def: $sgpr28_sgpr29
	s_branch .LBB509_211
.LBB509_210:                            ;   in Loop: Header=BB509_211 Depth=1
	s_or_b64 exec, exec, s[30:31]
	s_and_b64 s[0:1], exec, s[24:25]
	s_or_b64 s[18:19], s[0:1], s[18:19]
	s_andn2_b64 s[0:1], s[28:29], exec
	s_and_b64 s[4:5], s[26:27], exec
	s_or_b64 s[28:29], s[0:1], s[4:5]
	s_andn2_b64 s[0:1], s[20:21], exec
	s_and_b64 s[4:5], s[22:23], exec
	;; [unrolled: 3-line block ×3, first 2 shown]
	s_or_b64 s[16:17], s[0:1], s[2:3]
	s_andn2_b64 exec, exec, s[18:19]
	s_cbranch_execz .LBB509_213
.LBB509_211:                            ; =>This Inner Loop Header: Depth=1
	flat_load_dwordx2 v[68:69], v[64:65]
	flat_load_dwordx2 v[70:71], v[54:55]
	s_andn2_b64 s[26:27], s[26:27], exec
	s_or_b64 s[22:23], s[22:23], exec
	s_or_b64 s[24:25], s[24:25], exec
	s_waitcnt vmcnt(0) lgkmcnt(0)
	v_cmp_le_i64_e64 s[2:3], v[68:69], v[70:71]
	v_cmp_lt_i64_e64 s[0:1], v[68:69], v[70:71]
	s_and_b64 s[2:3], s[2:3], s[28:29]
	v_cmp_eq_u64_e64 s[4:5], v[68:69], v[70:71]
	s_or_b64 s[2:3], s[0:1], s[2:3]
	s_and_saveexec_b64 s[30:31], s[4:5]
	s_cbranch_execz .LBB509_210
; %bb.212:                              ;   in Loop: Header=BB509_211 Depth=1
	v_lshl_add_u64 v[66:67], v[66:67], 0, -1
	v_cmp_eq_u64_e64 s[0:1], 0, v[66:67]
	s_andn2_b64 s[4:5], s[26:27], exec
	s_and_b64 s[26:27], s[2:3], exec
	s_or_b64 s[26:27], s[4:5], s[26:27]
	s_andn2_b64 s[4:5], s[24:25], exec
	s_and_b64 s[0:1], s[0:1], exec
	v_lshl_add_u64 v[54:55], v[54:55], 0, 8
	v_lshl_add_u64 v[64:65], v[64:65], 0, 8
	s_andn2_b64 s[22:23], s[22:23], exec
	s_or_b64 s[24:25], s[4:5], s[0:1]
                                        ; implicit-def: $sgpr28_sgpr29
	s_branch .LBB509_210
.LBB509_213:
	s_or_b64 exec, exec, s[18:19]
	s_and_saveexec_b64 s[0:1], s[20:21]
	s_xor_b64 s[0:1], exec, s[0:1]
; %bb.214:
	v_cndmask_b32_e64 v55, v23, v17, s[16:17]
	v_cndmask_b32_e64 v54, v22, v16, s[16:17]
	;; [unrolled: 1-line block ×4, first 2 shown]
	v_mov_b64_e32 v[22:23], v[54:55]
; %bb.215:
	s_or_b64 exec, exec, s[0:1]
	s_or_b64 exec, exec, s[14:15]
	s_and_saveexec_b64 s[14:15], vcc
	s_cbranch_execz .LBB509_33
.LBB509_216:
	v_mul_lo_u32 v64, v19, v6
	v_mul_lo_u32 v65, v18, v7
	v_mad_u64_u32 v[54:55], s[0:1], v18, v6, 0
	v_add3_u32 v55, v55, v65, v64
	v_mul_lo_u32 v66, v13, v6
	v_mul_lo_u32 v67, v12, v7
	v_mad_u64_u32 v[64:65], s[0:1], v12, v6, 0
	v_add3_u32 v65, v65, v67, v66
	v_lshl_add_u64 v[54:55], v[54:55], 3, v[8:9]
	v_lshl_add_u64 v[64:65], v[64:65], 3, v[8:9]
	s_mov_b64 s[18:19], 0
	v_mov_b64_e32 v[66:67], v[6:7]
                                        ; implicit-def: $sgpr16_sgpr17
                                        ; implicit-def: $sgpr20_sgpr21
                                        ; implicit-def: $sgpr24_sgpr25
                                        ; implicit-def: $sgpr22_sgpr23
                                        ; implicit-def: $sgpr26_sgpr27
                                        ; implicit-def: $sgpr28_sgpr29
	s_branch .LBB509_218
.LBB509_217:                            ;   in Loop: Header=BB509_218 Depth=1
	s_or_b64 exec, exec, s[30:31]
	s_and_b64 s[0:1], exec, s[24:25]
	s_or_b64 s[18:19], s[0:1], s[18:19]
	s_andn2_b64 s[0:1], s[28:29], exec
	s_and_b64 s[4:5], s[26:27], exec
	s_or_b64 s[28:29], s[0:1], s[4:5]
	s_andn2_b64 s[0:1], s[20:21], exec
	s_and_b64 s[4:5], s[22:23], exec
	;; [unrolled: 3-line block ×3, first 2 shown]
	s_or_b64 s[16:17], s[0:1], s[2:3]
	s_andn2_b64 exec, exec, s[18:19]
	s_cbranch_execz .LBB509_220
.LBB509_218:                            ; =>This Inner Loop Header: Depth=1
	flat_load_dwordx2 v[68:69], v[64:65]
	flat_load_dwordx2 v[70:71], v[54:55]
	s_andn2_b64 s[26:27], s[26:27], exec
	s_or_b64 s[22:23], s[22:23], exec
	s_or_b64 s[24:25], s[24:25], exec
	s_waitcnt vmcnt(0) lgkmcnt(0)
	v_cmp_le_i64_e64 s[2:3], v[68:69], v[70:71]
	v_cmp_lt_i64_e64 s[0:1], v[68:69], v[70:71]
	s_and_b64 s[2:3], s[2:3], s[28:29]
	v_cmp_eq_u64_e64 s[4:5], v[68:69], v[70:71]
	s_or_b64 s[2:3], s[0:1], s[2:3]
	s_and_saveexec_b64 s[30:31], s[4:5]
	s_cbranch_execz .LBB509_217
; %bb.219:                              ;   in Loop: Header=BB509_218 Depth=1
	v_lshl_add_u64 v[66:67], v[66:67], 0, -1
	v_cmp_eq_u64_e64 s[0:1], 0, v[66:67]
	s_andn2_b64 s[4:5], s[26:27], exec
	s_and_b64 s[26:27], s[2:3], exec
	s_or_b64 s[26:27], s[4:5], s[26:27]
	s_andn2_b64 s[4:5], s[24:25], exec
	s_and_b64 s[0:1], s[0:1], exec
	v_lshl_add_u64 v[54:55], v[54:55], 0, 8
	v_lshl_add_u64 v[64:65], v[64:65], 0, 8
	s_andn2_b64 s[22:23], s[22:23], exec
	s_or_b64 s[24:25], s[4:5], s[0:1]
                                        ; implicit-def: $sgpr28_sgpr29
	s_branch .LBB509_217
.LBB509_220:
	s_or_b64 exec, exec, s[18:19]
	s_and_saveexec_b64 s[0:1], s[20:21]
	s_xor_b64 s[0:1], exec, s[0:1]
; %bb.221:
	v_cndmask_b32_e64 v55, v19, v13, s[16:17]
	v_cndmask_b32_e64 v54, v18, v12, s[16:17]
	;; [unrolled: 1-line block ×4, first 2 shown]
	v_mov_b64_e32 v[18:19], v[54:55]
; %bb.222:
	s_or_b64 exec, exec, s[0:1]
	s_or_b64 exec, exec, s[14:15]
	s_and_saveexec_b64 s[14:15], vcc
	s_cbranch_execz .LBB509_230
.LBB509_223:
	v_mul_lo_u32 v64, v15, v6
	v_mul_lo_u32 v65, v14, v7
	v_mad_u64_u32 v[54:55], s[0:1], v14, v6, 0
	v_add3_u32 v55, v55, v65, v64
	v_mul_lo_u32 v66, v1, v6
	v_mul_lo_u32 v67, v0, v7
	v_mad_u64_u32 v[64:65], s[0:1], v0, v6, 0
	v_add3_u32 v65, v65, v67, v66
	v_lshl_add_u64 v[54:55], v[54:55], 3, v[8:9]
	v_lshl_add_u64 v[64:65], v[64:65], 3, v[8:9]
	s_mov_b64 s[20:21], 0
	v_mov_b64_e32 v[66:67], v[6:7]
                                        ; implicit-def: $sgpr16_sgpr17
                                        ; implicit-def: $sgpr18_sgpr19
                                        ; implicit-def: $sgpr24_sgpr25
                                        ; implicit-def: $sgpr22_sgpr23
                                        ; implicit-def: $sgpr26_sgpr27
                                        ; implicit-def: $sgpr28_sgpr29
	s_branch .LBB509_225
.LBB509_224:                            ;   in Loop: Header=BB509_225 Depth=1
	s_or_b64 exec, exec, s[30:31]
	s_and_b64 s[0:1], exec, s[24:25]
	s_or_b64 s[20:21], s[0:1], s[20:21]
	s_andn2_b64 s[0:1], s[28:29], exec
	s_and_b64 s[4:5], s[26:27], exec
	s_or_b64 s[28:29], s[0:1], s[4:5]
	s_andn2_b64 s[0:1], s[18:19], exec
	s_and_b64 s[4:5], s[22:23], exec
	;; [unrolled: 3-line block ×3, first 2 shown]
	s_or_b64 s[16:17], s[0:1], s[2:3]
	s_andn2_b64 exec, exec, s[20:21]
	s_cbranch_execz .LBB509_227
.LBB509_225:                            ; =>This Inner Loop Header: Depth=1
	flat_load_dwordx2 v[68:69], v[64:65]
	flat_load_dwordx2 v[70:71], v[54:55]
	s_andn2_b64 s[26:27], s[26:27], exec
	s_or_b64 s[22:23], s[22:23], exec
	s_or_b64 s[24:25], s[24:25], exec
	s_waitcnt vmcnt(0) lgkmcnt(0)
	v_cmp_le_i64_e64 s[2:3], v[68:69], v[70:71]
	v_cmp_lt_i64_e64 s[0:1], v[68:69], v[70:71]
	s_and_b64 s[2:3], s[2:3], s[28:29]
	v_cmp_eq_u64_e64 s[4:5], v[68:69], v[70:71]
	s_or_b64 s[2:3], s[0:1], s[2:3]
	s_and_saveexec_b64 s[30:31], s[4:5]
	s_cbranch_execz .LBB509_224
; %bb.226:                              ;   in Loop: Header=BB509_225 Depth=1
	v_lshl_add_u64 v[66:67], v[66:67], 0, -1
	v_cmp_eq_u64_e64 s[0:1], 0, v[66:67]
	s_andn2_b64 s[4:5], s[26:27], exec
	s_and_b64 s[26:27], s[2:3], exec
	s_or_b64 s[26:27], s[4:5], s[26:27]
	s_andn2_b64 s[4:5], s[24:25], exec
	s_and_b64 s[0:1], s[0:1], exec
	v_lshl_add_u64 v[54:55], v[54:55], 0, 8
	v_lshl_add_u64 v[64:65], v[64:65], 0, 8
	s_andn2_b64 s[22:23], s[22:23], exec
	s_or_b64 s[24:25], s[4:5], s[0:1]
                                        ; implicit-def: $sgpr28_sgpr29
	s_branch .LBB509_224
.LBB509_227:
	s_or_b64 exec, exec, s[20:21]
	s_and_saveexec_b64 s[0:1], s[18:19]
	s_xor_b64 s[0:1], exec, s[0:1]
; %bb.228:
	v_cndmask_b32_e64 v55, v15, v1, s[16:17]
	v_cndmask_b32_e64 v54, v14, v0, s[16:17]
	;; [unrolled: 1-line block ×4, first 2 shown]
	v_mov_b64_e32 v[14:15], v[54:55]
; %bb.229:
	s_or_b64 exec, exec, s[0:1]
.LBB509_230:
	s_or_b64 exec, exec, s[14:15]
.LBB509_231:
	s_or_b64 exec, exec, s[10:11]
	v_mbcnt_lo_u32_b32 v54, -1, 0
	v_mbcnt_hi_u32_b32 v64, -1, v54
	v_and_b32_e32 v66, 0xfffffe00, v31
	s_movk_i32 s0, 0x800
	v_mov_b32_e32 v67, 0
	v_sub_u32_e64 v31, s0, v66 clamp
	v_lshl_add_u64 v[54:55], v[66:67], 3, v[10:11]
	v_lshlrev_b32_e32 v98, 3, v64
	v_lshlrev_b32_e32 v66, 6, v64
	v_lshl_add_u64 v[64:65], v[54:55], 0, v[66:67]
	v_or_b32_e32 v66, 8, v98
	v_min_u32_e32 v99, v31, v66
	v_add_u32_e32 v66, 8, v99
	v_and_b32_e32 v101, 0x3f0, v98
	v_min_u32_e32 v100, v31, v66
	v_and_b32_e32 v66, 8, v98
	v_min_u32_e32 v102, v31, v66
	v_sub_u32_e32 v66, v99, v101
	v_sub_u32_e32 v68, v100, v99
	v_sub_u32_e64 v103, v102, v68 clamp
	v_min_u32_e32 v112, v102, v66
	v_cmp_lt_u32_e64 s[0:1], v103, v112
	flat_store_dwordx4 v[64:65], v[20:23]
	flat_store_dwordx4 v[64:65], v[16:19] offset:16
	flat_store_dwordx4 v[64:65], v[12:15] offset:32
	;; [unrolled: 1-line block ×3, first 2 shown]
	; wave barrier
	s_and_saveexec_b64 s[10:11], s[0:1]
	s_cbranch_execz .LBB509_241
; %bb.232:
	v_lshlrev_b32_e32 v66, 3, v101
	v_lshl_add_u64 v[68:69], v[54:55], 0, v[66:67]
	v_lshlrev_b32_e32 v66, 3, v99
	v_lshl_add_u64 v[70:71], v[54:55], 0, v[66:67]
	v_lshlrev_b64 v[80:81], 3, v[6:7]
	s_mov_b64 s[14:15], 0
	s_branch .LBB509_235
.LBB509_233:                            ;   in Loop: Header=BB509_235 Depth=1
	s_or_b64 exec, exec, s[18:19]
	s_and_b64 s[0:1], s[20:21], exec
.LBB509_234:                            ;   in Loop: Header=BB509_235 Depth=1
	s_or_b64 exec, exec, s[16:17]
	v_add_u32_e32 v66, 1, v82
	v_cndmask_b32_e64 v112, v112, v82, s[0:1]
	v_cndmask_b32_e64 v103, v66, v103, s[0:1]
	v_cmp_ge_u32_e64 s[0:1], v103, v112
	s_or_b64 s[14:15], s[0:1], s[14:15]
	s_andn2_b64 exec, exec, s[14:15]
	s_cbranch_execz .LBB509_240
.LBB509_235:                            ; =>This Loop Header: Depth=1
                                        ;     Child Loop BB509_238 Depth 2
	v_add_u32_e32 v66, v112, v103
	v_lshrrev_b32_e32 v82, 1, v66
	s_mov_b64 s[0:1], 0
	s_and_saveexec_b64 s[16:17], vcc
	s_cbranch_execz .LBB509_234
; %bb.236:                              ;   in Loop: Header=BB509_235 Depth=1
	v_mov_b32_e32 v83, v67
	v_xad_u32 v66, v82, -1, v102
	v_lshl_add_u64 v[84:85], v[82:83], 3, v[68:69]
	v_lshl_add_u64 v[86:87], v[66:67], 3, v[70:71]
	flat_load_dwordx2 v[84:85], v[84:85]
	s_mov_b64 s[18:19], 0
	flat_load_dwordx2 v[86:87], v[86:87]
                                        ; implicit-def: $sgpr20_sgpr21
                                        ; implicit-def: $sgpr22_sgpr23
                                        ; implicit-def: $sgpr24_sgpr25
                                        ; implicit-def: $sgpr2_sgpr3
                                        ; implicit-def: $sgpr26_sgpr27
	s_waitcnt vmcnt(0) lgkmcnt(0)
	v_mul_lo_u32 v66, v80, v85
	v_mul_lo_u32 v83, v81, v84
	v_mad_u64_u32 v[84:85], s[0:1], v80, v84, v[8:9]
	v_mul_lo_u32 v96, v80, v87
	v_mul_lo_u32 v97, v81, v86
	v_mad_u64_u32 v[86:87], s[0:1], v80, v86, v[8:9]
	v_add3_u32 v85, v83, v85, v66
	v_add3_u32 v87, v97, v87, v96
	v_mov_b64_e32 v[96:97], v[6:7]
	s_branch .LBB509_238
.LBB509_237:                            ;   in Loop: Header=BB509_238 Depth=2
	s_or_b64 exec, exec, s[28:29]
	s_and_b64 s[0:1], exec, s[22:23]
	s_or_b64 s[18:19], s[0:1], s[18:19]
	s_andn2_b64 s[0:1], s[26:27], exec
	s_and_b64 s[4:5], s[24:25], exec
	s_or_b64 s[26:27], s[0:1], s[4:5]
	s_andn2_b64 s[0:1], s[20:21], exec
	s_and_b64 s[4:5], s[2:3], exec
	s_or_b64 s[20:21], s[0:1], s[4:5]
	s_andn2_b64 exec, exec, s[18:19]
	s_cbranch_execz .LBB509_233
.LBB509_238:                            ;   Parent Loop BB509_235 Depth=1
                                        ; =>  This Inner Loop Header: Depth=2
	flat_load_dwordx2 v[114:115], v[86:87]
	flat_load_dwordx2 v[116:117], v[84:85]
	s_andn2_b64 s[28:29], s[2:3], exec
	s_andn2_b64 s[24:25], s[24:25], exec
	s_or_b64 s[22:23], s[22:23], exec
	s_waitcnt vmcnt(0) lgkmcnt(0)
	v_cmp_le_i64_e64 s[2:3], v[114:115], v[116:117]
	v_cmp_lt_i64_e64 s[0:1], v[114:115], v[116:117]
	s_and_b64 s[2:3], s[2:3], s[26:27]
	s_or_b64 s[30:31], s[0:1], s[2:3]
	s_and_b64 s[0:1], s[30:31], exec
	v_cmp_eq_u64_e64 s[4:5], v[114:115], v[116:117]
	s_or_b64 s[2:3], s[28:29], s[0:1]
	s_and_saveexec_b64 s[28:29], s[4:5]
	s_cbranch_execz .LBB509_237
; %bb.239:                              ;   in Loop: Header=BB509_238 Depth=2
	v_lshl_add_u64 v[96:97], v[96:97], 0, -1
	v_cmp_eq_u64_e64 s[0:1], 0, v[96:97]
	s_andn2_b64 s[4:5], s[24:25], exec
	s_and_b64 s[24:25], s[30:31], exec
	s_or_b64 s[24:25], s[4:5], s[24:25]
	s_andn2_b64 s[4:5], s[22:23], exec
	s_and_b64 s[0:1], s[0:1], exec
	v_lshl_add_u64 v[84:85], v[84:85], 0, 8
	v_lshl_add_u64 v[86:87], v[86:87], 0, 8
	s_andn2_b64 s[2:3], s[2:3], exec
	s_or_b64 s[22:23], s[4:5], s[0:1]
                                        ; implicit-def: $sgpr26_sgpr27
	s_branch .LBB509_237
.LBB509_240:
	s_or_b64 exec, exec, s[14:15]
.LBB509_241:
	s_or_b64 exec, exec, s[10:11]
	v_add_u32_e32 v67, v99, v102
	v_add_u32_e32 v66, v103, v101
	v_sub_u32_e32 v68, v67, v103
	v_cmp_le_u32_e64 s[0:1], v66, v99
	v_cmp_le_u32_e64 s[2:3], v68, v100
	s_or_b64 s[0:1], s[0:1], s[2:3]
	s_and_saveexec_b64 s[10:11], s[0:1]
	s_cbranch_execz .LBB509_325
; %bb.242:
	v_cmp_ge_u32_e64 s[0:1], v66, v99
	v_cmp_lt_u32_e64 s[2:3], v66, v99
                                        ; implicit-def: $vgpr0_vgpr1
	s_and_saveexec_b64 s[4:5], s[2:3]
	s_cbranch_execz .LBB509_244
; %bb.243:
	v_mov_b32_e32 v67, 0
	v_lshl_add_u64 v[0:1], v[66:67], 3, v[54:55]
	flat_load_dwordx2 v[0:1], v[0:1]
.LBB509_244:
	s_or_b64 exec, exec, s[4:5]
	v_cmp_ge_u32_e64 s[14:15], v68, v100
	v_cmp_lt_u32_e64 s[2:3], v68, v100
                                        ; implicit-def: $vgpr2_vgpr3
	s_and_saveexec_b64 s[4:5], s[2:3]
	s_cbranch_execz .LBB509_246
; %bb.245:
	v_mov_b32_e32 v69, 0
	v_lshl_add_u64 v[2:3], v[68:69], 3, v[54:55]
	flat_load_dwordx2 v[2:3], v[2:3]
.LBB509_246:
	s_or_b64 exec, exec, s[4:5]
	s_or_b64 s[0:1], s[0:1], s[14:15]
	s_xor_b64 s[0:1], s[0:1], -1
	s_and_saveexec_b64 s[16:17], s[0:1]
	s_cbranch_execz .LBB509_254
; %bb.247:
	s_mov_b64 s[0:1], 0
	s_and_saveexec_b64 s[18:19], vcc
	s_cbranch_execz .LBB509_253
; %bb.248:
	s_waitcnt vmcnt(0) lgkmcnt(0)
	v_mul_lo_u32 v14, v1, v6
	v_mul_lo_u32 v15, v0, v7
	v_mad_u64_u32 v[12:13], s[0:1], v0, v6, 0
	v_add3_u32 v13, v13, v15, v14
	v_mul_lo_u32 v16, v3, v6
	v_mul_lo_u32 v17, v2, v7
	v_mad_u64_u32 v[14:15], s[0:1], v2, v6, 0
	v_add3_u32 v15, v15, v17, v16
	v_lshl_add_u64 v[12:13], v[12:13], 3, v[8:9]
	v_lshl_add_u64 v[14:15], v[14:15], 3, v[8:9]
	s_mov_b64 s[20:21], 0
	v_mov_b64_e32 v[16:17], v[6:7]
                                        ; implicit-def: $sgpr22_sgpr23
                                        ; implicit-def: $sgpr24_sgpr25
                                        ; implicit-def: $sgpr26_sgpr27
                                        ; implicit-def: $sgpr2_sgpr3
                                        ; implicit-def: $sgpr28_sgpr29
	s_branch .LBB509_250
.LBB509_249:                            ;   in Loop: Header=BB509_250 Depth=1
	s_or_b64 exec, exec, s[30:31]
	s_and_b64 s[0:1], exec, s[24:25]
	s_or_b64 s[20:21], s[0:1], s[20:21]
	s_andn2_b64 s[0:1], s[28:29], exec
	s_and_b64 s[4:5], s[26:27], exec
	s_or_b64 s[28:29], s[0:1], s[4:5]
	s_andn2_b64 s[0:1], s[22:23], exec
	s_and_b64 s[4:5], s[2:3], exec
	s_or_b64 s[22:23], s[0:1], s[4:5]
	s_andn2_b64 exec, exec, s[20:21]
	s_cbranch_execz .LBB509_252
.LBB509_250:                            ; =>This Inner Loop Header: Depth=1
	flat_load_dwordx2 v[18:19], v[14:15]
	flat_load_dwordx2 v[20:21], v[12:13]
	s_andn2_b64 s[30:31], s[2:3], exec
	s_andn2_b64 s[26:27], s[26:27], exec
	s_or_b64 s[24:25], s[24:25], exec
	s_waitcnt vmcnt(0) lgkmcnt(0)
	v_cmp_le_i64_e64 s[2:3], v[18:19], v[20:21]
	v_cmp_lt_i64_e64 s[0:1], v[18:19], v[20:21]
	s_and_b64 s[2:3], s[2:3], s[28:29]
	s_or_b64 s[34:35], s[0:1], s[2:3]
	s_and_b64 s[0:1], s[34:35], exec
	v_cmp_eq_u64_e64 s[4:5], v[18:19], v[20:21]
	s_or_b64 s[2:3], s[30:31], s[0:1]
	s_and_saveexec_b64 s[30:31], s[4:5]
	s_cbranch_execz .LBB509_249
; %bb.251:                              ;   in Loop: Header=BB509_250 Depth=1
	v_lshl_add_u64 v[16:17], v[16:17], 0, -1
	v_cmp_eq_u64_e64 s[0:1], 0, v[16:17]
	s_andn2_b64 s[4:5], s[26:27], exec
	s_and_b64 s[26:27], s[34:35], exec
	s_or_b64 s[26:27], s[4:5], s[26:27]
	s_andn2_b64 s[4:5], s[24:25], exec
	s_and_b64 s[0:1], s[0:1], exec
	v_lshl_add_u64 v[12:13], v[12:13], 0, 8
	v_lshl_add_u64 v[14:15], v[14:15], 0, 8
	s_andn2_b64 s[2:3], s[2:3], exec
	s_or_b64 s[24:25], s[4:5], s[0:1]
                                        ; implicit-def: $sgpr28_sgpr29
	s_branch .LBB509_249
.LBB509_252:
	s_or_b64 exec, exec, s[20:21]
	s_and_b64 s[0:1], s[22:23], exec
.LBB509_253:
	s_or_b64 exec, exec, s[18:19]
	s_xor_b64 s[0:1], s[0:1], -1
	s_andn2_b64 s[2:3], s[14:15], exec
	s_and_b64 s[0:1], s[0:1], exec
	s_or_b64 s[14:15], s[2:3], s[0:1]
.LBB509_254:
	s_or_b64 exec, exec, s[16:17]
	v_cndmask_b32_e64 v12, v68, v66, s[14:15]
	v_cndmask_b32_e64 v13, v100, v99, s[14:15]
	v_add_u32_e32 v16, 1, v12
	v_add_u32_e32 v12, -1, v13
	v_min_u32_e32 v12, v16, v12
	v_mov_b32_e32 v13, 0
	v_lshl_add_u64 v[14:15], v[12:13], 3, v[54:55]
	flat_load_dwordx2 v[14:15], v[14:15]
	v_cndmask_b32_e64 v23, v16, v68, s[14:15]
	s_mov_b64 s[16:17], -1
	v_cndmask_b32_e64 v66, v66, v16, s[14:15]
	v_cmp_lt_u32_e64 s[0:1], v23, v100
	s_mov_b64 s[18:19], -1
	s_waitcnt vmcnt(0) lgkmcnt(0)
	v_cndmask_b32_e64 v20, v15, v3, s[14:15]
	v_cndmask_b32_e64 v21, v14, v2, s[14:15]
	;; [unrolled: 1-line block ×4, first 2 shown]
	s_and_saveexec_b64 s[20:21], s[0:1]
	s_cbranch_execz .LBB509_264
; %bb.255:
	v_cmp_lt_u32_e64 s[0:1], v66, v99
	s_mov_b64 s[2:3], 0
	s_and_saveexec_b64 s[18:19], s[0:1]
	s_cbranch_execz .LBB509_263
; %bb.256:
	s_mov_b64 s[0:1], 0
	s_and_saveexec_b64 s[22:23], vcc
	s_cbranch_execz .LBB509_262
; %bb.257:
	v_mul_lo_u32 v12, v22, v6
	v_mul_lo_u32 v16, v68, v7
	v_mad_u64_u32 v[14:15], s[0:1], v68, v6, 0
	v_add3_u32 v15, v15, v16, v12
	v_mul_lo_u32 v12, v20, v6
	v_mul_lo_u32 v18, v21, v7
	v_mad_u64_u32 v[16:17], s[0:1], v21, v6, 0
	v_add3_u32 v17, v17, v18, v12
	v_lshl_add_u64 v[14:15], v[14:15], 3, v[8:9]
	v_lshl_add_u64 v[16:17], v[16:17], 3, v[8:9]
	s_mov_b64 s[24:25], 0
	v_mov_b64_e32 v[18:19], v[6:7]
                                        ; implicit-def: $sgpr26_sgpr27
                                        ; implicit-def: $sgpr28_sgpr29
                                        ; implicit-def: $sgpr30_sgpr31
                                        ; implicit-def: $sgpr2_sgpr3
                                        ; implicit-def: $sgpr34_sgpr35
	s_branch .LBB509_259
.LBB509_258:                            ;   in Loop: Header=BB509_259 Depth=1
	s_or_b64 exec, exec, s[36:37]
	s_and_b64 s[0:1], exec, s[28:29]
	s_or_b64 s[24:25], s[0:1], s[24:25]
	s_andn2_b64 s[0:1], s[34:35], exec
	s_and_b64 s[4:5], s[30:31], exec
	s_or_b64 s[34:35], s[0:1], s[4:5]
	s_andn2_b64 s[0:1], s[26:27], exec
	s_and_b64 s[4:5], s[2:3], exec
	s_or_b64 s[26:27], s[0:1], s[4:5]
	s_andn2_b64 exec, exec, s[24:25]
	s_cbranch_execz .LBB509_261
.LBB509_259:                            ; =>This Inner Loop Header: Depth=1
	flat_load_dwordx2 v[70:71], v[16:17]
	flat_load_dwordx2 v[80:81], v[14:15]
	s_andn2_b64 s[36:37], s[2:3], exec
	s_andn2_b64 s[30:31], s[30:31], exec
	s_or_b64 s[28:29], s[28:29], exec
	s_waitcnt vmcnt(0) lgkmcnt(0)
	v_cmp_le_i64_e64 s[2:3], v[70:71], v[80:81]
	v_cmp_lt_i64_e64 s[0:1], v[70:71], v[80:81]
	s_and_b64 s[2:3], s[2:3], s[34:35]
	s_or_b64 s[38:39], s[0:1], s[2:3]
	s_and_b64 s[0:1], s[38:39], exec
	v_cmp_eq_u64_e64 s[4:5], v[70:71], v[80:81]
	s_or_b64 s[2:3], s[36:37], s[0:1]
	s_and_saveexec_b64 s[36:37], s[4:5]
	s_cbranch_execz .LBB509_258
; %bb.260:                              ;   in Loop: Header=BB509_259 Depth=1
	v_lshl_add_u64 v[18:19], v[18:19], 0, -1
	v_cmp_eq_u64_e64 s[0:1], 0, v[18:19]
	s_andn2_b64 s[4:5], s[30:31], exec
	s_and_b64 s[30:31], s[38:39], exec
	s_or_b64 s[30:31], s[4:5], s[30:31]
	s_andn2_b64 s[4:5], s[28:29], exec
	s_and_b64 s[0:1], s[0:1], exec
	v_lshl_add_u64 v[14:15], v[14:15], 0, 8
	v_lshl_add_u64 v[16:17], v[16:17], 0, 8
	s_andn2_b64 s[2:3], s[2:3], exec
	s_or_b64 s[28:29], s[4:5], s[0:1]
                                        ; implicit-def: $sgpr34_sgpr35
	s_branch .LBB509_258
.LBB509_261:
	s_or_b64 exec, exec, s[24:25]
	s_and_b64 s[0:1], s[26:27], exec
.LBB509_262:
	s_or_b64 exec, exec, s[22:23]
	s_xor_b64 s[0:1], s[0:1], -1
	s_and_b64 s[2:3], s[0:1], exec
.LBB509_263:
	s_or_b64 exec, exec, s[18:19]
	s_orn2_b64 s[18:19], s[2:3], exec
.LBB509_264:
	s_or_b64 exec, exec, s[20:21]
	v_cndmask_b32_e64 v12, v23, v66, s[18:19]
	v_cndmask_b32_e64 v14, v100, v99, s[18:19]
	v_add_u32_e32 v15, 1, v12
	v_add_u32_e32 v12, -1, v14
	v_min_u32_e32 v12, v15, v12
	v_lshl_add_u64 v[12:13], v[12:13], 3, v[54:55]
	flat_load_dwordx2 v[12:13], v[12:13]
	v_cndmask_b32_e64 v18, v15, v23, s[18:19]
	v_cndmask_b32_e64 v19, v66, v15, s[18:19]
	v_cmp_lt_u32_e64 s[0:1], v18, v100
	s_waitcnt vmcnt(0) lgkmcnt(0)
	v_cndmask_b32_e64 v23, v13, v20, s[18:19]
	v_cndmask_b32_e64 v69, v12, v21, s[18:19]
	;; [unrolled: 1-line block ×4, first 2 shown]
	s_and_saveexec_b64 s[20:21], s[0:1]
	s_cbranch_execz .LBB509_274
; %bb.265:
	v_cmp_lt_u32_e64 s[0:1], v19, v99
	s_mov_b64 s[2:3], 0
	s_and_saveexec_b64 s[16:17], s[0:1]
	s_cbranch_execz .LBB509_273
; %bb.266:
	s_mov_b64 s[0:1], 0
	s_and_saveexec_b64 s[22:23], vcc
	s_cbranch_execz .LBB509_272
; %bb.267:
	v_mul_lo_u32 v14, v70, v6
	v_mul_lo_u32 v15, v71, v7
	v_mad_u64_u32 v[12:13], s[0:1], v71, v6, 0
	v_add3_u32 v13, v13, v15, v14
	v_mul_lo_u32 v16, v23, v6
	v_mul_lo_u32 v17, v69, v7
	v_mad_u64_u32 v[14:15], s[0:1], v69, v6, 0
	v_add3_u32 v15, v15, v17, v16
	v_lshl_add_u64 v[12:13], v[12:13], 3, v[8:9]
	v_lshl_add_u64 v[14:15], v[14:15], 3, v[8:9]
	s_mov_b64 s[24:25], 0
	v_mov_b64_e32 v[16:17], v[6:7]
                                        ; implicit-def: $sgpr26_sgpr27
                                        ; implicit-def: $sgpr28_sgpr29
                                        ; implicit-def: $sgpr30_sgpr31
                                        ; implicit-def: $sgpr2_sgpr3
                                        ; implicit-def: $sgpr34_sgpr35
	s_branch .LBB509_269
.LBB509_268:                            ;   in Loop: Header=BB509_269 Depth=1
	s_or_b64 exec, exec, s[36:37]
	s_and_b64 s[0:1], exec, s[28:29]
	s_or_b64 s[24:25], s[0:1], s[24:25]
	s_andn2_b64 s[0:1], s[34:35], exec
	s_and_b64 s[4:5], s[30:31], exec
	s_or_b64 s[34:35], s[0:1], s[4:5]
	s_andn2_b64 s[0:1], s[26:27], exec
	s_and_b64 s[4:5], s[2:3], exec
	s_or_b64 s[26:27], s[0:1], s[4:5]
	s_andn2_b64 exec, exec, s[24:25]
	s_cbranch_execz .LBB509_271
.LBB509_269:                            ; =>This Inner Loop Header: Depth=1
	flat_load_dwordx2 v[66:67], v[14:15]
	flat_load_dwordx2 v[80:81], v[12:13]
	s_andn2_b64 s[36:37], s[2:3], exec
	s_andn2_b64 s[30:31], s[30:31], exec
	s_or_b64 s[28:29], s[28:29], exec
	s_waitcnt vmcnt(0) lgkmcnt(0)
	v_cmp_le_i64_e64 s[2:3], v[66:67], v[80:81]
	v_cmp_lt_i64_e64 s[0:1], v[66:67], v[80:81]
	s_and_b64 s[2:3], s[2:3], s[34:35]
	s_or_b64 s[38:39], s[0:1], s[2:3]
	s_and_b64 s[0:1], s[38:39], exec
	v_cmp_eq_u64_e64 s[4:5], v[66:67], v[80:81]
	s_or_b64 s[2:3], s[36:37], s[0:1]
	s_and_saveexec_b64 s[36:37], s[4:5]
	s_cbranch_execz .LBB509_268
; %bb.270:                              ;   in Loop: Header=BB509_269 Depth=1
	v_lshl_add_u64 v[16:17], v[16:17], 0, -1
	v_cmp_eq_u64_e64 s[0:1], 0, v[16:17]
	s_andn2_b64 s[4:5], s[30:31], exec
	s_and_b64 s[30:31], s[38:39], exec
	s_or_b64 s[30:31], s[4:5], s[30:31]
	s_andn2_b64 s[4:5], s[28:29], exec
	s_and_b64 s[0:1], s[0:1], exec
	v_lshl_add_u64 v[12:13], v[12:13], 0, 8
	v_lshl_add_u64 v[14:15], v[14:15], 0, 8
	s_andn2_b64 s[2:3], s[2:3], exec
	s_or_b64 s[28:29], s[4:5], s[0:1]
                                        ; implicit-def: $sgpr34_sgpr35
	s_branch .LBB509_268
.LBB509_271:
	s_or_b64 exec, exec, s[24:25]
	s_and_b64 s[0:1], s[26:27], exec
.LBB509_272:
	s_or_b64 exec, exec, s[22:23]
	s_xor_b64 s[0:1], s[0:1], -1
	s_and_b64 s[2:3], s[0:1], exec
.LBB509_273:
	s_or_b64 exec, exec, s[16:17]
	s_orn2_b64 s[16:17], s[2:3], exec
.LBB509_274:
	s_or_b64 exec, exec, s[20:21]
	v_cndmask_b32_e64 v12, v18, v19, s[16:17]
	v_cndmask_b32_e64 v13, v100, v99, s[16:17]
	v_add_u32_e32 v16, 1, v12
	v_add_u32_e32 v12, -1, v13
	v_min_u32_e32 v12, v16, v12
	v_mov_b32_e32 v13, 0
	v_lshl_add_u64 v[14:15], v[12:13], 3, v[54:55]
	flat_load_dwordx2 v[14:15], v[14:15]
	v_cndmask_b32_e64 v66, v16, v18, s[16:17]
	s_mov_b64 s[20:21], -1
	v_cndmask_b32_e64 v67, v19, v16, s[16:17]
	v_cmp_lt_u32_e64 s[0:1], v66, v100
	s_mov_b64 s[22:23], -1
	s_waitcnt vmcnt(0) lgkmcnt(0)
	v_cndmask_b32_e64 v80, v15, v23, s[16:17]
	v_cndmask_b32_e64 v81, v14, v69, s[16:17]
	;; [unrolled: 1-line block ×4, first 2 shown]
	s_and_saveexec_b64 s[24:25], s[0:1]
	s_cbranch_execz .LBB509_284
; %bb.275:
	v_cmp_lt_u32_e64 s[0:1], v67, v99
	s_mov_b64 s[2:3], 0
	s_and_saveexec_b64 s[22:23], s[0:1]
	s_cbranch_execz .LBB509_283
; %bb.276:
	s_mov_b64 s[0:1], -1
	s_and_saveexec_b64 s[26:27], vcc
	s_cbranch_execz .LBB509_282
; %bb.277:
	v_mul_lo_u32 v12, v82, v6
	v_mul_lo_u32 v16, v83, v7
	v_mad_u64_u32 v[14:15], s[0:1], v83, v6, 0
	v_add3_u32 v15, v15, v16, v12
	v_mul_lo_u32 v12, v80, v6
	v_mul_lo_u32 v18, v81, v7
	v_mad_u64_u32 v[16:17], s[0:1], v81, v6, 0
	v_add3_u32 v17, v17, v18, v12
	v_lshl_add_u64 v[14:15], v[14:15], 3, v[8:9]
	v_lshl_add_u64 v[16:17], v[16:17], 3, v[8:9]
	s_mov_b64 s[28:29], 0
	v_mov_b64_e32 v[18:19], v[6:7]
                                        ; implicit-def: $sgpr30_sgpr31
                                        ; implicit-def: $sgpr34_sgpr35
                                        ; implicit-def: $sgpr2_sgpr3
                                        ; implicit-def: $sgpr36_sgpr37
                                        ; implicit-def: $sgpr38_sgpr39
	s_branch .LBB509_279
.LBB509_278:                            ;   in Loop: Header=BB509_279 Depth=1
	s_or_b64 exec, exec, s[40:41]
	s_and_b64 s[0:1], exec, s[34:35]
	s_or_b64 s[28:29], s[0:1], s[28:29]
	s_andn2_b64 s[0:1], s[38:39], exec
	s_and_b64 s[4:5], s[36:37], exec
	s_or_b64 s[38:39], s[0:1], s[4:5]
	s_andn2_b64 s[0:1], s[30:31], exec
	s_and_b64 s[4:5], s[2:3], exec
	s_or_b64 s[30:31], s[0:1], s[4:5]
	s_andn2_b64 exec, exec, s[28:29]
	s_cbranch_execz .LBB509_281
.LBB509_279:                            ; =>This Inner Loop Header: Depth=1
	flat_load_dwordx2 v[84:85], v[16:17]
	flat_load_dwordx2 v[86:87], v[14:15]
	s_andn2_b64 s[40:41], s[2:3], exec
	s_andn2_b64 s[36:37], s[36:37], exec
	s_or_b64 s[34:35], s[34:35], exec
	s_waitcnt vmcnt(0) lgkmcnt(0)
	v_cmp_le_i64_e64 s[2:3], v[84:85], v[86:87]
	v_cmp_lt_i64_e64 s[0:1], v[84:85], v[86:87]
	s_and_b64 s[2:3], s[2:3], s[38:39]
	s_or_b64 s[42:43], s[0:1], s[2:3]
	s_and_b64 s[0:1], s[42:43], exec
	v_cmp_eq_u64_e64 s[4:5], v[84:85], v[86:87]
	s_or_b64 s[2:3], s[40:41], s[0:1]
	s_and_saveexec_b64 s[40:41], s[4:5]
	s_cbranch_execz .LBB509_278
; %bb.280:                              ;   in Loop: Header=BB509_279 Depth=1
	v_lshl_add_u64 v[18:19], v[18:19], 0, -1
	v_cmp_eq_u64_e64 s[0:1], 0, v[18:19]
	s_andn2_b64 s[4:5], s[36:37], exec
	s_and_b64 s[36:37], s[42:43], exec
	s_or_b64 s[36:37], s[4:5], s[36:37]
	s_andn2_b64 s[4:5], s[34:35], exec
	s_and_b64 s[0:1], s[0:1], exec
	v_lshl_add_u64 v[14:15], v[14:15], 0, 8
	v_lshl_add_u64 v[16:17], v[16:17], 0, 8
	s_andn2_b64 s[2:3], s[2:3], exec
	s_or_b64 s[34:35], s[4:5], s[0:1]
                                        ; implicit-def: $sgpr38_sgpr39
	s_branch .LBB509_278
.LBB509_281:
	s_or_b64 exec, exec, s[28:29]
	s_xor_b64 s[0:1], s[30:31], -1
	s_orn2_b64 s[0:1], s[0:1], exec
.LBB509_282:
	s_or_b64 exec, exec, s[26:27]
	s_and_b64 s[2:3], s[0:1], exec
.LBB509_283:
	s_or_b64 exec, exec, s[22:23]
	s_orn2_b64 s[22:23], s[2:3], exec
.LBB509_284:
	s_or_b64 exec, exec, s[24:25]
	v_cndmask_b32_e64 v12, v66, v67, s[22:23]
	v_cndmask_b32_e64 v14, v100, v99, s[22:23]
	v_add_u32_e32 v15, 1, v12
	v_add_u32_e32 v12, -1, v14
	v_min_u32_e32 v12, v15, v12
	v_lshl_add_u64 v[12:13], v[12:13], 3, v[54:55]
	flat_load_dwordx2 v[12:13], v[12:13]
	v_cndmask_b32_e64 v18, v15, v66, s[22:23]
	v_cndmask_b32_e64 v19, v67, v15, s[22:23]
	v_cmp_lt_u32_e64 s[0:1], v18, v100
	s_waitcnt vmcnt(0) lgkmcnt(0)
	v_cndmask_b32_e64 v84, v13, v80, s[22:23]
	v_cndmask_b32_e64 v85, v12, v81, s[22:23]
	;; [unrolled: 1-line block ×4, first 2 shown]
	s_and_saveexec_b64 s[24:25], s[0:1]
	s_cbranch_execz .LBB509_294
; %bb.285:
	v_cmp_lt_u32_e64 s[0:1], v19, v99
	s_mov_b64 s[2:3], 0
	s_and_saveexec_b64 s[20:21], s[0:1]
	s_cbranch_execz .LBB509_293
; %bb.286:
	s_mov_b64 s[0:1], -1
	s_and_saveexec_b64 s[26:27], vcc
	s_cbranch_execz .LBB509_292
; %bb.287:
	v_mul_lo_u32 v14, v86, v6
	v_mul_lo_u32 v15, v87, v7
	v_mad_u64_u32 v[12:13], s[0:1], v87, v6, 0
	v_add3_u32 v13, v13, v15, v14
	v_mul_lo_u32 v16, v84, v6
	v_mul_lo_u32 v17, v85, v7
	v_mad_u64_u32 v[14:15], s[0:1], v85, v6, 0
	v_add3_u32 v15, v15, v17, v16
	v_lshl_add_u64 v[12:13], v[12:13], 3, v[8:9]
	v_lshl_add_u64 v[14:15], v[14:15], 3, v[8:9]
	s_mov_b64 s[28:29], 0
	v_mov_b64_e32 v[16:17], v[6:7]
                                        ; implicit-def: $sgpr30_sgpr31
                                        ; implicit-def: $sgpr34_sgpr35
                                        ; implicit-def: $sgpr2_sgpr3
                                        ; implicit-def: $sgpr36_sgpr37
                                        ; implicit-def: $sgpr38_sgpr39
	s_branch .LBB509_289
.LBB509_288:                            ;   in Loop: Header=BB509_289 Depth=1
	s_or_b64 exec, exec, s[40:41]
	s_and_b64 s[0:1], exec, s[34:35]
	s_or_b64 s[28:29], s[0:1], s[28:29]
	s_andn2_b64 s[0:1], s[38:39], exec
	s_and_b64 s[4:5], s[36:37], exec
	s_or_b64 s[38:39], s[0:1], s[4:5]
	s_andn2_b64 s[0:1], s[30:31], exec
	s_and_b64 s[4:5], s[2:3], exec
	s_or_b64 s[30:31], s[0:1], s[4:5]
	s_andn2_b64 exec, exec, s[28:29]
	s_cbranch_execz .LBB509_291
.LBB509_289:                            ; =>This Inner Loop Header: Depth=1
	flat_load_dwordx2 v[66:67], v[14:15]
	flat_load_dwordx2 v[96:97], v[12:13]
	s_andn2_b64 s[40:41], s[2:3], exec
	s_andn2_b64 s[36:37], s[36:37], exec
	s_or_b64 s[34:35], s[34:35], exec
	s_waitcnt vmcnt(0) lgkmcnt(0)
	v_cmp_le_i64_e64 s[2:3], v[66:67], v[96:97]
	v_cmp_lt_i64_e64 s[0:1], v[66:67], v[96:97]
	s_and_b64 s[2:3], s[2:3], s[38:39]
	s_or_b64 s[42:43], s[0:1], s[2:3]
	s_and_b64 s[0:1], s[42:43], exec
	v_cmp_eq_u64_e64 s[4:5], v[66:67], v[96:97]
	s_or_b64 s[2:3], s[40:41], s[0:1]
	s_and_saveexec_b64 s[40:41], s[4:5]
	s_cbranch_execz .LBB509_288
; %bb.290:                              ;   in Loop: Header=BB509_289 Depth=1
	v_lshl_add_u64 v[16:17], v[16:17], 0, -1
	v_cmp_eq_u64_e64 s[0:1], 0, v[16:17]
	s_andn2_b64 s[4:5], s[36:37], exec
	s_and_b64 s[36:37], s[42:43], exec
	s_or_b64 s[36:37], s[4:5], s[36:37]
	s_andn2_b64 s[4:5], s[34:35], exec
	s_and_b64 s[0:1], s[0:1], exec
	v_lshl_add_u64 v[12:13], v[12:13], 0, 8
	v_lshl_add_u64 v[14:15], v[14:15], 0, 8
	s_andn2_b64 s[2:3], s[2:3], exec
	s_or_b64 s[34:35], s[4:5], s[0:1]
                                        ; implicit-def: $sgpr38_sgpr39
	s_branch .LBB509_288
.LBB509_291:
	s_or_b64 exec, exec, s[28:29]
	s_xor_b64 s[0:1], s[30:31], -1
	s_orn2_b64 s[0:1], s[0:1], exec
.LBB509_292:
	s_or_b64 exec, exec, s[26:27]
	s_and_b64 s[2:3], s[0:1], exec
.LBB509_293:
	s_or_b64 exec, exec, s[20:21]
	s_orn2_b64 s[20:21], s[2:3], exec
.LBB509_294:
	s_or_b64 exec, exec, s[24:25]
	v_cndmask_b32_e64 v12, v18, v19, s[20:21]
	v_cndmask_b32_e64 v13, v100, v99, s[20:21]
	v_add_u32_e32 v16, 1, v12
	v_add_u32_e32 v12, -1, v13
	v_min_u32_e32 v12, v16, v12
	v_mov_b32_e32 v13, 0
	v_lshl_add_u64 v[14:15], v[12:13], 3, v[54:55]
	flat_load_dwordx2 v[14:15], v[14:15]
	v_cndmask_b32_e64 v66, v16, v18, s[20:21]
	s_mov_b64 s[24:25], -1
	v_cndmask_b32_e64 v67, v19, v16, s[20:21]
	v_cmp_lt_u32_e64 s[0:1], v66, v100
	s_mov_b64 s[26:27], -1
	s_waitcnt vmcnt(0) lgkmcnt(0)
	v_cndmask_b32_e64 v96, v15, v84, s[20:21]
	v_cndmask_b32_e64 v97, v14, v85, s[20:21]
	;; [unrolled: 1-line block ×4, first 2 shown]
	s_and_saveexec_b64 s[28:29], s[0:1]
	s_cbranch_execz .LBB509_304
; %bb.295:
	v_cmp_lt_u32_e64 s[0:1], v67, v99
	s_mov_b64 s[2:3], 0
	s_and_saveexec_b64 s[26:27], s[0:1]
	s_cbranch_execz .LBB509_303
; %bb.296:
	s_mov_b64 s[0:1], -1
	s_and_saveexec_b64 s[30:31], vcc
	s_cbranch_execz .LBB509_302
; %bb.297:
	v_mul_lo_u32 v12, v101, v6
	v_mul_lo_u32 v16, v102, v7
	v_mad_u64_u32 v[14:15], s[0:1], v102, v6, 0
	v_add3_u32 v15, v15, v16, v12
	v_mul_lo_u32 v12, v96, v6
	v_mul_lo_u32 v18, v97, v7
	v_mad_u64_u32 v[16:17], s[0:1], v97, v6, 0
	v_add3_u32 v17, v17, v18, v12
	v_lshl_add_u64 v[14:15], v[14:15], 3, v[8:9]
	v_lshl_add_u64 v[16:17], v[16:17], 3, v[8:9]
	s_mov_b64 s[34:35], 0
	v_mov_b64_e32 v[18:19], v[6:7]
                                        ; implicit-def: $sgpr36_sgpr37
                                        ; implicit-def: $sgpr38_sgpr39
                                        ; implicit-def: $sgpr2_sgpr3
                                        ; implicit-def: $sgpr40_sgpr41
                                        ; implicit-def: $sgpr42_sgpr43
	s_branch .LBB509_299
.LBB509_298:                            ;   in Loop: Header=BB509_299 Depth=1
	s_or_b64 exec, exec, s[44:45]
	s_and_b64 s[0:1], exec, s[38:39]
	s_or_b64 s[34:35], s[0:1], s[34:35]
	s_andn2_b64 s[0:1], s[42:43], exec
	s_and_b64 s[4:5], s[40:41], exec
	s_or_b64 s[42:43], s[0:1], s[4:5]
	s_andn2_b64 s[0:1], s[36:37], exec
	s_and_b64 s[4:5], s[2:3], exec
	s_or_b64 s[36:37], s[0:1], s[4:5]
	s_andn2_b64 exec, exec, s[34:35]
	s_cbranch_execz .LBB509_301
.LBB509_299:                            ; =>This Inner Loop Header: Depth=1
	flat_load_dwordx2 v[112:113], v[16:17]
	flat_load_dwordx2 v[114:115], v[14:15]
	s_andn2_b64 s[44:45], s[2:3], exec
	s_andn2_b64 s[40:41], s[40:41], exec
	s_or_b64 s[38:39], s[38:39], exec
	s_waitcnt vmcnt(0) lgkmcnt(0)
	v_cmp_le_i64_e64 s[2:3], v[112:113], v[114:115]
	v_cmp_lt_i64_e64 s[0:1], v[112:113], v[114:115]
	s_and_b64 s[2:3], s[2:3], s[42:43]
	s_or_b64 s[46:47], s[0:1], s[2:3]
	s_and_b64 s[0:1], s[46:47], exec
	v_cmp_eq_u64_e64 s[4:5], v[112:113], v[114:115]
	s_or_b64 s[2:3], s[44:45], s[0:1]
	s_and_saveexec_b64 s[44:45], s[4:5]
	s_cbranch_execz .LBB509_298
; %bb.300:                              ;   in Loop: Header=BB509_299 Depth=1
	v_lshl_add_u64 v[18:19], v[18:19], 0, -1
	v_cmp_eq_u64_e64 s[0:1], 0, v[18:19]
	s_andn2_b64 s[4:5], s[40:41], exec
	s_and_b64 s[40:41], s[46:47], exec
	s_or_b64 s[40:41], s[4:5], s[40:41]
	s_andn2_b64 s[4:5], s[38:39], exec
	s_and_b64 s[0:1], s[0:1], exec
	v_lshl_add_u64 v[14:15], v[14:15], 0, 8
	v_lshl_add_u64 v[16:17], v[16:17], 0, 8
	s_andn2_b64 s[2:3], s[2:3], exec
	s_or_b64 s[38:39], s[4:5], s[0:1]
                                        ; implicit-def: $sgpr42_sgpr43
	s_branch .LBB509_298
.LBB509_301:
	s_or_b64 exec, exec, s[34:35]
	s_xor_b64 s[0:1], s[36:37], -1
	s_orn2_b64 s[0:1], s[0:1], exec
.LBB509_302:
	s_or_b64 exec, exec, s[30:31]
	s_and_b64 s[2:3], s[0:1], exec
.LBB509_303:
	s_or_b64 exec, exec, s[26:27]
	s_orn2_b64 s[26:27], s[2:3], exec
.LBB509_304:
	s_or_b64 exec, exec, s[28:29]
	v_cndmask_b32_e64 v12, v66, v67, s[26:27]
	v_cndmask_b32_e64 v14, v100, v99, s[26:27]
	v_add_u32_e32 v15, 1, v12
	v_add_u32_e32 v12, -1, v14
	v_min_u32_e32 v12, v15, v12
	v_lshl_add_u64 v[12:13], v[12:13], 3, v[54:55]
	flat_load_dwordx2 v[12:13], v[12:13]
	v_cndmask_b32_e64 v114, v15, v66, s[26:27]
	v_cndmask_b32_e64 v103, v67, v15, s[26:27]
	v_cmp_lt_u32_e64 s[0:1], v114, v100
	s_waitcnt vmcnt(0) lgkmcnt(0)
	v_cndmask_b32_e64 v112, v13, v96, s[26:27]
	v_cndmask_b32_e64 v113, v12, v97, s[26:27]
	;; [unrolled: 1-line block ×4, first 2 shown]
	s_and_saveexec_b64 s[28:29], s[0:1]
	s_cbranch_execz .LBB509_314
; %bb.305:
	v_cmp_lt_u32_e64 s[0:1], v103, v99
	s_mov_b64 s[2:3], 0
	s_and_saveexec_b64 s[24:25], s[0:1]
	s_cbranch_execz .LBB509_313
; %bb.306:
	s_mov_b64 s[0:1], -1
	s_and_saveexec_b64 s[30:31], vcc
	s_cbranch_execz .LBB509_312
; %bb.307:
	v_mul_lo_u32 v14, v115, v6
	v_mul_lo_u32 v15, v116, v7
	v_mad_u64_u32 v[12:13], s[0:1], v116, v6, 0
	v_add3_u32 v13, v13, v15, v14
	v_mul_lo_u32 v16, v112, v6
	v_mul_lo_u32 v17, v113, v7
	v_mad_u64_u32 v[14:15], s[0:1], v113, v6, 0
	v_add3_u32 v15, v15, v17, v16
	v_lshl_add_u64 v[12:13], v[12:13], 3, v[8:9]
	v_lshl_add_u64 v[14:15], v[14:15], 3, v[8:9]
	s_mov_b64 s[34:35], 0
	v_mov_b64_e32 v[16:17], v[6:7]
                                        ; implicit-def: $sgpr36_sgpr37
                                        ; implicit-def: $sgpr38_sgpr39
                                        ; implicit-def: $sgpr2_sgpr3
                                        ; implicit-def: $sgpr40_sgpr41
                                        ; implicit-def: $sgpr42_sgpr43
	s_branch .LBB509_309
.LBB509_308:                            ;   in Loop: Header=BB509_309 Depth=1
	s_or_b64 exec, exec, s[44:45]
	s_and_b64 s[0:1], exec, s[38:39]
	s_or_b64 s[34:35], s[0:1], s[34:35]
	s_andn2_b64 s[0:1], s[42:43], exec
	s_and_b64 s[4:5], s[40:41], exec
	s_or_b64 s[42:43], s[0:1], s[4:5]
	s_andn2_b64 s[0:1], s[36:37], exec
	s_and_b64 s[4:5], s[2:3], exec
	s_or_b64 s[36:37], s[0:1], s[4:5]
	s_andn2_b64 exec, exec, s[34:35]
	s_cbranch_execz .LBB509_311
.LBB509_309:                            ; =>This Inner Loop Header: Depth=1
	flat_load_dwordx2 v[18:19], v[14:15]
	flat_load_dwordx2 v[66:67], v[12:13]
	s_andn2_b64 s[44:45], s[2:3], exec
	s_andn2_b64 s[40:41], s[40:41], exec
	s_or_b64 s[38:39], s[38:39], exec
	s_waitcnt vmcnt(0) lgkmcnt(0)
	v_cmp_le_i64_e64 s[2:3], v[18:19], v[66:67]
	v_cmp_lt_i64_e64 s[0:1], v[18:19], v[66:67]
	s_and_b64 s[2:3], s[2:3], s[42:43]
	s_or_b64 s[46:47], s[0:1], s[2:3]
	s_and_b64 s[0:1], s[46:47], exec
	v_cmp_eq_u64_e64 s[4:5], v[18:19], v[66:67]
	s_or_b64 s[2:3], s[44:45], s[0:1]
	s_and_saveexec_b64 s[44:45], s[4:5]
	s_cbranch_execz .LBB509_308
; %bb.310:                              ;   in Loop: Header=BB509_309 Depth=1
	v_lshl_add_u64 v[16:17], v[16:17], 0, -1
	v_cmp_eq_u64_e64 s[0:1], 0, v[16:17]
	s_andn2_b64 s[4:5], s[40:41], exec
	s_and_b64 s[40:41], s[46:47], exec
	s_or_b64 s[40:41], s[4:5], s[40:41]
	s_andn2_b64 s[4:5], s[38:39], exec
	s_and_b64 s[0:1], s[0:1], exec
	v_lshl_add_u64 v[12:13], v[12:13], 0, 8
	v_lshl_add_u64 v[14:15], v[14:15], 0, 8
	s_andn2_b64 s[2:3], s[2:3], exec
	s_or_b64 s[38:39], s[4:5], s[0:1]
                                        ; implicit-def: $sgpr42_sgpr43
	s_branch .LBB509_308
.LBB509_311:
	s_or_b64 exec, exec, s[34:35]
	s_xor_b64 s[0:1], s[36:37], -1
	s_orn2_b64 s[0:1], s[0:1], exec
.LBB509_312:
	s_or_b64 exec, exec, s[30:31]
	s_and_b64 s[2:3], s[0:1], exec
.LBB509_313:
	s_or_b64 exec, exec, s[24:25]
	s_orn2_b64 s[24:25], s[2:3], exec
.LBB509_314:
	s_or_b64 exec, exec, s[28:29]
	v_cndmask_b32_e64 v12, v114, v103, s[24:25]
	v_cndmask_b32_e64 v13, v100, v99, s[24:25]
	v_add_u32_e32 v117, 1, v12
	v_add_u32_e32 v12, -1, v13
	v_min_u32_e32 v12, v117, v12
	v_mov_b32_e32 v13, 0
	v_lshl_add_u64 v[12:13], v[12:13], 3, v[54:55]
	flat_load_dwordx2 v[66:67], v[12:13]
	v_cndmask_b32_e64 v17, v23, v70, s[16:17]
	v_cndmask_b32_e64 v23, v20, v22, s[18:19]
	;; [unrolled: 1-line block ×15, first 2 shown]
	v_cmp_lt_u32_e64 s[0:1], v68, v100
	s_waitcnt vmcnt(0) lgkmcnt(0)
	v_cndmask_b32_e64 v3, v115, v67, s[24:25]
	v_cndmask_b32_e64 v2, v116, v66, s[24:25]
	s_and_saveexec_b64 s[14:15], s[0:1]
	s_cbranch_execz .LBB509_324
; %bb.315:
	v_cndmask_b32_e64 v68, v103, v117, s[24:25]
	v_cndmask_b32_e64 v67, v67, v112, s[24:25]
	;; [unrolled: 1-line block ×3, first 2 shown]
	v_cmp_lt_u32_e64 s[0:1], v68, v99
	s_and_saveexec_b64 s[16:17], s[0:1]
	s_cbranch_execz .LBB509_323
; %bb.316:
	s_and_saveexec_b64 s[18:19], vcc
	s_cbranch_execz .LBB509_322
; %bb.317:
	v_mul_lo_u32 v70, v3, v6
	v_mul_lo_u32 v71, v2, v7
	v_mad_u64_u32 v[68:69], s[0:1], v2, v6, 0
	v_add3_u32 v69, v69, v71, v70
	v_mul_lo_u32 v80, v67, v6
	v_mul_lo_u32 v81, v66, v7
	v_mad_u64_u32 v[70:71], s[0:1], v66, v6, 0
	v_add3_u32 v71, v71, v81, v80
	v_lshl_add_u64 v[68:69], v[68:69], 3, v[8:9]
	v_lshl_add_u64 v[70:71], v[70:71], 3, v[8:9]
	s_mov_b64 s[20:21], 0
	v_mov_b64_e32 v[80:81], v[6:7]
                                        ; implicit-def: $sgpr22_sgpr23
                                        ; implicit-def: $sgpr24_sgpr25
                                        ; implicit-def: $sgpr2_sgpr3
                                        ; implicit-def: $sgpr26_sgpr27
                                        ; implicit-def: $sgpr28_sgpr29
	s_branch .LBB509_319
.LBB509_318:                            ;   in Loop: Header=BB509_319 Depth=1
	s_or_b64 exec, exec, s[30:31]
	s_and_b64 s[0:1], exec, s[24:25]
	s_or_b64 s[20:21], s[0:1], s[20:21]
	s_andn2_b64 s[0:1], s[28:29], exec
	s_and_b64 s[4:5], s[26:27], exec
	s_or_b64 s[28:29], s[0:1], s[4:5]
	s_andn2_b64 s[0:1], s[22:23], exec
	s_and_b64 s[4:5], s[2:3], exec
	s_or_b64 s[22:23], s[0:1], s[4:5]
	s_andn2_b64 exec, exec, s[20:21]
	s_cbranch_execz .LBB509_321
.LBB509_319:                            ; =>This Inner Loop Header: Depth=1
	flat_load_dwordx2 v[82:83], v[70:71]
	flat_load_dwordx2 v[84:85], v[68:69]
	s_andn2_b64 s[30:31], s[2:3], exec
	s_andn2_b64 s[26:27], s[26:27], exec
	s_or_b64 s[24:25], s[24:25], exec
	s_waitcnt vmcnt(0) lgkmcnt(0)
	v_cmp_le_i64_e64 s[2:3], v[82:83], v[84:85]
	v_cmp_lt_i64_e64 s[0:1], v[82:83], v[84:85]
	s_and_b64 s[2:3], s[2:3], s[28:29]
	s_or_b64 s[34:35], s[0:1], s[2:3]
	s_and_b64 s[0:1], s[34:35], exec
	v_cmp_eq_u64_e64 s[4:5], v[82:83], v[84:85]
	s_or_b64 s[2:3], s[30:31], s[0:1]
	s_and_saveexec_b64 s[30:31], s[4:5]
	s_cbranch_execz .LBB509_318
; %bb.320:                              ;   in Loop: Header=BB509_319 Depth=1
	v_lshl_add_u64 v[80:81], v[80:81], 0, -1
	v_cmp_eq_u64_e64 s[0:1], 0, v[80:81]
	s_andn2_b64 s[4:5], s[26:27], exec
	s_and_b64 s[26:27], s[34:35], exec
	s_or_b64 s[26:27], s[4:5], s[26:27]
	s_andn2_b64 s[4:5], s[24:25], exec
	s_and_b64 s[0:1], s[0:1], exec
	v_lshl_add_u64 v[68:69], v[68:69], 0, 8
	v_lshl_add_u64 v[70:71], v[70:71], 0, 8
	s_andn2_b64 s[2:3], s[2:3], exec
	s_or_b64 s[24:25], s[4:5], s[0:1]
                                        ; implicit-def: $sgpr28_sgpr29
	s_branch .LBB509_318
.LBB509_321:
	s_or_b64 exec, exec, s[20:21]
	v_cndmask_b32_e64 v3, v3, v67, s[22:23]
	v_cndmask_b32_e64 v2, v2, v66, s[22:23]
.LBB509_322:
	s_or_b64 exec, exec, s[18:19]
	v_mov_b64_e32 v[66:67], v[2:3]
.LBB509_323:
	s_or_b64 exec, exec, s[16:17]
	v_mov_b64_e32 v[2:3], v[66:67]
.LBB509_324:
	s_or_b64 exec, exec, s[14:15]
.LBB509_325:
	s_or_b64 exec, exec, s[10:11]
	v_and_b32_e32 v101, 0x3e0, v98
	v_or_b32_e32 v66, 16, v101
	v_min_u32_e32 v99, v31, v66
	v_add_u32_e32 v66, 16, v99
	v_min_u32_e32 v100, v31, v66
	v_and_b32_e32 v66, 24, v98
	v_min_u32_e32 v102, v31, v66
	v_sub_u32_e32 v66, v99, v101
	v_sub_u32_e32 v67, v100, v99
	v_sub_u32_e64 v103, v102, v67 clamp
	v_min_u32_e32 v112, v102, v66
	v_cmp_lt_u32_e64 s[0:1], v103, v112
	; wave barrier
	flat_store_dwordx4 v[64:65], v[20:23]
	flat_store_dwordx4 v[64:65], v[16:19] offset:16
	flat_store_dwordx4 v[64:65], v[12:15] offset:32
	;; [unrolled: 1-line block ×3, first 2 shown]
	; wave barrier
	s_and_saveexec_b64 s[10:11], s[0:1]
	s_cbranch_execz .LBB509_335
; %bb.326:
	v_lshlrev_b32_e32 v66, 3, v101
	v_mov_b32_e32 v67, 0
	v_lshl_add_u64 v[68:69], v[54:55], 0, v[66:67]
	v_lshlrev_b32_e32 v66, 3, v99
	v_lshl_add_u64 v[70:71], v[54:55], 0, v[66:67]
	v_lshlrev_b64 v[80:81], 3, v[6:7]
	s_mov_b64 s[14:15], 0
	s_branch .LBB509_329
.LBB509_327:                            ;   in Loop: Header=BB509_329 Depth=1
	s_or_b64 exec, exec, s[18:19]
	s_and_b64 s[0:1], s[20:21], exec
.LBB509_328:                            ;   in Loop: Header=BB509_329 Depth=1
	s_or_b64 exec, exec, s[16:17]
	v_add_u32_e32 v66, 1, v82
	v_cndmask_b32_e64 v112, v112, v82, s[0:1]
	v_cndmask_b32_e64 v103, v66, v103, s[0:1]
	v_cmp_ge_u32_e64 s[0:1], v103, v112
	s_or_b64 s[14:15], s[0:1], s[14:15]
	s_andn2_b64 exec, exec, s[14:15]
	s_cbranch_execz .LBB509_334
.LBB509_329:                            ; =>This Loop Header: Depth=1
                                        ;     Child Loop BB509_332 Depth 2
	v_add_u32_e32 v66, v112, v103
	v_lshrrev_b32_e32 v82, 1, v66
	s_mov_b64 s[0:1], 0
	s_and_saveexec_b64 s[16:17], vcc
	s_cbranch_execz .LBB509_328
; %bb.330:                              ;   in Loop: Header=BB509_329 Depth=1
	v_mov_b32_e32 v83, v67
	v_xad_u32 v66, v82, -1, v102
	v_lshl_add_u64 v[84:85], v[82:83], 3, v[68:69]
	v_lshl_add_u64 v[86:87], v[66:67], 3, v[70:71]
	flat_load_dwordx2 v[84:85], v[84:85]
	s_mov_b64 s[18:19], 0
	flat_load_dwordx2 v[86:87], v[86:87]
                                        ; implicit-def: $sgpr20_sgpr21
                                        ; implicit-def: $sgpr22_sgpr23
                                        ; implicit-def: $sgpr24_sgpr25
                                        ; implicit-def: $sgpr2_sgpr3
                                        ; implicit-def: $sgpr26_sgpr27
	s_waitcnt vmcnt(0) lgkmcnt(0)
	v_mul_lo_u32 v66, v80, v85
	v_mul_lo_u32 v83, v81, v84
	v_mad_u64_u32 v[84:85], s[0:1], v80, v84, v[8:9]
	v_mul_lo_u32 v96, v80, v87
	v_mul_lo_u32 v97, v81, v86
	v_mad_u64_u32 v[86:87], s[0:1], v80, v86, v[8:9]
	v_add3_u32 v85, v83, v85, v66
	v_add3_u32 v87, v97, v87, v96
	v_mov_b64_e32 v[96:97], v[6:7]
	s_branch .LBB509_332
.LBB509_331:                            ;   in Loop: Header=BB509_332 Depth=2
	s_or_b64 exec, exec, s[28:29]
	s_and_b64 s[0:1], exec, s[22:23]
	s_or_b64 s[18:19], s[0:1], s[18:19]
	s_andn2_b64 s[0:1], s[26:27], exec
	s_and_b64 s[4:5], s[24:25], exec
	s_or_b64 s[26:27], s[0:1], s[4:5]
	s_andn2_b64 s[0:1], s[20:21], exec
	s_and_b64 s[4:5], s[2:3], exec
	s_or_b64 s[20:21], s[0:1], s[4:5]
	s_andn2_b64 exec, exec, s[18:19]
	s_cbranch_execz .LBB509_327
.LBB509_332:                            ;   Parent Loop BB509_329 Depth=1
                                        ; =>  This Inner Loop Header: Depth=2
	flat_load_dwordx2 v[114:115], v[86:87]
	flat_load_dwordx2 v[116:117], v[84:85]
	s_andn2_b64 s[28:29], s[2:3], exec
	s_andn2_b64 s[24:25], s[24:25], exec
	s_or_b64 s[22:23], s[22:23], exec
	s_waitcnt vmcnt(0) lgkmcnt(0)
	v_cmp_le_i64_e64 s[2:3], v[114:115], v[116:117]
	v_cmp_lt_i64_e64 s[0:1], v[114:115], v[116:117]
	s_and_b64 s[2:3], s[2:3], s[26:27]
	s_or_b64 s[30:31], s[0:1], s[2:3]
	s_and_b64 s[0:1], s[30:31], exec
	v_cmp_eq_u64_e64 s[4:5], v[114:115], v[116:117]
	s_or_b64 s[2:3], s[28:29], s[0:1]
	s_and_saveexec_b64 s[28:29], s[4:5]
	s_cbranch_execz .LBB509_331
; %bb.333:                              ;   in Loop: Header=BB509_332 Depth=2
	v_lshl_add_u64 v[96:97], v[96:97], 0, -1
	v_cmp_eq_u64_e64 s[0:1], 0, v[96:97]
	s_andn2_b64 s[4:5], s[24:25], exec
	s_and_b64 s[24:25], s[30:31], exec
	s_or_b64 s[24:25], s[4:5], s[24:25]
	s_andn2_b64 s[4:5], s[22:23], exec
	s_and_b64 s[0:1], s[0:1], exec
	v_lshl_add_u64 v[84:85], v[84:85], 0, 8
	v_lshl_add_u64 v[86:87], v[86:87], 0, 8
	s_andn2_b64 s[2:3], s[2:3], exec
	s_or_b64 s[22:23], s[4:5], s[0:1]
                                        ; implicit-def: $sgpr26_sgpr27
	s_branch .LBB509_331
.LBB509_334:
	s_or_b64 exec, exec, s[14:15]
.LBB509_335:
	s_or_b64 exec, exec, s[10:11]
	v_add_u32_e32 v67, v99, v102
	v_add_u32_e32 v66, v103, v101
	v_sub_u32_e32 v68, v67, v103
	v_cmp_le_u32_e64 s[0:1], v66, v99
	v_cmp_le_u32_e64 s[2:3], v68, v100
	s_or_b64 s[0:1], s[0:1], s[2:3]
	s_and_saveexec_b64 s[10:11], s[0:1]
	s_cbranch_execz .LBB509_419
; %bb.336:
	v_cmp_ge_u32_e64 s[0:1], v66, v99
	v_cmp_lt_u32_e64 s[2:3], v66, v99
                                        ; implicit-def: $vgpr0_vgpr1
	s_and_saveexec_b64 s[4:5], s[2:3]
	s_cbranch_execz .LBB509_338
; %bb.337:
	v_mov_b32_e32 v67, 0
	v_lshl_add_u64 v[0:1], v[66:67], 3, v[54:55]
	flat_load_dwordx2 v[0:1], v[0:1]
.LBB509_338:
	s_or_b64 exec, exec, s[4:5]
	v_cmp_ge_u32_e64 s[14:15], v68, v100
	v_cmp_lt_u32_e64 s[2:3], v68, v100
                                        ; implicit-def: $vgpr2_vgpr3
	s_and_saveexec_b64 s[4:5], s[2:3]
	s_cbranch_execz .LBB509_340
; %bb.339:
	v_mov_b32_e32 v69, 0
	v_lshl_add_u64 v[2:3], v[68:69], 3, v[54:55]
	flat_load_dwordx2 v[2:3], v[2:3]
.LBB509_340:
	s_or_b64 exec, exec, s[4:5]
	s_or_b64 s[0:1], s[0:1], s[14:15]
	s_xor_b64 s[0:1], s[0:1], -1
	s_and_saveexec_b64 s[16:17], s[0:1]
	s_cbranch_execz .LBB509_348
; %bb.341:
	s_mov_b64 s[0:1], 0
	s_and_saveexec_b64 s[18:19], vcc
	s_cbranch_execz .LBB509_347
; %bb.342:
	s_waitcnt vmcnt(0) lgkmcnt(0)
	v_mul_lo_u32 v14, v1, v6
	v_mul_lo_u32 v15, v0, v7
	v_mad_u64_u32 v[12:13], s[0:1], v0, v6, 0
	v_add3_u32 v13, v13, v15, v14
	v_mul_lo_u32 v16, v3, v6
	v_mul_lo_u32 v17, v2, v7
	v_mad_u64_u32 v[14:15], s[0:1], v2, v6, 0
	v_add3_u32 v15, v15, v17, v16
	v_lshl_add_u64 v[12:13], v[12:13], 3, v[8:9]
	v_lshl_add_u64 v[14:15], v[14:15], 3, v[8:9]
	s_mov_b64 s[20:21], 0
	v_mov_b64_e32 v[16:17], v[6:7]
                                        ; implicit-def: $sgpr22_sgpr23
                                        ; implicit-def: $sgpr24_sgpr25
                                        ; implicit-def: $sgpr26_sgpr27
                                        ; implicit-def: $sgpr2_sgpr3
                                        ; implicit-def: $sgpr28_sgpr29
	s_branch .LBB509_344
.LBB509_343:                            ;   in Loop: Header=BB509_344 Depth=1
	s_or_b64 exec, exec, s[30:31]
	s_and_b64 s[0:1], exec, s[24:25]
	s_or_b64 s[20:21], s[0:1], s[20:21]
	s_andn2_b64 s[0:1], s[28:29], exec
	s_and_b64 s[4:5], s[26:27], exec
	s_or_b64 s[28:29], s[0:1], s[4:5]
	s_andn2_b64 s[0:1], s[22:23], exec
	s_and_b64 s[4:5], s[2:3], exec
	s_or_b64 s[22:23], s[0:1], s[4:5]
	s_andn2_b64 exec, exec, s[20:21]
	s_cbranch_execz .LBB509_346
.LBB509_344:                            ; =>This Inner Loop Header: Depth=1
	flat_load_dwordx2 v[18:19], v[14:15]
	flat_load_dwordx2 v[20:21], v[12:13]
	s_andn2_b64 s[30:31], s[2:3], exec
	s_andn2_b64 s[26:27], s[26:27], exec
	s_or_b64 s[24:25], s[24:25], exec
	s_waitcnt vmcnt(0) lgkmcnt(0)
	v_cmp_le_i64_e64 s[2:3], v[18:19], v[20:21]
	v_cmp_lt_i64_e64 s[0:1], v[18:19], v[20:21]
	s_and_b64 s[2:3], s[2:3], s[28:29]
	s_or_b64 s[34:35], s[0:1], s[2:3]
	s_and_b64 s[0:1], s[34:35], exec
	v_cmp_eq_u64_e64 s[4:5], v[18:19], v[20:21]
	s_or_b64 s[2:3], s[30:31], s[0:1]
	s_and_saveexec_b64 s[30:31], s[4:5]
	s_cbranch_execz .LBB509_343
; %bb.345:                              ;   in Loop: Header=BB509_344 Depth=1
	v_lshl_add_u64 v[16:17], v[16:17], 0, -1
	v_cmp_eq_u64_e64 s[0:1], 0, v[16:17]
	s_andn2_b64 s[4:5], s[26:27], exec
	s_and_b64 s[26:27], s[34:35], exec
	s_or_b64 s[26:27], s[4:5], s[26:27]
	s_andn2_b64 s[4:5], s[24:25], exec
	s_and_b64 s[0:1], s[0:1], exec
	v_lshl_add_u64 v[12:13], v[12:13], 0, 8
	v_lshl_add_u64 v[14:15], v[14:15], 0, 8
	s_andn2_b64 s[2:3], s[2:3], exec
	s_or_b64 s[24:25], s[4:5], s[0:1]
                                        ; implicit-def: $sgpr28_sgpr29
	s_branch .LBB509_343
.LBB509_346:
	s_or_b64 exec, exec, s[20:21]
	s_and_b64 s[0:1], s[22:23], exec
.LBB509_347:
	s_or_b64 exec, exec, s[18:19]
	s_xor_b64 s[0:1], s[0:1], -1
	s_andn2_b64 s[2:3], s[14:15], exec
	s_and_b64 s[0:1], s[0:1], exec
	s_or_b64 s[14:15], s[2:3], s[0:1]
.LBB509_348:
	s_or_b64 exec, exec, s[16:17]
	v_cndmask_b32_e64 v12, v68, v66, s[14:15]
	v_cndmask_b32_e64 v13, v100, v99, s[14:15]
	v_add_u32_e32 v16, 1, v12
	v_add_u32_e32 v12, -1, v13
	v_min_u32_e32 v12, v16, v12
	v_mov_b32_e32 v13, 0
	v_lshl_add_u64 v[14:15], v[12:13], 3, v[54:55]
	flat_load_dwordx2 v[14:15], v[14:15]
	v_cndmask_b32_e64 v23, v16, v68, s[14:15]
	s_mov_b64 s[16:17], -1
	v_cndmask_b32_e64 v66, v66, v16, s[14:15]
	v_cmp_lt_u32_e64 s[0:1], v23, v100
	s_mov_b64 s[18:19], -1
	s_waitcnt vmcnt(0) lgkmcnt(0)
	v_cndmask_b32_e64 v20, v15, v3, s[14:15]
	v_cndmask_b32_e64 v21, v14, v2, s[14:15]
	;; [unrolled: 1-line block ×4, first 2 shown]
	s_and_saveexec_b64 s[20:21], s[0:1]
	s_cbranch_execz .LBB509_358
; %bb.349:
	v_cmp_lt_u32_e64 s[0:1], v66, v99
	s_mov_b64 s[2:3], 0
	s_and_saveexec_b64 s[18:19], s[0:1]
	s_cbranch_execz .LBB509_357
; %bb.350:
	s_mov_b64 s[0:1], 0
	s_and_saveexec_b64 s[22:23], vcc
	s_cbranch_execz .LBB509_356
; %bb.351:
	v_mul_lo_u32 v12, v22, v6
	v_mul_lo_u32 v16, v68, v7
	v_mad_u64_u32 v[14:15], s[0:1], v68, v6, 0
	v_add3_u32 v15, v15, v16, v12
	v_mul_lo_u32 v12, v20, v6
	v_mul_lo_u32 v18, v21, v7
	v_mad_u64_u32 v[16:17], s[0:1], v21, v6, 0
	v_add3_u32 v17, v17, v18, v12
	v_lshl_add_u64 v[14:15], v[14:15], 3, v[8:9]
	v_lshl_add_u64 v[16:17], v[16:17], 3, v[8:9]
	s_mov_b64 s[24:25], 0
	v_mov_b64_e32 v[18:19], v[6:7]
                                        ; implicit-def: $sgpr26_sgpr27
                                        ; implicit-def: $sgpr28_sgpr29
                                        ; implicit-def: $sgpr30_sgpr31
                                        ; implicit-def: $sgpr2_sgpr3
                                        ; implicit-def: $sgpr34_sgpr35
	s_branch .LBB509_353
.LBB509_352:                            ;   in Loop: Header=BB509_353 Depth=1
	s_or_b64 exec, exec, s[36:37]
	s_and_b64 s[0:1], exec, s[28:29]
	s_or_b64 s[24:25], s[0:1], s[24:25]
	s_andn2_b64 s[0:1], s[34:35], exec
	s_and_b64 s[4:5], s[30:31], exec
	s_or_b64 s[34:35], s[0:1], s[4:5]
	s_andn2_b64 s[0:1], s[26:27], exec
	s_and_b64 s[4:5], s[2:3], exec
	s_or_b64 s[26:27], s[0:1], s[4:5]
	s_andn2_b64 exec, exec, s[24:25]
	s_cbranch_execz .LBB509_355
.LBB509_353:                            ; =>This Inner Loop Header: Depth=1
	flat_load_dwordx2 v[70:71], v[16:17]
	flat_load_dwordx2 v[80:81], v[14:15]
	s_andn2_b64 s[36:37], s[2:3], exec
	s_andn2_b64 s[30:31], s[30:31], exec
	s_or_b64 s[28:29], s[28:29], exec
	s_waitcnt vmcnt(0) lgkmcnt(0)
	v_cmp_le_i64_e64 s[2:3], v[70:71], v[80:81]
	v_cmp_lt_i64_e64 s[0:1], v[70:71], v[80:81]
	s_and_b64 s[2:3], s[2:3], s[34:35]
	s_or_b64 s[38:39], s[0:1], s[2:3]
	s_and_b64 s[0:1], s[38:39], exec
	v_cmp_eq_u64_e64 s[4:5], v[70:71], v[80:81]
	s_or_b64 s[2:3], s[36:37], s[0:1]
	s_and_saveexec_b64 s[36:37], s[4:5]
	s_cbranch_execz .LBB509_352
; %bb.354:                              ;   in Loop: Header=BB509_353 Depth=1
	v_lshl_add_u64 v[18:19], v[18:19], 0, -1
	v_cmp_eq_u64_e64 s[0:1], 0, v[18:19]
	s_andn2_b64 s[4:5], s[30:31], exec
	s_and_b64 s[30:31], s[38:39], exec
	s_or_b64 s[30:31], s[4:5], s[30:31]
	s_andn2_b64 s[4:5], s[28:29], exec
	s_and_b64 s[0:1], s[0:1], exec
	v_lshl_add_u64 v[14:15], v[14:15], 0, 8
	v_lshl_add_u64 v[16:17], v[16:17], 0, 8
	s_andn2_b64 s[2:3], s[2:3], exec
	s_or_b64 s[28:29], s[4:5], s[0:1]
                                        ; implicit-def: $sgpr34_sgpr35
	s_branch .LBB509_352
.LBB509_355:
	s_or_b64 exec, exec, s[24:25]
	s_and_b64 s[0:1], s[26:27], exec
.LBB509_356:
	s_or_b64 exec, exec, s[22:23]
	s_xor_b64 s[0:1], s[0:1], -1
	s_and_b64 s[2:3], s[0:1], exec
.LBB509_357:
	s_or_b64 exec, exec, s[18:19]
	s_orn2_b64 s[18:19], s[2:3], exec
.LBB509_358:
	s_or_b64 exec, exec, s[20:21]
	v_cndmask_b32_e64 v12, v23, v66, s[18:19]
	v_cndmask_b32_e64 v14, v100, v99, s[18:19]
	v_add_u32_e32 v15, 1, v12
	v_add_u32_e32 v12, -1, v14
	v_min_u32_e32 v12, v15, v12
	v_lshl_add_u64 v[12:13], v[12:13], 3, v[54:55]
	flat_load_dwordx2 v[12:13], v[12:13]
	v_cndmask_b32_e64 v18, v15, v23, s[18:19]
	v_cndmask_b32_e64 v19, v66, v15, s[18:19]
	v_cmp_lt_u32_e64 s[0:1], v18, v100
	s_waitcnt vmcnt(0) lgkmcnt(0)
	v_cndmask_b32_e64 v23, v13, v20, s[18:19]
	v_cndmask_b32_e64 v69, v12, v21, s[18:19]
	;; [unrolled: 1-line block ×4, first 2 shown]
	s_and_saveexec_b64 s[20:21], s[0:1]
	s_cbranch_execz .LBB509_368
; %bb.359:
	v_cmp_lt_u32_e64 s[0:1], v19, v99
	s_mov_b64 s[2:3], 0
	s_and_saveexec_b64 s[16:17], s[0:1]
	s_cbranch_execz .LBB509_367
; %bb.360:
	s_mov_b64 s[0:1], 0
	s_and_saveexec_b64 s[22:23], vcc
	s_cbranch_execz .LBB509_366
; %bb.361:
	v_mul_lo_u32 v14, v70, v6
	v_mul_lo_u32 v15, v71, v7
	v_mad_u64_u32 v[12:13], s[0:1], v71, v6, 0
	v_add3_u32 v13, v13, v15, v14
	v_mul_lo_u32 v16, v23, v6
	v_mul_lo_u32 v17, v69, v7
	v_mad_u64_u32 v[14:15], s[0:1], v69, v6, 0
	v_add3_u32 v15, v15, v17, v16
	v_lshl_add_u64 v[12:13], v[12:13], 3, v[8:9]
	v_lshl_add_u64 v[14:15], v[14:15], 3, v[8:9]
	s_mov_b64 s[24:25], 0
	v_mov_b64_e32 v[16:17], v[6:7]
                                        ; implicit-def: $sgpr26_sgpr27
                                        ; implicit-def: $sgpr28_sgpr29
                                        ; implicit-def: $sgpr30_sgpr31
                                        ; implicit-def: $sgpr2_sgpr3
                                        ; implicit-def: $sgpr34_sgpr35
	s_branch .LBB509_363
.LBB509_362:                            ;   in Loop: Header=BB509_363 Depth=1
	s_or_b64 exec, exec, s[36:37]
	s_and_b64 s[0:1], exec, s[28:29]
	s_or_b64 s[24:25], s[0:1], s[24:25]
	s_andn2_b64 s[0:1], s[34:35], exec
	s_and_b64 s[4:5], s[30:31], exec
	s_or_b64 s[34:35], s[0:1], s[4:5]
	s_andn2_b64 s[0:1], s[26:27], exec
	s_and_b64 s[4:5], s[2:3], exec
	s_or_b64 s[26:27], s[0:1], s[4:5]
	s_andn2_b64 exec, exec, s[24:25]
	s_cbranch_execz .LBB509_365
.LBB509_363:                            ; =>This Inner Loop Header: Depth=1
	flat_load_dwordx2 v[66:67], v[14:15]
	flat_load_dwordx2 v[80:81], v[12:13]
	s_andn2_b64 s[36:37], s[2:3], exec
	s_andn2_b64 s[30:31], s[30:31], exec
	s_or_b64 s[28:29], s[28:29], exec
	s_waitcnt vmcnt(0) lgkmcnt(0)
	v_cmp_le_i64_e64 s[2:3], v[66:67], v[80:81]
	v_cmp_lt_i64_e64 s[0:1], v[66:67], v[80:81]
	s_and_b64 s[2:3], s[2:3], s[34:35]
	s_or_b64 s[38:39], s[0:1], s[2:3]
	s_and_b64 s[0:1], s[38:39], exec
	v_cmp_eq_u64_e64 s[4:5], v[66:67], v[80:81]
	s_or_b64 s[2:3], s[36:37], s[0:1]
	s_and_saveexec_b64 s[36:37], s[4:5]
	s_cbranch_execz .LBB509_362
; %bb.364:                              ;   in Loop: Header=BB509_363 Depth=1
	v_lshl_add_u64 v[16:17], v[16:17], 0, -1
	v_cmp_eq_u64_e64 s[0:1], 0, v[16:17]
	s_andn2_b64 s[4:5], s[30:31], exec
	s_and_b64 s[30:31], s[38:39], exec
	s_or_b64 s[30:31], s[4:5], s[30:31]
	s_andn2_b64 s[4:5], s[28:29], exec
	s_and_b64 s[0:1], s[0:1], exec
	v_lshl_add_u64 v[12:13], v[12:13], 0, 8
	v_lshl_add_u64 v[14:15], v[14:15], 0, 8
	s_andn2_b64 s[2:3], s[2:3], exec
	s_or_b64 s[28:29], s[4:5], s[0:1]
                                        ; implicit-def: $sgpr34_sgpr35
	s_branch .LBB509_362
.LBB509_365:
	s_or_b64 exec, exec, s[24:25]
	s_and_b64 s[0:1], s[26:27], exec
.LBB509_366:
	s_or_b64 exec, exec, s[22:23]
	s_xor_b64 s[0:1], s[0:1], -1
	s_and_b64 s[2:3], s[0:1], exec
.LBB509_367:
	s_or_b64 exec, exec, s[16:17]
	s_orn2_b64 s[16:17], s[2:3], exec
.LBB509_368:
	s_or_b64 exec, exec, s[20:21]
	v_cndmask_b32_e64 v12, v18, v19, s[16:17]
	v_cndmask_b32_e64 v13, v100, v99, s[16:17]
	v_add_u32_e32 v16, 1, v12
	v_add_u32_e32 v12, -1, v13
	v_min_u32_e32 v12, v16, v12
	v_mov_b32_e32 v13, 0
	v_lshl_add_u64 v[14:15], v[12:13], 3, v[54:55]
	flat_load_dwordx2 v[14:15], v[14:15]
	v_cndmask_b32_e64 v66, v16, v18, s[16:17]
	s_mov_b64 s[20:21], -1
	v_cndmask_b32_e64 v67, v19, v16, s[16:17]
	v_cmp_lt_u32_e64 s[0:1], v66, v100
	s_mov_b64 s[22:23], -1
	s_waitcnt vmcnt(0) lgkmcnt(0)
	v_cndmask_b32_e64 v80, v15, v23, s[16:17]
	v_cndmask_b32_e64 v81, v14, v69, s[16:17]
	;; [unrolled: 1-line block ×4, first 2 shown]
	s_and_saveexec_b64 s[24:25], s[0:1]
	s_cbranch_execz .LBB509_378
; %bb.369:
	v_cmp_lt_u32_e64 s[0:1], v67, v99
	s_mov_b64 s[2:3], 0
	s_and_saveexec_b64 s[22:23], s[0:1]
	s_cbranch_execz .LBB509_377
; %bb.370:
	s_mov_b64 s[0:1], -1
	s_and_saveexec_b64 s[26:27], vcc
	s_cbranch_execz .LBB509_376
; %bb.371:
	v_mul_lo_u32 v12, v82, v6
	v_mul_lo_u32 v16, v83, v7
	v_mad_u64_u32 v[14:15], s[0:1], v83, v6, 0
	v_add3_u32 v15, v15, v16, v12
	v_mul_lo_u32 v12, v80, v6
	v_mul_lo_u32 v18, v81, v7
	v_mad_u64_u32 v[16:17], s[0:1], v81, v6, 0
	v_add3_u32 v17, v17, v18, v12
	v_lshl_add_u64 v[14:15], v[14:15], 3, v[8:9]
	v_lshl_add_u64 v[16:17], v[16:17], 3, v[8:9]
	s_mov_b64 s[28:29], 0
	v_mov_b64_e32 v[18:19], v[6:7]
                                        ; implicit-def: $sgpr30_sgpr31
                                        ; implicit-def: $sgpr34_sgpr35
                                        ; implicit-def: $sgpr2_sgpr3
                                        ; implicit-def: $sgpr36_sgpr37
                                        ; implicit-def: $sgpr38_sgpr39
	s_branch .LBB509_373
.LBB509_372:                            ;   in Loop: Header=BB509_373 Depth=1
	s_or_b64 exec, exec, s[40:41]
	s_and_b64 s[0:1], exec, s[34:35]
	s_or_b64 s[28:29], s[0:1], s[28:29]
	s_andn2_b64 s[0:1], s[38:39], exec
	s_and_b64 s[4:5], s[36:37], exec
	s_or_b64 s[38:39], s[0:1], s[4:5]
	s_andn2_b64 s[0:1], s[30:31], exec
	s_and_b64 s[4:5], s[2:3], exec
	s_or_b64 s[30:31], s[0:1], s[4:5]
	s_andn2_b64 exec, exec, s[28:29]
	s_cbranch_execz .LBB509_375
.LBB509_373:                            ; =>This Inner Loop Header: Depth=1
	flat_load_dwordx2 v[84:85], v[16:17]
	flat_load_dwordx2 v[86:87], v[14:15]
	s_andn2_b64 s[40:41], s[2:3], exec
	s_andn2_b64 s[36:37], s[36:37], exec
	s_or_b64 s[34:35], s[34:35], exec
	s_waitcnt vmcnt(0) lgkmcnt(0)
	v_cmp_le_i64_e64 s[2:3], v[84:85], v[86:87]
	v_cmp_lt_i64_e64 s[0:1], v[84:85], v[86:87]
	s_and_b64 s[2:3], s[2:3], s[38:39]
	s_or_b64 s[42:43], s[0:1], s[2:3]
	s_and_b64 s[0:1], s[42:43], exec
	v_cmp_eq_u64_e64 s[4:5], v[84:85], v[86:87]
	s_or_b64 s[2:3], s[40:41], s[0:1]
	s_and_saveexec_b64 s[40:41], s[4:5]
	s_cbranch_execz .LBB509_372
; %bb.374:                              ;   in Loop: Header=BB509_373 Depth=1
	v_lshl_add_u64 v[18:19], v[18:19], 0, -1
	v_cmp_eq_u64_e64 s[0:1], 0, v[18:19]
	s_andn2_b64 s[4:5], s[36:37], exec
	s_and_b64 s[36:37], s[42:43], exec
	s_or_b64 s[36:37], s[4:5], s[36:37]
	s_andn2_b64 s[4:5], s[34:35], exec
	s_and_b64 s[0:1], s[0:1], exec
	v_lshl_add_u64 v[14:15], v[14:15], 0, 8
	v_lshl_add_u64 v[16:17], v[16:17], 0, 8
	s_andn2_b64 s[2:3], s[2:3], exec
	s_or_b64 s[34:35], s[4:5], s[0:1]
                                        ; implicit-def: $sgpr38_sgpr39
	s_branch .LBB509_372
.LBB509_375:
	s_or_b64 exec, exec, s[28:29]
	s_xor_b64 s[0:1], s[30:31], -1
	s_orn2_b64 s[0:1], s[0:1], exec
.LBB509_376:
	s_or_b64 exec, exec, s[26:27]
	s_and_b64 s[2:3], s[0:1], exec
.LBB509_377:
	s_or_b64 exec, exec, s[22:23]
	s_orn2_b64 s[22:23], s[2:3], exec
.LBB509_378:
	s_or_b64 exec, exec, s[24:25]
	v_cndmask_b32_e64 v12, v66, v67, s[22:23]
	v_cndmask_b32_e64 v14, v100, v99, s[22:23]
	v_add_u32_e32 v15, 1, v12
	v_add_u32_e32 v12, -1, v14
	v_min_u32_e32 v12, v15, v12
	v_lshl_add_u64 v[12:13], v[12:13], 3, v[54:55]
	flat_load_dwordx2 v[12:13], v[12:13]
	v_cndmask_b32_e64 v18, v15, v66, s[22:23]
	v_cndmask_b32_e64 v19, v67, v15, s[22:23]
	v_cmp_lt_u32_e64 s[0:1], v18, v100
	s_waitcnt vmcnt(0) lgkmcnt(0)
	v_cndmask_b32_e64 v84, v13, v80, s[22:23]
	v_cndmask_b32_e64 v85, v12, v81, s[22:23]
	;; [unrolled: 1-line block ×4, first 2 shown]
	s_and_saveexec_b64 s[24:25], s[0:1]
	s_cbranch_execz .LBB509_388
; %bb.379:
	v_cmp_lt_u32_e64 s[0:1], v19, v99
	s_mov_b64 s[2:3], 0
	s_and_saveexec_b64 s[20:21], s[0:1]
	s_cbranch_execz .LBB509_387
; %bb.380:
	s_mov_b64 s[0:1], -1
	s_and_saveexec_b64 s[26:27], vcc
	s_cbranch_execz .LBB509_386
; %bb.381:
	v_mul_lo_u32 v14, v86, v6
	v_mul_lo_u32 v15, v87, v7
	v_mad_u64_u32 v[12:13], s[0:1], v87, v6, 0
	v_add3_u32 v13, v13, v15, v14
	v_mul_lo_u32 v16, v84, v6
	v_mul_lo_u32 v17, v85, v7
	v_mad_u64_u32 v[14:15], s[0:1], v85, v6, 0
	v_add3_u32 v15, v15, v17, v16
	v_lshl_add_u64 v[12:13], v[12:13], 3, v[8:9]
	v_lshl_add_u64 v[14:15], v[14:15], 3, v[8:9]
	s_mov_b64 s[28:29], 0
	v_mov_b64_e32 v[16:17], v[6:7]
                                        ; implicit-def: $sgpr30_sgpr31
                                        ; implicit-def: $sgpr34_sgpr35
                                        ; implicit-def: $sgpr2_sgpr3
                                        ; implicit-def: $sgpr36_sgpr37
                                        ; implicit-def: $sgpr38_sgpr39
	s_branch .LBB509_383
.LBB509_382:                            ;   in Loop: Header=BB509_383 Depth=1
	s_or_b64 exec, exec, s[40:41]
	s_and_b64 s[0:1], exec, s[34:35]
	s_or_b64 s[28:29], s[0:1], s[28:29]
	s_andn2_b64 s[0:1], s[38:39], exec
	s_and_b64 s[4:5], s[36:37], exec
	s_or_b64 s[38:39], s[0:1], s[4:5]
	s_andn2_b64 s[0:1], s[30:31], exec
	s_and_b64 s[4:5], s[2:3], exec
	s_or_b64 s[30:31], s[0:1], s[4:5]
	s_andn2_b64 exec, exec, s[28:29]
	s_cbranch_execz .LBB509_385
.LBB509_383:                            ; =>This Inner Loop Header: Depth=1
	flat_load_dwordx2 v[66:67], v[14:15]
	flat_load_dwordx2 v[96:97], v[12:13]
	s_andn2_b64 s[40:41], s[2:3], exec
	s_andn2_b64 s[36:37], s[36:37], exec
	s_or_b64 s[34:35], s[34:35], exec
	s_waitcnt vmcnt(0) lgkmcnt(0)
	v_cmp_le_i64_e64 s[2:3], v[66:67], v[96:97]
	v_cmp_lt_i64_e64 s[0:1], v[66:67], v[96:97]
	s_and_b64 s[2:3], s[2:3], s[38:39]
	s_or_b64 s[42:43], s[0:1], s[2:3]
	s_and_b64 s[0:1], s[42:43], exec
	v_cmp_eq_u64_e64 s[4:5], v[66:67], v[96:97]
	s_or_b64 s[2:3], s[40:41], s[0:1]
	s_and_saveexec_b64 s[40:41], s[4:5]
	s_cbranch_execz .LBB509_382
; %bb.384:                              ;   in Loop: Header=BB509_383 Depth=1
	v_lshl_add_u64 v[16:17], v[16:17], 0, -1
	v_cmp_eq_u64_e64 s[0:1], 0, v[16:17]
	s_andn2_b64 s[4:5], s[36:37], exec
	s_and_b64 s[36:37], s[42:43], exec
	s_or_b64 s[36:37], s[4:5], s[36:37]
	s_andn2_b64 s[4:5], s[34:35], exec
	s_and_b64 s[0:1], s[0:1], exec
	v_lshl_add_u64 v[12:13], v[12:13], 0, 8
	v_lshl_add_u64 v[14:15], v[14:15], 0, 8
	s_andn2_b64 s[2:3], s[2:3], exec
	s_or_b64 s[34:35], s[4:5], s[0:1]
                                        ; implicit-def: $sgpr38_sgpr39
	s_branch .LBB509_382
.LBB509_385:
	s_or_b64 exec, exec, s[28:29]
	s_xor_b64 s[0:1], s[30:31], -1
	s_orn2_b64 s[0:1], s[0:1], exec
.LBB509_386:
	s_or_b64 exec, exec, s[26:27]
	s_and_b64 s[2:3], s[0:1], exec
.LBB509_387:
	s_or_b64 exec, exec, s[20:21]
	s_orn2_b64 s[20:21], s[2:3], exec
.LBB509_388:
	s_or_b64 exec, exec, s[24:25]
	v_cndmask_b32_e64 v12, v18, v19, s[20:21]
	v_cndmask_b32_e64 v13, v100, v99, s[20:21]
	v_add_u32_e32 v16, 1, v12
	v_add_u32_e32 v12, -1, v13
	v_min_u32_e32 v12, v16, v12
	v_mov_b32_e32 v13, 0
	v_lshl_add_u64 v[14:15], v[12:13], 3, v[54:55]
	flat_load_dwordx2 v[14:15], v[14:15]
	v_cndmask_b32_e64 v66, v16, v18, s[20:21]
	s_mov_b64 s[24:25], -1
	v_cndmask_b32_e64 v67, v19, v16, s[20:21]
	v_cmp_lt_u32_e64 s[0:1], v66, v100
	s_mov_b64 s[26:27], -1
	s_waitcnt vmcnt(0) lgkmcnt(0)
	v_cndmask_b32_e64 v96, v15, v84, s[20:21]
	v_cndmask_b32_e64 v97, v14, v85, s[20:21]
	;; [unrolled: 1-line block ×4, first 2 shown]
	s_and_saveexec_b64 s[28:29], s[0:1]
	s_cbranch_execz .LBB509_398
; %bb.389:
	v_cmp_lt_u32_e64 s[0:1], v67, v99
	s_mov_b64 s[2:3], 0
	s_and_saveexec_b64 s[26:27], s[0:1]
	s_cbranch_execz .LBB509_397
; %bb.390:
	s_mov_b64 s[0:1], -1
	s_and_saveexec_b64 s[30:31], vcc
	s_cbranch_execz .LBB509_396
; %bb.391:
	v_mul_lo_u32 v12, v101, v6
	v_mul_lo_u32 v16, v102, v7
	v_mad_u64_u32 v[14:15], s[0:1], v102, v6, 0
	v_add3_u32 v15, v15, v16, v12
	v_mul_lo_u32 v12, v96, v6
	v_mul_lo_u32 v18, v97, v7
	v_mad_u64_u32 v[16:17], s[0:1], v97, v6, 0
	v_add3_u32 v17, v17, v18, v12
	v_lshl_add_u64 v[14:15], v[14:15], 3, v[8:9]
	v_lshl_add_u64 v[16:17], v[16:17], 3, v[8:9]
	s_mov_b64 s[34:35], 0
	v_mov_b64_e32 v[18:19], v[6:7]
                                        ; implicit-def: $sgpr36_sgpr37
                                        ; implicit-def: $sgpr38_sgpr39
                                        ; implicit-def: $sgpr2_sgpr3
                                        ; implicit-def: $sgpr40_sgpr41
                                        ; implicit-def: $sgpr42_sgpr43
	s_branch .LBB509_393
.LBB509_392:                            ;   in Loop: Header=BB509_393 Depth=1
	s_or_b64 exec, exec, s[44:45]
	s_and_b64 s[0:1], exec, s[38:39]
	s_or_b64 s[34:35], s[0:1], s[34:35]
	s_andn2_b64 s[0:1], s[42:43], exec
	s_and_b64 s[4:5], s[40:41], exec
	s_or_b64 s[42:43], s[0:1], s[4:5]
	s_andn2_b64 s[0:1], s[36:37], exec
	s_and_b64 s[4:5], s[2:3], exec
	s_or_b64 s[36:37], s[0:1], s[4:5]
	s_andn2_b64 exec, exec, s[34:35]
	s_cbranch_execz .LBB509_395
.LBB509_393:                            ; =>This Inner Loop Header: Depth=1
	flat_load_dwordx2 v[112:113], v[16:17]
	flat_load_dwordx2 v[114:115], v[14:15]
	s_andn2_b64 s[44:45], s[2:3], exec
	s_andn2_b64 s[40:41], s[40:41], exec
	s_or_b64 s[38:39], s[38:39], exec
	s_waitcnt vmcnt(0) lgkmcnt(0)
	v_cmp_le_i64_e64 s[2:3], v[112:113], v[114:115]
	v_cmp_lt_i64_e64 s[0:1], v[112:113], v[114:115]
	s_and_b64 s[2:3], s[2:3], s[42:43]
	s_or_b64 s[46:47], s[0:1], s[2:3]
	s_and_b64 s[0:1], s[46:47], exec
	v_cmp_eq_u64_e64 s[4:5], v[112:113], v[114:115]
	s_or_b64 s[2:3], s[44:45], s[0:1]
	s_and_saveexec_b64 s[44:45], s[4:5]
	s_cbranch_execz .LBB509_392
; %bb.394:                              ;   in Loop: Header=BB509_393 Depth=1
	v_lshl_add_u64 v[18:19], v[18:19], 0, -1
	v_cmp_eq_u64_e64 s[0:1], 0, v[18:19]
	s_andn2_b64 s[4:5], s[40:41], exec
	s_and_b64 s[40:41], s[46:47], exec
	s_or_b64 s[40:41], s[4:5], s[40:41]
	s_andn2_b64 s[4:5], s[38:39], exec
	s_and_b64 s[0:1], s[0:1], exec
	v_lshl_add_u64 v[14:15], v[14:15], 0, 8
	v_lshl_add_u64 v[16:17], v[16:17], 0, 8
	s_andn2_b64 s[2:3], s[2:3], exec
	s_or_b64 s[38:39], s[4:5], s[0:1]
                                        ; implicit-def: $sgpr42_sgpr43
	s_branch .LBB509_392
.LBB509_395:
	s_or_b64 exec, exec, s[34:35]
	s_xor_b64 s[0:1], s[36:37], -1
	s_orn2_b64 s[0:1], s[0:1], exec
.LBB509_396:
	s_or_b64 exec, exec, s[30:31]
	s_and_b64 s[2:3], s[0:1], exec
.LBB509_397:
	s_or_b64 exec, exec, s[26:27]
	s_orn2_b64 s[26:27], s[2:3], exec
.LBB509_398:
	s_or_b64 exec, exec, s[28:29]
	v_cndmask_b32_e64 v12, v66, v67, s[26:27]
	v_cndmask_b32_e64 v14, v100, v99, s[26:27]
	v_add_u32_e32 v15, 1, v12
	v_add_u32_e32 v12, -1, v14
	v_min_u32_e32 v12, v15, v12
	v_lshl_add_u64 v[12:13], v[12:13], 3, v[54:55]
	flat_load_dwordx2 v[12:13], v[12:13]
	v_cndmask_b32_e64 v114, v15, v66, s[26:27]
	v_cndmask_b32_e64 v103, v67, v15, s[26:27]
	v_cmp_lt_u32_e64 s[0:1], v114, v100
	s_waitcnt vmcnt(0) lgkmcnt(0)
	v_cndmask_b32_e64 v112, v13, v96, s[26:27]
	v_cndmask_b32_e64 v113, v12, v97, s[26:27]
	;; [unrolled: 1-line block ×4, first 2 shown]
	s_and_saveexec_b64 s[28:29], s[0:1]
	s_cbranch_execz .LBB509_408
; %bb.399:
	v_cmp_lt_u32_e64 s[0:1], v103, v99
	s_mov_b64 s[2:3], 0
	s_and_saveexec_b64 s[24:25], s[0:1]
	s_cbranch_execz .LBB509_407
; %bb.400:
	s_mov_b64 s[0:1], -1
	s_and_saveexec_b64 s[30:31], vcc
	s_cbranch_execz .LBB509_406
; %bb.401:
	v_mul_lo_u32 v14, v115, v6
	v_mul_lo_u32 v15, v116, v7
	v_mad_u64_u32 v[12:13], s[0:1], v116, v6, 0
	v_add3_u32 v13, v13, v15, v14
	v_mul_lo_u32 v16, v112, v6
	v_mul_lo_u32 v17, v113, v7
	v_mad_u64_u32 v[14:15], s[0:1], v113, v6, 0
	v_add3_u32 v15, v15, v17, v16
	v_lshl_add_u64 v[12:13], v[12:13], 3, v[8:9]
	v_lshl_add_u64 v[14:15], v[14:15], 3, v[8:9]
	s_mov_b64 s[34:35], 0
	v_mov_b64_e32 v[16:17], v[6:7]
                                        ; implicit-def: $sgpr36_sgpr37
                                        ; implicit-def: $sgpr38_sgpr39
                                        ; implicit-def: $sgpr2_sgpr3
                                        ; implicit-def: $sgpr40_sgpr41
                                        ; implicit-def: $sgpr42_sgpr43
	s_branch .LBB509_403
.LBB509_402:                            ;   in Loop: Header=BB509_403 Depth=1
	s_or_b64 exec, exec, s[44:45]
	s_and_b64 s[0:1], exec, s[38:39]
	s_or_b64 s[34:35], s[0:1], s[34:35]
	s_andn2_b64 s[0:1], s[42:43], exec
	s_and_b64 s[4:5], s[40:41], exec
	s_or_b64 s[42:43], s[0:1], s[4:5]
	s_andn2_b64 s[0:1], s[36:37], exec
	s_and_b64 s[4:5], s[2:3], exec
	s_or_b64 s[36:37], s[0:1], s[4:5]
	s_andn2_b64 exec, exec, s[34:35]
	s_cbranch_execz .LBB509_405
.LBB509_403:                            ; =>This Inner Loop Header: Depth=1
	flat_load_dwordx2 v[18:19], v[14:15]
	flat_load_dwordx2 v[66:67], v[12:13]
	s_andn2_b64 s[44:45], s[2:3], exec
	s_andn2_b64 s[40:41], s[40:41], exec
	s_or_b64 s[38:39], s[38:39], exec
	s_waitcnt vmcnt(0) lgkmcnt(0)
	v_cmp_le_i64_e64 s[2:3], v[18:19], v[66:67]
	v_cmp_lt_i64_e64 s[0:1], v[18:19], v[66:67]
	s_and_b64 s[2:3], s[2:3], s[42:43]
	s_or_b64 s[46:47], s[0:1], s[2:3]
	s_and_b64 s[0:1], s[46:47], exec
	v_cmp_eq_u64_e64 s[4:5], v[18:19], v[66:67]
	s_or_b64 s[2:3], s[44:45], s[0:1]
	s_and_saveexec_b64 s[44:45], s[4:5]
	s_cbranch_execz .LBB509_402
; %bb.404:                              ;   in Loop: Header=BB509_403 Depth=1
	v_lshl_add_u64 v[16:17], v[16:17], 0, -1
	v_cmp_eq_u64_e64 s[0:1], 0, v[16:17]
	s_andn2_b64 s[4:5], s[40:41], exec
	s_and_b64 s[40:41], s[46:47], exec
	s_or_b64 s[40:41], s[4:5], s[40:41]
	s_andn2_b64 s[4:5], s[38:39], exec
	s_and_b64 s[0:1], s[0:1], exec
	v_lshl_add_u64 v[12:13], v[12:13], 0, 8
	v_lshl_add_u64 v[14:15], v[14:15], 0, 8
	s_andn2_b64 s[2:3], s[2:3], exec
	s_or_b64 s[38:39], s[4:5], s[0:1]
                                        ; implicit-def: $sgpr42_sgpr43
	s_branch .LBB509_402
.LBB509_405:
	s_or_b64 exec, exec, s[34:35]
	s_xor_b64 s[0:1], s[36:37], -1
	s_orn2_b64 s[0:1], s[0:1], exec
.LBB509_406:
	s_or_b64 exec, exec, s[30:31]
	s_and_b64 s[2:3], s[0:1], exec
.LBB509_407:
	s_or_b64 exec, exec, s[24:25]
	s_orn2_b64 s[24:25], s[2:3], exec
.LBB509_408:
	s_or_b64 exec, exec, s[28:29]
	v_cndmask_b32_e64 v12, v114, v103, s[24:25]
	v_cndmask_b32_e64 v13, v100, v99, s[24:25]
	v_add_u32_e32 v117, 1, v12
	v_add_u32_e32 v12, -1, v13
	v_min_u32_e32 v12, v117, v12
	v_mov_b32_e32 v13, 0
	v_lshl_add_u64 v[12:13], v[12:13], 3, v[54:55]
	flat_load_dwordx2 v[66:67], v[12:13]
	v_cndmask_b32_e64 v17, v23, v70, s[16:17]
	v_cndmask_b32_e64 v23, v20, v22, s[18:19]
	;; [unrolled: 1-line block ×15, first 2 shown]
	v_cmp_lt_u32_e64 s[0:1], v68, v100
	s_waitcnt vmcnt(0) lgkmcnt(0)
	v_cndmask_b32_e64 v3, v115, v67, s[24:25]
	v_cndmask_b32_e64 v2, v116, v66, s[24:25]
	s_and_saveexec_b64 s[14:15], s[0:1]
	s_cbranch_execz .LBB509_418
; %bb.409:
	v_cndmask_b32_e64 v68, v103, v117, s[24:25]
	v_cndmask_b32_e64 v67, v67, v112, s[24:25]
	;; [unrolled: 1-line block ×3, first 2 shown]
	v_cmp_lt_u32_e64 s[0:1], v68, v99
	s_and_saveexec_b64 s[16:17], s[0:1]
	s_cbranch_execz .LBB509_417
; %bb.410:
	s_and_saveexec_b64 s[18:19], vcc
	s_cbranch_execz .LBB509_416
; %bb.411:
	v_mul_lo_u32 v70, v3, v6
	v_mul_lo_u32 v71, v2, v7
	v_mad_u64_u32 v[68:69], s[0:1], v2, v6, 0
	v_add3_u32 v69, v69, v71, v70
	v_mul_lo_u32 v80, v67, v6
	v_mul_lo_u32 v81, v66, v7
	v_mad_u64_u32 v[70:71], s[0:1], v66, v6, 0
	v_add3_u32 v71, v71, v81, v80
	v_lshl_add_u64 v[68:69], v[68:69], 3, v[8:9]
	v_lshl_add_u64 v[70:71], v[70:71], 3, v[8:9]
	s_mov_b64 s[20:21], 0
	v_mov_b64_e32 v[80:81], v[6:7]
                                        ; implicit-def: $sgpr22_sgpr23
                                        ; implicit-def: $sgpr24_sgpr25
                                        ; implicit-def: $sgpr2_sgpr3
                                        ; implicit-def: $sgpr26_sgpr27
                                        ; implicit-def: $sgpr28_sgpr29
	s_branch .LBB509_413
.LBB509_412:                            ;   in Loop: Header=BB509_413 Depth=1
	s_or_b64 exec, exec, s[30:31]
	s_and_b64 s[0:1], exec, s[24:25]
	s_or_b64 s[20:21], s[0:1], s[20:21]
	s_andn2_b64 s[0:1], s[28:29], exec
	s_and_b64 s[4:5], s[26:27], exec
	s_or_b64 s[28:29], s[0:1], s[4:5]
	s_andn2_b64 s[0:1], s[22:23], exec
	s_and_b64 s[4:5], s[2:3], exec
	s_or_b64 s[22:23], s[0:1], s[4:5]
	s_andn2_b64 exec, exec, s[20:21]
	s_cbranch_execz .LBB509_415
.LBB509_413:                            ; =>This Inner Loop Header: Depth=1
	flat_load_dwordx2 v[82:83], v[70:71]
	flat_load_dwordx2 v[84:85], v[68:69]
	s_andn2_b64 s[30:31], s[2:3], exec
	s_andn2_b64 s[26:27], s[26:27], exec
	s_or_b64 s[24:25], s[24:25], exec
	s_waitcnt vmcnt(0) lgkmcnt(0)
	v_cmp_le_i64_e64 s[2:3], v[82:83], v[84:85]
	v_cmp_lt_i64_e64 s[0:1], v[82:83], v[84:85]
	s_and_b64 s[2:3], s[2:3], s[28:29]
	s_or_b64 s[34:35], s[0:1], s[2:3]
	s_and_b64 s[0:1], s[34:35], exec
	v_cmp_eq_u64_e64 s[4:5], v[82:83], v[84:85]
	s_or_b64 s[2:3], s[30:31], s[0:1]
	s_and_saveexec_b64 s[30:31], s[4:5]
	s_cbranch_execz .LBB509_412
; %bb.414:                              ;   in Loop: Header=BB509_413 Depth=1
	v_lshl_add_u64 v[80:81], v[80:81], 0, -1
	v_cmp_eq_u64_e64 s[0:1], 0, v[80:81]
	s_andn2_b64 s[4:5], s[26:27], exec
	s_and_b64 s[26:27], s[34:35], exec
	s_or_b64 s[26:27], s[4:5], s[26:27]
	s_andn2_b64 s[4:5], s[24:25], exec
	s_and_b64 s[0:1], s[0:1], exec
	v_lshl_add_u64 v[68:69], v[68:69], 0, 8
	v_lshl_add_u64 v[70:71], v[70:71], 0, 8
	s_andn2_b64 s[2:3], s[2:3], exec
	s_or_b64 s[24:25], s[4:5], s[0:1]
                                        ; implicit-def: $sgpr28_sgpr29
	s_branch .LBB509_412
.LBB509_415:
	s_or_b64 exec, exec, s[20:21]
	v_cndmask_b32_e64 v3, v3, v67, s[22:23]
	v_cndmask_b32_e64 v2, v2, v66, s[22:23]
.LBB509_416:
	s_or_b64 exec, exec, s[18:19]
	v_mov_b64_e32 v[66:67], v[2:3]
.LBB509_417:
	s_or_b64 exec, exec, s[16:17]
	v_mov_b64_e32 v[2:3], v[66:67]
.LBB509_418:
	s_or_b64 exec, exec, s[14:15]
.LBB509_419:
	s_or_b64 exec, exec, s[10:11]
	v_and_b32_e32 v101, 0x3c0, v98
	v_or_b32_e32 v66, 32, v101
	v_min_u32_e32 v99, v31, v66
	v_add_u32_e32 v66, 32, v99
	v_min_u32_e32 v100, v31, v66
	v_and_b32_e32 v66, 56, v98
	v_min_u32_e32 v102, v31, v66
	v_sub_u32_e32 v66, v99, v101
	v_sub_u32_e32 v67, v100, v99
	v_sub_u32_e64 v103, v102, v67 clamp
	v_min_u32_e32 v112, v102, v66
	v_cmp_lt_u32_e64 s[0:1], v103, v112
	; wave barrier
	flat_store_dwordx4 v[64:65], v[20:23]
	flat_store_dwordx4 v[64:65], v[16:19] offset:16
	flat_store_dwordx4 v[64:65], v[12:15] offset:32
	;; [unrolled: 1-line block ×3, first 2 shown]
	; wave barrier
	s_and_saveexec_b64 s[10:11], s[0:1]
	s_cbranch_execz .LBB509_429
; %bb.420:
	v_lshlrev_b32_e32 v66, 3, v101
	v_mov_b32_e32 v67, 0
	v_lshl_add_u64 v[68:69], v[54:55], 0, v[66:67]
	v_lshlrev_b32_e32 v66, 3, v99
	v_lshl_add_u64 v[70:71], v[54:55], 0, v[66:67]
	v_lshlrev_b64 v[80:81], 3, v[6:7]
	s_mov_b64 s[14:15], 0
	s_branch .LBB509_423
.LBB509_421:                            ;   in Loop: Header=BB509_423 Depth=1
	s_or_b64 exec, exec, s[18:19]
	s_and_b64 s[0:1], s[20:21], exec
.LBB509_422:                            ;   in Loop: Header=BB509_423 Depth=1
	s_or_b64 exec, exec, s[16:17]
	v_add_u32_e32 v66, 1, v82
	v_cndmask_b32_e64 v112, v112, v82, s[0:1]
	v_cndmask_b32_e64 v103, v66, v103, s[0:1]
	v_cmp_ge_u32_e64 s[0:1], v103, v112
	s_or_b64 s[14:15], s[0:1], s[14:15]
	s_andn2_b64 exec, exec, s[14:15]
	s_cbranch_execz .LBB509_428
.LBB509_423:                            ; =>This Loop Header: Depth=1
                                        ;     Child Loop BB509_426 Depth 2
	v_add_u32_e32 v66, v112, v103
	v_lshrrev_b32_e32 v82, 1, v66
	s_mov_b64 s[0:1], 0
	s_and_saveexec_b64 s[16:17], vcc
	s_cbranch_execz .LBB509_422
; %bb.424:                              ;   in Loop: Header=BB509_423 Depth=1
	v_mov_b32_e32 v83, v67
	v_xad_u32 v66, v82, -1, v102
	v_lshl_add_u64 v[84:85], v[82:83], 3, v[68:69]
	v_lshl_add_u64 v[86:87], v[66:67], 3, v[70:71]
	flat_load_dwordx2 v[84:85], v[84:85]
	s_mov_b64 s[18:19], 0
	flat_load_dwordx2 v[86:87], v[86:87]
                                        ; implicit-def: $sgpr20_sgpr21
                                        ; implicit-def: $sgpr22_sgpr23
                                        ; implicit-def: $sgpr24_sgpr25
                                        ; implicit-def: $sgpr2_sgpr3
                                        ; implicit-def: $sgpr26_sgpr27
	s_waitcnt vmcnt(0) lgkmcnt(0)
	v_mul_lo_u32 v66, v80, v85
	v_mul_lo_u32 v83, v81, v84
	v_mad_u64_u32 v[84:85], s[0:1], v80, v84, v[8:9]
	v_mul_lo_u32 v96, v80, v87
	v_mul_lo_u32 v97, v81, v86
	v_mad_u64_u32 v[86:87], s[0:1], v80, v86, v[8:9]
	v_add3_u32 v85, v83, v85, v66
	v_add3_u32 v87, v97, v87, v96
	v_mov_b64_e32 v[96:97], v[6:7]
	s_branch .LBB509_426
.LBB509_425:                            ;   in Loop: Header=BB509_426 Depth=2
	s_or_b64 exec, exec, s[28:29]
	s_and_b64 s[0:1], exec, s[22:23]
	s_or_b64 s[18:19], s[0:1], s[18:19]
	s_andn2_b64 s[0:1], s[26:27], exec
	s_and_b64 s[4:5], s[24:25], exec
	s_or_b64 s[26:27], s[0:1], s[4:5]
	s_andn2_b64 s[0:1], s[20:21], exec
	s_and_b64 s[4:5], s[2:3], exec
	s_or_b64 s[20:21], s[0:1], s[4:5]
	s_andn2_b64 exec, exec, s[18:19]
	s_cbranch_execz .LBB509_421
.LBB509_426:                            ;   Parent Loop BB509_423 Depth=1
                                        ; =>  This Inner Loop Header: Depth=2
	flat_load_dwordx2 v[114:115], v[86:87]
	flat_load_dwordx2 v[116:117], v[84:85]
	s_andn2_b64 s[28:29], s[2:3], exec
	s_andn2_b64 s[24:25], s[24:25], exec
	s_or_b64 s[22:23], s[22:23], exec
	s_waitcnt vmcnt(0) lgkmcnt(0)
	v_cmp_le_i64_e64 s[2:3], v[114:115], v[116:117]
	v_cmp_lt_i64_e64 s[0:1], v[114:115], v[116:117]
	s_and_b64 s[2:3], s[2:3], s[26:27]
	s_or_b64 s[30:31], s[0:1], s[2:3]
	s_and_b64 s[0:1], s[30:31], exec
	v_cmp_eq_u64_e64 s[4:5], v[114:115], v[116:117]
	s_or_b64 s[2:3], s[28:29], s[0:1]
	s_and_saveexec_b64 s[28:29], s[4:5]
	s_cbranch_execz .LBB509_425
; %bb.427:                              ;   in Loop: Header=BB509_426 Depth=2
	v_lshl_add_u64 v[96:97], v[96:97], 0, -1
	v_cmp_eq_u64_e64 s[0:1], 0, v[96:97]
	s_andn2_b64 s[4:5], s[24:25], exec
	s_and_b64 s[24:25], s[30:31], exec
	s_or_b64 s[24:25], s[4:5], s[24:25]
	s_andn2_b64 s[4:5], s[22:23], exec
	s_and_b64 s[0:1], s[0:1], exec
	v_lshl_add_u64 v[84:85], v[84:85], 0, 8
	v_lshl_add_u64 v[86:87], v[86:87], 0, 8
	s_andn2_b64 s[2:3], s[2:3], exec
	s_or_b64 s[22:23], s[4:5], s[0:1]
                                        ; implicit-def: $sgpr26_sgpr27
	s_branch .LBB509_425
.LBB509_428:
	s_or_b64 exec, exec, s[14:15]
.LBB509_429:
	s_or_b64 exec, exec, s[10:11]
	v_add_u32_e32 v67, v99, v102
	v_add_u32_e32 v66, v103, v101
	v_sub_u32_e32 v68, v67, v103
	v_cmp_le_u32_e64 s[0:1], v66, v99
	v_cmp_le_u32_e64 s[2:3], v68, v100
	s_or_b64 s[0:1], s[0:1], s[2:3]
	s_and_saveexec_b64 s[10:11], s[0:1]
	s_cbranch_execz .LBB509_513
; %bb.430:
	v_cmp_ge_u32_e64 s[0:1], v66, v99
	v_cmp_lt_u32_e64 s[2:3], v66, v99
                                        ; implicit-def: $vgpr0_vgpr1
	s_and_saveexec_b64 s[4:5], s[2:3]
	s_cbranch_execz .LBB509_432
; %bb.431:
	v_mov_b32_e32 v67, 0
	v_lshl_add_u64 v[0:1], v[66:67], 3, v[54:55]
	flat_load_dwordx2 v[0:1], v[0:1]
.LBB509_432:
	s_or_b64 exec, exec, s[4:5]
	v_cmp_ge_u32_e64 s[14:15], v68, v100
	v_cmp_lt_u32_e64 s[2:3], v68, v100
                                        ; implicit-def: $vgpr2_vgpr3
	s_and_saveexec_b64 s[4:5], s[2:3]
	s_cbranch_execz .LBB509_434
; %bb.433:
	v_mov_b32_e32 v69, 0
	v_lshl_add_u64 v[2:3], v[68:69], 3, v[54:55]
	flat_load_dwordx2 v[2:3], v[2:3]
.LBB509_434:
	s_or_b64 exec, exec, s[4:5]
	s_or_b64 s[0:1], s[0:1], s[14:15]
	s_xor_b64 s[0:1], s[0:1], -1
	s_and_saveexec_b64 s[16:17], s[0:1]
	s_cbranch_execz .LBB509_442
; %bb.435:
	s_mov_b64 s[0:1], 0
	s_and_saveexec_b64 s[18:19], vcc
	s_cbranch_execz .LBB509_441
; %bb.436:
	s_waitcnt vmcnt(0) lgkmcnt(0)
	v_mul_lo_u32 v14, v1, v6
	v_mul_lo_u32 v15, v0, v7
	v_mad_u64_u32 v[12:13], s[0:1], v0, v6, 0
	v_add3_u32 v13, v13, v15, v14
	v_mul_lo_u32 v16, v3, v6
	v_mul_lo_u32 v17, v2, v7
	v_mad_u64_u32 v[14:15], s[0:1], v2, v6, 0
	v_add3_u32 v15, v15, v17, v16
	v_lshl_add_u64 v[12:13], v[12:13], 3, v[8:9]
	v_lshl_add_u64 v[14:15], v[14:15], 3, v[8:9]
	s_mov_b64 s[20:21], 0
	v_mov_b64_e32 v[16:17], v[6:7]
                                        ; implicit-def: $sgpr22_sgpr23
                                        ; implicit-def: $sgpr24_sgpr25
                                        ; implicit-def: $sgpr26_sgpr27
                                        ; implicit-def: $sgpr2_sgpr3
                                        ; implicit-def: $sgpr28_sgpr29
	s_branch .LBB509_438
.LBB509_437:                            ;   in Loop: Header=BB509_438 Depth=1
	s_or_b64 exec, exec, s[30:31]
	s_and_b64 s[0:1], exec, s[24:25]
	s_or_b64 s[20:21], s[0:1], s[20:21]
	s_andn2_b64 s[0:1], s[28:29], exec
	s_and_b64 s[4:5], s[26:27], exec
	s_or_b64 s[28:29], s[0:1], s[4:5]
	s_andn2_b64 s[0:1], s[22:23], exec
	s_and_b64 s[4:5], s[2:3], exec
	s_or_b64 s[22:23], s[0:1], s[4:5]
	s_andn2_b64 exec, exec, s[20:21]
	s_cbranch_execz .LBB509_440
.LBB509_438:                            ; =>This Inner Loop Header: Depth=1
	flat_load_dwordx2 v[18:19], v[14:15]
	flat_load_dwordx2 v[20:21], v[12:13]
	s_andn2_b64 s[30:31], s[2:3], exec
	s_andn2_b64 s[26:27], s[26:27], exec
	s_or_b64 s[24:25], s[24:25], exec
	s_waitcnt vmcnt(0) lgkmcnt(0)
	v_cmp_le_i64_e64 s[2:3], v[18:19], v[20:21]
	v_cmp_lt_i64_e64 s[0:1], v[18:19], v[20:21]
	s_and_b64 s[2:3], s[2:3], s[28:29]
	s_or_b64 s[34:35], s[0:1], s[2:3]
	s_and_b64 s[0:1], s[34:35], exec
	v_cmp_eq_u64_e64 s[4:5], v[18:19], v[20:21]
	s_or_b64 s[2:3], s[30:31], s[0:1]
	s_and_saveexec_b64 s[30:31], s[4:5]
	s_cbranch_execz .LBB509_437
; %bb.439:                              ;   in Loop: Header=BB509_438 Depth=1
	v_lshl_add_u64 v[16:17], v[16:17], 0, -1
	v_cmp_eq_u64_e64 s[0:1], 0, v[16:17]
	s_andn2_b64 s[4:5], s[26:27], exec
	s_and_b64 s[26:27], s[34:35], exec
	s_or_b64 s[26:27], s[4:5], s[26:27]
	s_andn2_b64 s[4:5], s[24:25], exec
	s_and_b64 s[0:1], s[0:1], exec
	v_lshl_add_u64 v[12:13], v[12:13], 0, 8
	v_lshl_add_u64 v[14:15], v[14:15], 0, 8
	s_andn2_b64 s[2:3], s[2:3], exec
	s_or_b64 s[24:25], s[4:5], s[0:1]
                                        ; implicit-def: $sgpr28_sgpr29
	s_branch .LBB509_437
.LBB509_440:
	s_or_b64 exec, exec, s[20:21]
	s_and_b64 s[0:1], s[22:23], exec
.LBB509_441:
	s_or_b64 exec, exec, s[18:19]
	s_xor_b64 s[0:1], s[0:1], -1
	s_andn2_b64 s[2:3], s[14:15], exec
	s_and_b64 s[0:1], s[0:1], exec
	s_or_b64 s[14:15], s[2:3], s[0:1]
.LBB509_442:
	s_or_b64 exec, exec, s[16:17]
	v_cndmask_b32_e64 v12, v68, v66, s[14:15]
	v_cndmask_b32_e64 v13, v100, v99, s[14:15]
	v_add_u32_e32 v16, 1, v12
	v_add_u32_e32 v12, -1, v13
	v_min_u32_e32 v12, v16, v12
	v_mov_b32_e32 v13, 0
	v_lshl_add_u64 v[14:15], v[12:13], 3, v[54:55]
	flat_load_dwordx2 v[14:15], v[14:15]
	v_cndmask_b32_e64 v23, v16, v68, s[14:15]
	s_mov_b64 s[16:17], -1
	v_cndmask_b32_e64 v66, v66, v16, s[14:15]
	v_cmp_lt_u32_e64 s[0:1], v23, v100
	s_mov_b64 s[18:19], -1
	s_waitcnt vmcnt(0) lgkmcnt(0)
	v_cndmask_b32_e64 v20, v15, v3, s[14:15]
	v_cndmask_b32_e64 v21, v14, v2, s[14:15]
	;; [unrolled: 1-line block ×4, first 2 shown]
	s_and_saveexec_b64 s[20:21], s[0:1]
	s_cbranch_execz .LBB509_452
; %bb.443:
	v_cmp_lt_u32_e64 s[0:1], v66, v99
	s_mov_b64 s[2:3], 0
	s_and_saveexec_b64 s[18:19], s[0:1]
	s_cbranch_execz .LBB509_451
; %bb.444:
	s_mov_b64 s[0:1], 0
	s_and_saveexec_b64 s[22:23], vcc
	s_cbranch_execz .LBB509_450
; %bb.445:
	v_mul_lo_u32 v12, v22, v6
	v_mul_lo_u32 v16, v68, v7
	v_mad_u64_u32 v[14:15], s[0:1], v68, v6, 0
	v_add3_u32 v15, v15, v16, v12
	v_mul_lo_u32 v12, v20, v6
	v_mul_lo_u32 v18, v21, v7
	v_mad_u64_u32 v[16:17], s[0:1], v21, v6, 0
	v_add3_u32 v17, v17, v18, v12
	v_lshl_add_u64 v[14:15], v[14:15], 3, v[8:9]
	v_lshl_add_u64 v[16:17], v[16:17], 3, v[8:9]
	s_mov_b64 s[24:25], 0
	v_mov_b64_e32 v[18:19], v[6:7]
                                        ; implicit-def: $sgpr26_sgpr27
                                        ; implicit-def: $sgpr28_sgpr29
                                        ; implicit-def: $sgpr30_sgpr31
                                        ; implicit-def: $sgpr2_sgpr3
                                        ; implicit-def: $sgpr34_sgpr35
	s_branch .LBB509_447
.LBB509_446:                            ;   in Loop: Header=BB509_447 Depth=1
	s_or_b64 exec, exec, s[36:37]
	s_and_b64 s[0:1], exec, s[28:29]
	s_or_b64 s[24:25], s[0:1], s[24:25]
	s_andn2_b64 s[0:1], s[34:35], exec
	s_and_b64 s[4:5], s[30:31], exec
	s_or_b64 s[34:35], s[0:1], s[4:5]
	s_andn2_b64 s[0:1], s[26:27], exec
	s_and_b64 s[4:5], s[2:3], exec
	s_or_b64 s[26:27], s[0:1], s[4:5]
	s_andn2_b64 exec, exec, s[24:25]
	s_cbranch_execz .LBB509_449
.LBB509_447:                            ; =>This Inner Loop Header: Depth=1
	flat_load_dwordx2 v[70:71], v[16:17]
	flat_load_dwordx2 v[80:81], v[14:15]
	s_andn2_b64 s[36:37], s[2:3], exec
	s_andn2_b64 s[30:31], s[30:31], exec
	s_or_b64 s[28:29], s[28:29], exec
	s_waitcnt vmcnt(0) lgkmcnt(0)
	v_cmp_le_i64_e64 s[2:3], v[70:71], v[80:81]
	v_cmp_lt_i64_e64 s[0:1], v[70:71], v[80:81]
	s_and_b64 s[2:3], s[2:3], s[34:35]
	s_or_b64 s[38:39], s[0:1], s[2:3]
	s_and_b64 s[0:1], s[38:39], exec
	v_cmp_eq_u64_e64 s[4:5], v[70:71], v[80:81]
	s_or_b64 s[2:3], s[36:37], s[0:1]
	s_and_saveexec_b64 s[36:37], s[4:5]
	s_cbranch_execz .LBB509_446
; %bb.448:                              ;   in Loop: Header=BB509_447 Depth=1
	v_lshl_add_u64 v[18:19], v[18:19], 0, -1
	v_cmp_eq_u64_e64 s[0:1], 0, v[18:19]
	s_andn2_b64 s[4:5], s[30:31], exec
	s_and_b64 s[30:31], s[38:39], exec
	s_or_b64 s[30:31], s[4:5], s[30:31]
	s_andn2_b64 s[4:5], s[28:29], exec
	s_and_b64 s[0:1], s[0:1], exec
	v_lshl_add_u64 v[14:15], v[14:15], 0, 8
	v_lshl_add_u64 v[16:17], v[16:17], 0, 8
	s_andn2_b64 s[2:3], s[2:3], exec
	s_or_b64 s[28:29], s[4:5], s[0:1]
                                        ; implicit-def: $sgpr34_sgpr35
	s_branch .LBB509_446
.LBB509_449:
	s_or_b64 exec, exec, s[24:25]
	s_and_b64 s[0:1], s[26:27], exec
.LBB509_450:
	s_or_b64 exec, exec, s[22:23]
	s_xor_b64 s[0:1], s[0:1], -1
	s_and_b64 s[2:3], s[0:1], exec
.LBB509_451:
	s_or_b64 exec, exec, s[18:19]
	s_orn2_b64 s[18:19], s[2:3], exec
.LBB509_452:
	s_or_b64 exec, exec, s[20:21]
	v_cndmask_b32_e64 v12, v23, v66, s[18:19]
	v_cndmask_b32_e64 v14, v100, v99, s[18:19]
	v_add_u32_e32 v15, 1, v12
	v_add_u32_e32 v12, -1, v14
	v_min_u32_e32 v12, v15, v12
	v_lshl_add_u64 v[12:13], v[12:13], 3, v[54:55]
	flat_load_dwordx2 v[12:13], v[12:13]
	v_cndmask_b32_e64 v18, v15, v23, s[18:19]
	v_cndmask_b32_e64 v19, v66, v15, s[18:19]
	v_cmp_lt_u32_e64 s[0:1], v18, v100
	s_waitcnt vmcnt(0) lgkmcnt(0)
	v_cndmask_b32_e64 v23, v13, v20, s[18:19]
	v_cndmask_b32_e64 v69, v12, v21, s[18:19]
	;; [unrolled: 1-line block ×4, first 2 shown]
	s_and_saveexec_b64 s[20:21], s[0:1]
	s_cbranch_execz .LBB509_462
; %bb.453:
	v_cmp_lt_u32_e64 s[0:1], v19, v99
	s_mov_b64 s[2:3], 0
	s_and_saveexec_b64 s[16:17], s[0:1]
	s_cbranch_execz .LBB509_461
; %bb.454:
	s_mov_b64 s[0:1], 0
	s_and_saveexec_b64 s[22:23], vcc
	s_cbranch_execz .LBB509_460
; %bb.455:
	v_mul_lo_u32 v14, v70, v6
	v_mul_lo_u32 v15, v71, v7
	v_mad_u64_u32 v[12:13], s[0:1], v71, v6, 0
	v_add3_u32 v13, v13, v15, v14
	v_mul_lo_u32 v16, v23, v6
	v_mul_lo_u32 v17, v69, v7
	v_mad_u64_u32 v[14:15], s[0:1], v69, v6, 0
	v_add3_u32 v15, v15, v17, v16
	v_lshl_add_u64 v[12:13], v[12:13], 3, v[8:9]
	v_lshl_add_u64 v[14:15], v[14:15], 3, v[8:9]
	s_mov_b64 s[24:25], 0
	v_mov_b64_e32 v[16:17], v[6:7]
                                        ; implicit-def: $sgpr26_sgpr27
                                        ; implicit-def: $sgpr28_sgpr29
                                        ; implicit-def: $sgpr30_sgpr31
                                        ; implicit-def: $sgpr2_sgpr3
                                        ; implicit-def: $sgpr34_sgpr35
	s_branch .LBB509_457
.LBB509_456:                            ;   in Loop: Header=BB509_457 Depth=1
	s_or_b64 exec, exec, s[36:37]
	s_and_b64 s[0:1], exec, s[28:29]
	s_or_b64 s[24:25], s[0:1], s[24:25]
	s_andn2_b64 s[0:1], s[34:35], exec
	s_and_b64 s[4:5], s[30:31], exec
	s_or_b64 s[34:35], s[0:1], s[4:5]
	s_andn2_b64 s[0:1], s[26:27], exec
	s_and_b64 s[4:5], s[2:3], exec
	s_or_b64 s[26:27], s[0:1], s[4:5]
	s_andn2_b64 exec, exec, s[24:25]
	s_cbranch_execz .LBB509_459
.LBB509_457:                            ; =>This Inner Loop Header: Depth=1
	flat_load_dwordx2 v[66:67], v[14:15]
	flat_load_dwordx2 v[80:81], v[12:13]
	s_andn2_b64 s[36:37], s[2:3], exec
	s_andn2_b64 s[30:31], s[30:31], exec
	s_or_b64 s[28:29], s[28:29], exec
	s_waitcnt vmcnt(0) lgkmcnt(0)
	v_cmp_le_i64_e64 s[2:3], v[66:67], v[80:81]
	v_cmp_lt_i64_e64 s[0:1], v[66:67], v[80:81]
	s_and_b64 s[2:3], s[2:3], s[34:35]
	s_or_b64 s[38:39], s[0:1], s[2:3]
	s_and_b64 s[0:1], s[38:39], exec
	v_cmp_eq_u64_e64 s[4:5], v[66:67], v[80:81]
	s_or_b64 s[2:3], s[36:37], s[0:1]
	s_and_saveexec_b64 s[36:37], s[4:5]
	s_cbranch_execz .LBB509_456
; %bb.458:                              ;   in Loop: Header=BB509_457 Depth=1
	v_lshl_add_u64 v[16:17], v[16:17], 0, -1
	v_cmp_eq_u64_e64 s[0:1], 0, v[16:17]
	s_andn2_b64 s[4:5], s[30:31], exec
	s_and_b64 s[30:31], s[38:39], exec
	s_or_b64 s[30:31], s[4:5], s[30:31]
	s_andn2_b64 s[4:5], s[28:29], exec
	s_and_b64 s[0:1], s[0:1], exec
	v_lshl_add_u64 v[12:13], v[12:13], 0, 8
	v_lshl_add_u64 v[14:15], v[14:15], 0, 8
	s_andn2_b64 s[2:3], s[2:3], exec
	s_or_b64 s[28:29], s[4:5], s[0:1]
                                        ; implicit-def: $sgpr34_sgpr35
	s_branch .LBB509_456
.LBB509_459:
	s_or_b64 exec, exec, s[24:25]
	s_and_b64 s[0:1], s[26:27], exec
.LBB509_460:
	s_or_b64 exec, exec, s[22:23]
	s_xor_b64 s[0:1], s[0:1], -1
	s_and_b64 s[2:3], s[0:1], exec
.LBB509_461:
	s_or_b64 exec, exec, s[16:17]
	s_orn2_b64 s[16:17], s[2:3], exec
.LBB509_462:
	s_or_b64 exec, exec, s[20:21]
	v_cndmask_b32_e64 v12, v18, v19, s[16:17]
	v_cndmask_b32_e64 v13, v100, v99, s[16:17]
	v_add_u32_e32 v16, 1, v12
	v_add_u32_e32 v12, -1, v13
	v_min_u32_e32 v12, v16, v12
	v_mov_b32_e32 v13, 0
	v_lshl_add_u64 v[14:15], v[12:13], 3, v[54:55]
	flat_load_dwordx2 v[14:15], v[14:15]
	v_cndmask_b32_e64 v66, v16, v18, s[16:17]
	s_mov_b64 s[20:21], -1
	v_cndmask_b32_e64 v67, v19, v16, s[16:17]
	v_cmp_lt_u32_e64 s[0:1], v66, v100
	s_mov_b64 s[22:23], -1
	s_waitcnt vmcnt(0) lgkmcnt(0)
	v_cndmask_b32_e64 v80, v15, v23, s[16:17]
	v_cndmask_b32_e64 v81, v14, v69, s[16:17]
	;; [unrolled: 1-line block ×4, first 2 shown]
	s_and_saveexec_b64 s[24:25], s[0:1]
	s_cbranch_execz .LBB509_472
; %bb.463:
	v_cmp_lt_u32_e64 s[0:1], v67, v99
	s_mov_b64 s[2:3], 0
	s_and_saveexec_b64 s[22:23], s[0:1]
	s_cbranch_execz .LBB509_471
; %bb.464:
	s_mov_b64 s[0:1], -1
	s_and_saveexec_b64 s[26:27], vcc
	s_cbranch_execz .LBB509_470
; %bb.465:
	v_mul_lo_u32 v12, v82, v6
	v_mul_lo_u32 v16, v83, v7
	v_mad_u64_u32 v[14:15], s[0:1], v83, v6, 0
	v_add3_u32 v15, v15, v16, v12
	v_mul_lo_u32 v12, v80, v6
	v_mul_lo_u32 v18, v81, v7
	v_mad_u64_u32 v[16:17], s[0:1], v81, v6, 0
	v_add3_u32 v17, v17, v18, v12
	v_lshl_add_u64 v[14:15], v[14:15], 3, v[8:9]
	v_lshl_add_u64 v[16:17], v[16:17], 3, v[8:9]
	s_mov_b64 s[28:29], 0
	v_mov_b64_e32 v[18:19], v[6:7]
                                        ; implicit-def: $sgpr30_sgpr31
                                        ; implicit-def: $sgpr34_sgpr35
                                        ; implicit-def: $sgpr2_sgpr3
                                        ; implicit-def: $sgpr36_sgpr37
                                        ; implicit-def: $sgpr38_sgpr39
	s_branch .LBB509_467
.LBB509_466:                            ;   in Loop: Header=BB509_467 Depth=1
	s_or_b64 exec, exec, s[40:41]
	s_and_b64 s[0:1], exec, s[34:35]
	s_or_b64 s[28:29], s[0:1], s[28:29]
	s_andn2_b64 s[0:1], s[38:39], exec
	s_and_b64 s[4:5], s[36:37], exec
	s_or_b64 s[38:39], s[0:1], s[4:5]
	s_andn2_b64 s[0:1], s[30:31], exec
	s_and_b64 s[4:5], s[2:3], exec
	s_or_b64 s[30:31], s[0:1], s[4:5]
	s_andn2_b64 exec, exec, s[28:29]
	s_cbranch_execz .LBB509_469
.LBB509_467:                            ; =>This Inner Loop Header: Depth=1
	flat_load_dwordx2 v[84:85], v[16:17]
	flat_load_dwordx2 v[86:87], v[14:15]
	s_andn2_b64 s[40:41], s[2:3], exec
	s_andn2_b64 s[36:37], s[36:37], exec
	s_or_b64 s[34:35], s[34:35], exec
	s_waitcnt vmcnt(0) lgkmcnt(0)
	v_cmp_le_i64_e64 s[2:3], v[84:85], v[86:87]
	v_cmp_lt_i64_e64 s[0:1], v[84:85], v[86:87]
	s_and_b64 s[2:3], s[2:3], s[38:39]
	s_or_b64 s[42:43], s[0:1], s[2:3]
	s_and_b64 s[0:1], s[42:43], exec
	v_cmp_eq_u64_e64 s[4:5], v[84:85], v[86:87]
	s_or_b64 s[2:3], s[40:41], s[0:1]
	s_and_saveexec_b64 s[40:41], s[4:5]
	s_cbranch_execz .LBB509_466
; %bb.468:                              ;   in Loop: Header=BB509_467 Depth=1
	v_lshl_add_u64 v[18:19], v[18:19], 0, -1
	v_cmp_eq_u64_e64 s[0:1], 0, v[18:19]
	s_andn2_b64 s[4:5], s[36:37], exec
	s_and_b64 s[36:37], s[42:43], exec
	s_or_b64 s[36:37], s[4:5], s[36:37]
	s_andn2_b64 s[4:5], s[34:35], exec
	s_and_b64 s[0:1], s[0:1], exec
	v_lshl_add_u64 v[14:15], v[14:15], 0, 8
	v_lshl_add_u64 v[16:17], v[16:17], 0, 8
	s_andn2_b64 s[2:3], s[2:3], exec
	s_or_b64 s[34:35], s[4:5], s[0:1]
                                        ; implicit-def: $sgpr38_sgpr39
	s_branch .LBB509_466
.LBB509_469:
	s_or_b64 exec, exec, s[28:29]
	s_xor_b64 s[0:1], s[30:31], -1
	s_orn2_b64 s[0:1], s[0:1], exec
.LBB509_470:
	s_or_b64 exec, exec, s[26:27]
	s_and_b64 s[2:3], s[0:1], exec
.LBB509_471:
	s_or_b64 exec, exec, s[22:23]
	s_orn2_b64 s[22:23], s[2:3], exec
.LBB509_472:
	s_or_b64 exec, exec, s[24:25]
	v_cndmask_b32_e64 v12, v66, v67, s[22:23]
	v_cndmask_b32_e64 v14, v100, v99, s[22:23]
	v_add_u32_e32 v15, 1, v12
	v_add_u32_e32 v12, -1, v14
	v_min_u32_e32 v12, v15, v12
	v_lshl_add_u64 v[12:13], v[12:13], 3, v[54:55]
	flat_load_dwordx2 v[12:13], v[12:13]
	v_cndmask_b32_e64 v18, v15, v66, s[22:23]
	v_cndmask_b32_e64 v19, v67, v15, s[22:23]
	v_cmp_lt_u32_e64 s[0:1], v18, v100
	s_waitcnt vmcnt(0) lgkmcnt(0)
	v_cndmask_b32_e64 v84, v13, v80, s[22:23]
	v_cndmask_b32_e64 v85, v12, v81, s[22:23]
	;; [unrolled: 1-line block ×4, first 2 shown]
	s_and_saveexec_b64 s[24:25], s[0:1]
	s_cbranch_execz .LBB509_482
; %bb.473:
	v_cmp_lt_u32_e64 s[0:1], v19, v99
	s_mov_b64 s[2:3], 0
	s_and_saveexec_b64 s[20:21], s[0:1]
	s_cbranch_execz .LBB509_481
; %bb.474:
	s_mov_b64 s[0:1], -1
	s_and_saveexec_b64 s[26:27], vcc
	s_cbranch_execz .LBB509_480
; %bb.475:
	v_mul_lo_u32 v14, v86, v6
	v_mul_lo_u32 v15, v87, v7
	v_mad_u64_u32 v[12:13], s[0:1], v87, v6, 0
	v_add3_u32 v13, v13, v15, v14
	v_mul_lo_u32 v16, v84, v6
	v_mul_lo_u32 v17, v85, v7
	v_mad_u64_u32 v[14:15], s[0:1], v85, v6, 0
	v_add3_u32 v15, v15, v17, v16
	v_lshl_add_u64 v[12:13], v[12:13], 3, v[8:9]
	v_lshl_add_u64 v[14:15], v[14:15], 3, v[8:9]
	s_mov_b64 s[28:29], 0
	v_mov_b64_e32 v[16:17], v[6:7]
                                        ; implicit-def: $sgpr30_sgpr31
                                        ; implicit-def: $sgpr34_sgpr35
                                        ; implicit-def: $sgpr2_sgpr3
                                        ; implicit-def: $sgpr36_sgpr37
                                        ; implicit-def: $sgpr38_sgpr39
	s_branch .LBB509_477
.LBB509_476:                            ;   in Loop: Header=BB509_477 Depth=1
	s_or_b64 exec, exec, s[40:41]
	s_and_b64 s[0:1], exec, s[34:35]
	s_or_b64 s[28:29], s[0:1], s[28:29]
	s_andn2_b64 s[0:1], s[38:39], exec
	s_and_b64 s[4:5], s[36:37], exec
	s_or_b64 s[38:39], s[0:1], s[4:5]
	s_andn2_b64 s[0:1], s[30:31], exec
	s_and_b64 s[4:5], s[2:3], exec
	s_or_b64 s[30:31], s[0:1], s[4:5]
	s_andn2_b64 exec, exec, s[28:29]
	s_cbranch_execz .LBB509_479
.LBB509_477:                            ; =>This Inner Loop Header: Depth=1
	flat_load_dwordx2 v[66:67], v[14:15]
	flat_load_dwordx2 v[96:97], v[12:13]
	s_andn2_b64 s[40:41], s[2:3], exec
	s_andn2_b64 s[36:37], s[36:37], exec
	s_or_b64 s[34:35], s[34:35], exec
	s_waitcnt vmcnt(0) lgkmcnt(0)
	v_cmp_le_i64_e64 s[2:3], v[66:67], v[96:97]
	v_cmp_lt_i64_e64 s[0:1], v[66:67], v[96:97]
	s_and_b64 s[2:3], s[2:3], s[38:39]
	s_or_b64 s[42:43], s[0:1], s[2:3]
	s_and_b64 s[0:1], s[42:43], exec
	v_cmp_eq_u64_e64 s[4:5], v[66:67], v[96:97]
	s_or_b64 s[2:3], s[40:41], s[0:1]
	s_and_saveexec_b64 s[40:41], s[4:5]
	s_cbranch_execz .LBB509_476
; %bb.478:                              ;   in Loop: Header=BB509_477 Depth=1
	v_lshl_add_u64 v[16:17], v[16:17], 0, -1
	v_cmp_eq_u64_e64 s[0:1], 0, v[16:17]
	s_andn2_b64 s[4:5], s[36:37], exec
	s_and_b64 s[36:37], s[42:43], exec
	s_or_b64 s[36:37], s[4:5], s[36:37]
	s_andn2_b64 s[4:5], s[34:35], exec
	s_and_b64 s[0:1], s[0:1], exec
	v_lshl_add_u64 v[12:13], v[12:13], 0, 8
	v_lshl_add_u64 v[14:15], v[14:15], 0, 8
	s_andn2_b64 s[2:3], s[2:3], exec
	s_or_b64 s[34:35], s[4:5], s[0:1]
                                        ; implicit-def: $sgpr38_sgpr39
	s_branch .LBB509_476
.LBB509_479:
	s_or_b64 exec, exec, s[28:29]
	s_xor_b64 s[0:1], s[30:31], -1
	s_orn2_b64 s[0:1], s[0:1], exec
.LBB509_480:
	s_or_b64 exec, exec, s[26:27]
	s_and_b64 s[2:3], s[0:1], exec
.LBB509_481:
	s_or_b64 exec, exec, s[20:21]
	s_orn2_b64 s[20:21], s[2:3], exec
.LBB509_482:
	s_or_b64 exec, exec, s[24:25]
	v_cndmask_b32_e64 v12, v18, v19, s[20:21]
	v_cndmask_b32_e64 v13, v100, v99, s[20:21]
	v_add_u32_e32 v16, 1, v12
	v_add_u32_e32 v12, -1, v13
	v_min_u32_e32 v12, v16, v12
	v_mov_b32_e32 v13, 0
	v_lshl_add_u64 v[14:15], v[12:13], 3, v[54:55]
	flat_load_dwordx2 v[14:15], v[14:15]
	v_cndmask_b32_e64 v66, v16, v18, s[20:21]
	s_mov_b64 s[24:25], -1
	v_cndmask_b32_e64 v67, v19, v16, s[20:21]
	v_cmp_lt_u32_e64 s[0:1], v66, v100
	s_mov_b64 s[26:27], -1
	s_waitcnt vmcnt(0) lgkmcnt(0)
	v_cndmask_b32_e64 v96, v15, v84, s[20:21]
	v_cndmask_b32_e64 v97, v14, v85, s[20:21]
	;; [unrolled: 1-line block ×4, first 2 shown]
	s_and_saveexec_b64 s[28:29], s[0:1]
	s_cbranch_execz .LBB509_492
; %bb.483:
	v_cmp_lt_u32_e64 s[0:1], v67, v99
	s_mov_b64 s[2:3], 0
	s_and_saveexec_b64 s[26:27], s[0:1]
	s_cbranch_execz .LBB509_491
; %bb.484:
	s_mov_b64 s[0:1], -1
	s_and_saveexec_b64 s[30:31], vcc
	s_cbranch_execz .LBB509_490
; %bb.485:
	v_mul_lo_u32 v12, v101, v6
	v_mul_lo_u32 v16, v102, v7
	v_mad_u64_u32 v[14:15], s[0:1], v102, v6, 0
	v_add3_u32 v15, v15, v16, v12
	v_mul_lo_u32 v12, v96, v6
	v_mul_lo_u32 v18, v97, v7
	v_mad_u64_u32 v[16:17], s[0:1], v97, v6, 0
	v_add3_u32 v17, v17, v18, v12
	v_lshl_add_u64 v[14:15], v[14:15], 3, v[8:9]
	v_lshl_add_u64 v[16:17], v[16:17], 3, v[8:9]
	s_mov_b64 s[34:35], 0
	v_mov_b64_e32 v[18:19], v[6:7]
                                        ; implicit-def: $sgpr36_sgpr37
                                        ; implicit-def: $sgpr38_sgpr39
                                        ; implicit-def: $sgpr2_sgpr3
                                        ; implicit-def: $sgpr40_sgpr41
                                        ; implicit-def: $sgpr42_sgpr43
	s_branch .LBB509_487
.LBB509_486:                            ;   in Loop: Header=BB509_487 Depth=1
	s_or_b64 exec, exec, s[44:45]
	s_and_b64 s[0:1], exec, s[38:39]
	s_or_b64 s[34:35], s[0:1], s[34:35]
	s_andn2_b64 s[0:1], s[42:43], exec
	s_and_b64 s[4:5], s[40:41], exec
	s_or_b64 s[42:43], s[0:1], s[4:5]
	s_andn2_b64 s[0:1], s[36:37], exec
	s_and_b64 s[4:5], s[2:3], exec
	s_or_b64 s[36:37], s[0:1], s[4:5]
	s_andn2_b64 exec, exec, s[34:35]
	s_cbranch_execz .LBB509_489
.LBB509_487:                            ; =>This Inner Loop Header: Depth=1
	flat_load_dwordx2 v[112:113], v[16:17]
	flat_load_dwordx2 v[114:115], v[14:15]
	s_andn2_b64 s[44:45], s[2:3], exec
	s_andn2_b64 s[40:41], s[40:41], exec
	s_or_b64 s[38:39], s[38:39], exec
	s_waitcnt vmcnt(0) lgkmcnt(0)
	v_cmp_le_i64_e64 s[2:3], v[112:113], v[114:115]
	v_cmp_lt_i64_e64 s[0:1], v[112:113], v[114:115]
	s_and_b64 s[2:3], s[2:3], s[42:43]
	s_or_b64 s[46:47], s[0:1], s[2:3]
	s_and_b64 s[0:1], s[46:47], exec
	v_cmp_eq_u64_e64 s[4:5], v[112:113], v[114:115]
	s_or_b64 s[2:3], s[44:45], s[0:1]
	s_and_saveexec_b64 s[44:45], s[4:5]
	s_cbranch_execz .LBB509_486
; %bb.488:                              ;   in Loop: Header=BB509_487 Depth=1
	v_lshl_add_u64 v[18:19], v[18:19], 0, -1
	v_cmp_eq_u64_e64 s[0:1], 0, v[18:19]
	s_andn2_b64 s[4:5], s[40:41], exec
	s_and_b64 s[40:41], s[46:47], exec
	s_or_b64 s[40:41], s[4:5], s[40:41]
	s_andn2_b64 s[4:5], s[38:39], exec
	s_and_b64 s[0:1], s[0:1], exec
	v_lshl_add_u64 v[14:15], v[14:15], 0, 8
	v_lshl_add_u64 v[16:17], v[16:17], 0, 8
	s_andn2_b64 s[2:3], s[2:3], exec
	s_or_b64 s[38:39], s[4:5], s[0:1]
                                        ; implicit-def: $sgpr42_sgpr43
	s_branch .LBB509_486
.LBB509_489:
	s_or_b64 exec, exec, s[34:35]
	s_xor_b64 s[0:1], s[36:37], -1
	s_orn2_b64 s[0:1], s[0:1], exec
.LBB509_490:
	s_or_b64 exec, exec, s[30:31]
	s_and_b64 s[2:3], s[0:1], exec
.LBB509_491:
	s_or_b64 exec, exec, s[26:27]
	s_orn2_b64 s[26:27], s[2:3], exec
.LBB509_492:
	s_or_b64 exec, exec, s[28:29]
	v_cndmask_b32_e64 v12, v66, v67, s[26:27]
	v_cndmask_b32_e64 v14, v100, v99, s[26:27]
	v_add_u32_e32 v15, 1, v12
	v_add_u32_e32 v12, -1, v14
	v_min_u32_e32 v12, v15, v12
	v_lshl_add_u64 v[12:13], v[12:13], 3, v[54:55]
	flat_load_dwordx2 v[12:13], v[12:13]
	v_cndmask_b32_e64 v114, v15, v66, s[26:27]
	v_cndmask_b32_e64 v103, v67, v15, s[26:27]
	v_cmp_lt_u32_e64 s[0:1], v114, v100
	s_waitcnt vmcnt(0) lgkmcnt(0)
	v_cndmask_b32_e64 v112, v13, v96, s[26:27]
	v_cndmask_b32_e64 v113, v12, v97, s[26:27]
	v_cndmask_b32_e64 v115, v101, v13, s[26:27]
	v_cndmask_b32_e64 v116, v102, v12, s[26:27]
	s_and_saveexec_b64 s[28:29], s[0:1]
	s_cbranch_execz .LBB509_502
; %bb.493:
	v_cmp_lt_u32_e64 s[0:1], v103, v99
	s_mov_b64 s[2:3], 0
	s_and_saveexec_b64 s[24:25], s[0:1]
	s_cbranch_execz .LBB509_501
; %bb.494:
	s_mov_b64 s[0:1], -1
	s_and_saveexec_b64 s[30:31], vcc
	s_cbranch_execz .LBB509_500
; %bb.495:
	v_mul_lo_u32 v14, v115, v6
	v_mul_lo_u32 v15, v116, v7
	v_mad_u64_u32 v[12:13], s[0:1], v116, v6, 0
	v_add3_u32 v13, v13, v15, v14
	v_mul_lo_u32 v16, v112, v6
	v_mul_lo_u32 v17, v113, v7
	v_mad_u64_u32 v[14:15], s[0:1], v113, v6, 0
	v_add3_u32 v15, v15, v17, v16
	v_lshl_add_u64 v[12:13], v[12:13], 3, v[8:9]
	v_lshl_add_u64 v[14:15], v[14:15], 3, v[8:9]
	s_mov_b64 s[34:35], 0
	v_mov_b64_e32 v[16:17], v[6:7]
                                        ; implicit-def: $sgpr36_sgpr37
                                        ; implicit-def: $sgpr38_sgpr39
                                        ; implicit-def: $sgpr2_sgpr3
                                        ; implicit-def: $sgpr40_sgpr41
                                        ; implicit-def: $sgpr42_sgpr43
	s_branch .LBB509_497
.LBB509_496:                            ;   in Loop: Header=BB509_497 Depth=1
	s_or_b64 exec, exec, s[44:45]
	s_and_b64 s[0:1], exec, s[38:39]
	s_or_b64 s[34:35], s[0:1], s[34:35]
	s_andn2_b64 s[0:1], s[42:43], exec
	s_and_b64 s[4:5], s[40:41], exec
	s_or_b64 s[42:43], s[0:1], s[4:5]
	s_andn2_b64 s[0:1], s[36:37], exec
	s_and_b64 s[4:5], s[2:3], exec
	s_or_b64 s[36:37], s[0:1], s[4:5]
	s_andn2_b64 exec, exec, s[34:35]
	s_cbranch_execz .LBB509_499
.LBB509_497:                            ; =>This Inner Loop Header: Depth=1
	flat_load_dwordx2 v[18:19], v[14:15]
	flat_load_dwordx2 v[66:67], v[12:13]
	s_andn2_b64 s[44:45], s[2:3], exec
	s_andn2_b64 s[40:41], s[40:41], exec
	s_or_b64 s[38:39], s[38:39], exec
	s_waitcnt vmcnt(0) lgkmcnt(0)
	v_cmp_le_i64_e64 s[2:3], v[18:19], v[66:67]
	v_cmp_lt_i64_e64 s[0:1], v[18:19], v[66:67]
	s_and_b64 s[2:3], s[2:3], s[42:43]
	s_or_b64 s[46:47], s[0:1], s[2:3]
	s_and_b64 s[0:1], s[46:47], exec
	v_cmp_eq_u64_e64 s[4:5], v[18:19], v[66:67]
	s_or_b64 s[2:3], s[44:45], s[0:1]
	s_and_saveexec_b64 s[44:45], s[4:5]
	s_cbranch_execz .LBB509_496
; %bb.498:                              ;   in Loop: Header=BB509_497 Depth=1
	v_lshl_add_u64 v[16:17], v[16:17], 0, -1
	v_cmp_eq_u64_e64 s[0:1], 0, v[16:17]
	s_andn2_b64 s[4:5], s[40:41], exec
	s_and_b64 s[40:41], s[46:47], exec
	s_or_b64 s[40:41], s[4:5], s[40:41]
	s_andn2_b64 s[4:5], s[38:39], exec
	s_and_b64 s[0:1], s[0:1], exec
	v_lshl_add_u64 v[12:13], v[12:13], 0, 8
	v_lshl_add_u64 v[14:15], v[14:15], 0, 8
	s_andn2_b64 s[2:3], s[2:3], exec
	s_or_b64 s[38:39], s[4:5], s[0:1]
                                        ; implicit-def: $sgpr42_sgpr43
	s_branch .LBB509_496
.LBB509_499:
	s_or_b64 exec, exec, s[34:35]
	s_xor_b64 s[0:1], s[36:37], -1
	s_orn2_b64 s[0:1], s[0:1], exec
.LBB509_500:
	s_or_b64 exec, exec, s[30:31]
	s_and_b64 s[2:3], s[0:1], exec
.LBB509_501:
	s_or_b64 exec, exec, s[24:25]
	s_orn2_b64 s[24:25], s[2:3], exec
.LBB509_502:
	s_or_b64 exec, exec, s[28:29]
	v_cndmask_b32_e64 v12, v114, v103, s[24:25]
	v_cndmask_b32_e64 v13, v100, v99, s[24:25]
	v_add_u32_e32 v117, 1, v12
	v_add_u32_e32 v12, -1, v13
	v_min_u32_e32 v12, v117, v12
	v_mov_b32_e32 v13, 0
	v_lshl_add_u64 v[12:13], v[12:13], 3, v[54:55]
	flat_load_dwordx2 v[66:67], v[12:13]
	v_cndmask_b32_e64 v17, v23, v70, s[16:17]
	v_cndmask_b32_e64 v23, v20, v22, s[18:19]
	v_cndmask_b32_e64 v22, v21, v68, s[18:19]
	v_cndmask_b32_e64 v68, v117, v114, s[24:25]
	v_cndmask_b32_e64 v15, v96, v101, s[26:27]
	v_cndmask_b32_e64 v14, v97, v102, s[26:27]
	v_cndmask_b32_e64 v13, v84, v86, s[20:21]
	v_cndmask_b32_e64 v12, v85, v87, s[20:21]
	v_cndmask_b32_e64 v19, v80, v82, s[22:23]
	v_cndmask_b32_e64 v18, v81, v83, s[22:23]
	v_cndmask_b32_e64 v16, v69, v71, s[16:17]
	v_cndmask_b32_e64 v21, v3, v1, s[14:15]
	v_cndmask_b32_e64 v20, v2, v0, s[14:15]
	v_cndmask_b32_e64 v1, v112, v115, s[24:25]
	v_cndmask_b32_e64 v0, v113, v116, s[24:25]
	v_cmp_lt_u32_e64 s[0:1], v68, v100
	s_waitcnt vmcnt(0) lgkmcnt(0)
	v_cndmask_b32_e64 v3, v115, v67, s[24:25]
	v_cndmask_b32_e64 v2, v116, v66, s[24:25]
	s_and_saveexec_b64 s[14:15], s[0:1]
	s_cbranch_execz .LBB509_512
; %bb.503:
	v_cndmask_b32_e64 v68, v103, v117, s[24:25]
	v_cndmask_b32_e64 v67, v67, v112, s[24:25]
	;; [unrolled: 1-line block ×3, first 2 shown]
	v_cmp_lt_u32_e64 s[0:1], v68, v99
	s_and_saveexec_b64 s[16:17], s[0:1]
	s_cbranch_execz .LBB509_511
; %bb.504:
	s_and_saveexec_b64 s[18:19], vcc
	s_cbranch_execz .LBB509_510
; %bb.505:
	v_mul_lo_u32 v70, v3, v6
	v_mul_lo_u32 v71, v2, v7
	v_mad_u64_u32 v[68:69], s[0:1], v2, v6, 0
	v_add3_u32 v69, v69, v71, v70
	v_mul_lo_u32 v80, v67, v6
	v_mul_lo_u32 v81, v66, v7
	v_mad_u64_u32 v[70:71], s[0:1], v66, v6, 0
	v_add3_u32 v71, v71, v81, v80
	v_lshl_add_u64 v[68:69], v[68:69], 3, v[8:9]
	v_lshl_add_u64 v[70:71], v[70:71], 3, v[8:9]
	s_mov_b64 s[20:21], 0
	v_mov_b64_e32 v[80:81], v[6:7]
                                        ; implicit-def: $sgpr22_sgpr23
                                        ; implicit-def: $sgpr24_sgpr25
                                        ; implicit-def: $sgpr2_sgpr3
                                        ; implicit-def: $sgpr26_sgpr27
                                        ; implicit-def: $sgpr28_sgpr29
	s_branch .LBB509_507
.LBB509_506:                            ;   in Loop: Header=BB509_507 Depth=1
	s_or_b64 exec, exec, s[30:31]
	s_and_b64 s[0:1], exec, s[24:25]
	s_or_b64 s[20:21], s[0:1], s[20:21]
	s_andn2_b64 s[0:1], s[28:29], exec
	s_and_b64 s[4:5], s[26:27], exec
	s_or_b64 s[28:29], s[0:1], s[4:5]
	s_andn2_b64 s[0:1], s[22:23], exec
	s_and_b64 s[4:5], s[2:3], exec
	s_or_b64 s[22:23], s[0:1], s[4:5]
	s_andn2_b64 exec, exec, s[20:21]
	s_cbranch_execz .LBB509_509
.LBB509_507:                            ; =>This Inner Loop Header: Depth=1
	flat_load_dwordx2 v[82:83], v[70:71]
	flat_load_dwordx2 v[84:85], v[68:69]
	s_andn2_b64 s[30:31], s[2:3], exec
	s_andn2_b64 s[26:27], s[26:27], exec
	s_or_b64 s[24:25], s[24:25], exec
	s_waitcnt vmcnt(0) lgkmcnt(0)
	v_cmp_le_i64_e64 s[2:3], v[82:83], v[84:85]
	v_cmp_lt_i64_e64 s[0:1], v[82:83], v[84:85]
	s_and_b64 s[2:3], s[2:3], s[28:29]
	s_or_b64 s[34:35], s[0:1], s[2:3]
	s_and_b64 s[0:1], s[34:35], exec
	v_cmp_eq_u64_e64 s[4:5], v[82:83], v[84:85]
	s_or_b64 s[2:3], s[30:31], s[0:1]
	s_and_saveexec_b64 s[30:31], s[4:5]
	s_cbranch_execz .LBB509_506
; %bb.508:                              ;   in Loop: Header=BB509_507 Depth=1
	v_lshl_add_u64 v[80:81], v[80:81], 0, -1
	v_cmp_eq_u64_e64 s[0:1], 0, v[80:81]
	s_andn2_b64 s[4:5], s[26:27], exec
	s_and_b64 s[26:27], s[34:35], exec
	s_or_b64 s[26:27], s[4:5], s[26:27]
	s_andn2_b64 s[4:5], s[24:25], exec
	s_and_b64 s[0:1], s[0:1], exec
	v_lshl_add_u64 v[68:69], v[68:69], 0, 8
	v_lshl_add_u64 v[70:71], v[70:71], 0, 8
	s_andn2_b64 s[2:3], s[2:3], exec
	s_or_b64 s[24:25], s[4:5], s[0:1]
                                        ; implicit-def: $sgpr28_sgpr29
	s_branch .LBB509_506
.LBB509_509:
	s_or_b64 exec, exec, s[20:21]
	v_cndmask_b32_e64 v3, v3, v67, s[22:23]
	v_cndmask_b32_e64 v2, v2, v66, s[22:23]
.LBB509_510:
	s_or_b64 exec, exec, s[18:19]
	v_mov_b64_e32 v[66:67], v[2:3]
.LBB509_511:
	s_or_b64 exec, exec, s[16:17]
	v_mov_b64_e32 v[2:3], v[66:67]
.LBB509_512:
	s_or_b64 exec, exec, s[14:15]
.LBB509_513:
	s_or_b64 exec, exec, s[10:11]
	v_and_b32_e32 v99, 0x380, v98
	; wave barrier
	flat_store_dwordx4 v[64:65], v[20:23]
	flat_store_dwordx4 v[64:65], v[16:19] offset:16
	flat_store_dwordx4 v[64:65], v[12:15] offset:32
	;; [unrolled: 1-line block ×3, first 2 shown]
	v_or_b32_e32 v64, 64, v99
	v_min_u32_e32 v96, v31, v64
	v_add_u32_e32 v64, 64, v96
	v_min_u32_e32 v97, v31, v64
	v_and_b32_e32 v64, 0x78, v98
	v_min_u32_e32 v31, v31, v64
	v_sub_u32_e32 v64, v96, v99
	v_sub_u32_e32 v65, v97, v96
	v_sub_u32_e64 v98, v31, v65 clamp
	v_min_u32_e32 v100, v31, v64
	v_cmp_lt_u32_e64 s[0:1], v98, v100
	; wave barrier
	s_and_saveexec_b64 s[10:11], s[0:1]
	s_cbranch_execz .LBB509_523
; %bb.514:
	v_lshlrev_b32_e32 v64, 3, v99
	v_mov_b32_e32 v65, 0
	v_lshl_add_u64 v[66:67], v[54:55], 0, v[64:65]
	v_lshlrev_b32_e32 v64, 3, v96
	v_lshl_add_u64 v[68:69], v[54:55], 0, v[64:65]
	v_lshlrev_b64 v[70:71], 3, v[6:7]
	s_mov_b64 s[14:15], 0
	s_branch .LBB509_517
.LBB509_515:                            ;   in Loop: Header=BB509_517 Depth=1
	s_or_b64 exec, exec, s[18:19]
	s_and_b64 s[0:1], s[20:21], exec
.LBB509_516:                            ;   in Loop: Header=BB509_517 Depth=1
	s_or_b64 exec, exec, s[16:17]
	v_add_u32_e32 v64, 1, v80
	v_cndmask_b32_e64 v100, v100, v80, s[0:1]
	v_cndmask_b32_e64 v98, v64, v98, s[0:1]
	v_cmp_ge_u32_e64 s[0:1], v98, v100
	s_or_b64 s[14:15], s[0:1], s[14:15]
	s_andn2_b64 exec, exec, s[14:15]
	s_cbranch_execz .LBB509_522
.LBB509_517:                            ; =>This Loop Header: Depth=1
                                        ;     Child Loop BB509_520 Depth 2
	v_add_u32_e32 v64, v100, v98
	v_lshrrev_b32_e32 v80, 1, v64
	s_mov_b64 s[0:1], 0
	s_and_saveexec_b64 s[16:17], vcc
	s_cbranch_execz .LBB509_516
; %bb.518:                              ;   in Loop: Header=BB509_517 Depth=1
	v_mov_b32_e32 v81, v65
	v_xad_u32 v64, v80, -1, v31
	v_lshl_add_u64 v[82:83], v[80:81], 3, v[66:67]
	v_lshl_add_u64 v[84:85], v[64:65], 3, v[68:69]
	flat_load_dwordx2 v[82:83], v[82:83]
	s_mov_b64 s[18:19], 0
	flat_load_dwordx2 v[84:85], v[84:85]
                                        ; implicit-def: $sgpr20_sgpr21
                                        ; implicit-def: $sgpr22_sgpr23
                                        ; implicit-def: $sgpr24_sgpr25
                                        ; implicit-def: $sgpr2_sgpr3
                                        ; implicit-def: $sgpr26_sgpr27
	s_waitcnt vmcnt(0) lgkmcnt(0)
	v_mul_lo_u32 v64, v70, v83
	v_mul_lo_u32 v81, v71, v82
	v_mad_u64_u32 v[82:83], s[0:1], v70, v82, v[8:9]
	v_mul_lo_u32 v86, v70, v85
	v_mul_lo_u32 v87, v71, v84
	v_mad_u64_u32 v[84:85], s[0:1], v70, v84, v[8:9]
	v_add3_u32 v83, v81, v83, v64
	v_add3_u32 v85, v87, v85, v86
	v_mov_b64_e32 v[86:87], v[6:7]
	s_branch .LBB509_520
.LBB509_519:                            ;   in Loop: Header=BB509_520 Depth=2
	s_or_b64 exec, exec, s[28:29]
	s_and_b64 s[0:1], exec, s[22:23]
	s_or_b64 s[18:19], s[0:1], s[18:19]
	s_andn2_b64 s[0:1], s[26:27], exec
	s_and_b64 s[4:5], s[24:25], exec
	s_or_b64 s[26:27], s[0:1], s[4:5]
	s_andn2_b64 s[0:1], s[20:21], exec
	s_and_b64 s[4:5], s[2:3], exec
	s_or_b64 s[20:21], s[0:1], s[4:5]
	s_andn2_b64 exec, exec, s[18:19]
	s_cbranch_execz .LBB509_515
.LBB509_520:                            ;   Parent Loop BB509_517 Depth=1
                                        ; =>  This Inner Loop Header: Depth=2
	flat_load_dwordx2 v[102:103], v[84:85]
	flat_load_dwordx2 v[112:113], v[82:83]
	s_andn2_b64 s[28:29], s[2:3], exec
	s_andn2_b64 s[24:25], s[24:25], exec
	s_or_b64 s[22:23], s[22:23], exec
	s_waitcnt vmcnt(0) lgkmcnt(0)
	v_cmp_le_i64_e64 s[2:3], v[102:103], v[112:113]
	v_cmp_lt_i64_e64 s[0:1], v[102:103], v[112:113]
	s_and_b64 s[2:3], s[2:3], s[26:27]
	s_or_b64 s[30:31], s[0:1], s[2:3]
	s_and_b64 s[0:1], s[30:31], exec
	v_cmp_eq_u64_e64 s[4:5], v[102:103], v[112:113]
	s_or_b64 s[2:3], s[28:29], s[0:1]
	s_and_saveexec_b64 s[28:29], s[4:5]
	s_cbranch_execz .LBB509_519
; %bb.521:                              ;   in Loop: Header=BB509_520 Depth=2
	v_lshl_add_u64 v[86:87], v[86:87], 0, -1
	v_cmp_eq_u64_e64 s[0:1], 0, v[86:87]
	s_andn2_b64 s[4:5], s[24:25], exec
	s_and_b64 s[24:25], s[30:31], exec
	s_or_b64 s[24:25], s[4:5], s[24:25]
	s_andn2_b64 s[4:5], s[22:23], exec
	s_and_b64 s[0:1], s[0:1], exec
	v_lshl_add_u64 v[82:83], v[82:83], 0, 8
	v_lshl_add_u64 v[84:85], v[84:85], 0, 8
	s_andn2_b64 s[2:3], s[2:3], exec
	s_or_b64 s[22:23], s[4:5], s[0:1]
                                        ; implicit-def: $sgpr26_sgpr27
	s_branch .LBB509_519
.LBB509_522:
	s_or_b64 exec, exec, s[14:15]
.LBB509_523:
	s_or_b64 exec, exec, s[10:11]
	v_add_u32_e32 v31, v96, v31
	v_add_u32_e32 v64, v98, v99
	v_sub_u32_e32 v66, v31, v98
	v_cmp_le_u32_e64 s[0:1], v64, v96
	v_cmp_le_u32_e64 s[2:3], v66, v97
	s_or_b64 s[0:1], s[0:1], s[2:3]
	s_and_saveexec_b64 s[10:11], s[0:1]
	s_cbranch_execz .LBB509_607
; %bb.524:
	v_cmp_ge_u32_e64 s[0:1], v64, v96
	v_cmp_lt_u32_e64 s[2:3], v64, v96
                                        ; implicit-def: $vgpr0_vgpr1
	s_and_saveexec_b64 s[4:5], s[2:3]
	s_cbranch_execz .LBB509_526
; %bb.525:
	v_mov_b32_e32 v65, 0
	v_lshl_add_u64 v[0:1], v[64:65], 3, v[54:55]
	flat_load_dwordx2 v[0:1], v[0:1]
.LBB509_526:
	s_or_b64 exec, exec, s[4:5]
	v_cmp_ge_u32_e64 s[14:15], v66, v97
	v_cmp_lt_u32_e64 s[2:3], v66, v97
                                        ; implicit-def: $vgpr2_vgpr3
	s_and_saveexec_b64 s[4:5], s[2:3]
	s_cbranch_execz .LBB509_528
; %bb.527:
	v_mov_b32_e32 v67, 0
	v_lshl_add_u64 v[2:3], v[66:67], 3, v[54:55]
	flat_load_dwordx2 v[2:3], v[2:3]
.LBB509_528:
	s_or_b64 exec, exec, s[4:5]
	s_or_b64 s[0:1], s[0:1], s[14:15]
	s_xor_b64 s[0:1], s[0:1], -1
	s_and_saveexec_b64 s[16:17], s[0:1]
	s_cbranch_execz .LBB509_536
; %bb.529:
	s_mov_b64 s[0:1], 0
	s_and_saveexec_b64 s[18:19], vcc
	s_cbranch_execz .LBB509_535
; %bb.530:
	s_waitcnt vmcnt(0) lgkmcnt(0)
	v_mul_lo_u32 v14, v1, v6
	v_mul_lo_u32 v15, v0, v7
	v_mad_u64_u32 v[12:13], s[0:1], v0, v6, 0
	v_add3_u32 v13, v13, v15, v14
	v_mul_lo_u32 v16, v3, v6
	v_mul_lo_u32 v17, v2, v7
	v_mad_u64_u32 v[14:15], s[0:1], v2, v6, 0
	v_add3_u32 v15, v15, v17, v16
	v_lshl_add_u64 v[12:13], v[12:13], 3, v[8:9]
	v_lshl_add_u64 v[14:15], v[14:15], 3, v[8:9]
	s_mov_b64 s[20:21], 0
	v_mov_b64_e32 v[16:17], v[6:7]
                                        ; implicit-def: $sgpr22_sgpr23
                                        ; implicit-def: $sgpr24_sgpr25
                                        ; implicit-def: $sgpr26_sgpr27
                                        ; implicit-def: $sgpr2_sgpr3
                                        ; implicit-def: $sgpr28_sgpr29
	s_branch .LBB509_532
.LBB509_531:                            ;   in Loop: Header=BB509_532 Depth=1
	s_or_b64 exec, exec, s[30:31]
	s_and_b64 s[0:1], exec, s[24:25]
	s_or_b64 s[20:21], s[0:1], s[20:21]
	s_andn2_b64 s[0:1], s[28:29], exec
	s_and_b64 s[4:5], s[26:27], exec
	s_or_b64 s[28:29], s[0:1], s[4:5]
	s_andn2_b64 s[0:1], s[22:23], exec
	s_and_b64 s[4:5], s[2:3], exec
	s_or_b64 s[22:23], s[0:1], s[4:5]
	s_andn2_b64 exec, exec, s[20:21]
	s_cbranch_execz .LBB509_534
.LBB509_532:                            ; =>This Inner Loop Header: Depth=1
	flat_load_dwordx2 v[18:19], v[14:15]
	flat_load_dwordx2 v[20:21], v[12:13]
	s_andn2_b64 s[30:31], s[2:3], exec
	s_andn2_b64 s[26:27], s[26:27], exec
	s_or_b64 s[24:25], s[24:25], exec
	s_waitcnt vmcnt(0) lgkmcnt(0)
	v_cmp_le_i64_e64 s[2:3], v[18:19], v[20:21]
	v_cmp_lt_i64_e64 s[0:1], v[18:19], v[20:21]
	s_and_b64 s[2:3], s[2:3], s[28:29]
	s_or_b64 s[34:35], s[0:1], s[2:3]
	s_and_b64 s[0:1], s[34:35], exec
	v_cmp_eq_u64_e64 s[4:5], v[18:19], v[20:21]
	s_or_b64 s[2:3], s[30:31], s[0:1]
	s_and_saveexec_b64 s[30:31], s[4:5]
	s_cbranch_execz .LBB509_531
; %bb.533:                              ;   in Loop: Header=BB509_532 Depth=1
	v_lshl_add_u64 v[16:17], v[16:17], 0, -1
	v_cmp_eq_u64_e64 s[0:1], 0, v[16:17]
	s_andn2_b64 s[4:5], s[26:27], exec
	s_and_b64 s[26:27], s[34:35], exec
	s_or_b64 s[26:27], s[4:5], s[26:27]
	s_andn2_b64 s[4:5], s[24:25], exec
	s_and_b64 s[0:1], s[0:1], exec
	v_lshl_add_u64 v[12:13], v[12:13], 0, 8
	v_lshl_add_u64 v[14:15], v[14:15], 0, 8
	s_andn2_b64 s[2:3], s[2:3], exec
	s_or_b64 s[24:25], s[4:5], s[0:1]
                                        ; implicit-def: $sgpr28_sgpr29
	s_branch .LBB509_531
.LBB509_534:
	s_or_b64 exec, exec, s[20:21]
	s_and_b64 s[0:1], s[22:23], exec
.LBB509_535:
	s_or_b64 exec, exec, s[18:19]
	s_xor_b64 s[0:1], s[0:1], -1
	s_andn2_b64 s[2:3], s[14:15], exec
	s_and_b64 s[0:1], s[0:1], exec
	s_or_b64 s[14:15], s[2:3], s[0:1]
.LBB509_536:
	s_or_b64 exec, exec, s[16:17]
	v_cndmask_b32_e64 v12, v66, v64, s[14:15]
	v_cndmask_b32_e64 v13, v97, v96, s[14:15]
	v_add_u32_e32 v16, 1, v12
	v_add_u32_e32 v12, -1, v13
	v_min_u32_e32 v12, v16, v12
	v_mov_b32_e32 v13, 0
	v_lshl_add_u64 v[14:15], v[12:13], 3, v[54:55]
	flat_load_dwordx2 v[14:15], v[14:15]
	v_cndmask_b32_e64 v23, v16, v66, s[14:15]
	s_mov_b64 s[16:17], -1
	v_cndmask_b32_e64 v64, v64, v16, s[14:15]
	v_cmp_lt_u32_e64 s[0:1], v23, v97
	s_mov_b64 s[18:19], -1
	s_waitcnt vmcnt(0) lgkmcnt(0)
	v_cndmask_b32_e64 v20, v15, v3, s[14:15]
	v_cndmask_b32_e64 v21, v14, v2, s[14:15]
	;; [unrolled: 1-line block ×4, first 2 shown]
	s_and_saveexec_b64 s[20:21], s[0:1]
	s_cbranch_execz .LBB509_546
; %bb.537:
	v_cmp_lt_u32_e64 s[0:1], v64, v96
	s_mov_b64 s[2:3], 0
	s_and_saveexec_b64 s[18:19], s[0:1]
	s_cbranch_execz .LBB509_545
; %bb.538:
	s_mov_b64 s[0:1], 0
	s_and_saveexec_b64 s[22:23], vcc
	s_cbranch_execz .LBB509_544
; %bb.539:
	v_mul_lo_u32 v12, v22, v6
	v_mul_lo_u32 v16, v31, v7
	v_mad_u64_u32 v[14:15], s[0:1], v31, v6, 0
	v_add3_u32 v15, v15, v16, v12
	v_mul_lo_u32 v12, v20, v6
	v_mul_lo_u32 v18, v21, v7
	v_mad_u64_u32 v[16:17], s[0:1], v21, v6, 0
	v_add3_u32 v17, v17, v18, v12
	v_lshl_add_u64 v[14:15], v[14:15], 3, v[8:9]
	v_lshl_add_u64 v[16:17], v[16:17], 3, v[8:9]
	s_mov_b64 s[24:25], 0
	v_mov_b64_e32 v[18:19], v[6:7]
                                        ; implicit-def: $sgpr26_sgpr27
                                        ; implicit-def: $sgpr28_sgpr29
                                        ; implicit-def: $sgpr30_sgpr31
                                        ; implicit-def: $sgpr2_sgpr3
                                        ; implicit-def: $sgpr34_sgpr35
	s_branch .LBB509_541
.LBB509_540:                            ;   in Loop: Header=BB509_541 Depth=1
	s_or_b64 exec, exec, s[36:37]
	s_and_b64 s[0:1], exec, s[28:29]
	s_or_b64 s[24:25], s[0:1], s[24:25]
	s_andn2_b64 s[0:1], s[34:35], exec
	s_and_b64 s[4:5], s[30:31], exec
	s_or_b64 s[34:35], s[0:1], s[4:5]
	s_andn2_b64 s[0:1], s[26:27], exec
	s_and_b64 s[4:5], s[2:3], exec
	s_or_b64 s[26:27], s[0:1], s[4:5]
	s_andn2_b64 exec, exec, s[24:25]
	s_cbranch_execz .LBB509_543
.LBB509_541:                            ; =>This Inner Loop Header: Depth=1
	flat_load_dwordx2 v[66:67], v[16:17]
	flat_load_dwordx2 v[68:69], v[14:15]
	s_andn2_b64 s[36:37], s[2:3], exec
	s_andn2_b64 s[30:31], s[30:31], exec
	s_or_b64 s[28:29], s[28:29], exec
	s_waitcnt vmcnt(0) lgkmcnt(0)
	v_cmp_le_i64_e64 s[2:3], v[66:67], v[68:69]
	v_cmp_lt_i64_e64 s[0:1], v[66:67], v[68:69]
	s_and_b64 s[2:3], s[2:3], s[34:35]
	s_or_b64 s[38:39], s[0:1], s[2:3]
	s_and_b64 s[0:1], s[38:39], exec
	v_cmp_eq_u64_e64 s[4:5], v[66:67], v[68:69]
	s_or_b64 s[2:3], s[36:37], s[0:1]
	s_and_saveexec_b64 s[36:37], s[4:5]
	s_cbranch_execz .LBB509_540
; %bb.542:                              ;   in Loop: Header=BB509_541 Depth=1
	v_lshl_add_u64 v[18:19], v[18:19], 0, -1
	v_cmp_eq_u64_e64 s[0:1], 0, v[18:19]
	s_andn2_b64 s[4:5], s[30:31], exec
	s_and_b64 s[30:31], s[38:39], exec
	s_or_b64 s[30:31], s[4:5], s[30:31]
	s_andn2_b64 s[4:5], s[28:29], exec
	s_and_b64 s[0:1], s[0:1], exec
	v_lshl_add_u64 v[14:15], v[14:15], 0, 8
	v_lshl_add_u64 v[16:17], v[16:17], 0, 8
	s_andn2_b64 s[2:3], s[2:3], exec
	s_or_b64 s[28:29], s[4:5], s[0:1]
                                        ; implicit-def: $sgpr34_sgpr35
	s_branch .LBB509_540
.LBB509_543:
	s_or_b64 exec, exec, s[24:25]
	s_and_b64 s[0:1], s[26:27], exec
.LBB509_544:
	s_or_b64 exec, exec, s[22:23]
	s_xor_b64 s[0:1], s[0:1], -1
	s_and_b64 s[2:3], s[0:1], exec
.LBB509_545:
	s_or_b64 exec, exec, s[18:19]
	s_orn2_b64 s[18:19], s[2:3], exec
.LBB509_546:
	s_or_b64 exec, exec, s[20:21]
	v_cndmask_b32_e64 v12, v23, v64, s[18:19]
	v_cndmask_b32_e64 v14, v97, v96, s[18:19]
	v_add_u32_e32 v15, 1, v12
	v_add_u32_e32 v12, -1, v14
	v_min_u32_e32 v12, v15, v12
	v_lshl_add_u64 v[12:13], v[12:13], 3, v[54:55]
	flat_load_dwordx2 v[12:13], v[12:13]
	v_cndmask_b32_e64 v18, v15, v23, s[18:19]
	v_cndmask_b32_e64 v19, v64, v15, s[18:19]
	v_cmp_lt_u32_e64 s[0:1], v18, v97
	s_waitcnt vmcnt(0) lgkmcnt(0)
	v_cndmask_b32_e64 v23, v13, v20, s[18:19]
	v_cndmask_b32_e64 v64, v12, v21, s[18:19]
	;; [unrolled: 1-line block ×4, first 2 shown]
	s_and_saveexec_b64 s[20:21], s[0:1]
	s_cbranch_execz .LBB509_556
; %bb.547:
	v_cmp_lt_u32_e64 s[0:1], v19, v96
	s_mov_b64 s[2:3], 0
	s_and_saveexec_b64 s[16:17], s[0:1]
	s_cbranch_execz .LBB509_555
; %bb.548:
	s_mov_b64 s[0:1], 0
	s_and_saveexec_b64 s[22:23], vcc
	s_cbranch_execz .LBB509_554
; %bb.549:
	v_mul_lo_u32 v14, v65, v6
	v_mul_lo_u32 v15, v66, v7
	v_mad_u64_u32 v[12:13], s[0:1], v66, v6, 0
	v_add3_u32 v13, v13, v15, v14
	v_mul_lo_u32 v16, v23, v6
	v_mul_lo_u32 v17, v64, v7
	v_mad_u64_u32 v[14:15], s[0:1], v64, v6, 0
	v_add3_u32 v15, v15, v17, v16
	v_lshl_add_u64 v[12:13], v[12:13], 3, v[8:9]
	v_lshl_add_u64 v[14:15], v[14:15], 3, v[8:9]
	s_mov_b64 s[24:25], 0
	v_mov_b64_e32 v[16:17], v[6:7]
                                        ; implicit-def: $sgpr26_sgpr27
                                        ; implicit-def: $sgpr28_sgpr29
                                        ; implicit-def: $sgpr30_sgpr31
                                        ; implicit-def: $sgpr2_sgpr3
                                        ; implicit-def: $sgpr34_sgpr35
	s_branch .LBB509_551
.LBB509_550:                            ;   in Loop: Header=BB509_551 Depth=1
	s_or_b64 exec, exec, s[36:37]
	s_and_b64 s[0:1], exec, s[28:29]
	s_or_b64 s[24:25], s[0:1], s[24:25]
	s_andn2_b64 s[0:1], s[34:35], exec
	s_and_b64 s[4:5], s[30:31], exec
	s_or_b64 s[34:35], s[0:1], s[4:5]
	s_andn2_b64 s[0:1], s[26:27], exec
	s_and_b64 s[4:5], s[2:3], exec
	s_or_b64 s[26:27], s[0:1], s[4:5]
	s_andn2_b64 exec, exec, s[24:25]
	s_cbranch_execz .LBB509_553
.LBB509_551:                            ; =>This Inner Loop Header: Depth=1
	flat_load_dwordx2 v[68:69], v[14:15]
	flat_load_dwordx2 v[70:71], v[12:13]
	s_andn2_b64 s[36:37], s[2:3], exec
	s_andn2_b64 s[30:31], s[30:31], exec
	s_or_b64 s[28:29], s[28:29], exec
	s_waitcnt vmcnt(0) lgkmcnt(0)
	v_cmp_le_i64_e64 s[2:3], v[68:69], v[70:71]
	v_cmp_lt_i64_e64 s[0:1], v[68:69], v[70:71]
	s_and_b64 s[2:3], s[2:3], s[34:35]
	s_or_b64 s[38:39], s[0:1], s[2:3]
	s_and_b64 s[0:1], s[38:39], exec
	v_cmp_eq_u64_e64 s[4:5], v[68:69], v[70:71]
	s_or_b64 s[2:3], s[36:37], s[0:1]
	s_and_saveexec_b64 s[36:37], s[4:5]
	s_cbranch_execz .LBB509_550
; %bb.552:                              ;   in Loop: Header=BB509_551 Depth=1
	v_lshl_add_u64 v[16:17], v[16:17], 0, -1
	v_cmp_eq_u64_e64 s[0:1], 0, v[16:17]
	s_andn2_b64 s[4:5], s[30:31], exec
	s_and_b64 s[30:31], s[38:39], exec
	s_or_b64 s[30:31], s[4:5], s[30:31]
	s_andn2_b64 s[4:5], s[28:29], exec
	s_and_b64 s[0:1], s[0:1], exec
	v_lshl_add_u64 v[12:13], v[12:13], 0, 8
	v_lshl_add_u64 v[14:15], v[14:15], 0, 8
	s_andn2_b64 s[2:3], s[2:3], exec
	s_or_b64 s[28:29], s[4:5], s[0:1]
                                        ; implicit-def: $sgpr34_sgpr35
	s_branch .LBB509_550
.LBB509_553:
	s_or_b64 exec, exec, s[24:25]
	s_and_b64 s[0:1], s[26:27], exec
.LBB509_554:
	s_or_b64 exec, exec, s[22:23]
	s_xor_b64 s[0:1], s[0:1], -1
	s_and_b64 s[2:3], s[0:1], exec
.LBB509_555:
	s_or_b64 exec, exec, s[16:17]
	s_orn2_b64 s[16:17], s[2:3], exec
.LBB509_556:
	s_or_b64 exec, exec, s[20:21]
	v_cndmask_b32_e64 v12, v18, v19, s[16:17]
	v_cndmask_b32_e64 v13, v97, v96, s[16:17]
	v_add_u32_e32 v16, 1, v12
	v_add_u32_e32 v12, -1, v13
	v_min_u32_e32 v12, v16, v12
	v_mov_b32_e32 v13, 0
	v_lshl_add_u64 v[14:15], v[12:13], 3, v[54:55]
	flat_load_dwordx2 v[14:15], v[14:15]
	v_cndmask_b32_e64 v71, v16, v18, s[16:17]
	s_mov_b64 s[20:21], -1
	v_cndmask_b32_e64 v80, v19, v16, s[16:17]
	v_cmp_lt_u32_e64 s[0:1], v71, v97
	s_mov_b64 s[22:23], -1
	s_waitcnt vmcnt(0) lgkmcnt(0)
	v_cndmask_b32_e64 v67, v15, v23, s[16:17]
	v_cndmask_b32_e64 v68, v14, v64, s[16:17]
	v_cndmask_b32_e64 v69, v65, v15, s[16:17]
	v_cndmask_b32_e64 v70, v66, v14, s[16:17]
	s_and_saveexec_b64 s[24:25], s[0:1]
	s_cbranch_execz .LBB509_566
; %bb.557:
	v_cmp_lt_u32_e64 s[0:1], v80, v96
	s_mov_b64 s[2:3], 0
	s_and_saveexec_b64 s[22:23], s[0:1]
	s_cbranch_execz .LBB509_565
; %bb.558:
	s_mov_b64 s[0:1], -1
	s_and_saveexec_b64 s[26:27], vcc
	s_cbranch_execz .LBB509_564
; %bb.559:
	v_mul_lo_u32 v12, v69, v6
	v_mul_lo_u32 v16, v70, v7
	v_mad_u64_u32 v[14:15], s[0:1], v70, v6, 0
	v_add3_u32 v15, v15, v16, v12
	v_mul_lo_u32 v12, v67, v6
	v_mul_lo_u32 v18, v68, v7
	v_mad_u64_u32 v[16:17], s[0:1], v68, v6, 0
	v_add3_u32 v17, v17, v18, v12
	v_lshl_add_u64 v[14:15], v[14:15], 3, v[8:9]
	v_lshl_add_u64 v[16:17], v[16:17], 3, v[8:9]
	s_mov_b64 s[28:29], 0
	v_mov_b64_e32 v[18:19], v[6:7]
                                        ; implicit-def: $sgpr30_sgpr31
                                        ; implicit-def: $sgpr34_sgpr35
                                        ; implicit-def: $sgpr2_sgpr3
                                        ; implicit-def: $sgpr36_sgpr37
                                        ; implicit-def: $sgpr38_sgpr39
	s_branch .LBB509_561
.LBB509_560:                            ;   in Loop: Header=BB509_561 Depth=1
	s_or_b64 exec, exec, s[40:41]
	s_and_b64 s[0:1], exec, s[34:35]
	s_or_b64 s[28:29], s[0:1], s[28:29]
	s_andn2_b64 s[0:1], s[38:39], exec
	s_and_b64 s[4:5], s[36:37], exec
	s_or_b64 s[38:39], s[0:1], s[4:5]
	s_andn2_b64 s[0:1], s[30:31], exec
	s_and_b64 s[4:5], s[2:3], exec
	s_or_b64 s[30:31], s[0:1], s[4:5]
	s_andn2_b64 exec, exec, s[28:29]
	s_cbranch_execz .LBB509_563
.LBB509_561:                            ; =>This Inner Loop Header: Depth=1
	flat_load_dwordx2 v[82:83], v[16:17]
	flat_load_dwordx2 v[84:85], v[14:15]
	s_andn2_b64 s[40:41], s[2:3], exec
	s_andn2_b64 s[36:37], s[36:37], exec
	s_or_b64 s[34:35], s[34:35], exec
	s_waitcnt vmcnt(0) lgkmcnt(0)
	v_cmp_le_i64_e64 s[2:3], v[82:83], v[84:85]
	v_cmp_lt_i64_e64 s[0:1], v[82:83], v[84:85]
	s_and_b64 s[2:3], s[2:3], s[38:39]
	s_or_b64 s[42:43], s[0:1], s[2:3]
	s_and_b64 s[0:1], s[42:43], exec
	v_cmp_eq_u64_e64 s[4:5], v[82:83], v[84:85]
	s_or_b64 s[2:3], s[40:41], s[0:1]
	s_and_saveexec_b64 s[40:41], s[4:5]
	s_cbranch_execz .LBB509_560
; %bb.562:                              ;   in Loop: Header=BB509_561 Depth=1
	v_lshl_add_u64 v[18:19], v[18:19], 0, -1
	v_cmp_eq_u64_e64 s[0:1], 0, v[18:19]
	s_andn2_b64 s[4:5], s[36:37], exec
	s_and_b64 s[36:37], s[42:43], exec
	s_or_b64 s[36:37], s[4:5], s[36:37]
	s_andn2_b64 s[4:5], s[34:35], exec
	s_and_b64 s[0:1], s[0:1], exec
	v_lshl_add_u64 v[14:15], v[14:15], 0, 8
	v_lshl_add_u64 v[16:17], v[16:17], 0, 8
	s_andn2_b64 s[2:3], s[2:3], exec
	s_or_b64 s[34:35], s[4:5], s[0:1]
                                        ; implicit-def: $sgpr38_sgpr39
	s_branch .LBB509_560
.LBB509_563:
	s_or_b64 exec, exec, s[28:29]
	s_xor_b64 s[0:1], s[30:31], -1
	s_orn2_b64 s[0:1], s[0:1], exec
.LBB509_564:
	s_or_b64 exec, exec, s[26:27]
	s_and_b64 s[2:3], s[0:1], exec
.LBB509_565:
	s_or_b64 exec, exec, s[22:23]
	s_orn2_b64 s[22:23], s[2:3], exec
.LBB509_566:
	s_or_b64 exec, exec, s[24:25]
	v_cndmask_b32_e64 v12, v71, v80, s[22:23]
	v_cndmask_b32_e64 v14, v97, v96, s[22:23]
	v_add_u32_e32 v15, 1, v12
	v_add_u32_e32 v12, -1, v14
	v_min_u32_e32 v12, v15, v12
	v_lshl_add_u64 v[12:13], v[12:13], 3, v[54:55]
	flat_load_dwordx2 v[12:13], v[12:13]
	v_cndmask_b32_e64 v18, v15, v71, s[22:23]
	v_cndmask_b32_e64 v19, v80, v15, s[22:23]
	v_cmp_lt_u32_e64 s[0:1], v18, v97
	s_waitcnt vmcnt(0) lgkmcnt(0)
	v_cndmask_b32_e64 v71, v13, v67, s[22:23]
	v_cndmask_b32_e64 v80, v12, v68, s[22:23]
	;; [unrolled: 1-line block ×4, first 2 shown]
	s_and_saveexec_b64 s[24:25], s[0:1]
	s_cbranch_execz .LBB509_576
; %bb.567:
	v_cmp_lt_u32_e64 s[0:1], v19, v96
	s_mov_b64 s[2:3], 0
	s_and_saveexec_b64 s[20:21], s[0:1]
	s_cbranch_execz .LBB509_575
; %bb.568:
	s_mov_b64 s[0:1], -1
	s_and_saveexec_b64 s[26:27], vcc
	s_cbranch_execz .LBB509_574
; %bb.569:
	v_mul_lo_u32 v14, v81, v6
	v_mul_lo_u32 v15, v82, v7
	v_mad_u64_u32 v[12:13], s[0:1], v82, v6, 0
	v_add3_u32 v13, v13, v15, v14
	v_mul_lo_u32 v16, v71, v6
	v_mul_lo_u32 v17, v80, v7
	v_mad_u64_u32 v[14:15], s[0:1], v80, v6, 0
	v_add3_u32 v15, v15, v17, v16
	v_lshl_add_u64 v[12:13], v[12:13], 3, v[8:9]
	v_lshl_add_u64 v[14:15], v[14:15], 3, v[8:9]
	s_mov_b64 s[28:29], 0
	v_mov_b64_e32 v[16:17], v[6:7]
                                        ; implicit-def: $sgpr30_sgpr31
                                        ; implicit-def: $sgpr34_sgpr35
                                        ; implicit-def: $sgpr2_sgpr3
                                        ; implicit-def: $sgpr36_sgpr37
                                        ; implicit-def: $sgpr38_sgpr39
	s_branch .LBB509_571
.LBB509_570:                            ;   in Loop: Header=BB509_571 Depth=1
	s_or_b64 exec, exec, s[40:41]
	s_and_b64 s[0:1], exec, s[34:35]
	s_or_b64 s[28:29], s[0:1], s[28:29]
	s_andn2_b64 s[0:1], s[38:39], exec
	s_and_b64 s[4:5], s[36:37], exec
	s_or_b64 s[38:39], s[0:1], s[4:5]
	s_andn2_b64 s[0:1], s[30:31], exec
	s_and_b64 s[4:5], s[2:3], exec
	s_or_b64 s[30:31], s[0:1], s[4:5]
	s_andn2_b64 exec, exec, s[28:29]
	s_cbranch_execz .LBB509_573
.LBB509_571:                            ; =>This Inner Loop Header: Depth=1
	flat_load_dwordx2 v[84:85], v[14:15]
	flat_load_dwordx2 v[86:87], v[12:13]
	s_andn2_b64 s[40:41], s[2:3], exec
	s_andn2_b64 s[36:37], s[36:37], exec
	s_or_b64 s[34:35], s[34:35], exec
	s_waitcnt vmcnt(0) lgkmcnt(0)
	v_cmp_le_i64_e64 s[2:3], v[84:85], v[86:87]
	v_cmp_lt_i64_e64 s[0:1], v[84:85], v[86:87]
	s_and_b64 s[2:3], s[2:3], s[38:39]
	s_or_b64 s[42:43], s[0:1], s[2:3]
	s_and_b64 s[0:1], s[42:43], exec
	v_cmp_eq_u64_e64 s[4:5], v[84:85], v[86:87]
	s_or_b64 s[2:3], s[40:41], s[0:1]
	s_and_saveexec_b64 s[40:41], s[4:5]
	s_cbranch_execz .LBB509_570
; %bb.572:                              ;   in Loop: Header=BB509_571 Depth=1
	v_lshl_add_u64 v[16:17], v[16:17], 0, -1
	v_cmp_eq_u64_e64 s[0:1], 0, v[16:17]
	s_andn2_b64 s[4:5], s[36:37], exec
	s_and_b64 s[36:37], s[42:43], exec
	s_or_b64 s[36:37], s[4:5], s[36:37]
	s_andn2_b64 s[4:5], s[34:35], exec
	s_and_b64 s[0:1], s[0:1], exec
	v_lshl_add_u64 v[12:13], v[12:13], 0, 8
	v_lshl_add_u64 v[14:15], v[14:15], 0, 8
	s_andn2_b64 s[2:3], s[2:3], exec
	s_or_b64 s[34:35], s[4:5], s[0:1]
                                        ; implicit-def: $sgpr38_sgpr39
	s_branch .LBB509_570
.LBB509_573:
	s_or_b64 exec, exec, s[28:29]
	s_xor_b64 s[0:1], s[30:31], -1
	s_orn2_b64 s[0:1], s[0:1], exec
.LBB509_574:
	s_or_b64 exec, exec, s[26:27]
	s_and_b64 s[2:3], s[0:1], exec
.LBB509_575:
	s_or_b64 exec, exec, s[20:21]
	s_orn2_b64 s[20:21], s[2:3], exec
.LBB509_576:
	s_or_b64 exec, exec, s[24:25]
	v_cndmask_b32_e64 v12, v18, v19, s[20:21]
	v_cndmask_b32_e64 v13, v97, v96, s[20:21]
	v_add_u32_e32 v16, 1, v12
	v_add_u32_e32 v12, -1, v13
	v_min_u32_e32 v12, v16, v12
	v_mov_b32_e32 v13, 0
	v_lshl_add_u64 v[14:15], v[12:13], 3, v[54:55]
	flat_load_dwordx2 v[14:15], v[14:15]
	v_cndmask_b32_e64 v87, v16, v18, s[20:21]
	s_mov_b64 s[24:25], -1
	v_cndmask_b32_e64 v98, v19, v16, s[20:21]
	v_cmp_lt_u32_e64 s[0:1], v87, v97
	s_mov_b64 s[26:27], -1
	s_waitcnt vmcnt(0) lgkmcnt(0)
	v_cndmask_b32_e64 v83, v15, v71, s[20:21]
	v_cndmask_b32_e64 v84, v14, v80, s[20:21]
	;; [unrolled: 1-line block ×4, first 2 shown]
	s_and_saveexec_b64 s[28:29], s[0:1]
	s_cbranch_execz .LBB509_586
; %bb.577:
	v_cmp_lt_u32_e64 s[0:1], v98, v96
	s_mov_b64 s[2:3], 0
	s_and_saveexec_b64 s[26:27], s[0:1]
	s_cbranch_execz .LBB509_585
; %bb.578:
	s_mov_b64 s[0:1], -1
	s_and_saveexec_b64 s[30:31], vcc
	s_cbranch_execz .LBB509_584
; %bb.579:
	v_mul_lo_u32 v12, v85, v6
	v_mul_lo_u32 v16, v86, v7
	v_mad_u64_u32 v[14:15], s[0:1], v86, v6, 0
	v_add3_u32 v15, v15, v16, v12
	v_mul_lo_u32 v12, v83, v6
	v_mul_lo_u32 v18, v84, v7
	v_mad_u64_u32 v[16:17], s[0:1], v84, v6, 0
	v_add3_u32 v17, v17, v18, v12
	v_lshl_add_u64 v[14:15], v[14:15], 3, v[8:9]
	v_lshl_add_u64 v[16:17], v[16:17], 3, v[8:9]
	s_mov_b64 s[34:35], 0
	v_mov_b64_e32 v[18:19], v[6:7]
                                        ; implicit-def: $sgpr36_sgpr37
                                        ; implicit-def: $sgpr38_sgpr39
                                        ; implicit-def: $sgpr2_sgpr3
                                        ; implicit-def: $sgpr40_sgpr41
                                        ; implicit-def: $sgpr42_sgpr43
	s_branch .LBB509_581
.LBB509_580:                            ;   in Loop: Header=BB509_581 Depth=1
	s_or_b64 exec, exec, s[44:45]
	s_and_b64 s[0:1], exec, s[38:39]
	s_or_b64 s[34:35], s[0:1], s[34:35]
	s_andn2_b64 s[0:1], s[42:43], exec
	s_and_b64 s[4:5], s[40:41], exec
	s_or_b64 s[42:43], s[0:1], s[4:5]
	s_andn2_b64 s[0:1], s[36:37], exec
	s_and_b64 s[4:5], s[2:3], exec
	s_or_b64 s[36:37], s[0:1], s[4:5]
	s_andn2_b64 exec, exec, s[34:35]
	s_cbranch_execz .LBB509_583
.LBB509_581:                            ; =>This Inner Loop Header: Depth=1
	flat_load_dwordx2 v[100:101], v[16:17]
	flat_load_dwordx2 v[102:103], v[14:15]
	s_andn2_b64 s[44:45], s[2:3], exec
	s_andn2_b64 s[40:41], s[40:41], exec
	s_or_b64 s[38:39], s[38:39], exec
	s_waitcnt vmcnt(0) lgkmcnt(0)
	v_cmp_le_i64_e64 s[2:3], v[100:101], v[102:103]
	v_cmp_lt_i64_e64 s[0:1], v[100:101], v[102:103]
	s_and_b64 s[2:3], s[2:3], s[42:43]
	s_or_b64 s[46:47], s[0:1], s[2:3]
	s_and_b64 s[0:1], s[46:47], exec
	v_cmp_eq_u64_e64 s[4:5], v[100:101], v[102:103]
	s_or_b64 s[2:3], s[44:45], s[0:1]
	s_and_saveexec_b64 s[44:45], s[4:5]
	s_cbranch_execz .LBB509_580
; %bb.582:                              ;   in Loop: Header=BB509_581 Depth=1
	v_lshl_add_u64 v[18:19], v[18:19], 0, -1
	v_cmp_eq_u64_e64 s[0:1], 0, v[18:19]
	s_andn2_b64 s[4:5], s[40:41], exec
	s_and_b64 s[40:41], s[46:47], exec
	s_or_b64 s[40:41], s[4:5], s[40:41]
	s_andn2_b64 s[4:5], s[38:39], exec
	s_and_b64 s[0:1], s[0:1], exec
	v_lshl_add_u64 v[14:15], v[14:15], 0, 8
	v_lshl_add_u64 v[16:17], v[16:17], 0, 8
	s_andn2_b64 s[2:3], s[2:3], exec
	s_or_b64 s[38:39], s[4:5], s[0:1]
                                        ; implicit-def: $sgpr42_sgpr43
	s_branch .LBB509_580
.LBB509_583:
	s_or_b64 exec, exec, s[34:35]
	s_xor_b64 s[0:1], s[36:37], -1
	s_orn2_b64 s[0:1], s[0:1], exec
.LBB509_584:
	s_or_b64 exec, exec, s[30:31]
	s_and_b64 s[2:3], s[0:1], exec
.LBB509_585:
	s_or_b64 exec, exec, s[26:27]
	s_orn2_b64 s[26:27], s[2:3], exec
.LBB509_586:
	s_or_b64 exec, exec, s[28:29]
	v_cndmask_b32_e64 v12, v87, v98, s[26:27]
	v_cndmask_b32_e64 v14, v97, v96, s[26:27]
	v_add_u32_e32 v15, 1, v12
	v_add_u32_e32 v12, -1, v14
	v_min_u32_e32 v12, v15, v12
	v_lshl_add_u64 v[12:13], v[12:13], 3, v[54:55]
	flat_load_dwordx2 v[12:13], v[12:13]
	v_cndmask_b32_e64 v100, v15, v87, s[26:27]
	v_cndmask_b32_e64 v87, v98, v15, s[26:27]
	v_cmp_lt_u32_e64 s[0:1], v100, v97
	s_waitcnt vmcnt(0) lgkmcnt(0)
	v_cndmask_b32_e64 v98, v13, v83, s[26:27]
	v_cndmask_b32_e64 v99, v12, v84, s[26:27]
	;; [unrolled: 1-line block ×4, first 2 shown]
	s_and_saveexec_b64 s[28:29], s[0:1]
	s_cbranch_execz .LBB509_596
; %bb.587:
	v_cmp_lt_u32_e64 s[0:1], v87, v96
	s_mov_b64 s[2:3], 0
	s_and_saveexec_b64 s[24:25], s[0:1]
	s_cbranch_execz .LBB509_595
; %bb.588:
	s_mov_b64 s[0:1], -1
	s_and_saveexec_b64 s[30:31], vcc
	s_cbranch_execz .LBB509_594
; %bb.589:
	v_mul_lo_u32 v14, v101, v6
	v_mul_lo_u32 v15, v102, v7
	v_mad_u64_u32 v[12:13], s[0:1], v102, v6, 0
	v_add3_u32 v13, v13, v15, v14
	v_mul_lo_u32 v16, v98, v6
	v_mul_lo_u32 v17, v99, v7
	v_mad_u64_u32 v[14:15], s[0:1], v99, v6, 0
	v_add3_u32 v15, v15, v17, v16
	v_lshl_add_u64 v[12:13], v[12:13], 3, v[8:9]
	v_lshl_add_u64 v[14:15], v[14:15], 3, v[8:9]
	s_mov_b64 s[34:35], 0
	v_mov_b64_e32 v[16:17], v[6:7]
                                        ; implicit-def: $sgpr36_sgpr37
                                        ; implicit-def: $sgpr38_sgpr39
                                        ; implicit-def: $sgpr2_sgpr3
                                        ; implicit-def: $sgpr40_sgpr41
                                        ; implicit-def: $sgpr42_sgpr43
	s_branch .LBB509_591
.LBB509_590:                            ;   in Loop: Header=BB509_591 Depth=1
	s_or_b64 exec, exec, s[44:45]
	s_and_b64 s[0:1], exec, s[38:39]
	s_or_b64 s[34:35], s[0:1], s[34:35]
	s_andn2_b64 s[0:1], s[42:43], exec
	s_and_b64 s[4:5], s[40:41], exec
	s_or_b64 s[42:43], s[0:1], s[4:5]
	s_andn2_b64 s[0:1], s[36:37], exec
	s_and_b64 s[4:5], s[2:3], exec
	s_or_b64 s[36:37], s[0:1], s[4:5]
	s_andn2_b64 exec, exec, s[34:35]
	s_cbranch_execz .LBB509_593
.LBB509_591:                            ; =>This Inner Loop Header: Depth=1
	flat_load_dwordx2 v[18:19], v[14:15]
	flat_load_dwordx2 v[112:113], v[12:13]
	s_andn2_b64 s[44:45], s[2:3], exec
	s_andn2_b64 s[40:41], s[40:41], exec
	s_or_b64 s[38:39], s[38:39], exec
	s_waitcnt vmcnt(0) lgkmcnt(0)
	v_cmp_le_i64_e64 s[2:3], v[18:19], v[112:113]
	v_cmp_lt_i64_e64 s[0:1], v[18:19], v[112:113]
	s_and_b64 s[2:3], s[2:3], s[42:43]
	s_or_b64 s[46:47], s[0:1], s[2:3]
	s_and_b64 s[0:1], s[46:47], exec
	v_cmp_eq_u64_e64 s[4:5], v[18:19], v[112:113]
	s_or_b64 s[2:3], s[44:45], s[0:1]
	s_and_saveexec_b64 s[44:45], s[4:5]
	s_cbranch_execz .LBB509_590
; %bb.592:                              ;   in Loop: Header=BB509_591 Depth=1
	v_lshl_add_u64 v[16:17], v[16:17], 0, -1
	v_cmp_eq_u64_e64 s[0:1], 0, v[16:17]
	s_andn2_b64 s[4:5], s[40:41], exec
	s_and_b64 s[40:41], s[46:47], exec
	s_or_b64 s[40:41], s[4:5], s[40:41]
	s_andn2_b64 s[4:5], s[38:39], exec
	s_and_b64 s[0:1], s[0:1], exec
	v_lshl_add_u64 v[12:13], v[12:13], 0, 8
	v_lshl_add_u64 v[14:15], v[14:15], 0, 8
	s_andn2_b64 s[2:3], s[2:3], exec
	s_or_b64 s[38:39], s[4:5], s[0:1]
                                        ; implicit-def: $sgpr42_sgpr43
	s_branch .LBB509_590
.LBB509_593:
	s_or_b64 exec, exec, s[34:35]
	s_xor_b64 s[0:1], s[36:37], -1
	s_orn2_b64 s[0:1], s[0:1], exec
.LBB509_594:
	s_or_b64 exec, exec, s[30:31]
	s_and_b64 s[2:3], s[0:1], exec
.LBB509_595:
	s_or_b64 exec, exec, s[24:25]
	s_orn2_b64 s[24:25], s[2:3], exec
.LBB509_596:
	s_or_b64 exec, exec, s[28:29]
	v_cndmask_b32_e64 v12, v100, v87, s[24:25]
	v_cndmask_b32_e64 v13, v97, v96, s[24:25]
	v_add_u32_e32 v103, 1, v12
	v_add_u32_e32 v12, -1, v13
	v_min_u32_e32 v12, v103, v12
	v_mov_b32_e32 v13, 0
	v_lshl_add_u64 v[12:13], v[12:13], 3, v[54:55]
	flat_load_dwordx2 v[54:55], v[12:13]
	v_cndmask_b32_e64 v17, v23, v65, s[16:17]
	v_cndmask_b32_e64 v23, v20, v22, s[18:19]
	;; [unrolled: 1-line block ×15, first 2 shown]
	v_cmp_lt_u32_e64 s[0:1], v31, v97
	s_waitcnt vmcnt(0) lgkmcnt(0)
	v_cndmask_b32_e64 v3, v101, v55, s[24:25]
	v_cndmask_b32_e64 v2, v102, v54, s[24:25]
	s_and_saveexec_b64 s[14:15], s[0:1]
	s_cbranch_execz .LBB509_606
; %bb.597:
	v_cndmask_b32_e64 v31, v87, v103, s[24:25]
	v_cndmask_b32_e64 v55, v55, v98, s[24:25]
	v_cndmask_b32_e64 v54, v54, v99, s[24:25]
	v_cmp_lt_u32_e64 s[0:1], v31, v96
	s_and_saveexec_b64 s[16:17], s[0:1]
	s_cbranch_execz .LBB509_605
; %bb.598:
	s_and_saveexec_b64 s[18:19], vcc
	s_cbranch_execz .LBB509_604
; %bb.599:
	v_mul_lo_u32 v31, v3, v6
	v_mul_lo_u32 v66, v2, v7
	v_mad_u64_u32 v[64:65], s[0:1], v2, v6, 0
	v_add3_u32 v65, v65, v66, v31
	v_mul_lo_u32 v31, v55, v6
	v_mul_lo_u32 v68, v54, v7
	v_mad_u64_u32 v[66:67], s[0:1], v54, v6, 0
	v_add3_u32 v67, v67, v68, v31
	v_lshl_add_u64 v[64:65], v[64:65], 3, v[8:9]
	v_lshl_add_u64 v[66:67], v[66:67], 3, v[8:9]
	s_mov_b64 s[20:21], 0
	v_mov_b64_e32 v[68:69], v[6:7]
                                        ; implicit-def: $sgpr22_sgpr23
                                        ; implicit-def: $sgpr24_sgpr25
                                        ; implicit-def: $sgpr2_sgpr3
                                        ; implicit-def: $sgpr26_sgpr27
                                        ; implicit-def: $sgpr28_sgpr29
	s_branch .LBB509_601
.LBB509_600:                            ;   in Loop: Header=BB509_601 Depth=1
	s_or_b64 exec, exec, s[30:31]
	s_and_b64 s[0:1], exec, s[24:25]
	s_or_b64 s[20:21], s[0:1], s[20:21]
	s_andn2_b64 s[0:1], s[28:29], exec
	s_and_b64 s[4:5], s[26:27], exec
	s_or_b64 s[28:29], s[0:1], s[4:5]
	s_andn2_b64 s[0:1], s[22:23], exec
	s_and_b64 s[4:5], s[2:3], exec
	s_or_b64 s[22:23], s[0:1], s[4:5]
	s_andn2_b64 exec, exec, s[20:21]
	s_cbranch_execz .LBB509_603
.LBB509_601:                            ; =>This Inner Loop Header: Depth=1
	flat_load_dwordx2 v[70:71], v[66:67]
	flat_load_dwordx2 v[80:81], v[64:65]
	s_andn2_b64 s[30:31], s[2:3], exec
	s_andn2_b64 s[26:27], s[26:27], exec
	s_or_b64 s[24:25], s[24:25], exec
	s_waitcnt vmcnt(0) lgkmcnt(0)
	v_cmp_le_i64_e64 s[2:3], v[70:71], v[80:81]
	v_cmp_lt_i64_e64 s[0:1], v[70:71], v[80:81]
	s_and_b64 s[2:3], s[2:3], s[28:29]
	s_or_b64 s[34:35], s[0:1], s[2:3]
	s_and_b64 s[0:1], s[34:35], exec
	v_cmp_eq_u64_e64 s[4:5], v[70:71], v[80:81]
	s_or_b64 s[2:3], s[30:31], s[0:1]
	s_and_saveexec_b64 s[30:31], s[4:5]
	s_cbranch_execz .LBB509_600
; %bb.602:                              ;   in Loop: Header=BB509_601 Depth=1
	v_lshl_add_u64 v[68:69], v[68:69], 0, -1
	v_cmp_eq_u64_e64 s[0:1], 0, v[68:69]
	s_andn2_b64 s[4:5], s[26:27], exec
	s_and_b64 s[26:27], s[34:35], exec
	s_or_b64 s[26:27], s[4:5], s[26:27]
	s_andn2_b64 s[4:5], s[24:25], exec
	s_and_b64 s[0:1], s[0:1], exec
	v_lshl_add_u64 v[64:65], v[64:65], 0, 8
	v_lshl_add_u64 v[66:67], v[66:67], 0, 8
	s_andn2_b64 s[2:3], s[2:3], exec
	s_or_b64 s[24:25], s[4:5], s[0:1]
                                        ; implicit-def: $sgpr28_sgpr29
	s_branch .LBB509_600
.LBB509_603:
	s_or_b64 exec, exec, s[20:21]
	v_cndmask_b32_e64 v3, v3, v55, s[22:23]
	v_cndmask_b32_e64 v2, v2, v54, s[22:23]
.LBB509_604:
	s_or_b64 exec, exec, s[18:19]
	v_mov_b64_e32 v[54:55], v[2:3]
.LBB509_605:
	s_or_b64 exec, exec, s[16:17]
	v_mov_b64_e32 v[2:3], v[54:55]
.LBB509_606:
	s_or_b64 exec, exec, s[14:15]
.LBB509_607:
	s_or_b64 exec, exec, s[10:11]
	v_lshlrev_b32_e32 v54, 3, v30
	v_mov_b32_e32 v55, 0
	v_lshl_add_u64 v[64:65], v[10:11], 0, v[54:55]
	v_lshlrev_b64 v[66:67], 3, v[6:7]
	s_movk_i32 s50, 0x80
	; wave barrier
	s_waitcnt lgkmcnt(0)
	s_barrier
.LBB509_608:                            ; =>This Loop Header: Depth=1
                                        ;     Child Loop BB509_612 Depth 2
                                        ;       Child Loop BB509_615 Depth 3
                                        ;     Child Loop BB509_627 Depth 2
                                        ;     Child Loop BB509_636 Depth 2
	;; [unrolled: 1-line block ×8, first 2 shown]
	s_lshl_b32 s51, s50, 1
	s_sub_i32 s1, 0, s51
	v_and_b32_e32 v97, s1, v30
	v_add_u32_e32 v31, s50, v97
	v_min_u32_e32 v31, 0x800, v31
	s_add_i32 s0, s51, -1
	v_add_u32_e32 v54, s50, v31
	v_min_u32_e32 v96, 0x800, v54
	v_and_b32_e32 v54, s0, v30
	v_min_u32_e32 v98, 0x800, v54
	v_sub_u32_e32 v54, v31, v97
	v_sub_u32_e32 v68, v96, v31
	v_sub_u32_e64 v99, v98, v68 clamp
	v_min_u32_e32 v100, v98, v54
	v_cmp_lt_u32_e64 s[0:1], v99, v100
	flat_store_dwordx4 v[64:65], v[20:23]
	flat_store_dwordx4 v[64:65], v[16:19] offset:16
	flat_store_dwordx4 v[64:65], v[12:15] offset:32
	;; [unrolled: 1-line block ×3, first 2 shown]
	s_waitcnt lgkmcnt(0)
	s_barrier
	s_and_saveexec_b64 s[10:11], s[0:1]
	s_cbranch_execz .LBB509_618
; %bb.609:                              ;   in Loop: Header=BB509_608 Depth=1
	v_lshlrev_b32_e32 v54, 3, v97
	v_lshl_add_u64 v[68:69], v[10:11], 0, v[54:55]
	v_lshlrev_b32_e32 v54, 3, v31
	v_lshl_add_u64 v[70:71], v[10:11], 0, v[54:55]
	s_mov_b64 s[14:15], 0
	s_branch .LBB509_612
.LBB509_610:                            ;   in Loop: Header=BB509_612 Depth=2
	s_or_b64 exec, exec, s[18:19]
	s_and_b64 s[0:1], s[20:21], exec
.LBB509_611:                            ;   in Loop: Header=BB509_612 Depth=2
	s_or_b64 exec, exec, s[16:17]
	v_add_u32_e32 v54, 1, v80
	v_cndmask_b32_e64 v100, v100, v80, s[0:1]
	v_cndmask_b32_e64 v99, v54, v99, s[0:1]
	v_cmp_ge_u32_e64 s[0:1], v99, v100
	s_or_b64 s[14:15], s[0:1], s[14:15]
	s_andn2_b64 exec, exec, s[14:15]
	s_cbranch_execz .LBB509_617
.LBB509_612:                            ;   Parent Loop BB509_608 Depth=1
                                        ; =>  This Loop Header: Depth=2
                                        ;       Child Loop BB509_615 Depth 3
	v_add_u32_e32 v54, v100, v99
	v_lshrrev_b32_e32 v80, 1, v54
	s_mov_b64 s[0:1], 0
	s_and_saveexec_b64 s[16:17], vcc
	s_cbranch_execz .LBB509_611
; %bb.613:                              ;   in Loop: Header=BB509_612 Depth=2
	v_mov_b32_e32 v81, v55
	v_xad_u32 v54, v80, -1, v98
	v_lshl_add_u64 v[82:83], v[80:81], 3, v[68:69]
	v_lshl_add_u64 v[84:85], v[54:55], 3, v[70:71]
	flat_load_dwordx2 v[82:83], v[82:83]
	s_mov_b64 s[18:19], 0
	flat_load_dwordx2 v[84:85], v[84:85]
                                        ; implicit-def: $sgpr20_sgpr21
                                        ; implicit-def: $sgpr22_sgpr23
                                        ; implicit-def: $sgpr24_sgpr25
                                        ; implicit-def: $sgpr2_sgpr3
                                        ; implicit-def: $sgpr26_sgpr27
	s_waitcnt vmcnt(0) lgkmcnt(0)
	v_mul_lo_u32 v54, v66, v83
	v_mul_lo_u32 v81, v67, v82
	v_mad_u64_u32 v[82:83], s[0:1], v66, v82, v[8:9]
	v_mul_lo_u32 v86, v66, v85
	v_mul_lo_u32 v87, v67, v84
	v_mad_u64_u32 v[84:85], s[0:1], v66, v84, v[8:9]
	v_add3_u32 v83, v81, v83, v54
	v_add3_u32 v85, v87, v85, v86
	v_mov_b64_e32 v[86:87], v[6:7]
	s_branch .LBB509_615
.LBB509_614:                            ;   in Loop: Header=BB509_615 Depth=3
	s_or_b64 exec, exec, s[28:29]
	s_and_b64 s[0:1], exec, s[22:23]
	s_or_b64 s[18:19], s[0:1], s[18:19]
	s_andn2_b64 s[0:1], s[26:27], exec
	s_and_b64 s[4:5], s[24:25], exec
	s_or_b64 s[26:27], s[0:1], s[4:5]
	s_andn2_b64 s[0:1], s[20:21], exec
	s_and_b64 s[4:5], s[2:3], exec
	s_or_b64 s[20:21], s[0:1], s[4:5]
	s_andn2_b64 exec, exec, s[18:19]
	s_cbranch_execz .LBB509_610
.LBB509_615:                            ;   Parent Loop BB509_608 Depth=1
                                        ;     Parent Loop BB509_612 Depth=2
                                        ; =>    This Inner Loop Header: Depth=3
	flat_load_dwordx2 v[102:103], v[84:85]
	flat_load_dwordx2 v[112:113], v[82:83]
	s_andn2_b64 s[28:29], s[2:3], exec
	s_andn2_b64 s[24:25], s[24:25], exec
	s_or_b64 s[22:23], s[22:23], exec
	s_waitcnt vmcnt(0) lgkmcnt(0)
	v_cmp_le_i64_e64 s[2:3], v[102:103], v[112:113]
	v_cmp_lt_i64_e64 s[0:1], v[102:103], v[112:113]
	s_and_b64 s[2:3], s[2:3], s[26:27]
	s_or_b64 s[30:31], s[0:1], s[2:3]
	s_and_b64 s[0:1], s[30:31], exec
	v_cmp_eq_u64_e64 s[4:5], v[102:103], v[112:113]
	s_or_b64 s[2:3], s[28:29], s[0:1]
	s_and_saveexec_b64 s[28:29], s[4:5]
	s_cbranch_execz .LBB509_614
; %bb.616:                              ;   in Loop: Header=BB509_615 Depth=3
	v_lshl_add_u64 v[86:87], v[86:87], 0, -1
	v_cmp_eq_u64_e64 s[0:1], 0, v[86:87]
	s_andn2_b64 s[4:5], s[24:25], exec
	s_and_b64 s[24:25], s[30:31], exec
	s_or_b64 s[24:25], s[4:5], s[24:25]
	s_andn2_b64 s[4:5], s[22:23], exec
	s_and_b64 s[0:1], s[0:1], exec
	v_lshl_add_u64 v[82:83], v[82:83], 0, 8
	v_lshl_add_u64 v[84:85], v[84:85], 0, 8
	s_andn2_b64 s[2:3], s[2:3], exec
	s_or_b64 s[22:23], s[4:5], s[0:1]
                                        ; implicit-def: $sgpr26_sgpr27
	s_branch .LBB509_614
.LBB509_617:                            ;   in Loop: Header=BB509_608 Depth=1
	s_or_b64 exec, exec, s[14:15]
.LBB509_618:                            ;   in Loop: Header=BB509_608 Depth=1
	s_or_b64 exec, exec, s[10:11]
	v_sub_u32_e32 v54, v98, v99
	v_add_u32_e32 v68, v99, v97
	v_add_u32_e32 v70, v54, v31
	v_cmp_le_u32_e64 s[0:1], v68, v31
	v_cmp_le_u32_e64 s[2:3], v70, v96
	s_or_b64 s[0:1], s[0:1], s[2:3]
	s_and_saveexec_b64 s[10:11], s[0:1]
	s_cbranch_execz .LBB509_702
; %bb.619:                              ;   in Loop: Header=BB509_608 Depth=1
	v_cmp_ge_u32_e64 s[0:1], v68, v31
	v_cmp_lt_u32_e64 s[2:3], v68, v31
                                        ; implicit-def: $vgpr0_vgpr1
	s_and_saveexec_b64 s[4:5], s[2:3]
	s_cbranch_execz .LBB509_621
; %bb.620:                              ;   in Loop: Header=BB509_608 Depth=1
	v_mov_b32_e32 v69, v55
	v_lshl_add_u64 v[0:1], v[68:69], 3, v[10:11]
	flat_load_dwordx2 v[0:1], v[0:1]
.LBB509_621:                            ;   in Loop: Header=BB509_608 Depth=1
	s_or_b64 exec, exec, s[4:5]
	v_cmp_ge_u32_e64 s[14:15], v70, v96
	v_cmp_lt_u32_e64 s[2:3], v70, v96
                                        ; implicit-def: $vgpr20_vgpr21
	s_and_saveexec_b64 s[4:5], s[2:3]
	s_cbranch_execz .LBB509_623
; %bb.622:                              ;   in Loop: Header=BB509_608 Depth=1
	v_mov_b32_e32 v71, v55
	v_lshl_add_u64 v[2:3], v[70:71], 3, v[10:11]
	flat_load_dwordx2 v[20:21], v[2:3]
.LBB509_623:                            ;   in Loop: Header=BB509_608 Depth=1
	s_or_b64 exec, exec, s[4:5]
	s_or_b64 s[0:1], s[0:1], s[14:15]
	s_xor_b64 s[0:1], s[0:1], -1
	s_and_saveexec_b64 s[16:17], s[0:1]
	s_cbranch_execz .LBB509_631
; %bb.624:                              ;   in Loop: Header=BB509_608 Depth=1
	s_mov_b64 s[0:1], 0
	s_and_saveexec_b64 s[18:19], vcc
	s_cbranch_execz .LBB509_630
; %bb.625:                              ;   in Loop: Header=BB509_608 Depth=1
	s_waitcnt vmcnt(0) lgkmcnt(0)
	v_mad_u64_u32 v[2:3], s[0:1], v66, v0, v[8:9]
	v_mul_lo_u32 v12, v66, v1
	v_mul_lo_u32 v13, v67, v0
	v_add3_u32 v3, v13, v3, v12
	v_mad_u64_u32 v[12:13], s[0:1], v66, v20, v[8:9]
	v_mul_lo_u32 v14, v66, v21
	v_mul_lo_u32 v15, v67, v20
	v_add3_u32 v13, v15, v13, v14
	s_mov_b64 s[20:21], 0
	v_mov_b64_e32 v[14:15], v[6:7]
                                        ; implicit-def: $sgpr22_sgpr23
                                        ; implicit-def: $sgpr24_sgpr25
                                        ; implicit-def: $sgpr26_sgpr27
                                        ; implicit-def: $sgpr2_sgpr3
                                        ; implicit-def: $sgpr28_sgpr29
	s_branch .LBB509_627
.LBB509_626:                            ;   in Loop: Header=BB509_627 Depth=2
	s_or_b64 exec, exec, s[30:31]
	s_and_b64 s[0:1], exec, s[24:25]
	s_or_b64 s[20:21], s[0:1], s[20:21]
	s_andn2_b64 s[0:1], s[28:29], exec
	s_and_b64 s[4:5], s[26:27], exec
	s_or_b64 s[28:29], s[0:1], s[4:5]
	s_andn2_b64 s[0:1], s[22:23], exec
	s_and_b64 s[4:5], s[2:3], exec
	s_or_b64 s[22:23], s[0:1], s[4:5]
	s_andn2_b64 exec, exec, s[20:21]
	s_cbranch_execz .LBB509_629
.LBB509_627:                            ;   Parent Loop BB509_608 Depth=1
                                        ; =>  This Inner Loop Header: Depth=2
	flat_load_dwordx2 v[16:17], v[12:13]
	flat_load_dwordx2 v[18:19], v[2:3]
	s_andn2_b64 s[30:31], s[2:3], exec
	s_andn2_b64 s[26:27], s[26:27], exec
	s_or_b64 s[24:25], s[24:25], exec
	s_waitcnt vmcnt(0) lgkmcnt(0)
	v_cmp_le_i64_e64 s[2:3], v[16:17], v[18:19]
	v_cmp_lt_i64_e64 s[0:1], v[16:17], v[18:19]
	s_and_b64 s[2:3], s[2:3], s[28:29]
	s_or_b64 s[34:35], s[0:1], s[2:3]
	s_and_b64 s[0:1], s[34:35], exec
	v_cmp_eq_u64_e64 s[4:5], v[16:17], v[18:19]
	s_or_b64 s[2:3], s[30:31], s[0:1]
	s_and_saveexec_b64 s[30:31], s[4:5]
	s_cbranch_execz .LBB509_626
; %bb.628:                              ;   in Loop: Header=BB509_627 Depth=2
	v_lshl_add_u64 v[14:15], v[14:15], 0, -1
	v_cmp_eq_u64_e64 s[0:1], 0, v[14:15]
	s_andn2_b64 s[4:5], s[26:27], exec
	s_and_b64 s[26:27], s[34:35], exec
	s_or_b64 s[26:27], s[4:5], s[26:27]
	s_andn2_b64 s[4:5], s[24:25], exec
	s_and_b64 s[0:1], s[0:1], exec
	v_lshl_add_u64 v[2:3], v[2:3], 0, 8
	v_lshl_add_u64 v[12:13], v[12:13], 0, 8
	s_andn2_b64 s[2:3], s[2:3], exec
	s_or_b64 s[24:25], s[4:5], s[0:1]
                                        ; implicit-def: $sgpr28_sgpr29
	s_branch .LBB509_626
.LBB509_629:                            ;   in Loop: Header=BB509_608 Depth=1
	s_or_b64 exec, exec, s[20:21]
	s_and_b64 s[0:1], s[22:23], exec
.LBB509_630:                            ;   in Loop: Header=BB509_608 Depth=1
	s_or_b64 exec, exec, s[18:19]
	s_xor_b64 s[0:1], s[0:1], -1
	s_andn2_b64 s[2:3], s[14:15], exec
	s_and_b64 s[0:1], s[0:1], exec
	s_or_b64 s[14:15], s[2:3], s[0:1]
.LBB509_631:                            ;   in Loop: Header=BB509_608 Depth=1
	s_or_b64 exec, exec, s[16:17]
	v_cndmask_b32_e64 v2, v70, v68, s[14:15]
	v_cndmask_b32_e64 v3, v96, v31, s[14:15]
	v_add_u32_e32 v12, 1, v2
	v_add_u32_e32 v2, -1, v3
	v_min_u32_e32 v54, v12, v2
	v_lshl_add_u64 v[2:3], v[54:55], 3, v[10:11]
	flat_load_dwordx2 v[2:3], v[2:3]
	v_cndmask_b32_e64 v16, v12, v70, s[14:15]
	s_mov_b64 s[16:17], -1
	v_cndmask_b32_e64 v17, v68, v12, s[14:15]
	v_cmp_lt_u32_e64 s[0:1], v16, v96
	s_mov_b64 s[18:19], -1
	s_waitcnt vmcnt(0) lgkmcnt(0)
	v_cndmask_b32_e64 v22, v3, v21, s[14:15]
	v_cndmask_b32_e64 v68, v2, v20, s[14:15]
	;; [unrolled: 1-line block ×4, first 2 shown]
	s_and_saveexec_b64 s[20:21], s[0:1]
	s_cbranch_execz .LBB509_641
; %bb.632:                              ;   in Loop: Header=BB509_608 Depth=1
	v_cmp_lt_u32_e64 s[0:1], v17, v31
	s_mov_b64 s[2:3], 0
	s_and_saveexec_b64 s[18:19], s[0:1]
	s_cbranch_execz .LBB509_640
; %bb.633:                              ;   in Loop: Header=BB509_608 Depth=1
	s_mov_b64 s[0:1], 0
	s_and_saveexec_b64 s[22:23], vcc
	s_cbranch_execz .LBB509_639
; %bb.634:                              ;   in Loop: Header=BB509_608 Depth=1
	v_mad_u64_u32 v[2:3], s[0:1], v66, v69, v[8:9]
	v_mul_lo_u32 v12, v66, v23
	v_mul_lo_u32 v13, v67, v69
	v_add3_u32 v3, v13, v3, v12
	v_mad_u64_u32 v[12:13], s[0:1], v66, v68, v[8:9]
	v_mul_lo_u32 v14, v66, v22
	v_mul_lo_u32 v15, v67, v68
	v_add3_u32 v13, v15, v13, v14
	s_mov_b64 s[24:25], 0
	v_mov_b64_e32 v[14:15], v[6:7]
                                        ; implicit-def: $sgpr26_sgpr27
                                        ; implicit-def: $sgpr28_sgpr29
                                        ; implicit-def: $sgpr30_sgpr31
                                        ; implicit-def: $sgpr2_sgpr3
                                        ; implicit-def: $sgpr34_sgpr35
	s_branch .LBB509_636
.LBB509_635:                            ;   in Loop: Header=BB509_636 Depth=2
	s_or_b64 exec, exec, s[36:37]
	s_and_b64 s[0:1], exec, s[28:29]
	s_or_b64 s[24:25], s[0:1], s[24:25]
	s_andn2_b64 s[0:1], s[34:35], exec
	s_and_b64 s[4:5], s[30:31], exec
	s_or_b64 s[34:35], s[0:1], s[4:5]
	s_andn2_b64 s[0:1], s[26:27], exec
	s_and_b64 s[4:5], s[2:3], exec
	s_or_b64 s[26:27], s[0:1], s[4:5]
	s_andn2_b64 exec, exec, s[24:25]
	s_cbranch_execz .LBB509_638
.LBB509_636:                            ;   Parent Loop BB509_608 Depth=1
                                        ; =>  This Inner Loop Header: Depth=2
	flat_load_dwordx2 v[18:19], v[12:13]
	flat_load_dwordx2 v[70:71], v[2:3]
	s_andn2_b64 s[36:37], s[2:3], exec
	s_andn2_b64 s[30:31], s[30:31], exec
	s_or_b64 s[28:29], s[28:29], exec
	s_waitcnt vmcnt(0) lgkmcnt(0)
	v_cmp_le_i64_e64 s[2:3], v[18:19], v[70:71]
	v_cmp_lt_i64_e64 s[0:1], v[18:19], v[70:71]
	s_and_b64 s[2:3], s[2:3], s[34:35]
	s_or_b64 s[38:39], s[0:1], s[2:3]
	s_and_b64 s[0:1], s[38:39], exec
	v_cmp_eq_u64_e64 s[4:5], v[18:19], v[70:71]
	s_or_b64 s[2:3], s[36:37], s[0:1]
	s_and_saveexec_b64 s[36:37], s[4:5]
	s_cbranch_execz .LBB509_635
; %bb.637:                              ;   in Loop: Header=BB509_636 Depth=2
	v_lshl_add_u64 v[14:15], v[14:15], 0, -1
	v_cmp_eq_u64_e64 s[0:1], 0, v[14:15]
	s_andn2_b64 s[4:5], s[30:31], exec
	s_and_b64 s[30:31], s[38:39], exec
	s_or_b64 s[30:31], s[4:5], s[30:31]
	s_andn2_b64 s[4:5], s[28:29], exec
	s_and_b64 s[0:1], s[0:1], exec
	v_lshl_add_u64 v[2:3], v[2:3], 0, 8
	v_lshl_add_u64 v[12:13], v[12:13], 0, 8
	s_andn2_b64 s[2:3], s[2:3], exec
	s_or_b64 s[28:29], s[4:5], s[0:1]
                                        ; implicit-def: $sgpr34_sgpr35
	s_branch .LBB509_635
.LBB509_638:                            ;   in Loop: Header=BB509_608 Depth=1
	s_or_b64 exec, exec, s[24:25]
	s_and_b64 s[0:1], s[26:27], exec
.LBB509_639:                            ;   in Loop: Header=BB509_608 Depth=1
	s_or_b64 exec, exec, s[22:23]
	s_xor_b64 s[0:1], s[0:1], -1
	s_and_b64 s[2:3], s[0:1], exec
.LBB509_640:                            ;   in Loop: Header=BB509_608 Depth=1
	s_or_b64 exec, exec, s[18:19]
	s_orn2_b64 s[18:19], s[2:3], exec
.LBB509_641:                            ;   in Loop: Header=BB509_608 Depth=1
	s_or_b64 exec, exec, s[20:21]
	v_cndmask_b32_e64 v2, v16, v17, s[18:19]
	v_cndmask_b32_e64 v3, v96, v31, s[18:19]
	v_add_u32_e32 v12, 1, v2
	v_add_u32_e32 v2, -1, v3
	v_min_u32_e32 v54, v12, v2
	v_lshl_add_u64 v[2:3], v[54:55], 3, v[10:11]
	flat_load_dwordx2 v[2:3], v[2:3]
	v_cndmask_b32_e64 v16, v12, v16, s[18:19]
	v_cndmask_b32_e64 v17, v17, v12, s[18:19]
	v_cmp_lt_u32_e64 s[0:1], v16, v96
	s_waitcnt vmcnt(0) lgkmcnt(0)
	v_cndmask_b32_e64 v70, v3, v22, s[18:19]
	v_cndmask_b32_e64 v71, v2, v68, s[18:19]
	v_cndmask_b32_e64 v80, v23, v3, s[18:19]
	v_cndmask_b32_e64 v81, v69, v2, s[18:19]
	s_and_saveexec_b64 s[20:21], s[0:1]
	s_cbranch_execz .LBB509_651
; %bb.642:                              ;   in Loop: Header=BB509_608 Depth=1
	v_cmp_lt_u32_e64 s[0:1], v17, v31
	s_mov_b64 s[2:3], 0
	s_and_saveexec_b64 s[16:17], s[0:1]
	s_cbranch_execz .LBB509_650
; %bb.643:                              ;   in Loop: Header=BB509_608 Depth=1
	s_mov_b64 s[0:1], 0
	s_and_saveexec_b64 s[22:23], vcc
	s_cbranch_execz .LBB509_649
; %bb.644:                              ;   in Loop: Header=BB509_608 Depth=1
	v_mad_u64_u32 v[2:3], s[0:1], v66, v81, v[8:9]
	v_mul_lo_u32 v12, v66, v80
	v_mul_lo_u32 v13, v67, v81
	v_add3_u32 v3, v13, v3, v12
	v_mad_u64_u32 v[12:13], s[0:1], v66, v71, v[8:9]
	v_mul_lo_u32 v14, v66, v70
	v_mul_lo_u32 v15, v67, v71
	v_add3_u32 v13, v15, v13, v14
	s_mov_b64 s[24:25], 0
	v_mov_b64_e32 v[14:15], v[6:7]
                                        ; implicit-def: $sgpr26_sgpr27
                                        ; implicit-def: $sgpr28_sgpr29
                                        ; implicit-def: $sgpr30_sgpr31
                                        ; implicit-def: $sgpr2_sgpr3
                                        ; implicit-def: $sgpr34_sgpr35
	s_branch .LBB509_646
.LBB509_645:                            ;   in Loop: Header=BB509_646 Depth=2
	s_or_b64 exec, exec, s[36:37]
	s_and_b64 s[0:1], exec, s[28:29]
	s_or_b64 s[24:25], s[0:1], s[24:25]
	s_andn2_b64 s[0:1], s[34:35], exec
	s_and_b64 s[4:5], s[30:31], exec
	s_or_b64 s[34:35], s[0:1], s[4:5]
	s_andn2_b64 s[0:1], s[26:27], exec
	s_and_b64 s[4:5], s[2:3], exec
	s_or_b64 s[26:27], s[0:1], s[4:5]
	s_andn2_b64 exec, exec, s[24:25]
	s_cbranch_execz .LBB509_648
.LBB509_646:                            ;   Parent Loop BB509_608 Depth=1
                                        ; =>  This Inner Loop Header: Depth=2
	flat_load_dwordx2 v[18:19], v[12:13]
	flat_load_dwordx2 v[82:83], v[2:3]
	s_andn2_b64 s[36:37], s[2:3], exec
	s_andn2_b64 s[30:31], s[30:31], exec
	s_or_b64 s[28:29], s[28:29], exec
	s_waitcnt vmcnt(0) lgkmcnt(0)
	v_cmp_le_i64_e64 s[2:3], v[18:19], v[82:83]
	v_cmp_lt_i64_e64 s[0:1], v[18:19], v[82:83]
	s_and_b64 s[2:3], s[2:3], s[34:35]
	s_or_b64 s[38:39], s[0:1], s[2:3]
	s_and_b64 s[0:1], s[38:39], exec
	v_cmp_eq_u64_e64 s[4:5], v[18:19], v[82:83]
	s_or_b64 s[2:3], s[36:37], s[0:1]
	s_and_saveexec_b64 s[36:37], s[4:5]
	s_cbranch_execz .LBB509_645
; %bb.647:                              ;   in Loop: Header=BB509_646 Depth=2
	v_lshl_add_u64 v[14:15], v[14:15], 0, -1
	v_cmp_eq_u64_e64 s[0:1], 0, v[14:15]
	s_andn2_b64 s[4:5], s[30:31], exec
	s_and_b64 s[30:31], s[38:39], exec
	s_or_b64 s[30:31], s[4:5], s[30:31]
	s_andn2_b64 s[4:5], s[28:29], exec
	s_and_b64 s[0:1], s[0:1], exec
	v_lshl_add_u64 v[2:3], v[2:3], 0, 8
	v_lshl_add_u64 v[12:13], v[12:13], 0, 8
	s_andn2_b64 s[2:3], s[2:3], exec
	s_or_b64 s[28:29], s[4:5], s[0:1]
                                        ; implicit-def: $sgpr34_sgpr35
	s_branch .LBB509_645
.LBB509_648:                            ;   in Loop: Header=BB509_608 Depth=1
	s_or_b64 exec, exec, s[24:25]
	s_and_b64 s[0:1], s[26:27], exec
.LBB509_649:                            ;   in Loop: Header=BB509_608 Depth=1
	s_or_b64 exec, exec, s[22:23]
	s_xor_b64 s[0:1], s[0:1], -1
	s_and_b64 s[2:3], s[0:1], exec
.LBB509_650:                            ;   in Loop: Header=BB509_608 Depth=1
	s_or_b64 exec, exec, s[16:17]
	s_orn2_b64 s[16:17], s[2:3], exec
.LBB509_651:                            ;   in Loop: Header=BB509_608 Depth=1
	s_or_b64 exec, exec, s[20:21]
	v_cndmask_b32_e64 v2, v16, v17, s[16:17]
	v_cndmask_b32_e64 v3, v96, v31, s[16:17]
	v_add_u32_e32 v12, 1, v2
	v_add_u32_e32 v2, -1, v3
	v_min_u32_e32 v54, v12, v2
	v_lshl_add_u64 v[2:3], v[54:55], 3, v[10:11]
	flat_load_dwordx2 v[2:3], v[2:3]
	v_cndmask_b32_e64 v16, v12, v16, s[16:17]
	s_mov_b64 s[20:21], -1
	v_cndmask_b32_e64 v17, v17, v12, s[16:17]
	v_cmp_lt_u32_e64 s[0:1], v16, v96
	s_mov_b64 s[22:23], -1
	s_waitcnt vmcnt(0) lgkmcnt(0)
	v_cndmask_b32_e64 v82, v3, v70, s[16:17]
	v_cndmask_b32_e64 v83, v2, v71, s[16:17]
	;; [unrolled: 1-line block ×4, first 2 shown]
	s_and_saveexec_b64 s[24:25], s[0:1]
	s_cbranch_execz .LBB509_661
; %bb.652:                              ;   in Loop: Header=BB509_608 Depth=1
	v_cmp_lt_u32_e64 s[0:1], v17, v31
	s_mov_b64 s[2:3], 0
	s_and_saveexec_b64 s[22:23], s[0:1]
	s_cbranch_execz .LBB509_660
; %bb.653:                              ;   in Loop: Header=BB509_608 Depth=1
	s_mov_b64 s[0:1], -1
	s_and_saveexec_b64 s[26:27], vcc
	s_cbranch_execz .LBB509_659
; %bb.654:                              ;   in Loop: Header=BB509_608 Depth=1
	v_mad_u64_u32 v[2:3], s[0:1], v66, v85, v[8:9]
	v_mul_lo_u32 v12, v66, v84
	v_mul_lo_u32 v13, v67, v85
	v_add3_u32 v3, v13, v3, v12
	v_mad_u64_u32 v[12:13], s[0:1], v66, v83, v[8:9]
	v_mul_lo_u32 v14, v66, v82
	v_mul_lo_u32 v15, v67, v83
	v_add3_u32 v13, v15, v13, v14
	s_mov_b64 s[28:29], 0
	v_mov_b64_e32 v[14:15], v[6:7]
                                        ; implicit-def: $sgpr30_sgpr31
                                        ; implicit-def: $sgpr34_sgpr35
                                        ; implicit-def: $sgpr2_sgpr3
                                        ; implicit-def: $sgpr36_sgpr37
                                        ; implicit-def: $sgpr38_sgpr39
	s_branch .LBB509_656
.LBB509_655:                            ;   in Loop: Header=BB509_656 Depth=2
	s_or_b64 exec, exec, s[40:41]
	s_and_b64 s[0:1], exec, s[34:35]
	s_or_b64 s[28:29], s[0:1], s[28:29]
	s_andn2_b64 s[0:1], s[38:39], exec
	s_and_b64 s[4:5], s[36:37], exec
	s_or_b64 s[38:39], s[0:1], s[4:5]
	s_andn2_b64 s[0:1], s[30:31], exec
	s_and_b64 s[4:5], s[2:3], exec
	s_or_b64 s[30:31], s[0:1], s[4:5]
	s_andn2_b64 exec, exec, s[28:29]
	s_cbranch_execz .LBB509_658
.LBB509_656:                            ;   Parent Loop BB509_608 Depth=1
                                        ; =>  This Inner Loop Header: Depth=2
	flat_load_dwordx2 v[18:19], v[12:13]
	flat_load_dwordx2 v[86:87], v[2:3]
	s_andn2_b64 s[40:41], s[2:3], exec
	s_andn2_b64 s[36:37], s[36:37], exec
	s_or_b64 s[34:35], s[34:35], exec
	s_waitcnt vmcnt(0) lgkmcnt(0)
	v_cmp_le_i64_e64 s[2:3], v[18:19], v[86:87]
	v_cmp_lt_i64_e64 s[0:1], v[18:19], v[86:87]
	s_and_b64 s[2:3], s[2:3], s[38:39]
	s_or_b64 s[42:43], s[0:1], s[2:3]
	s_and_b64 s[0:1], s[42:43], exec
	v_cmp_eq_u64_e64 s[4:5], v[18:19], v[86:87]
	s_or_b64 s[2:3], s[40:41], s[0:1]
	s_and_saveexec_b64 s[40:41], s[4:5]
	s_cbranch_execz .LBB509_655
; %bb.657:                              ;   in Loop: Header=BB509_656 Depth=2
	v_lshl_add_u64 v[14:15], v[14:15], 0, -1
	v_cmp_eq_u64_e64 s[0:1], 0, v[14:15]
	s_andn2_b64 s[4:5], s[36:37], exec
	s_and_b64 s[36:37], s[42:43], exec
	s_or_b64 s[36:37], s[4:5], s[36:37]
	s_andn2_b64 s[4:5], s[34:35], exec
	s_and_b64 s[0:1], s[0:1], exec
	v_lshl_add_u64 v[2:3], v[2:3], 0, 8
	v_lshl_add_u64 v[12:13], v[12:13], 0, 8
	s_andn2_b64 s[2:3], s[2:3], exec
	s_or_b64 s[34:35], s[4:5], s[0:1]
                                        ; implicit-def: $sgpr38_sgpr39
	s_branch .LBB509_655
.LBB509_658:                            ;   in Loop: Header=BB509_608 Depth=1
	s_or_b64 exec, exec, s[28:29]
	s_xor_b64 s[0:1], s[30:31], -1
	s_orn2_b64 s[0:1], s[0:1], exec
.LBB509_659:                            ;   in Loop: Header=BB509_608 Depth=1
	s_or_b64 exec, exec, s[26:27]
	s_and_b64 s[2:3], s[0:1], exec
.LBB509_660:                            ;   in Loop: Header=BB509_608 Depth=1
	s_or_b64 exec, exec, s[22:23]
	s_orn2_b64 s[22:23], s[2:3], exec
.LBB509_661:                            ;   in Loop: Header=BB509_608 Depth=1
	s_or_b64 exec, exec, s[24:25]
	v_cndmask_b32_e64 v2, v16, v17, s[22:23]
	v_cndmask_b32_e64 v3, v96, v31, s[22:23]
	v_add_u32_e32 v12, 1, v2
	v_add_u32_e32 v2, -1, v3
	v_min_u32_e32 v54, v12, v2
	v_lshl_add_u64 v[2:3], v[54:55], 3, v[10:11]
	flat_load_dwordx2 v[2:3], v[2:3]
	v_cndmask_b32_e64 v16, v12, v16, s[22:23]
	v_cndmask_b32_e64 v17, v17, v12, s[22:23]
	v_cmp_lt_u32_e64 s[0:1], v16, v96
	s_waitcnt vmcnt(0) lgkmcnt(0)
	v_cndmask_b32_e64 v86, v3, v82, s[22:23]
	v_cndmask_b32_e64 v87, v2, v83, s[22:23]
	;; [unrolled: 1-line block ×4, first 2 shown]
	s_and_saveexec_b64 s[24:25], s[0:1]
	s_cbranch_execz .LBB509_671
; %bb.662:                              ;   in Loop: Header=BB509_608 Depth=1
	v_cmp_lt_u32_e64 s[0:1], v17, v31
	s_mov_b64 s[2:3], 0
	s_and_saveexec_b64 s[20:21], s[0:1]
	s_cbranch_execz .LBB509_670
; %bb.663:                              ;   in Loop: Header=BB509_608 Depth=1
	s_mov_b64 s[0:1], -1
	s_and_saveexec_b64 s[26:27], vcc
	s_cbranch_execz .LBB509_669
; %bb.664:                              ;   in Loop: Header=BB509_608 Depth=1
	v_mad_u64_u32 v[2:3], s[0:1], v66, v98, v[8:9]
	v_mul_lo_u32 v12, v66, v97
	v_mul_lo_u32 v13, v67, v98
	v_add3_u32 v3, v13, v3, v12
	v_mad_u64_u32 v[12:13], s[0:1], v66, v87, v[8:9]
	v_mul_lo_u32 v14, v66, v86
	v_mul_lo_u32 v15, v67, v87
	v_add3_u32 v13, v15, v13, v14
	s_mov_b64 s[28:29], 0
	v_mov_b64_e32 v[14:15], v[6:7]
                                        ; implicit-def: $sgpr30_sgpr31
                                        ; implicit-def: $sgpr34_sgpr35
                                        ; implicit-def: $sgpr2_sgpr3
                                        ; implicit-def: $sgpr36_sgpr37
                                        ; implicit-def: $sgpr38_sgpr39
	s_branch .LBB509_666
.LBB509_665:                            ;   in Loop: Header=BB509_666 Depth=2
	s_or_b64 exec, exec, s[40:41]
	s_and_b64 s[0:1], exec, s[34:35]
	s_or_b64 s[28:29], s[0:1], s[28:29]
	s_andn2_b64 s[0:1], s[38:39], exec
	s_and_b64 s[4:5], s[36:37], exec
	s_or_b64 s[38:39], s[0:1], s[4:5]
	s_andn2_b64 s[0:1], s[30:31], exec
	s_and_b64 s[4:5], s[2:3], exec
	s_or_b64 s[30:31], s[0:1], s[4:5]
	s_andn2_b64 exec, exec, s[28:29]
	s_cbranch_execz .LBB509_668
.LBB509_666:                            ;   Parent Loop BB509_608 Depth=1
                                        ; =>  This Inner Loop Header: Depth=2
	flat_load_dwordx2 v[18:19], v[12:13]
	flat_load_dwordx2 v[100:101], v[2:3]
	s_andn2_b64 s[40:41], s[2:3], exec
	s_andn2_b64 s[36:37], s[36:37], exec
	s_or_b64 s[34:35], s[34:35], exec
	s_waitcnt vmcnt(0) lgkmcnt(0)
	v_cmp_le_i64_e64 s[2:3], v[18:19], v[100:101]
	v_cmp_lt_i64_e64 s[0:1], v[18:19], v[100:101]
	s_and_b64 s[2:3], s[2:3], s[38:39]
	s_or_b64 s[42:43], s[0:1], s[2:3]
	s_and_b64 s[0:1], s[42:43], exec
	v_cmp_eq_u64_e64 s[4:5], v[18:19], v[100:101]
	s_or_b64 s[2:3], s[40:41], s[0:1]
	s_and_saveexec_b64 s[40:41], s[4:5]
	s_cbranch_execz .LBB509_665
; %bb.667:                              ;   in Loop: Header=BB509_666 Depth=2
	v_lshl_add_u64 v[14:15], v[14:15], 0, -1
	v_cmp_eq_u64_e64 s[0:1], 0, v[14:15]
	s_andn2_b64 s[4:5], s[36:37], exec
	s_and_b64 s[36:37], s[42:43], exec
	s_or_b64 s[36:37], s[4:5], s[36:37]
	s_andn2_b64 s[4:5], s[34:35], exec
	s_and_b64 s[0:1], s[0:1], exec
	v_lshl_add_u64 v[2:3], v[2:3], 0, 8
	v_lshl_add_u64 v[12:13], v[12:13], 0, 8
	s_andn2_b64 s[2:3], s[2:3], exec
	s_or_b64 s[34:35], s[4:5], s[0:1]
                                        ; implicit-def: $sgpr38_sgpr39
	s_branch .LBB509_665
.LBB509_668:                            ;   in Loop: Header=BB509_608 Depth=1
	s_or_b64 exec, exec, s[28:29]
	s_xor_b64 s[0:1], s[30:31], -1
	s_orn2_b64 s[0:1], s[0:1], exec
.LBB509_669:                            ;   in Loop: Header=BB509_608 Depth=1
	s_or_b64 exec, exec, s[26:27]
	s_and_b64 s[2:3], s[0:1], exec
.LBB509_670:                            ;   in Loop: Header=BB509_608 Depth=1
	s_or_b64 exec, exec, s[20:21]
	s_orn2_b64 s[20:21], s[2:3], exec
.LBB509_671:                            ;   in Loop: Header=BB509_608 Depth=1
	s_or_b64 exec, exec, s[24:25]
	v_cndmask_b32_e64 v2, v16, v17, s[20:21]
	v_cndmask_b32_e64 v3, v96, v31, s[20:21]
	v_add_u32_e32 v12, 1, v2
	v_add_u32_e32 v2, -1, v3
	v_min_u32_e32 v54, v12, v2
	v_lshl_add_u64 v[2:3], v[54:55], 3, v[10:11]
	flat_load_dwordx2 v[2:3], v[2:3]
	v_cndmask_b32_e64 v16, v12, v16, s[20:21]
	s_mov_b64 s[24:25], -1
	v_cndmask_b32_e64 v17, v17, v12, s[20:21]
	v_cmp_lt_u32_e64 s[0:1], v16, v96
	s_mov_b64 s[26:27], -1
	s_waitcnt vmcnt(0) lgkmcnt(0)
	v_cndmask_b32_e64 v99, v3, v86, s[20:21]
	v_cndmask_b32_e64 v100, v2, v87, s[20:21]
	v_cndmask_b32_e64 v101, v97, v3, s[20:21]
	v_cndmask_b32_e64 v102, v98, v2, s[20:21]
	s_and_saveexec_b64 s[28:29], s[0:1]
	s_cbranch_execz .LBB509_681
; %bb.672:                              ;   in Loop: Header=BB509_608 Depth=1
	v_cmp_lt_u32_e64 s[0:1], v17, v31
	s_mov_b64 s[2:3], 0
	s_and_saveexec_b64 s[26:27], s[0:1]
	s_cbranch_execz .LBB509_680
; %bb.673:                              ;   in Loop: Header=BB509_608 Depth=1
	s_mov_b64 s[0:1], -1
	s_and_saveexec_b64 s[30:31], vcc
	s_cbranch_execz .LBB509_679
; %bb.674:                              ;   in Loop: Header=BB509_608 Depth=1
	v_mad_u64_u32 v[2:3], s[0:1], v66, v102, v[8:9]
	v_mul_lo_u32 v12, v66, v101
	v_mul_lo_u32 v13, v67, v102
	v_add3_u32 v3, v13, v3, v12
	v_mad_u64_u32 v[12:13], s[0:1], v66, v100, v[8:9]
	v_mul_lo_u32 v14, v66, v99
	v_mul_lo_u32 v15, v67, v100
	v_add3_u32 v13, v15, v13, v14
	s_mov_b64 s[34:35], 0
	v_mov_b64_e32 v[14:15], v[6:7]
                                        ; implicit-def: $sgpr36_sgpr37
                                        ; implicit-def: $sgpr38_sgpr39
                                        ; implicit-def: $sgpr2_sgpr3
                                        ; implicit-def: $sgpr40_sgpr41
                                        ; implicit-def: $sgpr42_sgpr43
	s_branch .LBB509_676
.LBB509_675:                            ;   in Loop: Header=BB509_676 Depth=2
	s_or_b64 exec, exec, s[44:45]
	s_and_b64 s[0:1], exec, s[38:39]
	s_or_b64 s[34:35], s[0:1], s[34:35]
	s_andn2_b64 s[0:1], s[42:43], exec
	s_and_b64 s[4:5], s[40:41], exec
	s_or_b64 s[42:43], s[0:1], s[4:5]
	s_andn2_b64 s[0:1], s[36:37], exec
	s_and_b64 s[4:5], s[2:3], exec
	s_or_b64 s[36:37], s[0:1], s[4:5]
	s_andn2_b64 exec, exec, s[34:35]
	s_cbranch_execz .LBB509_678
.LBB509_676:                            ;   Parent Loop BB509_608 Depth=1
                                        ; =>  This Inner Loop Header: Depth=2
	flat_load_dwordx2 v[18:19], v[12:13]
	flat_load_dwordx2 v[112:113], v[2:3]
	s_andn2_b64 s[44:45], s[2:3], exec
	s_andn2_b64 s[40:41], s[40:41], exec
	s_or_b64 s[38:39], s[38:39], exec
	s_waitcnt vmcnt(0) lgkmcnt(0)
	v_cmp_le_i64_e64 s[2:3], v[18:19], v[112:113]
	v_cmp_lt_i64_e64 s[0:1], v[18:19], v[112:113]
	s_and_b64 s[2:3], s[2:3], s[42:43]
	s_or_b64 s[46:47], s[0:1], s[2:3]
	s_and_b64 s[0:1], s[46:47], exec
	v_cmp_eq_u64_e64 s[4:5], v[18:19], v[112:113]
	s_or_b64 s[2:3], s[44:45], s[0:1]
	s_and_saveexec_b64 s[44:45], s[4:5]
	s_cbranch_execz .LBB509_675
; %bb.677:                              ;   in Loop: Header=BB509_676 Depth=2
	v_lshl_add_u64 v[14:15], v[14:15], 0, -1
	v_cmp_eq_u64_e64 s[0:1], 0, v[14:15]
	s_andn2_b64 s[4:5], s[40:41], exec
	s_and_b64 s[40:41], s[46:47], exec
	s_or_b64 s[40:41], s[4:5], s[40:41]
	s_andn2_b64 s[4:5], s[38:39], exec
	s_and_b64 s[0:1], s[0:1], exec
	v_lshl_add_u64 v[2:3], v[2:3], 0, 8
	v_lshl_add_u64 v[12:13], v[12:13], 0, 8
	s_andn2_b64 s[2:3], s[2:3], exec
	s_or_b64 s[38:39], s[4:5], s[0:1]
                                        ; implicit-def: $sgpr42_sgpr43
	s_branch .LBB509_675
.LBB509_678:                            ;   in Loop: Header=BB509_608 Depth=1
	s_or_b64 exec, exec, s[34:35]
	s_xor_b64 s[0:1], s[36:37], -1
	s_orn2_b64 s[0:1], s[0:1], exec
.LBB509_679:                            ;   in Loop: Header=BB509_608 Depth=1
	s_or_b64 exec, exec, s[30:31]
	s_and_b64 s[2:3], s[0:1], exec
.LBB509_680:                            ;   in Loop: Header=BB509_608 Depth=1
	s_or_b64 exec, exec, s[26:27]
	s_orn2_b64 s[26:27], s[2:3], exec
.LBB509_681:                            ;   in Loop: Header=BB509_608 Depth=1
	s_or_b64 exec, exec, s[28:29]
	v_cndmask_b32_e64 v2, v16, v17, s[26:27]
	v_cndmask_b32_e64 v3, v96, v31, s[26:27]
	v_add_u32_e32 v12, 1, v2
	v_add_u32_e32 v2, -1, v3
	v_min_u32_e32 v54, v12, v2
	v_lshl_add_u64 v[2:3], v[54:55], 3, v[10:11]
	flat_load_dwordx2 v[2:3], v[2:3]
	v_cndmask_b32_e64 v18, v12, v16, s[26:27]
	v_cndmask_b32_e64 v16, v17, v12, s[26:27]
	v_cmp_lt_u32_e64 s[0:1], v18, v96
	s_waitcnt vmcnt(0) lgkmcnt(0)
	v_cndmask_b32_e64 v103, v3, v99, s[26:27]
	v_cndmask_b32_e64 v112, v2, v100, s[26:27]
	;; [unrolled: 1-line block ×4, first 2 shown]
	s_and_saveexec_b64 s[28:29], s[0:1]
	s_cbranch_execz .LBB509_691
; %bb.682:                              ;   in Loop: Header=BB509_608 Depth=1
	v_cmp_lt_u32_e64 s[0:1], v16, v31
	s_mov_b64 s[2:3], 0
	s_and_saveexec_b64 s[24:25], s[0:1]
	s_cbranch_execz .LBB509_690
; %bb.683:                              ;   in Loop: Header=BB509_608 Depth=1
	s_mov_b64 s[0:1], -1
	s_and_saveexec_b64 s[30:31], vcc
	s_cbranch_execz .LBB509_689
; %bb.684:                              ;   in Loop: Header=BB509_608 Depth=1
	v_mad_u64_u32 v[2:3], s[0:1], v66, v114, v[8:9]
	v_mul_lo_u32 v12, v66, v113
	v_mul_lo_u32 v13, v67, v114
	v_add3_u32 v3, v13, v3, v12
	v_mad_u64_u32 v[12:13], s[0:1], v66, v112, v[8:9]
	v_mul_lo_u32 v14, v66, v103
	v_mul_lo_u32 v15, v67, v112
	v_add3_u32 v13, v15, v13, v14
	s_mov_b64 s[34:35], 0
	v_mov_b64_e32 v[14:15], v[6:7]
                                        ; implicit-def: $sgpr36_sgpr37
                                        ; implicit-def: $sgpr38_sgpr39
                                        ; implicit-def: $sgpr2_sgpr3
                                        ; implicit-def: $sgpr40_sgpr41
                                        ; implicit-def: $sgpr42_sgpr43
	s_branch .LBB509_686
.LBB509_685:                            ;   in Loop: Header=BB509_686 Depth=2
	s_or_b64 exec, exec, s[44:45]
	s_and_b64 s[0:1], exec, s[38:39]
	s_or_b64 s[34:35], s[0:1], s[34:35]
	s_andn2_b64 s[0:1], s[42:43], exec
	s_and_b64 s[4:5], s[40:41], exec
	s_or_b64 s[42:43], s[0:1], s[4:5]
	s_andn2_b64 s[0:1], s[36:37], exec
	s_and_b64 s[4:5], s[2:3], exec
	s_or_b64 s[36:37], s[0:1], s[4:5]
	s_andn2_b64 exec, exec, s[34:35]
	s_cbranch_execz .LBB509_688
.LBB509_686:                            ;   Parent Loop BB509_608 Depth=1
                                        ; =>  This Inner Loop Header: Depth=2
	flat_load_dwordx2 v[116:117], v[12:13]
	flat_load_dwordx2 v[118:119], v[2:3]
	s_andn2_b64 s[44:45], s[2:3], exec
	s_andn2_b64 s[40:41], s[40:41], exec
	s_or_b64 s[38:39], s[38:39], exec
	s_waitcnt vmcnt(0) lgkmcnt(0)
	v_cmp_le_i64_e64 s[2:3], v[116:117], v[118:119]
	v_cmp_lt_i64_e64 s[0:1], v[116:117], v[118:119]
	s_and_b64 s[2:3], s[2:3], s[42:43]
	s_or_b64 s[46:47], s[0:1], s[2:3]
	s_and_b64 s[0:1], s[46:47], exec
	v_cmp_eq_u64_e64 s[4:5], v[116:117], v[118:119]
	s_or_b64 s[2:3], s[44:45], s[0:1]
	s_and_saveexec_b64 s[44:45], s[4:5]
	s_cbranch_execz .LBB509_685
; %bb.687:                              ;   in Loop: Header=BB509_686 Depth=2
	v_lshl_add_u64 v[14:15], v[14:15], 0, -1
	v_cmp_eq_u64_e64 s[0:1], 0, v[14:15]
	s_andn2_b64 s[4:5], s[40:41], exec
	s_and_b64 s[40:41], s[46:47], exec
	s_or_b64 s[40:41], s[4:5], s[40:41]
	s_andn2_b64 s[4:5], s[38:39], exec
	s_and_b64 s[0:1], s[0:1], exec
	v_lshl_add_u64 v[2:3], v[2:3], 0, 8
	v_lshl_add_u64 v[12:13], v[12:13], 0, 8
	s_andn2_b64 s[2:3], s[2:3], exec
	s_or_b64 s[38:39], s[4:5], s[0:1]
                                        ; implicit-def: $sgpr42_sgpr43
	s_branch .LBB509_685
.LBB509_688:                            ;   in Loop: Header=BB509_608 Depth=1
	s_or_b64 exec, exec, s[34:35]
	s_xor_b64 s[0:1], s[36:37], -1
	s_orn2_b64 s[0:1], s[0:1], exec
.LBB509_689:                            ;   in Loop: Header=BB509_608 Depth=1
	s_or_b64 exec, exec, s[30:31]
	s_and_b64 s[2:3], s[0:1], exec
.LBB509_690:                            ;   in Loop: Header=BB509_608 Depth=1
	s_or_b64 exec, exec, s[24:25]
	s_orn2_b64 s[24:25], s[2:3], exec
.LBB509_691:                            ;   in Loop: Header=BB509_608 Depth=1
	s_or_b64 exec, exec, s[28:29]
	v_cndmask_b32_e64 v2, v18, v16, s[24:25]
	v_cndmask_b32_e64 v3, v96, v31, s[24:25]
	v_add_u32_e32 v14, 1, v2
	v_add_u32_e32 v2, -1, v3
	v_min_u32_e32 v54, v14, v2
	v_lshl_add_u64 v[2:3], v[54:55], 3, v[10:11]
	flat_load_dwordx2 v[12:13], v[2:3]
	v_cndmask_b32_e64 v15, v14, v18, s[24:25]
	v_cmp_lt_u32_e64 s[0:1], v15, v96
	s_waitcnt vmcnt(0) lgkmcnt(0)
	v_cndmask_b32_e64 v3, v113, v13, s[24:25]
	v_cndmask_b32_e64 v2, v114, v12, s[24:25]
	s_and_saveexec_b64 s[28:29], s[0:1]
	s_cbranch_execz .LBB509_701
; %bb.692:                              ;   in Loop: Header=BB509_608 Depth=1
	v_cndmask_b32_e64 v14, v16, v14, s[24:25]
	v_cndmask_b32_e64 v13, v13, v103, s[24:25]
	;; [unrolled: 1-line block ×3, first 2 shown]
	v_cmp_lt_u32_e64 s[0:1], v14, v31
	s_and_saveexec_b64 s[30:31], s[0:1]
	s_cbranch_execz .LBB509_700
; %bb.693:                              ;   in Loop: Header=BB509_608 Depth=1
	s_and_saveexec_b64 s[34:35], vcc
	s_cbranch_execz .LBB509_699
; %bb.694:                              ;   in Loop: Header=BB509_608 Depth=1
	v_mad_u64_u32 v[14:15], s[0:1], v66, v2, v[8:9]
	v_mul_lo_u32 v16, v66, v3
	v_mul_lo_u32 v17, v67, v2
	v_add3_u32 v15, v17, v15, v16
	v_mad_u64_u32 v[16:17], s[0:1], v66, v12, v[8:9]
	v_mul_lo_u32 v18, v66, v13
	v_mul_lo_u32 v19, v67, v12
	v_add3_u32 v17, v19, v17, v18
	s_mov_b64 s[36:37], 0
	v_mov_b64_e32 v[18:19], v[6:7]
                                        ; implicit-def: $sgpr38_sgpr39
                                        ; implicit-def: $sgpr40_sgpr41
                                        ; implicit-def: $sgpr2_sgpr3
                                        ; implicit-def: $sgpr42_sgpr43
                                        ; implicit-def: $sgpr44_sgpr45
	s_branch .LBB509_696
.LBB509_695:                            ;   in Loop: Header=BB509_696 Depth=2
	s_or_b64 exec, exec, s[46:47]
	s_and_b64 s[0:1], exec, s[40:41]
	s_or_b64 s[36:37], s[0:1], s[36:37]
	s_andn2_b64 s[0:1], s[44:45], exec
	s_and_b64 s[4:5], s[42:43], exec
	s_or_b64 s[44:45], s[0:1], s[4:5]
	s_andn2_b64 s[0:1], s[38:39], exec
	s_and_b64 s[4:5], s[2:3], exec
	s_or_b64 s[38:39], s[0:1], s[4:5]
	s_andn2_b64 exec, exec, s[36:37]
	s_cbranch_execz .LBB509_698
.LBB509_696:                            ;   Parent Loop BB509_608 Depth=1
                                        ; =>  This Inner Loop Header: Depth=2
	flat_load_dwordx2 v[116:117], v[16:17]
	flat_load_dwordx2 v[118:119], v[14:15]
	s_andn2_b64 s[46:47], s[2:3], exec
	s_andn2_b64 s[42:43], s[42:43], exec
	s_or_b64 s[40:41], s[40:41], exec
	s_waitcnt vmcnt(0) lgkmcnt(0)
	v_cmp_le_i64_e64 s[2:3], v[116:117], v[118:119]
	v_cmp_lt_i64_e64 s[0:1], v[116:117], v[118:119]
	s_and_b64 s[2:3], s[2:3], s[44:45]
	s_or_b64 s[48:49], s[0:1], s[2:3]
	s_and_b64 s[0:1], s[48:49], exec
	v_cmp_eq_u64_e64 s[4:5], v[116:117], v[118:119]
	s_or_b64 s[2:3], s[46:47], s[0:1]
	s_and_saveexec_b64 s[46:47], s[4:5]
	s_cbranch_execz .LBB509_695
; %bb.697:                              ;   in Loop: Header=BB509_696 Depth=2
	v_lshl_add_u64 v[18:19], v[18:19], 0, -1
	v_cmp_eq_u64_e64 s[0:1], 0, v[18:19]
	s_andn2_b64 s[4:5], s[42:43], exec
	s_and_b64 s[42:43], s[48:49], exec
	s_or_b64 s[42:43], s[4:5], s[42:43]
	s_andn2_b64 s[4:5], s[40:41], exec
	s_and_b64 s[0:1], s[0:1], exec
	v_lshl_add_u64 v[14:15], v[14:15], 0, 8
	v_lshl_add_u64 v[16:17], v[16:17], 0, 8
	s_andn2_b64 s[2:3], s[2:3], exec
	s_or_b64 s[40:41], s[4:5], s[0:1]
                                        ; implicit-def: $sgpr44_sgpr45
	s_branch .LBB509_695
.LBB509_698:                            ;   in Loop: Header=BB509_608 Depth=1
	s_or_b64 exec, exec, s[36:37]
	v_cndmask_b32_e64 v3, v3, v13, s[38:39]
	v_cndmask_b32_e64 v2, v2, v12, s[38:39]
.LBB509_699:                            ;   in Loop: Header=BB509_608 Depth=1
	s_or_b64 exec, exec, s[34:35]
	v_mov_b64_e32 v[12:13], v[2:3]
.LBB509_700:                            ;   in Loop: Header=BB509_608 Depth=1
	s_or_b64 exec, exec, s[30:31]
	v_mov_b64_e32 v[2:3], v[12:13]
.LBB509_701:                            ;   in Loop: Header=BB509_608 Depth=1
	s_or_b64 exec, exec, s[28:29]
	v_cndmask_b32_e64 v15, v99, v101, s[26:27]
	v_cndmask_b32_e64 v14, v100, v102, s[26:27]
	;; [unrolled: 1-line block ×14, first 2 shown]
.LBB509_702:                            ;   in Loop: Header=BB509_608 Depth=1
	s_or_b64 exec, exec, s[10:11]
	s_cmpk_lt_u32 s50, 0x400
	s_barrier
	s_cbranch_scc0 .LBB509_704
; %bb.703:                              ;   in Loop: Header=BB509_608 Depth=1
	s_mov_b32 s50, s51
	s_branch .LBB509_608
.LBB509_704:
	s_barrier
	flat_store_dwordx4 v[52:53], v[20:23]
	flat_store_dwordx4 v[52:53], v[16:19] offset:16
	flat_store_dwordx4 v[52:53], v[12:15] offset:32
	;; [unrolled: 1-line block ×3, first 2 shown]
	s_waitcnt lgkmcnt(0)
	s_barrier
	flat_load_dwordx2 v[0:1], v[24:25]
	flat_load_dwordx2 v[2:3], v[26:27] offset:2048
	flat_load_dwordx2 v[6:7], v[34:35]
	flat_load_dwordx2 v[8:9], v[32:33]
	;; [unrolled: 1-line block ×6, first 2 shown]
	v_mov_b32_e32 v31, 0
	s_movk_i32 s0, 0x1000
	v_lshl_add_u64 v[18:19], v[4:5], 0, v[30:31]
	v_add_co_u32_e32 v20, vcc, s0, v18
	s_mov_b64 s[38:39], exec
	s_nop 0
	v_addc_co_u32_e32 v21, vcc, 0, v19, vcc
	v_add_co_u32_e32 v22, vcc, 0x2000, v18
                                        ; implicit-def: $vgpr64
                                        ; implicit-def: $vgpr65
                                        ; implicit-def: $vgpr30
                                        ; implicit-def: $vgpr32
	s_nop 1
	v_addc_co_u32_e32 v23, vcc, 0, v19, vcc
	v_add_co_u32_e32 v24, vcc, 0x3000, v18
	s_nop 1
	v_addc_co_u32_e32 v25, vcc, 0, v19, vcc
	s_waitcnt vmcnt(0) lgkmcnt(0)
	flat_store_dwordx2 v[18:19], v[0:1]
	flat_store_dwordx2 v[18:19], v[2:3] offset:2048
	flat_store_dwordx2 v[20:21], v[6:7]
	flat_store_dwordx2 v[20:21], v[8:9] offset:2048
	flat_store_dwordx2 v[22:23], v[10:11]
	flat_store_dwordx2 v[22:23], v[14:15] offset:2048
	flat_store_dwordx2 v[24:25], v[16:17]
                                        ; implicit-def: $vgpr0
                                        ; implicit-def: $vgpr6_vgpr7
                                        ; implicit-def: $vgpr2_vgpr3
                                        ; implicit-def: $vgpr8_vgpr9
                                        ; implicit-def: $vgpr10_vgpr11
                                        ; implicit-def: $vgpr1
	s_andn2_saveexec_b64 s[40:41], s[6:7]
	s_cbranch_execz .LBB509_2
.LBB509_705:
	v_cmp_lt_u32_e32 vcc, v28, v0
                                        ; implicit-def: $vgpr12_vgpr13
	s_and_saveexec_b64 s[0:1], vcc
	s_cbranch_execz .LBB509_707
; %bb.706:
	v_mov_b32_e32 v31, 0
	v_lshl_add_u64 v[12:13], v[2:3], 0, v[30:31]
	flat_load_dwordx2 v[12:13], v[12:13]
.LBB509_707:
	s_or_b64 exec, exec, s[0:1]
	v_add_u32_e32 v33, 0x100, v28
	v_cmp_lt_u32_e64 s[0:1], v33, v0
                                        ; implicit-def: $vgpr14_vgpr15
	s_and_saveexec_b64 s[2:3], s[0:1]
	s_cbranch_execz .LBB509_709
; %bb.708:
	v_mov_b32_e32 v31, 0
	v_lshl_add_u64 v[14:15], v[2:3], 0, v[30:31]
	flat_load_dwordx2 v[14:15], v[14:15] offset:2048
.LBB509_709:
	s_or_b64 exec, exec, s[2:3]
	v_add_u32_e32 v31, 0x200, v28
	v_cmp_lt_u32_e64 s[2:3], v31, v0
                                        ; implicit-def: $vgpr16_vgpr17
	s_and_saveexec_b64 s[4:5], s[2:3]
	s_cbranch_execz .LBB509_711
; %bb.710:
	v_lshlrev_b32_e32 v16, 3, v31
	v_mov_b32_e32 v17, 0
	v_lshl_add_u64 v[16:17], v[2:3], 0, v[16:17]
	flat_load_dwordx2 v[16:17], v[16:17]
.LBB509_711:
	s_or_b64 exec, exec, s[4:5]
	v_add_u32_e32 v36, 0x300, v28
	v_cmp_lt_u32_e64 s[4:5], v36, v0
                                        ; implicit-def: $vgpr18_vgpr19
	s_and_saveexec_b64 s[6:7], s[4:5]
	s_cbranch_execz .LBB509_713
; %bb.712:
	v_lshlrev_b32_e32 v18, 3, v36
	v_mov_b32_e32 v19, 0
	v_lshl_add_u64 v[18:19], v[2:3], 0, v[18:19]
	flat_load_dwordx2 v[18:19], v[18:19]
.LBB509_713:
	s_or_b64 exec, exec, s[6:7]
	v_or_b32_e32 v38, 0x400, v28
	v_cmp_lt_u32_e64 s[6:7], v38, v0
                                        ; implicit-def: $vgpr20_vgpr21
	s_and_saveexec_b64 s[10:11], s[6:7]
	s_cbranch_execz .LBB509_715
; %bb.714:
	v_lshlrev_b32_e32 v20, 3, v38
	v_mov_b32_e32 v21, 0
	v_lshl_add_u64 v[20:21], v[2:3], 0, v[20:21]
	flat_load_dwordx2 v[20:21], v[20:21]
.LBB509_715:
	s_or_b64 exec, exec, s[10:11]
	v_add_u32_e32 v48, 0x500, v28
	v_cmp_lt_u32_e64 s[30:31], v48, v0
                                        ; implicit-def: $vgpr22_vgpr23
	s_and_saveexec_b64 s[10:11], s[30:31]
	s_cbranch_execz .LBB509_717
; %bb.716:
	v_lshlrev_b32_e32 v22, 3, v48
	v_mov_b32_e32 v23, 0
	v_lshl_add_u64 v[22:23], v[2:3], 0, v[22:23]
	flat_load_dwordx2 v[22:23], v[22:23]
.LBB509_717:
	s_or_b64 exec, exec, s[10:11]
	v_add_u32_e32 v50, 0x600, v28
	v_cmp_lt_u32_e64 s[10:11], v50, v0
                                        ; implicit-def: $vgpr24_vgpr25
	s_and_saveexec_b64 s[14:15], s[10:11]
	s_cbranch_execz .LBB509_719
; %bb.718:
	v_lshlrev_b32_e32 v24, 3, v50
	v_mov_b32_e32 v25, 0
	v_lshl_add_u64 v[24:25], v[2:3], 0, v[24:25]
	flat_load_dwordx2 v[24:25], v[24:25]
.LBB509_719:
	s_or_b64 exec, exec, s[14:15]
	v_add_u32_e32 v52, 0x700, v28
	v_cmp_lt_u32_e64 s[14:15], v52, v0
                                        ; implicit-def: $vgpr26_vgpr27
	s_and_saveexec_b64 s[16:17], s[14:15]
	s_cbranch_execz .LBB509_721
; %bb.720:
	v_lshlrev_b32_e32 v26, 3, v52
	v_mov_b32_e32 v27, 0
	v_lshl_add_u64 v[2:3], v[2:3], 0, v[26:27]
	flat_load_dwordx2 v[26:27], v[2:3]
.LBB509_721:
	s_or_b64 exec, exec, s[16:17]
	v_mov_b32_e32 v29, 0
	v_add_lshl_u32 v2, v32, v28, 3
	v_mov_b32_e32 v3, v29
	v_lshl_add_u64 v[2:3], v[10:11], 0, v[2:3]
	s_waitcnt vmcnt(0) lgkmcnt(0)
	flat_store_dwordx2 v[2:3], v[12:13]
	v_lshrrev_b32_e32 v12, 5, v33
	v_add_lshl_u32 v12, v12, v28, 3
	v_mov_b32_e32 v13, v29
	v_lshl_add_u64 v[32:33], v[10:11], 0, v[12:13]
	v_lshrrev_b32_e32 v12, 5, v31
	v_add_lshl_u32 v12, v12, v31, 3
	v_lshl_add_u64 v[34:35], v[10:11], 0, v[12:13]
	v_lshrrev_b32_e32 v12, 5, v36
	v_add_lshl_u32 v12, v12, v36, 3
	v_lshl_add_u64 v[36:37], v[10:11], 0, v[12:13]
	v_lshrrev_b32_e32 v12, 5, v38
	v_add_lshl_u32 v12, v12, v38, 3
	v_lshl_add_u64 v[38:39], v[10:11], 0, v[12:13]
	v_lshrrev_b32_e32 v12, 5, v48
	v_add_lshl_u32 v12, v12, v48, 3
	v_lshl_add_u64 v[48:49], v[10:11], 0, v[12:13]
	v_lshrrev_b32_e32 v12, 5, v50
	v_add_lshl_u32 v12, v12, v50, 3
	v_lshl_add_u64 v[50:51], v[10:11], 0, v[12:13]
	v_lshrrev_b32_e32 v12, 5, v52
	v_add_lshl_u32 v12, v12, v52, 3
	v_lshl_add_u64 v[52:53], v[10:11], 0, v[12:13]
	v_add_lshl_u32 v12, v1, v30, 3
	v_lshl_add_u64 v[54:55], v[10:11], 0, v[12:13]
	flat_store_dwordx2 v[32:33], v[14:15] offset:2048
	flat_store_dwordx2 v[34:35], v[16:17]
	flat_store_dwordx2 v[36:37], v[18:19]
	;; [unrolled: 1-line block ×6, first 2 shown]
	s_waitcnt lgkmcnt(0)
	s_barrier
	flat_load_dwordx4 v[24:27], v[54:55]
	flat_load_dwordx4 v[20:23], v[54:55] offset:16
	flat_load_dwordx4 v[16:19], v[54:55] offset:32
	;; [unrolled: 1-line block ×3, first 2 shown]
	s_waitcnt lgkmcnt(0)
	s_barrier
	s_load_dwordx2 s[16:17], s[8:9], 0x0
	s_waitcnt lgkmcnt(0)
	s_cmp_lt_u32 s12, s16
	s_cselect_b32 s16, 12, 18
	s_cmp_lt_u32 s13, s17
	s_cselect_b32 s12, 14, 20
	s_add_u32 s12, s8, s12
	s_addc_u32 s13, s9, 0
	s_add_u32 s8, s8, s16
	s_addc_u32 s9, s9, 0
	global_load_ushort v1, v29, s[12:13]
	global_load_ushort v31, v29, s[8:9]
	v_cmp_lt_i64_e64 s[8:9], 0, v[6:7]
	s_waitcnt vmcnt(0)
	v_mad_u32_u24 v1, v65, v1, v64
	v_mul_lo_u32 v1, v1, v31
	v_add_lshl_u32 v1, v1, v28, 3
	v_sub_u32_e64 v31, v0, v1 clamp
	v_cmp_lt_u32_e64 s[16:17], 1, v31
	s_and_saveexec_b64 s[22:23], s[16:17]
	s_cbranch_execnz .LBB509_725
; %bb.722:
	s_or_b64 exec, exec, s[22:23]
	v_cmp_lt_u32_e64 s[18:19], 3, v31
	s_and_saveexec_b64 s[24:25], s[18:19]
	s_cbranch_execnz .LBB509_734
.LBB509_723:
	s_or_b64 exec, exec, s[24:25]
	v_cmp_lt_u32_e64 s[20:21], 5, v31
	s_and_saveexec_b64 s[26:27], s[20:21]
	s_cbranch_execnz .LBB509_743
.LBB509_724:
	s_or_b64 exec, exec, s[26:27]
	v_cmp_lt_u32_e64 s[22:23], 7, v31
	s_and_saveexec_b64 s[28:29], s[22:23]
	s_cbranch_execnz .LBB509_752
	s_branch .LBB509_761
.LBB509_725:
	s_and_saveexec_b64 s[24:25], s[8:9]
	s_cbranch_execz .LBB509_733
; %bb.726:
	v_mul_lo_u32 v66, v25, v6
	v_mul_lo_u32 v67, v24, v7
	v_mad_u64_u32 v[64:65], s[12:13], v24, v6, 0
	v_add3_u32 v65, v65, v67, v66
	v_mul_lo_u32 v68, v27, v6
	v_mul_lo_u32 v69, v26, v7
	v_mad_u64_u32 v[66:67], s[12:13], v26, v6, 0
	v_add3_u32 v67, v67, v69, v68
	v_lshl_add_u64 v[64:65], v[64:65], 3, v[8:9]
	v_lshl_add_u64 v[66:67], v[66:67], 3, v[8:9]
	s_mov_b64 s[28:29], 0
	v_mov_b64_e32 v[68:69], v[6:7]
                                        ; implicit-def: $sgpr26_sgpr27
                                        ; implicit-def: $sgpr34_sgpr35
                                        ; implicit-def: $sgpr42_sgpr43
                                        ; implicit-def: $sgpr36_sgpr37
                                        ; implicit-def: $sgpr44_sgpr45
                                        ; implicit-def: $sgpr46_sgpr47
	s_branch .LBB509_728
.LBB509_727:                            ;   in Loop: Header=BB509_728 Depth=1
	s_or_b64 exec, exec, s[48:49]
	s_and_b64 s[12:13], exec, s[42:43]
	s_or_b64 s[28:29], s[12:13], s[28:29]
	s_andn2_b64 s[12:13], s[46:47], exec
	s_and_b64 s[20:21], s[44:45], exec
	s_or_b64 s[46:47], s[12:13], s[20:21]
	s_andn2_b64 s[12:13], s[34:35], exec
	s_and_b64 s[20:21], s[36:37], exec
	;; [unrolled: 3-line block ×3, first 2 shown]
	s_or_b64 s[26:27], s[12:13], s[18:19]
	s_andn2_b64 exec, exec, s[28:29]
	s_cbranch_execz .LBB509_730
.LBB509_728:                            ; =>This Inner Loop Header: Depth=1
	flat_load_dwordx2 v[70:71], v[66:67]
	flat_load_dwordx2 v[80:81], v[64:65]
	s_andn2_b64 s[44:45], s[44:45], exec
	s_or_b64 s[36:37], s[36:37], exec
	s_or_b64 s[42:43], s[42:43], exec
	s_waitcnt vmcnt(0) lgkmcnt(0)
	v_cmp_le_i64_e64 s[18:19], v[70:71], v[80:81]
	v_cmp_lt_i64_e64 s[12:13], v[70:71], v[80:81]
	s_and_b64 s[18:19], s[18:19], s[46:47]
	v_cmp_eq_u64_e64 s[20:21], v[70:71], v[80:81]
	s_or_b64 s[18:19], s[12:13], s[18:19]
	s_and_saveexec_b64 s[48:49], s[20:21]
	s_cbranch_execz .LBB509_727
; %bb.729:                              ;   in Loop: Header=BB509_728 Depth=1
	v_lshl_add_u64 v[68:69], v[68:69], 0, -1
	v_cmp_eq_u64_e64 s[12:13], 0, v[68:69]
	s_andn2_b64 s[20:21], s[44:45], exec
	s_and_b64 s[44:45], s[18:19], exec
	s_or_b64 s[44:45], s[20:21], s[44:45]
	s_andn2_b64 s[20:21], s[42:43], exec
	s_and_b64 s[12:13], s[12:13], exec
	v_lshl_add_u64 v[64:65], v[64:65], 0, 8
	v_lshl_add_u64 v[66:67], v[66:67], 0, 8
	s_andn2_b64 s[36:37], s[36:37], exec
	s_or_b64 s[42:43], s[20:21], s[12:13]
                                        ; implicit-def: $sgpr46_sgpr47
	s_branch .LBB509_727
.LBB509_730:
	s_or_b64 exec, exec, s[28:29]
	s_and_saveexec_b64 s[12:13], s[34:35]
	s_xor_b64 s[12:13], exec, s[12:13]
; %bb.731:
	v_cndmask_b32_e64 v65, v27, v25, s[26:27]
	v_cndmask_b32_e64 v64, v26, v24, s[26:27]
	;; [unrolled: 1-line block ×4, first 2 shown]
	v_mov_b64_e32 v[26:27], v[64:65]
; %bb.732:
	s_or_b64 exec, exec, s[12:13]
.LBB509_733:
	s_or_b64 exec, exec, s[24:25]
	s_or_b64 exec, exec, s[22:23]
	v_cmp_lt_u32_e64 s[18:19], 3, v31
	s_and_saveexec_b64 s[24:25], s[18:19]
	s_cbranch_execz .LBB509_723
.LBB509_734:
	s_and_saveexec_b64 s[26:27], s[8:9]
	s_cbranch_execz .LBB509_742
; %bb.735:
	v_mul_lo_u32 v66, v21, v6
	v_mul_lo_u32 v67, v20, v7
	v_mad_u64_u32 v[64:65], s[12:13], v20, v6, 0
	v_add3_u32 v65, v65, v67, v66
	v_mul_lo_u32 v68, v23, v6
	v_mul_lo_u32 v69, v22, v7
	v_mad_u64_u32 v[66:67], s[12:13], v22, v6, 0
	v_add3_u32 v67, v67, v69, v68
	v_lshl_add_u64 v[64:65], v[64:65], 3, v[8:9]
	v_lshl_add_u64 v[66:67], v[66:67], 3, v[8:9]
	s_mov_b64 s[34:35], 0
	v_mov_b64_e32 v[68:69], v[6:7]
                                        ; implicit-def: $sgpr28_sgpr29
                                        ; implicit-def: $sgpr36_sgpr37
                                        ; implicit-def: $sgpr44_sgpr45
                                        ; implicit-def: $sgpr42_sgpr43
                                        ; implicit-def: $sgpr46_sgpr47
                                        ; implicit-def: $sgpr48_sgpr49
	s_branch .LBB509_737
.LBB509_736:                            ;   in Loop: Header=BB509_737 Depth=1
	s_or_b64 exec, exec, s[50:51]
	s_and_b64 s[12:13], exec, s[44:45]
	s_or_b64 s[34:35], s[12:13], s[34:35]
	s_andn2_b64 s[12:13], s[48:49], exec
	s_and_b64 s[22:23], s[46:47], exec
	s_or_b64 s[48:49], s[12:13], s[22:23]
	s_andn2_b64 s[12:13], s[36:37], exec
	s_and_b64 s[22:23], s[42:43], exec
	;; [unrolled: 3-line block ×3, first 2 shown]
	s_or_b64 s[28:29], s[12:13], s[20:21]
	s_andn2_b64 exec, exec, s[34:35]
	s_cbranch_execz .LBB509_739
.LBB509_737:                            ; =>This Inner Loop Header: Depth=1
	flat_load_dwordx2 v[70:71], v[66:67]
	flat_load_dwordx2 v[80:81], v[64:65]
	s_andn2_b64 s[46:47], s[46:47], exec
	s_or_b64 s[42:43], s[42:43], exec
	s_or_b64 s[44:45], s[44:45], exec
	s_waitcnt vmcnt(0) lgkmcnt(0)
	v_cmp_le_i64_e64 s[20:21], v[70:71], v[80:81]
	v_cmp_lt_i64_e64 s[12:13], v[70:71], v[80:81]
	s_and_b64 s[20:21], s[20:21], s[48:49]
	v_cmp_eq_u64_e64 s[22:23], v[70:71], v[80:81]
	s_or_b64 s[20:21], s[12:13], s[20:21]
	s_and_saveexec_b64 s[50:51], s[22:23]
	s_cbranch_execz .LBB509_736
; %bb.738:                              ;   in Loop: Header=BB509_737 Depth=1
	v_lshl_add_u64 v[68:69], v[68:69], 0, -1
	v_cmp_eq_u64_e64 s[12:13], 0, v[68:69]
	s_andn2_b64 s[22:23], s[46:47], exec
	s_and_b64 s[46:47], s[20:21], exec
	s_or_b64 s[46:47], s[22:23], s[46:47]
	s_andn2_b64 s[22:23], s[44:45], exec
	s_and_b64 s[12:13], s[12:13], exec
	v_lshl_add_u64 v[64:65], v[64:65], 0, 8
	v_lshl_add_u64 v[66:67], v[66:67], 0, 8
	s_andn2_b64 s[42:43], s[42:43], exec
	s_or_b64 s[44:45], s[22:23], s[12:13]
                                        ; implicit-def: $sgpr48_sgpr49
	s_branch .LBB509_736
.LBB509_739:
	s_or_b64 exec, exec, s[34:35]
	s_and_saveexec_b64 s[12:13], s[36:37]
	s_xor_b64 s[12:13], exec, s[12:13]
; %bb.740:
	v_cndmask_b32_e64 v65, v21, v23, s[28:29]
	v_cndmask_b32_e64 v64, v20, v22, s[28:29]
	;; [unrolled: 1-line block ×4, first 2 shown]
	v_mov_b64_e32 v[20:21], v[64:65]
; %bb.741:
	s_or_b64 exec, exec, s[12:13]
.LBB509_742:
	s_or_b64 exec, exec, s[26:27]
	s_or_b64 exec, exec, s[24:25]
	v_cmp_lt_u32_e64 s[20:21], 5, v31
	s_and_saveexec_b64 s[26:27], s[20:21]
	s_cbranch_execz .LBB509_724
.LBB509_743:
	s_and_saveexec_b64 s[28:29], s[8:9]
	s_cbranch_execz .LBB509_751
; %bb.744:
	v_mul_lo_u32 v66, v17, v6
	v_mul_lo_u32 v67, v16, v7
	v_mad_u64_u32 v[64:65], s[12:13], v16, v6, 0
	v_add3_u32 v65, v65, v67, v66
	v_mul_lo_u32 v68, v19, v6
	v_mul_lo_u32 v69, v18, v7
	v_mad_u64_u32 v[66:67], s[12:13], v18, v6, 0
	v_add3_u32 v67, v67, v69, v68
	v_lshl_add_u64 v[64:65], v[64:65], 3, v[8:9]
	v_lshl_add_u64 v[66:67], v[66:67], 3, v[8:9]
	s_mov_b64 s[36:37], 0
	v_mov_b64_e32 v[68:69], v[6:7]
                                        ; implicit-def: $sgpr34_sgpr35
                                        ; implicit-def: $sgpr42_sgpr43
                                        ; implicit-def: $sgpr46_sgpr47
                                        ; implicit-def: $sgpr44_sgpr45
                                        ; implicit-def: $sgpr48_sgpr49
                                        ; implicit-def: $sgpr50_sgpr51
	s_branch .LBB509_746
.LBB509_745:                            ;   in Loop: Header=BB509_746 Depth=1
	s_or_b64 exec, exec, s[52:53]
	s_and_b64 s[12:13], exec, s[46:47]
	s_or_b64 s[36:37], s[12:13], s[36:37]
	s_andn2_b64 s[12:13], s[50:51], exec
	s_and_b64 s[24:25], s[48:49], exec
	s_or_b64 s[50:51], s[12:13], s[24:25]
	s_andn2_b64 s[12:13], s[42:43], exec
	s_and_b64 s[24:25], s[44:45], exec
	;; [unrolled: 3-line block ×3, first 2 shown]
	s_or_b64 s[34:35], s[12:13], s[22:23]
	s_andn2_b64 exec, exec, s[36:37]
	s_cbranch_execz .LBB509_748
.LBB509_746:                            ; =>This Inner Loop Header: Depth=1
	flat_load_dwordx2 v[70:71], v[66:67]
	flat_load_dwordx2 v[80:81], v[64:65]
	s_andn2_b64 s[48:49], s[48:49], exec
	s_or_b64 s[44:45], s[44:45], exec
	s_or_b64 s[46:47], s[46:47], exec
	s_waitcnt vmcnt(0) lgkmcnt(0)
	v_cmp_le_i64_e64 s[22:23], v[70:71], v[80:81]
	v_cmp_lt_i64_e64 s[12:13], v[70:71], v[80:81]
	s_and_b64 s[22:23], s[22:23], s[50:51]
	v_cmp_eq_u64_e64 s[24:25], v[70:71], v[80:81]
	s_or_b64 s[22:23], s[12:13], s[22:23]
	s_and_saveexec_b64 s[52:53], s[24:25]
	s_cbranch_execz .LBB509_745
; %bb.747:                              ;   in Loop: Header=BB509_746 Depth=1
	v_lshl_add_u64 v[68:69], v[68:69], 0, -1
	v_cmp_eq_u64_e64 s[12:13], 0, v[68:69]
	s_andn2_b64 s[24:25], s[48:49], exec
	s_and_b64 s[48:49], s[22:23], exec
	s_or_b64 s[48:49], s[24:25], s[48:49]
	s_andn2_b64 s[24:25], s[46:47], exec
	s_and_b64 s[12:13], s[12:13], exec
	v_lshl_add_u64 v[64:65], v[64:65], 0, 8
	v_lshl_add_u64 v[66:67], v[66:67], 0, 8
	s_andn2_b64 s[44:45], s[44:45], exec
	s_or_b64 s[46:47], s[24:25], s[12:13]
                                        ; implicit-def: $sgpr50_sgpr51
	s_branch .LBB509_745
.LBB509_748:
	s_or_b64 exec, exec, s[36:37]
	s_and_saveexec_b64 s[12:13], s[42:43]
	s_xor_b64 s[12:13], exec, s[12:13]
; %bb.749:
	v_cndmask_b32_e64 v65, v17, v19, s[34:35]
	v_cndmask_b32_e64 v64, v16, v18, s[34:35]
	;; [unrolled: 1-line block ×4, first 2 shown]
	v_mov_b64_e32 v[16:17], v[64:65]
; %bb.750:
	s_or_b64 exec, exec, s[12:13]
.LBB509_751:
	s_or_b64 exec, exec, s[28:29]
	s_or_b64 exec, exec, s[26:27]
	v_cmp_lt_u32_e64 s[22:23], 7, v31
	s_and_saveexec_b64 s[28:29], s[22:23]
	s_cbranch_execz .LBB509_761
.LBB509_752:
	s_and_saveexec_b64 s[34:35], s[8:9]
	s_cbranch_execz .LBB509_760
; %bb.753:
	v_mul_lo_u32 v66, v13, v6
	v_mul_lo_u32 v67, v12, v7
	v_mad_u64_u32 v[64:65], s[12:13], v12, v6, 0
	v_add3_u32 v65, v65, v67, v66
	v_mul_lo_u32 v68, v15, v6
	v_mul_lo_u32 v69, v14, v7
	v_mad_u64_u32 v[66:67], s[12:13], v14, v6, 0
	v_add3_u32 v67, v67, v69, v68
	v_lshl_add_u64 v[64:65], v[64:65], 3, v[8:9]
	v_lshl_add_u64 v[66:67], v[66:67], 3, v[8:9]
	s_mov_b64 s[42:43], 0
	v_mov_b64_e32 v[68:69], v[6:7]
                                        ; implicit-def: $sgpr36_sgpr37
                                        ; implicit-def: $sgpr44_sgpr45
                                        ; implicit-def: $sgpr48_sgpr49
                                        ; implicit-def: $sgpr46_sgpr47
                                        ; implicit-def: $sgpr50_sgpr51
                                        ; implicit-def: $sgpr52_sgpr53
	s_branch .LBB509_755
.LBB509_754:                            ;   in Loop: Header=BB509_755 Depth=1
	s_or_b64 exec, exec, s[54:55]
	s_and_b64 s[12:13], exec, s[48:49]
	s_or_b64 s[42:43], s[12:13], s[42:43]
	s_andn2_b64 s[12:13], s[52:53], exec
	s_and_b64 s[26:27], s[50:51], exec
	s_or_b64 s[52:53], s[12:13], s[26:27]
	s_andn2_b64 s[12:13], s[44:45], exec
	s_and_b64 s[26:27], s[46:47], exec
	;; [unrolled: 3-line block ×3, first 2 shown]
	s_or_b64 s[36:37], s[12:13], s[24:25]
	s_andn2_b64 exec, exec, s[42:43]
	s_cbranch_execz .LBB509_757
.LBB509_755:                            ; =>This Inner Loop Header: Depth=1
	flat_load_dwordx2 v[70:71], v[66:67]
	flat_load_dwordx2 v[80:81], v[64:65]
	s_andn2_b64 s[50:51], s[50:51], exec
	s_or_b64 s[46:47], s[46:47], exec
	s_or_b64 s[48:49], s[48:49], exec
	s_waitcnt vmcnt(0) lgkmcnt(0)
	v_cmp_le_i64_e64 s[24:25], v[70:71], v[80:81]
	v_cmp_lt_i64_e64 s[12:13], v[70:71], v[80:81]
	s_and_b64 s[24:25], s[24:25], s[52:53]
	v_cmp_eq_u64_e64 s[26:27], v[70:71], v[80:81]
	s_or_b64 s[24:25], s[12:13], s[24:25]
	s_and_saveexec_b64 s[54:55], s[26:27]
	s_cbranch_execz .LBB509_754
; %bb.756:                              ;   in Loop: Header=BB509_755 Depth=1
	v_lshl_add_u64 v[68:69], v[68:69], 0, -1
	v_cmp_eq_u64_e64 s[12:13], 0, v[68:69]
	s_andn2_b64 s[26:27], s[50:51], exec
	s_and_b64 s[50:51], s[24:25], exec
	s_or_b64 s[50:51], s[26:27], s[50:51]
	s_andn2_b64 s[26:27], s[48:49], exec
	s_and_b64 s[12:13], s[12:13], exec
	v_lshl_add_u64 v[64:65], v[64:65], 0, 8
	v_lshl_add_u64 v[66:67], v[66:67], 0, 8
	s_andn2_b64 s[46:47], s[46:47], exec
	s_or_b64 s[48:49], s[26:27], s[12:13]
                                        ; implicit-def: $sgpr52_sgpr53
	s_branch .LBB509_754
.LBB509_757:
	s_or_b64 exec, exec, s[42:43]
	s_and_saveexec_b64 s[12:13], s[44:45]
	s_xor_b64 s[12:13], exec, s[12:13]
; %bb.758:
	v_cndmask_b32_e64 v65, v13, v15, s[36:37]
	v_cndmask_b32_e64 v64, v12, v14, s[36:37]
	;; [unrolled: 1-line block ×4, first 2 shown]
	v_mov_b64_e32 v[12:13], v[64:65]
; %bb.759:
	s_or_b64 exec, exec, s[12:13]
.LBB509_760:
	s_or_b64 exec, exec, s[34:35]
.LBB509_761:
	s_or_b64 exec, exec, s[28:29]
	v_cmp_lt_u32_e64 s[24:25], 2, v31
	s_and_saveexec_b64 s[12:13], s[24:25]
	s_xor_b64 s[34:35], exec, s[12:13]
	s_cbranch_execnz .LBB509_785
; %bb.762:
	s_or_b64 exec, exec, s[34:35]
	v_cmp_lt_u32_e64 s[26:27], 4, v31
	s_and_saveexec_b64 s[36:37], s[26:27]
	s_cbranch_execnz .LBB509_794
.LBB509_763:
	s_or_b64 exec, exec, s[36:37]
	v_cmp_lt_u32_e64 s[28:29], 6, v31
	s_and_saveexec_b64 s[42:43], s[28:29]
	s_cbranch_execnz .LBB509_803
.LBB509_764:
	s_or_b64 exec, exec, s[42:43]
	s_and_saveexec_b64 s[42:43], s[16:17]
	s_cbranch_execnz .LBB509_812
.LBB509_765:
	s_or_b64 exec, exec, s[42:43]
	s_and_saveexec_b64 s[42:43], s[18:19]
	s_cbranch_execnz .LBB509_821
.LBB509_766:
	s_or_b64 exec, exec, s[42:43]
	s_and_saveexec_b64 s[42:43], s[20:21]
	s_cbranch_execnz .LBB509_830
.LBB509_767:
	s_or_b64 exec, exec, s[42:43]
	s_and_saveexec_b64 s[42:43], s[22:23]
	s_cbranch_execnz .LBB509_839
.LBB509_768:
	s_or_b64 exec, exec, s[42:43]
	s_and_saveexec_b64 s[42:43], s[24:25]
	s_cbranch_execnz .LBB509_848
.LBB509_769:
	s_or_b64 exec, exec, s[42:43]
	s_and_saveexec_b64 s[42:43], s[26:27]
	s_cbranch_execnz .LBB509_857
.LBB509_770:
	s_or_b64 exec, exec, s[42:43]
	s_and_saveexec_b64 s[42:43], s[28:29]
	s_cbranch_execnz .LBB509_866
.LBB509_771:
	s_or_b64 exec, exec, s[42:43]
	s_and_saveexec_b64 s[42:43], s[16:17]
	s_cbranch_execnz .LBB509_875
.LBB509_772:
	s_or_b64 exec, exec, s[42:43]
	s_and_saveexec_b64 s[42:43], s[18:19]
	s_cbranch_execnz .LBB509_884
.LBB509_773:
	s_or_b64 exec, exec, s[42:43]
	s_and_saveexec_b64 s[42:43], s[20:21]
	s_cbranch_execnz .LBB509_893
.LBB509_774:
	s_or_b64 exec, exec, s[42:43]
	s_and_saveexec_b64 s[42:43], s[22:23]
	s_cbranch_execnz .LBB509_902
.LBB509_775:
	s_or_b64 exec, exec, s[42:43]
	s_and_saveexec_b64 s[42:43], s[24:25]
	s_cbranch_execnz .LBB509_911
.LBB509_776:
	s_or_b64 exec, exec, s[42:43]
	s_and_saveexec_b64 s[42:43], s[26:27]
	s_cbranch_execnz .LBB509_920
.LBB509_777:
	s_or_b64 exec, exec, s[42:43]
	s_and_saveexec_b64 s[42:43], s[28:29]
	s_cbranch_execnz .LBB509_929
.LBB509_778:
	s_or_b64 exec, exec, s[42:43]
	s_and_saveexec_b64 s[36:37], s[16:17]
	s_cbranch_execnz .LBB509_938
.LBB509_779:
	s_or_b64 exec, exec, s[36:37]
	s_and_saveexec_b64 s[34:35], s[18:19]
	s_cbranch_execnz .LBB509_947
.LBB509_780:
	s_or_b64 exec, exec, s[34:35]
	s_and_saveexec_b64 s[34:35], s[20:21]
	s_cbranch_execnz .LBB509_956
.LBB509_781:
	s_or_b64 exec, exec, s[34:35]
	s_and_saveexec_b64 s[20:21], s[22:23]
	s_cbranch_execnz .LBB509_965
.LBB509_782:
	s_or_b64 exec, exec, s[20:21]
	s_and_saveexec_b64 s[20:21], s[24:25]
	s_cbranch_execnz .LBB509_974
.LBB509_783:
	s_or_b64 exec, exec, s[20:21]
	s_and_saveexec_b64 s[20:21], s[26:27]
	s_cbranch_execnz .LBB509_983
.LBB509_784:
	s_or_b64 exec, exec, s[20:21]
	s_and_saveexec_b64 s[20:21], s[28:29]
	s_cbranch_execnz .LBB509_992
	s_branch .LBB509_1001
.LBB509_785:
	s_and_saveexec_b64 s[36:37], s[8:9]
	s_cbranch_execz .LBB509_793
; %bb.786:
	v_mul_lo_u32 v66, v27, v6
	v_mul_lo_u32 v67, v26, v7
	v_mad_u64_u32 v[64:65], s[12:13], v26, v6, 0
	v_add3_u32 v65, v65, v67, v66
	v_mul_lo_u32 v68, v21, v6
	v_mul_lo_u32 v69, v20, v7
	v_mad_u64_u32 v[66:67], s[12:13], v20, v6, 0
	v_add3_u32 v67, v67, v69, v68
	v_lshl_add_u64 v[64:65], v[64:65], 3, v[8:9]
	v_lshl_add_u64 v[66:67], v[66:67], 3, v[8:9]
	s_mov_b64 s[44:45], 0
	v_mov_b64_e32 v[68:69], v[6:7]
                                        ; implicit-def: $sgpr42_sgpr43
                                        ; implicit-def: $sgpr46_sgpr47
                                        ; implicit-def: $sgpr50_sgpr51
                                        ; implicit-def: $sgpr48_sgpr49
                                        ; implicit-def: $sgpr52_sgpr53
                                        ; implicit-def: $sgpr54_sgpr55
	s_branch .LBB509_788
.LBB509_787:                            ;   in Loop: Header=BB509_788 Depth=1
	s_or_b64 exec, exec, s[56:57]
	s_and_b64 s[12:13], exec, s[50:51]
	s_or_b64 s[44:45], s[12:13], s[44:45]
	s_andn2_b64 s[12:13], s[54:55], exec
	s_and_b64 s[28:29], s[52:53], exec
	s_or_b64 s[54:55], s[12:13], s[28:29]
	s_andn2_b64 s[12:13], s[46:47], exec
	s_and_b64 s[28:29], s[48:49], exec
	;; [unrolled: 3-line block ×3, first 2 shown]
	s_or_b64 s[42:43], s[12:13], s[26:27]
	s_andn2_b64 exec, exec, s[44:45]
	s_cbranch_execz .LBB509_790
.LBB509_788:                            ; =>This Inner Loop Header: Depth=1
	flat_load_dwordx2 v[70:71], v[66:67]
	flat_load_dwordx2 v[80:81], v[64:65]
	s_andn2_b64 s[52:53], s[52:53], exec
	s_or_b64 s[48:49], s[48:49], exec
	s_or_b64 s[50:51], s[50:51], exec
	s_waitcnt vmcnt(0) lgkmcnt(0)
	v_cmp_le_i64_e64 s[26:27], v[70:71], v[80:81]
	v_cmp_lt_i64_e64 s[12:13], v[70:71], v[80:81]
	s_and_b64 s[26:27], s[26:27], s[54:55]
	v_cmp_eq_u64_e64 s[28:29], v[70:71], v[80:81]
	s_or_b64 s[26:27], s[12:13], s[26:27]
	s_and_saveexec_b64 s[56:57], s[28:29]
	s_cbranch_execz .LBB509_787
; %bb.789:                              ;   in Loop: Header=BB509_788 Depth=1
	v_lshl_add_u64 v[68:69], v[68:69], 0, -1
	v_cmp_eq_u64_e64 s[12:13], 0, v[68:69]
	s_andn2_b64 s[28:29], s[52:53], exec
	s_and_b64 s[52:53], s[26:27], exec
	s_or_b64 s[52:53], s[28:29], s[52:53]
	s_andn2_b64 s[28:29], s[50:51], exec
	s_and_b64 s[12:13], s[12:13], exec
	v_lshl_add_u64 v[64:65], v[64:65], 0, 8
	v_lshl_add_u64 v[66:67], v[66:67], 0, 8
	s_andn2_b64 s[48:49], s[48:49], exec
	s_or_b64 s[50:51], s[28:29], s[12:13]
                                        ; implicit-def: $sgpr54_sgpr55
	s_branch .LBB509_787
.LBB509_790:
	s_or_b64 exec, exec, s[44:45]
	s_and_saveexec_b64 s[12:13], s[46:47]
	s_xor_b64 s[12:13], exec, s[12:13]
; %bb.791:
	v_cndmask_b32_e64 v65, v27, v21, s[42:43]
	v_cndmask_b32_e64 v64, v26, v20, s[42:43]
	;; [unrolled: 1-line block ×4, first 2 shown]
	v_mov_b64_e32 v[26:27], v[64:65]
; %bb.792:
	s_or_b64 exec, exec, s[12:13]
.LBB509_793:
	s_or_b64 exec, exec, s[36:37]
	s_or_b64 exec, exec, s[34:35]
	v_cmp_lt_u32_e64 s[26:27], 4, v31
	s_and_saveexec_b64 s[36:37], s[26:27]
	s_cbranch_execz .LBB509_763
.LBB509_794:
	s_and_saveexec_b64 s[42:43], s[8:9]
	s_cbranch_execz .LBB509_802
; %bb.795:
	v_mul_lo_u32 v66, v23, v6
	v_mul_lo_u32 v67, v22, v7
	v_mad_u64_u32 v[64:65], s[12:13], v22, v6, 0
	v_add3_u32 v65, v65, v67, v66
	v_mul_lo_u32 v68, v17, v6
	v_mul_lo_u32 v69, v16, v7
	v_mad_u64_u32 v[66:67], s[12:13], v16, v6, 0
	v_add3_u32 v67, v67, v69, v68
	v_lshl_add_u64 v[64:65], v[64:65], 3, v[8:9]
	v_lshl_add_u64 v[66:67], v[66:67], 3, v[8:9]
	s_mov_b64 s[46:47], 0
	v_mov_b64_e32 v[68:69], v[6:7]
                                        ; implicit-def: $sgpr44_sgpr45
                                        ; implicit-def: $sgpr48_sgpr49
                                        ; implicit-def: $sgpr52_sgpr53
                                        ; implicit-def: $sgpr50_sgpr51
                                        ; implicit-def: $sgpr54_sgpr55
                                        ; implicit-def: $sgpr56_sgpr57
	s_branch .LBB509_797
.LBB509_796:                            ;   in Loop: Header=BB509_797 Depth=1
	s_or_b64 exec, exec, s[58:59]
	s_and_b64 s[12:13], exec, s[52:53]
	s_or_b64 s[46:47], s[12:13], s[46:47]
	s_andn2_b64 s[12:13], s[56:57], exec
	s_and_b64 s[34:35], s[54:55], exec
	s_or_b64 s[56:57], s[12:13], s[34:35]
	s_andn2_b64 s[12:13], s[48:49], exec
	s_and_b64 s[34:35], s[50:51], exec
	;; [unrolled: 3-line block ×3, first 2 shown]
	s_or_b64 s[44:45], s[12:13], s[28:29]
	s_andn2_b64 exec, exec, s[46:47]
	s_cbranch_execz .LBB509_799
.LBB509_797:                            ; =>This Inner Loop Header: Depth=1
	flat_load_dwordx2 v[70:71], v[66:67]
	flat_load_dwordx2 v[80:81], v[64:65]
	s_andn2_b64 s[54:55], s[54:55], exec
	s_or_b64 s[50:51], s[50:51], exec
	s_or_b64 s[52:53], s[52:53], exec
	s_waitcnt vmcnt(0) lgkmcnt(0)
	v_cmp_le_i64_e64 s[28:29], v[70:71], v[80:81]
	v_cmp_lt_i64_e64 s[12:13], v[70:71], v[80:81]
	s_and_b64 s[28:29], s[28:29], s[56:57]
	v_cmp_eq_u64_e64 s[34:35], v[70:71], v[80:81]
	s_or_b64 s[28:29], s[12:13], s[28:29]
	s_and_saveexec_b64 s[58:59], s[34:35]
	s_cbranch_execz .LBB509_796
; %bb.798:                              ;   in Loop: Header=BB509_797 Depth=1
	v_lshl_add_u64 v[68:69], v[68:69], 0, -1
	v_cmp_eq_u64_e64 s[12:13], 0, v[68:69]
	s_andn2_b64 s[34:35], s[54:55], exec
	s_and_b64 s[54:55], s[28:29], exec
	s_or_b64 s[54:55], s[34:35], s[54:55]
	s_andn2_b64 s[34:35], s[52:53], exec
	s_and_b64 s[12:13], s[12:13], exec
	v_lshl_add_u64 v[64:65], v[64:65], 0, 8
	v_lshl_add_u64 v[66:67], v[66:67], 0, 8
	s_andn2_b64 s[50:51], s[50:51], exec
	s_or_b64 s[52:53], s[34:35], s[12:13]
                                        ; implicit-def: $sgpr56_sgpr57
	s_branch .LBB509_796
.LBB509_799:
	s_or_b64 exec, exec, s[46:47]
	s_and_saveexec_b64 s[12:13], s[48:49]
	s_xor_b64 s[12:13], exec, s[12:13]
; %bb.800:
	v_cndmask_b32_e64 v65, v23, v17, s[44:45]
	v_cndmask_b32_e64 v64, v22, v16, s[44:45]
	;; [unrolled: 1-line block ×4, first 2 shown]
	v_mov_b64_e32 v[22:23], v[64:65]
; %bb.801:
	s_or_b64 exec, exec, s[12:13]
.LBB509_802:
	s_or_b64 exec, exec, s[42:43]
	s_or_b64 exec, exec, s[36:37]
	v_cmp_lt_u32_e64 s[28:29], 6, v31
	s_and_saveexec_b64 s[42:43], s[28:29]
	s_cbranch_execz .LBB509_764
.LBB509_803:
	s_and_saveexec_b64 s[44:45], s[8:9]
	s_cbranch_execz .LBB509_811
; %bb.804:
	v_mul_lo_u32 v31, v19, v6
	v_mul_lo_u32 v66, v18, v7
	v_mad_u64_u32 v[64:65], s[12:13], v18, v6, 0
	v_add3_u32 v65, v65, v66, v31
	v_mul_lo_u32 v31, v13, v6
	v_mul_lo_u32 v68, v12, v7
	v_mad_u64_u32 v[66:67], s[12:13], v12, v6, 0
	v_add3_u32 v67, v67, v68, v31
	v_lshl_add_u64 v[64:65], v[64:65], 3, v[8:9]
	v_lshl_add_u64 v[66:67], v[66:67], 3, v[8:9]
	s_mov_b64 s[48:49], 0
	v_mov_b64_e32 v[68:69], v[6:7]
                                        ; implicit-def: $sgpr46_sgpr47
                                        ; implicit-def: $sgpr50_sgpr51
                                        ; implicit-def: $sgpr54_sgpr55
                                        ; implicit-def: $sgpr52_sgpr53
                                        ; implicit-def: $sgpr56_sgpr57
                                        ; implicit-def: $sgpr58_sgpr59
	s_branch .LBB509_806
.LBB509_805:                            ;   in Loop: Header=BB509_806 Depth=1
	s_or_b64 exec, exec, s[60:61]
	s_and_b64 s[12:13], exec, s[54:55]
	s_or_b64 s[48:49], s[12:13], s[48:49]
	s_andn2_b64 s[12:13], s[58:59], exec
	s_and_b64 s[36:37], s[56:57], exec
	s_or_b64 s[58:59], s[12:13], s[36:37]
	s_andn2_b64 s[12:13], s[50:51], exec
	s_and_b64 s[36:37], s[52:53], exec
	;; [unrolled: 3-line block ×3, first 2 shown]
	s_or_b64 s[46:47], s[12:13], s[34:35]
	s_andn2_b64 exec, exec, s[48:49]
	s_cbranch_execz .LBB509_808
.LBB509_806:                            ; =>This Inner Loop Header: Depth=1
	flat_load_dwordx2 v[70:71], v[66:67]
	flat_load_dwordx2 v[80:81], v[64:65]
	s_andn2_b64 s[56:57], s[56:57], exec
	s_or_b64 s[52:53], s[52:53], exec
	s_or_b64 s[54:55], s[54:55], exec
	s_waitcnt vmcnt(0) lgkmcnt(0)
	v_cmp_le_i64_e64 s[34:35], v[70:71], v[80:81]
	v_cmp_lt_i64_e64 s[12:13], v[70:71], v[80:81]
	s_and_b64 s[34:35], s[34:35], s[58:59]
	v_cmp_eq_u64_e64 s[36:37], v[70:71], v[80:81]
	s_or_b64 s[34:35], s[12:13], s[34:35]
	s_and_saveexec_b64 s[60:61], s[36:37]
	s_cbranch_execz .LBB509_805
; %bb.807:                              ;   in Loop: Header=BB509_806 Depth=1
	v_lshl_add_u64 v[68:69], v[68:69], 0, -1
	v_cmp_eq_u64_e64 s[12:13], 0, v[68:69]
	s_andn2_b64 s[36:37], s[56:57], exec
	s_and_b64 s[56:57], s[34:35], exec
	s_or_b64 s[56:57], s[36:37], s[56:57]
	s_andn2_b64 s[36:37], s[54:55], exec
	s_and_b64 s[12:13], s[12:13], exec
	v_lshl_add_u64 v[64:65], v[64:65], 0, 8
	v_lshl_add_u64 v[66:67], v[66:67], 0, 8
	s_andn2_b64 s[52:53], s[52:53], exec
	s_or_b64 s[54:55], s[36:37], s[12:13]
                                        ; implicit-def: $sgpr58_sgpr59
	s_branch .LBB509_805
.LBB509_808:
	s_or_b64 exec, exec, s[48:49]
	s_and_saveexec_b64 s[12:13], s[50:51]
	s_xor_b64 s[12:13], exec, s[12:13]
; %bb.809:
	v_cndmask_b32_e64 v65, v19, v13, s[46:47]
	v_cndmask_b32_e64 v64, v18, v12, s[46:47]
	;; [unrolled: 1-line block ×4, first 2 shown]
	v_mov_b64_e32 v[18:19], v[64:65]
; %bb.810:
	s_or_b64 exec, exec, s[12:13]
.LBB509_811:
	s_or_b64 exec, exec, s[44:45]
	s_or_b64 exec, exec, s[42:43]
	s_and_saveexec_b64 s[42:43], s[16:17]
	s_cbranch_execz .LBB509_765
.LBB509_812:
	s_and_saveexec_b64 s[44:45], s[8:9]
	s_cbranch_execz .LBB509_820
; %bb.813:
	v_mul_lo_u32 v31, v25, v6
	v_mul_lo_u32 v66, v24, v7
	v_mad_u64_u32 v[64:65], s[12:13], v24, v6, 0
	v_add3_u32 v65, v65, v66, v31
	v_mul_lo_u32 v31, v27, v6
	v_mul_lo_u32 v68, v26, v7
	v_mad_u64_u32 v[66:67], s[12:13], v26, v6, 0
	v_add3_u32 v67, v67, v68, v31
	v_lshl_add_u64 v[64:65], v[64:65], 3, v[8:9]
	v_lshl_add_u64 v[66:67], v[66:67], 3, v[8:9]
	s_mov_b64 s[48:49], 0
	v_mov_b64_e32 v[68:69], v[6:7]
                                        ; implicit-def: $sgpr46_sgpr47
                                        ; implicit-def: $sgpr50_sgpr51
                                        ; implicit-def: $sgpr54_sgpr55
                                        ; implicit-def: $sgpr52_sgpr53
                                        ; implicit-def: $sgpr56_sgpr57
                                        ; implicit-def: $sgpr58_sgpr59
	s_branch .LBB509_815
.LBB509_814:                            ;   in Loop: Header=BB509_815 Depth=1
	s_or_b64 exec, exec, s[60:61]
	s_and_b64 s[12:13], exec, s[54:55]
	s_or_b64 s[48:49], s[12:13], s[48:49]
	s_andn2_b64 s[12:13], s[58:59], exec
	s_and_b64 s[36:37], s[56:57], exec
	s_or_b64 s[58:59], s[12:13], s[36:37]
	s_andn2_b64 s[12:13], s[50:51], exec
	s_and_b64 s[36:37], s[52:53], exec
	;; [unrolled: 3-line block ×3, first 2 shown]
	s_or_b64 s[46:47], s[12:13], s[34:35]
	s_andn2_b64 exec, exec, s[48:49]
	s_cbranch_execz .LBB509_817
.LBB509_815:                            ; =>This Inner Loop Header: Depth=1
	flat_load_dwordx2 v[70:71], v[66:67]
	flat_load_dwordx2 v[80:81], v[64:65]
	s_andn2_b64 s[56:57], s[56:57], exec
	s_or_b64 s[52:53], s[52:53], exec
	s_or_b64 s[54:55], s[54:55], exec
	s_waitcnt vmcnt(0) lgkmcnt(0)
	v_cmp_le_i64_e64 s[34:35], v[70:71], v[80:81]
	v_cmp_lt_i64_e64 s[12:13], v[70:71], v[80:81]
	s_and_b64 s[34:35], s[34:35], s[58:59]
	v_cmp_eq_u64_e64 s[36:37], v[70:71], v[80:81]
	s_or_b64 s[34:35], s[12:13], s[34:35]
	s_and_saveexec_b64 s[60:61], s[36:37]
	s_cbranch_execz .LBB509_814
; %bb.816:                              ;   in Loop: Header=BB509_815 Depth=1
	v_lshl_add_u64 v[68:69], v[68:69], 0, -1
	v_cmp_eq_u64_e64 s[12:13], 0, v[68:69]
	s_andn2_b64 s[36:37], s[56:57], exec
	s_and_b64 s[56:57], s[34:35], exec
	s_or_b64 s[56:57], s[36:37], s[56:57]
	s_andn2_b64 s[36:37], s[54:55], exec
	s_and_b64 s[12:13], s[12:13], exec
	v_lshl_add_u64 v[64:65], v[64:65], 0, 8
	v_lshl_add_u64 v[66:67], v[66:67], 0, 8
	s_andn2_b64 s[52:53], s[52:53], exec
	s_or_b64 s[54:55], s[36:37], s[12:13]
                                        ; implicit-def: $sgpr58_sgpr59
	s_branch .LBB509_814
.LBB509_817:
	s_or_b64 exec, exec, s[48:49]
	s_and_saveexec_b64 s[12:13], s[50:51]
	s_xor_b64 s[12:13], exec, s[12:13]
; %bb.818:
	v_cndmask_b32_e64 v65, v27, v25, s[46:47]
	v_cndmask_b32_e64 v64, v26, v24, s[46:47]
	;; [unrolled: 1-line block ×4, first 2 shown]
	v_mov_b64_e32 v[26:27], v[64:65]
; %bb.819:
	s_or_b64 exec, exec, s[12:13]
.LBB509_820:
	s_or_b64 exec, exec, s[44:45]
	s_or_b64 exec, exec, s[42:43]
	s_and_saveexec_b64 s[42:43], s[18:19]
	s_cbranch_execz .LBB509_766
.LBB509_821:
	s_and_saveexec_b64 s[44:45], s[8:9]
	s_cbranch_execz .LBB509_829
; %bb.822:
	v_mul_lo_u32 v31, v21, v6
	v_mul_lo_u32 v66, v20, v7
	v_mad_u64_u32 v[64:65], s[12:13], v20, v6, 0
	v_add3_u32 v65, v65, v66, v31
	v_mul_lo_u32 v31, v23, v6
	v_mul_lo_u32 v68, v22, v7
	v_mad_u64_u32 v[66:67], s[12:13], v22, v6, 0
	v_add3_u32 v67, v67, v68, v31
	v_lshl_add_u64 v[64:65], v[64:65], 3, v[8:9]
	v_lshl_add_u64 v[66:67], v[66:67], 3, v[8:9]
	s_mov_b64 s[48:49], 0
	v_mov_b64_e32 v[68:69], v[6:7]
                                        ; implicit-def: $sgpr46_sgpr47
                                        ; implicit-def: $sgpr50_sgpr51
                                        ; implicit-def: $sgpr54_sgpr55
                                        ; implicit-def: $sgpr52_sgpr53
                                        ; implicit-def: $sgpr56_sgpr57
                                        ; implicit-def: $sgpr58_sgpr59
	s_branch .LBB509_824
.LBB509_823:                            ;   in Loop: Header=BB509_824 Depth=1
	s_or_b64 exec, exec, s[60:61]
	s_and_b64 s[12:13], exec, s[54:55]
	s_or_b64 s[48:49], s[12:13], s[48:49]
	s_andn2_b64 s[12:13], s[58:59], exec
	s_and_b64 s[36:37], s[56:57], exec
	s_or_b64 s[58:59], s[12:13], s[36:37]
	s_andn2_b64 s[12:13], s[50:51], exec
	s_and_b64 s[36:37], s[52:53], exec
	s_or_b64 s[50:51], s[12:13], s[36:37]
	s_andn2_b64 s[12:13], s[46:47], exec
	s_and_b64 s[34:35], s[34:35], exec
	s_or_b64 s[46:47], s[12:13], s[34:35]
	s_andn2_b64 exec, exec, s[48:49]
	s_cbranch_execz .LBB509_826
.LBB509_824:                            ; =>This Inner Loop Header: Depth=1
	flat_load_dwordx2 v[70:71], v[66:67]
	flat_load_dwordx2 v[80:81], v[64:65]
	s_andn2_b64 s[56:57], s[56:57], exec
	s_or_b64 s[52:53], s[52:53], exec
	s_or_b64 s[54:55], s[54:55], exec
	s_waitcnt vmcnt(0) lgkmcnt(0)
	v_cmp_le_i64_e64 s[34:35], v[70:71], v[80:81]
	v_cmp_lt_i64_e64 s[12:13], v[70:71], v[80:81]
	s_and_b64 s[34:35], s[34:35], s[58:59]
	v_cmp_eq_u64_e64 s[36:37], v[70:71], v[80:81]
	s_or_b64 s[34:35], s[12:13], s[34:35]
	s_and_saveexec_b64 s[60:61], s[36:37]
	s_cbranch_execz .LBB509_823
; %bb.825:                              ;   in Loop: Header=BB509_824 Depth=1
	v_lshl_add_u64 v[68:69], v[68:69], 0, -1
	v_cmp_eq_u64_e64 s[12:13], 0, v[68:69]
	s_andn2_b64 s[36:37], s[56:57], exec
	s_and_b64 s[56:57], s[34:35], exec
	s_or_b64 s[56:57], s[36:37], s[56:57]
	s_andn2_b64 s[36:37], s[54:55], exec
	s_and_b64 s[12:13], s[12:13], exec
	v_lshl_add_u64 v[64:65], v[64:65], 0, 8
	v_lshl_add_u64 v[66:67], v[66:67], 0, 8
	s_andn2_b64 s[52:53], s[52:53], exec
	s_or_b64 s[54:55], s[36:37], s[12:13]
                                        ; implicit-def: $sgpr58_sgpr59
	s_branch .LBB509_823
.LBB509_826:
	s_or_b64 exec, exec, s[48:49]
	s_and_saveexec_b64 s[12:13], s[50:51]
	s_xor_b64 s[12:13], exec, s[12:13]
; %bb.827:
	v_cndmask_b32_e64 v65, v21, v23, s[46:47]
	v_cndmask_b32_e64 v64, v20, v22, s[46:47]
	;; [unrolled: 1-line block ×4, first 2 shown]
	v_mov_b64_e32 v[20:21], v[64:65]
; %bb.828:
	s_or_b64 exec, exec, s[12:13]
.LBB509_829:
	s_or_b64 exec, exec, s[44:45]
	s_or_b64 exec, exec, s[42:43]
	s_and_saveexec_b64 s[42:43], s[20:21]
	s_cbranch_execz .LBB509_767
.LBB509_830:
	s_and_saveexec_b64 s[44:45], s[8:9]
	s_cbranch_execz .LBB509_838
; %bb.831:
	v_mul_lo_u32 v31, v17, v6
	v_mul_lo_u32 v66, v16, v7
	v_mad_u64_u32 v[64:65], s[12:13], v16, v6, 0
	v_add3_u32 v65, v65, v66, v31
	v_mul_lo_u32 v31, v19, v6
	v_mul_lo_u32 v68, v18, v7
	v_mad_u64_u32 v[66:67], s[12:13], v18, v6, 0
	v_add3_u32 v67, v67, v68, v31
	v_lshl_add_u64 v[64:65], v[64:65], 3, v[8:9]
	v_lshl_add_u64 v[66:67], v[66:67], 3, v[8:9]
	s_mov_b64 s[48:49], 0
	v_mov_b64_e32 v[68:69], v[6:7]
                                        ; implicit-def: $sgpr46_sgpr47
                                        ; implicit-def: $sgpr50_sgpr51
                                        ; implicit-def: $sgpr54_sgpr55
                                        ; implicit-def: $sgpr52_sgpr53
                                        ; implicit-def: $sgpr56_sgpr57
                                        ; implicit-def: $sgpr58_sgpr59
	s_branch .LBB509_833
.LBB509_832:                            ;   in Loop: Header=BB509_833 Depth=1
	s_or_b64 exec, exec, s[60:61]
	s_and_b64 s[12:13], exec, s[54:55]
	s_or_b64 s[48:49], s[12:13], s[48:49]
	s_andn2_b64 s[12:13], s[58:59], exec
	s_and_b64 s[36:37], s[56:57], exec
	s_or_b64 s[58:59], s[12:13], s[36:37]
	s_andn2_b64 s[12:13], s[50:51], exec
	s_and_b64 s[36:37], s[52:53], exec
	;; [unrolled: 3-line block ×3, first 2 shown]
	s_or_b64 s[46:47], s[12:13], s[34:35]
	s_andn2_b64 exec, exec, s[48:49]
	s_cbranch_execz .LBB509_835
.LBB509_833:                            ; =>This Inner Loop Header: Depth=1
	flat_load_dwordx2 v[70:71], v[66:67]
	flat_load_dwordx2 v[80:81], v[64:65]
	s_andn2_b64 s[56:57], s[56:57], exec
	s_or_b64 s[52:53], s[52:53], exec
	s_or_b64 s[54:55], s[54:55], exec
	s_waitcnt vmcnt(0) lgkmcnt(0)
	v_cmp_le_i64_e64 s[34:35], v[70:71], v[80:81]
	v_cmp_lt_i64_e64 s[12:13], v[70:71], v[80:81]
	s_and_b64 s[34:35], s[34:35], s[58:59]
	v_cmp_eq_u64_e64 s[36:37], v[70:71], v[80:81]
	s_or_b64 s[34:35], s[12:13], s[34:35]
	s_and_saveexec_b64 s[60:61], s[36:37]
	s_cbranch_execz .LBB509_832
; %bb.834:                              ;   in Loop: Header=BB509_833 Depth=1
	v_lshl_add_u64 v[68:69], v[68:69], 0, -1
	v_cmp_eq_u64_e64 s[12:13], 0, v[68:69]
	s_andn2_b64 s[36:37], s[56:57], exec
	s_and_b64 s[56:57], s[34:35], exec
	s_or_b64 s[56:57], s[36:37], s[56:57]
	s_andn2_b64 s[36:37], s[54:55], exec
	s_and_b64 s[12:13], s[12:13], exec
	v_lshl_add_u64 v[64:65], v[64:65], 0, 8
	v_lshl_add_u64 v[66:67], v[66:67], 0, 8
	s_andn2_b64 s[52:53], s[52:53], exec
	s_or_b64 s[54:55], s[36:37], s[12:13]
                                        ; implicit-def: $sgpr58_sgpr59
	s_branch .LBB509_832
.LBB509_835:
	s_or_b64 exec, exec, s[48:49]
	s_and_saveexec_b64 s[12:13], s[50:51]
	s_xor_b64 s[12:13], exec, s[12:13]
; %bb.836:
	v_cndmask_b32_e64 v65, v17, v19, s[46:47]
	v_cndmask_b32_e64 v64, v16, v18, s[46:47]
	v_cndmask_b32_e64 v19, v19, v17, s[46:47]
	v_cndmask_b32_e64 v18, v18, v16, s[46:47]
	v_mov_b64_e32 v[16:17], v[64:65]
; %bb.837:
	s_or_b64 exec, exec, s[12:13]
.LBB509_838:
	s_or_b64 exec, exec, s[44:45]
	s_or_b64 exec, exec, s[42:43]
	s_and_saveexec_b64 s[42:43], s[22:23]
	s_cbranch_execz .LBB509_768
.LBB509_839:
	s_and_saveexec_b64 s[44:45], s[8:9]
	s_cbranch_execz .LBB509_847
; %bb.840:
	v_mul_lo_u32 v31, v13, v6
	v_mul_lo_u32 v66, v12, v7
	v_mad_u64_u32 v[64:65], s[12:13], v12, v6, 0
	v_add3_u32 v65, v65, v66, v31
	v_mul_lo_u32 v31, v15, v6
	v_mul_lo_u32 v68, v14, v7
	v_mad_u64_u32 v[66:67], s[12:13], v14, v6, 0
	v_add3_u32 v67, v67, v68, v31
	v_lshl_add_u64 v[64:65], v[64:65], 3, v[8:9]
	v_lshl_add_u64 v[66:67], v[66:67], 3, v[8:9]
	s_mov_b64 s[48:49], 0
	v_mov_b64_e32 v[68:69], v[6:7]
                                        ; implicit-def: $sgpr46_sgpr47
                                        ; implicit-def: $sgpr50_sgpr51
                                        ; implicit-def: $sgpr54_sgpr55
                                        ; implicit-def: $sgpr52_sgpr53
                                        ; implicit-def: $sgpr56_sgpr57
                                        ; implicit-def: $sgpr58_sgpr59
	s_branch .LBB509_842
.LBB509_841:                            ;   in Loop: Header=BB509_842 Depth=1
	s_or_b64 exec, exec, s[60:61]
	s_and_b64 s[12:13], exec, s[54:55]
	s_or_b64 s[48:49], s[12:13], s[48:49]
	s_andn2_b64 s[12:13], s[58:59], exec
	s_and_b64 s[36:37], s[56:57], exec
	s_or_b64 s[58:59], s[12:13], s[36:37]
	s_andn2_b64 s[12:13], s[50:51], exec
	s_and_b64 s[36:37], s[52:53], exec
	;; [unrolled: 3-line block ×3, first 2 shown]
	s_or_b64 s[46:47], s[12:13], s[34:35]
	s_andn2_b64 exec, exec, s[48:49]
	s_cbranch_execz .LBB509_844
.LBB509_842:                            ; =>This Inner Loop Header: Depth=1
	flat_load_dwordx2 v[70:71], v[66:67]
	flat_load_dwordx2 v[80:81], v[64:65]
	s_andn2_b64 s[56:57], s[56:57], exec
	s_or_b64 s[52:53], s[52:53], exec
	s_or_b64 s[54:55], s[54:55], exec
	s_waitcnt vmcnt(0) lgkmcnt(0)
	v_cmp_le_i64_e64 s[34:35], v[70:71], v[80:81]
	v_cmp_lt_i64_e64 s[12:13], v[70:71], v[80:81]
	s_and_b64 s[34:35], s[34:35], s[58:59]
	v_cmp_eq_u64_e64 s[36:37], v[70:71], v[80:81]
	s_or_b64 s[34:35], s[12:13], s[34:35]
	s_and_saveexec_b64 s[60:61], s[36:37]
	s_cbranch_execz .LBB509_841
; %bb.843:                              ;   in Loop: Header=BB509_842 Depth=1
	v_lshl_add_u64 v[68:69], v[68:69], 0, -1
	v_cmp_eq_u64_e64 s[12:13], 0, v[68:69]
	s_andn2_b64 s[36:37], s[56:57], exec
	s_and_b64 s[56:57], s[34:35], exec
	s_or_b64 s[56:57], s[36:37], s[56:57]
	s_andn2_b64 s[36:37], s[54:55], exec
	s_and_b64 s[12:13], s[12:13], exec
	v_lshl_add_u64 v[64:65], v[64:65], 0, 8
	v_lshl_add_u64 v[66:67], v[66:67], 0, 8
	s_andn2_b64 s[52:53], s[52:53], exec
	s_or_b64 s[54:55], s[36:37], s[12:13]
                                        ; implicit-def: $sgpr58_sgpr59
	s_branch .LBB509_841
.LBB509_844:
	s_or_b64 exec, exec, s[48:49]
	s_and_saveexec_b64 s[12:13], s[50:51]
	s_xor_b64 s[12:13], exec, s[12:13]
; %bb.845:
	v_cndmask_b32_e64 v65, v13, v15, s[46:47]
	v_cndmask_b32_e64 v64, v12, v14, s[46:47]
	;; [unrolled: 1-line block ×4, first 2 shown]
	v_mov_b64_e32 v[12:13], v[64:65]
; %bb.846:
	s_or_b64 exec, exec, s[12:13]
.LBB509_847:
	s_or_b64 exec, exec, s[44:45]
	s_or_b64 exec, exec, s[42:43]
	s_and_saveexec_b64 s[42:43], s[24:25]
	s_cbranch_execz .LBB509_769
.LBB509_848:
	s_and_saveexec_b64 s[44:45], s[8:9]
	s_cbranch_execz .LBB509_856
; %bb.849:
	v_mul_lo_u32 v31, v27, v6
	v_mul_lo_u32 v66, v26, v7
	v_mad_u64_u32 v[64:65], s[12:13], v26, v6, 0
	v_add3_u32 v65, v65, v66, v31
	v_mul_lo_u32 v31, v21, v6
	v_mul_lo_u32 v68, v20, v7
	v_mad_u64_u32 v[66:67], s[12:13], v20, v6, 0
	v_add3_u32 v67, v67, v68, v31
	v_lshl_add_u64 v[64:65], v[64:65], 3, v[8:9]
	v_lshl_add_u64 v[66:67], v[66:67], 3, v[8:9]
	s_mov_b64 s[48:49], 0
	v_mov_b64_e32 v[68:69], v[6:7]
                                        ; implicit-def: $sgpr46_sgpr47
                                        ; implicit-def: $sgpr50_sgpr51
                                        ; implicit-def: $sgpr54_sgpr55
                                        ; implicit-def: $sgpr52_sgpr53
                                        ; implicit-def: $sgpr56_sgpr57
                                        ; implicit-def: $sgpr58_sgpr59
	s_branch .LBB509_851
.LBB509_850:                            ;   in Loop: Header=BB509_851 Depth=1
	s_or_b64 exec, exec, s[60:61]
	s_and_b64 s[12:13], exec, s[54:55]
	s_or_b64 s[48:49], s[12:13], s[48:49]
	s_andn2_b64 s[12:13], s[58:59], exec
	s_and_b64 s[36:37], s[56:57], exec
	s_or_b64 s[58:59], s[12:13], s[36:37]
	s_andn2_b64 s[12:13], s[50:51], exec
	s_and_b64 s[36:37], s[52:53], exec
	;; [unrolled: 3-line block ×3, first 2 shown]
	s_or_b64 s[46:47], s[12:13], s[34:35]
	s_andn2_b64 exec, exec, s[48:49]
	s_cbranch_execz .LBB509_853
.LBB509_851:                            ; =>This Inner Loop Header: Depth=1
	flat_load_dwordx2 v[70:71], v[66:67]
	flat_load_dwordx2 v[80:81], v[64:65]
	s_andn2_b64 s[56:57], s[56:57], exec
	s_or_b64 s[52:53], s[52:53], exec
	s_or_b64 s[54:55], s[54:55], exec
	s_waitcnt vmcnt(0) lgkmcnt(0)
	v_cmp_le_i64_e64 s[34:35], v[70:71], v[80:81]
	v_cmp_lt_i64_e64 s[12:13], v[70:71], v[80:81]
	s_and_b64 s[34:35], s[34:35], s[58:59]
	v_cmp_eq_u64_e64 s[36:37], v[70:71], v[80:81]
	s_or_b64 s[34:35], s[12:13], s[34:35]
	s_and_saveexec_b64 s[60:61], s[36:37]
	s_cbranch_execz .LBB509_850
; %bb.852:                              ;   in Loop: Header=BB509_851 Depth=1
	v_lshl_add_u64 v[68:69], v[68:69], 0, -1
	v_cmp_eq_u64_e64 s[12:13], 0, v[68:69]
	s_andn2_b64 s[36:37], s[56:57], exec
	s_and_b64 s[56:57], s[34:35], exec
	s_or_b64 s[56:57], s[36:37], s[56:57]
	s_andn2_b64 s[36:37], s[54:55], exec
	s_and_b64 s[12:13], s[12:13], exec
	v_lshl_add_u64 v[64:65], v[64:65], 0, 8
	v_lshl_add_u64 v[66:67], v[66:67], 0, 8
	s_andn2_b64 s[52:53], s[52:53], exec
	s_or_b64 s[54:55], s[36:37], s[12:13]
                                        ; implicit-def: $sgpr58_sgpr59
	s_branch .LBB509_850
.LBB509_853:
	s_or_b64 exec, exec, s[48:49]
	s_and_saveexec_b64 s[12:13], s[50:51]
	s_xor_b64 s[12:13], exec, s[12:13]
; %bb.854:
	v_cndmask_b32_e64 v65, v27, v21, s[46:47]
	v_cndmask_b32_e64 v64, v26, v20, s[46:47]
	v_cndmask_b32_e64 v21, v21, v27, s[46:47]
	v_cndmask_b32_e64 v20, v20, v26, s[46:47]
	v_mov_b64_e32 v[26:27], v[64:65]
; %bb.855:
	s_or_b64 exec, exec, s[12:13]
.LBB509_856:
	s_or_b64 exec, exec, s[44:45]
	s_or_b64 exec, exec, s[42:43]
	s_and_saveexec_b64 s[42:43], s[26:27]
	s_cbranch_execz .LBB509_770
.LBB509_857:
	s_and_saveexec_b64 s[44:45], s[8:9]
	s_cbranch_execz .LBB509_865
; %bb.858:
	v_mul_lo_u32 v31, v23, v6
	v_mul_lo_u32 v66, v22, v7
	v_mad_u64_u32 v[64:65], s[12:13], v22, v6, 0
	v_add3_u32 v65, v65, v66, v31
	v_mul_lo_u32 v31, v17, v6
	v_mul_lo_u32 v68, v16, v7
	v_mad_u64_u32 v[66:67], s[12:13], v16, v6, 0
	v_add3_u32 v67, v67, v68, v31
	v_lshl_add_u64 v[64:65], v[64:65], 3, v[8:9]
	v_lshl_add_u64 v[66:67], v[66:67], 3, v[8:9]
	s_mov_b64 s[48:49], 0
	v_mov_b64_e32 v[68:69], v[6:7]
                                        ; implicit-def: $sgpr46_sgpr47
                                        ; implicit-def: $sgpr50_sgpr51
                                        ; implicit-def: $sgpr54_sgpr55
                                        ; implicit-def: $sgpr52_sgpr53
                                        ; implicit-def: $sgpr56_sgpr57
                                        ; implicit-def: $sgpr58_sgpr59
	s_branch .LBB509_860
.LBB509_859:                            ;   in Loop: Header=BB509_860 Depth=1
	s_or_b64 exec, exec, s[60:61]
	s_and_b64 s[12:13], exec, s[54:55]
	s_or_b64 s[48:49], s[12:13], s[48:49]
	s_andn2_b64 s[12:13], s[58:59], exec
	s_and_b64 s[36:37], s[56:57], exec
	s_or_b64 s[58:59], s[12:13], s[36:37]
	s_andn2_b64 s[12:13], s[50:51], exec
	s_and_b64 s[36:37], s[52:53], exec
	;; [unrolled: 3-line block ×3, first 2 shown]
	s_or_b64 s[46:47], s[12:13], s[34:35]
	s_andn2_b64 exec, exec, s[48:49]
	s_cbranch_execz .LBB509_862
.LBB509_860:                            ; =>This Inner Loop Header: Depth=1
	flat_load_dwordx2 v[70:71], v[66:67]
	flat_load_dwordx2 v[80:81], v[64:65]
	s_andn2_b64 s[56:57], s[56:57], exec
	s_or_b64 s[52:53], s[52:53], exec
	s_or_b64 s[54:55], s[54:55], exec
	s_waitcnt vmcnt(0) lgkmcnt(0)
	v_cmp_le_i64_e64 s[34:35], v[70:71], v[80:81]
	v_cmp_lt_i64_e64 s[12:13], v[70:71], v[80:81]
	s_and_b64 s[34:35], s[34:35], s[58:59]
	v_cmp_eq_u64_e64 s[36:37], v[70:71], v[80:81]
	s_or_b64 s[34:35], s[12:13], s[34:35]
	s_and_saveexec_b64 s[60:61], s[36:37]
	s_cbranch_execz .LBB509_859
; %bb.861:                              ;   in Loop: Header=BB509_860 Depth=1
	v_lshl_add_u64 v[68:69], v[68:69], 0, -1
	v_cmp_eq_u64_e64 s[12:13], 0, v[68:69]
	s_andn2_b64 s[36:37], s[56:57], exec
	s_and_b64 s[56:57], s[34:35], exec
	s_or_b64 s[56:57], s[36:37], s[56:57]
	s_andn2_b64 s[36:37], s[54:55], exec
	s_and_b64 s[12:13], s[12:13], exec
	v_lshl_add_u64 v[64:65], v[64:65], 0, 8
	v_lshl_add_u64 v[66:67], v[66:67], 0, 8
	s_andn2_b64 s[52:53], s[52:53], exec
	s_or_b64 s[54:55], s[36:37], s[12:13]
                                        ; implicit-def: $sgpr58_sgpr59
	s_branch .LBB509_859
.LBB509_862:
	s_or_b64 exec, exec, s[48:49]
	s_and_saveexec_b64 s[12:13], s[50:51]
	s_xor_b64 s[12:13], exec, s[12:13]
; %bb.863:
	v_cndmask_b32_e64 v65, v23, v17, s[46:47]
	v_cndmask_b32_e64 v64, v22, v16, s[46:47]
	;; [unrolled: 1-line block ×4, first 2 shown]
	v_mov_b64_e32 v[22:23], v[64:65]
; %bb.864:
	s_or_b64 exec, exec, s[12:13]
.LBB509_865:
	s_or_b64 exec, exec, s[44:45]
	s_or_b64 exec, exec, s[42:43]
	s_and_saveexec_b64 s[42:43], s[28:29]
	s_cbranch_execz .LBB509_771
.LBB509_866:
	s_and_saveexec_b64 s[44:45], s[8:9]
	s_cbranch_execz .LBB509_874
; %bb.867:
	v_mul_lo_u32 v31, v19, v6
	v_mul_lo_u32 v66, v18, v7
	v_mad_u64_u32 v[64:65], s[12:13], v18, v6, 0
	v_add3_u32 v65, v65, v66, v31
	v_mul_lo_u32 v31, v13, v6
	v_mul_lo_u32 v68, v12, v7
	v_mad_u64_u32 v[66:67], s[12:13], v12, v6, 0
	v_add3_u32 v67, v67, v68, v31
	v_lshl_add_u64 v[64:65], v[64:65], 3, v[8:9]
	v_lshl_add_u64 v[66:67], v[66:67], 3, v[8:9]
	s_mov_b64 s[48:49], 0
	v_mov_b64_e32 v[68:69], v[6:7]
                                        ; implicit-def: $sgpr46_sgpr47
                                        ; implicit-def: $sgpr50_sgpr51
                                        ; implicit-def: $sgpr54_sgpr55
                                        ; implicit-def: $sgpr52_sgpr53
                                        ; implicit-def: $sgpr56_sgpr57
                                        ; implicit-def: $sgpr58_sgpr59
	s_branch .LBB509_869
.LBB509_868:                            ;   in Loop: Header=BB509_869 Depth=1
	s_or_b64 exec, exec, s[60:61]
	s_and_b64 s[12:13], exec, s[54:55]
	s_or_b64 s[48:49], s[12:13], s[48:49]
	s_andn2_b64 s[12:13], s[58:59], exec
	s_and_b64 s[36:37], s[56:57], exec
	s_or_b64 s[58:59], s[12:13], s[36:37]
	s_andn2_b64 s[12:13], s[50:51], exec
	s_and_b64 s[36:37], s[52:53], exec
	;; [unrolled: 3-line block ×3, first 2 shown]
	s_or_b64 s[46:47], s[12:13], s[34:35]
	s_andn2_b64 exec, exec, s[48:49]
	s_cbranch_execz .LBB509_871
.LBB509_869:                            ; =>This Inner Loop Header: Depth=1
	flat_load_dwordx2 v[70:71], v[66:67]
	flat_load_dwordx2 v[80:81], v[64:65]
	s_andn2_b64 s[56:57], s[56:57], exec
	s_or_b64 s[52:53], s[52:53], exec
	s_or_b64 s[54:55], s[54:55], exec
	s_waitcnt vmcnt(0) lgkmcnt(0)
	v_cmp_le_i64_e64 s[34:35], v[70:71], v[80:81]
	v_cmp_lt_i64_e64 s[12:13], v[70:71], v[80:81]
	s_and_b64 s[34:35], s[34:35], s[58:59]
	v_cmp_eq_u64_e64 s[36:37], v[70:71], v[80:81]
	s_or_b64 s[34:35], s[12:13], s[34:35]
	s_and_saveexec_b64 s[60:61], s[36:37]
	s_cbranch_execz .LBB509_868
; %bb.870:                              ;   in Loop: Header=BB509_869 Depth=1
	v_lshl_add_u64 v[68:69], v[68:69], 0, -1
	v_cmp_eq_u64_e64 s[12:13], 0, v[68:69]
	s_andn2_b64 s[36:37], s[56:57], exec
	s_and_b64 s[56:57], s[34:35], exec
	s_or_b64 s[56:57], s[36:37], s[56:57]
	s_andn2_b64 s[36:37], s[54:55], exec
	s_and_b64 s[12:13], s[12:13], exec
	v_lshl_add_u64 v[64:65], v[64:65], 0, 8
	v_lshl_add_u64 v[66:67], v[66:67], 0, 8
	s_andn2_b64 s[52:53], s[52:53], exec
	s_or_b64 s[54:55], s[36:37], s[12:13]
                                        ; implicit-def: $sgpr58_sgpr59
	s_branch .LBB509_868
.LBB509_871:
	s_or_b64 exec, exec, s[48:49]
	s_and_saveexec_b64 s[12:13], s[50:51]
	s_xor_b64 s[12:13], exec, s[12:13]
; %bb.872:
	v_cndmask_b32_e64 v65, v19, v13, s[46:47]
	v_cndmask_b32_e64 v64, v18, v12, s[46:47]
	v_cndmask_b32_e64 v13, v13, v19, s[46:47]
	v_cndmask_b32_e64 v12, v12, v18, s[46:47]
	v_mov_b64_e32 v[18:19], v[64:65]
; %bb.873:
	s_or_b64 exec, exec, s[12:13]
.LBB509_874:
	s_or_b64 exec, exec, s[44:45]
	s_or_b64 exec, exec, s[42:43]
	s_and_saveexec_b64 s[42:43], s[16:17]
	s_cbranch_execz .LBB509_772
.LBB509_875:
	s_and_saveexec_b64 s[44:45], s[8:9]
	s_cbranch_execz .LBB509_883
; %bb.876:
	v_mul_lo_u32 v31, v25, v6
	v_mul_lo_u32 v66, v24, v7
	v_mad_u64_u32 v[64:65], s[12:13], v24, v6, 0
	v_add3_u32 v65, v65, v66, v31
	v_mul_lo_u32 v31, v27, v6
	v_mul_lo_u32 v68, v26, v7
	v_mad_u64_u32 v[66:67], s[12:13], v26, v6, 0
	v_add3_u32 v67, v67, v68, v31
	v_lshl_add_u64 v[64:65], v[64:65], 3, v[8:9]
	v_lshl_add_u64 v[66:67], v[66:67], 3, v[8:9]
	s_mov_b64 s[48:49], 0
	v_mov_b64_e32 v[68:69], v[6:7]
                                        ; implicit-def: $sgpr46_sgpr47
                                        ; implicit-def: $sgpr50_sgpr51
                                        ; implicit-def: $sgpr54_sgpr55
                                        ; implicit-def: $sgpr52_sgpr53
                                        ; implicit-def: $sgpr56_sgpr57
                                        ; implicit-def: $sgpr58_sgpr59
	s_branch .LBB509_878
.LBB509_877:                            ;   in Loop: Header=BB509_878 Depth=1
	s_or_b64 exec, exec, s[60:61]
	s_and_b64 s[12:13], exec, s[54:55]
	s_or_b64 s[48:49], s[12:13], s[48:49]
	s_andn2_b64 s[12:13], s[58:59], exec
	s_and_b64 s[36:37], s[56:57], exec
	s_or_b64 s[58:59], s[12:13], s[36:37]
	s_andn2_b64 s[12:13], s[50:51], exec
	s_and_b64 s[36:37], s[52:53], exec
	;; [unrolled: 3-line block ×3, first 2 shown]
	s_or_b64 s[46:47], s[12:13], s[34:35]
	s_andn2_b64 exec, exec, s[48:49]
	s_cbranch_execz .LBB509_880
.LBB509_878:                            ; =>This Inner Loop Header: Depth=1
	flat_load_dwordx2 v[70:71], v[66:67]
	flat_load_dwordx2 v[80:81], v[64:65]
	s_andn2_b64 s[56:57], s[56:57], exec
	s_or_b64 s[52:53], s[52:53], exec
	s_or_b64 s[54:55], s[54:55], exec
	s_waitcnt vmcnt(0) lgkmcnt(0)
	v_cmp_le_i64_e64 s[34:35], v[70:71], v[80:81]
	v_cmp_lt_i64_e64 s[12:13], v[70:71], v[80:81]
	s_and_b64 s[34:35], s[34:35], s[58:59]
	v_cmp_eq_u64_e64 s[36:37], v[70:71], v[80:81]
	s_or_b64 s[34:35], s[12:13], s[34:35]
	s_and_saveexec_b64 s[60:61], s[36:37]
	s_cbranch_execz .LBB509_877
; %bb.879:                              ;   in Loop: Header=BB509_878 Depth=1
	v_lshl_add_u64 v[68:69], v[68:69], 0, -1
	v_cmp_eq_u64_e64 s[12:13], 0, v[68:69]
	s_andn2_b64 s[36:37], s[56:57], exec
	s_and_b64 s[56:57], s[34:35], exec
	s_or_b64 s[56:57], s[36:37], s[56:57]
	s_andn2_b64 s[36:37], s[54:55], exec
	s_and_b64 s[12:13], s[12:13], exec
	v_lshl_add_u64 v[64:65], v[64:65], 0, 8
	v_lshl_add_u64 v[66:67], v[66:67], 0, 8
	s_andn2_b64 s[52:53], s[52:53], exec
	s_or_b64 s[54:55], s[36:37], s[12:13]
                                        ; implicit-def: $sgpr58_sgpr59
	s_branch .LBB509_877
.LBB509_880:
	s_or_b64 exec, exec, s[48:49]
	s_and_saveexec_b64 s[12:13], s[50:51]
	s_xor_b64 s[12:13], exec, s[12:13]
; %bb.881:
	v_cndmask_b32_e64 v65, v27, v25, s[46:47]
	v_cndmask_b32_e64 v64, v26, v24, s[46:47]
	;; [unrolled: 1-line block ×4, first 2 shown]
	v_mov_b64_e32 v[26:27], v[64:65]
; %bb.882:
	s_or_b64 exec, exec, s[12:13]
.LBB509_883:
	s_or_b64 exec, exec, s[44:45]
	s_or_b64 exec, exec, s[42:43]
	s_and_saveexec_b64 s[42:43], s[18:19]
	s_cbranch_execz .LBB509_773
.LBB509_884:
	s_and_saveexec_b64 s[44:45], s[8:9]
	s_cbranch_execz .LBB509_892
; %bb.885:
	v_mul_lo_u32 v31, v21, v6
	v_mul_lo_u32 v66, v20, v7
	v_mad_u64_u32 v[64:65], s[12:13], v20, v6, 0
	v_add3_u32 v65, v65, v66, v31
	v_mul_lo_u32 v31, v23, v6
	v_mul_lo_u32 v68, v22, v7
	v_mad_u64_u32 v[66:67], s[12:13], v22, v6, 0
	v_add3_u32 v67, v67, v68, v31
	v_lshl_add_u64 v[64:65], v[64:65], 3, v[8:9]
	v_lshl_add_u64 v[66:67], v[66:67], 3, v[8:9]
	s_mov_b64 s[48:49], 0
	v_mov_b64_e32 v[68:69], v[6:7]
                                        ; implicit-def: $sgpr46_sgpr47
                                        ; implicit-def: $sgpr50_sgpr51
                                        ; implicit-def: $sgpr54_sgpr55
                                        ; implicit-def: $sgpr52_sgpr53
                                        ; implicit-def: $sgpr56_sgpr57
                                        ; implicit-def: $sgpr58_sgpr59
	s_branch .LBB509_887
.LBB509_886:                            ;   in Loop: Header=BB509_887 Depth=1
	s_or_b64 exec, exec, s[60:61]
	s_and_b64 s[12:13], exec, s[54:55]
	s_or_b64 s[48:49], s[12:13], s[48:49]
	s_andn2_b64 s[12:13], s[58:59], exec
	s_and_b64 s[36:37], s[56:57], exec
	s_or_b64 s[58:59], s[12:13], s[36:37]
	s_andn2_b64 s[12:13], s[50:51], exec
	s_and_b64 s[36:37], s[52:53], exec
	;; [unrolled: 3-line block ×3, first 2 shown]
	s_or_b64 s[46:47], s[12:13], s[34:35]
	s_andn2_b64 exec, exec, s[48:49]
	s_cbranch_execz .LBB509_889
.LBB509_887:                            ; =>This Inner Loop Header: Depth=1
	flat_load_dwordx2 v[70:71], v[66:67]
	flat_load_dwordx2 v[80:81], v[64:65]
	s_andn2_b64 s[56:57], s[56:57], exec
	s_or_b64 s[52:53], s[52:53], exec
	s_or_b64 s[54:55], s[54:55], exec
	s_waitcnt vmcnt(0) lgkmcnt(0)
	v_cmp_le_i64_e64 s[34:35], v[70:71], v[80:81]
	v_cmp_lt_i64_e64 s[12:13], v[70:71], v[80:81]
	s_and_b64 s[34:35], s[34:35], s[58:59]
	v_cmp_eq_u64_e64 s[36:37], v[70:71], v[80:81]
	s_or_b64 s[34:35], s[12:13], s[34:35]
	s_and_saveexec_b64 s[60:61], s[36:37]
	s_cbranch_execz .LBB509_886
; %bb.888:                              ;   in Loop: Header=BB509_887 Depth=1
	v_lshl_add_u64 v[68:69], v[68:69], 0, -1
	v_cmp_eq_u64_e64 s[12:13], 0, v[68:69]
	s_andn2_b64 s[36:37], s[56:57], exec
	s_and_b64 s[56:57], s[34:35], exec
	s_or_b64 s[56:57], s[36:37], s[56:57]
	s_andn2_b64 s[36:37], s[54:55], exec
	s_and_b64 s[12:13], s[12:13], exec
	v_lshl_add_u64 v[64:65], v[64:65], 0, 8
	v_lshl_add_u64 v[66:67], v[66:67], 0, 8
	s_andn2_b64 s[52:53], s[52:53], exec
	s_or_b64 s[54:55], s[36:37], s[12:13]
                                        ; implicit-def: $sgpr58_sgpr59
	s_branch .LBB509_886
.LBB509_889:
	s_or_b64 exec, exec, s[48:49]
	s_and_saveexec_b64 s[12:13], s[50:51]
	s_xor_b64 s[12:13], exec, s[12:13]
; %bb.890:
	v_cndmask_b32_e64 v65, v21, v23, s[46:47]
	v_cndmask_b32_e64 v64, v20, v22, s[46:47]
	;; [unrolled: 1-line block ×4, first 2 shown]
	v_mov_b64_e32 v[20:21], v[64:65]
; %bb.891:
	s_or_b64 exec, exec, s[12:13]
.LBB509_892:
	s_or_b64 exec, exec, s[44:45]
	s_or_b64 exec, exec, s[42:43]
	s_and_saveexec_b64 s[42:43], s[20:21]
	s_cbranch_execz .LBB509_774
.LBB509_893:
	s_and_saveexec_b64 s[44:45], s[8:9]
	s_cbranch_execz .LBB509_901
; %bb.894:
	v_mul_lo_u32 v31, v17, v6
	v_mul_lo_u32 v66, v16, v7
	v_mad_u64_u32 v[64:65], s[12:13], v16, v6, 0
	v_add3_u32 v65, v65, v66, v31
	v_mul_lo_u32 v31, v19, v6
	v_mul_lo_u32 v68, v18, v7
	v_mad_u64_u32 v[66:67], s[12:13], v18, v6, 0
	v_add3_u32 v67, v67, v68, v31
	v_lshl_add_u64 v[64:65], v[64:65], 3, v[8:9]
	v_lshl_add_u64 v[66:67], v[66:67], 3, v[8:9]
	s_mov_b64 s[48:49], 0
	v_mov_b64_e32 v[68:69], v[6:7]
                                        ; implicit-def: $sgpr46_sgpr47
                                        ; implicit-def: $sgpr50_sgpr51
                                        ; implicit-def: $sgpr54_sgpr55
                                        ; implicit-def: $sgpr52_sgpr53
                                        ; implicit-def: $sgpr56_sgpr57
                                        ; implicit-def: $sgpr58_sgpr59
	s_branch .LBB509_896
.LBB509_895:                            ;   in Loop: Header=BB509_896 Depth=1
	s_or_b64 exec, exec, s[60:61]
	s_and_b64 s[12:13], exec, s[54:55]
	s_or_b64 s[48:49], s[12:13], s[48:49]
	s_andn2_b64 s[12:13], s[58:59], exec
	s_and_b64 s[36:37], s[56:57], exec
	s_or_b64 s[58:59], s[12:13], s[36:37]
	s_andn2_b64 s[12:13], s[50:51], exec
	s_and_b64 s[36:37], s[52:53], exec
	;; [unrolled: 3-line block ×3, first 2 shown]
	s_or_b64 s[46:47], s[12:13], s[34:35]
	s_andn2_b64 exec, exec, s[48:49]
	s_cbranch_execz .LBB509_898
.LBB509_896:                            ; =>This Inner Loop Header: Depth=1
	flat_load_dwordx2 v[70:71], v[66:67]
	flat_load_dwordx2 v[80:81], v[64:65]
	s_andn2_b64 s[56:57], s[56:57], exec
	s_or_b64 s[52:53], s[52:53], exec
	s_or_b64 s[54:55], s[54:55], exec
	s_waitcnt vmcnt(0) lgkmcnt(0)
	v_cmp_le_i64_e64 s[34:35], v[70:71], v[80:81]
	v_cmp_lt_i64_e64 s[12:13], v[70:71], v[80:81]
	s_and_b64 s[34:35], s[34:35], s[58:59]
	v_cmp_eq_u64_e64 s[36:37], v[70:71], v[80:81]
	s_or_b64 s[34:35], s[12:13], s[34:35]
	s_and_saveexec_b64 s[60:61], s[36:37]
	s_cbranch_execz .LBB509_895
; %bb.897:                              ;   in Loop: Header=BB509_896 Depth=1
	v_lshl_add_u64 v[68:69], v[68:69], 0, -1
	v_cmp_eq_u64_e64 s[12:13], 0, v[68:69]
	s_andn2_b64 s[36:37], s[56:57], exec
	s_and_b64 s[56:57], s[34:35], exec
	s_or_b64 s[56:57], s[36:37], s[56:57]
	s_andn2_b64 s[36:37], s[54:55], exec
	s_and_b64 s[12:13], s[12:13], exec
	v_lshl_add_u64 v[64:65], v[64:65], 0, 8
	v_lshl_add_u64 v[66:67], v[66:67], 0, 8
	s_andn2_b64 s[52:53], s[52:53], exec
	s_or_b64 s[54:55], s[36:37], s[12:13]
                                        ; implicit-def: $sgpr58_sgpr59
	s_branch .LBB509_895
.LBB509_898:
	s_or_b64 exec, exec, s[48:49]
	s_and_saveexec_b64 s[12:13], s[50:51]
	s_xor_b64 s[12:13], exec, s[12:13]
; %bb.899:
	v_cndmask_b32_e64 v65, v17, v19, s[46:47]
	v_cndmask_b32_e64 v64, v16, v18, s[46:47]
	;; [unrolled: 1-line block ×4, first 2 shown]
	v_mov_b64_e32 v[16:17], v[64:65]
; %bb.900:
	s_or_b64 exec, exec, s[12:13]
.LBB509_901:
	s_or_b64 exec, exec, s[44:45]
	s_or_b64 exec, exec, s[42:43]
	s_and_saveexec_b64 s[42:43], s[22:23]
	s_cbranch_execz .LBB509_775
.LBB509_902:
	s_and_saveexec_b64 s[44:45], s[8:9]
	s_cbranch_execz .LBB509_910
; %bb.903:
	v_mul_lo_u32 v31, v13, v6
	v_mul_lo_u32 v66, v12, v7
	v_mad_u64_u32 v[64:65], s[12:13], v12, v6, 0
	v_add3_u32 v65, v65, v66, v31
	v_mul_lo_u32 v31, v15, v6
	v_mul_lo_u32 v68, v14, v7
	v_mad_u64_u32 v[66:67], s[12:13], v14, v6, 0
	v_add3_u32 v67, v67, v68, v31
	v_lshl_add_u64 v[64:65], v[64:65], 3, v[8:9]
	v_lshl_add_u64 v[66:67], v[66:67], 3, v[8:9]
	s_mov_b64 s[48:49], 0
	v_mov_b64_e32 v[68:69], v[6:7]
                                        ; implicit-def: $sgpr46_sgpr47
                                        ; implicit-def: $sgpr50_sgpr51
                                        ; implicit-def: $sgpr54_sgpr55
                                        ; implicit-def: $sgpr52_sgpr53
                                        ; implicit-def: $sgpr56_sgpr57
                                        ; implicit-def: $sgpr58_sgpr59
	s_branch .LBB509_905
.LBB509_904:                            ;   in Loop: Header=BB509_905 Depth=1
	s_or_b64 exec, exec, s[60:61]
	s_and_b64 s[12:13], exec, s[54:55]
	s_or_b64 s[48:49], s[12:13], s[48:49]
	s_andn2_b64 s[12:13], s[58:59], exec
	s_and_b64 s[36:37], s[56:57], exec
	s_or_b64 s[58:59], s[12:13], s[36:37]
	s_andn2_b64 s[12:13], s[50:51], exec
	s_and_b64 s[36:37], s[52:53], exec
	;; [unrolled: 3-line block ×3, first 2 shown]
	s_or_b64 s[46:47], s[12:13], s[34:35]
	s_andn2_b64 exec, exec, s[48:49]
	s_cbranch_execz .LBB509_907
.LBB509_905:                            ; =>This Inner Loop Header: Depth=1
	flat_load_dwordx2 v[70:71], v[66:67]
	flat_load_dwordx2 v[80:81], v[64:65]
	s_andn2_b64 s[56:57], s[56:57], exec
	s_or_b64 s[52:53], s[52:53], exec
	s_or_b64 s[54:55], s[54:55], exec
	s_waitcnt vmcnt(0) lgkmcnt(0)
	v_cmp_le_i64_e64 s[34:35], v[70:71], v[80:81]
	v_cmp_lt_i64_e64 s[12:13], v[70:71], v[80:81]
	s_and_b64 s[34:35], s[34:35], s[58:59]
	v_cmp_eq_u64_e64 s[36:37], v[70:71], v[80:81]
	s_or_b64 s[34:35], s[12:13], s[34:35]
	s_and_saveexec_b64 s[60:61], s[36:37]
	s_cbranch_execz .LBB509_904
; %bb.906:                              ;   in Loop: Header=BB509_905 Depth=1
	v_lshl_add_u64 v[68:69], v[68:69], 0, -1
	v_cmp_eq_u64_e64 s[12:13], 0, v[68:69]
	s_andn2_b64 s[36:37], s[56:57], exec
	s_and_b64 s[56:57], s[34:35], exec
	s_or_b64 s[56:57], s[36:37], s[56:57]
	s_andn2_b64 s[36:37], s[54:55], exec
	s_and_b64 s[12:13], s[12:13], exec
	v_lshl_add_u64 v[64:65], v[64:65], 0, 8
	v_lshl_add_u64 v[66:67], v[66:67], 0, 8
	s_andn2_b64 s[52:53], s[52:53], exec
	s_or_b64 s[54:55], s[36:37], s[12:13]
                                        ; implicit-def: $sgpr58_sgpr59
	s_branch .LBB509_904
.LBB509_907:
	s_or_b64 exec, exec, s[48:49]
	s_and_saveexec_b64 s[12:13], s[50:51]
	s_xor_b64 s[12:13], exec, s[12:13]
; %bb.908:
	v_cndmask_b32_e64 v65, v13, v15, s[46:47]
	v_cndmask_b32_e64 v64, v12, v14, s[46:47]
	;; [unrolled: 1-line block ×4, first 2 shown]
	v_mov_b64_e32 v[12:13], v[64:65]
; %bb.909:
	s_or_b64 exec, exec, s[12:13]
.LBB509_910:
	s_or_b64 exec, exec, s[44:45]
	s_or_b64 exec, exec, s[42:43]
	s_and_saveexec_b64 s[42:43], s[24:25]
	s_cbranch_execz .LBB509_776
.LBB509_911:
	s_and_saveexec_b64 s[44:45], s[8:9]
	s_cbranch_execz .LBB509_919
; %bb.912:
	v_mul_lo_u32 v31, v27, v6
	v_mul_lo_u32 v66, v26, v7
	v_mad_u64_u32 v[64:65], s[12:13], v26, v6, 0
	v_add3_u32 v65, v65, v66, v31
	v_mul_lo_u32 v31, v21, v6
	v_mul_lo_u32 v68, v20, v7
	v_mad_u64_u32 v[66:67], s[12:13], v20, v6, 0
	v_add3_u32 v67, v67, v68, v31
	v_lshl_add_u64 v[64:65], v[64:65], 3, v[8:9]
	v_lshl_add_u64 v[66:67], v[66:67], 3, v[8:9]
	s_mov_b64 s[48:49], 0
	v_mov_b64_e32 v[68:69], v[6:7]
                                        ; implicit-def: $sgpr46_sgpr47
                                        ; implicit-def: $sgpr50_sgpr51
                                        ; implicit-def: $sgpr54_sgpr55
                                        ; implicit-def: $sgpr52_sgpr53
                                        ; implicit-def: $sgpr56_sgpr57
                                        ; implicit-def: $sgpr58_sgpr59
	s_branch .LBB509_914
.LBB509_913:                            ;   in Loop: Header=BB509_914 Depth=1
	s_or_b64 exec, exec, s[60:61]
	s_and_b64 s[12:13], exec, s[54:55]
	s_or_b64 s[48:49], s[12:13], s[48:49]
	s_andn2_b64 s[12:13], s[58:59], exec
	s_and_b64 s[36:37], s[56:57], exec
	s_or_b64 s[58:59], s[12:13], s[36:37]
	s_andn2_b64 s[12:13], s[50:51], exec
	s_and_b64 s[36:37], s[52:53], exec
	;; [unrolled: 3-line block ×3, first 2 shown]
	s_or_b64 s[46:47], s[12:13], s[34:35]
	s_andn2_b64 exec, exec, s[48:49]
	s_cbranch_execz .LBB509_916
.LBB509_914:                            ; =>This Inner Loop Header: Depth=1
	flat_load_dwordx2 v[70:71], v[66:67]
	flat_load_dwordx2 v[80:81], v[64:65]
	s_andn2_b64 s[56:57], s[56:57], exec
	s_or_b64 s[52:53], s[52:53], exec
	s_or_b64 s[54:55], s[54:55], exec
	s_waitcnt vmcnt(0) lgkmcnt(0)
	v_cmp_le_i64_e64 s[34:35], v[70:71], v[80:81]
	v_cmp_lt_i64_e64 s[12:13], v[70:71], v[80:81]
	s_and_b64 s[34:35], s[34:35], s[58:59]
	v_cmp_eq_u64_e64 s[36:37], v[70:71], v[80:81]
	s_or_b64 s[34:35], s[12:13], s[34:35]
	s_and_saveexec_b64 s[60:61], s[36:37]
	s_cbranch_execz .LBB509_913
; %bb.915:                              ;   in Loop: Header=BB509_914 Depth=1
	v_lshl_add_u64 v[68:69], v[68:69], 0, -1
	v_cmp_eq_u64_e64 s[12:13], 0, v[68:69]
	s_andn2_b64 s[36:37], s[56:57], exec
	s_and_b64 s[56:57], s[34:35], exec
	s_or_b64 s[56:57], s[36:37], s[56:57]
	s_andn2_b64 s[36:37], s[54:55], exec
	s_and_b64 s[12:13], s[12:13], exec
	v_lshl_add_u64 v[64:65], v[64:65], 0, 8
	v_lshl_add_u64 v[66:67], v[66:67], 0, 8
	s_andn2_b64 s[52:53], s[52:53], exec
	s_or_b64 s[54:55], s[36:37], s[12:13]
                                        ; implicit-def: $sgpr58_sgpr59
	s_branch .LBB509_913
.LBB509_916:
	s_or_b64 exec, exec, s[48:49]
	s_and_saveexec_b64 s[12:13], s[50:51]
	s_xor_b64 s[12:13], exec, s[12:13]
; %bb.917:
	v_cndmask_b32_e64 v65, v27, v21, s[46:47]
	v_cndmask_b32_e64 v64, v26, v20, s[46:47]
	;; [unrolled: 1-line block ×4, first 2 shown]
	v_mov_b64_e32 v[26:27], v[64:65]
; %bb.918:
	s_or_b64 exec, exec, s[12:13]
.LBB509_919:
	s_or_b64 exec, exec, s[44:45]
	s_or_b64 exec, exec, s[42:43]
	s_and_saveexec_b64 s[42:43], s[26:27]
	s_cbranch_execz .LBB509_777
.LBB509_920:
	s_and_saveexec_b64 s[44:45], s[8:9]
	s_cbranch_execz .LBB509_928
; %bb.921:
	v_mul_lo_u32 v31, v23, v6
	v_mul_lo_u32 v66, v22, v7
	v_mad_u64_u32 v[64:65], s[12:13], v22, v6, 0
	v_add3_u32 v65, v65, v66, v31
	v_mul_lo_u32 v31, v17, v6
	v_mul_lo_u32 v68, v16, v7
	v_mad_u64_u32 v[66:67], s[12:13], v16, v6, 0
	v_add3_u32 v67, v67, v68, v31
	v_lshl_add_u64 v[64:65], v[64:65], 3, v[8:9]
	v_lshl_add_u64 v[66:67], v[66:67], 3, v[8:9]
	s_mov_b64 s[48:49], 0
	v_mov_b64_e32 v[68:69], v[6:7]
                                        ; implicit-def: $sgpr46_sgpr47
                                        ; implicit-def: $sgpr50_sgpr51
                                        ; implicit-def: $sgpr54_sgpr55
                                        ; implicit-def: $sgpr52_sgpr53
                                        ; implicit-def: $sgpr56_sgpr57
                                        ; implicit-def: $sgpr58_sgpr59
	s_branch .LBB509_923
.LBB509_922:                            ;   in Loop: Header=BB509_923 Depth=1
	s_or_b64 exec, exec, s[60:61]
	s_and_b64 s[12:13], exec, s[54:55]
	s_or_b64 s[48:49], s[12:13], s[48:49]
	s_andn2_b64 s[12:13], s[58:59], exec
	s_and_b64 s[36:37], s[56:57], exec
	s_or_b64 s[58:59], s[12:13], s[36:37]
	s_andn2_b64 s[12:13], s[50:51], exec
	s_and_b64 s[36:37], s[52:53], exec
	;; [unrolled: 3-line block ×3, first 2 shown]
	s_or_b64 s[46:47], s[12:13], s[34:35]
	s_andn2_b64 exec, exec, s[48:49]
	s_cbranch_execz .LBB509_925
.LBB509_923:                            ; =>This Inner Loop Header: Depth=1
	flat_load_dwordx2 v[70:71], v[66:67]
	flat_load_dwordx2 v[80:81], v[64:65]
	s_andn2_b64 s[56:57], s[56:57], exec
	s_or_b64 s[52:53], s[52:53], exec
	s_or_b64 s[54:55], s[54:55], exec
	s_waitcnt vmcnt(0) lgkmcnt(0)
	v_cmp_le_i64_e64 s[34:35], v[70:71], v[80:81]
	v_cmp_lt_i64_e64 s[12:13], v[70:71], v[80:81]
	s_and_b64 s[34:35], s[34:35], s[58:59]
	v_cmp_eq_u64_e64 s[36:37], v[70:71], v[80:81]
	s_or_b64 s[34:35], s[12:13], s[34:35]
	s_and_saveexec_b64 s[60:61], s[36:37]
	s_cbranch_execz .LBB509_922
; %bb.924:                              ;   in Loop: Header=BB509_923 Depth=1
	v_lshl_add_u64 v[68:69], v[68:69], 0, -1
	v_cmp_eq_u64_e64 s[12:13], 0, v[68:69]
	s_andn2_b64 s[36:37], s[56:57], exec
	s_and_b64 s[56:57], s[34:35], exec
	s_or_b64 s[56:57], s[36:37], s[56:57]
	s_andn2_b64 s[36:37], s[54:55], exec
	s_and_b64 s[12:13], s[12:13], exec
	v_lshl_add_u64 v[64:65], v[64:65], 0, 8
	v_lshl_add_u64 v[66:67], v[66:67], 0, 8
	s_andn2_b64 s[52:53], s[52:53], exec
	s_or_b64 s[54:55], s[36:37], s[12:13]
                                        ; implicit-def: $sgpr58_sgpr59
	s_branch .LBB509_922
.LBB509_925:
	s_or_b64 exec, exec, s[48:49]
	s_and_saveexec_b64 s[12:13], s[50:51]
	s_xor_b64 s[12:13], exec, s[12:13]
; %bb.926:
	v_cndmask_b32_e64 v65, v23, v17, s[46:47]
	v_cndmask_b32_e64 v64, v22, v16, s[46:47]
	;; [unrolled: 1-line block ×4, first 2 shown]
	v_mov_b64_e32 v[22:23], v[64:65]
; %bb.927:
	s_or_b64 exec, exec, s[12:13]
.LBB509_928:
	s_or_b64 exec, exec, s[44:45]
	s_or_b64 exec, exec, s[42:43]
	s_and_saveexec_b64 s[42:43], s[28:29]
	s_cbranch_execz .LBB509_778
.LBB509_929:
	s_and_saveexec_b64 s[44:45], s[8:9]
	s_cbranch_execz .LBB509_937
; %bb.930:
	v_mul_lo_u32 v31, v19, v6
	v_mul_lo_u32 v66, v18, v7
	v_mad_u64_u32 v[64:65], s[12:13], v18, v6, 0
	v_add3_u32 v65, v65, v66, v31
	v_mul_lo_u32 v31, v13, v6
	v_mul_lo_u32 v68, v12, v7
	v_mad_u64_u32 v[66:67], s[12:13], v12, v6, 0
	v_add3_u32 v67, v67, v68, v31
	v_lshl_add_u64 v[64:65], v[64:65], 3, v[8:9]
	v_lshl_add_u64 v[66:67], v[66:67], 3, v[8:9]
	s_mov_b64 s[48:49], 0
	v_mov_b64_e32 v[68:69], v[6:7]
                                        ; implicit-def: $sgpr46_sgpr47
                                        ; implicit-def: $sgpr50_sgpr51
                                        ; implicit-def: $sgpr54_sgpr55
                                        ; implicit-def: $sgpr52_sgpr53
                                        ; implicit-def: $sgpr56_sgpr57
                                        ; implicit-def: $sgpr58_sgpr59
	s_branch .LBB509_932
.LBB509_931:                            ;   in Loop: Header=BB509_932 Depth=1
	s_or_b64 exec, exec, s[60:61]
	s_and_b64 s[12:13], exec, s[54:55]
	s_or_b64 s[48:49], s[12:13], s[48:49]
	s_andn2_b64 s[12:13], s[58:59], exec
	s_and_b64 s[36:37], s[56:57], exec
	s_or_b64 s[58:59], s[12:13], s[36:37]
	s_andn2_b64 s[12:13], s[50:51], exec
	s_and_b64 s[36:37], s[52:53], exec
	;; [unrolled: 3-line block ×3, first 2 shown]
	s_or_b64 s[46:47], s[12:13], s[34:35]
	s_andn2_b64 exec, exec, s[48:49]
	s_cbranch_execz .LBB509_934
.LBB509_932:                            ; =>This Inner Loop Header: Depth=1
	flat_load_dwordx2 v[70:71], v[66:67]
	flat_load_dwordx2 v[80:81], v[64:65]
	s_andn2_b64 s[56:57], s[56:57], exec
	s_or_b64 s[52:53], s[52:53], exec
	s_or_b64 s[54:55], s[54:55], exec
	s_waitcnt vmcnt(0) lgkmcnt(0)
	v_cmp_le_i64_e64 s[34:35], v[70:71], v[80:81]
	v_cmp_lt_i64_e64 s[12:13], v[70:71], v[80:81]
	s_and_b64 s[34:35], s[34:35], s[58:59]
	v_cmp_eq_u64_e64 s[36:37], v[70:71], v[80:81]
	s_or_b64 s[34:35], s[12:13], s[34:35]
	s_and_saveexec_b64 s[60:61], s[36:37]
	s_cbranch_execz .LBB509_931
; %bb.933:                              ;   in Loop: Header=BB509_932 Depth=1
	v_lshl_add_u64 v[68:69], v[68:69], 0, -1
	v_cmp_eq_u64_e64 s[12:13], 0, v[68:69]
	s_andn2_b64 s[36:37], s[56:57], exec
	s_and_b64 s[56:57], s[34:35], exec
	s_or_b64 s[56:57], s[36:37], s[56:57]
	s_andn2_b64 s[36:37], s[54:55], exec
	s_and_b64 s[12:13], s[12:13], exec
	v_lshl_add_u64 v[64:65], v[64:65], 0, 8
	v_lshl_add_u64 v[66:67], v[66:67], 0, 8
	s_andn2_b64 s[52:53], s[52:53], exec
	s_or_b64 s[54:55], s[36:37], s[12:13]
                                        ; implicit-def: $sgpr58_sgpr59
	s_branch .LBB509_931
.LBB509_934:
	s_or_b64 exec, exec, s[48:49]
	s_and_saveexec_b64 s[12:13], s[50:51]
	s_xor_b64 s[12:13], exec, s[12:13]
; %bb.935:
	v_cndmask_b32_e64 v65, v19, v13, s[46:47]
	v_cndmask_b32_e64 v64, v18, v12, s[46:47]
	;; [unrolled: 1-line block ×4, first 2 shown]
	v_mov_b64_e32 v[18:19], v[64:65]
; %bb.936:
	s_or_b64 exec, exec, s[12:13]
.LBB509_937:
	s_or_b64 exec, exec, s[44:45]
	s_or_b64 exec, exec, s[42:43]
	s_and_saveexec_b64 s[36:37], s[16:17]
	s_cbranch_execz .LBB509_779
.LBB509_938:
	s_and_saveexec_b64 s[42:43], s[8:9]
	s_cbranch_execz .LBB509_946
; %bb.939:
	v_mul_lo_u32 v31, v25, v6
	v_mul_lo_u32 v66, v24, v7
	v_mad_u64_u32 v[64:65], s[12:13], v24, v6, 0
	v_add3_u32 v65, v65, v66, v31
	v_mul_lo_u32 v31, v27, v6
	v_mul_lo_u32 v68, v26, v7
	v_mad_u64_u32 v[66:67], s[12:13], v26, v6, 0
	v_add3_u32 v67, v67, v68, v31
	v_lshl_add_u64 v[64:65], v[64:65], 3, v[8:9]
	v_lshl_add_u64 v[66:67], v[66:67], 3, v[8:9]
	s_mov_b64 s[46:47], 0
	v_mov_b64_e32 v[68:69], v[6:7]
                                        ; implicit-def: $sgpr44_sgpr45
                                        ; implicit-def: $sgpr48_sgpr49
                                        ; implicit-def: $sgpr52_sgpr53
                                        ; implicit-def: $sgpr50_sgpr51
                                        ; implicit-def: $sgpr54_sgpr55
                                        ; implicit-def: $sgpr56_sgpr57
	s_branch .LBB509_941
.LBB509_940:                            ;   in Loop: Header=BB509_941 Depth=1
	s_or_b64 exec, exec, s[58:59]
	s_and_b64 s[12:13], exec, s[52:53]
	s_or_b64 s[46:47], s[12:13], s[46:47]
	s_andn2_b64 s[12:13], s[56:57], exec
	s_and_b64 s[34:35], s[54:55], exec
	s_or_b64 s[56:57], s[12:13], s[34:35]
	s_andn2_b64 s[12:13], s[48:49], exec
	s_and_b64 s[34:35], s[50:51], exec
	;; [unrolled: 3-line block ×3, first 2 shown]
	s_or_b64 s[44:45], s[12:13], s[16:17]
	s_andn2_b64 exec, exec, s[46:47]
	s_cbranch_execz .LBB509_943
.LBB509_941:                            ; =>This Inner Loop Header: Depth=1
	flat_load_dwordx2 v[70:71], v[66:67]
	flat_load_dwordx2 v[80:81], v[64:65]
	s_andn2_b64 s[54:55], s[54:55], exec
	s_or_b64 s[50:51], s[50:51], exec
	s_or_b64 s[52:53], s[52:53], exec
	s_waitcnt vmcnt(0) lgkmcnt(0)
	v_cmp_le_i64_e64 s[16:17], v[70:71], v[80:81]
	v_cmp_lt_i64_e64 s[12:13], v[70:71], v[80:81]
	s_and_b64 s[16:17], s[16:17], s[56:57]
	v_cmp_eq_u64_e64 s[34:35], v[70:71], v[80:81]
	s_or_b64 s[16:17], s[12:13], s[16:17]
	s_and_saveexec_b64 s[58:59], s[34:35]
	s_cbranch_execz .LBB509_940
; %bb.942:                              ;   in Loop: Header=BB509_941 Depth=1
	v_lshl_add_u64 v[68:69], v[68:69], 0, -1
	v_cmp_eq_u64_e64 s[12:13], 0, v[68:69]
	s_andn2_b64 s[34:35], s[54:55], exec
	s_and_b64 s[54:55], s[16:17], exec
	s_or_b64 s[54:55], s[34:35], s[54:55]
	s_andn2_b64 s[34:35], s[52:53], exec
	s_and_b64 s[12:13], s[12:13], exec
	v_lshl_add_u64 v[64:65], v[64:65], 0, 8
	v_lshl_add_u64 v[66:67], v[66:67], 0, 8
	s_andn2_b64 s[50:51], s[50:51], exec
	s_or_b64 s[52:53], s[34:35], s[12:13]
                                        ; implicit-def: $sgpr56_sgpr57
	s_branch .LBB509_940
.LBB509_943:
	s_or_b64 exec, exec, s[46:47]
	s_and_saveexec_b64 s[12:13], s[48:49]
	s_xor_b64 s[12:13], exec, s[12:13]
; %bb.944:
	v_cndmask_b32_e64 v65, v27, v25, s[44:45]
	v_cndmask_b32_e64 v64, v26, v24, s[44:45]
	;; [unrolled: 1-line block ×4, first 2 shown]
	v_mov_b64_e32 v[26:27], v[64:65]
; %bb.945:
	s_or_b64 exec, exec, s[12:13]
.LBB509_946:
	s_or_b64 exec, exec, s[42:43]
	s_or_b64 exec, exec, s[36:37]
	s_and_saveexec_b64 s[34:35], s[18:19]
	s_cbranch_execz .LBB509_780
.LBB509_947:
	s_and_saveexec_b64 s[36:37], s[8:9]
	s_cbranch_execz .LBB509_955
; %bb.948:
	v_mul_lo_u32 v31, v21, v6
	v_mul_lo_u32 v66, v20, v7
	v_mad_u64_u32 v[64:65], s[12:13], v20, v6, 0
	v_add3_u32 v65, v65, v66, v31
	v_mul_lo_u32 v31, v23, v6
	v_mul_lo_u32 v68, v22, v7
	v_mad_u64_u32 v[66:67], s[12:13], v22, v6, 0
	v_add3_u32 v67, v67, v68, v31
	v_lshl_add_u64 v[64:65], v[64:65], 3, v[8:9]
	v_lshl_add_u64 v[66:67], v[66:67], 3, v[8:9]
	s_mov_b64 s[44:45], 0
	v_mov_b64_e32 v[68:69], v[6:7]
                                        ; implicit-def: $sgpr42_sgpr43
                                        ; implicit-def: $sgpr46_sgpr47
                                        ; implicit-def: $sgpr50_sgpr51
                                        ; implicit-def: $sgpr48_sgpr49
                                        ; implicit-def: $sgpr52_sgpr53
                                        ; implicit-def: $sgpr54_sgpr55
	s_branch .LBB509_950
.LBB509_949:                            ;   in Loop: Header=BB509_950 Depth=1
	s_or_b64 exec, exec, s[56:57]
	s_and_b64 s[12:13], exec, s[50:51]
	s_or_b64 s[44:45], s[12:13], s[44:45]
	s_andn2_b64 s[12:13], s[54:55], exec
	s_and_b64 s[18:19], s[52:53], exec
	s_or_b64 s[54:55], s[12:13], s[18:19]
	s_andn2_b64 s[12:13], s[46:47], exec
	s_and_b64 s[18:19], s[48:49], exec
	;; [unrolled: 3-line block ×3, first 2 shown]
	s_or_b64 s[42:43], s[12:13], s[16:17]
	s_andn2_b64 exec, exec, s[44:45]
	s_cbranch_execz .LBB509_952
.LBB509_950:                            ; =>This Inner Loop Header: Depth=1
	flat_load_dwordx2 v[70:71], v[66:67]
	flat_load_dwordx2 v[80:81], v[64:65]
	s_andn2_b64 s[52:53], s[52:53], exec
	s_or_b64 s[48:49], s[48:49], exec
	s_or_b64 s[50:51], s[50:51], exec
	s_waitcnt vmcnt(0) lgkmcnt(0)
	v_cmp_le_i64_e64 s[16:17], v[70:71], v[80:81]
	v_cmp_lt_i64_e64 s[12:13], v[70:71], v[80:81]
	s_and_b64 s[16:17], s[16:17], s[54:55]
	v_cmp_eq_u64_e64 s[18:19], v[70:71], v[80:81]
	s_or_b64 s[16:17], s[12:13], s[16:17]
	s_and_saveexec_b64 s[56:57], s[18:19]
	s_cbranch_execz .LBB509_949
; %bb.951:                              ;   in Loop: Header=BB509_950 Depth=1
	v_lshl_add_u64 v[68:69], v[68:69], 0, -1
	v_cmp_eq_u64_e64 s[12:13], 0, v[68:69]
	s_andn2_b64 s[18:19], s[52:53], exec
	s_and_b64 s[52:53], s[16:17], exec
	s_or_b64 s[52:53], s[18:19], s[52:53]
	s_andn2_b64 s[18:19], s[50:51], exec
	s_and_b64 s[12:13], s[12:13], exec
	v_lshl_add_u64 v[64:65], v[64:65], 0, 8
	v_lshl_add_u64 v[66:67], v[66:67], 0, 8
	s_andn2_b64 s[48:49], s[48:49], exec
	s_or_b64 s[50:51], s[18:19], s[12:13]
                                        ; implicit-def: $sgpr54_sgpr55
	s_branch .LBB509_949
.LBB509_952:
	s_or_b64 exec, exec, s[44:45]
	s_and_saveexec_b64 s[12:13], s[46:47]
	s_xor_b64 s[12:13], exec, s[12:13]
; %bb.953:
	v_cndmask_b32_e64 v65, v21, v23, s[42:43]
	v_cndmask_b32_e64 v64, v20, v22, s[42:43]
	;; [unrolled: 1-line block ×4, first 2 shown]
	v_mov_b64_e32 v[20:21], v[64:65]
; %bb.954:
	s_or_b64 exec, exec, s[12:13]
.LBB509_955:
	s_or_b64 exec, exec, s[36:37]
	s_or_b64 exec, exec, s[34:35]
	s_and_saveexec_b64 s[34:35], s[20:21]
	s_cbranch_execz .LBB509_781
.LBB509_956:
	s_and_saveexec_b64 s[20:21], s[8:9]
	s_cbranch_execz .LBB509_964
; %bb.957:
	v_mul_lo_u32 v31, v17, v6
	v_mul_lo_u32 v66, v16, v7
	v_mad_u64_u32 v[64:65], s[12:13], v16, v6, 0
	v_add3_u32 v65, v65, v66, v31
	v_mul_lo_u32 v31, v19, v6
	v_mul_lo_u32 v68, v18, v7
	v_mad_u64_u32 v[66:67], s[12:13], v18, v6, 0
	v_add3_u32 v67, v67, v68, v31
	v_lshl_add_u64 v[64:65], v[64:65], 3, v[8:9]
	v_lshl_add_u64 v[66:67], v[66:67], 3, v[8:9]
	s_mov_b64 s[42:43], 0
	v_mov_b64_e32 v[68:69], v[6:7]
                                        ; implicit-def: $sgpr36_sgpr37
                                        ; implicit-def: $sgpr44_sgpr45
                                        ; implicit-def: $sgpr48_sgpr49
                                        ; implicit-def: $sgpr46_sgpr47
                                        ; implicit-def: $sgpr50_sgpr51
                                        ; implicit-def: $sgpr52_sgpr53
	s_branch .LBB509_959
.LBB509_958:                            ;   in Loop: Header=BB509_959 Depth=1
	s_or_b64 exec, exec, s[54:55]
	s_and_b64 s[12:13], exec, s[48:49]
	s_or_b64 s[42:43], s[12:13], s[42:43]
	s_andn2_b64 s[12:13], s[52:53], exec
	s_and_b64 s[18:19], s[50:51], exec
	s_or_b64 s[52:53], s[12:13], s[18:19]
	s_andn2_b64 s[12:13], s[44:45], exec
	s_and_b64 s[18:19], s[46:47], exec
	;; [unrolled: 3-line block ×3, first 2 shown]
	s_or_b64 s[36:37], s[12:13], s[16:17]
	s_andn2_b64 exec, exec, s[42:43]
	s_cbranch_execz .LBB509_961
.LBB509_959:                            ; =>This Inner Loop Header: Depth=1
	flat_load_dwordx2 v[70:71], v[66:67]
	flat_load_dwordx2 v[80:81], v[64:65]
	s_andn2_b64 s[50:51], s[50:51], exec
	s_or_b64 s[46:47], s[46:47], exec
	s_or_b64 s[48:49], s[48:49], exec
	s_waitcnt vmcnt(0) lgkmcnt(0)
	v_cmp_le_i64_e64 s[16:17], v[70:71], v[80:81]
	v_cmp_lt_i64_e64 s[12:13], v[70:71], v[80:81]
	s_and_b64 s[16:17], s[16:17], s[52:53]
	v_cmp_eq_u64_e64 s[18:19], v[70:71], v[80:81]
	s_or_b64 s[16:17], s[12:13], s[16:17]
	s_and_saveexec_b64 s[54:55], s[18:19]
	s_cbranch_execz .LBB509_958
; %bb.960:                              ;   in Loop: Header=BB509_959 Depth=1
	v_lshl_add_u64 v[68:69], v[68:69], 0, -1
	v_cmp_eq_u64_e64 s[12:13], 0, v[68:69]
	s_andn2_b64 s[18:19], s[50:51], exec
	s_and_b64 s[50:51], s[16:17], exec
	s_or_b64 s[50:51], s[18:19], s[50:51]
	s_andn2_b64 s[18:19], s[48:49], exec
	s_and_b64 s[12:13], s[12:13], exec
	v_lshl_add_u64 v[64:65], v[64:65], 0, 8
	v_lshl_add_u64 v[66:67], v[66:67], 0, 8
	s_andn2_b64 s[46:47], s[46:47], exec
	s_or_b64 s[48:49], s[18:19], s[12:13]
                                        ; implicit-def: $sgpr52_sgpr53
	s_branch .LBB509_958
.LBB509_961:
	s_or_b64 exec, exec, s[42:43]
	s_and_saveexec_b64 s[12:13], s[44:45]
	s_xor_b64 s[12:13], exec, s[12:13]
; %bb.962:
	v_cndmask_b32_e64 v65, v17, v19, s[36:37]
	v_cndmask_b32_e64 v64, v16, v18, s[36:37]
	;; [unrolled: 1-line block ×4, first 2 shown]
	v_mov_b64_e32 v[16:17], v[64:65]
; %bb.963:
	s_or_b64 exec, exec, s[12:13]
.LBB509_964:
	s_or_b64 exec, exec, s[20:21]
	s_or_b64 exec, exec, s[34:35]
	s_and_saveexec_b64 s[20:21], s[22:23]
	s_cbranch_execz .LBB509_782
.LBB509_965:
	s_and_saveexec_b64 s[22:23], s[8:9]
	s_cbranch_execz .LBB509_973
; %bb.966:
	v_mul_lo_u32 v31, v13, v6
	v_mul_lo_u32 v66, v12, v7
	v_mad_u64_u32 v[64:65], s[12:13], v12, v6, 0
	v_add3_u32 v65, v65, v66, v31
	v_mul_lo_u32 v31, v15, v6
	v_mul_lo_u32 v68, v14, v7
	v_mad_u64_u32 v[66:67], s[12:13], v14, v6, 0
	v_add3_u32 v67, v67, v68, v31
	v_lshl_add_u64 v[64:65], v[64:65], 3, v[8:9]
	v_lshl_add_u64 v[66:67], v[66:67], 3, v[8:9]
	s_mov_b64 s[36:37], 0
	v_mov_b64_e32 v[68:69], v[6:7]
                                        ; implicit-def: $sgpr34_sgpr35
                                        ; implicit-def: $sgpr42_sgpr43
                                        ; implicit-def: $sgpr46_sgpr47
                                        ; implicit-def: $sgpr44_sgpr45
                                        ; implicit-def: $sgpr48_sgpr49
                                        ; implicit-def: $sgpr50_sgpr51
	s_branch .LBB509_968
.LBB509_967:                            ;   in Loop: Header=BB509_968 Depth=1
	s_or_b64 exec, exec, s[52:53]
	s_and_b64 s[12:13], exec, s[46:47]
	s_or_b64 s[36:37], s[12:13], s[36:37]
	s_andn2_b64 s[12:13], s[50:51], exec
	s_and_b64 s[18:19], s[48:49], exec
	s_or_b64 s[50:51], s[12:13], s[18:19]
	s_andn2_b64 s[12:13], s[42:43], exec
	s_and_b64 s[18:19], s[44:45], exec
	;; [unrolled: 3-line block ×3, first 2 shown]
	s_or_b64 s[34:35], s[12:13], s[16:17]
	s_andn2_b64 exec, exec, s[36:37]
	s_cbranch_execz .LBB509_970
.LBB509_968:                            ; =>This Inner Loop Header: Depth=1
	flat_load_dwordx2 v[70:71], v[66:67]
	flat_load_dwordx2 v[80:81], v[64:65]
	s_andn2_b64 s[48:49], s[48:49], exec
	s_or_b64 s[44:45], s[44:45], exec
	s_or_b64 s[46:47], s[46:47], exec
	s_waitcnt vmcnt(0) lgkmcnt(0)
	v_cmp_le_i64_e64 s[16:17], v[70:71], v[80:81]
	v_cmp_lt_i64_e64 s[12:13], v[70:71], v[80:81]
	s_and_b64 s[16:17], s[16:17], s[50:51]
	v_cmp_eq_u64_e64 s[18:19], v[70:71], v[80:81]
	s_or_b64 s[16:17], s[12:13], s[16:17]
	s_and_saveexec_b64 s[52:53], s[18:19]
	s_cbranch_execz .LBB509_967
; %bb.969:                              ;   in Loop: Header=BB509_968 Depth=1
	v_lshl_add_u64 v[68:69], v[68:69], 0, -1
	v_cmp_eq_u64_e64 s[12:13], 0, v[68:69]
	s_andn2_b64 s[18:19], s[48:49], exec
	s_and_b64 s[48:49], s[16:17], exec
	s_or_b64 s[48:49], s[18:19], s[48:49]
	s_andn2_b64 s[18:19], s[46:47], exec
	s_and_b64 s[12:13], s[12:13], exec
	v_lshl_add_u64 v[64:65], v[64:65], 0, 8
	v_lshl_add_u64 v[66:67], v[66:67], 0, 8
	s_andn2_b64 s[44:45], s[44:45], exec
	s_or_b64 s[46:47], s[18:19], s[12:13]
                                        ; implicit-def: $sgpr50_sgpr51
	s_branch .LBB509_967
.LBB509_970:
	s_or_b64 exec, exec, s[36:37]
	s_and_saveexec_b64 s[12:13], s[42:43]
	s_xor_b64 s[12:13], exec, s[12:13]
; %bb.971:
	v_cndmask_b32_e64 v65, v13, v15, s[34:35]
	v_cndmask_b32_e64 v64, v12, v14, s[34:35]
	;; [unrolled: 1-line block ×4, first 2 shown]
	v_mov_b64_e32 v[12:13], v[64:65]
; %bb.972:
	s_or_b64 exec, exec, s[12:13]
.LBB509_973:
	s_or_b64 exec, exec, s[22:23]
	s_or_b64 exec, exec, s[20:21]
	s_and_saveexec_b64 s[20:21], s[24:25]
	s_cbranch_execz .LBB509_783
.LBB509_974:
	s_and_saveexec_b64 s[22:23], s[8:9]
	s_cbranch_execz .LBB509_982
; %bb.975:
	v_mul_lo_u32 v31, v27, v6
	v_mul_lo_u32 v66, v26, v7
	v_mad_u64_u32 v[64:65], s[12:13], v26, v6, 0
	v_add3_u32 v65, v65, v66, v31
	v_mul_lo_u32 v31, v21, v6
	v_mul_lo_u32 v68, v20, v7
	v_mad_u64_u32 v[66:67], s[12:13], v20, v6, 0
	v_add3_u32 v67, v67, v68, v31
	v_lshl_add_u64 v[64:65], v[64:65], 3, v[8:9]
	v_lshl_add_u64 v[66:67], v[66:67], 3, v[8:9]
	s_mov_b64 s[34:35], 0
	v_mov_b64_e32 v[68:69], v[6:7]
                                        ; implicit-def: $sgpr24_sgpr25
                                        ; implicit-def: $sgpr36_sgpr37
                                        ; implicit-def: $sgpr44_sgpr45
                                        ; implicit-def: $sgpr42_sgpr43
                                        ; implicit-def: $sgpr46_sgpr47
                                        ; implicit-def: $sgpr48_sgpr49
	s_branch .LBB509_977
.LBB509_976:                            ;   in Loop: Header=BB509_977 Depth=1
	s_or_b64 exec, exec, s[50:51]
	s_and_b64 s[12:13], exec, s[44:45]
	s_or_b64 s[34:35], s[12:13], s[34:35]
	s_andn2_b64 s[12:13], s[48:49], exec
	s_and_b64 s[18:19], s[46:47], exec
	s_or_b64 s[48:49], s[12:13], s[18:19]
	s_andn2_b64 s[12:13], s[36:37], exec
	s_and_b64 s[18:19], s[42:43], exec
	;; [unrolled: 3-line block ×3, first 2 shown]
	s_or_b64 s[24:25], s[12:13], s[16:17]
	s_andn2_b64 exec, exec, s[34:35]
	s_cbranch_execz .LBB509_979
.LBB509_977:                            ; =>This Inner Loop Header: Depth=1
	flat_load_dwordx2 v[70:71], v[66:67]
	flat_load_dwordx2 v[80:81], v[64:65]
	s_andn2_b64 s[46:47], s[46:47], exec
	s_or_b64 s[42:43], s[42:43], exec
	s_or_b64 s[44:45], s[44:45], exec
	s_waitcnt vmcnt(0) lgkmcnt(0)
	v_cmp_le_i64_e64 s[16:17], v[70:71], v[80:81]
	v_cmp_lt_i64_e64 s[12:13], v[70:71], v[80:81]
	s_and_b64 s[16:17], s[16:17], s[48:49]
	v_cmp_eq_u64_e64 s[18:19], v[70:71], v[80:81]
	s_or_b64 s[16:17], s[12:13], s[16:17]
	s_and_saveexec_b64 s[50:51], s[18:19]
	s_cbranch_execz .LBB509_976
; %bb.978:                              ;   in Loop: Header=BB509_977 Depth=1
	v_lshl_add_u64 v[68:69], v[68:69], 0, -1
	v_cmp_eq_u64_e64 s[12:13], 0, v[68:69]
	s_andn2_b64 s[18:19], s[46:47], exec
	s_and_b64 s[46:47], s[16:17], exec
	s_or_b64 s[46:47], s[18:19], s[46:47]
	s_andn2_b64 s[18:19], s[44:45], exec
	s_and_b64 s[12:13], s[12:13], exec
	v_lshl_add_u64 v[64:65], v[64:65], 0, 8
	v_lshl_add_u64 v[66:67], v[66:67], 0, 8
	s_andn2_b64 s[42:43], s[42:43], exec
	s_or_b64 s[44:45], s[18:19], s[12:13]
                                        ; implicit-def: $sgpr48_sgpr49
	s_branch .LBB509_976
.LBB509_979:
	s_or_b64 exec, exec, s[34:35]
	s_and_saveexec_b64 s[12:13], s[36:37]
	s_xor_b64 s[12:13], exec, s[12:13]
; %bb.980:
	v_cndmask_b32_e64 v65, v27, v21, s[24:25]
	v_cndmask_b32_e64 v64, v26, v20, s[24:25]
	;; [unrolled: 1-line block ×4, first 2 shown]
	v_mov_b64_e32 v[26:27], v[64:65]
; %bb.981:
	s_or_b64 exec, exec, s[12:13]
.LBB509_982:
	s_or_b64 exec, exec, s[22:23]
	s_or_b64 exec, exec, s[20:21]
	s_and_saveexec_b64 s[20:21], s[26:27]
	s_cbranch_execz .LBB509_784
.LBB509_983:
	s_and_saveexec_b64 s[22:23], s[8:9]
	s_cbranch_execz .LBB509_991
; %bb.984:
	v_mul_lo_u32 v31, v23, v6
	v_mul_lo_u32 v66, v22, v7
	v_mad_u64_u32 v[64:65], s[12:13], v22, v6, 0
	v_add3_u32 v65, v65, v66, v31
	v_mul_lo_u32 v31, v17, v6
	v_mul_lo_u32 v68, v16, v7
	v_mad_u64_u32 v[66:67], s[12:13], v16, v6, 0
	v_add3_u32 v67, v67, v68, v31
	v_lshl_add_u64 v[64:65], v[64:65], 3, v[8:9]
	v_lshl_add_u64 v[66:67], v[66:67], 3, v[8:9]
	s_mov_b64 s[26:27], 0
	v_mov_b64_e32 v[68:69], v[6:7]
                                        ; implicit-def: $sgpr24_sgpr25
                                        ; implicit-def: $sgpr34_sgpr35
                                        ; implicit-def: $sgpr42_sgpr43
                                        ; implicit-def: $sgpr36_sgpr37
                                        ; implicit-def: $sgpr44_sgpr45
                                        ; implicit-def: $sgpr46_sgpr47
	s_branch .LBB509_986
.LBB509_985:                            ;   in Loop: Header=BB509_986 Depth=1
	s_or_b64 exec, exec, s[48:49]
	s_and_b64 s[12:13], exec, s[42:43]
	s_or_b64 s[26:27], s[12:13], s[26:27]
	s_andn2_b64 s[12:13], s[46:47], exec
	s_and_b64 s[18:19], s[44:45], exec
	s_or_b64 s[46:47], s[12:13], s[18:19]
	s_andn2_b64 s[12:13], s[34:35], exec
	s_and_b64 s[18:19], s[36:37], exec
	;; [unrolled: 3-line block ×3, first 2 shown]
	s_or_b64 s[24:25], s[12:13], s[16:17]
	s_andn2_b64 exec, exec, s[26:27]
	s_cbranch_execz .LBB509_988
.LBB509_986:                            ; =>This Inner Loop Header: Depth=1
	flat_load_dwordx2 v[70:71], v[66:67]
	flat_load_dwordx2 v[80:81], v[64:65]
	s_andn2_b64 s[44:45], s[44:45], exec
	s_or_b64 s[36:37], s[36:37], exec
	s_or_b64 s[42:43], s[42:43], exec
	s_waitcnt vmcnt(0) lgkmcnt(0)
	v_cmp_le_i64_e64 s[16:17], v[70:71], v[80:81]
	v_cmp_lt_i64_e64 s[12:13], v[70:71], v[80:81]
	s_and_b64 s[16:17], s[16:17], s[46:47]
	v_cmp_eq_u64_e64 s[18:19], v[70:71], v[80:81]
	s_or_b64 s[16:17], s[12:13], s[16:17]
	s_and_saveexec_b64 s[48:49], s[18:19]
	s_cbranch_execz .LBB509_985
; %bb.987:                              ;   in Loop: Header=BB509_986 Depth=1
	v_lshl_add_u64 v[68:69], v[68:69], 0, -1
	v_cmp_eq_u64_e64 s[12:13], 0, v[68:69]
	s_andn2_b64 s[18:19], s[44:45], exec
	s_and_b64 s[44:45], s[16:17], exec
	s_or_b64 s[44:45], s[18:19], s[44:45]
	s_andn2_b64 s[18:19], s[42:43], exec
	s_and_b64 s[12:13], s[12:13], exec
	v_lshl_add_u64 v[64:65], v[64:65], 0, 8
	v_lshl_add_u64 v[66:67], v[66:67], 0, 8
	s_andn2_b64 s[36:37], s[36:37], exec
	s_or_b64 s[42:43], s[18:19], s[12:13]
                                        ; implicit-def: $sgpr46_sgpr47
	s_branch .LBB509_985
.LBB509_988:
	s_or_b64 exec, exec, s[26:27]
	s_and_saveexec_b64 s[12:13], s[34:35]
	s_xor_b64 s[12:13], exec, s[12:13]
; %bb.989:
	v_cndmask_b32_e64 v65, v23, v17, s[24:25]
	v_cndmask_b32_e64 v64, v22, v16, s[24:25]
	;; [unrolled: 1-line block ×4, first 2 shown]
	v_mov_b64_e32 v[22:23], v[64:65]
; %bb.990:
	s_or_b64 exec, exec, s[12:13]
.LBB509_991:
	s_or_b64 exec, exec, s[22:23]
	s_or_b64 exec, exec, s[20:21]
	s_and_saveexec_b64 s[20:21], s[28:29]
	s_cbranch_execz .LBB509_1001
.LBB509_992:
	s_and_saveexec_b64 s[22:23], s[8:9]
	s_cbranch_execz .LBB509_1000
; %bb.993:
	v_mul_lo_u32 v31, v19, v6
	v_mul_lo_u32 v66, v18, v7
	v_mad_u64_u32 v[64:65], s[12:13], v18, v6, 0
	v_add3_u32 v65, v65, v66, v31
	v_mul_lo_u32 v31, v13, v6
	v_mul_lo_u32 v68, v12, v7
	v_mad_u64_u32 v[66:67], s[12:13], v12, v6, 0
	v_add3_u32 v67, v67, v68, v31
	v_lshl_add_u64 v[64:65], v[64:65], 3, v[8:9]
	v_lshl_add_u64 v[66:67], v[66:67], 3, v[8:9]
	s_mov_b64 s[26:27], 0
	v_mov_b64_e32 v[68:69], v[6:7]
                                        ; implicit-def: $sgpr24_sgpr25
                                        ; implicit-def: $sgpr28_sgpr29
                                        ; implicit-def: $sgpr36_sgpr37
                                        ; implicit-def: $sgpr34_sgpr35
                                        ; implicit-def: $sgpr42_sgpr43
                                        ; implicit-def: $sgpr44_sgpr45
	s_branch .LBB509_995
.LBB509_994:                            ;   in Loop: Header=BB509_995 Depth=1
	s_or_b64 exec, exec, s[46:47]
	s_and_b64 s[12:13], exec, s[36:37]
	s_or_b64 s[26:27], s[12:13], s[26:27]
	s_andn2_b64 s[12:13], s[44:45], exec
	s_and_b64 s[18:19], s[42:43], exec
	s_or_b64 s[44:45], s[12:13], s[18:19]
	s_andn2_b64 s[12:13], s[28:29], exec
	s_and_b64 s[18:19], s[34:35], exec
	s_or_b64 s[28:29], s[12:13], s[18:19]
	s_andn2_b64 s[12:13], s[24:25], exec
	s_and_b64 s[16:17], s[16:17], exec
	s_or_b64 s[24:25], s[12:13], s[16:17]
	s_andn2_b64 exec, exec, s[26:27]
	s_cbranch_execz .LBB509_997
.LBB509_995:                            ; =>This Inner Loop Header: Depth=1
	flat_load_dwordx2 v[70:71], v[66:67]
	flat_load_dwordx2 v[80:81], v[64:65]
	s_andn2_b64 s[42:43], s[42:43], exec
	s_or_b64 s[34:35], s[34:35], exec
	s_or_b64 s[36:37], s[36:37], exec
	s_waitcnt vmcnt(0) lgkmcnt(0)
	v_cmp_le_i64_e64 s[16:17], v[70:71], v[80:81]
	v_cmp_lt_i64_e64 s[12:13], v[70:71], v[80:81]
	s_and_b64 s[16:17], s[16:17], s[44:45]
	v_cmp_eq_u64_e64 s[18:19], v[70:71], v[80:81]
	s_or_b64 s[16:17], s[12:13], s[16:17]
	s_and_saveexec_b64 s[46:47], s[18:19]
	s_cbranch_execz .LBB509_994
; %bb.996:                              ;   in Loop: Header=BB509_995 Depth=1
	v_lshl_add_u64 v[68:69], v[68:69], 0, -1
	v_cmp_eq_u64_e64 s[12:13], 0, v[68:69]
	s_andn2_b64 s[18:19], s[42:43], exec
	s_and_b64 s[42:43], s[16:17], exec
	s_or_b64 s[42:43], s[18:19], s[42:43]
	s_andn2_b64 s[18:19], s[36:37], exec
	s_and_b64 s[12:13], s[12:13], exec
	v_lshl_add_u64 v[64:65], v[64:65], 0, 8
	v_lshl_add_u64 v[66:67], v[66:67], 0, 8
	s_andn2_b64 s[34:35], s[34:35], exec
	s_or_b64 s[36:37], s[18:19], s[12:13]
                                        ; implicit-def: $sgpr44_sgpr45
	s_branch .LBB509_994
.LBB509_997:
	s_or_b64 exec, exec, s[26:27]
	s_and_saveexec_b64 s[12:13], s[28:29]
	s_xor_b64 s[12:13], exec, s[12:13]
; %bb.998:
	v_cndmask_b32_e64 v65, v19, v13, s[24:25]
	v_cndmask_b32_e64 v64, v18, v12, s[24:25]
	;; [unrolled: 1-line block ×4, first 2 shown]
	v_mov_b64_e32 v[18:19], v[64:65]
; %bb.999:
	s_or_b64 exec, exec, s[12:13]
.LBB509_1000:
	s_or_b64 exec, exec, s[22:23]
.LBB509_1001:
	s_or_b64 exec, exec, s[20:21]
	v_mbcnt_lo_u32_b32 v31, -1, 0
	v_mbcnt_hi_u32_b32 v64, -1, v31
	v_and_b32_e32 v70, 0xfffffe00, v1
	v_mov_b32_e32 v71, 0
	v_lshlrev_b32_e32 v31, 3, v64
	v_sub_u32_e64 v1, v0, v70 clamp
	v_lshl_add_u64 v[66:67], v[70:71], 3, v[10:11]
	v_lshlrev_b32_e32 v70, 6, v64
	v_or_b32_e32 v64, 8, v31
	v_min_u32_e32 v100, v1, v64
	v_add_u32_e32 v64, 8, v100
	v_and_b32_e32 v102, 0x3f0, v31
	v_min_u32_e32 v101, v1, v64
	v_and_b32_e32 v64, 8, v31
	v_min_u32_e32 v103, v1, v64
	v_sub_u32_e32 v64, v100, v102
	v_sub_u32_e32 v65, v101, v100
	v_sub_u32_e64 v112, v103, v65 clamp
	v_min_u32_e32 v113, v103, v64
	v_lshl_add_u64 v[68:69], v[66:67], 0, v[70:71]
	v_cmp_lt_u32_e64 s[12:13], v112, v113
	v_lshlrev_b64 v[64:65], 3, v[6:7]
	flat_store_dwordx4 v[68:69], v[24:27]
	flat_store_dwordx4 v[68:69], v[20:23] offset:16
	flat_store_dwordx4 v[68:69], v[16:19] offset:32
	;; [unrolled: 1-line block ×3, first 2 shown]
	; wave barrier
	s_and_saveexec_b64 s[20:21], s[12:13]
	s_cbranch_execz .LBB509_1011
; %bb.1002:
	v_lshlrev_b32_e32 v70, 3, v102
	v_lshl_add_u64 v[80:81], v[66:67], 0, v[70:71]
	v_lshlrev_b32_e32 v70, 3, v100
	v_lshl_add_u64 v[82:83], v[66:67], 0, v[70:71]
	s_mov_b64 s[22:23], 0
	s_branch .LBB509_1005
.LBB509_1003:                           ;   in Loop: Header=BB509_1005 Depth=1
	s_or_b64 exec, exec, s[26:27]
	s_and_b64 s[12:13], s[28:29], exec
.LBB509_1004:                           ;   in Loop: Header=BB509_1005 Depth=1
	s_or_b64 exec, exec, s[24:25]
	v_add_u32_e32 v70, 1, v84
	v_cndmask_b32_e64 v113, v113, v84, s[12:13]
	v_cndmask_b32_e64 v112, v70, v112, s[12:13]
	v_cmp_ge_u32_e64 s[12:13], v112, v113
	s_or_b64 s[22:23], s[12:13], s[22:23]
	s_andn2_b64 exec, exec, s[22:23]
	s_cbranch_execz .LBB509_1010
.LBB509_1005:                           ; =>This Loop Header: Depth=1
                                        ;     Child Loop BB509_1008 Depth 2
	v_add_u32_e32 v70, v113, v112
	v_lshrrev_b32_e32 v84, 1, v70
	s_mov_b64 s[12:13], 0
	s_and_saveexec_b64 s[24:25], s[8:9]
	s_cbranch_execz .LBB509_1004
; %bb.1006:                             ;   in Loop: Header=BB509_1005 Depth=1
	v_mov_b32_e32 v85, v71
	v_xad_u32 v70, v84, -1, v103
	v_lshl_add_u64 v[86:87], v[84:85], 3, v[80:81]
	v_lshl_add_u64 v[96:97], v[70:71], 3, v[82:83]
	flat_load_dwordx2 v[86:87], v[86:87]
	s_mov_b64 s[26:27], 0
	flat_load_dwordx2 v[96:97], v[96:97]
                                        ; implicit-def: $sgpr28_sgpr29
                                        ; implicit-def: $sgpr34_sgpr35
                                        ; implicit-def: $sgpr36_sgpr37
                                        ; implicit-def: $sgpr16_sgpr17
                                        ; implicit-def: $sgpr42_sgpr43
	s_waitcnt vmcnt(0) lgkmcnt(0)
	v_mul_lo_u32 v70, v64, v87
	v_mul_lo_u32 v85, v65, v86
	v_mad_u64_u32 v[86:87], s[12:13], v64, v86, v[8:9]
	v_mul_lo_u32 v98, v64, v97
	v_mul_lo_u32 v99, v65, v96
	v_mad_u64_u32 v[96:97], s[12:13], v64, v96, v[8:9]
	v_add3_u32 v87, v85, v87, v70
	v_add3_u32 v97, v99, v97, v98
	v_mov_b64_e32 v[98:99], v[6:7]
	s_branch .LBB509_1008
.LBB509_1007:                           ;   in Loop: Header=BB509_1008 Depth=2
	s_or_b64 exec, exec, s[44:45]
	s_and_b64 s[12:13], exec, s[34:35]
	s_or_b64 s[26:27], s[12:13], s[26:27]
	s_andn2_b64 s[12:13], s[42:43], exec
	s_and_b64 s[18:19], s[36:37], exec
	s_or_b64 s[42:43], s[12:13], s[18:19]
	s_andn2_b64 s[12:13], s[28:29], exec
	s_and_b64 s[18:19], s[16:17], exec
	s_or_b64 s[28:29], s[12:13], s[18:19]
	s_andn2_b64 exec, exec, s[26:27]
	s_cbranch_execz .LBB509_1003
.LBB509_1008:                           ;   Parent Loop BB509_1005 Depth=1
                                        ; =>  This Inner Loop Header: Depth=2
	flat_load_dwordx2 v[114:115], v[96:97]
	flat_load_dwordx2 v[116:117], v[86:87]
	s_andn2_b64 s[44:45], s[16:17], exec
	s_andn2_b64 s[36:37], s[36:37], exec
	s_or_b64 s[34:35], s[34:35], exec
	s_waitcnt vmcnt(0) lgkmcnt(0)
	v_cmp_le_i64_e64 s[16:17], v[114:115], v[116:117]
	v_cmp_lt_i64_e64 s[12:13], v[114:115], v[116:117]
	s_and_b64 s[16:17], s[16:17], s[42:43]
	s_or_b64 s[46:47], s[12:13], s[16:17]
	s_and_b64 s[12:13], s[46:47], exec
	v_cmp_eq_u64_e64 s[18:19], v[114:115], v[116:117]
	s_or_b64 s[16:17], s[44:45], s[12:13]
	s_and_saveexec_b64 s[44:45], s[18:19]
	s_cbranch_execz .LBB509_1007
; %bb.1009:                             ;   in Loop: Header=BB509_1008 Depth=2
	v_lshl_add_u64 v[98:99], v[98:99], 0, -1
	v_cmp_eq_u64_e64 s[12:13], 0, v[98:99]
	s_andn2_b64 s[18:19], s[36:37], exec
	s_and_b64 s[36:37], s[46:47], exec
	s_or_b64 s[36:37], s[18:19], s[36:37]
	s_andn2_b64 s[18:19], s[34:35], exec
	s_and_b64 s[12:13], s[12:13], exec
	v_lshl_add_u64 v[86:87], v[86:87], 0, 8
	v_lshl_add_u64 v[96:97], v[96:97], 0, 8
	s_andn2_b64 s[16:17], s[16:17], exec
	s_or_b64 s[34:35], s[18:19], s[12:13]
                                        ; implicit-def: $sgpr42_sgpr43
	s_branch .LBB509_1007
.LBB509_1010:
	s_or_b64 exec, exec, s[22:23]
.LBB509_1011:
	s_or_b64 exec, exec, s[20:21]
	v_add_u32_e32 v71, v100, v103
	v_add_u32_e32 v70, v112, v102
	v_sub_u32_e32 v80, v71, v112
	v_cmp_le_u32_e64 s[12:13], v70, v100
	v_cmp_le_u32_e64 s[16:17], v80, v101
	s_or_b64 s[12:13], s[12:13], s[16:17]
	s_and_saveexec_b64 s[20:21], s[12:13]
	s_cbranch_execz .LBB509_1095
; %bb.1012:
	v_cmp_ge_u32_e64 s[16:17], v70, v100
	v_cmp_lt_u32_e64 s[12:13], v70, v100
                                        ; implicit-def: $vgpr12_vgpr13
	s_and_saveexec_b64 s[18:19], s[12:13]
	s_cbranch_execz .LBB509_1014
; %bb.1013:
	v_mov_b32_e32 v71, 0
	v_lshl_add_u64 v[12:13], v[70:71], 3, v[66:67]
	flat_load_dwordx2 v[12:13], v[12:13]
.LBB509_1014:
	s_or_b64 exec, exec, s[18:19]
	v_cmp_ge_u32_e64 s[22:23], v80, v101
	v_cmp_lt_u32_e64 s[12:13], v80, v101
                                        ; implicit-def: $vgpr14_vgpr15
	s_and_saveexec_b64 s[18:19], s[12:13]
	s_cbranch_execz .LBB509_1016
; %bb.1015:
	v_mov_b32_e32 v81, 0
	v_lshl_add_u64 v[14:15], v[80:81], 3, v[66:67]
	flat_load_dwordx2 v[14:15], v[14:15]
.LBB509_1016:
	s_or_b64 exec, exec, s[18:19]
	s_or_b64 s[12:13], s[16:17], s[22:23]
	s_xor_b64 s[12:13], s[12:13], -1
	s_and_saveexec_b64 s[24:25], s[12:13]
	s_cbranch_execz .LBB509_1024
; %bb.1017:
	s_mov_b64 s[12:13], 0
	s_and_saveexec_b64 s[26:27], s[8:9]
	s_cbranch_execz .LBB509_1023
; %bb.1018:
	s_waitcnt vmcnt(0) lgkmcnt(0)
	v_mul_lo_u32 v18, v13, v6
	v_mul_lo_u32 v19, v12, v7
	v_mad_u64_u32 v[16:17], s[12:13], v12, v6, 0
	v_add3_u32 v17, v17, v19, v18
	v_mul_lo_u32 v20, v15, v6
	v_mul_lo_u32 v21, v14, v7
	v_mad_u64_u32 v[18:19], s[12:13], v14, v6, 0
	v_add3_u32 v19, v19, v21, v20
	v_lshl_add_u64 v[16:17], v[16:17], 3, v[8:9]
	v_lshl_add_u64 v[18:19], v[18:19], 3, v[8:9]
	s_mov_b64 s[28:29], 0
	v_mov_b64_e32 v[20:21], v[6:7]
                                        ; implicit-def: $sgpr34_sgpr35
                                        ; implicit-def: $sgpr36_sgpr37
                                        ; implicit-def: $sgpr42_sgpr43
                                        ; implicit-def: $sgpr16_sgpr17
                                        ; implicit-def: $sgpr44_sgpr45
	s_branch .LBB509_1020
.LBB509_1019:                           ;   in Loop: Header=BB509_1020 Depth=1
	s_or_b64 exec, exec, s[46:47]
	s_and_b64 s[12:13], exec, s[36:37]
	s_or_b64 s[28:29], s[12:13], s[28:29]
	s_andn2_b64 s[12:13], s[44:45], exec
	s_and_b64 s[18:19], s[42:43], exec
	s_or_b64 s[44:45], s[12:13], s[18:19]
	s_andn2_b64 s[12:13], s[34:35], exec
	s_and_b64 s[18:19], s[16:17], exec
	s_or_b64 s[34:35], s[12:13], s[18:19]
	s_andn2_b64 exec, exec, s[28:29]
	s_cbranch_execz .LBB509_1022
.LBB509_1020:                           ; =>This Inner Loop Header: Depth=1
	flat_load_dwordx2 v[22:23], v[18:19]
	flat_load_dwordx2 v[24:25], v[16:17]
	s_andn2_b64 s[46:47], s[16:17], exec
	s_andn2_b64 s[42:43], s[42:43], exec
	s_or_b64 s[36:37], s[36:37], exec
	s_waitcnt vmcnt(0) lgkmcnt(0)
	v_cmp_le_i64_e64 s[16:17], v[22:23], v[24:25]
	v_cmp_lt_i64_e64 s[12:13], v[22:23], v[24:25]
	s_and_b64 s[16:17], s[16:17], s[44:45]
	s_or_b64 s[48:49], s[12:13], s[16:17]
	s_and_b64 s[12:13], s[48:49], exec
	v_cmp_eq_u64_e64 s[18:19], v[22:23], v[24:25]
	s_or_b64 s[16:17], s[46:47], s[12:13]
	s_and_saveexec_b64 s[46:47], s[18:19]
	s_cbranch_execz .LBB509_1019
; %bb.1021:                             ;   in Loop: Header=BB509_1020 Depth=1
	v_lshl_add_u64 v[20:21], v[20:21], 0, -1
	v_cmp_eq_u64_e64 s[12:13], 0, v[20:21]
	s_andn2_b64 s[18:19], s[42:43], exec
	s_and_b64 s[42:43], s[48:49], exec
	s_or_b64 s[42:43], s[18:19], s[42:43]
	s_andn2_b64 s[18:19], s[36:37], exec
	s_and_b64 s[12:13], s[12:13], exec
	v_lshl_add_u64 v[16:17], v[16:17], 0, 8
	v_lshl_add_u64 v[18:19], v[18:19], 0, 8
	s_andn2_b64 s[16:17], s[16:17], exec
	s_or_b64 s[36:37], s[18:19], s[12:13]
                                        ; implicit-def: $sgpr44_sgpr45
	s_branch .LBB509_1019
.LBB509_1022:
	s_or_b64 exec, exec, s[28:29]
	s_and_b64 s[12:13], s[34:35], exec
.LBB509_1023:
	s_or_b64 exec, exec, s[26:27]
	s_xor_b64 s[12:13], s[12:13], -1
	s_andn2_b64 s[16:17], s[22:23], exec
	s_and_b64 s[12:13], s[12:13], exec
	s_or_b64 s[22:23], s[16:17], s[12:13]
.LBB509_1024:
	s_or_b64 exec, exec, s[24:25]
	v_cndmask_b32_e64 v16, v80, v70, s[22:23]
	v_cndmask_b32_e64 v17, v101, v100, s[22:23]
	v_add_u32_e32 v20, 1, v16
	v_add_u32_e32 v16, -1, v17
	v_min_u32_e32 v16, v20, v16
	v_mov_b32_e32 v17, 0
	v_lshl_add_u64 v[18:19], v[16:17], 3, v[66:67]
	flat_load_dwordx2 v[18:19], v[18:19]
	v_cndmask_b32_e64 v27, v20, v80, s[22:23]
	s_mov_b64 s[24:25], -1
	v_cndmask_b32_e64 v70, v70, v20, s[22:23]
	v_cmp_lt_u32_e64 s[12:13], v27, v101
	s_mov_b64 s[26:27], -1
	s_waitcnt vmcnt(0) lgkmcnt(0)
	v_cndmask_b32_e64 v24, v19, v15, s[22:23]
	v_cndmask_b32_e64 v25, v18, v14, s[22:23]
	;; [unrolled: 1-line block ×4, first 2 shown]
	s_and_saveexec_b64 s[28:29], s[12:13]
	s_cbranch_execz .LBB509_1034
; %bb.1025:
	v_cmp_lt_u32_e64 s[12:13], v70, v100
	s_mov_b64 s[16:17], 0
	s_and_saveexec_b64 s[26:27], s[12:13]
	s_cbranch_execz .LBB509_1033
; %bb.1026:
	s_mov_b64 s[12:13], 0
	s_and_saveexec_b64 s[34:35], s[8:9]
	s_cbranch_execz .LBB509_1032
; %bb.1027:
	v_mul_lo_u32 v16, v26, v6
	v_mul_lo_u32 v20, v80, v7
	v_mad_u64_u32 v[18:19], s[12:13], v80, v6, 0
	v_add3_u32 v19, v19, v20, v16
	v_mul_lo_u32 v16, v24, v6
	v_mul_lo_u32 v22, v25, v7
	v_mad_u64_u32 v[20:21], s[12:13], v25, v6, 0
	v_add3_u32 v21, v21, v22, v16
	v_lshl_add_u64 v[18:19], v[18:19], 3, v[8:9]
	v_lshl_add_u64 v[20:21], v[20:21], 3, v[8:9]
	s_mov_b64 s[36:37], 0
	v_mov_b64_e32 v[22:23], v[6:7]
                                        ; implicit-def: $sgpr42_sgpr43
                                        ; implicit-def: $sgpr44_sgpr45
                                        ; implicit-def: $sgpr46_sgpr47
                                        ; implicit-def: $sgpr16_sgpr17
                                        ; implicit-def: $sgpr48_sgpr49
	s_branch .LBB509_1029
.LBB509_1028:                           ;   in Loop: Header=BB509_1029 Depth=1
	s_or_b64 exec, exec, s[50:51]
	s_and_b64 s[12:13], exec, s[44:45]
	s_or_b64 s[36:37], s[12:13], s[36:37]
	s_andn2_b64 s[12:13], s[48:49], exec
	s_and_b64 s[18:19], s[46:47], exec
	s_or_b64 s[48:49], s[12:13], s[18:19]
	s_andn2_b64 s[12:13], s[42:43], exec
	s_and_b64 s[18:19], s[16:17], exec
	s_or_b64 s[42:43], s[12:13], s[18:19]
	s_andn2_b64 exec, exec, s[36:37]
	s_cbranch_execz .LBB509_1031
.LBB509_1029:                           ; =>This Inner Loop Header: Depth=1
	flat_load_dwordx2 v[82:83], v[20:21]
	flat_load_dwordx2 v[84:85], v[18:19]
	s_andn2_b64 s[50:51], s[16:17], exec
	s_andn2_b64 s[46:47], s[46:47], exec
	s_or_b64 s[44:45], s[44:45], exec
	s_waitcnt vmcnt(0) lgkmcnt(0)
	v_cmp_le_i64_e64 s[16:17], v[82:83], v[84:85]
	v_cmp_lt_i64_e64 s[12:13], v[82:83], v[84:85]
	s_and_b64 s[16:17], s[16:17], s[48:49]
	s_or_b64 s[52:53], s[12:13], s[16:17]
	s_and_b64 s[12:13], s[52:53], exec
	v_cmp_eq_u64_e64 s[18:19], v[82:83], v[84:85]
	s_or_b64 s[16:17], s[50:51], s[12:13]
	s_and_saveexec_b64 s[50:51], s[18:19]
	s_cbranch_execz .LBB509_1028
; %bb.1030:                             ;   in Loop: Header=BB509_1029 Depth=1
	v_lshl_add_u64 v[22:23], v[22:23], 0, -1
	v_cmp_eq_u64_e64 s[12:13], 0, v[22:23]
	s_andn2_b64 s[18:19], s[46:47], exec
	s_and_b64 s[46:47], s[52:53], exec
	s_or_b64 s[46:47], s[18:19], s[46:47]
	s_andn2_b64 s[18:19], s[44:45], exec
	s_and_b64 s[12:13], s[12:13], exec
	v_lshl_add_u64 v[18:19], v[18:19], 0, 8
	v_lshl_add_u64 v[20:21], v[20:21], 0, 8
	s_andn2_b64 s[16:17], s[16:17], exec
	s_or_b64 s[44:45], s[18:19], s[12:13]
                                        ; implicit-def: $sgpr48_sgpr49
	s_branch .LBB509_1028
.LBB509_1031:
	s_or_b64 exec, exec, s[36:37]
	s_and_b64 s[12:13], s[42:43], exec
.LBB509_1032:
	s_or_b64 exec, exec, s[34:35]
	s_xor_b64 s[12:13], s[12:13], -1
	s_and_b64 s[16:17], s[12:13], exec
.LBB509_1033:
	s_or_b64 exec, exec, s[26:27]
	s_orn2_b64 s[26:27], s[16:17], exec
.LBB509_1034:
	s_or_b64 exec, exec, s[28:29]
	v_cndmask_b32_e64 v16, v27, v70, s[26:27]
	v_cndmask_b32_e64 v18, v101, v100, s[26:27]
	v_add_u32_e32 v19, 1, v16
	v_add_u32_e32 v16, -1, v18
	v_min_u32_e32 v16, v19, v16
	v_lshl_add_u64 v[16:17], v[16:17], 3, v[66:67]
	flat_load_dwordx2 v[16:17], v[16:17]
	v_cndmask_b32_e64 v22, v19, v27, s[26:27]
	v_cndmask_b32_e64 v23, v70, v19, s[26:27]
	v_cmp_lt_u32_e64 s[12:13], v22, v101
	s_waitcnt vmcnt(0) lgkmcnt(0)
	v_cndmask_b32_e64 v27, v17, v24, s[26:27]
	v_cndmask_b32_e64 v81, v16, v25, s[26:27]
	;; [unrolled: 1-line block ×4, first 2 shown]
	s_and_saveexec_b64 s[28:29], s[12:13]
	s_cbranch_execz .LBB509_1044
; %bb.1035:
	v_cmp_lt_u32_e64 s[12:13], v23, v100
	s_mov_b64 s[16:17], 0
	s_and_saveexec_b64 s[24:25], s[12:13]
	s_cbranch_execz .LBB509_1043
; %bb.1036:
	s_mov_b64 s[12:13], 0
	s_and_saveexec_b64 s[34:35], s[8:9]
	s_cbranch_execz .LBB509_1042
; %bb.1037:
	v_mul_lo_u32 v18, v82, v6
	v_mul_lo_u32 v19, v83, v7
	v_mad_u64_u32 v[16:17], s[12:13], v83, v6, 0
	v_add3_u32 v17, v17, v19, v18
	v_mul_lo_u32 v20, v27, v6
	v_mul_lo_u32 v21, v81, v7
	v_mad_u64_u32 v[18:19], s[12:13], v81, v6, 0
	v_add3_u32 v19, v19, v21, v20
	v_lshl_add_u64 v[16:17], v[16:17], 3, v[8:9]
	v_lshl_add_u64 v[18:19], v[18:19], 3, v[8:9]
	s_mov_b64 s[36:37], 0
	v_mov_b64_e32 v[20:21], v[6:7]
                                        ; implicit-def: $sgpr42_sgpr43
                                        ; implicit-def: $sgpr44_sgpr45
                                        ; implicit-def: $sgpr46_sgpr47
                                        ; implicit-def: $sgpr16_sgpr17
                                        ; implicit-def: $sgpr48_sgpr49
	s_branch .LBB509_1039
.LBB509_1038:                           ;   in Loop: Header=BB509_1039 Depth=1
	s_or_b64 exec, exec, s[50:51]
	s_and_b64 s[12:13], exec, s[44:45]
	s_or_b64 s[36:37], s[12:13], s[36:37]
	s_andn2_b64 s[12:13], s[48:49], exec
	s_and_b64 s[18:19], s[46:47], exec
	s_or_b64 s[48:49], s[12:13], s[18:19]
	s_andn2_b64 s[12:13], s[42:43], exec
	s_and_b64 s[18:19], s[16:17], exec
	s_or_b64 s[42:43], s[12:13], s[18:19]
	s_andn2_b64 exec, exec, s[36:37]
	s_cbranch_execz .LBB509_1041
.LBB509_1039:                           ; =>This Inner Loop Header: Depth=1
	flat_load_dwordx2 v[70:71], v[18:19]
	flat_load_dwordx2 v[84:85], v[16:17]
	s_andn2_b64 s[50:51], s[16:17], exec
	s_andn2_b64 s[46:47], s[46:47], exec
	s_or_b64 s[44:45], s[44:45], exec
	s_waitcnt vmcnt(0) lgkmcnt(0)
	v_cmp_le_i64_e64 s[16:17], v[70:71], v[84:85]
	v_cmp_lt_i64_e64 s[12:13], v[70:71], v[84:85]
	s_and_b64 s[16:17], s[16:17], s[48:49]
	s_or_b64 s[52:53], s[12:13], s[16:17]
	s_and_b64 s[12:13], s[52:53], exec
	v_cmp_eq_u64_e64 s[18:19], v[70:71], v[84:85]
	s_or_b64 s[16:17], s[50:51], s[12:13]
	s_and_saveexec_b64 s[50:51], s[18:19]
	s_cbranch_execz .LBB509_1038
; %bb.1040:                             ;   in Loop: Header=BB509_1039 Depth=1
	v_lshl_add_u64 v[20:21], v[20:21], 0, -1
	v_cmp_eq_u64_e64 s[12:13], 0, v[20:21]
	s_andn2_b64 s[18:19], s[46:47], exec
	s_and_b64 s[46:47], s[52:53], exec
	s_or_b64 s[46:47], s[18:19], s[46:47]
	s_andn2_b64 s[18:19], s[44:45], exec
	s_and_b64 s[12:13], s[12:13], exec
	v_lshl_add_u64 v[16:17], v[16:17], 0, 8
	v_lshl_add_u64 v[18:19], v[18:19], 0, 8
	s_andn2_b64 s[16:17], s[16:17], exec
	s_or_b64 s[44:45], s[18:19], s[12:13]
                                        ; implicit-def: $sgpr48_sgpr49
	s_branch .LBB509_1038
.LBB509_1041:
	s_or_b64 exec, exec, s[36:37]
	s_and_b64 s[12:13], s[42:43], exec
.LBB509_1042:
	s_or_b64 exec, exec, s[34:35]
	s_xor_b64 s[12:13], s[12:13], -1
	s_and_b64 s[16:17], s[12:13], exec
.LBB509_1043:
	s_or_b64 exec, exec, s[24:25]
	s_orn2_b64 s[24:25], s[16:17], exec
.LBB509_1044:
	s_or_b64 exec, exec, s[28:29]
	v_cndmask_b32_e64 v16, v22, v23, s[24:25]
	v_cndmask_b32_e64 v17, v101, v100, s[24:25]
	v_add_u32_e32 v20, 1, v16
	v_add_u32_e32 v16, -1, v17
	v_min_u32_e32 v16, v20, v16
	v_mov_b32_e32 v17, 0
	v_lshl_add_u64 v[18:19], v[16:17], 3, v[66:67]
	flat_load_dwordx2 v[18:19], v[18:19]
	v_cndmask_b32_e64 v70, v20, v22, s[24:25]
	s_mov_b64 s[28:29], -1
	v_cndmask_b32_e64 v71, v23, v20, s[24:25]
	v_cmp_lt_u32_e64 s[12:13], v70, v101
	s_mov_b64 s[34:35], -1
	s_waitcnt vmcnt(0) lgkmcnt(0)
	v_cndmask_b32_e64 v84, v19, v27, s[24:25]
	v_cndmask_b32_e64 v85, v18, v81, s[24:25]
	;; [unrolled: 1-line block ×4, first 2 shown]
	s_and_saveexec_b64 s[36:37], s[12:13]
	s_cbranch_execz .LBB509_1054
; %bb.1045:
	v_cmp_lt_u32_e64 s[12:13], v71, v100
	s_mov_b64 s[16:17], 0
	s_and_saveexec_b64 s[34:35], s[12:13]
	s_cbranch_execz .LBB509_1053
; %bb.1046:
	s_mov_b64 s[12:13], -1
	s_and_saveexec_b64 s[42:43], s[8:9]
	s_cbranch_execz .LBB509_1052
; %bb.1047:
	v_mul_lo_u32 v16, v86, v6
	v_mul_lo_u32 v20, v87, v7
	v_mad_u64_u32 v[18:19], s[12:13], v87, v6, 0
	v_add3_u32 v19, v19, v20, v16
	v_mul_lo_u32 v16, v84, v6
	v_mul_lo_u32 v22, v85, v7
	v_mad_u64_u32 v[20:21], s[12:13], v85, v6, 0
	v_add3_u32 v21, v21, v22, v16
	v_lshl_add_u64 v[18:19], v[18:19], 3, v[8:9]
	v_lshl_add_u64 v[20:21], v[20:21], 3, v[8:9]
	s_mov_b64 s[44:45], 0
	v_mov_b64_e32 v[22:23], v[6:7]
                                        ; implicit-def: $sgpr46_sgpr47
                                        ; implicit-def: $sgpr48_sgpr49
                                        ; implicit-def: $sgpr16_sgpr17
                                        ; implicit-def: $sgpr50_sgpr51
                                        ; implicit-def: $sgpr52_sgpr53
	s_branch .LBB509_1049
.LBB509_1048:                           ;   in Loop: Header=BB509_1049 Depth=1
	s_or_b64 exec, exec, s[54:55]
	s_and_b64 s[12:13], exec, s[48:49]
	s_or_b64 s[44:45], s[12:13], s[44:45]
	s_andn2_b64 s[12:13], s[52:53], exec
	s_and_b64 s[18:19], s[50:51], exec
	s_or_b64 s[52:53], s[12:13], s[18:19]
	s_andn2_b64 s[12:13], s[46:47], exec
	s_and_b64 s[18:19], s[16:17], exec
	s_or_b64 s[46:47], s[12:13], s[18:19]
	s_andn2_b64 exec, exec, s[44:45]
	s_cbranch_execz .LBB509_1051
.LBB509_1049:                           ; =>This Inner Loop Header: Depth=1
	flat_load_dwordx2 v[96:97], v[20:21]
	flat_load_dwordx2 v[98:99], v[18:19]
	s_andn2_b64 s[54:55], s[16:17], exec
	s_andn2_b64 s[50:51], s[50:51], exec
	s_or_b64 s[48:49], s[48:49], exec
	s_waitcnt vmcnt(0) lgkmcnt(0)
	v_cmp_le_i64_e64 s[16:17], v[96:97], v[98:99]
	v_cmp_lt_i64_e64 s[12:13], v[96:97], v[98:99]
	s_and_b64 s[16:17], s[16:17], s[52:53]
	s_or_b64 s[56:57], s[12:13], s[16:17]
	s_and_b64 s[12:13], s[56:57], exec
	v_cmp_eq_u64_e64 s[18:19], v[96:97], v[98:99]
	s_or_b64 s[16:17], s[54:55], s[12:13]
	s_and_saveexec_b64 s[54:55], s[18:19]
	s_cbranch_execz .LBB509_1048
; %bb.1050:                             ;   in Loop: Header=BB509_1049 Depth=1
	v_lshl_add_u64 v[22:23], v[22:23], 0, -1
	v_cmp_eq_u64_e64 s[12:13], 0, v[22:23]
	s_andn2_b64 s[18:19], s[50:51], exec
	s_and_b64 s[50:51], s[56:57], exec
	s_or_b64 s[50:51], s[18:19], s[50:51]
	s_andn2_b64 s[18:19], s[48:49], exec
	s_and_b64 s[12:13], s[12:13], exec
	v_lshl_add_u64 v[18:19], v[18:19], 0, 8
	v_lshl_add_u64 v[20:21], v[20:21], 0, 8
	s_andn2_b64 s[16:17], s[16:17], exec
	s_or_b64 s[48:49], s[18:19], s[12:13]
                                        ; implicit-def: $sgpr52_sgpr53
	s_branch .LBB509_1048
.LBB509_1051:
	s_or_b64 exec, exec, s[44:45]
	s_xor_b64 s[12:13], s[46:47], -1
	s_orn2_b64 s[12:13], s[12:13], exec
.LBB509_1052:
	s_or_b64 exec, exec, s[42:43]
	s_and_b64 s[16:17], s[12:13], exec
.LBB509_1053:
	s_or_b64 exec, exec, s[34:35]
	s_orn2_b64 s[34:35], s[16:17], exec
.LBB509_1054:
	s_or_b64 exec, exec, s[36:37]
	v_cndmask_b32_e64 v16, v70, v71, s[34:35]
	v_cndmask_b32_e64 v18, v101, v100, s[34:35]
	v_add_u32_e32 v19, 1, v16
	v_add_u32_e32 v16, -1, v18
	v_min_u32_e32 v16, v19, v16
	v_lshl_add_u64 v[16:17], v[16:17], 3, v[66:67]
	flat_load_dwordx2 v[16:17], v[16:17]
	v_cndmask_b32_e64 v22, v19, v70, s[34:35]
	v_cndmask_b32_e64 v23, v71, v19, s[34:35]
	v_cmp_lt_u32_e64 s[12:13], v22, v101
	s_waitcnt vmcnt(0) lgkmcnt(0)
	v_cndmask_b32_e64 v96, v17, v84, s[34:35]
	v_cndmask_b32_e64 v97, v16, v85, s[34:35]
	;; [unrolled: 1-line block ×4, first 2 shown]
	s_and_saveexec_b64 s[36:37], s[12:13]
	s_cbranch_execz .LBB509_1064
; %bb.1055:
	v_cmp_lt_u32_e64 s[12:13], v23, v100
	s_mov_b64 s[16:17], 0
	s_and_saveexec_b64 s[28:29], s[12:13]
	s_cbranch_execz .LBB509_1063
; %bb.1056:
	s_mov_b64 s[12:13], -1
	s_and_saveexec_b64 s[42:43], s[8:9]
	s_cbranch_execz .LBB509_1062
; %bb.1057:
	v_mul_lo_u32 v18, v98, v6
	v_mul_lo_u32 v19, v99, v7
	v_mad_u64_u32 v[16:17], s[12:13], v99, v6, 0
	v_add3_u32 v17, v17, v19, v18
	v_mul_lo_u32 v20, v96, v6
	v_mul_lo_u32 v21, v97, v7
	v_mad_u64_u32 v[18:19], s[12:13], v97, v6, 0
	v_add3_u32 v19, v19, v21, v20
	v_lshl_add_u64 v[16:17], v[16:17], 3, v[8:9]
	v_lshl_add_u64 v[18:19], v[18:19], 3, v[8:9]
	s_mov_b64 s[44:45], 0
	v_mov_b64_e32 v[20:21], v[6:7]
                                        ; implicit-def: $sgpr46_sgpr47
                                        ; implicit-def: $sgpr48_sgpr49
                                        ; implicit-def: $sgpr16_sgpr17
                                        ; implicit-def: $sgpr50_sgpr51
                                        ; implicit-def: $sgpr52_sgpr53
	s_branch .LBB509_1059
.LBB509_1058:                           ;   in Loop: Header=BB509_1059 Depth=1
	s_or_b64 exec, exec, s[54:55]
	s_and_b64 s[12:13], exec, s[48:49]
	s_or_b64 s[44:45], s[12:13], s[44:45]
	s_andn2_b64 s[12:13], s[52:53], exec
	s_and_b64 s[18:19], s[50:51], exec
	s_or_b64 s[52:53], s[12:13], s[18:19]
	s_andn2_b64 s[12:13], s[46:47], exec
	s_and_b64 s[18:19], s[16:17], exec
	s_or_b64 s[46:47], s[12:13], s[18:19]
	s_andn2_b64 exec, exec, s[44:45]
	s_cbranch_execz .LBB509_1061
.LBB509_1059:                           ; =>This Inner Loop Header: Depth=1
	flat_load_dwordx2 v[70:71], v[18:19]
	flat_load_dwordx2 v[102:103], v[16:17]
	s_andn2_b64 s[54:55], s[16:17], exec
	s_andn2_b64 s[50:51], s[50:51], exec
	s_or_b64 s[48:49], s[48:49], exec
	s_waitcnt vmcnt(0) lgkmcnt(0)
	v_cmp_le_i64_e64 s[16:17], v[70:71], v[102:103]
	v_cmp_lt_i64_e64 s[12:13], v[70:71], v[102:103]
	s_and_b64 s[16:17], s[16:17], s[52:53]
	s_or_b64 s[56:57], s[12:13], s[16:17]
	s_and_b64 s[12:13], s[56:57], exec
	v_cmp_eq_u64_e64 s[18:19], v[70:71], v[102:103]
	s_or_b64 s[16:17], s[54:55], s[12:13]
	s_and_saveexec_b64 s[54:55], s[18:19]
	s_cbranch_execz .LBB509_1058
; %bb.1060:                             ;   in Loop: Header=BB509_1059 Depth=1
	v_lshl_add_u64 v[20:21], v[20:21], 0, -1
	v_cmp_eq_u64_e64 s[12:13], 0, v[20:21]
	s_andn2_b64 s[18:19], s[50:51], exec
	s_and_b64 s[50:51], s[56:57], exec
	s_or_b64 s[50:51], s[18:19], s[50:51]
	s_andn2_b64 s[18:19], s[48:49], exec
	s_and_b64 s[12:13], s[12:13], exec
	v_lshl_add_u64 v[16:17], v[16:17], 0, 8
	v_lshl_add_u64 v[18:19], v[18:19], 0, 8
	s_andn2_b64 s[16:17], s[16:17], exec
	s_or_b64 s[48:49], s[18:19], s[12:13]
                                        ; implicit-def: $sgpr52_sgpr53
	s_branch .LBB509_1058
.LBB509_1061:
	s_or_b64 exec, exec, s[44:45]
	s_xor_b64 s[12:13], s[46:47], -1
	s_orn2_b64 s[12:13], s[12:13], exec
.LBB509_1062:
	s_or_b64 exec, exec, s[42:43]
	s_and_b64 s[16:17], s[12:13], exec
.LBB509_1063:
	s_or_b64 exec, exec, s[28:29]
	s_orn2_b64 s[28:29], s[16:17], exec
.LBB509_1064:
	s_or_b64 exec, exec, s[36:37]
	v_cndmask_b32_e64 v16, v22, v23, s[28:29]
	v_cndmask_b32_e64 v17, v101, v100, s[28:29]
	v_add_u32_e32 v20, 1, v16
	v_add_u32_e32 v16, -1, v17
	v_min_u32_e32 v16, v20, v16
	v_mov_b32_e32 v17, 0
	v_lshl_add_u64 v[18:19], v[16:17], 3, v[66:67]
	flat_load_dwordx2 v[18:19], v[18:19]
	v_cndmask_b32_e64 v70, v20, v22, s[28:29]
	s_mov_b64 s[36:37], -1
	v_cndmask_b32_e64 v71, v23, v20, s[28:29]
	v_cmp_lt_u32_e64 s[12:13], v70, v101
	s_mov_b64 s[42:43], -1
	s_waitcnt vmcnt(0) lgkmcnt(0)
	v_cndmask_b32_e64 v102, v19, v96, s[28:29]
	v_cndmask_b32_e64 v103, v18, v97, s[28:29]
	;; [unrolled: 1-line block ×4, first 2 shown]
	s_and_saveexec_b64 s[44:45], s[12:13]
	s_cbranch_execz .LBB509_1074
; %bb.1065:
	v_cmp_lt_u32_e64 s[12:13], v71, v100
	s_mov_b64 s[16:17], 0
	s_and_saveexec_b64 s[42:43], s[12:13]
	s_cbranch_execz .LBB509_1073
; %bb.1066:
	s_mov_b64 s[12:13], -1
	s_and_saveexec_b64 s[46:47], s[8:9]
	s_cbranch_execz .LBB509_1072
; %bb.1067:
	v_mul_lo_u32 v16, v112, v6
	v_mul_lo_u32 v20, v113, v7
	v_mad_u64_u32 v[18:19], s[12:13], v113, v6, 0
	v_add3_u32 v19, v19, v20, v16
	v_mul_lo_u32 v16, v102, v6
	v_mul_lo_u32 v22, v103, v7
	v_mad_u64_u32 v[20:21], s[12:13], v103, v6, 0
	v_add3_u32 v21, v21, v22, v16
	v_lshl_add_u64 v[18:19], v[18:19], 3, v[8:9]
	v_lshl_add_u64 v[20:21], v[20:21], 3, v[8:9]
	s_mov_b64 s[48:49], 0
	v_mov_b64_e32 v[22:23], v[6:7]
                                        ; implicit-def: $sgpr50_sgpr51
                                        ; implicit-def: $sgpr52_sgpr53
                                        ; implicit-def: $sgpr16_sgpr17
                                        ; implicit-def: $sgpr54_sgpr55
                                        ; implicit-def: $sgpr56_sgpr57
	s_branch .LBB509_1069
.LBB509_1068:                           ;   in Loop: Header=BB509_1069 Depth=1
	s_or_b64 exec, exec, s[58:59]
	s_and_b64 s[12:13], exec, s[52:53]
	s_or_b64 s[48:49], s[12:13], s[48:49]
	s_andn2_b64 s[12:13], s[56:57], exec
	s_and_b64 s[18:19], s[54:55], exec
	s_or_b64 s[56:57], s[12:13], s[18:19]
	s_andn2_b64 s[12:13], s[50:51], exec
	s_and_b64 s[18:19], s[16:17], exec
	s_or_b64 s[50:51], s[12:13], s[18:19]
	s_andn2_b64 exec, exec, s[48:49]
	s_cbranch_execz .LBB509_1071
.LBB509_1069:                           ; =>This Inner Loop Header: Depth=1
	flat_load_dwordx2 v[114:115], v[20:21]
	flat_load_dwordx2 v[116:117], v[18:19]
	s_andn2_b64 s[58:59], s[16:17], exec
	s_andn2_b64 s[54:55], s[54:55], exec
	s_or_b64 s[52:53], s[52:53], exec
	s_waitcnt vmcnt(0) lgkmcnt(0)
	v_cmp_le_i64_e64 s[16:17], v[114:115], v[116:117]
	v_cmp_lt_i64_e64 s[12:13], v[114:115], v[116:117]
	s_and_b64 s[16:17], s[16:17], s[56:57]
	s_or_b64 s[60:61], s[12:13], s[16:17]
	s_and_b64 s[12:13], s[60:61], exec
	v_cmp_eq_u64_e64 s[18:19], v[114:115], v[116:117]
	s_or_b64 s[16:17], s[58:59], s[12:13]
	s_and_saveexec_b64 s[58:59], s[18:19]
	s_cbranch_execz .LBB509_1068
; %bb.1070:                             ;   in Loop: Header=BB509_1069 Depth=1
	v_lshl_add_u64 v[22:23], v[22:23], 0, -1
	v_cmp_eq_u64_e64 s[12:13], 0, v[22:23]
	s_andn2_b64 s[18:19], s[54:55], exec
	s_and_b64 s[54:55], s[60:61], exec
	s_or_b64 s[54:55], s[18:19], s[54:55]
	s_andn2_b64 s[18:19], s[52:53], exec
	s_and_b64 s[12:13], s[12:13], exec
	v_lshl_add_u64 v[18:19], v[18:19], 0, 8
	v_lshl_add_u64 v[20:21], v[20:21], 0, 8
	s_andn2_b64 s[16:17], s[16:17], exec
	s_or_b64 s[52:53], s[18:19], s[12:13]
                                        ; implicit-def: $sgpr56_sgpr57
	s_branch .LBB509_1068
.LBB509_1071:
	s_or_b64 exec, exec, s[48:49]
	s_xor_b64 s[12:13], s[50:51], -1
	s_orn2_b64 s[12:13], s[12:13], exec
.LBB509_1072:
	s_or_b64 exec, exec, s[46:47]
	s_and_b64 s[16:17], s[12:13], exec
.LBB509_1073:
	s_or_b64 exec, exec, s[42:43]
	s_orn2_b64 s[42:43], s[16:17], exec
.LBB509_1074:
	s_or_b64 exec, exec, s[44:45]
	v_cndmask_b32_e64 v16, v70, v71, s[42:43]
	v_cndmask_b32_e64 v18, v101, v100, s[42:43]
	v_add_u32_e32 v19, 1, v16
	v_add_u32_e32 v16, -1, v18
	v_min_u32_e32 v16, v19, v16
	v_lshl_add_u64 v[16:17], v[16:17], 3, v[66:67]
	flat_load_dwordx2 v[16:17], v[16:17]
	v_cndmask_b32_e64 v117, v19, v70, s[42:43]
	v_cndmask_b32_e64 v114, v71, v19, s[42:43]
	v_cmp_lt_u32_e64 s[12:13], v117, v101
	s_waitcnt vmcnt(0) lgkmcnt(0)
	v_cndmask_b32_e64 v115, v17, v102, s[42:43]
	v_cndmask_b32_e64 v116, v16, v103, s[42:43]
	;; [unrolled: 1-line block ×4, first 2 shown]
	s_and_saveexec_b64 s[44:45], s[12:13]
	s_cbranch_execz .LBB509_1084
; %bb.1075:
	v_cmp_lt_u32_e64 s[12:13], v114, v100
	s_mov_b64 s[16:17], 0
	s_and_saveexec_b64 s[36:37], s[12:13]
	s_cbranch_execz .LBB509_1083
; %bb.1076:
	s_mov_b64 s[12:13], -1
	s_and_saveexec_b64 s[46:47], s[8:9]
	s_cbranch_execz .LBB509_1082
; %bb.1077:
	v_mul_lo_u32 v18, v118, v6
	v_mul_lo_u32 v19, v119, v7
	v_mad_u64_u32 v[16:17], s[12:13], v119, v6, 0
	v_add3_u32 v17, v17, v19, v18
	v_mul_lo_u32 v20, v115, v6
	v_mul_lo_u32 v21, v116, v7
	v_mad_u64_u32 v[18:19], s[12:13], v116, v6, 0
	v_add3_u32 v19, v19, v21, v20
	v_lshl_add_u64 v[16:17], v[16:17], 3, v[8:9]
	v_lshl_add_u64 v[18:19], v[18:19], 3, v[8:9]
	s_mov_b64 s[48:49], 0
	v_mov_b64_e32 v[20:21], v[6:7]
                                        ; implicit-def: $sgpr50_sgpr51
                                        ; implicit-def: $sgpr52_sgpr53
                                        ; implicit-def: $sgpr16_sgpr17
                                        ; implicit-def: $sgpr54_sgpr55
                                        ; implicit-def: $sgpr56_sgpr57
	s_branch .LBB509_1079
.LBB509_1078:                           ;   in Loop: Header=BB509_1079 Depth=1
	s_or_b64 exec, exec, s[58:59]
	s_and_b64 s[12:13], exec, s[52:53]
	s_or_b64 s[48:49], s[12:13], s[48:49]
	s_andn2_b64 s[12:13], s[56:57], exec
	s_and_b64 s[18:19], s[54:55], exec
	s_or_b64 s[56:57], s[12:13], s[18:19]
	s_andn2_b64 s[12:13], s[50:51], exec
	s_and_b64 s[18:19], s[16:17], exec
	s_or_b64 s[50:51], s[12:13], s[18:19]
	s_andn2_b64 exec, exec, s[48:49]
	s_cbranch_execz .LBB509_1081
.LBB509_1079:                           ; =>This Inner Loop Header: Depth=1
	flat_load_dwordx2 v[22:23], v[18:19]
	flat_load_dwordx2 v[70:71], v[16:17]
	s_andn2_b64 s[58:59], s[16:17], exec
	s_andn2_b64 s[54:55], s[54:55], exec
	s_or_b64 s[52:53], s[52:53], exec
	s_waitcnt vmcnt(0) lgkmcnt(0)
	v_cmp_le_i64_e64 s[16:17], v[22:23], v[70:71]
	v_cmp_lt_i64_e64 s[12:13], v[22:23], v[70:71]
	s_and_b64 s[16:17], s[16:17], s[56:57]
	s_or_b64 s[60:61], s[12:13], s[16:17]
	s_and_b64 s[12:13], s[60:61], exec
	v_cmp_eq_u64_e64 s[18:19], v[22:23], v[70:71]
	s_or_b64 s[16:17], s[58:59], s[12:13]
	s_and_saveexec_b64 s[58:59], s[18:19]
	s_cbranch_execz .LBB509_1078
; %bb.1080:                             ;   in Loop: Header=BB509_1079 Depth=1
	v_lshl_add_u64 v[20:21], v[20:21], 0, -1
	v_cmp_eq_u64_e64 s[12:13], 0, v[20:21]
	s_andn2_b64 s[18:19], s[54:55], exec
	s_and_b64 s[54:55], s[60:61], exec
	s_or_b64 s[54:55], s[18:19], s[54:55]
	s_andn2_b64 s[18:19], s[52:53], exec
	s_and_b64 s[12:13], s[12:13], exec
	v_lshl_add_u64 v[16:17], v[16:17], 0, 8
	v_lshl_add_u64 v[18:19], v[18:19], 0, 8
	s_andn2_b64 s[16:17], s[16:17], exec
	s_or_b64 s[52:53], s[18:19], s[12:13]
                                        ; implicit-def: $sgpr56_sgpr57
	s_branch .LBB509_1078
.LBB509_1081:
	s_or_b64 exec, exec, s[48:49]
	s_xor_b64 s[12:13], s[50:51], -1
	s_orn2_b64 s[12:13], s[12:13], exec
.LBB509_1082:
	s_or_b64 exec, exec, s[46:47]
	s_and_b64 s[16:17], s[12:13], exec
.LBB509_1083:
	s_or_b64 exec, exec, s[36:37]
	s_orn2_b64 s[36:37], s[16:17], exec
.LBB509_1084:
	s_or_b64 exec, exec, s[44:45]
	v_cndmask_b32_e64 v16, v117, v114, s[36:37]
	v_cndmask_b32_e64 v17, v101, v100, s[36:37]
	v_add_u32_e32 v128, 1, v16
	v_add_u32_e32 v16, -1, v17
	v_min_u32_e32 v16, v128, v16
	v_mov_b32_e32 v17, 0
	v_lshl_add_u64 v[16:17], v[16:17], 3, v[66:67]
	flat_load_dwordx2 v[70:71], v[16:17]
	v_cndmask_b32_e64 v21, v27, v82, s[24:25]
	v_cndmask_b32_e64 v27, v24, v26, s[26:27]
	;; [unrolled: 1-line block ×15, first 2 shown]
	v_cmp_lt_u32_e64 s[12:13], v80, v101
	s_waitcnt vmcnt(0) lgkmcnt(0)
	v_cndmask_b32_e64 v15, v118, v71, s[36:37]
	v_cndmask_b32_e64 v14, v119, v70, s[36:37]
	s_and_saveexec_b64 s[22:23], s[12:13]
	s_cbranch_execz .LBB509_1094
; %bb.1085:
	v_cndmask_b32_e64 v80, v114, v128, s[36:37]
	v_cndmask_b32_e64 v71, v71, v115, s[36:37]
	;; [unrolled: 1-line block ×3, first 2 shown]
	v_cmp_lt_u32_e64 s[12:13], v80, v100
	s_and_saveexec_b64 s[24:25], s[12:13]
	s_cbranch_execz .LBB509_1093
; %bb.1086:
	s_and_saveexec_b64 s[26:27], s[8:9]
	s_cbranch_execz .LBB509_1092
; %bb.1087:
	v_mul_lo_u32 v82, v15, v6
	v_mul_lo_u32 v83, v14, v7
	v_mad_u64_u32 v[80:81], s[12:13], v14, v6, 0
	v_add3_u32 v81, v81, v83, v82
	v_mul_lo_u32 v84, v71, v6
	v_mul_lo_u32 v85, v70, v7
	v_mad_u64_u32 v[82:83], s[12:13], v70, v6, 0
	v_add3_u32 v83, v83, v85, v84
	v_lshl_add_u64 v[80:81], v[80:81], 3, v[8:9]
	v_lshl_add_u64 v[82:83], v[82:83], 3, v[8:9]
	s_mov_b64 s[28:29], 0
	v_mov_b64_e32 v[84:85], v[6:7]
                                        ; implicit-def: $sgpr34_sgpr35
                                        ; implicit-def: $sgpr36_sgpr37
                                        ; implicit-def: $sgpr16_sgpr17
                                        ; implicit-def: $sgpr42_sgpr43
                                        ; implicit-def: $sgpr44_sgpr45
	s_branch .LBB509_1089
.LBB509_1088:                           ;   in Loop: Header=BB509_1089 Depth=1
	s_or_b64 exec, exec, s[46:47]
	s_and_b64 s[12:13], exec, s[36:37]
	s_or_b64 s[28:29], s[12:13], s[28:29]
	s_andn2_b64 s[12:13], s[44:45], exec
	s_and_b64 s[18:19], s[42:43], exec
	s_or_b64 s[44:45], s[12:13], s[18:19]
	s_andn2_b64 s[12:13], s[34:35], exec
	s_and_b64 s[18:19], s[16:17], exec
	s_or_b64 s[34:35], s[12:13], s[18:19]
	s_andn2_b64 exec, exec, s[28:29]
	s_cbranch_execz .LBB509_1091
.LBB509_1089:                           ; =>This Inner Loop Header: Depth=1
	flat_load_dwordx2 v[86:87], v[82:83]
	flat_load_dwordx2 v[96:97], v[80:81]
	s_andn2_b64 s[46:47], s[16:17], exec
	s_andn2_b64 s[42:43], s[42:43], exec
	s_or_b64 s[36:37], s[36:37], exec
	s_waitcnt vmcnt(0) lgkmcnt(0)
	v_cmp_le_i64_e64 s[16:17], v[86:87], v[96:97]
	v_cmp_lt_i64_e64 s[12:13], v[86:87], v[96:97]
	s_and_b64 s[16:17], s[16:17], s[44:45]
	s_or_b64 s[48:49], s[12:13], s[16:17]
	s_and_b64 s[12:13], s[48:49], exec
	v_cmp_eq_u64_e64 s[18:19], v[86:87], v[96:97]
	s_or_b64 s[16:17], s[46:47], s[12:13]
	s_and_saveexec_b64 s[46:47], s[18:19]
	s_cbranch_execz .LBB509_1088
; %bb.1090:                             ;   in Loop: Header=BB509_1089 Depth=1
	v_lshl_add_u64 v[84:85], v[84:85], 0, -1
	v_cmp_eq_u64_e64 s[12:13], 0, v[84:85]
	s_andn2_b64 s[18:19], s[42:43], exec
	s_and_b64 s[42:43], s[48:49], exec
	s_or_b64 s[42:43], s[18:19], s[42:43]
	s_andn2_b64 s[18:19], s[36:37], exec
	s_and_b64 s[12:13], s[12:13], exec
	v_lshl_add_u64 v[80:81], v[80:81], 0, 8
	v_lshl_add_u64 v[82:83], v[82:83], 0, 8
	s_andn2_b64 s[16:17], s[16:17], exec
	s_or_b64 s[36:37], s[18:19], s[12:13]
                                        ; implicit-def: $sgpr44_sgpr45
	s_branch .LBB509_1088
.LBB509_1091:
	s_or_b64 exec, exec, s[28:29]
	v_cndmask_b32_e64 v15, v15, v71, s[34:35]
	v_cndmask_b32_e64 v14, v14, v70, s[34:35]
.LBB509_1092:
	s_or_b64 exec, exec, s[26:27]
	v_mov_b64_e32 v[70:71], v[14:15]
.LBB509_1093:
	s_or_b64 exec, exec, s[24:25]
	v_mov_b64_e32 v[14:15], v[70:71]
.LBB509_1094:
	s_or_b64 exec, exec, s[22:23]
.LBB509_1095:
	s_or_b64 exec, exec, s[20:21]
	v_and_b32_e32 v102, 0x3e0, v31
	v_or_b32_e32 v70, 16, v102
	v_min_u32_e32 v100, v1, v70
	v_add_u32_e32 v70, 16, v100
	v_min_u32_e32 v101, v1, v70
	v_and_b32_e32 v70, 24, v31
	v_min_u32_e32 v103, v1, v70
	v_sub_u32_e32 v70, v100, v102
	v_sub_u32_e32 v71, v101, v100
	v_sub_u32_e64 v112, v103, v71 clamp
	v_min_u32_e32 v113, v103, v70
	v_cmp_lt_u32_e64 s[12:13], v112, v113
	; wave barrier
	flat_store_dwordx4 v[68:69], v[24:27]
	flat_store_dwordx4 v[68:69], v[20:23] offset:16
	flat_store_dwordx4 v[68:69], v[16:19] offset:32
	;; [unrolled: 1-line block ×3, first 2 shown]
	; wave barrier
	s_and_saveexec_b64 s[20:21], s[12:13]
	s_cbranch_execz .LBB509_1105
; %bb.1096:
	v_lshlrev_b32_e32 v70, 3, v102
	v_mov_b32_e32 v71, 0
	v_lshl_add_u64 v[80:81], v[66:67], 0, v[70:71]
	v_lshlrev_b32_e32 v70, 3, v100
	v_lshl_add_u64 v[82:83], v[66:67], 0, v[70:71]
	s_mov_b64 s[22:23], 0
	s_branch .LBB509_1099
.LBB509_1097:                           ;   in Loop: Header=BB509_1099 Depth=1
	s_or_b64 exec, exec, s[26:27]
	s_and_b64 s[12:13], s[28:29], exec
.LBB509_1098:                           ;   in Loop: Header=BB509_1099 Depth=1
	s_or_b64 exec, exec, s[24:25]
	v_add_u32_e32 v70, 1, v84
	v_cndmask_b32_e64 v113, v113, v84, s[12:13]
	v_cndmask_b32_e64 v112, v70, v112, s[12:13]
	v_cmp_ge_u32_e64 s[12:13], v112, v113
	s_or_b64 s[22:23], s[12:13], s[22:23]
	s_andn2_b64 exec, exec, s[22:23]
	s_cbranch_execz .LBB509_1104
.LBB509_1099:                           ; =>This Loop Header: Depth=1
                                        ;     Child Loop BB509_1102 Depth 2
	v_add_u32_e32 v70, v113, v112
	v_lshrrev_b32_e32 v84, 1, v70
	s_mov_b64 s[12:13], 0
	s_and_saveexec_b64 s[24:25], s[8:9]
	s_cbranch_execz .LBB509_1098
; %bb.1100:                             ;   in Loop: Header=BB509_1099 Depth=1
	v_mov_b32_e32 v85, v71
	v_xad_u32 v70, v84, -1, v103
	v_lshl_add_u64 v[86:87], v[84:85], 3, v[80:81]
	v_lshl_add_u64 v[96:97], v[70:71], 3, v[82:83]
	flat_load_dwordx2 v[86:87], v[86:87]
	s_mov_b64 s[26:27], 0
	flat_load_dwordx2 v[96:97], v[96:97]
                                        ; implicit-def: $sgpr28_sgpr29
                                        ; implicit-def: $sgpr34_sgpr35
                                        ; implicit-def: $sgpr36_sgpr37
                                        ; implicit-def: $sgpr16_sgpr17
                                        ; implicit-def: $sgpr42_sgpr43
	s_waitcnt vmcnt(0) lgkmcnt(0)
	v_mul_lo_u32 v70, v64, v87
	v_mul_lo_u32 v85, v65, v86
	v_mad_u64_u32 v[86:87], s[12:13], v64, v86, v[8:9]
	v_mul_lo_u32 v98, v64, v97
	v_mul_lo_u32 v99, v65, v96
	v_mad_u64_u32 v[96:97], s[12:13], v64, v96, v[8:9]
	v_add3_u32 v87, v85, v87, v70
	v_add3_u32 v97, v99, v97, v98
	v_mov_b64_e32 v[98:99], v[6:7]
	s_branch .LBB509_1102
.LBB509_1101:                           ;   in Loop: Header=BB509_1102 Depth=2
	s_or_b64 exec, exec, s[44:45]
	s_and_b64 s[12:13], exec, s[34:35]
	s_or_b64 s[26:27], s[12:13], s[26:27]
	s_andn2_b64 s[12:13], s[42:43], exec
	s_and_b64 s[18:19], s[36:37], exec
	s_or_b64 s[42:43], s[12:13], s[18:19]
	s_andn2_b64 s[12:13], s[28:29], exec
	s_and_b64 s[18:19], s[16:17], exec
	s_or_b64 s[28:29], s[12:13], s[18:19]
	s_andn2_b64 exec, exec, s[26:27]
	s_cbranch_execz .LBB509_1097
.LBB509_1102:                           ;   Parent Loop BB509_1099 Depth=1
                                        ; =>  This Inner Loop Header: Depth=2
	flat_load_dwordx2 v[114:115], v[96:97]
	flat_load_dwordx2 v[116:117], v[86:87]
	s_andn2_b64 s[44:45], s[16:17], exec
	s_andn2_b64 s[36:37], s[36:37], exec
	s_or_b64 s[34:35], s[34:35], exec
	s_waitcnt vmcnt(0) lgkmcnt(0)
	v_cmp_le_i64_e64 s[16:17], v[114:115], v[116:117]
	v_cmp_lt_i64_e64 s[12:13], v[114:115], v[116:117]
	s_and_b64 s[16:17], s[16:17], s[42:43]
	s_or_b64 s[46:47], s[12:13], s[16:17]
	s_and_b64 s[12:13], s[46:47], exec
	v_cmp_eq_u64_e64 s[18:19], v[114:115], v[116:117]
	s_or_b64 s[16:17], s[44:45], s[12:13]
	s_and_saveexec_b64 s[44:45], s[18:19]
	s_cbranch_execz .LBB509_1101
; %bb.1103:                             ;   in Loop: Header=BB509_1102 Depth=2
	v_lshl_add_u64 v[98:99], v[98:99], 0, -1
	v_cmp_eq_u64_e64 s[12:13], 0, v[98:99]
	s_andn2_b64 s[18:19], s[36:37], exec
	s_and_b64 s[36:37], s[46:47], exec
	s_or_b64 s[36:37], s[18:19], s[36:37]
	s_andn2_b64 s[18:19], s[34:35], exec
	s_and_b64 s[12:13], s[12:13], exec
	v_lshl_add_u64 v[86:87], v[86:87], 0, 8
	v_lshl_add_u64 v[96:97], v[96:97], 0, 8
	s_andn2_b64 s[16:17], s[16:17], exec
	s_or_b64 s[34:35], s[18:19], s[12:13]
                                        ; implicit-def: $sgpr42_sgpr43
	s_branch .LBB509_1101
.LBB509_1104:
	s_or_b64 exec, exec, s[22:23]
.LBB509_1105:
	s_or_b64 exec, exec, s[20:21]
	v_add_u32_e32 v71, v100, v103
	v_add_u32_e32 v70, v112, v102
	v_sub_u32_e32 v80, v71, v112
	v_cmp_le_u32_e64 s[12:13], v70, v100
	v_cmp_le_u32_e64 s[16:17], v80, v101
	s_or_b64 s[12:13], s[12:13], s[16:17]
	s_and_saveexec_b64 s[20:21], s[12:13]
	s_cbranch_execz .LBB509_1189
; %bb.1106:
	v_cmp_ge_u32_e64 s[16:17], v70, v100
	v_cmp_lt_u32_e64 s[12:13], v70, v100
                                        ; implicit-def: $vgpr12_vgpr13
	s_and_saveexec_b64 s[18:19], s[12:13]
	s_cbranch_execz .LBB509_1108
; %bb.1107:
	v_mov_b32_e32 v71, 0
	v_lshl_add_u64 v[12:13], v[70:71], 3, v[66:67]
	flat_load_dwordx2 v[12:13], v[12:13]
.LBB509_1108:
	s_or_b64 exec, exec, s[18:19]
	v_cmp_ge_u32_e64 s[22:23], v80, v101
	v_cmp_lt_u32_e64 s[12:13], v80, v101
                                        ; implicit-def: $vgpr14_vgpr15
	s_and_saveexec_b64 s[18:19], s[12:13]
	s_cbranch_execz .LBB509_1110
; %bb.1109:
	v_mov_b32_e32 v81, 0
	v_lshl_add_u64 v[14:15], v[80:81], 3, v[66:67]
	flat_load_dwordx2 v[14:15], v[14:15]
.LBB509_1110:
	s_or_b64 exec, exec, s[18:19]
	s_or_b64 s[12:13], s[16:17], s[22:23]
	s_xor_b64 s[12:13], s[12:13], -1
	s_and_saveexec_b64 s[24:25], s[12:13]
	s_cbranch_execz .LBB509_1118
; %bb.1111:
	s_mov_b64 s[12:13], 0
	s_and_saveexec_b64 s[26:27], s[8:9]
	s_cbranch_execz .LBB509_1117
; %bb.1112:
	s_waitcnt vmcnt(0) lgkmcnt(0)
	v_mul_lo_u32 v18, v13, v6
	v_mul_lo_u32 v19, v12, v7
	v_mad_u64_u32 v[16:17], s[12:13], v12, v6, 0
	v_add3_u32 v17, v17, v19, v18
	v_mul_lo_u32 v20, v15, v6
	v_mul_lo_u32 v21, v14, v7
	v_mad_u64_u32 v[18:19], s[12:13], v14, v6, 0
	v_add3_u32 v19, v19, v21, v20
	v_lshl_add_u64 v[16:17], v[16:17], 3, v[8:9]
	v_lshl_add_u64 v[18:19], v[18:19], 3, v[8:9]
	s_mov_b64 s[28:29], 0
	v_mov_b64_e32 v[20:21], v[6:7]
                                        ; implicit-def: $sgpr34_sgpr35
                                        ; implicit-def: $sgpr36_sgpr37
                                        ; implicit-def: $sgpr42_sgpr43
                                        ; implicit-def: $sgpr16_sgpr17
                                        ; implicit-def: $sgpr44_sgpr45
	s_branch .LBB509_1114
.LBB509_1113:                           ;   in Loop: Header=BB509_1114 Depth=1
	s_or_b64 exec, exec, s[46:47]
	s_and_b64 s[12:13], exec, s[36:37]
	s_or_b64 s[28:29], s[12:13], s[28:29]
	s_andn2_b64 s[12:13], s[44:45], exec
	s_and_b64 s[18:19], s[42:43], exec
	s_or_b64 s[44:45], s[12:13], s[18:19]
	s_andn2_b64 s[12:13], s[34:35], exec
	s_and_b64 s[18:19], s[16:17], exec
	s_or_b64 s[34:35], s[12:13], s[18:19]
	s_andn2_b64 exec, exec, s[28:29]
	s_cbranch_execz .LBB509_1116
.LBB509_1114:                           ; =>This Inner Loop Header: Depth=1
	flat_load_dwordx2 v[22:23], v[18:19]
	flat_load_dwordx2 v[24:25], v[16:17]
	s_andn2_b64 s[46:47], s[16:17], exec
	s_andn2_b64 s[42:43], s[42:43], exec
	s_or_b64 s[36:37], s[36:37], exec
	s_waitcnt vmcnt(0) lgkmcnt(0)
	v_cmp_le_i64_e64 s[16:17], v[22:23], v[24:25]
	v_cmp_lt_i64_e64 s[12:13], v[22:23], v[24:25]
	s_and_b64 s[16:17], s[16:17], s[44:45]
	s_or_b64 s[48:49], s[12:13], s[16:17]
	s_and_b64 s[12:13], s[48:49], exec
	v_cmp_eq_u64_e64 s[18:19], v[22:23], v[24:25]
	s_or_b64 s[16:17], s[46:47], s[12:13]
	s_and_saveexec_b64 s[46:47], s[18:19]
	s_cbranch_execz .LBB509_1113
; %bb.1115:                             ;   in Loop: Header=BB509_1114 Depth=1
	v_lshl_add_u64 v[20:21], v[20:21], 0, -1
	v_cmp_eq_u64_e64 s[12:13], 0, v[20:21]
	s_andn2_b64 s[18:19], s[42:43], exec
	s_and_b64 s[42:43], s[48:49], exec
	s_or_b64 s[42:43], s[18:19], s[42:43]
	s_andn2_b64 s[18:19], s[36:37], exec
	s_and_b64 s[12:13], s[12:13], exec
	v_lshl_add_u64 v[16:17], v[16:17], 0, 8
	v_lshl_add_u64 v[18:19], v[18:19], 0, 8
	s_andn2_b64 s[16:17], s[16:17], exec
	s_or_b64 s[36:37], s[18:19], s[12:13]
                                        ; implicit-def: $sgpr44_sgpr45
	s_branch .LBB509_1113
.LBB509_1116:
	s_or_b64 exec, exec, s[28:29]
	s_and_b64 s[12:13], s[34:35], exec
.LBB509_1117:
	s_or_b64 exec, exec, s[26:27]
	s_xor_b64 s[12:13], s[12:13], -1
	s_andn2_b64 s[16:17], s[22:23], exec
	s_and_b64 s[12:13], s[12:13], exec
	s_or_b64 s[22:23], s[16:17], s[12:13]
.LBB509_1118:
	s_or_b64 exec, exec, s[24:25]
	v_cndmask_b32_e64 v16, v80, v70, s[22:23]
	v_cndmask_b32_e64 v17, v101, v100, s[22:23]
	v_add_u32_e32 v20, 1, v16
	v_add_u32_e32 v16, -1, v17
	v_min_u32_e32 v16, v20, v16
	v_mov_b32_e32 v17, 0
	v_lshl_add_u64 v[18:19], v[16:17], 3, v[66:67]
	flat_load_dwordx2 v[18:19], v[18:19]
	v_cndmask_b32_e64 v27, v20, v80, s[22:23]
	s_mov_b64 s[24:25], -1
	v_cndmask_b32_e64 v70, v70, v20, s[22:23]
	v_cmp_lt_u32_e64 s[12:13], v27, v101
	s_mov_b64 s[26:27], -1
	s_waitcnt vmcnt(0) lgkmcnt(0)
	v_cndmask_b32_e64 v24, v19, v15, s[22:23]
	v_cndmask_b32_e64 v25, v18, v14, s[22:23]
	;; [unrolled: 1-line block ×4, first 2 shown]
	s_and_saveexec_b64 s[28:29], s[12:13]
	s_cbranch_execz .LBB509_1128
; %bb.1119:
	v_cmp_lt_u32_e64 s[12:13], v70, v100
	s_mov_b64 s[16:17], 0
	s_and_saveexec_b64 s[26:27], s[12:13]
	s_cbranch_execz .LBB509_1127
; %bb.1120:
	s_mov_b64 s[12:13], 0
	s_and_saveexec_b64 s[34:35], s[8:9]
	s_cbranch_execz .LBB509_1126
; %bb.1121:
	v_mul_lo_u32 v16, v26, v6
	v_mul_lo_u32 v20, v80, v7
	v_mad_u64_u32 v[18:19], s[12:13], v80, v6, 0
	v_add3_u32 v19, v19, v20, v16
	v_mul_lo_u32 v16, v24, v6
	v_mul_lo_u32 v22, v25, v7
	v_mad_u64_u32 v[20:21], s[12:13], v25, v6, 0
	v_add3_u32 v21, v21, v22, v16
	v_lshl_add_u64 v[18:19], v[18:19], 3, v[8:9]
	v_lshl_add_u64 v[20:21], v[20:21], 3, v[8:9]
	s_mov_b64 s[36:37], 0
	v_mov_b64_e32 v[22:23], v[6:7]
                                        ; implicit-def: $sgpr42_sgpr43
                                        ; implicit-def: $sgpr44_sgpr45
                                        ; implicit-def: $sgpr46_sgpr47
                                        ; implicit-def: $sgpr16_sgpr17
                                        ; implicit-def: $sgpr48_sgpr49
	s_branch .LBB509_1123
.LBB509_1122:                           ;   in Loop: Header=BB509_1123 Depth=1
	s_or_b64 exec, exec, s[50:51]
	s_and_b64 s[12:13], exec, s[44:45]
	s_or_b64 s[36:37], s[12:13], s[36:37]
	s_andn2_b64 s[12:13], s[48:49], exec
	s_and_b64 s[18:19], s[46:47], exec
	s_or_b64 s[48:49], s[12:13], s[18:19]
	s_andn2_b64 s[12:13], s[42:43], exec
	s_and_b64 s[18:19], s[16:17], exec
	s_or_b64 s[42:43], s[12:13], s[18:19]
	s_andn2_b64 exec, exec, s[36:37]
	s_cbranch_execz .LBB509_1125
.LBB509_1123:                           ; =>This Inner Loop Header: Depth=1
	flat_load_dwordx2 v[82:83], v[20:21]
	flat_load_dwordx2 v[84:85], v[18:19]
	s_andn2_b64 s[50:51], s[16:17], exec
	s_andn2_b64 s[46:47], s[46:47], exec
	s_or_b64 s[44:45], s[44:45], exec
	s_waitcnt vmcnt(0) lgkmcnt(0)
	v_cmp_le_i64_e64 s[16:17], v[82:83], v[84:85]
	v_cmp_lt_i64_e64 s[12:13], v[82:83], v[84:85]
	s_and_b64 s[16:17], s[16:17], s[48:49]
	s_or_b64 s[52:53], s[12:13], s[16:17]
	s_and_b64 s[12:13], s[52:53], exec
	v_cmp_eq_u64_e64 s[18:19], v[82:83], v[84:85]
	s_or_b64 s[16:17], s[50:51], s[12:13]
	s_and_saveexec_b64 s[50:51], s[18:19]
	s_cbranch_execz .LBB509_1122
; %bb.1124:                             ;   in Loop: Header=BB509_1123 Depth=1
	v_lshl_add_u64 v[22:23], v[22:23], 0, -1
	v_cmp_eq_u64_e64 s[12:13], 0, v[22:23]
	s_andn2_b64 s[18:19], s[46:47], exec
	s_and_b64 s[46:47], s[52:53], exec
	s_or_b64 s[46:47], s[18:19], s[46:47]
	s_andn2_b64 s[18:19], s[44:45], exec
	s_and_b64 s[12:13], s[12:13], exec
	v_lshl_add_u64 v[18:19], v[18:19], 0, 8
	v_lshl_add_u64 v[20:21], v[20:21], 0, 8
	s_andn2_b64 s[16:17], s[16:17], exec
	s_or_b64 s[44:45], s[18:19], s[12:13]
                                        ; implicit-def: $sgpr48_sgpr49
	s_branch .LBB509_1122
.LBB509_1125:
	s_or_b64 exec, exec, s[36:37]
	s_and_b64 s[12:13], s[42:43], exec
.LBB509_1126:
	s_or_b64 exec, exec, s[34:35]
	s_xor_b64 s[12:13], s[12:13], -1
	s_and_b64 s[16:17], s[12:13], exec
.LBB509_1127:
	s_or_b64 exec, exec, s[26:27]
	s_orn2_b64 s[26:27], s[16:17], exec
.LBB509_1128:
	s_or_b64 exec, exec, s[28:29]
	v_cndmask_b32_e64 v16, v27, v70, s[26:27]
	v_cndmask_b32_e64 v18, v101, v100, s[26:27]
	v_add_u32_e32 v19, 1, v16
	v_add_u32_e32 v16, -1, v18
	v_min_u32_e32 v16, v19, v16
	v_lshl_add_u64 v[16:17], v[16:17], 3, v[66:67]
	flat_load_dwordx2 v[16:17], v[16:17]
	v_cndmask_b32_e64 v22, v19, v27, s[26:27]
	v_cndmask_b32_e64 v23, v70, v19, s[26:27]
	v_cmp_lt_u32_e64 s[12:13], v22, v101
	s_waitcnt vmcnt(0) lgkmcnt(0)
	v_cndmask_b32_e64 v27, v17, v24, s[26:27]
	v_cndmask_b32_e64 v81, v16, v25, s[26:27]
	;; [unrolled: 1-line block ×4, first 2 shown]
	s_and_saveexec_b64 s[28:29], s[12:13]
	s_cbranch_execz .LBB509_1138
; %bb.1129:
	v_cmp_lt_u32_e64 s[12:13], v23, v100
	s_mov_b64 s[16:17], 0
	s_and_saveexec_b64 s[24:25], s[12:13]
	s_cbranch_execz .LBB509_1137
; %bb.1130:
	s_mov_b64 s[12:13], 0
	s_and_saveexec_b64 s[34:35], s[8:9]
	s_cbranch_execz .LBB509_1136
; %bb.1131:
	v_mul_lo_u32 v18, v82, v6
	v_mul_lo_u32 v19, v83, v7
	v_mad_u64_u32 v[16:17], s[12:13], v83, v6, 0
	v_add3_u32 v17, v17, v19, v18
	v_mul_lo_u32 v20, v27, v6
	v_mul_lo_u32 v21, v81, v7
	v_mad_u64_u32 v[18:19], s[12:13], v81, v6, 0
	v_add3_u32 v19, v19, v21, v20
	v_lshl_add_u64 v[16:17], v[16:17], 3, v[8:9]
	v_lshl_add_u64 v[18:19], v[18:19], 3, v[8:9]
	s_mov_b64 s[36:37], 0
	v_mov_b64_e32 v[20:21], v[6:7]
                                        ; implicit-def: $sgpr42_sgpr43
                                        ; implicit-def: $sgpr44_sgpr45
                                        ; implicit-def: $sgpr46_sgpr47
                                        ; implicit-def: $sgpr16_sgpr17
                                        ; implicit-def: $sgpr48_sgpr49
	s_branch .LBB509_1133
.LBB509_1132:                           ;   in Loop: Header=BB509_1133 Depth=1
	s_or_b64 exec, exec, s[50:51]
	s_and_b64 s[12:13], exec, s[44:45]
	s_or_b64 s[36:37], s[12:13], s[36:37]
	s_andn2_b64 s[12:13], s[48:49], exec
	s_and_b64 s[18:19], s[46:47], exec
	s_or_b64 s[48:49], s[12:13], s[18:19]
	s_andn2_b64 s[12:13], s[42:43], exec
	s_and_b64 s[18:19], s[16:17], exec
	s_or_b64 s[42:43], s[12:13], s[18:19]
	s_andn2_b64 exec, exec, s[36:37]
	s_cbranch_execz .LBB509_1135
.LBB509_1133:                           ; =>This Inner Loop Header: Depth=1
	flat_load_dwordx2 v[70:71], v[18:19]
	flat_load_dwordx2 v[84:85], v[16:17]
	s_andn2_b64 s[50:51], s[16:17], exec
	s_andn2_b64 s[46:47], s[46:47], exec
	s_or_b64 s[44:45], s[44:45], exec
	s_waitcnt vmcnt(0) lgkmcnt(0)
	v_cmp_le_i64_e64 s[16:17], v[70:71], v[84:85]
	v_cmp_lt_i64_e64 s[12:13], v[70:71], v[84:85]
	s_and_b64 s[16:17], s[16:17], s[48:49]
	s_or_b64 s[52:53], s[12:13], s[16:17]
	s_and_b64 s[12:13], s[52:53], exec
	v_cmp_eq_u64_e64 s[18:19], v[70:71], v[84:85]
	s_or_b64 s[16:17], s[50:51], s[12:13]
	s_and_saveexec_b64 s[50:51], s[18:19]
	s_cbranch_execz .LBB509_1132
; %bb.1134:                             ;   in Loop: Header=BB509_1133 Depth=1
	v_lshl_add_u64 v[20:21], v[20:21], 0, -1
	v_cmp_eq_u64_e64 s[12:13], 0, v[20:21]
	s_andn2_b64 s[18:19], s[46:47], exec
	s_and_b64 s[46:47], s[52:53], exec
	s_or_b64 s[46:47], s[18:19], s[46:47]
	s_andn2_b64 s[18:19], s[44:45], exec
	s_and_b64 s[12:13], s[12:13], exec
	v_lshl_add_u64 v[16:17], v[16:17], 0, 8
	v_lshl_add_u64 v[18:19], v[18:19], 0, 8
	s_andn2_b64 s[16:17], s[16:17], exec
	s_or_b64 s[44:45], s[18:19], s[12:13]
                                        ; implicit-def: $sgpr48_sgpr49
	s_branch .LBB509_1132
.LBB509_1135:
	s_or_b64 exec, exec, s[36:37]
	s_and_b64 s[12:13], s[42:43], exec
.LBB509_1136:
	s_or_b64 exec, exec, s[34:35]
	s_xor_b64 s[12:13], s[12:13], -1
	s_and_b64 s[16:17], s[12:13], exec
.LBB509_1137:
	s_or_b64 exec, exec, s[24:25]
	s_orn2_b64 s[24:25], s[16:17], exec
.LBB509_1138:
	s_or_b64 exec, exec, s[28:29]
	v_cndmask_b32_e64 v16, v22, v23, s[24:25]
	v_cndmask_b32_e64 v17, v101, v100, s[24:25]
	v_add_u32_e32 v20, 1, v16
	v_add_u32_e32 v16, -1, v17
	v_min_u32_e32 v16, v20, v16
	v_mov_b32_e32 v17, 0
	v_lshl_add_u64 v[18:19], v[16:17], 3, v[66:67]
	flat_load_dwordx2 v[18:19], v[18:19]
	v_cndmask_b32_e64 v70, v20, v22, s[24:25]
	s_mov_b64 s[28:29], -1
	v_cndmask_b32_e64 v71, v23, v20, s[24:25]
	v_cmp_lt_u32_e64 s[12:13], v70, v101
	s_mov_b64 s[34:35], -1
	s_waitcnt vmcnt(0) lgkmcnt(0)
	v_cndmask_b32_e64 v84, v19, v27, s[24:25]
	v_cndmask_b32_e64 v85, v18, v81, s[24:25]
	v_cndmask_b32_e64 v86, v82, v19, s[24:25]
	v_cndmask_b32_e64 v87, v83, v18, s[24:25]
	s_and_saveexec_b64 s[36:37], s[12:13]
	s_cbranch_execz .LBB509_1148
; %bb.1139:
	v_cmp_lt_u32_e64 s[12:13], v71, v100
	s_mov_b64 s[16:17], 0
	s_and_saveexec_b64 s[34:35], s[12:13]
	s_cbranch_execz .LBB509_1147
; %bb.1140:
	s_mov_b64 s[12:13], -1
	s_and_saveexec_b64 s[42:43], s[8:9]
	s_cbranch_execz .LBB509_1146
; %bb.1141:
	v_mul_lo_u32 v16, v86, v6
	v_mul_lo_u32 v20, v87, v7
	v_mad_u64_u32 v[18:19], s[12:13], v87, v6, 0
	v_add3_u32 v19, v19, v20, v16
	v_mul_lo_u32 v16, v84, v6
	v_mul_lo_u32 v22, v85, v7
	v_mad_u64_u32 v[20:21], s[12:13], v85, v6, 0
	v_add3_u32 v21, v21, v22, v16
	v_lshl_add_u64 v[18:19], v[18:19], 3, v[8:9]
	v_lshl_add_u64 v[20:21], v[20:21], 3, v[8:9]
	s_mov_b64 s[44:45], 0
	v_mov_b64_e32 v[22:23], v[6:7]
                                        ; implicit-def: $sgpr46_sgpr47
                                        ; implicit-def: $sgpr48_sgpr49
                                        ; implicit-def: $sgpr16_sgpr17
                                        ; implicit-def: $sgpr50_sgpr51
                                        ; implicit-def: $sgpr52_sgpr53
	s_branch .LBB509_1143
.LBB509_1142:                           ;   in Loop: Header=BB509_1143 Depth=1
	s_or_b64 exec, exec, s[54:55]
	s_and_b64 s[12:13], exec, s[48:49]
	s_or_b64 s[44:45], s[12:13], s[44:45]
	s_andn2_b64 s[12:13], s[52:53], exec
	s_and_b64 s[18:19], s[50:51], exec
	s_or_b64 s[52:53], s[12:13], s[18:19]
	s_andn2_b64 s[12:13], s[46:47], exec
	s_and_b64 s[18:19], s[16:17], exec
	s_or_b64 s[46:47], s[12:13], s[18:19]
	s_andn2_b64 exec, exec, s[44:45]
	s_cbranch_execz .LBB509_1145
.LBB509_1143:                           ; =>This Inner Loop Header: Depth=1
	flat_load_dwordx2 v[96:97], v[20:21]
	flat_load_dwordx2 v[98:99], v[18:19]
	s_andn2_b64 s[54:55], s[16:17], exec
	s_andn2_b64 s[50:51], s[50:51], exec
	s_or_b64 s[48:49], s[48:49], exec
	s_waitcnt vmcnt(0) lgkmcnt(0)
	v_cmp_le_i64_e64 s[16:17], v[96:97], v[98:99]
	v_cmp_lt_i64_e64 s[12:13], v[96:97], v[98:99]
	s_and_b64 s[16:17], s[16:17], s[52:53]
	s_or_b64 s[56:57], s[12:13], s[16:17]
	s_and_b64 s[12:13], s[56:57], exec
	v_cmp_eq_u64_e64 s[18:19], v[96:97], v[98:99]
	s_or_b64 s[16:17], s[54:55], s[12:13]
	s_and_saveexec_b64 s[54:55], s[18:19]
	s_cbranch_execz .LBB509_1142
; %bb.1144:                             ;   in Loop: Header=BB509_1143 Depth=1
	v_lshl_add_u64 v[22:23], v[22:23], 0, -1
	v_cmp_eq_u64_e64 s[12:13], 0, v[22:23]
	s_andn2_b64 s[18:19], s[50:51], exec
	s_and_b64 s[50:51], s[56:57], exec
	s_or_b64 s[50:51], s[18:19], s[50:51]
	s_andn2_b64 s[18:19], s[48:49], exec
	s_and_b64 s[12:13], s[12:13], exec
	v_lshl_add_u64 v[18:19], v[18:19], 0, 8
	v_lshl_add_u64 v[20:21], v[20:21], 0, 8
	s_andn2_b64 s[16:17], s[16:17], exec
	s_or_b64 s[48:49], s[18:19], s[12:13]
                                        ; implicit-def: $sgpr52_sgpr53
	s_branch .LBB509_1142
.LBB509_1145:
	s_or_b64 exec, exec, s[44:45]
	s_xor_b64 s[12:13], s[46:47], -1
	s_orn2_b64 s[12:13], s[12:13], exec
.LBB509_1146:
	s_or_b64 exec, exec, s[42:43]
	s_and_b64 s[16:17], s[12:13], exec
.LBB509_1147:
	s_or_b64 exec, exec, s[34:35]
	s_orn2_b64 s[34:35], s[16:17], exec
.LBB509_1148:
	s_or_b64 exec, exec, s[36:37]
	v_cndmask_b32_e64 v16, v70, v71, s[34:35]
	v_cndmask_b32_e64 v18, v101, v100, s[34:35]
	v_add_u32_e32 v19, 1, v16
	v_add_u32_e32 v16, -1, v18
	v_min_u32_e32 v16, v19, v16
	v_lshl_add_u64 v[16:17], v[16:17], 3, v[66:67]
	flat_load_dwordx2 v[16:17], v[16:17]
	v_cndmask_b32_e64 v22, v19, v70, s[34:35]
	v_cndmask_b32_e64 v23, v71, v19, s[34:35]
	v_cmp_lt_u32_e64 s[12:13], v22, v101
	s_waitcnt vmcnt(0) lgkmcnt(0)
	v_cndmask_b32_e64 v96, v17, v84, s[34:35]
	v_cndmask_b32_e64 v97, v16, v85, s[34:35]
	;; [unrolled: 1-line block ×4, first 2 shown]
	s_and_saveexec_b64 s[36:37], s[12:13]
	s_cbranch_execz .LBB509_1158
; %bb.1149:
	v_cmp_lt_u32_e64 s[12:13], v23, v100
	s_mov_b64 s[16:17], 0
	s_and_saveexec_b64 s[28:29], s[12:13]
	s_cbranch_execz .LBB509_1157
; %bb.1150:
	s_mov_b64 s[12:13], -1
	s_and_saveexec_b64 s[42:43], s[8:9]
	s_cbranch_execz .LBB509_1156
; %bb.1151:
	v_mul_lo_u32 v18, v98, v6
	v_mul_lo_u32 v19, v99, v7
	v_mad_u64_u32 v[16:17], s[12:13], v99, v6, 0
	v_add3_u32 v17, v17, v19, v18
	v_mul_lo_u32 v20, v96, v6
	v_mul_lo_u32 v21, v97, v7
	v_mad_u64_u32 v[18:19], s[12:13], v97, v6, 0
	v_add3_u32 v19, v19, v21, v20
	v_lshl_add_u64 v[16:17], v[16:17], 3, v[8:9]
	v_lshl_add_u64 v[18:19], v[18:19], 3, v[8:9]
	s_mov_b64 s[44:45], 0
	v_mov_b64_e32 v[20:21], v[6:7]
                                        ; implicit-def: $sgpr46_sgpr47
                                        ; implicit-def: $sgpr48_sgpr49
                                        ; implicit-def: $sgpr16_sgpr17
                                        ; implicit-def: $sgpr50_sgpr51
                                        ; implicit-def: $sgpr52_sgpr53
	s_branch .LBB509_1153
.LBB509_1152:                           ;   in Loop: Header=BB509_1153 Depth=1
	s_or_b64 exec, exec, s[54:55]
	s_and_b64 s[12:13], exec, s[48:49]
	s_or_b64 s[44:45], s[12:13], s[44:45]
	s_andn2_b64 s[12:13], s[52:53], exec
	s_and_b64 s[18:19], s[50:51], exec
	s_or_b64 s[52:53], s[12:13], s[18:19]
	s_andn2_b64 s[12:13], s[46:47], exec
	s_and_b64 s[18:19], s[16:17], exec
	s_or_b64 s[46:47], s[12:13], s[18:19]
	s_andn2_b64 exec, exec, s[44:45]
	s_cbranch_execz .LBB509_1155
.LBB509_1153:                           ; =>This Inner Loop Header: Depth=1
	flat_load_dwordx2 v[70:71], v[18:19]
	flat_load_dwordx2 v[102:103], v[16:17]
	s_andn2_b64 s[54:55], s[16:17], exec
	s_andn2_b64 s[50:51], s[50:51], exec
	s_or_b64 s[48:49], s[48:49], exec
	s_waitcnt vmcnt(0) lgkmcnt(0)
	v_cmp_le_i64_e64 s[16:17], v[70:71], v[102:103]
	v_cmp_lt_i64_e64 s[12:13], v[70:71], v[102:103]
	s_and_b64 s[16:17], s[16:17], s[52:53]
	s_or_b64 s[56:57], s[12:13], s[16:17]
	s_and_b64 s[12:13], s[56:57], exec
	v_cmp_eq_u64_e64 s[18:19], v[70:71], v[102:103]
	s_or_b64 s[16:17], s[54:55], s[12:13]
	s_and_saveexec_b64 s[54:55], s[18:19]
	s_cbranch_execz .LBB509_1152
; %bb.1154:                             ;   in Loop: Header=BB509_1153 Depth=1
	v_lshl_add_u64 v[20:21], v[20:21], 0, -1
	v_cmp_eq_u64_e64 s[12:13], 0, v[20:21]
	s_andn2_b64 s[18:19], s[50:51], exec
	s_and_b64 s[50:51], s[56:57], exec
	s_or_b64 s[50:51], s[18:19], s[50:51]
	s_andn2_b64 s[18:19], s[48:49], exec
	s_and_b64 s[12:13], s[12:13], exec
	v_lshl_add_u64 v[16:17], v[16:17], 0, 8
	v_lshl_add_u64 v[18:19], v[18:19], 0, 8
	s_andn2_b64 s[16:17], s[16:17], exec
	s_or_b64 s[48:49], s[18:19], s[12:13]
                                        ; implicit-def: $sgpr52_sgpr53
	s_branch .LBB509_1152
.LBB509_1155:
	s_or_b64 exec, exec, s[44:45]
	s_xor_b64 s[12:13], s[46:47], -1
	s_orn2_b64 s[12:13], s[12:13], exec
.LBB509_1156:
	s_or_b64 exec, exec, s[42:43]
	s_and_b64 s[16:17], s[12:13], exec
.LBB509_1157:
	s_or_b64 exec, exec, s[28:29]
	s_orn2_b64 s[28:29], s[16:17], exec
.LBB509_1158:
	s_or_b64 exec, exec, s[36:37]
	v_cndmask_b32_e64 v16, v22, v23, s[28:29]
	v_cndmask_b32_e64 v17, v101, v100, s[28:29]
	v_add_u32_e32 v20, 1, v16
	v_add_u32_e32 v16, -1, v17
	v_min_u32_e32 v16, v20, v16
	v_mov_b32_e32 v17, 0
	v_lshl_add_u64 v[18:19], v[16:17], 3, v[66:67]
	flat_load_dwordx2 v[18:19], v[18:19]
	v_cndmask_b32_e64 v70, v20, v22, s[28:29]
	s_mov_b64 s[36:37], -1
	v_cndmask_b32_e64 v71, v23, v20, s[28:29]
	v_cmp_lt_u32_e64 s[12:13], v70, v101
	s_mov_b64 s[42:43], -1
	s_waitcnt vmcnt(0) lgkmcnt(0)
	v_cndmask_b32_e64 v102, v19, v96, s[28:29]
	v_cndmask_b32_e64 v103, v18, v97, s[28:29]
	;; [unrolled: 1-line block ×4, first 2 shown]
	s_and_saveexec_b64 s[44:45], s[12:13]
	s_cbranch_execz .LBB509_1168
; %bb.1159:
	v_cmp_lt_u32_e64 s[12:13], v71, v100
	s_mov_b64 s[16:17], 0
	s_and_saveexec_b64 s[42:43], s[12:13]
	s_cbranch_execz .LBB509_1167
; %bb.1160:
	s_mov_b64 s[12:13], -1
	s_and_saveexec_b64 s[46:47], s[8:9]
	s_cbranch_execz .LBB509_1166
; %bb.1161:
	v_mul_lo_u32 v16, v112, v6
	v_mul_lo_u32 v20, v113, v7
	v_mad_u64_u32 v[18:19], s[12:13], v113, v6, 0
	v_add3_u32 v19, v19, v20, v16
	v_mul_lo_u32 v16, v102, v6
	v_mul_lo_u32 v22, v103, v7
	v_mad_u64_u32 v[20:21], s[12:13], v103, v6, 0
	v_add3_u32 v21, v21, v22, v16
	v_lshl_add_u64 v[18:19], v[18:19], 3, v[8:9]
	v_lshl_add_u64 v[20:21], v[20:21], 3, v[8:9]
	s_mov_b64 s[48:49], 0
	v_mov_b64_e32 v[22:23], v[6:7]
                                        ; implicit-def: $sgpr50_sgpr51
                                        ; implicit-def: $sgpr52_sgpr53
                                        ; implicit-def: $sgpr16_sgpr17
                                        ; implicit-def: $sgpr54_sgpr55
                                        ; implicit-def: $sgpr56_sgpr57
	s_branch .LBB509_1163
.LBB509_1162:                           ;   in Loop: Header=BB509_1163 Depth=1
	s_or_b64 exec, exec, s[58:59]
	s_and_b64 s[12:13], exec, s[52:53]
	s_or_b64 s[48:49], s[12:13], s[48:49]
	s_andn2_b64 s[12:13], s[56:57], exec
	s_and_b64 s[18:19], s[54:55], exec
	s_or_b64 s[56:57], s[12:13], s[18:19]
	s_andn2_b64 s[12:13], s[50:51], exec
	s_and_b64 s[18:19], s[16:17], exec
	s_or_b64 s[50:51], s[12:13], s[18:19]
	s_andn2_b64 exec, exec, s[48:49]
	s_cbranch_execz .LBB509_1165
.LBB509_1163:                           ; =>This Inner Loop Header: Depth=1
	flat_load_dwordx2 v[114:115], v[20:21]
	flat_load_dwordx2 v[116:117], v[18:19]
	s_andn2_b64 s[58:59], s[16:17], exec
	s_andn2_b64 s[54:55], s[54:55], exec
	s_or_b64 s[52:53], s[52:53], exec
	s_waitcnt vmcnt(0) lgkmcnt(0)
	v_cmp_le_i64_e64 s[16:17], v[114:115], v[116:117]
	v_cmp_lt_i64_e64 s[12:13], v[114:115], v[116:117]
	s_and_b64 s[16:17], s[16:17], s[56:57]
	s_or_b64 s[60:61], s[12:13], s[16:17]
	s_and_b64 s[12:13], s[60:61], exec
	v_cmp_eq_u64_e64 s[18:19], v[114:115], v[116:117]
	s_or_b64 s[16:17], s[58:59], s[12:13]
	s_and_saveexec_b64 s[58:59], s[18:19]
	s_cbranch_execz .LBB509_1162
; %bb.1164:                             ;   in Loop: Header=BB509_1163 Depth=1
	v_lshl_add_u64 v[22:23], v[22:23], 0, -1
	v_cmp_eq_u64_e64 s[12:13], 0, v[22:23]
	s_andn2_b64 s[18:19], s[54:55], exec
	s_and_b64 s[54:55], s[60:61], exec
	s_or_b64 s[54:55], s[18:19], s[54:55]
	s_andn2_b64 s[18:19], s[52:53], exec
	s_and_b64 s[12:13], s[12:13], exec
	v_lshl_add_u64 v[18:19], v[18:19], 0, 8
	v_lshl_add_u64 v[20:21], v[20:21], 0, 8
	s_andn2_b64 s[16:17], s[16:17], exec
	s_or_b64 s[52:53], s[18:19], s[12:13]
                                        ; implicit-def: $sgpr56_sgpr57
	s_branch .LBB509_1162
.LBB509_1165:
	s_or_b64 exec, exec, s[48:49]
	s_xor_b64 s[12:13], s[50:51], -1
	s_orn2_b64 s[12:13], s[12:13], exec
.LBB509_1166:
	s_or_b64 exec, exec, s[46:47]
	s_and_b64 s[16:17], s[12:13], exec
.LBB509_1167:
	s_or_b64 exec, exec, s[42:43]
	s_orn2_b64 s[42:43], s[16:17], exec
.LBB509_1168:
	s_or_b64 exec, exec, s[44:45]
	v_cndmask_b32_e64 v16, v70, v71, s[42:43]
	v_cndmask_b32_e64 v18, v101, v100, s[42:43]
	v_add_u32_e32 v19, 1, v16
	v_add_u32_e32 v16, -1, v18
	v_min_u32_e32 v16, v19, v16
	v_lshl_add_u64 v[16:17], v[16:17], 3, v[66:67]
	flat_load_dwordx2 v[16:17], v[16:17]
	v_cndmask_b32_e64 v117, v19, v70, s[42:43]
	v_cndmask_b32_e64 v114, v71, v19, s[42:43]
	v_cmp_lt_u32_e64 s[12:13], v117, v101
	s_waitcnt vmcnt(0) lgkmcnt(0)
	v_cndmask_b32_e64 v115, v17, v102, s[42:43]
	v_cndmask_b32_e64 v116, v16, v103, s[42:43]
	;; [unrolled: 1-line block ×4, first 2 shown]
	s_and_saveexec_b64 s[44:45], s[12:13]
	s_cbranch_execz .LBB509_1178
; %bb.1169:
	v_cmp_lt_u32_e64 s[12:13], v114, v100
	s_mov_b64 s[16:17], 0
	s_and_saveexec_b64 s[36:37], s[12:13]
	s_cbranch_execz .LBB509_1177
; %bb.1170:
	s_mov_b64 s[12:13], -1
	s_and_saveexec_b64 s[46:47], s[8:9]
	s_cbranch_execz .LBB509_1176
; %bb.1171:
	v_mul_lo_u32 v18, v118, v6
	v_mul_lo_u32 v19, v119, v7
	v_mad_u64_u32 v[16:17], s[12:13], v119, v6, 0
	v_add3_u32 v17, v17, v19, v18
	v_mul_lo_u32 v20, v115, v6
	v_mul_lo_u32 v21, v116, v7
	v_mad_u64_u32 v[18:19], s[12:13], v116, v6, 0
	v_add3_u32 v19, v19, v21, v20
	v_lshl_add_u64 v[16:17], v[16:17], 3, v[8:9]
	v_lshl_add_u64 v[18:19], v[18:19], 3, v[8:9]
	s_mov_b64 s[48:49], 0
	v_mov_b64_e32 v[20:21], v[6:7]
                                        ; implicit-def: $sgpr50_sgpr51
                                        ; implicit-def: $sgpr52_sgpr53
                                        ; implicit-def: $sgpr16_sgpr17
                                        ; implicit-def: $sgpr54_sgpr55
                                        ; implicit-def: $sgpr56_sgpr57
	s_branch .LBB509_1173
.LBB509_1172:                           ;   in Loop: Header=BB509_1173 Depth=1
	s_or_b64 exec, exec, s[58:59]
	s_and_b64 s[12:13], exec, s[52:53]
	s_or_b64 s[48:49], s[12:13], s[48:49]
	s_andn2_b64 s[12:13], s[56:57], exec
	s_and_b64 s[18:19], s[54:55], exec
	s_or_b64 s[56:57], s[12:13], s[18:19]
	s_andn2_b64 s[12:13], s[50:51], exec
	s_and_b64 s[18:19], s[16:17], exec
	s_or_b64 s[50:51], s[12:13], s[18:19]
	s_andn2_b64 exec, exec, s[48:49]
	s_cbranch_execz .LBB509_1175
.LBB509_1173:                           ; =>This Inner Loop Header: Depth=1
	flat_load_dwordx2 v[22:23], v[18:19]
	flat_load_dwordx2 v[70:71], v[16:17]
	s_andn2_b64 s[58:59], s[16:17], exec
	s_andn2_b64 s[54:55], s[54:55], exec
	s_or_b64 s[52:53], s[52:53], exec
	s_waitcnt vmcnt(0) lgkmcnt(0)
	v_cmp_le_i64_e64 s[16:17], v[22:23], v[70:71]
	v_cmp_lt_i64_e64 s[12:13], v[22:23], v[70:71]
	s_and_b64 s[16:17], s[16:17], s[56:57]
	s_or_b64 s[60:61], s[12:13], s[16:17]
	s_and_b64 s[12:13], s[60:61], exec
	v_cmp_eq_u64_e64 s[18:19], v[22:23], v[70:71]
	s_or_b64 s[16:17], s[58:59], s[12:13]
	s_and_saveexec_b64 s[58:59], s[18:19]
	s_cbranch_execz .LBB509_1172
; %bb.1174:                             ;   in Loop: Header=BB509_1173 Depth=1
	v_lshl_add_u64 v[20:21], v[20:21], 0, -1
	v_cmp_eq_u64_e64 s[12:13], 0, v[20:21]
	s_andn2_b64 s[18:19], s[54:55], exec
	s_and_b64 s[54:55], s[60:61], exec
	s_or_b64 s[54:55], s[18:19], s[54:55]
	s_andn2_b64 s[18:19], s[52:53], exec
	s_and_b64 s[12:13], s[12:13], exec
	v_lshl_add_u64 v[16:17], v[16:17], 0, 8
	v_lshl_add_u64 v[18:19], v[18:19], 0, 8
	s_andn2_b64 s[16:17], s[16:17], exec
	s_or_b64 s[52:53], s[18:19], s[12:13]
                                        ; implicit-def: $sgpr56_sgpr57
	s_branch .LBB509_1172
.LBB509_1175:
	s_or_b64 exec, exec, s[48:49]
	s_xor_b64 s[12:13], s[50:51], -1
	s_orn2_b64 s[12:13], s[12:13], exec
.LBB509_1176:
	s_or_b64 exec, exec, s[46:47]
	s_and_b64 s[16:17], s[12:13], exec
.LBB509_1177:
	s_or_b64 exec, exec, s[36:37]
	s_orn2_b64 s[36:37], s[16:17], exec
.LBB509_1178:
	s_or_b64 exec, exec, s[44:45]
	v_cndmask_b32_e64 v16, v117, v114, s[36:37]
	v_cndmask_b32_e64 v17, v101, v100, s[36:37]
	v_add_u32_e32 v128, 1, v16
	v_add_u32_e32 v16, -1, v17
	v_min_u32_e32 v16, v128, v16
	v_mov_b32_e32 v17, 0
	v_lshl_add_u64 v[16:17], v[16:17], 3, v[66:67]
	flat_load_dwordx2 v[70:71], v[16:17]
	v_cndmask_b32_e64 v21, v27, v82, s[24:25]
	v_cndmask_b32_e64 v27, v24, v26, s[26:27]
	;; [unrolled: 1-line block ×15, first 2 shown]
	v_cmp_lt_u32_e64 s[12:13], v80, v101
	s_waitcnt vmcnt(0) lgkmcnt(0)
	v_cndmask_b32_e64 v15, v118, v71, s[36:37]
	v_cndmask_b32_e64 v14, v119, v70, s[36:37]
	s_and_saveexec_b64 s[22:23], s[12:13]
	s_cbranch_execz .LBB509_1188
; %bb.1179:
	v_cndmask_b32_e64 v80, v114, v128, s[36:37]
	v_cndmask_b32_e64 v71, v71, v115, s[36:37]
	v_cndmask_b32_e64 v70, v70, v116, s[36:37]
	v_cmp_lt_u32_e64 s[12:13], v80, v100
	s_and_saveexec_b64 s[24:25], s[12:13]
	s_cbranch_execz .LBB509_1187
; %bb.1180:
	s_and_saveexec_b64 s[26:27], s[8:9]
	s_cbranch_execz .LBB509_1186
; %bb.1181:
	v_mul_lo_u32 v82, v15, v6
	v_mul_lo_u32 v83, v14, v7
	v_mad_u64_u32 v[80:81], s[12:13], v14, v6, 0
	v_add3_u32 v81, v81, v83, v82
	v_mul_lo_u32 v84, v71, v6
	v_mul_lo_u32 v85, v70, v7
	v_mad_u64_u32 v[82:83], s[12:13], v70, v6, 0
	v_add3_u32 v83, v83, v85, v84
	v_lshl_add_u64 v[80:81], v[80:81], 3, v[8:9]
	v_lshl_add_u64 v[82:83], v[82:83], 3, v[8:9]
	s_mov_b64 s[28:29], 0
	v_mov_b64_e32 v[84:85], v[6:7]
                                        ; implicit-def: $sgpr34_sgpr35
                                        ; implicit-def: $sgpr36_sgpr37
                                        ; implicit-def: $sgpr16_sgpr17
                                        ; implicit-def: $sgpr42_sgpr43
                                        ; implicit-def: $sgpr44_sgpr45
	s_branch .LBB509_1183
.LBB509_1182:                           ;   in Loop: Header=BB509_1183 Depth=1
	s_or_b64 exec, exec, s[46:47]
	s_and_b64 s[12:13], exec, s[36:37]
	s_or_b64 s[28:29], s[12:13], s[28:29]
	s_andn2_b64 s[12:13], s[44:45], exec
	s_and_b64 s[18:19], s[42:43], exec
	s_or_b64 s[44:45], s[12:13], s[18:19]
	s_andn2_b64 s[12:13], s[34:35], exec
	s_and_b64 s[18:19], s[16:17], exec
	s_or_b64 s[34:35], s[12:13], s[18:19]
	s_andn2_b64 exec, exec, s[28:29]
	s_cbranch_execz .LBB509_1185
.LBB509_1183:                           ; =>This Inner Loop Header: Depth=1
	flat_load_dwordx2 v[86:87], v[82:83]
	flat_load_dwordx2 v[96:97], v[80:81]
	s_andn2_b64 s[46:47], s[16:17], exec
	s_andn2_b64 s[42:43], s[42:43], exec
	s_or_b64 s[36:37], s[36:37], exec
	s_waitcnt vmcnt(0) lgkmcnt(0)
	v_cmp_le_i64_e64 s[16:17], v[86:87], v[96:97]
	v_cmp_lt_i64_e64 s[12:13], v[86:87], v[96:97]
	s_and_b64 s[16:17], s[16:17], s[44:45]
	s_or_b64 s[48:49], s[12:13], s[16:17]
	s_and_b64 s[12:13], s[48:49], exec
	v_cmp_eq_u64_e64 s[18:19], v[86:87], v[96:97]
	s_or_b64 s[16:17], s[46:47], s[12:13]
	s_and_saveexec_b64 s[46:47], s[18:19]
	s_cbranch_execz .LBB509_1182
; %bb.1184:                             ;   in Loop: Header=BB509_1183 Depth=1
	v_lshl_add_u64 v[84:85], v[84:85], 0, -1
	v_cmp_eq_u64_e64 s[12:13], 0, v[84:85]
	s_andn2_b64 s[18:19], s[42:43], exec
	s_and_b64 s[42:43], s[48:49], exec
	s_or_b64 s[42:43], s[18:19], s[42:43]
	s_andn2_b64 s[18:19], s[36:37], exec
	s_and_b64 s[12:13], s[12:13], exec
	v_lshl_add_u64 v[80:81], v[80:81], 0, 8
	v_lshl_add_u64 v[82:83], v[82:83], 0, 8
	s_andn2_b64 s[16:17], s[16:17], exec
	s_or_b64 s[36:37], s[18:19], s[12:13]
                                        ; implicit-def: $sgpr44_sgpr45
	s_branch .LBB509_1182
.LBB509_1185:
	s_or_b64 exec, exec, s[28:29]
	v_cndmask_b32_e64 v15, v15, v71, s[34:35]
	v_cndmask_b32_e64 v14, v14, v70, s[34:35]
.LBB509_1186:
	s_or_b64 exec, exec, s[26:27]
	v_mov_b64_e32 v[70:71], v[14:15]
.LBB509_1187:
	s_or_b64 exec, exec, s[24:25]
	v_mov_b64_e32 v[14:15], v[70:71]
.LBB509_1188:
	s_or_b64 exec, exec, s[22:23]
.LBB509_1189:
	s_or_b64 exec, exec, s[20:21]
	v_and_b32_e32 v102, 0x3c0, v31
	v_or_b32_e32 v70, 32, v102
	v_min_u32_e32 v100, v1, v70
	v_add_u32_e32 v70, 32, v100
	v_min_u32_e32 v101, v1, v70
	v_and_b32_e32 v70, 56, v31
	v_min_u32_e32 v103, v1, v70
	v_sub_u32_e32 v70, v100, v102
	v_sub_u32_e32 v71, v101, v100
	v_sub_u32_e64 v112, v103, v71 clamp
	v_min_u32_e32 v113, v103, v70
	v_cmp_lt_u32_e64 s[12:13], v112, v113
	; wave barrier
	flat_store_dwordx4 v[68:69], v[24:27]
	flat_store_dwordx4 v[68:69], v[20:23] offset:16
	flat_store_dwordx4 v[68:69], v[16:19] offset:32
	;; [unrolled: 1-line block ×3, first 2 shown]
	; wave barrier
	s_and_saveexec_b64 s[20:21], s[12:13]
	s_cbranch_execz .LBB509_1199
; %bb.1190:
	v_lshlrev_b32_e32 v70, 3, v102
	v_mov_b32_e32 v71, 0
	v_lshl_add_u64 v[80:81], v[66:67], 0, v[70:71]
	v_lshlrev_b32_e32 v70, 3, v100
	v_lshl_add_u64 v[82:83], v[66:67], 0, v[70:71]
	s_mov_b64 s[22:23], 0
	s_branch .LBB509_1193
.LBB509_1191:                           ;   in Loop: Header=BB509_1193 Depth=1
	s_or_b64 exec, exec, s[26:27]
	s_and_b64 s[12:13], s[28:29], exec
.LBB509_1192:                           ;   in Loop: Header=BB509_1193 Depth=1
	s_or_b64 exec, exec, s[24:25]
	v_add_u32_e32 v70, 1, v84
	v_cndmask_b32_e64 v113, v113, v84, s[12:13]
	v_cndmask_b32_e64 v112, v70, v112, s[12:13]
	v_cmp_ge_u32_e64 s[12:13], v112, v113
	s_or_b64 s[22:23], s[12:13], s[22:23]
	s_andn2_b64 exec, exec, s[22:23]
	s_cbranch_execz .LBB509_1198
.LBB509_1193:                           ; =>This Loop Header: Depth=1
                                        ;     Child Loop BB509_1196 Depth 2
	v_add_u32_e32 v70, v113, v112
	v_lshrrev_b32_e32 v84, 1, v70
	s_mov_b64 s[12:13], 0
	s_and_saveexec_b64 s[24:25], s[8:9]
	s_cbranch_execz .LBB509_1192
; %bb.1194:                             ;   in Loop: Header=BB509_1193 Depth=1
	v_mov_b32_e32 v85, v71
	v_xad_u32 v70, v84, -1, v103
	v_lshl_add_u64 v[86:87], v[84:85], 3, v[80:81]
	v_lshl_add_u64 v[96:97], v[70:71], 3, v[82:83]
	flat_load_dwordx2 v[86:87], v[86:87]
	s_mov_b64 s[26:27], 0
	flat_load_dwordx2 v[96:97], v[96:97]
                                        ; implicit-def: $sgpr28_sgpr29
                                        ; implicit-def: $sgpr34_sgpr35
                                        ; implicit-def: $sgpr36_sgpr37
                                        ; implicit-def: $sgpr16_sgpr17
                                        ; implicit-def: $sgpr42_sgpr43
	s_waitcnt vmcnt(0) lgkmcnt(0)
	v_mul_lo_u32 v70, v64, v87
	v_mul_lo_u32 v85, v65, v86
	v_mad_u64_u32 v[86:87], s[12:13], v64, v86, v[8:9]
	v_mul_lo_u32 v98, v64, v97
	v_mul_lo_u32 v99, v65, v96
	v_mad_u64_u32 v[96:97], s[12:13], v64, v96, v[8:9]
	v_add3_u32 v87, v85, v87, v70
	v_add3_u32 v97, v99, v97, v98
	v_mov_b64_e32 v[98:99], v[6:7]
	s_branch .LBB509_1196
.LBB509_1195:                           ;   in Loop: Header=BB509_1196 Depth=2
	s_or_b64 exec, exec, s[44:45]
	s_and_b64 s[12:13], exec, s[34:35]
	s_or_b64 s[26:27], s[12:13], s[26:27]
	s_andn2_b64 s[12:13], s[42:43], exec
	s_and_b64 s[18:19], s[36:37], exec
	s_or_b64 s[42:43], s[12:13], s[18:19]
	s_andn2_b64 s[12:13], s[28:29], exec
	s_and_b64 s[18:19], s[16:17], exec
	s_or_b64 s[28:29], s[12:13], s[18:19]
	s_andn2_b64 exec, exec, s[26:27]
	s_cbranch_execz .LBB509_1191
.LBB509_1196:                           ;   Parent Loop BB509_1193 Depth=1
                                        ; =>  This Inner Loop Header: Depth=2
	flat_load_dwordx2 v[114:115], v[96:97]
	flat_load_dwordx2 v[116:117], v[86:87]
	s_andn2_b64 s[44:45], s[16:17], exec
	s_andn2_b64 s[36:37], s[36:37], exec
	s_or_b64 s[34:35], s[34:35], exec
	s_waitcnt vmcnt(0) lgkmcnt(0)
	v_cmp_le_i64_e64 s[16:17], v[114:115], v[116:117]
	v_cmp_lt_i64_e64 s[12:13], v[114:115], v[116:117]
	s_and_b64 s[16:17], s[16:17], s[42:43]
	s_or_b64 s[46:47], s[12:13], s[16:17]
	s_and_b64 s[12:13], s[46:47], exec
	v_cmp_eq_u64_e64 s[18:19], v[114:115], v[116:117]
	s_or_b64 s[16:17], s[44:45], s[12:13]
	s_and_saveexec_b64 s[44:45], s[18:19]
	s_cbranch_execz .LBB509_1195
; %bb.1197:                             ;   in Loop: Header=BB509_1196 Depth=2
	v_lshl_add_u64 v[98:99], v[98:99], 0, -1
	v_cmp_eq_u64_e64 s[12:13], 0, v[98:99]
	s_andn2_b64 s[18:19], s[36:37], exec
	s_and_b64 s[36:37], s[46:47], exec
	s_or_b64 s[36:37], s[18:19], s[36:37]
	s_andn2_b64 s[18:19], s[34:35], exec
	s_and_b64 s[12:13], s[12:13], exec
	v_lshl_add_u64 v[86:87], v[86:87], 0, 8
	v_lshl_add_u64 v[96:97], v[96:97], 0, 8
	s_andn2_b64 s[16:17], s[16:17], exec
	s_or_b64 s[34:35], s[18:19], s[12:13]
                                        ; implicit-def: $sgpr42_sgpr43
	s_branch .LBB509_1195
.LBB509_1198:
	s_or_b64 exec, exec, s[22:23]
.LBB509_1199:
	s_or_b64 exec, exec, s[20:21]
	v_add_u32_e32 v71, v100, v103
	v_add_u32_e32 v70, v112, v102
	v_sub_u32_e32 v80, v71, v112
	v_cmp_le_u32_e64 s[12:13], v70, v100
	v_cmp_le_u32_e64 s[16:17], v80, v101
	s_or_b64 s[12:13], s[12:13], s[16:17]
	s_and_saveexec_b64 s[20:21], s[12:13]
	s_cbranch_execz .LBB509_1283
; %bb.1200:
	v_cmp_ge_u32_e64 s[16:17], v70, v100
	v_cmp_lt_u32_e64 s[12:13], v70, v100
                                        ; implicit-def: $vgpr12_vgpr13
	s_and_saveexec_b64 s[18:19], s[12:13]
	s_cbranch_execz .LBB509_1202
; %bb.1201:
	v_mov_b32_e32 v71, 0
	v_lshl_add_u64 v[12:13], v[70:71], 3, v[66:67]
	flat_load_dwordx2 v[12:13], v[12:13]
.LBB509_1202:
	s_or_b64 exec, exec, s[18:19]
	v_cmp_ge_u32_e64 s[22:23], v80, v101
	v_cmp_lt_u32_e64 s[12:13], v80, v101
                                        ; implicit-def: $vgpr14_vgpr15
	s_and_saveexec_b64 s[18:19], s[12:13]
	s_cbranch_execz .LBB509_1204
; %bb.1203:
	v_mov_b32_e32 v81, 0
	v_lshl_add_u64 v[14:15], v[80:81], 3, v[66:67]
	flat_load_dwordx2 v[14:15], v[14:15]
.LBB509_1204:
	s_or_b64 exec, exec, s[18:19]
	s_or_b64 s[12:13], s[16:17], s[22:23]
	s_xor_b64 s[12:13], s[12:13], -1
	s_and_saveexec_b64 s[24:25], s[12:13]
	s_cbranch_execz .LBB509_1212
; %bb.1205:
	s_mov_b64 s[12:13], 0
	s_and_saveexec_b64 s[26:27], s[8:9]
	s_cbranch_execz .LBB509_1211
; %bb.1206:
	s_waitcnt vmcnt(0) lgkmcnt(0)
	v_mul_lo_u32 v18, v13, v6
	v_mul_lo_u32 v19, v12, v7
	v_mad_u64_u32 v[16:17], s[12:13], v12, v6, 0
	v_add3_u32 v17, v17, v19, v18
	v_mul_lo_u32 v20, v15, v6
	v_mul_lo_u32 v21, v14, v7
	v_mad_u64_u32 v[18:19], s[12:13], v14, v6, 0
	v_add3_u32 v19, v19, v21, v20
	v_lshl_add_u64 v[16:17], v[16:17], 3, v[8:9]
	v_lshl_add_u64 v[18:19], v[18:19], 3, v[8:9]
	s_mov_b64 s[28:29], 0
	v_mov_b64_e32 v[20:21], v[6:7]
                                        ; implicit-def: $sgpr34_sgpr35
                                        ; implicit-def: $sgpr36_sgpr37
                                        ; implicit-def: $sgpr42_sgpr43
                                        ; implicit-def: $sgpr16_sgpr17
                                        ; implicit-def: $sgpr44_sgpr45
	s_branch .LBB509_1208
.LBB509_1207:                           ;   in Loop: Header=BB509_1208 Depth=1
	s_or_b64 exec, exec, s[46:47]
	s_and_b64 s[12:13], exec, s[36:37]
	s_or_b64 s[28:29], s[12:13], s[28:29]
	s_andn2_b64 s[12:13], s[44:45], exec
	s_and_b64 s[18:19], s[42:43], exec
	s_or_b64 s[44:45], s[12:13], s[18:19]
	s_andn2_b64 s[12:13], s[34:35], exec
	s_and_b64 s[18:19], s[16:17], exec
	s_or_b64 s[34:35], s[12:13], s[18:19]
	s_andn2_b64 exec, exec, s[28:29]
	s_cbranch_execz .LBB509_1210
.LBB509_1208:                           ; =>This Inner Loop Header: Depth=1
	flat_load_dwordx2 v[22:23], v[18:19]
	flat_load_dwordx2 v[24:25], v[16:17]
	s_andn2_b64 s[46:47], s[16:17], exec
	s_andn2_b64 s[42:43], s[42:43], exec
	s_or_b64 s[36:37], s[36:37], exec
	s_waitcnt vmcnt(0) lgkmcnt(0)
	v_cmp_le_i64_e64 s[16:17], v[22:23], v[24:25]
	v_cmp_lt_i64_e64 s[12:13], v[22:23], v[24:25]
	s_and_b64 s[16:17], s[16:17], s[44:45]
	s_or_b64 s[48:49], s[12:13], s[16:17]
	s_and_b64 s[12:13], s[48:49], exec
	v_cmp_eq_u64_e64 s[18:19], v[22:23], v[24:25]
	s_or_b64 s[16:17], s[46:47], s[12:13]
	s_and_saveexec_b64 s[46:47], s[18:19]
	s_cbranch_execz .LBB509_1207
; %bb.1209:                             ;   in Loop: Header=BB509_1208 Depth=1
	v_lshl_add_u64 v[20:21], v[20:21], 0, -1
	v_cmp_eq_u64_e64 s[12:13], 0, v[20:21]
	s_andn2_b64 s[18:19], s[42:43], exec
	s_and_b64 s[42:43], s[48:49], exec
	s_or_b64 s[42:43], s[18:19], s[42:43]
	s_andn2_b64 s[18:19], s[36:37], exec
	s_and_b64 s[12:13], s[12:13], exec
	v_lshl_add_u64 v[16:17], v[16:17], 0, 8
	v_lshl_add_u64 v[18:19], v[18:19], 0, 8
	s_andn2_b64 s[16:17], s[16:17], exec
	s_or_b64 s[36:37], s[18:19], s[12:13]
                                        ; implicit-def: $sgpr44_sgpr45
	s_branch .LBB509_1207
.LBB509_1210:
	s_or_b64 exec, exec, s[28:29]
	s_and_b64 s[12:13], s[34:35], exec
.LBB509_1211:
	s_or_b64 exec, exec, s[26:27]
	s_xor_b64 s[12:13], s[12:13], -1
	s_andn2_b64 s[16:17], s[22:23], exec
	s_and_b64 s[12:13], s[12:13], exec
	s_or_b64 s[22:23], s[16:17], s[12:13]
.LBB509_1212:
	s_or_b64 exec, exec, s[24:25]
	v_cndmask_b32_e64 v16, v80, v70, s[22:23]
	v_cndmask_b32_e64 v17, v101, v100, s[22:23]
	v_add_u32_e32 v20, 1, v16
	v_add_u32_e32 v16, -1, v17
	v_min_u32_e32 v16, v20, v16
	v_mov_b32_e32 v17, 0
	v_lshl_add_u64 v[18:19], v[16:17], 3, v[66:67]
	flat_load_dwordx2 v[18:19], v[18:19]
	v_cndmask_b32_e64 v27, v20, v80, s[22:23]
	s_mov_b64 s[24:25], -1
	v_cndmask_b32_e64 v70, v70, v20, s[22:23]
	v_cmp_lt_u32_e64 s[12:13], v27, v101
	s_mov_b64 s[26:27], -1
	s_waitcnt vmcnt(0) lgkmcnt(0)
	v_cndmask_b32_e64 v24, v19, v15, s[22:23]
	v_cndmask_b32_e64 v25, v18, v14, s[22:23]
	;; [unrolled: 1-line block ×4, first 2 shown]
	s_and_saveexec_b64 s[28:29], s[12:13]
	s_cbranch_execz .LBB509_1222
; %bb.1213:
	v_cmp_lt_u32_e64 s[12:13], v70, v100
	s_mov_b64 s[16:17], 0
	s_and_saveexec_b64 s[26:27], s[12:13]
	s_cbranch_execz .LBB509_1221
; %bb.1214:
	s_mov_b64 s[12:13], 0
	s_and_saveexec_b64 s[34:35], s[8:9]
	s_cbranch_execz .LBB509_1220
; %bb.1215:
	v_mul_lo_u32 v16, v26, v6
	v_mul_lo_u32 v20, v80, v7
	v_mad_u64_u32 v[18:19], s[12:13], v80, v6, 0
	v_add3_u32 v19, v19, v20, v16
	v_mul_lo_u32 v16, v24, v6
	v_mul_lo_u32 v22, v25, v7
	v_mad_u64_u32 v[20:21], s[12:13], v25, v6, 0
	v_add3_u32 v21, v21, v22, v16
	v_lshl_add_u64 v[18:19], v[18:19], 3, v[8:9]
	v_lshl_add_u64 v[20:21], v[20:21], 3, v[8:9]
	s_mov_b64 s[36:37], 0
	v_mov_b64_e32 v[22:23], v[6:7]
                                        ; implicit-def: $sgpr42_sgpr43
                                        ; implicit-def: $sgpr44_sgpr45
                                        ; implicit-def: $sgpr46_sgpr47
                                        ; implicit-def: $sgpr16_sgpr17
                                        ; implicit-def: $sgpr48_sgpr49
	s_branch .LBB509_1217
.LBB509_1216:                           ;   in Loop: Header=BB509_1217 Depth=1
	s_or_b64 exec, exec, s[50:51]
	s_and_b64 s[12:13], exec, s[44:45]
	s_or_b64 s[36:37], s[12:13], s[36:37]
	s_andn2_b64 s[12:13], s[48:49], exec
	s_and_b64 s[18:19], s[46:47], exec
	s_or_b64 s[48:49], s[12:13], s[18:19]
	s_andn2_b64 s[12:13], s[42:43], exec
	s_and_b64 s[18:19], s[16:17], exec
	s_or_b64 s[42:43], s[12:13], s[18:19]
	s_andn2_b64 exec, exec, s[36:37]
	s_cbranch_execz .LBB509_1219
.LBB509_1217:                           ; =>This Inner Loop Header: Depth=1
	flat_load_dwordx2 v[82:83], v[20:21]
	flat_load_dwordx2 v[84:85], v[18:19]
	s_andn2_b64 s[50:51], s[16:17], exec
	s_andn2_b64 s[46:47], s[46:47], exec
	s_or_b64 s[44:45], s[44:45], exec
	s_waitcnt vmcnt(0) lgkmcnt(0)
	v_cmp_le_i64_e64 s[16:17], v[82:83], v[84:85]
	v_cmp_lt_i64_e64 s[12:13], v[82:83], v[84:85]
	s_and_b64 s[16:17], s[16:17], s[48:49]
	s_or_b64 s[52:53], s[12:13], s[16:17]
	s_and_b64 s[12:13], s[52:53], exec
	v_cmp_eq_u64_e64 s[18:19], v[82:83], v[84:85]
	s_or_b64 s[16:17], s[50:51], s[12:13]
	s_and_saveexec_b64 s[50:51], s[18:19]
	s_cbranch_execz .LBB509_1216
; %bb.1218:                             ;   in Loop: Header=BB509_1217 Depth=1
	v_lshl_add_u64 v[22:23], v[22:23], 0, -1
	v_cmp_eq_u64_e64 s[12:13], 0, v[22:23]
	s_andn2_b64 s[18:19], s[46:47], exec
	s_and_b64 s[46:47], s[52:53], exec
	s_or_b64 s[46:47], s[18:19], s[46:47]
	s_andn2_b64 s[18:19], s[44:45], exec
	s_and_b64 s[12:13], s[12:13], exec
	v_lshl_add_u64 v[18:19], v[18:19], 0, 8
	v_lshl_add_u64 v[20:21], v[20:21], 0, 8
	s_andn2_b64 s[16:17], s[16:17], exec
	s_or_b64 s[44:45], s[18:19], s[12:13]
                                        ; implicit-def: $sgpr48_sgpr49
	s_branch .LBB509_1216
.LBB509_1219:
	s_or_b64 exec, exec, s[36:37]
	s_and_b64 s[12:13], s[42:43], exec
.LBB509_1220:
	s_or_b64 exec, exec, s[34:35]
	s_xor_b64 s[12:13], s[12:13], -1
	s_and_b64 s[16:17], s[12:13], exec
.LBB509_1221:
	s_or_b64 exec, exec, s[26:27]
	s_orn2_b64 s[26:27], s[16:17], exec
.LBB509_1222:
	s_or_b64 exec, exec, s[28:29]
	v_cndmask_b32_e64 v16, v27, v70, s[26:27]
	v_cndmask_b32_e64 v18, v101, v100, s[26:27]
	v_add_u32_e32 v19, 1, v16
	v_add_u32_e32 v16, -1, v18
	v_min_u32_e32 v16, v19, v16
	v_lshl_add_u64 v[16:17], v[16:17], 3, v[66:67]
	flat_load_dwordx2 v[16:17], v[16:17]
	v_cndmask_b32_e64 v22, v19, v27, s[26:27]
	v_cndmask_b32_e64 v23, v70, v19, s[26:27]
	v_cmp_lt_u32_e64 s[12:13], v22, v101
	s_waitcnt vmcnt(0) lgkmcnt(0)
	v_cndmask_b32_e64 v27, v17, v24, s[26:27]
	v_cndmask_b32_e64 v81, v16, v25, s[26:27]
	;; [unrolled: 1-line block ×4, first 2 shown]
	s_and_saveexec_b64 s[28:29], s[12:13]
	s_cbranch_execz .LBB509_1232
; %bb.1223:
	v_cmp_lt_u32_e64 s[12:13], v23, v100
	s_mov_b64 s[16:17], 0
	s_and_saveexec_b64 s[24:25], s[12:13]
	s_cbranch_execz .LBB509_1231
; %bb.1224:
	s_mov_b64 s[12:13], 0
	s_and_saveexec_b64 s[34:35], s[8:9]
	s_cbranch_execz .LBB509_1230
; %bb.1225:
	v_mul_lo_u32 v18, v82, v6
	v_mul_lo_u32 v19, v83, v7
	v_mad_u64_u32 v[16:17], s[12:13], v83, v6, 0
	v_add3_u32 v17, v17, v19, v18
	v_mul_lo_u32 v20, v27, v6
	v_mul_lo_u32 v21, v81, v7
	v_mad_u64_u32 v[18:19], s[12:13], v81, v6, 0
	v_add3_u32 v19, v19, v21, v20
	v_lshl_add_u64 v[16:17], v[16:17], 3, v[8:9]
	v_lshl_add_u64 v[18:19], v[18:19], 3, v[8:9]
	s_mov_b64 s[36:37], 0
	v_mov_b64_e32 v[20:21], v[6:7]
                                        ; implicit-def: $sgpr42_sgpr43
                                        ; implicit-def: $sgpr44_sgpr45
                                        ; implicit-def: $sgpr46_sgpr47
                                        ; implicit-def: $sgpr16_sgpr17
                                        ; implicit-def: $sgpr48_sgpr49
	s_branch .LBB509_1227
.LBB509_1226:                           ;   in Loop: Header=BB509_1227 Depth=1
	s_or_b64 exec, exec, s[50:51]
	s_and_b64 s[12:13], exec, s[44:45]
	s_or_b64 s[36:37], s[12:13], s[36:37]
	s_andn2_b64 s[12:13], s[48:49], exec
	s_and_b64 s[18:19], s[46:47], exec
	s_or_b64 s[48:49], s[12:13], s[18:19]
	s_andn2_b64 s[12:13], s[42:43], exec
	s_and_b64 s[18:19], s[16:17], exec
	s_or_b64 s[42:43], s[12:13], s[18:19]
	s_andn2_b64 exec, exec, s[36:37]
	s_cbranch_execz .LBB509_1229
.LBB509_1227:                           ; =>This Inner Loop Header: Depth=1
	flat_load_dwordx2 v[70:71], v[18:19]
	flat_load_dwordx2 v[84:85], v[16:17]
	s_andn2_b64 s[50:51], s[16:17], exec
	s_andn2_b64 s[46:47], s[46:47], exec
	s_or_b64 s[44:45], s[44:45], exec
	s_waitcnt vmcnt(0) lgkmcnt(0)
	v_cmp_le_i64_e64 s[16:17], v[70:71], v[84:85]
	v_cmp_lt_i64_e64 s[12:13], v[70:71], v[84:85]
	s_and_b64 s[16:17], s[16:17], s[48:49]
	s_or_b64 s[52:53], s[12:13], s[16:17]
	s_and_b64 s[12:13], s[52:53], exec
	v_cmp_eq_u64_e64 s[18:19], v[70:71], v[84:85]
	s_or_b64 s[16:17], s[50:51], s[12:13]
	s_and_saveexec_b64 s[50:51], s[18:19]
	s_cbranch_execz .LBB509_1226
; %bb.1228:                             ;   in Loop: Header=BB509_1227 Depth=1
	v_lshl_add_u64 v[20:21], v[20:21], 0, -1
	v_cmp_eq_u64_e64 s[12:13], 0, v[20:21]
	s_andn2_b64 s[18:19], s[46:47], exec
	s_and_b64 s[46:47], s[52:53], exec
	s_or_b64 s[46:47], s[18:19], s[46:47]
	s_andn2_b64 s[18:19], s[44:45], exec
	s_and_b64 s[12:13], s[12:13], exec
	v_lshl_add_u64 v[16:17], v[16:17], 0, 8
	v_lshl_add_u64 v[18:19], v[18:19], 0, 8
	s_andn2_b64 s[16:17], s[16:17], exec
	s_or_b64 s[44:45], s[18:19], s[12:13]
                                        ; implicit-def: $sgpr48_sgpr49
	s_branch .LBB509_1226
.LBB509_1229:
	s_or_b64 exec, exec, s[36:37]
	s_and_b64 s[12:13], s[42:43], exec
.LBB509_1230:
	s_or_b64 exec, exec, s[34:35]
	s_xor_b64 s[12:13], s[12:13], -1
	s_and_b64 s[16:17], s[12:13], exec
.LBB509_1231:
	s_or_b64 exec, exec, s[24:25]
	s_orn2_b64 s[24:25], s[16:17], exec
.LBB509_1232:
	s_or_b64 exec, exec, s[28:29]
	v_cndmask_b32_e64 v16, v22, v23, s[24:25]
	v_cndmask_b32_e64 v17, v101, v100, s[24:25]
	v_add_u32_e32 v20, 1, v16
	v_add_u32_e32 v16, -1, v17
	v_min_u32_e32 v16, v20, v16
	v_mov_b32_e32 v17, 0
	v_lshl_add_u64 v[18:19], v[16:17], 3, v[66:67]
	flat_load_dwordx2 v[18:19], v[18:19]
	v_cndmask_b32_e64 v70, v20, v22, s[24:25]
	s_mov_b64 s[28:29], -1
	v_cndmask_b32_e64 v71, v23, v20, s[24:25]
	v_cmp_lt_u32_e64 s[12:13], v70, v101
	s_mov_b64 s[34:35], -1
	s_waitcnt vmcnt(0) lgkmcnt(0)
	v_cndmask_b32_e64 v84, v19, v27, s[24:25]
	v_cndmask_b32_e64 v85, v18, v81, s[24:25]
	;; [unrolled: 1-line block ×4, first 2 shown]
	s_and_saveexec_b64 s[36:37], s[12:13]
	s_cbranch_execz .LBB509_1242
; %bb.1233:
	v_cmp_lt_u32_e64 s[12:13], v71, v100
	s_mov_b64 s[16:17], 0
	s_and_saveexec_b64 s[34:35], s[12:13]
	s_cbranch_execz .LBB509_1241
; %bb.1234:
	s_mov_b64 s[12:13], -1
	s_and_saveexec_b64 s[42:43], s[8:9]
	s_cbranch_execz .LBB509_1240
; %bb.1235:
	v_mul_lo_u32 v16, v86, v6
	v_mul_lo_u32 v20, v87, v7
	v_mad_u64_u32 v[18:19], s[12:13], v87, v6, 0
	v_add3_u32 v19, v19, v20, v16
	v_mul_lo_u32 v16, v84, v6
	v_mul_lo_u32 v22, v85, v7
	v_mad_u64_u32 v[20:21], s[12:13], v85, v6, 0
	v_add3_u32 v21, v21, v22, v16
	v_lshl_add_u64 v[18:19], v[18:19], 3, v[8:9]
	v_lshl_add_u64 v[20:21], v[20:21], 3, v[8:9]
	s_mov_b64 s[44:45], 0
	v_mov_b64_e32 v[22:23], v[6:7]
                                        ; implicit-def: $sgpr46_sgpr47
                                        ; implicit-def: $sgpr48_sgpr49
                                        ; implicit-def: $sgpr16_sgpr17
                                        ; implicit-def: $sgpr50_sgpr51
                                        ; implicit-def: $sgpr52_sgpr53
	s_branch .LBB509_1237
.LBB509_1236:                           ;   in Loop: Header=BB509_1237 Depth=1
	s_or_b64 exec, exec, s[54:55]
	s_and_b64 s[12:13], exec, s[48:49]
	s_or_b64 s[44:45], s[12:13], s[44:45]
	s_andn2_b64 s[12:13], s[52:53], exec
	s_and_b64 s[18:19], s[50:51], exec
	s_or_b64 s[52:53], s[12:13], s[18:19]
	s_andn2_b64 s[12:13], s[46:47], exec
	s_and_b64 s[18:19], s[16:17], exec
	s_or_b64 s[46:47], s[12:13], s[18:19]
	s_andn2_b64 exec, exec, s[44:45]
	s_cbranch_execz .LBB509_1239
.LBB509_1237:                           ; =>This Inner Loop Header: Depth=1
	flat_load_dwordx2 v[96:97], v[20:21]
	flat_load_dwordx2 v[98:99], v[18:19]
	s_andn2_b64 s[54:55], s[16:17], exec
	s_andn2_b64 s[50:51], s[50:51], exec
	s_or_b64 s[48:49], s[48:49], exec
	s_waitcnt vmcnt(0) lgkmcnt(0)
	v_cmp_le_i64_e64 s[16:17], v[96:97], v[98:99]
	v_cmp_lt_i64_e64 s[12:13], v[96:97], v[98:99]
	s_and_b64 s[16:17], s[16:17], s[52:53]
	s_or_b64 s[56:57], s[12:13], s[16:17]
	s_and_b64 s[12:13], s[56:57], exec
	v_cmp_eq_u64_e64 s[18:19], v[96:97], v[98:99]
	s_or_b64 s[16:17], s[54:55], s[12:13]
	s_and_saveexec_b64 s[54:55], s[18:19]
	s_cbranch_execz .LBB509_1236
; %bb.1238:                             ;   in Loop: Header=BB509_1237 Depth=1
	v_lshl_add_u64 v[22:23], v[22:23], 0, -1
	v_cmp_eq_u64_e64 s[12:13], 0, v[22:23]
	s_andn2_b64 s[18:19], s[50:51], exec
	s_and_b64 s[50:51], s[56:57], exec
	s_or_b64 s[50:51], s[18:19], s[50:51]
	s_andn2_b64 s[18:19], s[48:49], exec
	s_and_b64 s[12:13], s[12:13], exec
	v_lshl_add_u64 v[18:19], v[18:19], 0, 8
	v_lshl_add_u64 v[20:21], v[20:21], 0, 8
	s_andn2_b64 s[16:17], s[16:17], exec
	s_or_b64 s[48:49], s[18:19], s[12:13]
                                        ; implicit-def: $sgpr52_sgpr53
	s_branch .LBB509_1236
.LBB509_1239:
	s_or_b64 exec, exec, s[44:45]
	s_xor_b64 s[12:13], s[46:47], -1
	s_orn2_b64 s[12:13], s[12:13], exec
.LBB509_1240:
	s_or_b64 exec, exec, s[42:43]
	s_and_b64 s[16:17], s[12:13], exec
.LBB509_1241:
	s_or_b64 exec, exec, s[34:35]
	s_orn2_b64 s[34:35], s[16:17], exec
.LBB509_1242:
	s_or_b64 exec, exec, s[36:37]
	v_cndmask_b32_e64 v16, v70, v71, s[34:35]
	v_cndmask_b32_e64 v18, v101, v100, s[34:35]
	v_add_u32_e32 v19, 1, v16
	v_add_u32_e32 v16, -1, v18
	v_min_u32_e32 v16, v19, v16
	v_lshl_add_u64 v[16:17], v[16:17], 3, v[66:67]
	flat_load_dwordx2 v[16:17], v[16:17]
	v_cndmask_b32_e64 v22, v19, v70, s[34:35]
	v_cndmask_b32_e64 v23, v71, v19, s[34:35]
	v_cmp_lt_u32_e64 s[12:13], v22, v101
	s_waitcnt vmcnt(0) lgkmcnt(0)
	v_cndmask_b32_e64 v96, v17, v84, s[34:35]
	v_cndmask_b32_e64 v97, v16, v85, s[34:35]
	;; [unrolled: 1-line block ×4, first 2 shown]
	s_and_saveexec_b64 s[36:37], s[12:13]
	s_cbranch_execz .LBB509_1252
; %bb.1243:
	v_cmp_lt_u32_e64 s[12:13], v23, v100
	s_mov_b64 s[16:17], 0
	s_and_saveexec_b64 s[28:29], s[12:13]
	s_cbranch_execz .LBB509_1251
; %bb.1244:
	s_mov_b64 s[12:13], -1
	s_and_saveexec_b64 s[42:43], s[8:9]
	s_cbranch_execz .LBB509_1250
; %bb.1245:
	v_mul_lo_u32 v18, v98, v6
	v_mul_lo_u32 v19, v99, v7
	v_mad_u64_u32 v[16:17], s[12:13], v99, v6, 0
	v_add3_u32 v17, v17, v19, v18
	v_mul_lo_u32 v20, v96, v6
	v_mul_lo_u32 v21, v97, v7
	v_mad_u64_u32 v[18:19], s[12:13], v97, v6, 0
	v_add3_u32 v19, v19, v21, v20
	v_lshl_add_u64 v[16:17], v[16:17], 3, v[8:9]
	v_lshl_add_u64 v[18:19], v[18:19], 3, v[8:9]
	s_mov_b64 s[44:45], 0
	v_mov_b64_e32 v[20:21], v[6:7]
                                        ; implicit-def: $sgpr46_sgpr47
                                        ; implicit-def: $sgpr48_sgpr49
                                        ; implicit-def: $sgpr16_sgpr17
                                        ; implicit-def: $sgpr50_sgpr51
                                        ; implicit-def: $sgpr52_sgpr53
	s_branch .LBB509_1247
.LBB509_1246:                           ;   in Loop: Header=BB509_1247 Depth=1
	s_or_b64 exec, exec, s[54:55]
	s_and_b64 s[12:13], exec, s[48:49]
	s_or_b64 s[44:45], s[12:13], s[44:45]
	s_andn2_b64 s[12:13], s[52:53], exec
	s_and_b64 s[18:19], s[50:51], exec
	s_or_b64 s[52:53], s[12:13], s[18:19]
	s_andn2_b64 s[12:13], s[46:47], exec
	s_and_b64 s[18:19], s[16:17], exec
	s_or_b64 s[46:47], s[12:13], s[18:19]
	s_andn2_b64 exec, exec, s[44:45]
	s_cbranch_execz .LBB509_1249
.LBB509_1247:                           ; =>This Inner Loop Header: Depth=1
	flat_load_dwordx2 v[70:71], v[18:19]
	flat_load_dwordx2 v[102:103], v[16:17]
	s_andn2_b64 s[54:55], s[16:17], exec
	s_andn2_b64 s[50:51], s[50:51], exec
	s_or_b64 s[48:49], s[48:49], exec
	s_waitcnt vmcnt(0) lgkmcnt(0)
	v_cmp_le_i64_e64 s[16:17], v[70:71], v[102:103]
	v_cmp_lt_i64_e64 s[12:13], v[70:71], v[102:103]
	s_and_b64 s[16:17], s[16:17], s[52:53]
	s_or_b64 s[56:57], s[12:13], s[16:17]
	s_and_b64 s[12:13], s[56:57], exec
	v_cmp_eq_u64_e64 s[18:19], v[70:71], v[102:103]
	s_or_b64 s[16:17], s[54:55], s[12:13]
	s_and_saveexec_b64 s[54:55], s[18:19]
	s_cbranch_execz .LBB509_1246
; %bb.1248:                             ;   in Loop: Header=BB509_1247 Depth=1
	v_lshl_add_u64 v[20:21], v[20:21], 0, -1
	v_cmp_eq_u64_e64 s[12:13], 0, v[20:21]
	s_andn2_b64 s[18:19], s[50:51], exec
	s_and_b64 s[50:51], s[56:57], exec
	s_or_b64 s[50:51], s[18:19], s[50:51]
	s_andn2_b64 s[18:19], s[48:49], exec
	s_and_b64 s[12:13], s[12:13], exec
	v_lshl_add_u64 v[16:17], v[16:17], 0, 8
	v_lshl_add_u64 v[18:19], v[18:19], 0, 8
	s_andn2_b64 s[16:17], s[16:17], exec
	s_or_b64 s[48:49], s[18:19], s[12:13]
                                        ; implicit-def: $sgpr52_sgpr53
	s_branch .LBB509_1246
.LBB509_1249:
	s_or_b64 exec, exec, s[44:45]
	s_xor_b64 s[12:13], s[46:47], -1
	s_orn2_b64 s[12:13], s[12:13], exec
.LBB509_1250:
	s_or_b64 exec, exec, s[42:43]
	s_and_b64 s[16:17], s[12:13], exec
.LBB509_1251:
	s_or_b64 exec, exec, s[28:29]
	s_orn2_b64 s[28:29], s[16:17], exec
.LBB509_1252:
	s_or_b64 exec, exec, s[36:37]
	v_cndmask_b32_e64 v16, v22, v23, s[28:29]
	v_cndmask_b32_e64 v17, v101, v100, s[28:29]
	v_add_u32_e32 v20, 1, v16
	v_add_u32_e32 v16, -1, v17
	v_min_u32_e32 v16, v20, v16
	v_mov_b32_e32 v17, 0
	v_lshl_add_u64 v[18:19], v[16:17], 3, v[66:67]
	flat_load_dwordx2 v[18:19], v[18:19]
	v_cndmask_b32_e64 v70, v20, v22, s[28:29]
	s_mov_b64 s[36:37], -1
	v_cndmask_b32_e64 v71, v23, v20, s[28:29]
	v_cmp_lt_u32_e64 s[12:13], v70, v101
	s_mov_b64 s[42:43], -1
	s_waitcnt vmcnt(0) lgkmcnt(0)
	v_cndmask_b32_e64 v102, v19, v96, s[28:29]
	v_cndmask_b32_e64 v103, v18, v97, s[28:29]
	;; [unrolled: 1-line block ×4, first 2 shown]
	s_and_saveexec_b64 s[44:45], s[12:13]
	s_cbranch_execz .LBB509_1262
; %bb.1253:
	v_cmp_lt_u32_e64 s[12:13], v71, v100
	s_mov_b64 s[16:17], 0
	s_and_saveexec_b64 s[42:43], s[12:13]
	s_cbranch_execz .LBB509_1261
; %bb.1254:
	s_mov_b64 s[12:13], -1
	s_and_saveexec_b64 s[46:47], s[8:9]
	s_cbranch_execz .LBB509_1260
; %bb.1255:
	v_mul_lo_u32 v16, v112, v6
	v_mul_lo_u32 v20, v113, v7
	v_mad_u64_u32 v[18:19], s[12:13], v113, v6, 0
	v_add3_u32 v19, v19, v20, v16
	v_mul_lo_u32 v16, v102, v6
	v_mul_lo_u32 v22, v103, v7
	v_mad_u64_u32 v[20:21], s[12:13], v103, v6, 0
	v_add3_u32 v21, v21, v22, v16
	v_lshl_add_u64 v[18:19], v[18:19], 3, v[8:9]
	v_lshl_add_u64 v[20:21], v[20:21], 3, v[8:9]
	s_mov_b64 s[48:49], 0
	v_mov_b64_e32 v[22:23], v[6:7]
                                        ; implicit-def: $sgpr50_sgpr51
                                        ; implicit-def: $sgpr52_sgpr53
                                        ; implicit-def: $sgpr16_sgpr17
                                        ; implicit-def: $sgpr54_sgpr55
                                        ; implicit-def: $sgpr56_sgpr57
	s_branch .LBB509_1257
.LBB509_1256:                           ;   in Loop: Header=BB509_1257 Depth=1
	s_or_b64 exec, exec, s[58:59]
	s_and_b64 s[12:13], exec, s[52:53]
	s_or_b64 s[48:49], s[12:13], s[48:49]
	s_andn2_b64 s[12:13], s[56:57], exec
	s_and_b64 s[18:19], s[54:55], exec
	s_or_b64 s[56:57], s[12:13], s[18:19]
	s_andn2_b64 s[12:13], s[50:51], exec
	s_and_b64 s[18:19], s[16:17], exec
	s_or_b64 s[50:51], s[12:13], s[18:19]
	s_andn2_b64 exec, exec, s[48:49]
	s_cbranch_execz .LBB509_1259
.LBB509_1257:                           ; =>This Inner Loop Header: Depth=1
	flat_load_dwordx2 v[114:115], v[20:21]
	flat_load_dwordx2 v[116:117], v[18:19]
	s_andn2_b64 s[58:59], s[16:17], exec
	s_andn2_b64 s[54:55], s[54:55], exec
	s_or_b64 s[52:53], s[52:53], exec
	s_waitcnt vmcnt(0) lgkmcnt(0)
	v_cmp_le_i64_e64 s[16:17], v[114:115], v[116:117]
	v_cmp_lt_i64_e64 s[12:13], v[114:115], v[116:117]
	s_and_b64 s[16:17], s[16:17], s[56:57]
	s_or_b64 s[60:61], s[12:13], s[16:17]
	s_and_b64 s[12:13], s[60:61], exec
	v_cmp_eq_u64_e64 s[18:19], v[114:115], v[116:117]
	s_or_b64 s[16:17], s[58:59], s[12:13]
	s_and_saveexec_b64 s[58:59], s[18:19]
	s_cbranch_execz .LBB509_1256
; %bb.1258:                             ;   in Loop: Header=BB509_1257 Depth=1
	v_lshl_add_u64 v[22:23], v[22:23], 0, -1
	v_cmp_eq_u64_e64 s[12:13], 0, v[22:23]
	s_andn2_b64 s[18:19], s[54:55], exec
	s_and_b64 s[54:55], s[60:61], exec
	s_or_b64 s[54:55], s[18:19], s[54:55]
	s_andn2_b64 s[18:19], s[52:53], exec
	s_and_b64 s[12:13], s[12:13], exec
	v_lshl_add_u64 v[18:19], v[18:19], 0, 8
	v_lshl_add_u64 v[20:21], v[20:21], 0, 8
	s_andn2_b64 s[16:17], s[16:17], exec
	s_or_b64 s[52:53], s[18:19], s[12:13]
                                        ; implicit-def: $sgpr56_sgpr57
	s_branch .LBB509_1256
.LBB509_1259:
	s_or_b64 exec, exec, s[48:49]
	s_xor_b64 s[12:13], s[50:51], -1
	s_orn2_b64 s[12:13], s[12:13], exec
.LBB509_1260:
	s_or_b64 exec, exec, s[46:47]
	s_and_b64 s[16:17], s[12:13], exec
.LBB509_1261:
	s_or_b64 exec, exec, s[42:43]
	s_orn2_b64 s[42:43], s[16:17], exec
.LBB509_1262:
	s_or_b64 exec, exec, s[44:45]
	v_cndmask_b32_e64 v16, v70, v71, s[42:43]
	v_cndmask_b32_e64 v18, v101, v100, s[42:43]
	v_add_u32_e32 v19, 1, v16
	v_add_u32_e32 v16, -1, v18
	v_min_u32_e32 v16, v19, v16
	v_lshl_add_u64 v[16:17], v[16:17], 3, v[66:67]
	flat_load_dwordx2 v[16:17], v[16:17]
	v_cndmask_b32_e64 v117, v19, v70, s[42:43]
	v_cndmask_b32_e64 v114, v71, v19, s[42:43]
	v_cmp_lt_u32_e64 s[12:13], v117, v101
	s_waitcnt vmcnt(0) lgkmcnt(0)
	v_cndmask_b32_e64 v115, v17, v102, s[42:43]
	v_cndmask_b32_e64 v116, v16, v103, s[42:43]
	;; [unrolled: 1-line block ×4, first 2 shown]
	s_and_saveexec_b64 s[44:45], s[12:13]
	s_cbranch_execz .LBB509_1272
; %bb.1263:
	v_cmp_lt_u32_e64 s[12:13], v114, v100
	s_mov_b64 s[16:17], 0
	s_and_saveexec_b64 s[36:37], s[12:13]
	s_cbranch_execz .LBB509_1271
; %bb.1264:
	s_mov_b64 s[12:13], -1
	s_and_saveexec_b64 s[46:47], s[8:9]
	s_cbranch_execz .LBB509_1270
; %bb.1265:
	v_mul_lo_u32 v18, v118, v6
	v_mul_lo_u32 v19, v119, v7
	v_mad_u64_u32 v[16:17], s[12:13], v119, v6, 0
	v_add3_u32 v17, v17, v19, v18
	v_mul_lo_u32 v20, v115, v6
	v_mul_lo_u32 v21, v116, v7
	v_mad_u64_u32 v[18:19], s[12:13], v116, v6, 0
	v_add3_u32 v19, v19, v21, v20
	v_lshl_add_u64 v[16:17], v[16:17], 3, v[8:9]
	v_lshl_add_u64 v[18:19], v[18:19], 3, v[8:9]
	s_mov_b64 s[48:49], 0
	v_mov_b64_e32 v[20:21], v[6:7]
                                        ; implicit-def: $sgpr50_sgpr51
                                        ; implicit-def: $sgpr52_sgpr53
                                        ; implicit-def: $sgpr16_sgpr17
                                        ; implicit-def: $sgpr54_sgpr55
                                        ; implicit-def: $sgpr56_sgpr57
	s_branch .LBB509_1267
.LBB509_1266:                           ;   in Loop: Header=BB509_1267 Depth=1
	s_or_b64 exec, exec, s[58:59]
	s_and_b64 s[12:13], exec, s[52:53]
	s_or_b64 s[48:49], s[12:13], s[48:49]
	s_andn2_b64 s[12:13], s[56:57], exec
	s_and_b64 s[18:19], s[54:55], exec
	s_or_b64 s[56:57], s[12:13], s[18:19]
	s_andn2_b64 s[12:13], s[50:51], exec
	s_and_b64 s[18:19], s[16:17], exec
	s_or_b64 s[50:51], s[12:13], s[18:19]
	s_andn2_b64 exec, exec, s[48:49]
	s_cbranch_execz .LBB509_1269
.LBB509_1267:                           ; =>This Inner Loop Header: Depth=1
	flat_load_dwordx2 v[22:23], v[18:19]
	flat_load_dwordx2 v[70:71], v[16:17]
	s_andn2_b64 s[58:59], s[16:17], exec
	s_andn2_b64 s[54:55], s[54:55], exec
	s_or_b64 s[52:53], s[52:53], exec
	s_waitcnt vmcnt(0) lgkmcnt(0)
	v_cmp_le_i64_e64 s[16:17], v[22:23], v[70:71]
	v_cmp_lt_i64_e64 s[12:13], v[22:23], v[70:71]
	s_and_b64 s[16:17], s[16:17], s[56:57]
	s_or_b64 s[60:61], s[12:13], s[16:17]
	s_and_b64 s[12:13], s[60:61], exec
	v_cmp_eq_u64_e64 s[18:19], v[22:23], v[70:71]
	s_or_b64 s[16:17], s[58:59], s[12:13]
	s_and_saveexec_b64 s[58:59], s[18:19]
	s_cbranch_execz .LBB509_1266
; %bb.1268:                             ;   in Loop: Header=BB509_1267 Depth=1
	v_lshl_add_u64 v[20:21], v[20:21], 0, -1
	v_cmp_eq_u64_e64 s[12:13], 0, v[20:21]
	s_andn2_b64 s[18:19], s[54:55], exec
	s_and_b64 s[54:55], s[60:61], exec
	s_or_b64 s[54:55], s[18:19], s[54:55]
	s_andn2_b64 s[18:19], s[52:53], exec
	s_and_b64 s[12:13], s[12:13], exec
	v_lshl_add_u64 v[16:17], v[16:17], 0, 8
	v_lshl_add_u64 v[18:19], v[18:19], 0, 8
	s_andn2_b64 s[16:17], s[16:17], exec
	s_or_b64 s[52:53], s[18:19], s[12:13]
                                        ; implicit-def: $sgpr56_sgpr57
	s_branch .LBB509_1266
.LBB509_1269:
	s_or_b64 exec, exec, s[48:49]
	s_xor_b64 s[12:13], s[50:51], -1
	s_orn2_b64 s[12:13], s[12:13], exec
.LBB509_1270:
	s_or_b64 exec, exec, s[46:47]
	s_and_b64 s[16:17], s[12:13], exec
.LBB509_1271:
	s_or_b64 exec, exec, s[36:37]
	s_orn2_b64 s[36:37], s[16:17], exec
.LBB509_1272:
	s_or_b64 exec, exec, s[44:45]
	v_cndmask_b32_e64 v16, v117, v114, s[36:37]
	v_cndmask_b32_e64 v17, v101, v100, s[36:37]
	v_add_u32_e32 v128, 1, v16
	v_add_u32_e32 v16, -1, v17
	v_min_u32_e32 v16, v128, v16
	v_mov_b32_e32 v17, 0
	v_lshl_add_u64 v[16:17], v[16:17], 3, v[66:67]
	flat_load_dwordx2 v[70:71], v[16:17]
	v_cndmask_b32_e64 v21, v27, v82, s[24:25]
	v_cndmask_b32_e64 v27, v24, v26, s[26:27]
	;; [unrolled: 1-line block ×15, first 2 shown]
	v_cmp_lt_u32_e64 s[12:13], v80, v101
	s_waitcnt vmcnt(0) lgkmcnt(0)
	v_cndmask_b32_e64 v15, v118, v71, s[36:37]
	v_cndmask_b32_e64 v14, v119, v70, s[36:37]
	s_and_saveexec_b64 s[22:23], s[12:13]
	s_cbranch_execz .LBB509_1282
; %bb.1273:
	v_cndmask_b32_e64 v80, v114, v128, s[36:37]
	v_cndmask_b32_e64 v71, v71, v115, s[36:37]
	;; [unrolled: 1-line block ×3, first 2 shown]
	v_cmp_lt_u32_e64 s[12:13], v80, v100
	s_and_saveexec_b64 s[24:25], s[12:13]
	s_cbranch_execz .LBB509_1281
; %bb.1274:
	s_and_saveexec_b64 s[26:27], s[8:9]
	s_cbranch_execz .LBB509_1280
; %bb.1275:
	v_mul_lo_u32 v82, v15, v6
	v_mul_lo_u32 v83, v14, v7
	v_mad_u64_u32 v[80:81], s[12:13], v14, v6, 0
	v_add3_u32 v81, v81, v83, v82
	v_mul_lo_u32 v84, v71, v6
	v_mul_lo_u32 v85, v70, v7
	v_mad_u64_u32 v[82:83], s[12:13], v70, v6, 0
	v_add3_u32 v83, v83, v85, v84
	v_lshl_add_u64 v[80:81], v[80:81], 3, v[8:9]
	v_lshl_add_u64 v[82:83], v[82:83], 3, v[8:9]
	s_mov_b64 s[28:29], 0
	v_mov_b64_e32 v[84:85], v[6:7]
                                        ; implicit-def: $sgpr34_sgpr35
                                        ; implicit-def: $sgpr36_sgpr37
                                        ; implicit-def: $sgpr16_sgpr17
                                        ; implicit-def: $sgpr42_sgpr43
                                        ; implicit-def: $sgpr44_sgpr45
	s_branch .LBB509_1277
.LBB509_1276:                           ;   in Loop: Header=BB509_1277 Depth=1
	s_or_b64 exec, exec, s[46:47]
	s_and_b64 s[12:13], exec, s[36:37]
	s_or_b64 s[28:29], s[12:13], s[28:29]
	s_andn2_b64 s[12:13], s[44:45], exec
	s_and_b64 s[18:19], s[42:43], exec
	s_or_b64 s[44:45], s[12:13], s[18:19]
	s_andn2_b64 s[12:13], s[34:35], exec
	s_and_b64 s[18:19], s[16:17], exec
	s_or_b64 s[34:35], s[12:13], s[18:19]
	s_andn2_b64 exec, exec, s[28:29]
	s_cbranch_execz .LBB509_1279
.LBB509_1277:                           ; =>This Inner Loop Header: Depth=1
	flat_load_dwordx2 v[86:87], v[82:83]
	flat_load_dwordx2 v[96:97], v[80:81]
	s_andn2_b64 s[46:47], s[16:17], exec
	s_andn2_b64 s[42:43], s[42:43], exec
	s_or_b64 s[36:37], s[36:37], exec
	s_waitcnt vmcnt(0) lgkmcnt(0)
	v_cmp_le_i64_e64 s[16:17], v[86:87], v[96:97]
	v_cmp_lt_i64_e64 s[12:13], v[86:87], v[96:97]
	s_and_b64 s[16:17], s[16:17], s[44:45]
	s_or_b64 s[48:49], s[12:13], s[16:17]
	s_and_b64 s[12:13], s[48:49], exec
	v_cmp_eq_u64_e64 s[18:19], v[86:87], v[96:97]
	s_or_b64 s[16:17], s[46:47], s[12:13]
	s_and_saveexec_b64 s[46:47], s[18:19]
	s_cbranch_execz .LBB509_1276
; %bb.1278:                             ;   in Loop: Header=BB509_1277 Depth=1
	v_lshl_add_u64 v[84:85], v[84:85], 0, -1
	v_cmp_eq_u64_e64 s[12:13], 0, v[84:85]
	s_andn2_b64 s[18:19], s[42:43], exec
	s_and_b64 s[42:43], s[48:49], exec
	s_or_b64 s[42:43], s[18:19], s[42:43]
	s_andn2_b64 s[18:19], s[36:37], exec
	s_and_b64 s[12:13], s[12:13], exec
	v_lshl_add_u64 v[80:81], v[80:81], 0, 8
	v_lshl_add_u64 v[82:83], v[82:83], 0, 8
	s_andn2_b64 s[16:17], s[16:17], exec
	s_or_b64 s[36:37], s[18:19], s[12:13]
                                        ; implicit-def: $sgpr44_sgpr45
	s_branch .LBB509_1276
.LBB509_1279:
	s_or_b64 exec, exec, s[28:29]
	v_cndmask_b32_e64 v15, v15, v71, s[34:35]
	v_cndmask_b32_e64 v14, v14, v70, s[34:35]
.LBB509_1280:
	s_or_b64 exec, exec, s[26:27]
	v_mov_b64_e32 v[70:71], v[14:15]
.LBB509_1281:
	s_or_b64 exec, exec, s[24:25]
	v_mov_b64_e32 v[14:15], v[70:71]
.LBB509_1282:
	s_or_b64 exec, exec, s[22:23]
.LBB509_1283:
	s_or_b64 exec, exec, s[20:21]
	v_and_b32_e32 v100, 0x380, v31
	; wave barrier
	flat_store_dwordx4 v[68:69], v[24:27]
	flat_store_dwordx4 v[68:69], v[20:23] offset:16
	flat_store_dwordx4 v[68:69], v[16:19] offset:32
	;; [unrolled: 1-line block ×3, first 2 shown]
	v_or_b32_e32 v68, 64, v100
	v_min_u32_e32 v98, v1, v68
	v_add_u32_e32 v68, 64, v98
	v_min_u32_e32 v99, v1, v68
	v_and_b32_e32 v31, 0x78, v31
	v_min_u32_e32 v1, v1, v31
	v_sub_u32_e32 v68, v98, v100
	v_sub_u32_e32 v31, v99, v98
	v_sub_u32_e64 v31, v1, v31 clamp
	v_min_u32_e32 v101, v1, v68
	v_cmp_lt_u32_e64 s[12:13], v31, v101
	; wave barrier
	s_and_saveexec_b64 s[20:21], s[12:13]
	s_cbranch_execz .LBB509_1293
; %bb.1284:
	v_lshlrev_b32_e32 v68, 3, v100
	v_mov_b32_e32 v69, 0
	v_lshl_add_u64 v[70:71], v[66:67], 0, v[68:69]
	v_lshlrev_b32_e32 v68, 3, v98
	v_lshl_add_u64 v[80:81], v[66:67], 0, v[68:69]
	s_mov_b64 s[22:23], 0
	s_branch .LBB509_1287
.LBB509_1285:                           ;   in Loop: Header=BB509_1287 Depth=1
	s_or_b64 exec, exec, s[26:27]
	s_and_b64 s[12:13], s[28:29], exec
.LBB509_1286:                           ;   in Loop: Header=BB509_1287 Depth=1
	s_or_b64 exec, exec, s[24:25]
	v_add_u32_e32 v68, 1, v82
	v_cndmask_b32_e64 v101, v101, v82, s[12:13]
	v_cndmask_b32_e64 v31, v68, v31, s[12:13]
	v_cmp_ge_u32_e64 s[12:13], v31, v101
	s_or_b64 s[22:23], s[12:13], s[22:23]
	s_andn2_b64 exec, exec, s[22:23]
	s_cbranch_execz .LBB509_1292
.LBB509_1287:                           ; =>This Loop Header: Depth=1
                                        ;     Child Loop BB509_1290 Depth 2
	v_add_u32_e32 v68, v101, v31
	v_lshrrev_b32_e32 v82, 1, v68
	s_mov_b64 s[12:13], 0
	s_and_saveexec_b64 s[24:25], s[8:9]
	s_cbranch_execz .LBB509_1286
; %bb.1288:                             ;   in Loop: Header=BB509_1287 Depth=1
	v_mov_b32_e32 v83, v69
	v_xad_u32 v68, v82, -1, v1
	v_lshl_add_u64 v[84:85], v[82:83], 3, v[70:71]
	v_lshl_add_u64 v[86:87], v[68:69], 3, v[80:81]
	flat_load_dwordx2 v[84:85], v[84:85]
	s_mov_b64 s[26:27], 0
	flat_load_dwordx2 v[86:87], v[86:87]
                                        ; implicit-def: $sgpr28_sgpr29
                                        ; implicit-def: $sgpr34_sgpr35
                                        ; implicit-def: $sgpr36_sgpr37
                                        ; implicit-def: $sgpr16_sgpr17
                                        ; implicit-def: $sgpr42_sgpr43
	s_waitcnt vmcnt(0) lgkmcnt(0)
	v_mul_lo_u32 v68, v64, v85
	v_mul_lo_u32 v83, v65, v84
	v_mad_u64_u32 v[84:85], s[12:13], v64, v84, v[8:9]
	v_mul_lo_u32 v96, v64, v87
	v_mul_lo_u32 v97, v65, v86
	v_mad_u64_u32 v[86:87], s[12:13], v64, v86, v[8:9]
	v_add3_u32 v85, v83, v85, v68
	v_add3_u32 v87, v97, v87, v96
	v_mov_b64_e32 v[96:97], v[6:7]
	s_branch .LBB509_1290
.LBB509_1289:                           ;   in Loop: Header=BB509_1290 Depth=2
	s_or_b64 exec, exec, s[44:45]
	s_and_b64 s[12:13], exec, s[34:35]
	s_or_b64 s[26:27], s[12:13], s[26:27]
	s_andn2_b64 s[12:13], s[42:43], exec
	s_and_b64 s[18:19], s[36:37], exec
	s_or_b64 s[42:43], s[12:13], s[18:19]
	s_andn2_b64 s[12:13], s[28:29], exec
	s_and_b64 s[18:19], s[16:17], exec
	s_or_b64 s[28:29], s[12:13], s[18:19]
	s_andn2_b64 exec, exec, s[26:27]
	s_cbranch_execz .LBB509_1285
.LBB509_1290:                           ;   Parent Loop BB509_1287 Depth=1
                                        ; =>  This Inner Loop Header: Depth=2
	flat_load_dwordx2 v[102:103], v[86:87]
	flat_load_dwordx2 v[112:113], v[84:85]
	s_andn2_b64 s[44:45], s[16:17], exec
	s_andn2_b64 s[36:37], s[36:37], exec
	s_or_b64 s[34:35], s[34:35], exec
	s_waitcnt vmcnt(0) lgkmcnt(0)
	v_cmp_le_i64_e64 s[16:17], v[102:103], v[112:113]
	v_cmp_lt_i64_e64 s[12:13], v[102:103], v[112:113]
	s_and_b64 s[16:17], s[16:17], s[42:43]
	s_or_b64 s[46:47], s[12:13], s[16:17]
	s_and_b64 s[12:13], s[46:47], exec
	v_cmp_eq_u64_e64 s[18:19], v[102:103], v[112:113]
	s_or_b64 s[16:17], s[44:45], s[12:13]
	s_and_saveexec_b64 s[44:45], s[18:19]
	s_cbranch_execz .LBB509_1289
; %bb.1291:                             ;   in Loop: Header=BB509_1290 Depth=2
	v_lshl_add_u64 v[96:97], v[96:97], 0, -1
	v_cmp_eq_u64_e64 s[12:13], 0, v[96:97]
	s_andn2_b64 s[18:19], s[36:37], exec
	s_and_b64 s[36:37], s[46:47], exec
	s_or_b64 s[36:37], s[18:19], s[36:37]
	s_andn2_b64 s[18:19], s[34:35], exec
	s_and_b64 s[12:13], s[12:13], exec
	v_lshl_add_u64 v[84:85], v[84:85], 0, 8
	v_lshl_add_u64 v[86:87], v[86:87], 0, 8
	s_andn2_b64 s[16:17], s[16:17], exec
	s_or_b64 s[34:35], s[18:19], s[12:13]
                                        ; implicit-def: $sgpr42_sgpr43
	s_branch .LBB509_1289
.LBB509_1292:
	s_or_b64 exec, exec, s[22:23]
.LBB509_1293:
	s_or_b64 exec, exec, s[20:21]
	v_add_u32_e32 v1, v98, v1
	v_add_u32_e32 v68, v31, v100
	v_sub_u32_e32 v70, v1, v31
	v_cmp_le_u32_e64 s[12:13], v68, v98
	v_cmp_le_u32_e64 s[16:17], v70, v99
	s_or_b64 s[12:13], s[12:13], s[16:17]
	s_and_saveexec_b64 s[20:21], s[12:13]
	s_cbranch_execz .LBB509_1377
; %bb.1294:
	v_cmp_ge_u32_e64 s[16:17], v68, v98
	v_cmp_lt_u32_e64 s[12:13], v68, v98
                                        ; implicit-def: $vgpr12_vgpr13
	s_and_saveexec_b64 s[18:19], s[12:13]
	s_cbranch_execz .LBB509_1296
; %bb.1295:
	v_mov_b32_e32 v69, 0
	v_lshl_add_u64 v[12:13], v[68:69], 3, v[66:67]
	flat_load_dwordx2 v[12:13], v[12:13]
.LBB509_1296:
	s_or_b64 exec, exec, s[18:19]
	v_cmp_ge_u32_e64 s[22:23], v70, v99
	v_cmp_lt_u32_e64 s[12:13], v70, v99
                                        ; implicit-def: $vgpr14_vgpr15
	s_and_saveexec_b64 s[18:19], s[12:13]
	s_cbranch_execz .LBB509_1298
; %bb.1297:
	v_mov_b32_e32 v71, 0
	v_lshl_add_u64 v[14:15], v[70:71], 3, v[66:67]
	flat_load_dwordx2 v[14:15], v[14:15]
.LBB509_1298:
	s_or_b64 exec, exec, s[18:19]
	s_or_b64 s[12:13], s[16:17], s[22:23]
	s_xor_b64 s[12:13], s[12:13], -1
	s_and_saveexec_b64 s[24:25], s[12:13]
	s_cbranch_execz .LBB509_1306
; %bb.1299:
	s_mov_b64 s[12:13], 0
	s_and_saveexec_b64 s[26:27], s[8:9]
	s_cbranch_execz .LBB509_1305
; %bb.1300:
	s_waitcnt vmcnt(0) lgkmcnt(0)
	v_mul_lo_u32 v1, v13, v6
	v_mul_lo_u32 v18, v12, v7
	v_mad_u64_u32 v[16:17], s[12:13], v12, v6, 0
	v_add3_u32 v17, v17, v18, v1
	v_mul_lo_u32 v1, v15, v6
	v_mul_lo_u32 v20, v14, v7
	v_mad_u64_u32 v[18:19], s[12:13], v14, v6, 0
	v_add3_u32 v19, v19, v20, v1
	v_lshl_add_u64 v[16:17], v[16:17], 3, v[8:9]
	v_lshl_add_u64 v[18:19], v[18:19], 3, v[8:9]
	s_mov_b64 s[28:29], 0
	v_mov_b64_e32 v[20:21], v[6:7]
                                        ; implicit-def: $sgpr34_sgpr35
                                        ; implicit-def: $sgpr36_sgpr37
                                        ; implicit-def: $sgpr42_sgpr43
                                        ; implicit-def: $sgpr16_sgpr17
                                        ; implicit-def: $sgpr44_sgpr45
	s_branch .LBB509_1302
.LBB509_1301:                           ;   in Loop: Header=BB509_1302 Depth=1
	s_or_b64 exec, exec, s[46:47]
	s_and_b64 s[12:13], exec, s[36:37]
	s_or_b64 s[28:29], s[12:13], s[28:29]
	s_andn2_b64 s[12:13], s[44:45], exec
	s_and_b64 s[18:19], s[42:43], exec
	s_or_b64 s[44:45], s[12:13], s[18:19]
	s_andn2_b64 s[12:13], s[34:35], exec
	s_and_b64 s[18:19], s[16:17], exec
	s_or_b64 s[34:35], s[12:13], s[18:19]
	s_andn2_b64 exec, exec, s[28:29]
	s_cbranch_execz .LBB509_1304
.LBB509_1302:                           ; =>This Inner Loop Header: Depth=1
	flat_load_dwordx2 v[22:23], v[18:19]
	flat_load_dwordx2 v[24:25], v[16:17]
	s_andn2_b64 s[46:47], s[16:17], exec
	s_andn2_b64 s[42:43], s[42:43], exec
	s_or_b64 s[36:37], s[36:37], exec
	s_waitcnt vmcnt(0) lgkmcnt(0)
	v_cmp_le_i64_e64 s[16:17], v[22:23], v[24:25]
	v_cmp_lt_i64_e64 s[12:13], v[22:23], v[24:25]
	s_and_b64 s[16:17], s[16:17], s[44:45]
	s_or_b64 s[48:49], s[12:13], s[16:17]
	s_and_b64 s[12:13], s[48:49], exec
	v_cmp_eq_u64_e64 s[18:19], v[22:23], v[24:25]
	s_or_b64 s[16:17], s[46:47], s[12:13]
	s_and_saveexec_b64 s[46:47], s[18:19]
	s_cbranch_execz .LBB509_1301
; %bb.1303:                             ;   in Loop: Header=BB509_1302 Depth=1
	v_lshl_add_u64 v[20:21], v[20:21], 0, -1
	v_cmp_eq_u64_e64 s[12:13], 0, v[20:21]
	s_andn2_b64 s[18:19], s[42:43], exec
	s_and_b64 s[42:43], s[48:49], exec
	s_or_b64 s[42:43], s[18:19], s[42:43]
	s_andn2_b64 s[18:19], s[36:37], exec
	s_and_b64 s[12:13], s[12:13], exec
	v_lshl_add_u64 v[16:17], v[16:17], 0, 8
	v_lshl_add_u64 v[18:19], v[18:19], 0, 8
	s_andn2_b64 s[16:17], s[16:17], exec
	s_or_b64 s[36:37], s[18:19], s[12:13]
                                        ; implicit-def: $sgpr44_sgpr45
	s_branch .LBB509_1301
.LBB509_1304:
	s_or_b64 exec, exec, s[28:29]
	s_and_b64 s[12:13], s[34:35], exec
.LBB509_1305:
	s_or_b64 exec, exec, s[26:27]
	s_xor_b64 s[12:13], s[12:13], -1
	s_andn2_b64 s[16:17], s[22:23], exec
	s_and_b64 s[12:13], s[12:13], exec
	s_or_b64 s[22:23], s[16:17], s[12:13]
.LBB509_1306:
	s_or_b64 exec, exec, s[24:25]
	v_cndmask_b32_e64 v1, v70, v68, s[22:23]
	v_cndmask_b32_e64 v16, v99, v98, s[22:23]
	v_add_u32_e32 v1, 1, v1
	v_add_u32_e32 v16, -1, v16
	v_min_u32_e32 v16, v1, v16
	v_mov_b32_e32 v17, 0
	v_lshl_add_u64 v[18:19], v[16:17], 3, v[66:67]
	flat_load_dwordx2 v[18:19], v[18:19]
	v_cndmask_b32_e64 v27, v1, v70, s[22:23]
	s_mov_b64 s[24:25], -1
	v_cndmask_b32_e64 v31, v68, v1, s[22:23]
	v_cmp_lt_u32_e64 s[12:13], v27, v99
	s_mov_b64 s[26:27], -1
	s_waitcnt vmcnt(0) lgkmcnt(0)
	v_cndmask_b32_e64 v1, v19, v15, s[22:23]
	v_cndmask_b32_e64 v24, v18, v14, s[22:23]
	;; [unrolled: 1-line block ×4, first 2 shown]
	s_and_saveexec_b64 s[28:29], s[12:13]
	s_cbranch_execz .LBB509_1316
; %bb.1307:
	v_cmp_lt_u32_e64 s[12:13], v31, v98
	s_mov_b64 s[16:17], 0
	s_and_saveexec_b64 s[26:27], s[12:13]
	s_cbranch_execz .LBB509_1315
; %bb.1308:
	s_mov_b64 s[12:13], 0
	s_and_saveexec_b64 s[34:35], s[8:9]
	s_cbranch_execz .LBB509_1314
; %bb.1309:
	v_mul_lo_u32 v16, v25, v6
	v_mul_lo_u32 v20, v26, v7
	v_mad_u64_u32 v[18:19], s[12:13], v26, v6, 0
	v_add3_u32 v19, v19, v20, v16
	v_mul_lo_u32 v16, v1, v6
	v_mul_lo_u32 v22, v24, v7
	v_mad_u64_u32 v[20:21], s[12:13], v24, v6, 0
	v_add3_u32 v21, v21, v22, v16
	v_lshl_add_u64 v[18:19], v[18:19], 3, v[8:9]
	v_lshl_add_u64 v[20:21], v[20:21], 3, v[8:9]
	s_mov_b64 s[36:37], 0
	v_mov_b64_e32 v[22:23], v[6:7]
                                        ; implicit-def: $sgpr42_sgpr43
                                        ; implicit-def: $sgpr44_sgpr45
                                        ; implicit-def: $sgpr46_sgpr47
                                        ; implicit-def: $sgpr16_sgpr17
                                        ; implicit-def: $sgpr48_sgpr49
	s_branch .LBB509_1311
.LBB509_1310:                           ;   in Loop: Header=BB509_1311 Depth=1
	s_or_b64 exec, exec, s[50:51]
	s_and_b64 s[12:13], exec, s[44:45]
	s_or_b64 s[36:37], s[12:13], s[36:37]
	s_andn2_b64 s[12:13], s[48:49], exec
	s_and_b64 s[18:19], s[46:47], exec
	s_or_b64 s[48:49], s[12:13], s[18:19]
	s_andn2_b64 s[12:13], s[42:43], exec
	s_and_b64 s[18:19], s[16:17], exec
	s_or_b64 s[42:43], s[12:13], s[18:19]
	s_andn2_b64 exec, exec, s[36:37]
	s_cbranch_execz .LBB509_1313
.LBB509_1311:                           ; =>This Inner Loop Header: Depth=1
	flat_load_dwordx2 v[68:69], v[20:21]
	flat_load_dwordx2 v[70:71], v[18:19]
	s_andn2_b64 s[50:51], s[16:17], exec
	s_andn2_b64 s[46:47], s[46:47], exec
	s_or_b64 s[44:45], s[44:45], exec
	s_waitcnt vmcnt(0) lgkmcnt(0)
	v_cmp_le_i64_e64 s[16:17], v[68:69], v[70:71]
	v_cmp_lt_i64_e64 s[12:13], v[68:69], v[70:71]
	s_and_b64 s[16:17], s[16:17], s[48:49]
	s_or_b64 s[52:53], s[12:13], s[16:17]
	s_and_b64 s[12:13], s[52:53], exec
	v_cmp_eq_u64_e64 s[18:19], v[68:69], v[70:71]
	s_or_b64 s[16:17], s[50:51], s[12:13]
	s_and_saveexec_b64 s[50:51], s[18:19]
	s_cbranch_execz .LBB509_1310
; %bb.1312:                             ;   in Loop: Header=BB509_1311 Depth=1
	v_lshl_add_u64 v[22:23], v[22:23], 0, -1
	v_cmp_eq_u64_e64 s[12:13], 0, v[22:23]
	s_andn2_b64 s[18:19], s[46:47], exec
	s_and_b64 s[46:47], s[52:53], exec
	s_or_b64 s[46:47], s[18:19], s[46:47]
	s_andn2_b64 s[18:19], s[44:45], exec
	s_and_b64 s[12:13], s[12:13], exec
	v_lshl_add_u64 v[18:19], v[18:19], 0, 8
	v_lshl_add_u64 v[20:21], v[20:21], 0, 8
	s_andn2_b64 s[16:17], s[16:17], exec
	s_or_b64 s[44:45], s[18:19], s[12:13]
                                        ; implicit-def: $sgpr48_sgpr49
	s_branch .LBB509_1310
.LBB509_1313:
	s_or_b64 exec, exec, s[36:37]
	s_and_b64 s[12:13], s[42:43], exec
.LBB509_1314:
	s_or_b64 exec, exec, s[34:35]
	s_xor_b64 s[12:13], s[12:13], -1
	s_and_b64 s[16:17], s[12:13], exec
.LBB509_1315:
	s_or_b64 exec, exec, s[26:27]
	s_orn2_b64 s[26:27], s[16:17], exec
.LBB509_1316:
	s_or_b64 exec, exec, s[28:29]
	v_cndmask_b32_e64 v16, v27, v31, s[26:27]
	v_cndmask_b32_e64 v18, v99, v98, s[26:27]
	v_add_u32_e32 v19, 1, v16
	v_add_u32_e32 v16, -1, v18
	v_min_u32_e32 v16, v19, v16
	v_lshl_add_u64 v[16:17], v[16:17], 3, v[66:67]
	flat_load_dwordx2 v[16:17], v[16:17]
	v_cndmask_b32_e64 v22, v19, v27, s[26:27]
	v_cndmask_b32_e64 v23, v31, v19, s[26:27]
	v_cmp_lt_u32_e64 s[12:13], v22, v99
	s_waitcnt vmcnt(0) lgkmcnt(0)
	v_cndmask_b32_e64 v27, v17, v1, s[26:27]
	v_cndmask_b32_e64 v31, v16, v24, s[26:27]
	;; [unrolled: 1-line block ×4, first 2 shown]
	s_and_saveexec_b64 s[28:29], s[12:13]
	s_cbranch_execz .LBB509_1326
; %bb.1317:
	v_cmp_lt_u32_e64 s[12:13], v23, v98
	s_mov_b64 s[16:17], 0
	s_and_saveexec_b64 s[24:25], s[12:13]
	s_cbranch_execz .LBB509_1325
; %bb.1318:
	s_mov_b64 s[12:13], 0
	s_and_saveexec_b64 s[34:35], s[8:9]
	s_cbranch_execz .LBB509_1324
; %bb.1319:
	v_mul_lo_u32 v18, v68, v6
	v_mul_lo_u32 v19, v69, v7
	v_mad_u64_u32 v[16:17], s[12:13], v69, v6, 0
	v_add3_u32 v17, v17, v19, v18
	v_mul_lo_u32 v20, v27, v6
	v_mul_lo_u32 v21, v31, v7
	v_mad_u64_u32 v[18:19], s[12:13], v31, v6, 0
	v_add3_u32 v19, v19, v21, v20
	v_lshl_add_u64 v[16:17], v[16:17], 3, v[8:9]
	v_lshl_add_u64 v[18:19], v[18:19], 3, v[8:9]
	s_mov_b64 s[36:37], 0
	v_mov_b64_e32 v[20:21], v[6:7]
                                        ; implicit-def: $sgpr42_sgpr43
                                        ; implicit-def: $sgpr44_sgpr45
                                        ; implicit-def: $sgpr46_sgpr47
                                        ; implicit-def: $sgpr16_sgpr17
                                        ; implicit-def: $sgpr48_sgpr49
	s_branch .LBB509_1321
.LBB509_1320:                           ;   in Loop: Header=BB509_1321 Depth=1
	s_or_b64 exec, exec, s[50:51]
	s_and_b64 s[12:13], exec, s[44:45]
	s_or_b64 s[36:37], s[12:13], s[36:37]
	s_andn2_b64 s[12:13], s[48:49], exec
	s_and_b64 s[18:19], s[46:47], exec
	s_or_b64 s[48:49], s[12:13], s[18:19]
	s_andn2_b64 s[12:13], s[42:43], exec
	s_and_b64 s[18:19], s[16:17], exec
	s_or_b64 s[42:43], s[12:13], s[18:19]
	s_andn2_b64 exec, exec, s[36:37]
	s_cbranch_execz .LBB509_1323
.LBB509_1321:                           ; =>This Inner Loop Header: Depth=1
	flat_load_dwordx2 v[70:71], v[18:19]
	flat_load_dwordx2 v[80:81], v[16:17]
	s_andn2_b64 s[50:51], s[16:17], exec
	s_andn2_b64 s[46:47], s[46:47], exec
	s_or_b64 s[44:45], s[44:45], exec
	s_waitcnt vmcnt(0) lgkmcnt(0)
	v_cmp_le_i64_e64 s[16:17], v[70:71], v[80:81]
	v_cmp_lt_i64_e64 s[12:13], v[70:71], v[80:81]
	s_and_b64 s[16:17], s[16:17], s[48:49]
	s_or_b64 s[52:53], s[12:13], s[16:17]
	s_and_b64 s[12:13], s[52:53], exec
	v_cmp_eq_u64_e64 s[18:19], v[70:71], v[80:81]
	s_or_b64 s[16:17], s[50:51], s[12:13]
	s_and_saveexec_b64 s[50:51], s[18:19]
	s_cbranch_execz .LBB509_1320
; %bb.1322:                             ;   in Loop: Header=BB509_1321 Depth=1
	v_lshl_add_u64 v[20:21], v[20:21], 0, -1
	v_cmp_eq_u64_e64 s[12:13], 0, v[20:21]
	s_andn2_b64 s[18:19], s[46:47], exec
	s_and_b64 s[46:47], s[52:53], exec
	s_or_b64 s[46:47], s[18:19], s[46:47]
	s_andn2_b64 s[18:19], s[44:45], exec
	s_and_b64 s[12:13], s[12:13], exec
	v_lshl_add_u64 v[16:17], v[16:17], 0, 8
	v_lshl_add_u64 v[18:19], v[18:19], 0, 8
	s_andn2_b64 s[16:17], s[16:17], exec
	s_or_b64 s[44:45], s[18:19], s[12:13]
                                        ; implicit-def: $sgpr48_sgpr49
	s_branch .LBB509_1320
.LBB509_1323:
	s_or_b64 exec, exec, s[36:37]
	s_and_b64 s[12:13], s[42:43], exec
.LBB509_1324:
	s_or_b64 exec, exec, s[34:35]
	s_xor_b64 s[12:13], s[12:13], -1
	s_and_b64 s[16:17], s[12:13], exec
.LBB509_1325:
	s_or_b64 exec, exec, s[24:25]
	s_orn2_b64 s[24:25], s[16:17], exec
.LBB509_1326:
	s_or_b64 exec, exec, s[28:29]
	v_cndmask_b32_e64 v16, v22, v23, s[24:25]
	v_cndmask_b32_e64 v17, v99, v98, s[24:25]
	v_add_u32_e32 v20, 1, v16
	v_add_u32_e32 v16, -1, v17
	v_min_u32_e32 v16, v20, v16
	v_mov_b32_e32 v17, 0
	v_lshl_add_u64 v[18:19], v[16:17], 3, v[66:67]
	flat_load_dwordx2 v[18:19], v[18:19]
	v_cndmask_b32_e64 v82, v20, v22, s[24:25]
	s_mov_b64 s[28:29], -1
	v_cndmask_b32_e64 v83, v23, v20, s[24:25]
	v_cmp_lt_u32_e64 s[12:13], v82, v99
	s_mov_b64 s[34:35], -1
	s_waitcnt vmcnt(0) lgkmcnt(0)
	v_cndmask_b32_e64 v70, v19, v27, s[24:25]
	v_cndmask_b32_e64 v71, v18, v31, s[24:25]
	;; [unrolled: 1-line block ×4, first 2 shown]
	s_and_saveexec_b64 s[36:37], s[12:13]
	s_cbranch_execz .LBB509_1336
; %bb.1327:
	v_cmp_lt_u32_e64 s[12:13], v83, v98
	s_mov_b64 s[16:17], 0
	s_and_saveexec_b64 s[34:35], s[12:13]
	s_cbranch_execz .LBB509_1335
; %bb.1328:
	s_mov_b64 s[12:13], -1
	s_and_saveexec_b64 s[42:43], s[8:9]
	s_cbranch_execz .LBB509_1334
; %bb.1329:
	v_mul_lo_u32 v16, v80, v6
	v_mul_lo_u32 v20, v81, v7
	v_mad_u64_u32 v[18:19], s[12:13], v81, v6, 0
	v_add3_u32 v19, v19, v20, v16
	v_mul_lo_u32 v16, v70, v6
	v_mul_lo_u32 v22, v71, v7
	v_mad_u64_u32 v[20:21], s[12:13], v71, v6, 0
	v_add3_u32 v21, v21, v22, v16
	v_lshl_add_u64 v[18:19], v[18:19], 3, v[8:9]
	v_lshl_add_u64 v[20:21], v[20:21], 3, v[8:9]
	s_mov_b64 s[44:45], 0
	v_mov_b64_e32 v[22:23], v[6:7]
                                        ; implicit-def: $sgpr46_sgpr47
                                        ; implicit-def: $sgpr48_sgpr49
                                        ; implicit-def: $sgpr16_sgpr17
                                        ; implicit-def: $sgpr50_sgpr51
                                        ; implicit-def: $sgpr52_sgpr53
	s_branch .LBB509_1331
.LBB509_1330:                           ;   in Loop: Header=BB509_1331 Depth=1
	s_or_b64 exec, exec, s[54:55]
	s_and_b64 s[12:13], exec, s[48:49]
	s_or_b64 s[44:45], s[12:13], s[44:45]
	s_andn2_b64 s[12:13], s[52:53], exec
	s_and_b64 s[18:19], s[50:51], exec
	s_or_b64 s[52:53], s[12:13], s[18:19]
	s_andn2_b64 s[12:13], s[46:47], exec
	s_and_b64 s[18:19], s[16:17], exec
	s_or_b64 s[46:47], s[12:13], s[18:19]
	s_andn2_b64 exec, exec, s[44:45]
	s_cbranch_execz .LBB509_1333
.LBB509_1331:                           ; =>This Inner Loop Header: Depth=1
	flat_load_dwordx2 v[84:85], v[20:21]
	flat_load_dwordx2 v[86:87], v[18:19]
	s_andn2_b64 s[54:55], s[16:17], exec
	s_andn2_b64 s[50:51], s[50:51], exec
	s_or_b64 s[48:49], s[48:49], exec
	s_waitcnt vmcnt(0) lgkmcnt(0)
	v_cmp_le_i64_e64 s[16:17], v[84:85], v[86:87]
	v_cmp_lt_i64_e64 s[12:13], v[84:85], v[86:87]
	s_and_b64 s[16:17], s[16:17], s[52:53]
	s_or_b64 s[56:57], s[12:13], s[16:17]
	s_and_b64 s[12:13], s[56:57], exec
	v_cmp_eq_u64_e64 s[18:19], v[84:85], v[86:87]
	s_or_b64 s[16:17], s[54:55], s[12:13]
	s_and_saveexec_b64 s[54:55], s[18:19]
	s_cbranch_execz .LBB509_1330
; %bb.1332:                             ;   in Loop: Header=BB509_1331 Depth=1
	v_lshl_add_u64 v[22:23], v[22:23], 0, -1
	v_cmp_eq_u64_e64 s[12:13], 0, v[22:23]
	s_andn2_b64 s[18:19], s[50:51], exec
	s_and_b64 s[50:51], s[56:57], exec
	s_or_b64 s[50:51], s[18:19], s[50:51]
	s_andn2_b64 s[18:19], s[48:49], exec
	s_and_b64 s[12:13], s[12:13], exec
	v_lshl_add_u64 v[18:19], v[18:19], 0, 8
	v_lshl_add_u64 v[20:21], v[20:21], 0, 8
	s_andn2_b64 s[16:17], s[16:17], exec
	s_or_b64 s[48:49], s[18:19], s[12:13]
                                        ; implicit-def: $sgpr52_sgpr53
	s_branch .LBB509_1330
.LBB509_1333:
	s_or_b64 exec, exec, s[44:45]
	s_xor_b64 s[12:13], s[46:47], -1
	s_orn2_b64 s[12:13], s[12:13], exec
.LBB509_1334:
	s_or_b64 exec, exec, s[42:43]
	s_and_b64 s[16:17], s[12:13], exec
.LBB509_1335:
	s_or_b64 exec, exec, s[34:35]
	s_orn2_b64 s[34:35], s[16:17], exec
.LBB509_1336:
	s_or_b64 exec, exec, s[36:37]
	v_cndmask_b32_e64 v16, v82, v83, s[34:35]
	v_cndmask_b32_e64 v18, v99, v98, s[34:35]
	v_add_u32_e32 v19, 1, v16
	v_add_u32_e32 v16, -1, v18
	v_min_u32_e32 v16, v19, v16
	v_lshl_add_u64 v[16:17], v[16:17], 3, v[66:67]
	flat_load_dwordx2 v[16:17], v[16:17]
	v_cndmask_b32_e64 v22, v19, v82, s[34:35]
	v_cndmask_b32_e64 v23, v83, v19, s[34:35]
	v_cmp_lt_u32_e64 s[12:13], v22, v99
	s_waitcnt vmcnt(0) lgkmcnt(0)
	v_cndmask_b32_e64 v82, v17, v70, s[34:35]
	v_cndmask_b32_e64 v83, v16, v71, s[34:35]
	;; [unrolled: 1-line block ×4, first 2 shown]
	s_and_saveexec_b64 s[36:37], s[12:13]
	s_cbranch_execz .LBB509_1346
; %bb.1337:
	v_cmp_lt_u32_e64 s[12:13], v23, v98
	s_mov_b64 s[16:17], 0
	s_and_saveexec_b64 s[28:29], s[12:13]
	s_cbranch_execz .LBB509_1345
; %bb.1338:
	s_mov_b64 s[12:13], -1
	s_and_saveexec_b64 s[42:43], s[8:9]
	s_cbranch_execz .LBB509_1344
; %bb.1339:
	v_mul_lo_u32 v18, v84, v6
	v_mul_lo_u32 v19, v85, v7
	v_mad_u64_u32 v[16:17], s[12:13], v85, v6, 0
	v_add3_u32 v17, v17, v19, v18
	v_mul_lo_u32 v20, v82, v6
	v_mul_lo_u32 v21, v83, v7
	v_mad_u64_u32 v[18:19], s[12:13], v83, v6, 0
	v_add3_u32 v19, v19, v21, v20
	v_lshl_add_u64 v[16:17], v[16:17], 3, v[8:9]
	v_lshl_add_u64 v[18:19], v[18:19], 3, v[8:9]
	s_mov_b64 s[44:45], 0
	v_mov_b64_e32 v[20:21], v[6:7]
                                        ; implicit-def: $sgpr46_sgpr47
                                        ; implicit-def: $sgpr48_sgpr49
                                        ; implicit-def: $sgpr16_sgpr17
                                        ; implicit-def: $sgpr50_sgpr51
                                        ; implicit-def: $sgpr52_sgpr53
	s_branch .LBB509_1341
.LBB509_1340:                           ;   in Loop: Header=BB509_1341 Depth=1
	s_or_b64 exec, exec, s[54:55]
	s_and_b64 s[12:13], exec, s[48:49]
	s_or_b64 s[44:45], s[12:13], s[44:45]
	s_andn2_b64 s[12:13], s[52:53], exec
	s_and_b64 s[18:19], s[50:51], exec
	s_or_b64 s[52:53], s[12:13], s[18:19]
	s_andn2_b64 s[12:13], s[46:47], exec
	s_and_b64 s[18:19], s[16:17], exec
	s_or_b64 s[46:47], s[12:13], s[18:19]
	s_andn2_b64 exec, exec, s[44:45]
	s_cbranch_execz .LBB509_1343
.LBB509_1341:                           ; =>This Inner Loop Header: Depth=1
	flat_load_dwordx2 v[86:87], v[18:19]
	flat_load_dwordx2 v[96:97], v[16:17]
	s_andn2_b64 s[54:55], s[16:17], exec
	s_andn2_b64 s[50:51], s[50:51], exec
	s_or_b64 s[48:49], s[48:49], exec
	s_waitcnt vmcnt(0) lgkmcnt(0)
	v_cmp_le_i64_e64 s[16:17], v[86:87], v[96:97]
	v_cmp_lt_i64_e64 s[12:13], v[86:87], v[96:97]
	s_and_b64 s[16:17], s[16:17], s[52:53]
	s_or_b64 s[56:57], s[12:13], s[16:17]
	s_and_b64 s[12:13], s[56:57], exec
	v_cmp_eq_u64_e64 s[18:19], v[86:87], v[96:97]
	s_or_b64 s[16:17], s[54:55], s[12:13]
	s_and_saveexec_b64 s[54:55], s[18:19]
	s_cbranch_execz .LBB509_1340
; %bb.1342:                             ;   in Loop: Header=BB509_1341 Depth=1
	v_lshl_add_u64 v[20:21], v[20:21], 0, -1
	v_cmp_eq_u64_e64 s[12:13], 0, v[20:21]
	s_andn2_b64 s[18:19], s[50:51], exec
	s_and_b64 s[50:51], s[56:57], exec
	s_or_b64 s[50:51], s[18:19], s[50:51]
	s_andn2_b64 s[18:19], s[48:49], exec
	s_and_b64 s[12:13], s[12:13], exec
	v_lshl_add_u64 v[16:17], v[16:17], 0, 8
	v_lshl_add_u64 v[18:19], v[18:19], 0, 8
	s_andn2_b64 s[16:17], s[16:17], exec
	s_or_b64 s[48:49], s[18:19], s[12:13]
                                        ; implicit-def: $sgpr52_sgpr53
	s_branch .LBB509_1340
.LBB509_1343:
	s_or_b64 exec, exec, s[44:45]
	s_xor_b64 s[12:13], s[46:47], -1
	s_orn2_b64 s[12:13], s[12:13], exec
.LBB509_1344:
	s_or_b64 exec, exec, s[42:43]
	s_and_b64 s[16:17], s[12:13], exec
.LBB509_1345:
	s_or_b64 exec, exec, s[28:29]
	s_orn2_b64 s[28:29], s[16:17], exec
.LBB509_1346:
	s_or_b64 exec, exec, s[36:37]
	v_cndmask_b32_e64 v16, v22, v23, s[28:29]
	v_cndmask_b32_e64 v17, v99, v98, s[28:29]
	v_add_u32_e32 v20, 1, v16
	v_add_u32_e32 v16, -1, v17
	v_min_u32_e32 v16, v20, v16
	v_mov_b32_e32 v17, 0
	v_lshl_add_u64 v[18:19], v[16:17], 3, v[66:67]
	flat_load_dwordx2 v[18:19], v[18:19]
	v_cndmask_b32_e64 v100, v20, v22, s[28:29]
	s_mov_b64 s[36:37], -1
	v_cndmask_b32_e64 v101, v23, v20, s[28:29]
	v_cmp_lt_u32_e64 s[12:13], v100, v99
	s_mov_b64 s[42:43], -1
	s_waitcnt vmcnt(0) lgkmcnt(0)
	v_cndmask_b32_e64 v86, v19, v82, s[28:29]
	v_cndmask_b32_e64 v87, v18, v83, s[28:29]
	;; [unrolled: 1-line block ×4, first 2 shown]
	s_and_saveexec_b64 s[44:45], s[12:13]
	s_cbranch_execz .LBB509_1356
; %bb.1347:
	v_cmp_lt_u32_e64 s[12:13], v101, v98
	s_mov_b64 s[16:17], 0
	s_and_saveexec_b64 s[42:43], s[12:13]
	s_cbranch_execz .LBB509_1355
; %bb.1348:
	s_mov_b64 s[12:13], -1
	s_and_saveexec_b64 s[46:47], s[8:9]
	s_cbranch_execz .LBB509_1354
; %bb.1349:
	v_mul_lo_u32 v16, v96, v6
	v_mul_lo_u32 v20, v97, v7
	v_mad_u64_u32 v[18:19], s[12:13], v97, v6, 0
	v_add3_u32 v19, v19, v20, v16
	v_mul_lo_u32 v16, v86, v6
	v_mul_lo_u32 v22, v87, v7
	v_mad_u64_u32 v[20:21], s[12:13], v87, v6, 0
	v_add3_u32 v21, v21, v22, v16
	v_lshl_add_u64 v[18:19], v[18:19], 3, v[8:9]
	v_lshl_add_u64 v[20:21], v[20:21], 3, v[8:9]
	s_mov_b64 s[48:49], 0
	v_mov_b64_e32 v[22:23], v[6:7]
                                        ; implicit-def: $sgpr50_sgpr51
                                        ; implicit-def: $sgpr52_sgpr53
                                        ; implicit-def: $sgpr16_sgpr17
                                        ; implicit-def: $sgpr54_sgpr55
                                        ; implicit-def: $sgpr56_sgpr57
	s_branch .LBB509_1351
.LBB509_1350:                           ;   in Loop: Header=BB509_1351 Depth=1
	s_or_b64 exec, exec, s[58:59]
	s_and_b64 s[12:13], exec, s[52:53]
	s_or_b64 s[48:49], s[12:13], s[48:49]
	s_andn2_b64 s[12:13], s[56:57], exec
	s_and_b64 s[18:19], s[54:55], exec
	s_or_b64 s[56:57], s[12:13], s[18:19]
	s_andn2_b64 s[12:13], s[50:51], exec
	s_and_b64 s[18:19], s[16:17], exec
	s_or_b64 s[50:51], s[12:13], s[18:19]
	s_andn2_b64 exec, exec, s[48:49]
	s_cbranch_execz .LBB509_1353
.LBB509_1351:                           ; =>This Inner Loop Header: Depth=1
	flat_load_dwordx2 v[102:103], v[20:21]
	flat_load_dwordx2 v[112:113], v[18:19]
	s_andn2_b64 s[58:59], s[16:17], exec
	s_andn2_b64 s[54:55], s[54:55], exec
	s_or_b64 s[52:53], s[52:53], exec
	s_waitcnt vmcnt(0) lgkmcnt(0)
	v_cmp_le_i64_e64 s[16:17], v[102:103], v[112:113]
	v_cmp_lt_i64_e64 s[12:13], v[102:103], v[112:113]
	s_and_b64 s[16:17], s[16:17], s[56:57]
	s_or_b64 s[60:61], s[12:13], s[16:17]
	s_and_b64 s[12:13], s[60:61], exec
	v_cmp_eq_u64_e64 s[18:19], v[102:103], v[112:113]
	s_or_b64 s[16:17], s[58:59], s[12:13]
	s_and_saveexec_b64 s[58:59], s[18:19]
	s_cbranch_execz .LBB509_1350
; %bb.1352:                             ;   in Loop: Header=BB509_1351 Depth=1
	v_lshl_add_u64 v[22:23], v[22:23], 0, -1
	v_cmp_eq_u64_e64 s[12:13], 0, v[22:23]
	s_andn2_b64 s[18:19], s[54:55], exec
	s_and_b64 s[54:55], s[60:61], exec
	s_or_b64 s[54:55], s[18:19], s[54:55]
	s_andn2_b64 s[18:19], s[52:53], exec
	s_and_b64 s[12:13], s[12:13], exec
	v_lshl_add_u64 v[18:19], v[18:19], 0, 8
	v_lshl_add_u64 v[20:21], v[20:21], 0, 8
	s_andn2_b64 s[16:17], s[16:17], exec
	s_or_b64 s[52:53], s[18:19], s[12:13]
                                        ; implicit-def: $sgpr56_sgpr57
	s_branch .LBB509_1350
.LBB509_1353:
	s_or_b64 exec, exec, s[48:49]
	s_xor_b64 s[12:13], s[50:51], -1
	s_orn2_b64 s[12:13], s[12:13], exec
.LBB509_1354:
	s_or_b64 exec, exec, s[46:47]
	s_and_b64 s[16:17], s[12:13], exec
.LBB509_1355:
	s_or_b64 exec, exec, s[42:43]
	s_orn2_b64 s[42:43], s[16:17], exec
.LBB509_1356:
	s_or_b64 exec, exec, s[44:45]
	v_cndmask_b32_e64 v16, v100, v101, s[42:43]
	v_cndmask_b32_e64 v18, v99, v98, s[42:43]
	v_add_u32_e32 v19, 1, v16
	v_add_u32_e32 v16, -1, v18
	v_min_u32_e32 v16, v19, v16
	v_lshl_add_u64 v[16:17], v[16:17], 3, v[66:67]
	flat_load_dwordx2 v[16:17], v[16:17]
	v_cndmask_b32_e64 v103, v19, v100, s[42:43]
	v_cndmask_b32_e64 v100, v101, v19, s[42:43]
	v_cmp_lt_u32_e64 s[12:13], v103, v99
	s_waitcnt vmcnt(0) lgkmcnt(0)
	v_cndmask_b32_e64 v101, v17, v86, s[42:43]
	v_cndmask_b32_e64 v102, v16, v87, s[42:43]
	;; [unrolled: 1-line block ×4, first 2 shown]
	s_and_saveexec_b64 s[44:45], s[12:13]
	s_cbranch_execz .LBB509_1366
; %bb.1357:
	v_cmp_lt_u32_e64 s[12:13], v100, v98
	s_mov_b64 s[16:17], 0
	s_and_saveexec_b64 s[36:37], s[12:13]
	s_cbranch_execz .LBB509_1365
; %bb.1358:
	s_mov_b64 s[12:13], -1
	s_and_saveexec_b64 s[46:47], s[8:9]
	s_cbranch_execz .LBB509_1364
; %bb.1359:
	v_mul_lo_u32 v18, v112, v6
	v_mul_lo_u32 v19, v113, v7
	v_mad_u64_u32 v[16:17], s[12:13], v113, v6, 0
	v_add3_u32 v17, v17, v19, v18
	v_mul_lo_u32 v20, v101, v6
	v_mul_lo_u32 v21, v102, v7
	v_mad_u64_u32 v[18:19], s[12:13], v102, v6, 0
	v_add3_u32 v19, v19, v21, v20
	v_lshl_add_u64 v[16:17], v[16:17], 3, v[8:9]
	v_lshl_add_u64 v[18:19], v[18:19], 3, v[8:9]
	s_mov_b64 s[48:49], 0
	v_mov_b64_e32 v[20:21], v[6:7]
                                        ; implicit-def: $sgpr50_sgpr51
                                        ; implicit-def: $sgpr52_sgpr53
                                        ; implicit-def: $sgpr16_sgpr17
                                        ; implicit-def: $sgpr54_sgpr55
                                        ; implicit-def: $sgpr56_sgpr57
	s_branch .LBB509_1361
.LBB509_1360:                           ;   in Loop: Header=BB509_1361 Depth=1
	s_or_b64 exec, exec, s[58:59]
	s_and_b64 s[12:13], exec, s[52:53]
	s_or_b64 s[48:49], s[12:13], s[48:49]
	s_andn2_b64 s[12:13], s[56:57], exec
	s_and_b64 s[18:19], s[54:55], exec
	s_or_b64 s[56:57], s[12:13], s[18:19]
	s_andn2_b64 s[12:13], s[50:51], exec
	s_and_b64 s[18:19], s[16:17], exec
	s_or_b64 s[50:51], s[12:13], s[18:19]
	s_andn2_b64 exec, exec, s[48:49]
	s_cbranch_execz .LBB509_1363
.LBB509_1361:                           ; =>This Inner Loop Header: Depth=1
	flat_load_dwordx2 v[22:23], v[18:19]
	flat_load_dwordx2 v[114:115], v[16:17]
	s_andn2_b64 s[58:59], s[16:17], exec
	s_andn2_b64 s[54:55], s[54:55], exec
	s_or_b64 s[52:53], s[52:53], exec
	s_waitcnt vmcnt(0) lgkmcnt(0)
	v_cmp_le_i64_e64 s[16:17], v[22:23], v[114:115]
	v_cmp_lt_i64_e64 s[12:13], v[22:23], v[114:115]
	s_and_b64 s[16:17], s[16:17], s[56:57]
	s_or_b64 s[60:61], s[12:13], s[16:17]
	s_and_b64 s[12:13], s[60:61], exec
	v_cmp_eq_u64_e64 s[18:19], v[22:23], v[114:115]
	s_or_b64 s[16:17], s[58:59], s[12:13]
	s_and_saveexec_b64 s[58:59], s[18:19]
	s_cbranch_execz .LBB509_1360
; %bb.1362:                             ;   in Loop: Header=BB509_1361 Depth=1
	v_lshl_add_u64 v[20:21], v[20:21], 0, -1
	v_cmp_eq_u64_e64 s[12:13], 0, v[20:21]
	s_andn2_b64 s[18:19], s[54:55], exec
	s_and_b64 s[54:55], s[60:61], exec
	s_or_b64 s[54:55], s[18:19], s[54:55]
	s_andn2_b64 s[18:19], s[52:53], exec
	s_and_b64 s[12:13], s[12:13], exec
	v_lshl_add_u64 v[16:17], v[16:17], 0, 8
	v_lshl_add_u64 v[18:19], v[18:19], 0, 8
	s_andn2_b64 s[16:17], s[16:17], exec
	s_or_b64 s[52:53], s[18:19], s[12:13]
                                        ; implicit-def: $sgpr56_sgpr57
	s_branch .LBB509_1360
.LBB509_1363:
	s_or_b64 exec, exec, s[48:49]
	s_xor_b64 s[12:13], s[50:51], -1
	s_orn2_b64 s[12:13], s[12:13], exec
.LBB509_1364:
	s_or_b64 exec, exec, s[46:47]
	s_and_b64 s[16:17], s[12:13], exec
.LBB509_1365:
	s_or_b64 exec, exec, s[36:37]
	s_orn2_b64 s[36:37], s[16:17], exec
.LBB509_1366:
	s_or_b64 exec, exec, s[44:45]
	v_cndmask_b32_e64 v16, v103, v100, s[36:37]
	v_cndmask_b32_e64 v17, v99, v98, s[36:37]
	v_add_u32_e32 v114, 1, v16
	v_add_u32_e32 v16, -1, v17
	v_min_u32_e32 v16, v114, v16
	v_mov_b32_e32 v17, 0
	v_lshl_add_u64 v[16:17], v[16:17], 3, v[66:67]
	flat_load_dwordx2 v[66:67], v[16:17]
	v_cndmask_b32_e64 v21, v27, v68, s[24:25]
	v_cndmask_b32_e64 v27, v1, v25, s[26:27]
	;; [unrolled: 1-line block ×15, first 2 shown]
	v_cmp_lt_u32_e64 s[12:13], v1, v99
	s_waitcnt vmcnt(0) lgkmcnt(0)
	v_cndmask_b32_e64 v15, v112, v67, s[36:37]
	v_cndmask_b32_e64 v14, v113, v66, s[36:37]
	s_and_saveexec_b64 s[22:23], s[12:13]
	s_cbranch_execz .LBB509_1376
; %bb.1367:
	v_cndmask_b32_e64 v1, v100, v114, s[36:37]
	v_cndmask_b32_e64 v67, v67, v101, s[36:37]
	;; [unrolled: 1-line block ×3, first 2 shown]
	v_cmp_lt_u32_e64 s[12:13], v1, v98
	s_and_saveexec_b64 s[24:25], s[12:13]
	s_cbranch_execz .LBB509_1375
; %bb.1368:
	s_and_saveexec_b64 s[26:27], s[8:9]
	s_cbranch_execz .LBB509_1374
; %bb.1369:
	v_mul_lo_u32 v1, v15, v6
	v_mul_lo_u32 v31, v14, v7
	v_mad_u64_u32 v[68:69], s[12:13], v14, v6, 0
	v_add3_u32 v69, v69, v31, v1
	v_mul_lo_u32 v1, v67, v6
	v_mul_lo_u32 v31, v66, v7
	v_mad_u64_u32 v[70:71], s[12:13], v66, v6, 0
	v_add3_u32 v71, v71, v31, v1
	v_lshl_add_u64 v[68:69], v[68:69], 3, v[8:9]
	v_lshl_add_u64 v[70:71], v[70:71], 3, v[8:9]
	s_mov_b64 s[28:29], 0
	v_mov_b64_e32 v[80:81], v[6:7]
                                        ; implicit-def: $sgpr34_sgpr35
                                        ; implicit-def: $sgpr36_sgpr37
                                        ; implicit-def: $sgpr16_sgpr17
                                        ; implicit-def: $sgpr42_sgpr43
                                        ; implicit-def: $sgpr44_sgpr45
	s_branch .LBB509_1371
.LBB509_1370:                           ;   in Loop: Header=BB509_1371 Depth=1
	s_or_b64 exec, exec, s[46:47]
	s_and_b64 s[12:13], exec, s[36:37]
	s_or_b64 s[28:29], s[12:13], s[28:29]
	s_andn2_b64 s[12:13], s[44:45], exec
	s_and_b64 s[18:19], s[42:43], exec
	s_or_b64 s[44:45], s[12:13], s[18:19]
	s_andn2_b64 s[12:13], s[34:35], exec
	s_and_b64 s[18:19], s[16:17], exec
	s_or_b64 s[34:35], s[12:13], s[18:19]
	s_andn2_b64 exec, exec, s[28:29]
	s_cbranch_execz .LBB509_1373
.LBB509_1371:                           ; =>This Inner Loop Header: Depth=1
	flat_load_dwordx2 v[82:83], v[70:71]
	flat_load_dwordx2 v[84:85], v[68:69]
	s_andn2_b64 s[46:47], s[16:17], exec
	s_andn2_b64 s[42:43], s[42:43], exec
	s_or_b64 s[36:37], s[36:37], exec
	s_waitcnt vmcnt(0) lgkmcnt(0)
	v_cmp_le_i64_e64 s[16:17], v[82:83], v[84:85]
	v_cmp_lt_i64_e64 s[12:13], v[82:83], v[84:85]
	s_and_b64 s[16:17], s[16:17], s[44:45]
	s_or_b64 s[48:49], s[12:13], s[16:17]
	s_and_b64 s[12:13], s[48:49], exec
	v_cmp_eq_u64_e64 s[18:19], v[82:83], v[84:85]
	s_or_b64 s[16:17], s[46:47], s[12:13]
	s_and_saveexec_b64 s[46:47], s[18:19]
	s_cbranch_execz .LBB509_1370
; %bb.1372:                             ;   in Loop: Header=BB509_1371 Depth=1
	v_lshl_add_u64 v[80:81], v[80:81], 0, -1
	v_cmp_eq_u64_e64 s[12:13], 0, v[80:81]
	s_andn2_b64 s[18:19], s[42:43], exec
	s_and_b64 s[42:43], s[48:49], exec
	s_or_b64 s[42:43], s[18:19], s[42:43]
	s_andn2_b64 s[18:19], s[36:37], exec
	s_and_b64 s[12:13], s[12:13], exec
	v_lshl_add_u64 v[68:69], v[68:69], 0, 8
	v_lshl_add_u64 v[70:71], v[70:71], 0, 8
	s_andn2_b64 s[16:17], s[16:17], exec
	s_or_b64 s[36:37], s[18:19], s[12:13]
                                        ; implicit-def: $sgpr44_sgpr45
	s_branch .LBB509_1370
.LBB509_1373:
	s_or_b64 exec, exec, s[28:29]
	v_cndmask_b32_e64 v15, v15, v67, s[34:35]
	v_cndmask_b32_e64 v14, v14, v66, s[34:35]
.LBB509_1374:
	s_or_b64 exec, exec, s[26:27]
	v_mov_b64_e32 v[66:67], v[14:15]
.LBB509_1375:
	s_or_b64 exec, exec, s[24:25]
	v_mov_b64_e32 v[14:15], v[66:67]
.LBB509_1376:
	s_or_b64 exec, exec, s[22:23]
.LBB509_1377:
	s_or_b64 exec, exec, s[20:21]
	s_movk_i32 s68, 0x80
	v_cmp_lt_u32_e64 s[12:13], s68, v0
	; wave barrier
	s_waitcnt lgkmcnt(0)
	s_barrier
	s_and_saveexec_b64 s[20:21], s[12:13]
	s_cbranch_execz .LBB509_1475
; %bb.1378:
	v_lshlrev_b32_e32 v66, 3, v30
	v_mov_b32_e32 v67, 0
	v_lshl_add_u64 v[68:69], v[10:11], 0, v[66:67]
	s_mov_b64 s[22:23], 0
	s_branch .LBB509_1384
.LBB509_1379:                           ;   in Loop: Header=BB509_1384 Depth=1
	s_or_b64 exec, exec, s[54:55]
	v_cndmask_b32_e64 v15, v15, v17, s[56:57]
	v_cndmask_b32_e64 v14, v14, v16, s[56:57]
.LBB509_1380:                           ;   in Loop: Header=BB509_1384 Depth=1
	s_or_b64 exec, exec, s[52:53]
	v_mov_b64_e32 v[16:17], v[14:15]
.LBB509_1381:                           ;   in Loop: Header=BB509_1384 Depth=1
	s_or_b64 exec, exec, s[50:51]
	v_mov_b64_e32 v[14:15], v[16:17]
.LBB509_1382:                           ;   in Loop: Header=BB509_1384 Depth=1
	s_or_b64 exec, exec, s[48:49]
	v_cndmask_b32_e64 v19, v100, v102, s[46:47]
	v_cndmask_b32_e64 v18, v101, v103, s[46:47]
	;; [unrolled: 1-line block ×14, first 2 shown]
.LBB509_1383:                           ;   in Loop: Header=BB509_1384 Depth=1
	s_or_b64 exec, exec, s[24:25]
	v_cmp_ge_u32_e64 s[12:13], s68, v0
	s_or_b64 s[22:23], s[12:13], s[22:23]
	s_barrier
	s_andn2_b64 exec, exec, s[22:23]
	s_cbranch_execz .LBB509_1474
.LBB509_1384:                           ; =>This Loop Header: Depth=1
                                        ;     Child Loop BB509_1388 Depth 2
                                        ;       Child Loop BB509_1391 Depth 3
                                        ;     Child Loop BB509_1403 Depth 2
                                        ;     Child Loop BB509_1412 Depth 2
	;; [unrolled: 1-line block ×8, first 2 shown]
	s_mov_b32 s12, s68
	s_lshl_b32 s68, s68, 1
	s_sub_i32 s16, 0, s68
	v_and_b32_e32 v31, s16, v30
	v_add_u32_e32 v1, s12, v31
	v_min_u32_e32 v70, v1, v0
	s_add_i32 s13, s68, -1
	v_add_u32_e32 v1, s12, v70
	v_min_u32_e32 v1, v1, v0
	v_and_b32_e32 v66, s13, v30
	v_min_u32_e32 v100, v66, v0
	v_sub_u32_e32 v66, v70, v31
	v_sub_u32_e32 v71, v1, v70
	v_sub_u32_e64 v101, v100, v71 clamp
	v_min_u32_e32 v102, v100, v66
	v_cmp_lt_u32_e64 s[12:13], v101, v102
	flat_store_dwordx4 v[68:69], v[24:27]
	flat_store_dwordx4 v[68:69], v[20:23] offset:16
	flat_store_dwordx4 v[68:69], v[16:19] offset:32
	;; [unrolled: 1-line block ×3, first 2 shown]
	s_waitcnt lgkmcnt(0)
	s_barrier
	s_and_saveexec_b64 s[24:25], s[12:13]
	s_cbranch_execz .LBB509_1394
; %bb.1385:                             ;   in Loop: Header=BB509_1384 Depth=1
	v_lshlrev_b32_e32 v66, 3, v31
	v_mov_b32_e32 v71, v67
	v_lshl_add_u64 v[80:81], v[10:11], 0, v[66:67]
	v_lshl_add_u64 v[82:83], v[70:71], 3, v[10:11]
	s_mov_b64 s[26:27], 0
	s_branch .LBB509_1388
.LBB509_1386:                           ;   in Loop: Header=BB509_1388 Depth=2
	s_or_b64 exec, exec, s[34:35]
	s_and_b64 s[12:13], s[36:37], exec
.LBB509_1387:                           ;   in Loop: Header=BB509_1388 Depth=2
	s_or_b64 exec, exec, s[28:29]
	v_add_u32_e32 v66, 1, v84
	v_cndmask_b32_e64 v102, v102, v84, s[12:13]
	v_cndmask_b32_e64 v101, v66, v101, s[12:13]
	v_cmp_ge_u32_e64 s[12:13], v101, v102
	s_or_b64 s[26:27], s[12:13], s[26:27]
	s_andn2_b64 exec, exec, s[26:27]
	s_cbranch_execz .LBB509_1393
.LBB509_1388:                           ;   Parent Loop BB509_1384 Depth=1
                                        ; =>  This Loop Header: Depth=2
                                        ;       Child Loop BB509_1391 Depth 3
	v_add_u32_e32 v66, v102, v101
	v_lshrrev_b32_e32 v84, 1, v66
	s_mov_b64 s[12:13], 0
	s_and_saveexec_b64 s[28:29], s[8:9]
	s_cbranch_execz .LBB509_1387
; %bb.1389:                             ;   in Loop: Header=BB509_1388 Depth=2
	v_mov_b32_e32 v85, v67
	v_xad_u32 v66, v84, -1, v100
	v_lshl_add_u64 v[86:87], v[84:85], 3, v[80:81]
	v_lshl_add_u64 v[96:97], v[66:67], 3, v[82:83]
	flat_load_dwordx2 v[86:87], v[86:87]
	s_mov_b64 s[34:35], 0
	flat_load_dwordx2 v[96:97], v[96:97]
                                        ; implicit-def: $sgpr36_sgpr37
                                        ; implicit-def: $sgpr42_sgpr43
                                        ; implicit-def: $sgpr44_sgpr45
                                        ; implicit-def: $sgpr16_sgpr17
                                        ; implicit-def: $sgpr46_sgpr47
	s_waitcnt vmcnt(0) lgkmcnt(0)
	v_mul_lo_u32 v66, v64, v87
	v_mul_lo_u32 v71, v65, v86
	v_mad_u64_u32 v[86:87], s[12:13], v64, v86, v[8:9]
	v_mul_lo_u32 v85, v64, v97
	v_mul_lo_u32 v98, v65, v96
	v_mad_u64_u32 v[96:97], s[12:13], v64, v96, v[8:9]
	v_add3_u32 v87, v71, v87, v66
	v_add3_u32 v97, v98, v97, v85
	v_mov_b64_e32 v[98:99], v[6:7]
	s_branch .LBB509_1391
.LBB509_1390:                           ;   in Loop: Header=BB509_1391 Depth=3
	s_or_b64 exec, exec, s[48:49]
	s_and_b64 s[12:13], exec, s[42:43]
	s_or_b64 s[34:35], s[12:13], s[34:35]
	s_andn2_b64 s[12:13], s[46:47], exec
	s_and_b64 s[18:19], s[44:45], exec
	s_or_b64 s[46:47], s[12:13], s[18:19]
	s_andn2_b64 s[12:13], s[36:37], exec
	s_and_b64 s[18:19], s[16:17], exec
	s_or_b64 s[36:37], s[12:13], s[18:19]
	s_andn2_b64 exec, exec, s[34:35]
	s_cbranch_execz .LBB509_1386
.LBB509_1391:                           ;   Parent Loop BB509_1384 Depth=1
                                        ;     Parent Loop BB509_1388 Depth=2
                                        ; =>    This Inner Loop Header: Depth=3
	flat_load_dwordx2 v[112:113], v[96:97]
	flat_load_dwordx2 v[114:115], v[86:87]
	s_andn2_b64 s[48:49], s[16:17], exec
	s_andn2_b64 s[44:45], s[44:45], exec
	s_or_b64 s[42:43], s[42:43], exec
	s_waitcnt vmcnt(0) lgkmcnt(0)
	v_cmp_le_i64_e64 s[16:17], v[112:113], v[114:115]
	v_cmp_lt_i64_e64 s[12:13], v[112:113], v[114:115]
	s_and_b64 s[16:17], s[16:17], s[46:47]
	s_or_b64 s[50:51], s[12:13], s[16:17]
	s_and_b64 s[12:13], s[50:51], exec
	v_cmp_eq_u64_e64 s[18:19], v[112:113], v[114:115]
	s_or_b64 s[16:17], s[48:49], s[12:13]
	s_and_saveexec_b64 s[48:49], s[18:19]
	s_cbranch_execz .LBB509_1390
; %bb.1392:                             ;   in Loop: Header=BB509_1391 Depth=3
	v_lshl_add_u64 v[98:99], v[98:99], 0, -1
	v_cmp_eq_u64_e64 s[12:13], 0, v[98:99]
	s_andn2_b64 s[18:19], s[44:45], exec
	s_and_b64 s[44:45], s[50:51], exec
	s_or_b64 s[44:45], s[18:19], s[44:45]
	s_andn2_b64 s[18:19], s[42:43], exec
	s_and_b64 s[12:13], s[12:13], exec
	v_lshl_add_u64 v[86:87], v[86:87], 0, 8
	v_lshl_add_u64 v[96:97], v[96:97], 0, 8
	s_andn2_b64 s[16:17], s[16:17], exec
	s_or_b64 s[42:43], s[18:19], s[12:13]
                                        ; implicit-def: $sgpr46_sgpr47
	s_branch .LBB509_1390
.LBB509_1393:                           ;   in Loop: Header=BB509_1384 Depth=1
	s_or_b64 exec, exec, s[26:27]
.LBB509_1394:                           ;   in Loop: Header=BB509_1384 Depth=1
	s_or_b64 exec, exec, s[24:25]
	v_sub_u32_e32 v66, v100, v101
	v_add_u32_e32 v80, v101, v31
	v_add_u32_e32 v82, v66, v70
	v_cmp_le_u32_e64 s[12:13], v80, v70
	v_cmp_le_u32_e64 s[16:17], v82, v1
	s_or_b64 s[12:13], s[12:13], s[16:17]
	s_and_saveexec_b64 s[24:25], s[12:13]
	s_cbranch_execz .LBB509_1383
; %bb.1395:                             ;   in Loop: Header=BB509_1384 Depth=1
	v_cmp_ge_u32_e64 s[16:17], v80, v70
	v_cmp_lt_u32_e64 s[12:13], v80, v70
                                        ; implicit-def: $vgpr12_vgpr13
	s_and_saveexec_b64 s[18:19], s[12:13]
	s_cbranch_execz .LBB509_1397
; %bb.1396:                             ;   in Loop: Header=BB509_1384 Depth=1
	v_mov_b32_e32 v81, v67
	v_lshl_add_u64 v[12:13], v[80:81], 3, v[10:11]
	flat_load_dwordx2 v[12:13], v[12:13]
.LBB509_1397:                           ;   in Loop: Header=BB509_1384 Depth=1
	s_or_b64 exec, exec, s[18:19]
	v_cmp_ge_u32_e64 s[26:27], v82, v1
	v_cmp_lt_u32_e64 s[12:13], v82, v1
                                        ; implicit-def: $vgpr24_vgpr25
	s_and_saveexec_b64 s[18:19], s[12:13]
	s_cbranch_execz .LBB509_1399
; %bb.1398:                             ;   in Loop: Header=BB509_1384 Depth=1
	v_mov_b32_e32 v83, v67
	v_lshl_add_u64 v[14:15], v[82:83], 3, v[10:11]
	flat_load_dwordx2 v[24:25], v[14:15]
.LBB509_1399:                           ;   in Loop: Header=BB509_1384 Depth=1
	s_or_b64 exec, exec, s[18:19]
	s_or_b64 s[12:13], s[16:17], s[26:27]
	s_xor_b64 s[12:13], s[12:13], -1
	s_and_saveexec_b64 s[28:29], s[12:13]
	s_cbranch_execz .LBB509_1407
; %bb.1400:                             ;   in Loop: Header=BB509_1384 Depth=1
	s_mov_b64 s[12:13], 0
	s_and_saveexec_b64 s[34:35], s[8:9]
	s_cbranch_execz .LBB509_1406
; %bb.1401:                             ;   in Loop: Header=BB509_1384 Depth=1
	s_waitcnt vmcnt(0) lgkmcnt(0)
	v_mad_u64_u32 v[14:15], s[12:13], v64, v12, v[8:9]
	v_mul_lo_u32 v16, v64, v13
	v_mul_lo_u32 v17, v65, v12
	v_add3_u32 v15, v17, v15, v16
	v_mad_u64_u32 v[16:17], s[12:13], v64, v24, v[8:9]
	v_mul_lo_u32 v18, v64, v25
	v_mul_lo_u32 v19, v65, v24
	v_add3_u32 v17, v19, v17, v18
	s_mov_b64 s[36:37], 0
	v_mov_b64_e32 v[18:19], v[6:7]
                                        ; implicit-def: $sgpr42_sgpr43
                                        ; implicit-def: $sgpr44_sgpr45
                                        ; implicit-def: $sgpr46_sgpr47
                                        ; implicit-def: $sgpr16_sgpr17
                                        ; implicit-def: $sgpr48_sgpr49
	s_branch .LBB509_1403
.LBB509_1402:                           ;   in Loop: Header=BB509_1403 Depth=2
	s_or_b64 exec, exec, s[50:51]
	s_and_b64 s[12:13], exec, s[44:45]
	s_or_b64 s[36:37], s[12:13], s[36:37]
	s_andn2_b64 s[12:13], s[48:49], exec
	s_and_b64 s[18:19], s[46:47], exec
	s_or_b64 s[48:49], s[12:13], s[18:19]
	s_andn2_b64 s[12:13], s[42:43], exec
	s_and_b64 s[18:19], s[16:17], exec
	s_or_b64 s[42:43], s[12:13], s[18:19]
	s_andn2_b64 exec, exec, s[36:37]
	s_cbranch_execz .LBB509_1405
.LBB509_1403:                           ;   Parent Loop BB509_1384 Depth=1
                                        ; =>  This Inner Loop Header: Depth=2
	flat_load_dwordx2 v[20:21], v[16:17]
	flat_load_dwordx2 v[22:23], v[14:15]
	s_andn2_b64 s[50:51], s[16:17], exec
	s_andn2_b64 s[46:47], s[46:47], exec
	s_or_b64 s[44:45], s[44:45], exec
	s_waitcnt vmcnt(0) lgkmcnt(0)
	v_cmp_le_i64_e64 s[16:17], v[20:21], v[22:23]
	v_cmp_lt_i64_e64 s[12:13], v[20:21], v[22:23]
	s_and_b64 s[16:17], s[16:17], s[48:49]
	s_or_b64 s[52:53], s[12:13], s[16:17]
	s_and_b64 s[12:13], s[52:53], exec
	v_cmp_eq_u64_e64 s[18:19], v[20:21], v[22:23]
	s_or_b64 s[16:17], s[50:51], s[12:13]
	s_and_saveexec_b64 s[50:51], s[18:19]
	s_cbranch_execz .LBB509_1402
; %bb.1404:                             ;   in Loop: Header=BB509_1403 Depth=2
	v_lshl_add_u64 v[18:19], v[18:19], 0, -1
	v_cmp_eq_u64_e64 s[12:13], 0, v[18:19]
	s_andn2_b64 s[18:19], s[46:47], exec
	s_and_b64 s[46:47], s[52:53], exec
	s_or_b64 s[46:47], s[18:19], s[46:47]
	s_andn2_b64 s[18:19], s[44:45], exec
	s_and_b64 s[12:13], s[12:13], exec
	v_lshl_add_u64 v[14:15], v[14:15], 0, 8
	v_lshl_add_u64 v[16:17], v[16:17], 0, 8
	s_andn2_b64 s[16:17], s[16:17], exec
	s_or_b64 s[44:45], s[18:19], s[12:13]
                                        ; implicit-def: $sgpr48_sgpr49
	s_branch .LBB509_1402
.LBB509_1405:                           ;   in Loop: Header=BB509_1384 Depth=1
	s_or_b64 exec, exec, s[36:37]
	s_and_b64 s[12:13], s[42:43], exec
.LBB509_1406:                           ;   in Loop: Header=BB509_1384 Depth=1
	s_or_b64 exec, exec, s[34:35]
	s_xor_b64 s[12:13], s[12:13], -1
	s_andn2_b64 s[16:17], s[26:27], exec
	s_and_b64 s[12:13], s[12:13], exec
	s_or_b64 s[26:27], s[16:17], s[12:13]
.LBB509_1407:                           ;   in Loop: Header=BB509_1384 Depth=1
	s_or_b64 exec, exec, s[28:29]
	v_cndmask_b32_e64 v14, v82, v80, s[26:27]
	v_cndmask_b32_e64 v15, v1, v70, s[26:27]
	v_add_u32_e32 v16, 1, v14
	v_add_u32_e32 v14, -1, v15
	v_min_u32_e32 v66, v16, v14
	v_lshl_add_u64 v[14:15], v[66:67], 3, v[10:11]
	flat_load_dwordx2 v[14:15], v[14:15]
	v_cndmask_b32_e64 v20, v16, v82, s[26:27]
	s_mov_b64 s[28:29], -1
	v_cndmask_b32_e64 v21, v80, v16, s[26:27]
	v_cmp_lt_u32_e64 s[12:13], v20, v1
	s_mov_b64 s[34:35], -1
	s_waitcnt vmcnt(0) lgkmcnt(0)
	v_cndmask_b32_e64 v26, v15, v25, s[26:27]
	v_cndmask_b32_e64 v31, v14, v24, s[26:27]
	;; [unrolled: 1-line block ×4, first 2 shown]
	s_and_saveexec_b64 s[36:37], s[12:13]
	s_cbranch_execz .LBB509_1417
; %bb.1408:                             ;   in Loop: Header=BB509_1384 Depth=1
	v_cmp_lt_u32_e64 s[12:13], v21, v70
	s_mov_b64 s[16:17], 0
	s_and_saveexec_b64 s[34:35], s[12:13]
	s_cbranch_execz .LBB509_1416
; %bb.1409:                             ;   in Loop: Header=BB509_1384 Depth=1
	s_mov_b64 s[12:13], 0
	s_and_saveexec_b64 s[42:43], s[8:9]
	s_cbranch_execz .LBB509_1415
; %bb.1410:                             ;   in Loop: Header=BB509_1384 Depth=1
	v_mad_u64_u32 v[14:15], s[12:13], v64, v71, v[8:9]
	v_mul_lo_u32 v16, v64, v27
	v_mul_lo_u32 v17, v65, v71
	v_add3_u32 v15, v17, v15, v16
	v_mad_u64_u32 v[16:17], s[12:13], v64, v31, v[8:9]
	v_mul_lo_u32 v18, v64, v26
	v_mul_lo_u32 v19, v65, v31
	v_add3_u32 v17, v19, v17, v18
	s_mov_b64 s[44:45], 0
	v_mov_b64_e32 v[18:19], v[6:7]
                                        ; implicit-def: $sgpr46_sgpr47
                                        ; implicit-def: $sgpr48_sgpr49
                                        ; implicit-def: $sgpr50_sgpr51
                                        ; implicit-def: $sgpr16_sgpr17
                                        ; implicit-def: $sgpr52_sgpr53
	s_branch .LBB509_1412
.LBB509_1411:                           ;   in Loop: Header=BB509_1412 Depth=2
	s_or_b64 exec, exec, s[54:55]
	s_and_b64 s[12:13], exec, s[48:49]
	s_or_b64 s[44:45], s[12:13], s[44:45]
	s_andn2_b64 s[12:13], s[52:53], exec
	s_and_b64 s[18:19], s[50:51], exec
	s_or_b64 s[52:53], s[12:13], s[18:19]
	s_andn2_b64 s[12:13], s[46:47], exec
	s_and_b64 s[18:19], s[16:17], exec
	s_or_b64 s[46:47], s[12:13], s[18:19]
	s_andn2_b64 exec, exec, s[44:45]
	s_cbranch_execz .LBB509_1414
.LBB509_1412:                           ;   Parent Loop BB509_1384 Depth=1
                                        ; =>  This Inner Loop Header: Depth=2
	flat_load_dwordx2 v[22:23], v[16:17]
	flat_load_dwordx2 v[80:81], v[14:15]
	s_andn2_b64 s[54:55], s[16:17], exec
	s_andn2_b64 s[50:51], s[50:51], exec
	s_or_b64 s[48:49], s[48:49], exec
	s_waitcnt vmcnt(0) lgkmcnt(0)
	v_cmp_le_i64_e64 s[16:17], v[22:23], v[80:81]
	v_cmp_lt_i64_e64 s[12:13], v[22:23], v[80:81]
	s_and_b64 s[16:17], s[16:17], s[52:53]
	s_or_b64 s[56:57], s[12:13], s[16:17]
	s_and_b64 s[12:13], s[56:57], exec
	v_cmp_eq_u64_e64 s[18:19], v[22:23], v[80:81]
	s_or_b64 s[16:17], s[54:55], s[12:13]
	s_and_saveexec_b64 s[54:55], s[18:19]
	s_cbranch_execz .LBB509_1411
; %bb.1413:                             ;   in Loop: Header=BB509_1412 Depth=2
	v_lshl_add_u64 v[18:19], v[18:19], 0, -1
	v_cmp_eq_u64_e64 s[12:13], 0, v[18:19]
	s_andn2_b64 s[18:19], s[50:51], exec
	s_and_b64 s[50:51], s[56:57], exec
	s_or_b64 s[50:51], s[18:19], s[50:51]
	s_andn2_b64 s[18:19], s[48:49], exec
	s_and_b64 s[12:13], s[12:13], exec
	v_lshl_add_u64 v[14:15], v[14:15], 0, 8
	v_lshl_add_u64 v[16:17], v[16:17], 0, 8
	s_andn2_b64 s[16:17], s[16:17], exec
	s_or_b64 s[48:49], s[18:19], s[12:13]
                                        ; implicit-def: $sgpr52_sgpr53
	s_branch .LBB509_1411
.LBB509_1414:                           ;   in Loop: Header=BB509_1384 Depth=1
	s_or_b64 exec, exec, s[44:45]
	s_and_b64 s[12:13], s[46:47], exec
.LBB509_1415:                           ;   in Loop: Header=BB509_1384 Depth=1
	s_or_b64 exec, exec, s[42:43]
	s_xor_b64 s[12:13], s[12:13], -1
	s_and_b64 s[16:17], s[12:13], exec
.LBB509_1416:                           ;   in Loop: Header=BB509_1384 Depth=1
	s_or_b64 exec, exec, s[34:35]
	s_orn2_b64 s[34:35], s[16:17], exec
.LBB509_1417:                           ;   in Loop: Header=BB509_1384 Depth=1
	s_or_b64 exec, exec, s[36:37]
	v_cndmask_b32_e64 v14, v20, v21, s[34:35]
	v_cndmask_b32_e64 v15, v1, v70, s[34:35]
	v_add_u32_e32 v16, 1, v14
	v_add_u32_e32 v14, -1, v15
	v_min_u32_e32 v66, v16, v14
	v_lshl_add_u64 v[14:15], v[66:67], 3, v[10:11]
	flat_load_dwordx2 v[14:15], v[14:15]
	v_cndmask_b32_e64 v20, v16, v20, s[34:35]
	v_cndmask_b32_e64 v21, v21, v16, s[34:35]
	v_cmp_lt_u32_e64 s[12:13], v20, v1
	s_waitcnt vmcnt(0) lgkmcnt(0)
	v_cndmask_b32_e64 v80, v15, v26, s[34:35]
	v_cndmask_b32_e64 v81, v14, v31, s[34:35]
	;; [unrolled: 1-line block ×4, first 2 shown]
	s_and_saveexec_b64 s[36:37], s[12:13]
	s_cbranch_execz .LBB509_1427
; %bb.1418:                             ;   in Loop: Header=BB509_1384 Depth=1
	v_cmp_lt_u32_e64 s[12:13], v21, v70
	s_mov_b64 s[16:17], 0
	s_and_saveexec_b64 s[28:29], s[12:13]
	s_cbranch_execz .LBB509_1426
; %bb.1419:                             ;   in Loop: Header=BB509_1384 Depth=1
	s_mov_b64 s[12:13], 0
	s_and_saveexec_b64 s[42:43], s[8:9]
	s_cbranch_execz .LBB509_1425
; %bb.1420:                             ;   in Loop: Header=BB509_1384 Depth=1
	v_mad_u64_u32 v[14:15], s[12:13], v64, v83, v[8:9]
	v_mul_lo_u32 v16, v64, v82
	v_mul_lo_u32 v17, v65, v83
	v_add3_u32 v15, v17, v15, v16
	v_mad_u64_u32 v[16:17], s[12:13], v64, v81, v[8:9]
	v_mul_lo_u32 v18, v64, v80
	v_mul_lo_u32 v19, v65, v81
	v_add3_u32 v17, v19, v17, v18
	s_mov_b64 s[44:45], 0
	v_mov_b64_e32 v[18:19], v[6:7]
                                        ; implicit-def: $sgpr46_sgpr47
                                        ; implicit-def: $sgpr48_sgpr49
                                        ; implicit-def: $sgpr50_sgpr51
                                        ; implicit-def: $sgpr16_sgpr17
                                        ; implicit-def: $sgpr52_sgpr53
	s_branch .LBB509_1422
.LBB509_1421:                           ;   in Loop: Header=BB509_1422 Depth=2
	s_or_b64 exec, exec, s[54:55]
	s_and_b64 s[12:13], exec, s[48:49]
	s_or_b64 s[44:45], s[12:13], s[44:45]
	s_andn2_b64 s[12:13], s[52:53], exec
	s_and_b64 s[18:19], s[50:51], exec
	s_or_b64 s[52:53], s[12:13], s[18:19]
	s_andn2_b64 s[12:13], s[46:47], exec
	s_and_b64 s[18:19], s[16:17], exec
	s_or_b64 s[46:47], s[12:13], s[18:19]
	s_andn2_b64 exec, exec, s[44:45]
	s_cbranch_execz .LBB509_1424
.LBB509_1422:                           ;   Parent Loop BB509_1384 Depth=1
                                        ; =>  This Inner Loop Header: Depth=2
	flat_load_dwordx2 v[22:23], v[16:17]
	flat_load_dwordx2 v[84:85], v[14:15]
	s_andn2_b64 s[54:55], s[16:17], exec
	s_andn2_b64 s[50:51], s[50:51], exec
	s_or_b64 s[48:49], s[48:49], exec
	s_waitcnt vmcnt(0) lgkmcnt(0)
	v_cmp_le_i64_e64 s[16:17], v[22:23], v[84:85]
	v_cmp_lt_i64_e64 s[12:13], v[22:23], v[84:85]
	s_and_b64 s[16:17], s[16:17], s[52:53]
	s_or_b64 s[56:57], s[12:13], s[16:17]
	s_and_b64 s[12:13], s[56:57], exec
	v_cmp_eq_u64_e64 s[18:19], v[22:23], v[84:85]
	s_or_b64 s[16:17], s[54:55], s[12:13]
	s_and_saveexec_b64 s[54:55], s[18:19]
	s_cbranch_execz .LBB509_1421
; %bb.1423:                             ;   in Loop: Header=BB509_1422 Depth=2
	v_lshl_add_u64 v[18:19], v[18:19], 0, -1
	v_cmp_eq_u64_e64 s[12:13], 0, v[18:19]
	s_andn2_b64 s[18:19], s[50:51], exec
	s_and_b64 s[50:51], s[56:57], exec
	s_or_b64 s[50:51], s[18:19], s[50:51]
	s_andn2_b64 s[18:19], s[48:49], exec
	s_and_b64 s[12:13], s[12:13], exec
	v_lshl_add_u64 v[14:15], v[14:15], 0, 8
	v_lshl_add_u64 v[16:17], v[16:17], 0, 8
	s_andn2_b64 s[16:17], s[16:17], exec
	s_or_b64 s[48:49], s[18:19], s[12:13]
                                        ; implicit-def: $sgpr52_sgpr53
	s_branch .LBB509_1421
.LBB509_1424:                           ;   in Loop: Header=BB509_1384 Depth=1
	s_or_b64 exec, exec, s[44:45]
	s_and_b64 s[12:13], s[46:47], exec
.LBB509_1425:                           ;   in Loop: Header=BB509_1384 Depth=1
	s_or_b64 exec, exec, s[42:43]
	s_xor_b64 s[12:13], s[12:13], -1
	s_and_b64 s[16:17], s[12:13], exec
.LBB509_1426:                           ;   in Loop: Header=BB509_1384 Depth=1
	s_or_b64 exec, exec, s[28:29]
	s_orn2_b64 s[28:29], s[16:17], exec
.LBB509_1427:                           ;   in Loop: Header=BB509_1384 Depth=1
	s_or_b64 exec, exec, s[36:37]
	v_cndmask_b32_e64 v14, v20, v21, s[28:29]
	v_cndmask_b32_e64 v15, v1, v70, s[28:29]
	v_add_u32_e32 v16, 1, v14
	v_add_u32_e32 v14, -1, v15
	v_min_u32_e32 v66, v16, v14
	v_lshl_add_u64 v[14:15], v[66:67], 3, v[10:11]
	flat_load_dwordx2 v[14:15], v[14:15]
	v_cndmask_b32_e64 v20, v16, v20, s[28:29]
	s_mov_b64 s[36:37], -1
	v_cndmask_b32_e64 v21, v21, v16, s[28:29]
	v_cmp_lt_u32_e64 s[12:13], v20, v1
	s_mov_b64 s[42:43], -1
	s_waitcnt vmcnt(0) lgkmcnt(0)
	v_cndmask_b32_e64 v84, v15, v80, s[28:29]
	v_cndmask_b32_e64 v85, v14, v81, s[28:29]
	;; [unrolled: 1-line block ×4, first 2 shown]
	s_and_saveexec_b64 s[44:45], s[12:13]
	s_cbranch_execz .LBB509_1437
; %bb.1428:                             ;   in Loop: Header=BB509_1384 Depth=1
	v_cmp_lt_u32_e64 s[12:13], v21, v70
	s_mov_b64 s[16:17], 0
	s_and_saveexec_b64 s[42:43], s[12:13]
	s_cbranch_execz .LBB509_1436
; %bb.1429:                             ;   in Loop: Header=BB509_1384 Depth=1
	s_mov_b64 s[12:13], -1
	s_and_saveexec_b64 s[46:47], s[8:9]
	s_cbranch_execz .LBB509_1435
; %bb.1430:                             ;   in Loop: Header=BB509_1384 Depth=1
	v_mad_u64_u32 v[14:15], s[12:13], v64, v87, v[8:9]
	v_mul_lo_u32 v16, v64, v86
	v_mul_lo_u32 v17, v65, v87
	v_add3_u32 v15, v17, v15, v16
	v_mad_u64_u32 v[16:17], s[12:13], v64, v85, v[8:9]
	v_mul_lo_u32 v18, v64, v84
	v_mul_lo_u32 v19, v65, v85
	v_add3_u32 v17, v19, v17, v18
	s_mov_b64 s[48:49], 0
	v_mov_b64_e32 v[18:19], v[6:7]
                                        ; implicit-def: $sgpr50_sgpr51
                                        ; implicit-def: $sgpr52_sgpr53
                                        ; implicit-def: $sgpr16_sgpr17
                                        ; implicit-def: $sgpr54_sgpr55
                                        ; implicit-def: $sgpr56_sgpr57
	s_branch .LBB509_1432
.LBB509_1431:                           ;   in Loop: Header=BB509_1432 Depth=2
	s_or_b64 exec, exec, s[58:59]
	s_and_b64 s[12:13], exec, s[52:53]
	s_or_b64 s[48:49], s[12:13], s[48:49]
	s_andn2_b64 s[12:13], s[56:57], exec
	s_and_b64 s[18:19], s[54:55], exec
	s_or_b64 s[56:57], s[12:13], s[18:19]
	s_andn2_b64 s[12:13], s[50:51], exec
	s_and_b64 s[18:19], s[16:17], exec
	s_or_b64 s[50:51], s[12:13], s[18:19]
	s_andn2_b64 exec, exec, s[48:49]
	s_cbranch_execz .LBB509_1434
.LBB509_1432:                           ;   Parent Loop BB509_1384 Depth=1
                                        ; =>  This Inner Loop Header: Depth=2
	flat_load_dwordx2 v[22:23], v[16:17]
	flat_load_dwordx2 v[96:97], v[14:15]
	s_andn2_b64 s[58:59], s[16:17], exec
	s_andn2_b64 s[54:55], s[54:55], exec
	s_or_b64 s[52:53], s[52:53], exec
	s_waitcnt vmcnt(0) lgkmcnt(0)
	v_cmp_le_i64_e64 s[16:17], v[22:23], v[96:97]
	v_cmp_lt_i64_e64 s[12:13], v[22:23], v[96:97]
	s_and_b64 s[16:17], s[16:17], s[56:57]
	s_or_b64 s[60:61], s[12:13], s[16:17]
	s_and_b64 s[12:13], s[60:61], exec
	v_cmp_eq_u64_e64 s[18:19], v[22:23], v[96:97]
	s_or_b64 s[16:17], s[58:59], s[12:13]
	s_and_saveexec_b64 s[58:59], s[18:19]
	s_cbranch_execz .LBB509_1431
; %bb.1433:                             ;   in Loop: Header=BB509_1432 Depth=2
	v_lshl_add_u64 v[18:19], v[18:19], 0, -1
	v_cmp_eq_u64_e64 s[12:13], 0, v[18:19]
	s_andn2_b64 s[18:19], s[54:55], exec
	s_and_b64 s[54:55], s[60:61], exec
	s_or_b64 s[54:55], s[18:19], s[54:55]
	s_andn2_b64 s[18:19], s[52:53], exec
	s_and_b64 s[12:13], s[12:13], exec
	v_lshl_add_u64 v[14:15], v[14:15], 0, 8
	v_lshl_add_u64 v[16:17], v[16:17], 0, 8
	s_andn2_b64 s[16:17], s[16:17], exec
	s_or_b64 s[52:53], s[18:19], s[12:13]
                                        ; implicit-def: $sgpr56_sgpr57
	s_branch .LBB509_1431
.LBB509_1434:                           ;   in Loop: Header=BB509_1384 Depth=1
	s_or_b64 exec, exec, s[48:49]
	s_xor_b64 s[12:13], s[50:51], -1
	s_orn2_b64 s[12:13], s[12:13], exec
.LBB509_1435:                           ;   in Loop: Header=BB509_1384 Depth=1
	s_or_b64 exec, exec, s[46:47]
	s_and_b64 s[16:17], s[12:13], exec
.LBB509_1436:                           ;   in Loop: Header=BB509_1384 Depth=1
	s_or_b64 exec, exec, s[42:43]
	s_orn2_b64 s[42:43], s[16:17], exec
.LBB509_1437:                           ;   in Loop: Header=BB509_1384 Depth=1
	s_or_b64 exec, exec, s[44:45]
	v_cndmask_b32_e64 v14, v20, v21, s[42:43]
	v_cndmask_b32_e64 v15, v1, v70, s[42:43]
	v_add_u32_e32 v16, 1, v14
	v_add_u32_e32 v14, -1, v15
	v_min_u32_e32 v66, v16, v14
	v_lshl_add_u64 v[14:15], v[66:67], 3, v[10:11]
	flat_load_dwordx2 v[14:15], v[14:15]
	v_cndmask_b32_e64 v20, v16, v20, s[42:43]
	v_cndmask_b32_e64 v21, v21, v16, s[42:43]
	v_cmp_lt_u32_e64 s[12:13], v20, v1
	s_waitcnt vmcnt(0) lgkmcnt(0)
	v_cndmask_b32_e64 v96, v15, v84, s[42:43]
	v_cndmask_b32_e64 v97, v14, v85, s[42:43]
	;; [unrolled: 1-line block ×4, first 2 shown]
	s_and_saveexec_b64 s[44:45], s[12:13]
	s_cbranch_execz .LBB509_1447
; %bb.1438:                             ;   in Loop: Header=BB509_1384 Depth=1
	v_cmp_lt_u32_e64 s[12:13], v21, v70
	s_mov_b64 s[16:17], 0
	s_and_saveexec_b64 s[36:37], s[12:13]
	s_cbranch_execz .LBB509_1446
; %bb.1439:                             ;   in Loop: Header=BB509_1384 Depth=1
	s_mov_b64 s[12:13], -1
	s_and_saveexec_b64 s[46:47], s[8:9]
	s_cbranch_execz .LBB509_1445
; %bb.1440:                             ;   in Loop: Header=BB509_1384 Depth=1
	v_mad_u64_u32 v[14:15], s[12:13], v64, v99, v[8:9]
	v_mul_lo_u32 v16, v64, v98
	v_mul_lo_u32 v17, v65, v99
	v_add3_u32 v15, v17, v15, v16
	v_mad_u64_u32 v[16:17], s[12:13], v64, v97, v[8:9]
	v_mul_lo_u32 v18, v64, v96
	v_mul_lo_u32 v19, v65, v97
	v_add3_u32 v17, v19, v17, v18
	s_mov_b64 s[48:49], 0
	v_mov_b64_e32 v[18:19], v[6:7]
                                        ; implicit-def: $sgpr50_sgpr51
                                        ; implicit-def: $sgpr52_sgpr53
                                        ; implicit-def: $sgpr16_sgpr17
                                        ; implicit-def: $sgpr54_sgpr55
                                        ; implicit-def: $sgpr56_sgpr57
	s_branch .LBB509_1442
.LBB509_1441:                           ;   in Loop: Header=BB509_1442 Depth=2
	s_or_b64 exec, exec, s[58:59]
	s_and_b64 s[12:13], exec, s[52:53]
	s_or_b64 s[48:49], s[12:13], s[48:49]
	s_andn2_b64 s[12:13], s[56:57], exec
	s_and_b64 s[18:19], s[54:55], exec
	s_or_b64 s[56:57], s[12:13], s[18:19]
	s_andn2_b64 s[12:13], s[50:51], exec
	s_and_b64 s[18:19], s[16:17], exec
	s_or_b64 s[50:51], s[12:13], s[18:19]
	s_andn2_b64 exec, exec, s[48:49]
	s_cbranch_execz .LBB509_1444
.LBB509_1442:                           ;   Parent Loop BB509_1384 Depth=1
                                        ; =>  This Inner Loop Header: Depth=2
	flat_load_dwordx2 v[22:23], v[16:17]
	flat_load_dwordx2 v[100:101], v[14:15]
	s_andn2_b64 s[58:59], s[16:17], exec
	s_andn2_b64 s[54:55], s[54:55], exec
	s_or_b64 s[52:53], s[52:53], exec
	s_waitcnt vmcnt(0) lgkmcnt(0)
	v_cmp_le_i64_e64 s[16:17], v[22:23], v[100:101]
	v_cmp_lt_i64_e64 s[12:13], v[22:23], v[100:101]
	s_and_b64 s[16:17], s[16:17], s[56:57]
	s_or_b64 s[60:61], s[12:13], s[16:17]
	s_and_b64 s[12:13], s[60:61], exec
	v_cmp_eq_u64_e64 s[18:19], v[22:23], v[100:101]
	s_or_b64 s[16:17], s[58:59], s[12:13]
	s_and_saveexec_b64 s[58:59], s[18:19]
	s_cbranch_execz .LBB509_1441
; %bb.1443:                             ;   in Loop: Header=BB509_1442 Depth=2
	v_lshl_add_u64 v[18:19], v[18:19], 0, -1
	v_cmp_eq_u64_e64 s[12:13], 0, v[18:19]
	s_andn2_b64 s[18:19], s[54:55], exec
	s_and_b64 s[54:55], s[60:61], exec
	s_or_b64 s[54:55], s[18:19], s[54:55]
	s_andn2_b64 s[18:19], s[52:53], exec
	s_and_b64 s[12:13], s[12:13], exec
	v_lshl_add_u64 v[14:15], v[14:15], 0, 8
	v_lshl_add_u64 v[16:17], v[16:17], 0, 8
	s_andn2_b64 s[16:17], s[16:17], exec
	s_or_b64 s[52:53], s[18:19], s[12:13]
                                        ; implicit-def: $sgpr56_sgpr57
	s_branch .LBB509_1441
.LBB509_1444:                           ;   in Loop: Header=BB509_1384 Depth=1
	s_or_b64 exec, exec, s[48:49]
	s_xor_b64 s[12:13], s[50:51], -1
	s_orn2_b64 s[12:13], s[12:13], exec
.LBB509_1445:                           ;   in Loop: Header=BB509_1384 Depth=1
	s_or_b64 exec, exec, s[46:47]
	s_and_b64 s[16:17], s[12:13], exec
.LBB509_1446:                           ;   in Loop: Header=BB509_1384 Depth=1
	s_or_b64 exec, exec, s[36:37]
	s_orn2_b64 s[36:37], s[16:17], exec
.LBB509_1447:                           ;   in Loop: Header=BB509_1384 Depth=1
	s_or_b64 exec, exec, s[44:45]
	v_cndmask_b32_e64 v14, v20, v21, s[36:37]
	v_cndmask_b32_e64 v15, v1, v70, s[36:37]
	v_add_u32_e32 v16, 1, v14
	v_add_u32_e32 v14, -1, v15
	v_min_u32_e32 v66, v16, v14
	v_lshl_add_u64 v[14:15], v[66:67], 3, v[10:11]
	flat_load_dwordx2 v[14:15], v[14:15]
	v_cndmask_b32_e64 v20, v16, v20, s[36:37]
	s_mov_b64 s[44:45], -1
	v_cndmask_b32_e64 v21, v21, v16, s[36:37]
	v_cmp_lt_u32_e64 s[12:13], v20, v1
	s_mov_b64 s[46:47], -1
	s_waitcnt vmcnt(0) lgkmcnt(0)
	v_cndmask_b32_e64 v100, v15, v96, s[36:37]
	v_cndmask_b32_e64 v101, v14, v97, s[36:37]
	v_cndmask_b32_e64 v102, v98, v15, s[36:37]
	v_cndmask_b32_e64 v103, v99, v14, s[36:37]
	s_and_saveexec_b64 s[48:49], s[12:13]
	s_cbranch_execz .LBB509_1457
; %bb.1448:                             ;   in Loop: Header=BB509_1384 Depth=1
	v_cmp_lt_u32_e64 s[12:13], v21, v70
	s_mov_b64 s[16:17], 0
	s_and_saveexec_b64 s[46:47], s[12:13]
	s_cbranch_execz .LBB509_1456
; %bb.1449:                             ;   in Loop: Header=BB509_1384 Depth=1
	s_mov_b64 s[12:13], -1
	s_and_saveexec_b64 s[50:51], s[8:9]
	s_cbranch_execz .LBB509_1455
; %bb.1450:                             ;   in Loop: Header=BB509_1384 Depth=1
	v_mad_u64_u32 v[14:15], s[12:13], v64, v103, v[8:9]
	v_mul_lo_u32 v16, v64, v102
	v_mul_lo_u32 v17, v65, v103
	v_add3_u32 v15, v17, v15, v16
	v_mad_u64_u32 v[16:17], s[12:13], v64, v101, v[8:9]
	v_mul_lo_u32 v18, v64, v100
	v_mul_lo_u32 v19, v65, v101
	v_add3_u32 v17, v19, v17, v18
	s_mov_b64 s[52:53], 0
	v_mov_b64_e32 v[18:19], v[6:7]
                                        ; implicit-def: $sgpr54_sgpr55
                                        ; implicit-def: $sgpr56_sgpr57
                                        ; implicit-def: $sgpr16_sgpr17
                                        ; implicit-def: $sgpr58_sgpr59
                                        ; implicit-def: $sgpr60_sgpr61
	s_branch .LBB509_1452
.LBB509_1451:                           ;   in Loop: Header=BB509_1452 Depth=2
	s_or_b64 exec, exec, s[62:63]
	s_and_b64 s[12:13], exec, s[56:57]
	s_or_b64 s[52:53], s[12:13], s[52:53]
	s_andn2_b64 s[12:13], s[60:61], exec
	s_and_b64 s[18:19], s[58:59], exec
	s_or_b64 s[60:61], s[12:13], s[18:19]
	s_andn2_b64 s[12:13], s[54:55], exec
	s_and_b64 s[18:19], s[16:17], exec
	s_or_b64 s[54:55], s[12:13], s[18:19]
	s_andn2_b64 exec, exec, s[52:53]
	s_cbranch_execz .LBB509_1454
.LBB509_1452:                           ;   Parent Loop BB509_1384 Depth=1
                                        ; =>  This Inner Loop Header: Depth=2
	flat_load_dwordx2 v[22:23], v[16:17]
	flat_load_dwordx2 v[112:113], v[14:15]
	s_andn2_b64 s[62:63], s[16:17], exec
	s_andn2_b64 s[58:59], s[58:59], exec
	s_or_b64 s[56:57], s[56:57], exec
	s_waitcnt vmcnt(0) lgkmcnt(0)
	v_cmp_le_i64_e64 s[16:17], v[22:23], v[112:113]
	v_cmp_lt_i64_e64 s[12:13], v[22:23], v[112:113]
	s_and_b64 s[16:17], s[16:17], s[60:61]
	s_or_b64 s[64:65], s[12:13], s[16:17]
	s_and_b64 s[12:13], s[64:65], exec
	v_cmp_eq_u64_e64 s[18:19], v[22:23], v[112:113]
	s_or_b64 s[16:17], s[62:63], s[12:13]
	s_and_saveexec_b64 s[62:63], s[18:19]
	s_cbranch_execz .LBB509_1451
; %bb.1453:                             ;   in Loop: Header=BB509_1452 Depth=2
	v_lshl_add_u64 v[18:19], v[18:19], 0, -1
	v_cmp_eq_u64_e64 s[12:13], 0, v[18:19]
	s_andn2_b64 s[18:19], s[58:59], exec
	s_and_b64 s[58:59], s[64:65], exec
	s_or_b64 s[58:59], s[18:19], s[58:59]
	s_andn2_b64 s[18:19], s[56:57], exec
	s_and_b64 s[12:13], s[12:13], exec
	v_lshl_add_u64 v[14:15], v[14:15], 0, 8
	v_lshl_add_u64 v[16:17], v[16:17], 0, 8
	s_andn2_b64 s[16:17], s[16:17], exec
	s_or_b64 s[56:57], s[18:19], s[12:13]
                                        ; implicit-def: $sgpr60_sgpr61
	s_branch .LBB509_1451
.LBB509_1454:                           ;   in Loop: Header=BB509_1384 Depth=1
	s_or_b64 exec, exec, s[52:53]
	s_xor_b64 s[12:13], s[54:55], -1
	s_orn2_b64 s[12:13], s[12:13], exec
.LBB509_1455:                           ;   in Loop: Header=BB509_1384 Depth=1
	s_or_b64 exec, exec, s[50:51]
	s_and_b64 s[16:17], s[12:13], exec
.LBB509_1456:                           ;   in Loop: Header=BB509_1384 Depth=1
	s_or_b64 exec, exec, s[46:47]
	s_orn2_b64 s[46:47], s[16:17], exec
.LBB509_1457:                           ;   in Loop: Header=BB509_1384 Depth=1
	s_or_b64 exec, exec, s[48:49]
	v_cndmask_b32_e64 v14, v20, v21, s[46:47]
	v_cndmask_b32_e64 v15, v1, v70, s[46:47]
	v_add_u32_e32 v16, 1, v14
	v_add_u32_e32 v14, -1, v15
	v_min_u32_e32 v66, v16, v14
	v_lshl_add_u64 v[14:15], v[66:67], 3, v[10:11]
	flat_load_dwordx2 v[14:15], v[14:15]
	v_cndmask_b32_e64 v22, v16, v20, s[46:47]
	v_cndmask_b32_e64 v20, v21, v16, s[46:47]
	v_cmp_lt_u32_e64 s[12:13], v22, v1
	s_waitcnt vmcnt(0) lgkmcnt(0)
	v_cndmask_b32_e64 v112, v15, v100, s[46:47]
	v_cndmask_b32_e64 v113, v14, v101, s[46:47]
	;; [unrolled: 1-line block ×4, first 2 shown]
	s_and_saveexec_b64 s[48:49], s[12:13]
	s_cbranch_execz .LBB509_1467
; %bb.1458:                             ;   in Loop: Header=BB509_1384 Depth=1
	v_cmp_lt_u32_e64 s[12:13], v20, v70
	s_mov_b64 s[16:17], 0
	s_and_saveexec_b64 s[44:45], s[12:13]
	s_cbranch_execz .LBB509_1466
; %bb.1459:                             ;   in Loop: Header=BB509_1384 Depth=1
	s_mov_b64 s[12:13], -1
	s_and_saveexec_b64 s[50:51], s[8:9]
	s_cbranch_execz .LBB509_1465
; %bb.1460:                             ;   in Loop: Header=BB509_1384 Depth=1
	v_mad_u64_u32 v[14:15], s[12:13], v64, v115, v[8:9]
	v_mul_lo_u32 v16, v64, v114
	v_mul_lo_u32 v17, v65, v115
	v_add3_u32 v15, v17, v15, v16
	v_mad_u64_u32 v[16:17], s[12:13], v64, v113, v[8:9]
	v_mul_lo_u32 v18, v64, v112
	v_mul_lo_u32 v19, v65, v113
	v_add3_u32 v17, v19, v17, v18
	s_mov_b64 s[52:53], 0
	v_mov_b64_e32 v[18:19], v[6:7]
                                        ; implicit-def: $sgpr54_sgpr55
                                        ; implicit-def: $sgpr56_sgpr57
                                        ; implicit-def: $sgpr16_sgpr17
                                        ; implicit-def: $sgpr58_sgpr59
                                        ; implicit-def: $sgpr60_sgpr61
	s_branch .LBB509_1462
.LBB509_1461:                           ;   in Loop: Header=BB509_1462 Depth=2
	s_or_b64 exec, exec, s[62:63]
	s_and_b64 s[12:13], exec, s[56:57]
	s_or_b64 s[52:53], s[12:13], s[52:53]
	s_andn2_b64 s[12:13], s[60:61], exec
	s_and_b64 s[18:19], s[58:59], exec
	s_or_b64 s[60:61], s[12:13], s[18:19]
	s_andn2_b64 s[12:13], s[54:55], exec
	s_and_b64 s[18:19], s[16:17], exec
	s_or_b64 s[54:55], s[12:13], s[18:19]
	s_andn2_b64 exec, exec, s[52:53]
	s_cbranch_execz .LBB509_1464
.LBB509_1462:                           ;   Parent Loop BB509_1384 Depth=1
                                        ; =>  This Inner Loop Header: Depth=2
	flat_load_dwordx2 v[116:117], v[16:17]
	flat_load_dwordx2 v[118:119], v[14:15]
	s_andn2_b64 s[62:63], s[16:17], exec
	s_andn2_b64 s[58:59], s[58:59], exec
	s_or_b64 s[56:57], s[56:57], exec
	s_waitcnt vmcnt(0) lgkmcnt(0)
	v_cmp_le_i64_e64 s[16:17], v[116:117], v[118:119]
	v_cmp_lt_i64_e64 s[12:13], v[116:117], v[118:119]
	s_and_b64 s[16:17], s[16:17], s[60:61]
	s_or_b64 s[64:65], s[12:13], s[16:17]
	s_and_b64 s[12:13], s[64:65], exec
	v_cmp_eq_u64_e64 s[18:19], v[116:117], v[118:119]
	s_or_b64 s[16:17], s[62:63], s[12:13]
	s_and_saveexec_b64 s[62:63], s[18:19]
	s_cbranch_execz .LBB509_1461
; %bb.1463:                             ;   in Loop: Header=BB509_1462 Depth=2
	v_lshl_add_u64 v[18:19], v[18:19], 0, -1
	v_cmp_eq_u64_e64 s[12:13], 0, v[18:19]
	s_andn2_b64 s[18:19], s[58:59], exec
	s_and_b64 s[58:59], s[64:65], exec
	s_or_b64 s[58:59], s[18:19], s[58:59]
	s_andn2_b64 s[18:19], s[56:57], exec
	s_and_b64 s[12:13], s[12:13], exec
	v_lshl_add_u64 v[14:15], v[14:15], 0, 8
	v_lshl_add_u64 v[16:17], v[16:17], 0, 8
	s_andn2_b64 s[16:17], s[16:17], exec
	s_or_b64 s[56:57], s[18:19], s[12:13]
                                        ; implicit-def: $sgpr60_sgpr61
	s_branch .LBB509_1461
.LBB509_1464:                           ;   in Loop: Header=BB509_1384 Depth=1
	s_or_b64 exec, exec, s[52:53]
	s_xor_b64 s[12:13], s[54:55], -1
	s_orn2_b64 s[12:13], s[12:13], exec
.LBB509_1465:                           ;   in Loop: Header=BB509_1384 Depth=1
	s_or_b64 exec, exec, s[50:51]
	s_and_b64 s[16:17], s[12:13], exec
.LBB509_1466:                           ;   in Loop: Header=BB509_1384 Depth=1
	s_or_b64 exec, exec, s[44:45]
	s_orn2_b64 s[44:45], s[16:17], exec
.LBB509_1467:                           ;   in Loop: Header=BB509_1384 Depth=1
	s_or_b64 exec, exec, s[48:49]
	v_cndmask_b32_e64 v14, v22, v20, s[44:45]
	v_cndmask_b32_e64 v15, v1, v70, s[44:45]
	v_add_u32_e32 v18, 1, v14
	v_add_u32_e32 v14, -1, v15
	v_min_u32_e32 v66, v18, v14
	v_lshl_add_u64 v[14:15], v[66:67], 3, v[10:11]
	flat_load_dwordx2 v[16:17], v[14:15]
	v_cndmask_b32_e64 v19, v18, v22, s[44:45]
	v_cmp_lt_u32_e64 s[12:13], v19, v1
	s_waitcnt vmcnt(0) lgkmcnt(0)
	v_cndmask_b32_e64 v15, v114, v17, s[44:45]
	v_cndmask_b32_e64 v14, v115, v16, s[44:45]
	s_and_saveexec_b64 s[48:49], s[12:13]
	s_cbranch_execz .LBB509_1382
; %bb.1468:                             ;   in Loop: Header=BB509_1384 Depth=1
	v_cndmask_b32_e64 v1, v20, v18, s[44:45]
	v_cndmask_b32_e64 v17, v17, v112, s[44:45]
	;; [unrolled: 1-line block ×3, first 2 shown]
	v_cmp_lt_u32_e64 s[12:13], v1, v70
	s_and_saveexec_b64 s[50:51], s[12:13]
	s_cbranch_execz .LBB509_1381
; %bb.1469:                             ;   in Loop: Header=BB509_1384 Depth=1
	s_and_saveexec_b64 s[52:53], s[8:9]
	s_cbranch_execz .LBB509_1380
; %bb.1470:                             ;   in Loop: Header=BB509_1384 Depth=1
	v_mad_u64_u32 v[18:19], s[12:13], v64, v14, v[8:9]
	v_mul_lo_u32 v1, v64, v15
	v_mul_lo_u32 v20, v65, v14
	v_add3_u32 v19, v20, v19, v1
	v_mad_u64_u32 v[20:21], s[12:13], v64, v16, v[8:9]
	v_mul_lo_u32 v1, v64, v17
	v_mul_lo_u32 v22, v65, v16
	v_add3_u32 v21, v22, v21, v1
	s_mov_b64 s[54:55], 0
	v_mov_b64_e32 v[22:23], v[6:7]
                                        ; implicit-def: $sgpr56_sgpr57
                                        ; implicit-def: $sgpr58_sgpr59
                                        ; implicit-def: $sgpr16_sgpr17
                                        ; implicit-def: $sgpr60_sgpr61
                                        ; implicit-def: $sgpr62_sgpr63
	s_branch .LBB509_1472
.LBB509_1471:                           ;   in Loop: Header=BB509_1472 Depth=2
	s_or_b64 exec, exec, s[64:65]
	s_and_b64 s[12:13], exec, s[58:59]
	s_or_b64 s[54:55], s[12:13], s[54:55]
	s_andn2_b64 s[12:13], s[62:63], exec
	s_and_b64 s[18:19], s[60:61], exec
	s_or_b64 s[62:63], s[12:13], s[18:19]
	s_andn2_b64 s[12:13], s[56:57], exec
	s_and_b64 s[18:19], s[16:17], exec
	s_or_b64 s[56:57], s[12:13], s[18:19]
	s_andn2_b64 exec, exec, s[54:55]
	s_cbranch_execz .LBB509_1379
.LBB509_1472:                           ;   Parent Loop BB509_1384 Depth=1
                                        ; =>  This Inner Loop Header: Depth=2
	flat_load_dwordx2 v[116:117], v[20:21]
	flat_load_dwordx2 v[118:119], v[18:19]
	s_andn2_b64 s[64:65], s[16:17], exec
	s_andn2_b64 s[60:61], s[60:61], exec
	s_or_b64 s[58:59], s[58:59], exec
	s_waitcnt vmcnt(0) lgkmcnt(0)
	v_cmp_le_i64_e64 s[16:17], v[116:117], v[118:119]
	v_cmp_lt_i64_e64 s[12:13], v[116:117], v[118:119]
	s_and_b64 s[16:17], s[16:17], s[62:63]
	s_or_b64 s[66:67], s[12:13], s[16:17]
	s_and_b64 s[12:13], s[66:67], exec
	v_cmp_eq_u64_e64 s[18:19], v[116:117], v[118:119]
	s_or_b64 s[16:17], s[64:65], s[12:13]
	s_and_saveexec_b64 s[64:65], s[18:19]
	s_cbranch_execz .LBB509_1471
; %bb.1473:                             ;   in Loop: Header=BB509_1472 Depth=2
	v_lshl_add_u64 v[22:23], v[22:23], 0, -1
	v_cmp_eq_u64_e64 s[12:13], 0, v[22:23]
	s_andn2_b64 s[18:19], s[60:61], exec
	s_and_b64 s[60:61], s[66:67], exec
	s_or_b64 s[60:61], s[18:19], s[60:61]
	s_andn2_b64 s[18:19], s[58:59], exec
	s_and_b64 s[12:13], s[12:13], exec
	v_lshl_add_u64 v[18:19], v[18:19], 0, 8
	v_lshl_add_u64 v[20:21], v[20:21], 0, 8
	s_andn2_b64 s[16:17], s[16:17], exec
	s_or_b64 s[58:59], s[18:19], s[12:13]
                                        ; implicit-def: $sgpr62_sgpr63
	s_branch .LBB509_1471
.LBB509_1474:
	s_or_b64 exec, exec, s[22:23]
.LBB509_1475:
	s_or_b64 exec, exec, s[20:21]
	s_barrier
	flat_store_dwordx4 v[54:55], v[24:27]
	flat_store_dwordx4 v[54:55], v[20:23] offset:16
	flat_store_dwordx4 v[54:55], v[16:19] offset:32
	;; [unrolled: 1-line block ×3, first 2 shown]
	s_waitcnt lgkmcnt(0)
	s_barrier
	flat_load_dwordx2 v[18:19], v[32:33] offset:2048
	flat_load_dwordx2 v[16:17], v[34:35]
	flat_load_dwordx2 v[14:15], v[36:37]
	flat_load_dwordx2 v[10:11], v[38:39]
	flat_load_dwordx2 v[6:7], v[48:49]
	flat_load_dwordx2 v[0:1], v[50:51]
	flat_load_dwordx2 v[12:13], v[52:53]
	v_mov_b32_e32 v31, 0
	v_lshl_add_u64 v[8:9], v[4:5], 0, v[30:31]
	s_and_saveexec_b64 s[8:9], vcc
	s_cbranch_execnz .LBB509_1484
; %bb.1476:
	s_or_b64 exec, exec, s[8:9]
	s_and_saveexec_b64 s[8:9], s[0:1]
	s_cbranch_execnz .LBB509_1485
.LBB509_1477:
	s_or_b64 exec, exec, s[8:9]
	s_and_saveexec_b64 s[0:1], s[2:3]
	s_cbranch_execnz .LBB509_1486
.LBB509_1478:
	s_or_b64 exec, exec, s[0:1]
	s_and_saveexec_b64 s[0:1], s[4:5]
	s_cbranch_execnz .LBB509_1487
.LBB509_1479:
	s_or_b64 exec, exec, s[0:1]
	s_and_saveexec_b64 s[0:1], s[6:7]
	s_cbranch_execnz .LBB509_1488
.LBB509_1480:
	s_or_b64 exec, exec, s[0:1]
	s_and_saveexec_b64 s[0:1], s[30:31]
	s_cbranch_execnz .LBB509_1489
.LBB509_1481:
	s_or_b64 exec, exec, s[0:1]
	s_and_saveexec_b64 s[0:1], s[10:11]
	s_cbranch_execz .LBB509_1483
.LBB509_1482:
	v_add_co_u32_e32 v2, vcc, 0x3000, v8
	s_nop 1
	v_addc_co_u32_e32 v3, vcc, 0, v9, vcc
	s_waitcnt vmcnt(0) lgkmcnt(0)
	flat_store_dwordx2 v[2:3], v[0:1]
.LBB509_1483:
	s_or_b64 exec, exec, s[0:1]
	s_andn2_b64 s[0:1], s[38:39], exec
	s_and_b64 s[2:3], s[14:15], exec
	s_or_b64 s[38:39], s[0:1], s[2:3]
	s_or_b64 exec, exec, s[40:41]
	s_and_saveexec_b64 s[0:1], s[38:39]
	s_cbranch_execnz .LBB509_3
	s_branch .LBB509_4
.LBB509_1484:
	flat_load_dwordx2 v[2:3], v[2:3]
	s_waitcnt vmcnt(0) lgkmcnt(0)
	flat_store_dwordx2 v[8:9], v[2:3]
	s_or_b64 exec, exec, s[8:9]
	s_and_saveexec_b64 s[8:9], s[0:1]
	s_cbranch_execz .LBB509_1477
.LBB509_1485:
	s_waitcnt vmcnt(0) lgkmcnt(0)
	flat_store_dwordx2 v[8:9], v[18:19] offset:2048
	s_or_b64 exec, exec, s[8:9]
	s_and_saveexec_b64 s[0:1], s[2:3]
	s_cbranch_execz .LBB509_1478
.LBB509_1486:
	v_add_co_u32_e32 v2, vcc, 0x1000, v8
	s_nop 1
	v_addc_co_u32_e32 v3, vcc, 0, v9, vcc
	s_waitcnt vmcnt(0) lgkmcnt(0)
	flat_store_dwordx2 v[2:3], v[16:17]
	s_or_b64 exec, exec, s[0:1]
	s_and_saveexec_b64 s[0:1], s[4:5]
	s_cbranch_execz .LBB509_1479
.LBB509_1487:
	v_add_co_u32_e32 v2, vcc, 0x1000, v8
	s_nop 1
	v_addc_co_u32_e32 v3, vcc, 0, v9, vcc
	s_waitcnt vmcnt(0) lgkmcnt(0)
	flat_store_dwordx2 v[2:3], v[14:15] offset:2048
	s_or_b64 exec, exec, s[0:1]
	s_and_saveexec_b64 s[0:1], s[6:7]
	s_cbranch_execz .LBB509_1480
.LBB509_1488:
	v_add_co_u32_e32 v2, vcc, 0x2000, v8
	s_nop 1
	v_addc_co_u32_e32 v3, vcc, 0, v9, vcc
	s_waitcnt vmcnt(0) lgkmcnt(0)
	flat_store_dwordx2 v[2:3], v[10:11]
	s_or_b64 exec, exec, s[0:1]
	s_and_saveexec_b64 s[0:1], s[30:31]
	s_cbranch_execz .LBB509_1481
.LBB509_1489:
	v_add_co_u32_e32 v2, vcc, 0x2000, v8
	s_nop 1
	v_addc_co_u32_e32 v3, vcc, 0, v9, vcc
	s_waitcnt vmcnt(0) lgkmcnt(0)
	flat_store_dwordx2 v[2:3], v[6:7] offset:2048
	s_or_b64 exec, exec, s[0:1]
	s_and_saveexec_b64 s[0:1], s[10:11]
	s_cbranch_execnz .LBB509_1482
	s_branch .LBB509_1483
.Lfunc_end509:
	.size	_ZN7rocprim17ROCPRIM_400000_NS6detail15block_sort_implIlNS0_10empty_typeELj256ELj8ELNS0_4arch9wavefront6targetE1EvE4sortIPlS9_PS3_SA_ZN2at6native12_GLOBAL__N_124unique_dim_cuda_templateIlEESt5tupleIJNSB_6TensorESG_SG_EERKSG_lbbbEUlllE_EEvjbT_T0_T1_T2_T3_RNS7_12storage_typeE, .Lfunc_end509-_ZN7rocprim17ROCPRIM_400000_NS6detail15block_sort_implIlNS0_10empty_typeELj256ELj8ELNS0_4arch9wavefront6targetE1EvE4sortIPlS9_PS3_SA_ZN2at6native12_GLOBAL__N_124unique_dim_cuda_templateIlEESt5tupleIJNSB_6TensorESG_SG_EERKSG_lbbbEUlllE_EEvjbT_T0_T1_T2_T3_RNS7_12storage_typeE
                                        ; -- End function
	.section	.AMDGPU.csdata,"",@progbits
; Function info:
; codeLenInByte = 67096
; NumSgprs: 75
; NumVgprs: 129
; NumAgprs: 0
; TotalNumVgprs: 129
; ScratchSize: 8
; MemoryBound: 1
	.section	.text._ZN7rocprim17ROCPRIM_400000_NS6detail17trampoline_kernelINS0_14default_configENS1_37merge_sort_block_sort_config_selectorIlNS0_10empty_typeEEEZNS1_21merge_sort_block_sortIS3_PlS8_PS5_S9_ZN2at6native12_GLOBAL__N_124unique_dim_cuda_templateIlEESt5tupleIJNSA_6TensorESF_SF_EERKSF_lbbbEUlllE_EE10hipError_tT0_T1_T2_T3_mRjT4_P12ihipStream_tbNS1_7vsmem_tEEUlT_E_NS1_11comp_targetILNS1_3genE5ELNS1_11target_archE942ELNS1_3gpuE9ELNS1_3repE0EEENS1_30default_config_static_selectorELNS0_4arch9wavefront6targetE1EEEvSM_,"axG",@progbits,_ZN7rocprim17ROCPRIM_400000_NS6detail17trampoline_kernelINS0_14default_configENS1_37merge_sort_block_sort_config_selectorIlNS0_10empty_typeEEEZNS1_21merge_sort_block_sortIS3_PlS8_PS5_S9_ZN2at6native12_GLOBAL__N_124unique_dim_cuda_templateIlEESt5tupleIJNSA_6TensorESF_SF_EERKSF_lbbbEUlllE_EE10hipError_tT0_T1_T2_T3_mRjT4_P12ihipStream_tbNS1_7vsmem_tEEUlT_E_NS1_11comp_targetILNS1_3genE5ELNS1_11target_archE942ELNS1_3gpuE9ELNS1_3repE0EEENS1_30default_config_static_selectorELNS0_4arch9wavefront6targetE1EEEvSM_,comdat
	.globl	_ZN7rocprim17ROCPRIM_400000_NS6detail17trampoline_kernelINS0_14default_configENS1_37merge_sort_block_sort_config_selectorIlNS0_10empty_typeEEEZNS1_21merge_sort_block_sortIS3_PlS8_PS5_S9_ZN2at6native12_GLOBAL__N_124unique_dim_cuda_templateIlEESt5tupleIJNSA_6TensorESF_SF_EERKSF_lbbbEUlllE_EE10hipError_tT0_T1_T2_T3_mRjT4_P12ihipStream_tbNS1_7vsmem_tEEUlT_E_NS1_11comp_targetILNS1_3genE5ELNS1_11target_archE942ELNS1_3gpuE9ELNS1_3repE0EEENS1_30default_config_static_selectorELNS0_4arch9wavefront6targetE1EEEvSM_ ; -- Begin function _ZN7rocprim17ROCPRIM_400000_NS6detail17trampoline_kernelINS0_14default_configENS1_37merge_sort_block_sort_config_selectorIlNS0_10empty_typeEEEZNS1_21merge_sort_block_sortIS3_PlS8_PS5_S9_ZN2at6native12_GLOBAL__N_124unique_dim_cuda_templateIlEESt5tupleIJNSA_6TensorESF_SF_EERKSF_lbbbEUlllE_EE10hipError_tT0_T1_T2_T3_mRjT4_P12ihipStream_tbNS1_7vsmem_tEEUlT_E_NS1_11comp_targetILNS1_3genE5ELNS1_11target_archE942ELNS1_3gpuE9ELNS1_3repE0EEENS1_30default_config_static_selectorELNS0_4arch9wavefront6targetE1EEEvSM_
	.p2align	8
	.type	_ZN7rocprim17ROCPRIM_400000_NS6detail17trampoline_kernelINS0_14default_configENS1_37merge_sort_block_sort_config_selectorIlNS0_10empty_typeEEEZNS1_21merge_sort_block_sortIS3_PlS8_PS5_S9_ZN2at6native12_GLOBAL__N_124unique_dim_cuda_templateIlEESt5tupleIJNSA_6TensorESF_SF_EERKSF_lbbbEUlllE_EE10hipError_tT0_T1_T2_T3_mRjT4_P12ihipStream_tbNS1_7vsmem_tEEUlT_E_NS1_11comp_targetILNS1_3genE5ELNS1_11target_archE942ELNS1_3gpuE9ELNS1_3repE0EEENS1_30default_config_static_selectorELNS0_4arch9wavefront6targetE1EEEvSM_,@function
_ZN7rocprim17ROCPRIM_400000_NS6detail17trampoline_kernelINS0_14default_configENS1_37merge_sort_block_sort_config_selectorIlNS0_10empty_typeEEEZNS1_21merge_sort_block_sortIS3_PlS8_PS5_S9_ZN2at6native12_GLOBAL__N_124unique_dim_cuda_templateIlEESt5tupleIJNSA_6TensorESF_SF_EERKSF_lbbbEUlllE_EE10hipError_tT0_T1_T2_T3_mRjT4_P12ihipStream_tbNS1_7vsmem_tEEUlT_E_NS1_11comp_targetILNS1_3genE5ELNS1_11target_archE942ELNS1_3gpuE9ELNS1_3repE0EEENS1_30default_config_static_selectorELNS0_4arch9wavefront6targetE1EEEvSM_: ; @_ZN7rocprim17ROCPRIM_400000_NS6detail17trampoline_kernelINS0_14default_configENS1_37merge_sort_block_sort_config_selectorIlNS0_10empty_typeEEEZNS1_21merge_sort_block_sortIS3_PlS8_PS5_S9_ZN2at6native12_GLOBAL__N_124unique_dim_cuda_templateIlEESt5tupleIJNSA_6TensorESF_SF_EERKSF_lbbbEUlllE_EE10hipError_tT0_T1_T2_T3_mRjT4_P12ihipStream_tbNS1_7vsmem_tEEUlT_E_NS1_11comp_targetILNS1_3genE5ELNS1_11target_archE942ELNS1_3gpuE9ELNS1_3repE0EEENS1_30default_config_static_selectorELNS0_4arch9wavefront6targetE1EEEvSM_
; %bb.0:
	s_load_dwordx2 s[6:7], s[0:1], 0x48
	s_load_dword s5, s[0:1], 0x0
	s_mov_b32 s32, 0
	s_waitcnt lgkmcnt(0)
	s_mul_i32 s4, s7, s4
	s_add_i32 s4, s4, s3
	s_mul_i32 s4, s4, s6
	s_add_i32 s4, s4, s2
	s_cmp_ge_u32 s4, s5
	s_cbranch_scc1 .LBB510_2
; %bb.1:
	s_load_dwordx4 s[8:11], s[0:1], 0x18
	s_load_dwordx2 s[6:7], s[0:1], 0x8
	s_load_dwordx4 s[16:19], s[0:1], 0x38
	s_mov_b32 s5, 0
	s_lshl_b64 s[12:13], s[4:5], 14
	s_waitcnt lgkmcnt(0)
	s_add_u32 s10, s10, s12
	s_addc_u32 s11, s11, s13
	s_add_u32 s14, s8, s12
	s_addc_u32 s15, s9, s13
	s_lshr_b64 s[8:9], s[6:7], 11
	s_cmp_eq_u64 s[8:9], s[4:5]
	s_cselect_b64 s[8:9], -1, 0
	s_lshl_b32 s4, s4, 11
	s_sub_i32 s6, s6, s4
	v_cndmask_b32_e64 v1, 0, 1, s[8:9]
	s_add_u32 s8, s0, 0x48
	s_addc_u32 s9, s1, 0
	s_mov_b64 s[0:1], src_shared_base
	s_mov_b32 s12, s2
	s_mov_b32 s13, s3
	v_mov_b32_e32 v31, v0
	v_mov_b32_e32 v0, s6
	;; [unrolled: 1-line block ×12, first 2 shown]
	s_getpc_b64 s[4:5]
	s_add_u32 s4, s4, _ZN7rocprim17ROCPRIM_400000_NS6detail15block_sort_implIlNS0_10empty_typeELj256ELj8ELNS0_4arch9wavefront6targetE1EvE4sortIPlS9_PS3_SA_ZN2at6native12_GLOBAL__N_124unique_dim_cuda_templateIlEESt5tupleIJNSB_6TensorESG_SG_EERKSG_lbbbEUlllE_EEvjbT_T0_T1_T2_T3_RNS7_12storage_typeE@rel32@lo+4
	s_addc_u32 s5, s5, _ZN7rocprim17ROCPRIM_400000_NS6detail15block_sort_implIlNS0_10empty_typeELj256ELj8ELNS0_4arch9wavefront6targetE1EvE4sortIPlS9_PS3_SA_ZN2at6native12_GLOBAL__N_124unique_dim_cuda_templateIlEESt5tupleIJNSB_6TensorESG_SG_EERKSG_lbbbEUlllE_EEvjbT_T0_T1_T2_T3_RNS7_12storage_typeE@rel32@hi+12
	s_swappc_b64 s[30:31], s[4:5]
.LBB510_2:
	s_endpgm
	.section	.rodata,"a",@progbits
	.p2align	6, 0x0
	.amdhsa_kernel _ZN7rocprim17ROCPRIM_400000_NS6detail17trampoline_kernelINS0_14default_configENS1_37merge_sort_block_sort_config_selectorIlNS0_10empty_typeEEEZNS1_21merge_sort_block_sortIS3_PlS8_PS5_S9_ZN2at6native12_GLOBAL__N_124unique_dim_cuda_templateIlEESt5tupleIJNSA_6TensorESF_SF_EERKSF_lbbbEUlllE_EE10hipError_tT0_T1_T2_T3_mRjT4_P12ihipStream_tbNS1_7vsmem_tEEUlT_E_NS1_11comp_targetILNS1_3genE5ELNS1_11target_archE942ELNS1_3gpuE9ELNS1_3repE0EEENS1_30default_config_static_selectorELNS0_4arch9wavefront6targetE1EEEvSM_
		.amdhsa_group_segment_fixed_size 16896
		.amdhsa_private_segment_fixed_size 8
		.amdhsa_kernarg_size 328
		.amdhsa_user_sgpr_count 2
		.amdhsa_user_sgpr_dispatch_ptr 0
		.amdhsa_user_sgpr_queue_ptr 0
		.amdhsa_user_sgpr_kernarg_segment_ptr 1
		.amdhsa_user_sgpr_dispatch_id 0
		.amdhsa_user_sgpr_kernarg_preload_length 0
		.amdhsa_user_sgpr_kernarg_preload_offset 0
		.amdhsa_user_sgpr_private_segment_size 0
		.amdhsa_uses_dynamic_stack 0
		.amdhsa_enable_private_segment 1
		.amdhsa_system_sgpr_workgroup_id_x 1
		.amdhsa_system_sgpr_workgroup_id_y 1
		.amdhsa_system_sgpr_workgroup_id_z 1
		.amdhsa_system_sgpr_workgroup_info 0
		.amdhsa_system_vgpr_workitem_id 2
		.amdhsa_next_free_vgpr 129
		.amdhsa_next_free_sgpr 69
		.amdhsa_accum_offset 132
		.amdhsa_reserve_vcc 1
		.amdhsa_float_round_mode_32 0
		.amdhsa_float_round_mode_16_64 0
		.amdhsa_float_denorm_mode_32 3
		.amdhsa_float_denorm_mode_16_64 3
		.amdhsa_dx10_clamp 1
		.amdhsa_ieee_mode 1
		.amdhsa_fp16_overflow 0
		.amdhsa_tg_split 0
		.amdhsa_exception_fp_ieee_invalid_op 0
		.amdhsa_exception_fp_denorm_src 0
		.amdhsa_exception_fp_ieee_div_zero 0
		.amdhsa_exception_fp_ieee_overflow 0
		.amdhsa_exception_fp_ieee_underflow 0
		.amdhsa_exception_fp_ieee_inexact 0
		.amdhsa_exception_int_div_zero 0
	.end_amdhsa_kernel
	.section	.text._ZN7rocprim17ROCPRIM_400000_NS6detail17trampoline_kernelINS0_14default_configENS1_37merge_sort_block_sort_config_selectorIlNS0_10empty_typeEEEZNS1_21merge_sort_block_sortIS3_PlS8_PS5_S9_ZN2at6native12_GLOBAL__N_124unique_dim_cuda_templateIlEESt5tupleIJNSA_6TensorESF_SF_EERKSF_lbbbEUlllE_EE10hipError_tT0_T1_T2_T3_mRjT4_P12ihipStream_tbNS1_7vsmem_tEEUlT_E_NS1_11comp_targetILNS1_3genE5ELNS1_11target_archE942ELNS1_3gpuE9ELNS1_3repE0EEENS1_30default_config_static_selectorELNS0_4arch9wavefront6targetE1EEEvSM_,"axG",@progbits,_ZN7rocprim17ROCPRIM_400000_NS6detail17trampoline_kernelINS0_14default_configENS1_37merge_sort_block_sort_config_selectorIlNS0_10empty_typeEEEZNS1_21merge_sort_block_sortIS3_PlS8_PS5_S9_ZN2at6native12_GLOBAL__N_124unique_dim_cuda_templateIlEESt5tupleIJNSA_6TensorESF_SF_EERKSF_lbbbEUlllE_EE10hipError_tT0_T1_T2_T3_mRjT4_P12ihipStream_tbNS1_7vsmem_tEEUlT_E_NS1_11comp_targetILNS1_3genE5ELNS1_11target_archE942ELNS1_3gpuE9ELNS1_3repE0EEENS1_30default_config_static_selectorELNS0_4arch9wavefront6targetE1EEEvSM_,comdat
.Lfunc_end510:
	.size	_ZN7rocprim17ROCPRIM_400000_NS6detail17trampoline_kernelINS0_14default_configENS1_37merge_sort_block_sort_config_selectorIlNS0_10empty_typeEEEZNS1_21merge_sort_block_sortIS3_PlS8_PS5_S9_ZN2at6native12_GLOBAL__N_124unique_dim_cuda_templateIlEESt5tupleIJNSA_6TensorESF_SF_EERKSF_lbbbEUlllE_EE10hipError_tT0_T1_T2_T3_mRjT4_P12ihipStream_tbNS1_7vsmem_tEEUlT_E_NS1_11comp_targetILNS1_3genE5ELNS1_11target_archE942ELNS1_3gpuE9ELNS1_3repE0EEENS1_30default_config_static_selectorELNS0_4arch9wavefront6targetE1EEEvSM_, .Lfunc_end510-_ZN7rocprim17ROCPRIM_400000_NS6detail17trampoline_kernelINS0_14default_configENS1_37merge_sort_block_sort_config_selectorIlNS0_10empty_typeEEEZNS1_21merge_sort_block_sortIS3_PlS8_PS5_S9_ZN2at6native12_GLOBAL__N_124unique_dim_cuda_templateIlEESt5tupleIJNSA_6TensorESF_SF_EERKSF_lbbbEUlllE_EE10hipError_tT0_T1_T2_T3_mRjT4_P12ihipStream_tbNS1_7vsmem_tEEUlT_E_NS1_11comp_targetILNS1_3genE5ELNS1_11target_archE942ELNS1_3gpuE9ELNS1_3repE0EEENS1_30default_config_static_selectorELNS0_4arch9wavefront6targetE1EEEvSM_
                                        ; -- End function
	.section	.AMDGPU.csdata,"",@progbits
; Kernel info:
; codeLenInByte = 228
; NumSgprs: 75
; NumVgprs: 129
; NumAgprs: 0
; TotalNumVgprs: 129
; ScratchSize: 8
; MemoryBound: 0
; FloatMode: 240
; IeeeMode: 1
; LDSByteSize: 16896 bytes/workgroup (compile time only)
; SGPRBlocks: 9
; VGPRBlocks: 16
; NumSGPRsForWavesPerEU: 75
; NumVGPRsForWavesPerEU: 129
; AccumOffset: 132
; Occupancy: 3
; WaveLimiterHint : 1
; COMPUTE_PGM_RSRC2:SCRATCH_EN: 1
; COMPUTE_PGM_RSRC2:USER_SGPR: 2
; COMPUTE_PGM_RSRC2:TRAP_HANDLER: 0
; COMPUTE_PGM_RSRC2:TGID_X_EN: 1
; COMPUTE_PGM_RSRC2:TGID_Y_EN: 1
; COMPUTE_PGM_RSRC2:TGID_Z_EN: 1
; COMPUTE_PGM_RSRC2:TIDIG_COMP_CNT: 2
; COMPUTE_PGM_RSRC3_GFX90A:ACCUM_OFFSET: 32
; COMPUTE_PGM_RSRC3_GFX90A:TG_SPLIT: 0
	.section	.text._ZN7rocprim17ROCPRIM_400000_NS6detail17trampoline_kernelINS0_14default_configENS1_37merge_sort_block_sort_config_selectorIlNS0_10empty_typeEEEZNS1_21merge_sort_block_sortIS3_PlS8_PS5_S9_ZN2at6native12_GLOBAL__N_124unique_dim_cuda_templateIlEESt5tupleIJNSA_6TensorESF_SF_EERKSF_lbbbEUlllE_EE10hipError_tT0_T1_T2_T3_mRjT4_P12ihipStream_tbNS1_7vsmem_tEEUlT_E_NS1_11comp_targetILNS1_3genE4ELNS1_11target_archE910ELNS1_3gpuE8ELNS1_3repE0EEENS1_30default_config_static_selectorELNS0_4arch9wavefront6targetE1EEEvSM_,"axG",@progbits,_ZN7rocprim17ROCPRIM_400000_NS6detail17trampoline_kernelINS0_14default_configENS1_37merge_sort_block_sort_config_selectorIlNS0_10empty_typeEEEZNS1_21merge_sort_block_sortIS3_PlS8_PS5_S9_ZN2at6native12_GLOBAL__N_124unique_dim_cuda_templateIlEESt5tupleIJNSA_6TensorESF_SF_EERKSF_lbbbEUlllE_EE10hipError_tT0_T1_T2_T3_mRjT4_P12ihipStream_tbNS1_7vsmem_tEEUlT_E_NS1_11comp_targetILNS1_3genE4ELNS1_11target_archE910ELNS1_3gpuE8ELNS1_3repE0EEENS1_30default_config_static_selectorELNS0_4arch9wavefront6targetE1EEEvSM_,comdat
	.globl	_ZN7rocprim17ROCPRIM_400000_NS6detail17trampoline_kernelINS0_14default_configENS1_37merge_sort_block_sort_config_selectorIlNS0_10empty_typeEEEZNS1_21merge_sort_block_sortIS3_PlS8_PS5_S9_ZN2at6native12_GLOBAL__N_124unique_dim_cuda_templateIlEESt5tupleIJNSA_6TensorESF_SF_EERKSF_lbbbEUlllE_EE10hipError_tT0_T1_T2_T3_mRjT4_P12ihipStream_tbNS1_7vsmem_tEEUlT_E_NS1_11comp_targetILNS1_3genE4ELNS1_11target_archE910ELNS1_3gpuE8ELNS1_3repE0EEENS1_30default_config_static_selectorELNS0_4arch9wavefront6targetE1EEEvSM_ ; -- Begin function _ZN7rocprim17ROCPRIM_400000_NS6detail17trampoline_kernelINS0_14default_configENS1_37merge_sort_block_sort_config_selectorIlNS0_10empty_typeEEEZNS1_21merge_sort_block_sortIS3_PlS8_PS5_S9_ZN2at6native12_GLOBAL__N_124unique_dim_cuda_templateIlEESt5tupleIJNSA_6TensorESF_SF_EERKSF_lbbbEUlllE_EE10hipError_tT0_T1_T2_T3_mRjT4_P12ihipStream_tbNS1_7vsmem_tEEUlT_E_NS1_11comp_targetILNS1_3genE4ELNS1_11target_archE910ELNS1_3gpuE8ELNS1_3repE0EEENS1_30default_config_static_selectorELNS0_4arch9wavefront6targetE1EEEvSM_
	.p2align	8
	.type	_ZN7rocprim17ROCPRIM_400000_NS6detail17trampoline_kernelINS0_14default_configENS1_37merge_sort_block_sort_config_selectorIlNS0_10empty_typeEEEZNS1_21merge_sort_block_sortIS3_PlS8_PS5_S9_ZN2at6native12_GLOBAL__N_124unique_dim_cuda_templateIlEESt5tupleIJNSA_6TensorESF_SF_EERKSF_lbbbEUlllE_EE10hipError_tT0_T1_T2_T3_mRjT4_P12ihipStream_tbNS1_7vsmem_tEEUlT_E_NS1_11comp_targetILNS1_3genE4ELNS1_11target_archE910ELNS1_3gpuE8ELNS1_3repE0EEENS1_30default_config_static_selectorELNS0_4arch9wavefront6targetE1EEEvSM_,@function
_ZN7rocprim17ROCPRIM_400000_NS6detail17trampoline_kernelINS0_14default_configENS1_37merge_sort_block_sort_config_selectorIlNS0_10empty_typeEEEZNS1_21merge_sort_block_sortIS3_PlS8_PS5_S9_ZN2at6native12_GLOBAL__N_124unique_dim_cuda_templateIlEESt5tupleIJNSA_6TensorESF_SF_EERKSF_lbbbEUlllE_EE10hipError_tT0_T1_T2_T3_mRjT4_P12ihipStream_tbNS1_7vsmem_tEEUlT_E_NS1_11comp_targetILNS1_3genE4ELNS1_11target_archE910ELNS1_3gpuE8ELNS1_3repE0EEENS1_30default_config_static_selectorELNS0_4arch9wavefront6targetE1EEEvSM_: ; @_ZN7rocprim17ROCPRIM_400000_NS6detail17trampoline_kernelINS0_14default_configENS1_37merge_sort_block_sort_config_selectorIlNS0_10empty_typeEEEZNS1_21merge_sort_block_sortIS3_PlS8_PS5_S9_ZN2at6native12_GLOBAL__N_124unique_dim_cuda_templateIlEESt5tupleIJNSA_6TensorESF_SF_EERKSF_lbbbEUlllE_EE10hipError_tT0_T1_T2_T3_mRjT4_P12ihipStream_tbNS1_7vsmem_tEEUlT_E_NS1_11comp_targetILNS1_3genE4ELNS1_11target_archE910ELNS1_3gpuE8ELNS1_3repE0EEENS1_30default_config_static_selectorELNS0_4arch9wavefront6targetE1EEEvSM_
; %bb.0:
	.section	.rodata,"a",@progbits
	.p2align	6, 0x0
	.amdhsa_kernel _ZN7rocprim17ROCPRIM_400000_NS6detail17trampoline_kernelINS0_14default_configENS1_37merge_sort_block_sort_config_selectorIlNS0_10empty_typeEEEZNS1_21merge_sort_block_sortIS3_PlS8_PS5_S9_ZN2at6native12_GLOBAL__N_124unique_dim_cuda_templateIlEESt5tupleIJNSA_6TensorESF_SF_EERKSF_lbbbEUlllE_EE10hipError_tT0_T1_T2_T3_mRjT4_P12ihipStream_tbNS1_7vsmem_tEEUlT_E_NS1_11comp_targetILNS1_3genE4ELNS1_11target_archE910ELNS1_3gpuE8ELNS1_3repE0EEENS1_30default_config_static_selectorELNS0_4arch9wavefront6targetE1EEEvSM_
		.amdhsa_group_segment_fixed_size 0
		.amdhsa_private_segment_fixed_size 0
		.amdhsa_kernarg_size 72
		.amdhsa_user_sgpr_count 2
		.amdhsa_user_sgpr_dispatch_ptr 0
		.amdhsa_user_sgpr_queue_ptr 0
		.amdhsa_user_sgpr_kernarg_segment_ptr 1
		.amdhsa_user_sgpr_dispatch_id 0
		.amdhsa_user_sgpr_kernarg_preload_length 0
		.amdhsa_user_sgpr_kernarg_preload_offset 0
		.amdhsa_user_sgpr_private_segment_size 0
		.amdhsa_uses_dynamic_stack 0
		.amdhsa_enable_private_segment 0
		.amdhsa_system_sgpr_workgroup_id_x 1
		.amdhsa_system_sgpr_workgroup_id_y 0
		.amdhsa_system_sgpr_workgroup_id_z 0
		.amdhsa_system_sgpr_workgroup_info 0
		.amdhsa_system_vgpr_workitem_id 0
		.amdhsa_next_free_vgpr 1
		.amdhsa_next_free_sgpr 0
		.amdhsa_accum_offset 4
		.amdhsa_reserve_vcc 0
		.amdhsa_float_round_mode_32 0
		.amdhsa_float_round_mode_16_64 0
		.amdhsa_float_denorm_mode_32 3
		.amdhsa_float_denorm_mode_16_64 3
		.amdhsa_dx10_clamp 1
		.amdhsa_ieee_mode 1
		.amdhsa_fp16_overflow 0
		.amdhsa_tg_split 0
		.amdhsa_exception_fp_ieee_invalid_op 0
		.amdhsa_exception_fp_denorm_src 0
		.amdhsa_exception_fp_ieee_div_zero 0
		.amdhsa_exception_fp_ieee_overflow 0
		.amdhsa_exception_fp_ieee_underflow 0
		.amdhsa_exception_fp_ieee_inexact 0
		.amdhsa_exception_int_div_zero 0
	.end_amdhsa_kernel
	.section	.text._ZN7rocprim17ROCPRIM_400000_NS6detail17trampoline_kernelINS0_14default_configENS1_37merge_sort_block_sort_config_selectorIlNS0_10empty_typeEEEZNS1_21merge_sort_block_sortIS3_PlS8_PS5_S9_ZN2at6native12_GLOBAL__N_124unique_dim_cuda_templateIlEESt5tupleIJNSA_6TensorESF_SF_EERKSF_lbbbEUlllE_EE10hipError_tT0_T1_T2_T3_mRjT4_P12ihipStream_tbNS1_7vsmem_tEEUlT_E_NS1_11comp_targetILNS1_3genE4ELNS1_11target_archE910ELNS1_3gpuE8ELNS1_3repE0EEENS1_30default_config_static_selectorELNS0_4arch9wavefront6targetE1EEEvSM_,"axG",@progbits,_ZN7rocprim17ROCPRIM_400000_NS6detail17trampoline_kernelINS0_14default_configENS1_37merge_sort_block_sort_config_selectorIlNS0_10empty_typeEEEZNS1_21merge_sort_block_sortIS3_PlS8_PS5_S9_ZN2at6native12_GLOBAL__N_124unique_dim_cuda_templateIlEESt5tupleIJNSA_6TensorESF_SF_EERKSF_lbbbEUlllE_EE10hipError_tT0_T1_T2_T3_mRjT4_P12ihipStream_tbNS1_7vsmem_tEEUlT_E_NS1_11comp_targetILNS1_3genE4ELNS1_11target_archE910ELNS1_3gpuE8ELNS1_3repE0EEENS1_30default_config_static_selectorELNS0_4arch9wavefront6targetE1EEEvSM_,comdat
.Lfunc_end511:
	.size	_ZN7rocprim17ROCPRIM_400000_NS6detail17trampoline_kernelINS0_14default_configENS1_37merge_sort_block_sort_config_selectorIlNS0_10empty_typeEEEZNS1_21merge_sort_block_sortIS3_PlS8_PS5_S9_ZN2at6native12_GLOBAL__N_124unique_dim_cuda_templateIlEESt5tupleIJNSA_6TensorESF_SF_EERKSF_lbbbEUlllE_EE10hipError_tT0_T1_T2_T3_mRjT4_P12ihipStream_tbNS1_7vsmem_tEEUlT_E_NS1_11comp_targetILNS1_3genE4ELNS1_11target_archE910ELNS1_3gpuE8ELNS1_3repE0EEENS1_30default_config_static_selectorELNS0_4arch9wavefront6targetE1EEEvSM_, .Lfunc_end511-_ZN7rocprim17ROCPRIM_400000_NS6detail17trampoline_kernelINS0_14default_configENS1_37merge_sort_block_sort_config_selectorIlNS0_10empty_typeEEEZNS1_21merge_sort_block_sortIS3_PlS8_PS5_S9_ZN2at6native12_GLOBAL__N_124unique_dim_cuda_templateIlEESt5tupleIJNSA_6TensorESF_SF_EERKSF_lbbbEUlllE_EE10hipError_tT0_T1_T2_T3_mRjT4_P12ihipStream_tbNS1_7vsmem_tEEUlT_E_NS1_11comp_targetILNS1_3genE4ELNS1_11target_archE910ELNS1_3gpuE8ELNS1_3repE0EEENS1_30default_config_static_selectorELNS0_4arch9wavefront6targetE1EEEvSM_
                                        ; -- End function
	.section	.AMDGPU.csdata,"",@progbits
; Kernel info:
; codeLenInByte = 0
; NumSgprs: 6
; NumVgprs: 0
; NumAgprs: 0
; TotalNumVgprs: 0
; ScratchSize: 0
; MemoryBound: 0
; FloatMode: 240
; IeeeMode: 1
; LDSByteSize: 0 bytes/workgroup (compile time only)
; SGPRBlocks: 0
; VGPRBlocks: 0
; NumSGPRsForWavesPerEU: 6
; NumVGPRsForWavesPerEU: 1
; AccumOffset: 4
; Occupancy: 8
; WaveLimiterHint : 0
; COMPUTE_PGM_RSRC2:SCRATCH_EN: 0
; COMPUTE_PGM_RSRC2:USER_SGPR: 2
; COMPUTE_PGM_RSRC2:TRAP_HANDLER: 0
; COMPUTE_PGM_RSRC2:TGID_X_EN: 1
; COMPUTE_PGM_RSRC2:TGID_Y_EN: 0
; COMPUTE_PGM_RSRC2:TGID_Z_EN: 0
; COMPUTE_PGM_RSRC2:TIDIG_COMP_CNT: 0
; COMPUTE_PGM_RSRC3_GFX90A:ACCUM_OFFSET: 0
; COMPUTE_PGM_RSRC3_GFX90A:TG_SPLIT: 0
	.section	.text._ZN7rocprim17ROCPRIM_400000_NS6detail17trampoline_kernelINS0_14default_configENS1_37merge_sort_block_sort_config_selectorIlNS0_10empty_typeEEEZNS1_21merge_sort_block_sortIS3_PlS8_PS5_S9_ZN2at6native12_GLOBAL__N_124unique_dim_cuda_templateIlEESt5tupleIJNSA_6TensorESF_SF_EERKSF_lbbbEUlllE_EE10hipError_tT0_T1_T2_T3_mRjT4_P12ihipStream_tbNS1_7vsmem_tEEUlT_E_NS1_11comp_targetILNS1_3genE3ELNS1_11target_archE908ELNS1_3gpuE7ELNS1_3repE0EEENS1_30default_config_static_selectorELNS0_4arch9wavefront6targetE1EEEvSM_,"axG",@progbits,_ZN7rocprim17ROCPRIM_400000_NS6detail17trampoline_kernelINS0_14default_configENS1_37merge_sort_block_sort_config_selectorIlNS0_10empty_typeEEEZNS1_21merge_sort_block_sortIS3_PlS8_PS5_S9_ZN2at6native12_GLOBAL__N_124unique_dim_cuda_templateIlEESt5tupleIJNSA_6TensorESF_SF_EERKSF_lbbbEUlllE_EE10hipError_tT0_T1_T2_T3_mRjT4_P12ihipStream_tbNS1_7vsmem_tEEUlT_E_NS1_11comp_targetILNS1_3genE3ELNS1_11target_archE908ELNS1_3gpuE7ELNS1_3repE0EEENS1_30default_config_static_selectorELNS0_4arch9wavefront6targetE1EEEvSM_,comdat
	.globl	_ZN7rocprim17ROCPRIM_400000_NS6detail17trampoline_kernelINS0_14default_configENS1_37merge_sort_block_sort_config_selectorIlNS0_10empty_typeEEEZNS1_21merge_sort_block_sortIS3_PlS8_PS5_S9_ZN2at6native12_GLOBAL__N_124unique_dim_cuda_templateIlEESt5tupleIJNSA_6TensorESF_SF_EERKSF_lbbbEUlllE_EE10hipError_tT0_T1_T2_T3_mRjT4_P12ihipStream_tbNS1_7vsmem_tEEUlT_E_NS1_11comp_targetILNS1_3genE3ELNS1_11target_archE908ELNS1_3gpuE7ELNS1_3repE0EEENS1_30default_config_static_selectorELNS0_4arch9wavefront6targetE1EEEvSM_ ; -- Begin function _ZN7rocprim17ROCPRIM_400000_NS6detail17trampoline_kernelINS0_14default_configENS1_37merge_sort_block_sort_config_selectorIlNS0_10empty_typeEEEZNS1_21merge_sort_block_sortIS3_PlS8_PS5_S9_ZN2at6native12_GLOBAL__N_124unique_dim_cuda_templateIlEESt5tupleIJNSA_6TensorESF_SF_EERKSF_lbbbEUlllE_EE10hipError_tT0_T1_T2_T3_mRjT4_P12ihipStream_tbNS1_7vsmem_tEEUlT_E_NS1_11comp_targetILNS1_3genE3ELNS1_11target_archE908ELNS1_3gpuE7ELNS1_3repE0EEENS1_30default_config_static_selectorELNS0_4arch9wavefront6targetE1EEEvSM_
	.p2align	8
	.type	_ZN7rocprim17ROCPRIM_400000_NS6detail17trampoline_kernelINS0_14default_configENS1_37merge_sort_block_sort_config_selectorIlNS0_10empty_typeEEEZNS1_21merge_sort_block_sortIS3_PlS8_PS5_S9_ZN2at6native12_GLOBAL__N_124unique_dim_cuda_templateIlEESt5tupleIJNSA_6TensorESF_SF_EERKSF_lbbbEUlllE_EE10hipError_tT0_T1_T2_T3_mRjT4_P12ihipStream_tbNS1_7vsmem_tEEUlT_E_NS1_11comp_targetILNS1_3genE3ELNS1_11target_archE908ELNS1_3gpuE7ELNS1_3repE0EEENS1_30default_config_static_selectorELNS0_4arch9wavefront6targetE1EEEvSM_,@function
_ZN7rocprim17ROCPRIM_400000_NS6detail17trampoline_kernelINS0_14default_configENS1_37merge_sort_block_sort_config_selectorIlNS0_10empty_typeEEEZNS1_21merge_sort_block_sortIS3_PlS8_PS5_S9_ZN2at6native12_GLOBAL__N_124unique_dim_cuda_templateIlEESt5tupleIJNSA_6TensorESF_SF_EERKSF_lbbbEUlllE_EE10hipError_tT0_T1_T2_T3_mRjT4_P12ihipStream_tbNS1_7vsmem_tEEUlT_E_NS1_11comp_targetILNS1_3genE3ELNS1_11target_archE908ELNS1_3gpuE7ELNS1_3repE0EEENS1_30default_config_static_selectorELNS0_4arch9wavefront6targetE1EEEvSM_: ; @_ZN7rocprim17ROCPRIM_400000_NS6detail17trampoline_kernelINS0_14default_configENS1_37merge_sort_block_sort_config_selectorIlNS0_10empty_typeEEEZNS1_21merge_sort_block_sortIS3_PlS8_PS5_S9_ZN2at6native12_GLOBAL__N_124unique_dim_cuda_templateIlEESt5tupleIJNSA_6TensorESF_SF_EERKSF_lbbbEUlllE_EE10hipError_tT0_T1_T2_T3_mRjT4_P12ihipStream_tbNS1_7vsmem_tEEUlT_E_NS1_11comp_targetILNS1_3genE3ELNS1_11target_archE908ELNS1_3gpuE7ELNS1_3repE0EEENS1_30default_config_static_selectorELNS0_4arch9wavefront6targetE1EEEvSM_
; %bb.0:
	.section	.rodata,"a",@progbits
	.p2align	6, 0x0
	.amdhsa_kernel _ZN7rocprim17ROCPRIM_400000_NS6detail17trampoline_kernelINS0_14default_configENS1_37merge_sort_block_sort_config_selectorIlNS0_10empty_typeEEEZNS1_21merge_sort_block_sortIS3_PlS8_PS5_S9_ZN2at6native12_GLOBAL__N_124unique_dim_cuda_templateIlEESt5tupleIJNSA_6TensorESF_SF_EERKSF_lbbbEUlllE_EE10hipError_tT0_T1_T2_T3_mRjT4_P12ihipStream_tbNS1_7vsmem_tEEUlT_E_NS1_11comp_targetILNS1_3genE3ELNS1_11target_archE908ELNS1_3gpuE7ELNS1_3repE0EEENS1_30default_config_static_selectorELNS0_4arch9wavefront6targetE1EEEvSM_
		.amdhsa_group_segment_fixed_size 0
		.amdhsa_private_segment_fixed_size 0
		.amdhsa_kernarg_size 72
		.amdhsa_user_sgpr_count 2
		.amdhsa_user_sgpr_dispatch_ptr 0
		.amdhsa_user_sgpr_queue_ptr 0
		.amdhsa_user_sgpr_kernarg_segment_ptr 1
		.amdhsa_user_sgpr_dispatch_id 0
		.amdhsa_user_sgpr_kernarg_preload_length 0
		.amdhsa_user_sgpr_kernarg_preload_offset 0
		.amdhsa_user_sgpr_private_segment_size 0
		.amdhsa_uses_dynamic_stack 0
		.amdhsa_enable_private_segment 0
		.amdhsa_system_sgpr_workgroup_id_x 1
		.amdhsa_system_sgpr_workgroup_id_y 0
		.amdhsa_system_sgpr_workgroup_id_z 0
		.amdhsa_system_sgpr_workgroup_info 0
		.amdhsa_system_vgpr_workitem_id 0
		.amdhsa_next_free_vgpr 1
		.amdhsa_next_free_sgpr 0
		.amdhsa_accum_offset 4
		.amdhsa_reserve_vcc 0
		.amdhsa_float_round_mode_32 0
		.amdhsa_float_round_mode_16_64 0
		.amdhsa_float_denorm_mode_32 3
		.amdhsa_float_denorm_mode_16_64 3
		.amdhsa_dx10_clamp 1
		.amdhsa_ieee_mode 1
		.amdhsa_fp16_overflow 0
		.amdhsa_tg_split 0
		.amdhsa_exception_fp_ieee_invalid_op 0
		.amdhsa_exception_fp_denorm_src 0
		.amdhsa_exception_fp_ieee_div_zero 0
		.amdhsa_exception_fp_ieee_overflow 0
		.amdhsa_exception_fp_ieee_underflow 0
		.amdhsa_exception_fp_ieee_inexact 0
		.amdhsa_exception_int_div_zero 0
	.end_amdhsa_kernel
	.section	.text._ZN7rocprim17ROCPRIM_400000_NS6detail17trampoline_kernelINS0_14default_configENS1_37merge_sort_block_sort_config_selectorIlNS0_10empty_typeEEEZNS1_21merge_sort_block_sortIS3_PlS8_PS5_S9_ZN2at6native12_GLOBAL__N_124unique_dim_cuda_templateIlEESt5tupleIJNSA_6TensorESF_SF_EERKSF_lbbbEUlllE_EE10hipError_tT0_T1_T2_T3_mRjT4_P12ihipStream_tbNS1_7vsmem_tEEUlT_E_NS1_11comp_targetILNS1_3genE3ELNS1_11target_archE908ELNS1_3gpuE7ELNS1_3repE0EEENS1_30default_config_static_selectorELNS0_4arch9wavefront6targetE1EEEvSM_,"axG",@progbits,_ZN7rocprim17ROCPRIM_400000_NS6detail17trampoline_kernelINS0_14default_configENS1_37merge_sort_block_sort_config_selectorIlNS0_10empty_typeEEEZNS1_21merge_sort_block_sortIS3_PlS8_PS5_S9_ZN2at6native12_GLOBAL__N_124unique_dim_cuda_templateIlEESt5tupleIJNSA_6TensorESF_SF_EERKSF_lbbbEUlllE_EE10hipError_tT0_T1_T2_T3_mRjT4_P12ihipStream_tbNS1_7vsmem_tEEUlT_E_NS1_11comp_targetILNS1_3genE3ELNS1_11target_archE908ELNS1_3gpuE7ELNS1_3repE0EEENS1_30default_config_static_selectorELNS0_4arch9wavefront6targetE1EEEvSM_,comdat
.Lfunc_end512:
	.size	_ZN7rocprim17ROCPRIM_400000_NS6detail17trampoline_kernelINS0_14default_configENS1_37merge_sort_block_sort_config_selectorIlNS0_10empty_typeEEEZNS1_21merge_sort_block_sortIS3_PlS8_PS5_S9_ZN2at6native12_GLOBAL__N_124unique_dim_cuda_templateIlEESt5tupleIJNSA_6TensorESF_SF_EERKSF_lbbbEUlllE_EE10hipError_tT0_T1_T2_T3_mRjT4_P12ihipStream_tbNS1_7vsmem_tEEUlT_E_NS1_11comp_targetILNS1_3genE3ELNS1_11target_archE908ELNS1_3gpuE7ELNS1_3repE0EEENS1_30default_config_static_selectorELNS0_4arch9wavefront6targetE1EEEvSM_, .Lfunc_end512-_ZN7rocprim17ROCPRIM_400000_NS6detail17trampoline_kernelINS0_14default_configENS1_37merge_sort_block_sort_config_selectorIlNS0_10empty_typeEEEZNS1_21merge_sort_block_sortIS3_PlS8_PS5_S9_ZN2at6native12_GLOBAL__N_124unique_dim_cuda_templateIlEESt5tupleIJNSA_6TensorESF_SF_EERKSF_lbbbEUlllE_EE10hipError_tT0_T1_T2_T3_mRjT4_P12ihipStream_tbNS1_7vsmem_tEEUlT_E_NS1_11comp_targetILNS1_3genE3ELNS1_11target_archE908ELNS1_3gpuE7ELNS1_3repE0EEENS1_30default_config_static_selectorELNS0_4arch9wavefront6targetE1EEEvSM_
                                        ; -- End function
	.section	.AMDGPU.csdata,"",@progbits
; Kernel info:
; codeLenInByte = 0
; NumSgprs: 6
; NumVgprs: 0
; NumAgprs: 0
; TotalNumVgprs: 0
; ScratchSize: 0
; MemoryBound: 0
; FloatMode: 240
; IeeeMode: 1
; LDSByteSize: 0 bytes/workgroup (compile time only)
; SGPRBlocks: 0
; VGPRBlocks: 0
; NumSGPRsForWavesPerEU: 6
; NumVGPRsForWavesPerEU: 1
; AccumOffset: 4
; Occupancy: 8
; WaveLimiterHint : 0
; COMPUTE_PGM_RSRC2:SCRATCH_EN: 0
; COMPUTE_PGM_RSRC2:USER_SGPR: 2
; COMPUTE_PGM_RSRC2:TRAP_HANDLER: 0
; COMPUTE_PGM_RSRC2:TGID_X_EN: 1
; COMPUTE_PGM_RSRC2:TGID_Y_EN: 0
; COMPUTE_PGM_RSRC2:TGID_Z_EN: 0
; COMPUTE_PGM_RSRC2:TIDIG_COMP_CNT: 0
; COMPUTE_PGM_RSRC3_GFX90A:ACCUM_OFFSET: 0
; COMPUTE_PGM_RSRC3_GFX90A:TG_SPLIT: 0
	.section	.text._ZN7rocprim17ROCPRIM_400000_NS6detail17trampoline_kernelINS0_14default_configENS1_37merge_sort_block_sort_config_selectorIlNS0_10empty_typeEEEZNS1_21merge_sort_block_sortIS3_PlS8_PS5_S9_ZN2at6native12_GLOBAL__N_124unique_dim_cuda_templateIlEESt5tupleIJNSA_6TensorESF_SF_EERKSF_lbbbEUlllE_EE10hipError_tT0_T1_T2_T3_mRjT4_P12ihipStream_tbNS1_7vsmem_tEEUlT_E_NS1_11comp_targetILNS1_3genE2ELNS1_11target_archE906ELNS1_3gpuE6ELNS1_3repE0EEENS1_30default_config_static_selectorELNS0_4arch9wavefront6targetE1EEEvSM_,"axG",@progbits,_ZN7rocprim17ROCPRIM_400000_NS6detail17trampoline_kernelINS0_14default_configENS1_37merge_sort_block_sort_config_selectorIlNS0_10empty_typeEEEZNS1_21merge_sort_block_sortIS3_PlS8_PS5_S9_ZN2at6native12_GLOBAL__N_124unique_dim_cuda_templateIlEESt5tupleIJNSA_6TensorESF_SF_EERKSF_lbbbEUlllE_EE10hipError_tT0_T1_T2_T3_mRjT4_P12ihipStream_tbNS1_7vsmem_tEEUlT_E_NS1_11comp_targetILNS1_3genE2ELNS1_11target_archE906ELNS1_3gpuE6ELNS1_3repE0EEENS1_30default_config_static_selectorELNS0_4arch9wavefront6targetE1EEEvSM_,comdat
	.globl	_ZN7rocprim17ROCPRIM_400000_NS6detail17trampoline_kernelINS0_14default_configENS1_37merge_sort_block_sort_config_selectorIlNS0_10empty_typeEEEZNS1_21merge_sort_block_sortIS3_PlS8_PS5_S9_ZN2at6native12_GLOBAL__N_124unique_dim_cuda_templateIlEESt5tupleIJNSA_6TensorESF_SF_EERKSF_lbbbEUlllE_EE10hipError_tT0_T1_T2_T3_mRjT4_P12ihipStream_tbNS1_7vsmem_tEEUlT_E_NS1_11comp_targetILNS1_3genE2ELNS1_11target_archE906ELNS1_3gpuE6ELNS1_3repE0EEENS1_30default_config_static_selectorELNS0_4arch9wavefront6targetE1EEEvSM_ ; -- Begin function _ZN7rocprim17ROCPRIM_400000_NS6detail17trampoline_kernelINS0_14default_configENS1_37merge_sort_block_sort_config_selectorIlNS0_10empty_typeEEEZNS1_21merge_sort_block_sortIS3_PlS8_PS5_S9_ZN2at6native12_GLOBAL__N_124unique_dim_cuda_templateIlEESt5tupleIJNSA_6TensorESF_SF_EERKSF_lbbbEUlllE_EE10hipError_tT0_T1_T2_T3_mRjT4_P12ihipStream_tbNS1_7vsmem_tEEUlT_E_NS1_11comp_targetILNS1_3genE2ELNS1_11target_archE906ELNS1_3gpuE6ELNS1_3repE0EEENS1_30default_config_static_selectorELNS0_4arch9wavefront6targetE1EEEvSM_
	.p2align	8
	.type	_ZN7rocprim17ROCPRIM_400000_NS6detail17trampoline_kernelINS0_14default_configENS1_37merge_sort_block_sort_config_selectorIlNS0_10empty_typeEEEZNS1_21merge_sort_block_sortIS3_PlS8_PS5_S9_ZN2at6native12_GLOBAL__N_124unique_dim_cuda_templateIlEESt5tupleIJNSA_6TensorESF_SF_EERKSF_lbbbEUlllE_EE10hipError_tT0_T1_T2_T3_mRjT4_P12ihipStream_tbNS1_7vsmem_tEEUlT_E_NS1_11comp_targetILNS1_3genE2ELNS1_11target_archE906ELNS1_3gpuE6ELNS1_3repE0EEENS1_30default_config_static_selectorELNS0_4arch9wavefront6targetE1EEEvSM_,@function
_ZN7rocprim17ROCPRIM_400000_NS6detail17trampoline_kernelINS0_14default_configENS1_37merge_sort_block_sort_config_selectorIlNS0_10empty_typeEEEZNS1_21merge_sort_block_sortIS3_PlS8_PS5_S9_ZN2at6native12_GLOBAL__N_124unique_dim_cuda_templateIlEESt5tupleIJNSA_6TensorESF_SF_EERKSF_lbbbEUlllE_EE10hipError_tT0_T1_T2_T3_mRjT4_P12ihipStream_tbNS1_7vsmem_tEEUlT_E_NS1_11comp_targetILNS1_3genE2ELNS1_11target_archE906ELNS1_3gpuE6ELNS1_3repE0EEENS1_30default_config_static_selectorELNS0_4arch9wavefront6targetE1EEEvSM_: ; @_ZN7rocprim17ROCPRIM_400000_NS6detail17trampoline_kernelINS0_14default_configENS1_37merge_sort_block_sort_config_selectorIlNS0_10empty_typeEEEZNS1_21merge_sort_block_sortIS3_PlS8_PS5_S9_ZN2at6native12_GLOBAL__N_124unique_dim_cuda_templateIlEESt5tupleIJNSA_6TensorESF_SF_EERKSF_lbbbEUlllE_EE10hipError_tT0_T1_T2_T3_mRjT4_P12ihipStream_tbNS1_7vsmem_tEEUlT_E_NS1_11comp_targetILNS1_3genE2ELNS1_11target_archE906ELNS1_3gpuE6ELNS1_3repE0EEENS1_30default_config_static_selectorELNS0_4arch9wavefront6targetE1EEEvSM_
; %bb.0:
	.section	.rodata,"a",@progbits
	.p2align	6, 0x0
	.amdhsa_kernel _ZN7rocprim17ROCPRIM_400000_NS6detail17trampoline_kernelINS0_14default_configENS1_37merge_sort_block_sort_config_selectorIlNS0_10empty_typeEEEZNS1_21merge_sort_block_sortIS3_PlS8_PS5_S9_ZN2at6native12_GLOBAL__N_124unique_dim_cuda_templateIlEESt5tupleIJNSA_6TensorESF_SF_EERKSF_lbbbEUlllE_EE10hipError_tT0_T1_T2_T3_mRjT4_P12ihipStream_tbNS1_7vsmem_tEEUlT_E_NS1_11comp_targetILNS1_3genE2ELNS1_11target_archE906ELNS1_3gpuE6ELNS1_3repE0EEENS1_30default_config_static_selectorELNS0_4arch9wavefront6targetE1EEEvSM_
		.amdhsa_group_segment_fixed_size 0
		.amdhsa_private_segment_fixed_size 0
		.amdhsa_kernarg_size 72
		.amdhsa_user_sgpr_count 2
		.amdhsa_user_sgpr_dispatch_ptr 0
		.amdhsa_user_sgpr_queue_ptr 0
		.amdhsa_user_sgpr_kernarg_segment_ptr 1
		.amdhsa_user_sgpr_dispatch_id 0
		.amdhsa_user_sgpr_kernarg_preload_length 0
		.amdhsa_user_sgpr_kernarg_preload_offset 0
		.amdhsa_user_sgpr_private_segment_size 0
		.amdhsa_uses_dynamic_stack 0
		.amdhsa_enable_private_segment 0
		.amdhsa_system_sgpr_workgroup_id_x 1
		.amdhsa_system_sgpr_workgroup_id_y 0
		.amdhsa_system_sgpr_workgroup_id_z 0
		.amdhsa_system_sgpr_workgroup_info 0
		.amdhsa_system_vgpr_workitem_id 0
		.amdhsa_next_free_vgpr 1
		.amdhsa_next_free_sgpr 0
		.amdhsa_accum_offset 4
		.amdhsa_reserve_vcc 0
		.amdhsa_float_round_mode_32 0
		.amdhsa_float_round_mode_16_64 0
		.amdhsa_float_denorm_mode_32 3
		.amdhsa_float_denorm_mode_16_64 3
		.amdhsa_dx10_clamp 1
		.amdhsa_ieee_mode 1
		.amdhsa_fp16_overflow 0
		.amdhsa_tg_split 0
		.amdhsa_exception_fp_ieee_invalid_op 0
		.amdhsa_exception_fp_denorm_src 0
		.amdhsa_exception_fp_ieee_div_zero 0
		.amdhsa_exception_fp_ieee_overflow 0
		.amdhsa_exception_fp_ieee_underflow 0
		.amdhsa_exception_fp_ieee_inexact 0
		.amdhsa_exception_int_div_zero 0
	.end_amdhsa_kernel
	.section	.text._ZN7rocprim17ROCPRIM_400000_NS6detail17trampoline_kernelINS0_14default_configENS1_37merge_sort_block_sort_config_selectorIlNS0_10empty_typeEEEZNS1_21merge_sort_block_sortIS3_PlS8_PS5_S9_ZN2at6native12_GLOBAL__N_124unique_dim_cuda_templateIlEESt5tupleIJNSA_6TensorESF_SF_EERKSF_lbbbEUlllE_EE10hipError_tT0_T1_T2_T3_mRjT4_P12ihipStream_tbNS1_7vsmem_tEEUlT_E_NS1_11comp_targetILNS1_3genE2ELNS1_11target_archE906ELNS1_3gpuE6ELNS1_3repE0EEENS1_30default_config_static_selectorELNS0_4arch9wavefront6targetE1EEEvSM_,"axG",@progbits,_ZN7rocprim17ROCPRIM_400000_NS6detail17trampoline_kernelINS0_14default_configENS1_37merge_sort_block_sort_config_selectorIlNS0_10empty_typeEEEZNS1_21merge_sort_block_sortIS3_PlS8_PS5_S9_ZN2at6native12_GLOBAL__N_124unique_dim_cuda_templateIlEESt5tupleIJNSA_6TensorESF_SF_EERKSF_lbbbEUlllE_EE10hipError_tT0_T1_T2_T3_mRjT4_P12ihipStream_tbNS1_7vsmem_tEEUlT_E_NS1_11comp_targetILNS1_3genE2ELNS1_11target_archE906ELNS1_3gpuE6ELNS1_3repE0EEENS1_30default_config_static_selectorELNS0_4arch9wavefront6targetE1EEEvSM_,comdat
.Lfunc_end513:
	.size	_ZN7rocprim17ROCPRIM_400000_NS6detail17trampoline_kernelINS0_14default_configENS1_37merge_sort_block_sort_config_selectorIlNS0_10empty_typeEEEZNS1_21merge_sort_block_sortIS3_PlS8_PS5_S9_ZN2at6native12_GLOBAL__N_124unique_dim_cuda_templateIlEESt5tupleIJNSA_6TensorESF_SF_EERKSF_lbbbEUlllE_EE10hipError_tT0_T1_T2_T3_mRjT4_P12ihipStream_tbNS1_7vsmem_tEEUlT_E_NS1_11comp_targetILNS1_3genE2ELNS1_11target_archE906ELNS1_3gpuE6ELNS1_3repE0EEENS1_30default_config_static_selectorELNS0_4arch9wavefront6targetE1EEEvSM_, .Lfunc_end513-_ZN7rocprim17ROCPRIM_400000_NS6detail17trampoline_kernelINS0_14default_configENS1_37merge_sort_block_sort_config_selectorIlNS0_10empty_typeEEEZNS1_21merge_sort_block_sortIS3_PlS8_PS5_S9_ZN2at6native12_GLOBAL__N_124unique_dim_cuda_templateIlEESt5tupleIJNSA_6TensorESF_SF_EERKSF_lbbbEUlllE_EE10hipError_tT0_T1_T2_T3_mRjT4_P12ihipStream_tbNS1_7vsmem_tEEUlT_E_NS1_11comp_targetILNS1_3genE2ELNS1_11target_archE906ELNS1_3gpuE6ELNS1_3repE0EEENS1_30default_config_static_selectorELNS0_4arch9wavefront6targetE1EEEvSM_
                                        ; -- End function
	.section	.AMDGPU.csdata,"",@progbits
; Kernel info:
; codeLenInByte = 0
; NumSgprs: 6
; NumVgprs: 0
; NumAgprs: 0
; TotalNumVgprs: 0
; ScratchSize: 0
; MemoryBound: 0
; FloatMode: 240
; IeeeMode: 1
; LDSByteSize: 0 bytes/workgroup (compile time only)
; SGPRBlocks: 0
; VGPRBlocks: 0
; NumSGPRsForWavesPerEU: 6
; NumVGPRsForWavesPerEU: 1
; AccumOffset: 4
; Occupancy: 8
; WaveLimiterHint : 0
; COMPUTE_PGM_RSRC2:SCRATCH_EN: 0
; COMPUTE_PGM_RSRC2:USER_SGPR: 2
; COMPUTE_PGM_RSRC2:TRAP_HANDLER: 0
; COMPUTE_PGM_RSRC2:TGID_X_EN: 1
; COMPUTE_PGM_RSRC2:TGID_Y_EN: 0
; COMPUTE_PGM_RSRC2:TGID_Z_EN: 0
; COMPUTE_PGM_RSRC2:TIDIG_COMP_CNT: 0
; COMPUTE_PGM_RSRC3_GFX90A:ACCUM_OFFSET: 0
; COMPUTE_PGM_RSRC3_GFX90A:TG_SPLIT: 0
	.section	.text._ZN7rocprim17ROCPRIM_400000_NS6detail17trampoline_kernelINS0_14default_configENS1_37merge_sort_block_sort_config_selectorIlNS0_10empty_typeEEEZNS1_21merge_sort_block_sortIS3_PlS8_PS5_S9_ZN2at6native12_GLOBAL__N_124unique_dim_cuda_templateIlEESt5tupleIJNSA_6TensorESF_SF_EERKSF_lbbbEUlllE_EE10hipError_tT0_T1_T2_T3_mRjT4_P12ihipStream_tbNS1_7vsmem_tEEUlT_E_NS1_11comp_targetILNS1_3genE10ELNS1_11target_archE1201ELNS1_3gpuE5ELNS1_3repE0EEENS1_30default_config_static_selectorELNS0_4arch9wavefront6targetE1EEEvSM_,"axG",@progbits,_ZN7rocprim17ROCPRIM_400000_NS6detail17trampoline_kernelINS0_14default_configENS1_37merge_sort_block_sort_config_selectorIlNS0_10empty_typeEEEZNS1_21merge_sort_block_sortIS3_PlS8_PS5_S9_ZN2at6native12_GLOBAL__N_124unique_dim_cuda_templateIlEESt5tupleIJNSA_6TensorESF_SF_EERKSF_lbbbEUlllE_EE10hipError_tT0_T1_T2_T3_mRjT4_P12ihipStream_tbNS1_7vsmem_tEEUlT_E_NS1_11comp_targetILNS1_3genE10ELNS1_11target_archE1201ELNS1_3gpuE5ELNS1_3repE0EEENS1_30default_config_static_selectorELNS0_4arch9wavefront6targetE1EEEvSM_,comdat
	.globl	_ZN7rocprim17ROCPRIM_400000_NS6detail17trampoline_kernelINS0_14default_configENS1_37merge_sort_block_sort_config_selectorIlNS0_10empty_typeEEEZNS1_21merge_sort_block_sortIS3_PlS8_PS5_S9_ZN2at6native12_GLOBAL__N_124unique_dim_cuda_templateIlEESt5tupleIJNSA_6TensorESF_SF_EERKSF_lbbbEUlllE_EE10hipError_tT0_T1_T2_T3_mRjT4_P12ihipStream_tbNS1_7vsmem_tEEUlT_E_NS1_11comp_targetILNS1_3genE10ELNS1_11target_archE1201ELNS1_3gpuE5ELNS1_3repE0EEENS1_30default_config_static_selectorELNS0_4arch9wavefront6targetE1EEEvSM_ ; -- Begin function _ZN7rocprim17ROCPRIM_400000_NS6detail17trampoline_kernelINS0_14default_configENS1_37merge_sort_block_sort_config_selectorIlNS0_10empty_typeEEEZNS1_21merge_sort_block_sortIS3_PlS8_PS5_S9_ZN2at6native12_GLOBAL__N_124unique_dim_cuda_templateIlEESt5tupleIJNSA_6TensorESF_SF_EERKSF_lbbbEUlllE_EE10hipError_tT0_T1_T2_T3_mRjT4_P12ihipStream_tbNS1_7vsmem_tEEUlT_E_NS1_11comp_targetILNS1_3genE10ELNS1_11target_archE1201ELNS1_3gpuE5ELNS1_3repE0EEENS1_30default_config_static_selectorELNS0_4arch9wavefront6targetE1EEEvSM_
	.p2align	8
	.type	_ZN7rocprim17ROCPRIM_400000_NS6detail17trampoline_kernelINS0_14default_configENS1_37merge_sort_block_sort_config_selectorIlNS0_10empty_typeEEEZNS1_21merge_sort_block_sortIS3_PlS8_PS5_S9_ZN2at6native12_GLOBAL__N_124unique_dim_cuda_templateIlEESt5tupleIJNSA_6TensorESF_SF_EERKSF_lbbbEUlllE_EE10hipError_tT0_T1_T2_T3_mRjT4_P12ihipStream_tbNS1_7vsmem_tEEUlT_E_NS1_11comp_targetILNS1_3genE10ELNS1_11target_archE1201ELNS1_3gpuE5ELNS1_3repE0EEENS1_30default_config_static_selectorELNS0_4arch9wavefront6targetE1EEEvSM_,@function
_ZN7rocprim17ROCPRIM_400000_NS6detail17trampoline_kernelINS0_14default_configENS1_37merge_sort_block_sort_config_selectorIlNS0_10empty_typeEEEZNS1_21merge_sort_block_sortIS3_PlS8_PS5_S9_ZN2at6native12_GLOBAL__N_124unique_dim_cuda_templateIlEESt5tupleIJNSA_6TensorESF_SF_EERKSF_lbbbEUlllE_EE10hipError_tT0_T1_T2_T3_mRjT4_P12ihipStream_tbNS1_7vsmem_tEEUlT_E_NS1_11comp_targetILNS1_3genE10ELNS1_11target_archE1201ELNS1_3gpuE5ELNS1_3repE0EEENS1_30default_config_static_selectorELNS0_4arch9wavefront6targetE1EEEvSM_: ; @_ZN7rocprim17ROCPRIM_400000_NS6detail17trampoline_kernelINS0_14default_configENS1_37merge_sort_block_sort_config_selectorIlNS0_10empty_typeEEEZNS1_21merge_sort_block_sortIS3_PlS8_PS5_S9_ZN2at6native12_GLOBAL__N_124unique_dim_cuda_templateIlEESt5tupleIJNSA_6TensorESF_SF_EERKSF_lbbbEUlllE_EE10hipError_tT0_T1_T2_T3_mRjT4_P12ihipStream_tbNS1_7vsmem_tEEUlT_E_NS1_11comp_targetILNS1_3genE10ELNS1_11target_archE1201ELNS1_3gpuE5ELNS1_3repE0EEENS1_30default_config_static_selectorELNS0_4arch9wavefront6targetE1EEEvSM_
; %bb.0:
	.section	.rodata,"a",@progbits
	.p2align	6, 0x0
	.amdhsa_kernel _ZN7rocprim17ROCPRIM_400000_NS6detail17trampoline_kernelINS0_14default_configENS1_37merge_sort_block_sort_config_selectorIlNS0_10empty_typeEEEZNS1_21merge_sort_block_sortIS3_PlS8_PS5_S9_ZN2at6native12_GLOBAL__N_124unique_dim_cuda_templateIlEESt5tupleIJNSA_6TensorESF_SF_EERKSF_lbbbEUlllE_EE10hipError_tT0_T1_T2_T3_mRjT4_P12ihipStream_tbNS1_7vsmem_tEEUlT_E_NS1_11comp_targetILNS1_3genE10ELNS1_11target_archE1201ELNS1_3gpuE5ELNS1_3repE0EEENS1_30default_config_static_selectorELNS0_4arch9wavefront6targetE1EEEvSM_
		.amdhsa_group_segment_fixed_size 0
		.amdhsa_private_segment_fixed_size 0
		.amdhsa_kernarg_size 72
		.amdhsa_user_sgpr_count 2
		.amdhsa_user_sgpr_dispatch_ptr 0
		.amdhsa_user_sgpr_queue_ptr 0
		.amdhsa_user_sgpr_kernarg_segment_ptr 1
		.amdhsa_user_sgpr_dispatch_id 0
		.amdhsa_user_sgpr_kernarg_preload_length 0
		.amdhsa_user_sgpr_kernarg_preload_offset 0
		.amdhsa_user_sgpr_private_segment_size 0
		.amdhsa_uses_dynamic_stack 0
		.amdhsa_enable_private_segment 0
		.amdhsa_system_sgpr_workgroup_id_x 1
		.amdhsa_system_sgpr_workgroup_id_y 0
		.amdhsa_system_sgpr_workgroup_id_z 0
		.amdhsa_system_sgpr_workgroup_info 0
		.amdhsa_system_vgpr_workitem_id 0
		.amdhsa_next_free_vgpr 1
		.amdhsa_next_free_sgpr 0
		.amdhsa_accum_offset 4
		.amdhsa_reserve_vcc 0
		.amdhsa_float_round_mode_32 0
		.amdhsa_float_round_mode_16_64 0
		.amdhsa_float_denorm_mode_32 3
		.amdhsa_float_denorm_mode_16_64 3
		.amdhsa_dx10_clamp 1
		.amdhsa_ieee_mode 1
		.amdhsa_fp16_overflow 0
		.amdhsa_tg_split 0
		.amdhsa_exception_fp_ieee_invalid_op 0
		.amdhsa_exception_fp_denorm_src 0
		.amdhsa_exception_fp_ieee_div_zero 0
		.amdhsa_exception_fp_ieee_overflow 0
		.amdhsa_exception_fp_ieee_underflow 0
		.amdhsa_exception_fp_ieee_inexact 0
		.amdhsa_exception_int_div_zero 0
	.end_amdhsa_kernel
	.section	.text._ZN7rocprim17ROCPRIM_400000_NS6detail17trampoline_kernelINS0_14default_configENS1_37merge_sort_block_sort_config_selectorIlNS0_10empty_typeEEEZNS1_21merge_sort_block_sortIS3_PlS8_PS5_S9_ZN2at6native12_GLOBAL__N_124unique_dim_cuda_templateIlEESt5tupleIJNSA_6TensorESF_SF_EERKSF_lbbbEUlllE_EE10hipError_tT0_T1_T2_T3_mRjT4_P12ihipStream_tbNS1_7vsmem_tEEUlT_E_NS1_11comp_targetILNS1_3genE10ELNS1_11target_archE1201ELNS1_3gpuE5ELNS1_3repE0EEENS1_30default_config_static_selectorELNS0_4arch9wavefront6targetE1EEEvSM_,"axG",@progbits,_ZN7rocprim17ROCPRIM_400000_NS6detail17trampoline_kernelINS0_14default_configENS1_37merge_sort_block_sort_config_selectorIlNS0_10empty_typeEEEZNS1_21merge_sort_block_sortIS3_PlS8_PS5_S9_ZN2at6native12_GLOBAL__N_124unique_dim_cuda_templateIlEESt5tupleIJNSA_6TensorESF_SF_EERKSF_lbbbEUlllE_EE10hipError_tT0_T1_T2_T3_mRjT4_P12ihipStream_tbNS1_7vsmem_tEEUlT_E_NS1_11comp_targetILNS1_3genE10ELNS1_11target_archE1201ELNS1_3gpuE5ELNS1_3repE0EEENS1_30default_config_static_selectorELNS0_4arch9wavefront6targetE1EEEvSM_,comdat
.Lfunc_end514:
	.size	_ZN7rocprim17ROCPRIM_400000_NS6detail17trampoline_kernelINS0_14default_configENS1_37merge_sort_block_sort_config_selectorIlNS0_10empty_typeEEEZNS1_21merge_sort_block_sortIS3_PlS8_PS5_S9_ZN2at6native12_GLOBAL__N_124unique_dim_cuda_templateIlEESt5tupleIJNSA_6TensorESF_SF_EERKSF_lbbbEUlllE_EE10hipError_tT0_T1_T2_T3_mRjT4_P12ihipStream_tbNS1_7vsmem_tEEUlT_E_NS1_11comp_targetILNS1_3genE10ELNS1_11target_archE1201ELNS1_3gpuE5ELNS1_3repE0EEENS1_30default_config_static_selectorELNS0_4arch9wavefront6targetE1EEEvSM_, .Lfunc_end514-_ZN7rocprim17ROCPRIM_400000_NS6detail17trampoline_kernelINS0_14default_configENS1_37merge_sort_block_sort_config_selectorIlNS0_10empty_typeEEEZNS1_21merge_sort_block_sortIS3_PlS8_PS5_S9_ZN2at6native12_GLOBAL__N_124unique_dim_cuda_templateIlEESt5tupleIJNSA_6TensorESF_SF_EERKSF_lbbbEUlllE_EE10hipError_tT0_T1_T2_T3_mRjT4_P12ihipStream_tbNS1_7vsmem_tEEUlT_E_NS1_11comp_targetILNS1_3genE10ELNS1_11target_archE1201ELNS1_3gpuE5ELNS1_3repE0EEENS1_30default_config_static_selectorELNS0_4arch9wavefront6targetE1EEEvSM_
                                        ; -- End function
	.section	.AMDGPU.csdata,"",@progbits
; Kernel info:
; codeLenInByte = 0
; NumSgprs: 6
; NumVgprs: 0
; NumAgprs: 0
; TotalNumVgprs: 0
; ScratchSize: 0
; MemoryBound: 0
; FloatMode: 240
; IeeeMode: 1
; LDSByteSize: 0 bytes/workgroup (compile time only)
; SGPRBlocks: 0
; VGPRBlocks: 0
; NumSGPRsForWavesPerEU: 6
; NumVGPRsForWavesPerEU: 1
; AccumOffset: 4
; Occupancy: 8
; WaveLimiterHint : 0
; COMPUTE_PGM_RSRC2:SCRATCH_EN: 0
; COMPUTE_PGM_RSRC2:USER_SGPR: 2
; COMPUTE_PGM_RSRC2:TRAP_HANDLER: 0
; COMPUTE_PGM_RSRC2:TGID_X_EN: 1
; COMPUTE_PGM_RSRC2:TGID_Y_EN: 0
; COMPUTE_PGM_RSRC2:TGID_Z_EN: 0
; COMPUTE_PGM_RSRC2:TIDIG_COMP_CNT: 0
; COMPUTE_PGM_RSRC3_GFX90A:ACCUM_OFFSET: 0
; COMPUTE_PGM_RSRC3_GFX90A:TG_SPLIT: 0
	.section	.text._ZN7rocprim17ROCPRIM_400000_NS6detail17trampoline_kernelINS0_14default_configENS1_37merge_sort_block_sort_config_selectorIlNS0_10empty_typeEEEZNS1_21merge_sort_block_sortIS3_PlS8_PS5_S9_ZN2at6native12_GLOBAL__N_124unique_dim_cuda_templateIlEESt5tupleIJNSA_6TensorESF_SF_EERKSF_lbbbEUlllE_EE10hipError_tT0_T1_T2_T3_mRjT4_P12ihipStream_tbNS1_7vsmem_tEEUlT_E_NS1_11comp_targetILNS1_3genE10ELNS1_11target_archE1200ELNS1_3gpuE4ELNS1_3repE0EEENS1_30default_config_static_selectorELNS0_4arch9wavefront6targetE1EEEvSM_,"axG",@progbits,_ZN7rocprim17ROCPRIM_400000_NS6detail17trampoline_kernelINS0_14default_configENS1_37merge_sort_block_sort_config_selectorIlNS0_10empty_typeEEEZNS1_21merge_sort_block_sortIS3_PlS8_PS5_S9_ZN2at6native12_GLOBAL__N_124unique_dim_cuda_templateIlEESt5tupleIJNSA_6TensorESF_SF_EERKSF_lbbbEUlllE_EE10hipError_tT0_T1_T2_T3_mRjT4_P12ihipStream_tbNS1_7vsmem_tEEUlT_E_NS1_11comp_targetILNS1_3genE10ELNS1_11target_archE1200ELNS1_3gpuE4ELNS1_3repE0EEENS1_30default_config_static_selectorELNS0_4arch9wavefront6targetE1EEEvSM_,comdat
	.globl	_ZN7rocprim17ROCPRIM_400000_NS6detail17trampoline_kernelINS0_14default_configENS1_37merge_sort_block_sort_config_selectorIlNS0_10empty_typeEEEZNS1_21merge_sort_block_sortIS3_PlS8_PS5_S9_ZN2at6native12_GLOBAL__N_124unique_dim_cuda_templateIlEESt5tupleIJNSA_6TensorESF_SF_EERKSF_lbbbEUlllE_EE10hipError_tT0_T1_T2_T3_mRjT4_P12ihipStream_tbNS1_7vsmem_tEEUlT_E_NS1_11comp_targetILNS1_3genE10ELNS1_11target_archE1200ELNS1_3gpuE4ELNS1_3repE0EEENS1_30default_config_static_selectorELNS0_4arch9wavefront6targetE1EEEvSM_ ; -- Begin function _ZN7rocprim17ROCPRIM_400000_NS6detail17trampoline_kernelINS0_14default_configENS1_37merge_sort_block_sort_config_selectorIlNS0_10empty_typeEEEZNS1_21merge_sort_block_sortIS3_PlS8_PS5_S9_ZN2at6native12_GLOBAL__N_124unique_dim_cuda_templateIlEESt5tupleIJNSA_6TensorESF_SF_EERKSF_lbbbEUlllE_EE10hipError_tT0_T1_T2_T3_mRjT4_P12ihipStream_tbNS1_7vsmem_tEEUlT_E_NS1_11comp_targetILNS1_3genE10ELNS1_11target_archE1200ELNS1_3gpuE4ELNS1_3repE0EEENS1_30default_config_static_selectorELNS0_4arch9wavefront6targetE1EEEvSM_
	.p2align	8
	.type	_ZN7rocprim17ROCPRIM_400000_NS6detail17trampoline_kernelINS0_14default_configENS1_37merge_sort_block_sort_config_selectorIlNS0_10empty_typeEEEZNS1_21merge_sort_block_sortIS3_PlS8_PS5_S9_ZN2at6native12_GLOBAL__N_124unique_dim_cuda_templateIlEESt5tupleIJNSA_6TensorESF_SF_EERKSF_lbbbEUlllE_EE10hipError_tT0_T1_T2_T3_mRjT4_P12ihipStream_tbNS1_7vsmem_tEEUlT_E_NS1_11comp_targetILNS1_3genE10ELNS1_11target_archE1200ELNS1_3gpuE4ELNS1_3repE0EEENS1_30default_config_static_selectorELNS0_4arch9wavefront6targetE1EEEvSM_,@function
_ZN7rocprim17ROCPRIM_400000_NS6detail17trampoline_kernelINS0_14default_configENS1_37merge_sort_block_sort_config_selectorIlNS0_10empty_typeEEEZNS1_21merge_sort_block_sortIS3_PlS8_PS5_S9_ZN2at6native12_GLOBAL__N_124unique_dim_cuda_templateIlEESt5tupleIJNSA_6TensorESF_SF_EERKSF_lbbbEUlllE_EE10hipError_tT0_T1_T2_T3_mRjT4_P12ihipStream_tbNS1_7vsmem_tEEUlT_E_NS1_11comp_targetILNS1_3genE10ELNS1_11target_archE1200ELNS1_3gpuE4ELNS1_3repE0EEENS1_30default_config_static_selectorELNS0_4arch9wavefront6targetE1EEEvSM_: ; @_ZN7rocprim17ROCPRIM_400000_NS6detail17trampoline_kernelINS0_14default_configENS1_37merge_sort_block_sort_config_selectorIlNS0_10empty_typeEEEZNS1_21merge_sort_block_sortIS3_PlS8_PS5_S9_ZN2at6native12_GLOBAL__N_124unique_dim_cuda_templateIlEESt5tupleIJNSA_6TensorESF_SF_EERKSF_lbbbEUlllE_EE10hipError_tT0_T1_T2_T3_mRjT4_P12ihipStream_tbNS1_7vsmem_tEEUlT_E_NS1_11comp_targetILNS1_3genE10ELNS1_11target_archE1200ELNS1_3gpuE4ELNS1_3repE0EEENS1_30default_config_static_selectorELNS0_4arch9wavefront6targetE1EEEvSM_
; %bb.0:
	.section	.rodata,"a",@progbits
	.p2align	6, 0x0
	.amdhsa_kernel _ZN7rocprim17ROCPRIM_400000_NS6detail17trampoline_kernelINS0_14default_configENS1_37merge_sort_block_sort_config_selectorIlNS0_10empty_typeEEEZNS1_21merge_sort_block_sortIS3_PlS8_PS5_S9_ZN2at6native12_GLOBAL__N_124unique_dim_cuda_templateIlEESt5tupleIJNSA_6TensorESF_SF_EERKSF_lbbbEUlllE_EE10hipError_tT0_T1_T2_T3_mRjT4_P12ihipStream_tbNS1_7vsmem_tEEUlT_E_NS1_11comp_targetILNS1_3genE10ELNS1_11target_archE1200ELNS1_3gpuE4ELNS1_3repE0EEENS1_30default_config_static_selectorELNS0_4arch9wavefront6targetE1EEEvSM_
		.amdhsa_group_segment_fixed_size 0
		.amdhsa_private_segment_fixed_size 0
		.amdhsa_kernarg_size 72
		.amdhsa_user_sgpr_count 2
		.amdhsa_user_sgpr_dispatch_ptr 0
		.amdhsa_user_sgpr_queue_ptr 0
		.amdhsa_user_sgpr_kernarg_segment_ptr 1
		.amdhsa_user_sgpr_dispatch_id 0
		.amdhsa_user_sgpr_kernarg_preload_length 0
		.amdhsa_user_sgpr_kernarg_preload_offset 0
		.amdhsa_user_sgpr_private_segment_size 0
		.amdhsa_uses_dynamic_stack 0
		.amdhsa_enable_private_segment 0
		.amdhsa_system_sgpr_workgroup_id_x 1
		.amdhsa_system_sgpr_workgroup_id_y 0
		.amdhsa_system_sgpr_workgroup_id_z 0
		.amdhsa_system_sgpr_workgroup_info 0
		.amdhsa_system_vgpr_workitem_id 0
		.amdhsa_next_free_vgpr 1
		.amdhsa_next_free_sgpr 0
		.amdhsa_accum_offset 4
		.amdhsa_reserve_vcc 0
		.amdhsa_float_round_mode_32 0
		.amdhsa_float_round_mode_16_64 0
		.amdhsa_float_denorm_mode_32 3
		.amdhsa_float_denorm_mode_16_64 3
		.amdhsa_dx10_clamp 1
		.amdhsa_ieee_mode 1
		.amdhsa_fp16_overflow 0
		.amdhsa_tg_split 0
		.amdhsa_exception_fp_ieee_invalid_op 0
		.amdhsa_exception_fp_denorm_src 0
		.amdhsa_exception_fp_ieee_div_zero 0
		.amdhsa_exception_fp_ieee_overflow 0
		.amdhsa_exception_fp_ieee_underflow 0
		.amdhsa_exception_fp_ieee_inexact 0
		.amdhsa_exception_int_div_zero 0
	.end_amdhsa_kernel
	.section	.text._ZN7rocprim17ROCPRIM_400000_NS6detail17trampoline_kernelINS0_14default_configENS1_37merge_sort_block_sort_config_selectorIlNS0_10empty_typeEEEZNS1_21merge_sort_block_sortIS3_PlS8_PS5_S9_ZN2at6native12_GLOBAL__N_124unique_dim_cuda_templateIlEESt5tupleIJNSA_6TensorESF_SF_EERKSF_lbbbEUlllE_EE10hipError_tT0_T1_T2_T3_mRjT4_P12ihipStream_tbNS1_7vsmem_tEEUlT_E_NS1_11comp_targetILNS1_3genE10ELNS1_11target_archE1200ELNS1_3gpuE4ELNS1_3repE0EEENS1_30default_config_static_selectorELNS0_4arch9wavefront6targetE1EEEvSM_,"axG",@progbits,_ZN7rocprim17ROCPRIM_400000_NS6detail17trampoline_kernelINS0_14default_configENS1_37merge_sort_block_sort_config_selectorIlNS0_10empty_typeEEEZNS1_21merge_sort_block_sortIS3_PlS8_PS5_S9_ZN2at6native12_GLOBAL__N_124unique_dim_cuda_templateIlEESt5tupleIJNSA_6TensorESF_SF_EERKSF_lbbbEUlllE_EE10hipError_tT0_T1_T2_T3_mRjT4_P12ihipStream_tbNS1_7vsmem_tEEUlT_E_NS1_11comp_targetILNS1_3genE10ELNS1_11target_archE1200ELNS1_3gpuE4ELNS1_3repE0EEENS1_30default_config_static_selectorELNS0_4arch9wavefront6targetE1EEEvSM_,comdat
.Lfunc_end515:
	.size	_ZN7rocprim17ROCPRIM_400000_NS6detail17trampoline_kernelINS0_14default_configENS1_37merge_sort_block_sort_config_selectorIlNS0_10empty_typeEEEZNS1_21merge_sort_block_sortIS3_PlS8_PS5_S9_ZN2at6native12_GLOBAL__N_124unique_dim_cuda_templateIlEESt5tupleIJNSA_6TensorESF_SF_EERKSF_lbbbEUlllE_EE10hipError_tT0_T1_T2_T3_mRjT4_P12ihipStream_tbNS1_7vsmem_tEEUlT_E_NS1_11comp_targetILNS1_3genE10ELNS1_11target_archE1200ELNS1_3gpuE4ELNS1_3repE0EEENS1_30default_config_static_selectorELNS0_4arch9wavefront6targetE1EEEvSM_, .Lfunc_end515-_ZN7rocprim17ROCPRIM_400000_NS6detail17trampoline_kernelINS0_14default_configENS1_37merge_sort_block_sort_config_selectorIlNS0_10empty_typeEEEZNS1_21merge_sort_block_sortIS3_PlS8_PS5_S9_ZN2at6native12_GLOBAL__N_124unique_dim_cuda_templateIlEESt5tupleIJNSA_6TensorESF_SF_EERKSF_lbbbEUlllE_EE10hipError_tT0_T1_T2_T3_mRjT4_P12ihipStream_tbNS1_7vsmem_tEEUlT_E_NS1_11comp_targetILNS1_3genE10ELNS1_11target_archE1200ELNS1_3gpuE4ELNS1_3repE0EEENS1_30default_config_static_selectorELNS0_4arch9wavefront6targetE1EEEvSM_
                                        ; -- End function
	.section	.AMDGPU.csdata,"",@progbits
; Kernel info:
; codeLenInByte = 0
; NumSgprs: 6
; NumVgprs: 0
; NumAgprs: 0
; TotalNumVgprs: 0
; ScratchSize: 0
; MemoryBound: 0
; FloatMode: 240
; IeeeMode: 1
; LDSByteSize: 0 bytes/workgroup (compile time only)
; SGPRBlocks: 0
; VGPRBlocks: 0
; NumSGPRsForWavesPerEU: 6
; NumVGPRsForWavesPerEU: 1
; AccumOffset: 4
; Occupancy: 8
; WaveLimiterHint : 0
; COMPUTE_PGM_RSRC2:SCRATCH_EN: 0
; COMPUTE_PGM_RSRC2:USER_SGPR: 2
; COMPUTE_PGM_RSRC2:TRAP_HANDLER: 0
; COMPUTE_PGM_RSRC2:TGID_X_EN: 1
; COMPUTE_PGM_RSRC2:TGID_Y_EN: 0
; COMPUTE_PGM_RSRC2:TGID_Z_EN: 0
; COMPUTE_PGM_RSRC2:TIDIG_COMP_CNT: 0
; COMPUTE_PGM_RSRC3_GFX90A:ACCUM_OFFSET: 0
; COMPUTE_PGM_RSRC3_GFX90A:TG_SPLIT: 0
	.section	.text._ZN7rocprim17ROCPRIM_400000_NS6detail17trampoline_kernelINS0_14default_configENS1_37merge_sort_block_sort_config_selectorIlNS0_10empty_typeEEEZNS1_21merge_sort_block_sortIS3_PlS8_PS5_S9_ZN2at6native12_GLOBAL__N_124unique_dim_cuda_templateIlEESt5tupleIJNSA_6TensorESF_SF_EERKSF_lbbbEUlllE_EE10hipError_tT0_T1_T2_T3_mRjT4_P12ihipStream_tbNS1_7vsmem_tEEUlT_E_NS1_11comp_targetILNS1_3genE9ELNS1_11target_archE1100ELNS1_3gpuE3ELNS1_3repE0EEENS1_30default_config_static_selectorELNS0_4arch9wavefront6targetE1EEEvSM_,"axG",@progbits,_ZN7rocprim17ROCPRIM_400000_NS6detail17trampoline_kernelINS0_14default_configENS1_37merge_sort_block_sort_config_selectorIlNS0_10empty_typeEEEZNS1_21merge_sort_block_sortIS3_PlS8_PS5_S9_ZN2at6native12_GLOBAL__N_124unique_dim_cuda_templateIlEESt5tupleIJNSA_6TensorESF_SF_EERKSF_lbbbEUlllE_EE10hipError_tT0_T1_T2_T3_mRjT4_P12ihipStream_tbNS1_7vsmem_tEEUlT_E_NS1_11comp_targetILNS1_3genE9ELNS1_11target_archE1100ELNS1_3gpuE3ELNS1_3repE0EEENS1_30default_config_static_selectorELNS0_4arch9wavefront6targetE1EEEvSM_,comdat
	.globl	_ZN7rocprim17ROCPRIM_400000_NS6detail17trampoline_kernelINS0_14default_configENS1_37merge_sort_block_sort_config_selectorIlNS0_10empty_typeEEEZNS1_21merge_sort_block_sortIS3_PlS8_PS5_S9_ZN2at6native12_GLOBAL__N_124unique_dim_cuda_templateIlEESt5tupleIJNSA_6TensorESF_SF_EERKSF_lbbbEUlllE_EE10hipError_tT0_T1_T2_T3_mRjT4_P12ihipStream_tbNS1_7vsmem_tEEUlT_E_NS1_11comp_targetILNS1_3genE9ELNS1_11target_archE1100ELNS1_3gpuE3ELNS1_3repE0EEENS1_30default_config_static_selectorELNS0_4arch9wavefront6targetE1EEEvSM_ ; -- Begin function _ZN7rocprim17ROCPRIM_400000_NS6detail17trampoline_kernelINS0_14default_configENS1_37merge_sort_block_sort_config_selectorIlNS0_10empty_typeEEEZNS1_21merge_sort_block_sortIS3_PlS8_PS5_S9_ZN2at6native12_GLOBAL__N_124unique_dim_cuda_templateIlEESt5tupleIJNSA_6TensorESF_SF_EERKSF_lbbbEUlllE_EE10hipError_tT0_T1_T2_T3_mRjT4_P12ihipStream_tbNS1_7vsmem_tEEUlT_E_NS1_11comp_targetILNS1_3genE9ELNS1_11target_archE1100ELNS1_3gpuE3ELNS1_3repE0EEENS1_30default_config_static_selectorELNS0_4arch9wavefront6targetE1EEEvSM_
	.p2align	8
	.type	_ZN7rocprim17ROCPRIM_400000_NS6detail17trampoline_kernelINS0_14default_configENS1_37merge_sort_block_sort_config_selectorIlNS0_10empty_typeEEEZNS1_21merge_sort_block_sortIS3_PlS8_PS5_S9_ZN2at6native12_GLOBAL__N_124unique_dim_cuda_templateIlEESt5tupleIJNSA_6TensorESF_SF_EERKSF_lbbbEUlllE_EE10hipError_tT0_T1_T2_T3_mRjT4_P12ihipStream_tbNS1_7vsmem_tEEUlT_E_NS1_11comp_targetILNS1_3genE9ELNS1_11target_archE1100ELNS1_3gpuE3ELNS1_3repE0EEENS1_30default_config_static_selectorELNS0_4arch9wavefront6targetE1EEEvSM_,@function
_ZN7rocprim17ROCPRIM_400000_NS6detail17trampoline_kernelINS0_14default_configENS1_37merge_sort_block_sort_config_selectorIlNS0_10empty_typeEEEZNS1_21merge_sort_block_sortIS3_PlS8_PS5_S9_ZN2at6native12_GLOBAL__N_124unique_dim_cuda_templateIlEESt5tupleIJNSA_6TensorESF_SF_EERKSF_lbbbEUlllE_EE10hipError_tT0_T1_T2_T3_mRjT4_P12ihipStream_tbNS1_7vsmem_tEEUlT_E_NS1_11comp_targetILNS1_3genE9ELNS1_11target_archE1100ELNS1_3gpuE3ELNS1_3repE0EEENS1_30default_config_static_selectorELNS0_4arch9wavefront6targetE1EEEvSM_: ; @_ZN7rocprim17ROCPRIM_400000_NS6detail17trampoline_kernelINS0_14default_configENS1_37merge_sort_block_sort_config_selectorIlNS0_10empty_typeEEEZNS1_21merge_sort_block_sortIS3_PlS8_PS5_S9_ZN2at6native12_GLOBAL__N_124unique_dim_cuda_templateIlEESt5tupleIJNSA_6TensorESF_SF_EERKSF_lbbbEUlllE_EE10hipError_tT0_T1_T2_T3_mRjT4_P12ihipStream_tbNS1_7vsmem_tEEUlT_E_NS1_11comp_targetILNS1_3genE9ELNS1_11target_archE1100ELNS1_3gpuE3ELNS1_3repE0EEENS1_30default_config_static_selectorELNS0_4arch9wavefront6targetE1EEEvSM_
; %bb.0:
	.section	.rodata,"a",@progbits
	.p2align	6, 0x0
	.amdhsa_kernel _ZN7rocprim17ROCPRIM_400000_NS6detail17trampoline_kernelINS0_14default_configENS1_37merge_sort_block_sort_config_selectorIlNS0_10empty_typeEEEZNS1_21merge_sort_block_sortIS3_PlS8_PS5_S9_ZN2at6native12_GLOBAL__N_124unique_dim_cuda_templateIlEESt5tupleIJNSA_6TensorESF_SF_EERKSF_lbbbEUlllE_EE10hipError_tT0_T1_T2_T3_mRjT4_P12ihipStream_tbNS1_7vsmem_tEEUlT_E_NS1_11comp_targetILNS1_3genE9ELNS1_11target_archE1100ELNS1_3gpuE3ELNS1_3repE0EEENS1_30default_config_static_selectorELNS0_4arch9wavefront6targetE1EEEvSM_
		.amdhsa_group_segment_fixed_size 0
		.amdhsa_private_segment_fixed_size 0
		.amdhsa_kernarg_size 72
		.amdhsa_user_sgpr_count 2
		.amdhsa_user_sgpr_dispatch_ptr 0
		.amdhsa_user_sgpr_queue_ptr 0
		.amdhsa_user_sgpr_kernarg_segment_ptr 1
		.amdhsa_user_sgpr_dispatch_id 0
		.amdhsa_user_sgpr_kernarg_preload_length 0
		.amdhsa_user_sgpr_kernarg_preload_offset 0
		.amdhsa_user_sgpr_private_segment_size 0
		.amdhsa_uses_dynamic_stack 0
		.amdhsa_enable_private_segment 0
		.amdhsa_system_sgpr_workgroup_id_x 1
		.amdhsa_system_sgpr_workgroup_id_y 0
		.amdhsa_system_sgpr_workgroup_id_z 0
		.amdhsa_system_sgpr_workgroup_info 0
		.amdhsa_system_vgpr_workitem_id 0
		.amdhsa_next_free_vgpr 1
		.amdhsa_next_free_sgpr 0
		.amdhsa_accum_offset 4
		.amdhsa_reserve_vcc 0
		.amdhsa_float_round_mode_32 0
		.amdhsa_float_round_mode_16_64 0
		.amdhsa_float_denorm_mode_32 3
		.amdhsa_float_denorm_mode_16_64 3
		.amdhsa_dx10_clamp 1
		.amdhsa_ieee_mode 1
		.amdhsa_fp16_overflow 0
		.amdhsa_tg_split 0
		.amdhsa_exception_fp_ieee_invalid_op 0
		.amdhsa_exception_fp_denorm_src 0
		.amdhsa_exception_fp_ieee_div_zero 0
		.amdhsa_exception_fp_ieee_overflow 0
		.amdhsa_exception_fp_ieee_underflow 0
		.amdhsa_exception_fp_ieee_inexact 0
		.amdhsa_exception_int_div_zero 0
	.end_amdhsa_kernel
	.section	.text._ZN7rocprim17ROCPRIM_400000_NS6detail17trampoline_kernelINS0_14default_configENS1_37merge_sort_block_sort_config_selectorIlNS0_10empty_typeEEEZNS1_21merge_sort_block_sortIS3_PlS8_PS5_S9_ZN2at6native12_GLOBAL__N_124unique_dim_cuda_templateIlEESt5tupleIJNSA_6TensorESF_SF_EERKSF_lbbbEUlllE_EE10hipError_tT0_T1_T2_T3_mRjT4_P12ihipStream_tbNS1_7vsmem_tEEUlT_E_NS1_11comp_targetILNS1_3genE9ELNS1_11target_archE1100ELNS1_3gpuE3ELNS1_3repE0EEENS1_30default_config_static_selectorELNS0_4arch9wavefront6targetE1EEEvSM_,"axG",@progbits,_ZN7rocprim17ROCPRIM_400000_NS6detail17trampoline_kernelINS0_14default_configENS1_37merge_sort_block_sort_config_selectorIlNS0_10empty_typeEEEZNS1_21merge_sort_block_sortIS3_PlS8_PS5_S9_ZN2at6native12_GLOBAL__N_124unique_dim_cuda_templateIlEESt5tupleIJNSA_6TensorESF_SF_EERKSF_lbbbEUlllE_EE10hipError_tT0_T1_T2_T3_mRjT4_P12ihipStream_tbNS1_7vsmem_tEEUlT_E_NS1_11comp_targetILNS1_3genE9ELNS1_11target_archE1100ELNS1_3gpuE3ELNS1_3repE0EEENS1_30default_config_static_selectorELNS0_4arch9wavefront6targetE1EEEvSM_,comdat
.Lfunc_end516:
	.size	_ZN7rocprim17ROCPRIM_400000_NS6detail17trampoline_kernelINS0_14default_configENS1_37merge_sort_block_sort_config_selectorIlNS0_10empty_typeEEEZNS1_21merge_sort_block_sortIS3_PlS8_PS5_S9_ZN2at6native12_GLOBAL__N_124unique_dim_cuda_templateIlEESt5tupleIJNSA_6TensorESF_SF_EERKSF_lbbbEUlllE_EE10hipError_tT0_T1_T2_T3_mRjT4_P12ihipStream_tbNS1_7vsmem_tEEUlT_E_NS1_11comp_targetILNS1_3genE9ELNS1_11target_archE1100ELNS1_3gpuE3ELNS1_3repE0EEENS1_30default_config_static_selectorELNS0_4arch9wavefront6targetE1EEEvSM_, .Lfunc_end516-_ZN7rocprim17ROCPRIM_400000_NS6detail17trampoline_kernelINS0_14default_configENS1_37merge_sort_block_sort_config_selectorIlNS0_10empty_typeEEEZNS1_21merge_sort_block_sortIS3_PlS8_PS5_S9_ZN2at6native12_GLOBAL__N_124unique_dim_cuda_templateIlEESt5tupleIJNSA_6TensorESF_SF_EERKSF_lbbbEUlllE_EE10hipError_tT0_T1_T2_T3_mRjT4_P12ihipStream_tbNS1_7vsmem_tEEUlT_E_NS1_11comp_targetILNS1_3genE9ELNS1_11target_archE1100ELNS1_3gpuE3ELNS1_3repE0EEENS1_30default_config_static_selectorELNS0_4arch9wavefront6targetE1EEEvSM_
                                        ; -- End function
	.section	.AMDGPU.csdata,"",@progbits
; Kernel info:
; codeLenInByte = 0
; NumSgprs: 6
; NumVgprs: 0
; NumAgprs: 0
; TotalNumVgprs: 0
; ScratchSize: 0
; MemoryBound: 0
; FloatMode: 240
; IeeeMode: 1
; LDSByteSize: 0 bytes/workgroup (compile time only)
; SGPRBlocks: 0
; VGPRBlocks: 0
; NumSGPRsForWavesPerEU: 6
; NumVGPRsForWavesPerEU: 1
; AccumOffset: 4
; Occupancy: 8
; WaveLimiterHint : 0
; COMPUTE_PGM_RSRC2:SCRATCH_EN: 0
; COMPUTE_PGM_RSRC2:USER_SGPR: 2
; COMPUTE_PGM_RSRC2:TRAP_HANDLER: 0
; COMPUTE_PGM_RSRC2:TGID_X_EN: 1
; COMPUTE_PGM_RSRC2:TGID_Y_EN: 0
; COMPUTE_PGM_RSRC2:TGID_Z_EN: 0
; COMPUTE_PGM_RSRC2:TIDIG_COMP_CNT: 0
; COMPUTE_PGM_RSRC3_GFX90A:ACCUM_OFFSET: 0
; COMPUTE_PGM_RSRC3_GFX90A:TG_SPLIT: 0
	.section	.text._ZN7rocprim17ROCPRIM_400000_NS6detail17trampoline_kernelINS0_14default_configENS1_37merge_sort_block_sort_config_selectorIlNS0_10empty_typeEEEZNS1_21merge_sort_block_sortIS3_PlS8_PS5_S9_ZN2at6native12_GLOBAL__N_124unique_dim_cuda_templateIlEESt5tupleIJNSA_6TensorESF_SF_EERKSF_lbbbEUlllE_EE10hipError_tT0_T1_T2_T3_mRjT4_P12ihipStream_tbNS1_7vsmem_tEEUlT_E_NS1_11comp_targetILNS1_3genE8ELNS1_11target_archE1030ELNS1_3gpuE2ELNS1_3repE0EEENS1_30default_config_static_selectorELNS0_4arch9wavefront6targetE1EEEvSM_,"axG",@progbits,_ZN7rocprim17ROCPRIM_400000_NS6detail17trampoline_kernelINS0_14default_configENS1_37merge_sort_block_sort_config_selectorIlNS0_10empty_typeEEEZNS1_21merge_sort_block_sortIS3_PlS8_PS5_S9_ZN2at6native12_GLOBAL__N_124unique_dim_cuda_templateIlEESt5tupleIJNSA_6TensorESF_SF_EERKSF_lbbbEUlllE_EE10hipError_tT0_T1_T2_T3_mRjT4_P12ihipStream_tbNS1_7vsmem_tEEUlT_E_NS1_11comp_targetILNS1_3genE8ELNS1_11target_archE1030ELNS1_3gpuE2ELNS1_3repE0EEENS1_30default_config_static_selectorELNS0_4arch9wavefront6targetE1EEEvSM_,comdat
	.globl	_ZN7rocprim17ROCPRIM_400000_NS6detail17trampoline_kernelINS0_14default_configENS1_37merge_sort_block_sort_config_selectorIlNS0_10empty_typeEEEZNS1_21merge_sort_block_sortIS3_PlS8_PS5_S9_ZN2at6native12_GLOBAL__N_124unique_dim_cuda_templateIlEESt5tupleIJNSA_6TensorESF_SF_EERKSF_lbbbEUlllE_EE10hipError_tT0_T1_T2_T3_mRjT4_P12ihipStream_tbNS1_7vsmem_tEEUlT_E_NS1_11comp_targetILNS1_3genE8ELNS1_11target_archE1030ELNS1_3gpuE2ELNS1_3repE0EEENS1_30default_config_static_selectorELNS0_4arch9wavefront6targetE1EEEvSM_ ; -- Begin function _ZN7rocprim17ROCPRIM_400000_NS6detail17trampoline_kernelINS0_14default_configENS1_37merge_sort_block_sort_config_selectorIlNS0_10empty_typeEEEZNS1_21merge_sort_block_sortIS3_PlS8_PS5_S9_ZN2at6native12_GLOBAL__N_124unique_dim_cuda_templateIlEESt5tupleIJNSA_6TensorESF_SF_EERKSF_lbbbEUlllE_EE10hipError_tT0_T1_T2_T3_mRjT4_P12ihipStream_tbNS1_7vsmem_tEEUlT_E_NS1_11comp_targetILNS1_3genE8ELNS1_11target_archE1030ELNS1_3gpuE2ELNS1_3repE0EEENS1_30default_config_static_selectorELNS0_4arch9wavefront6targetE1EEEvSM_
	.p2align	8
	.type	_ZN7rocprim17ROCPRIM_400000_NS6detail17trampoline_kernelINS0_14default_configENS1_37merge_sort_block_sort_config_selectorIlNS0_10empty_typeEEEZNS1_21merge_sort_block_sortIS3_PlS8_PS5_S9_ZN2at6native12_GLOBAL__N_124unique_dim_cuda_templateIlEESt5tupleIJNSA_6TensorESF_SF_EERKSF_lbbbEUlllE_EE10hipError_tT0_T1_T2_T3_mRjT4_P12ihipStream_tbNS1_7vsmem_tEEUlT_E_NS1_11comp_targetILNS1_3genE8ELNS1_11target_archE1030ELNS1_3gpuE2ELNS1_3repE0EEENS1_30default_config_static_selectorELNS0_4arch9wavefront6targetE1EEEvSM_,@function
_ZN7rocprim17ROCPRIM_400000_NS6detail17trampoline_kernelINS0_14default_configENS1_37merge_sort_block_sort_config_selectorIlNS0_10empty_typeEEEZNS1_21merge_sort_block_sortIS3_PlS8_PS5_S9_ZN2at6native12_GLOBAL__N_124unique_dim_cuda_templateIlEESt5tupleIJNSA_6TensorESF_SF_EERKSF_lbbbEUlllE_EE10hipError_tT0_T1_T2_T3_mRjT4_P12ihipStream_tbNS1_7vsmem_tEEUlT_E_NS1_11comp_targetILNS1_3genE8ELNS1_11target_archE1030ELNS1_3gpuE2ELNS1_3repE0EEENS1_30default_config_static_selectorELNS0_4arch9wavefront6targetE1EEEvSM_: ; @_ZN7rocprim17ROCPRIM_400000_NS6detail17trampoline_kernelINS0_14default_configENS1_37merge_sort_block_sort_config_selectorIlNS0_10empty_typeEEEZNS1_21merge_sort_block_sortIS3_PlS8_PS5_S9_ZN2at6native12_GLOBAL__N_124unique_dim_cuda_templateIlEESt5tupleIJNSA_6TensorESF_SF_EERKSF_lbbbEUlllE_EE10hipError_tT0_T1_T2_T3_mRjT4_P12ihipStream_tbNS1_7vsmem_tEEUlT_E_NS1_11comp_targetILNS1_3genE8ELNS1_11target_archE1030ELNS1_3gpuE2ELNS1_3repE0EEENS1_30default_config_static_selectorELNS0_4arch9wavefront6targetE1EEEvSM_
; %bb.0:
	.section	.rodata,"a",@progbits
	.p2align	6, 0x0
	.amdhsa_kernel _ZN7rocprim17ROCPRIM_400000_NS6detail17trampoline_kernelINS0_14default_configENS1_37merge_sort_block_sort_config_selectorIlNS0_10empty_typeEEEZNS1_21merge_sort_block_sortIS3_PlS8_PS5_S9_ZN2at6native12_GLOBAL__N_124unique_dim_cuda_templateIlEESt5tupleIJNSA_6TensorESF_SF_EERKSF_lbbbEUlllE_EE10hipError_tT0_T1_T2_T3_mRjT4_P12ihipStream_tbNS1_7vsmem_tEEUlT_E_NS1_11comp_targetILNS1_3genE8ELNS1_11target_archE1030ELNS1_3gpuE2ELNS1_3repE0EEENS1_30default_config_static_selectorELNS0_4arch9wavefront6targetE1EEEvSM_
		.amdhsa_group_segment_fixed_size 0
		.amdhsa_private_segment_fixed_size 0
		.amdhsa_kernarg_size 72
		.amdhsa_user_sgpr_count 2
		.amdhsa_user_sgpr_dispatch_ptr 0
		.amdhsa_user_sgpr_queue_ptr 0
		.amdhsa_user_sgpr_kernarg_segment_ptr 1
		.amdhsa_user_sgpr_dispatch_id 0
		.amdhsa_user_sgpr_kernarg_preload_length 0
		.amdhsa_user_sgpr_kernarg_preload_offset 0
		.amdhsa_user_sgpr_private_segment_size 0
		.amdhsa_uses_dynamic_stack 0
		.amdhsa_enable_private_segment 0
		.amdhsa_system_sgpr_workgroup_id_x 1
		.amdhsa_system_sgpr_workgroup_id_y 0
		.amdhsa_system_sgpr_workgroup_id_z 0
		.amdhsa_system_sgpr_workgroup_info 0
		.amdhsa_system_vgpr_workitem_id 0
		.amdhsa_next_free_vgpr 1
		.amdhsa_next_free_sgpr 0
		.amdhsa_accum_offset 4
		.amdhsa_reserve_vcc 0
		.amdhsa_float_round_mode_32 0
		.amdhsa_float_round_mode_16_64 0
		.amdhsa_float_denorm_mode_32 3
		.amdhsa_float_denorm_mode_16_64 3
		.amdhsa_dx10_clamp 1
		.amdhsa_ieee_mode 1
		.amdhsa_fp16_overflow 0
		.amdhsa_tg_split 0
		.amdhsa_exception_fp_ieee_invalid_op 0
		.amdhsa_exception_fp_denorm_src 0
		.amdhsa_exception_fp_ieee_div_zero 0
		.amdhsa_exception_fp_ieee_overflow 0
		.amdhsa_exception_fp_ieee_underflow 0
		.amdhsa_exception_fp_ieee_inexact 0
		.amdhsa_exception_int_div_zero 0
	.end_amdhsa_kernel
	.section	.text._ZN7rocprim17ROCPRIM_400000_NS6detail17trampoline_kernelINS0_14default_configENS1_37merge_sort_block_sort_config_selectorIlNS0_10empty_typeEEEZNS1_21merge_sort_block_sortIS3_PlS8_PS5_S9_ZN2at6native12_GLOBAL__N_124unique_dim_cuda_templateIlEESt5tupleIJNSA_6TensorESF_SF_EERKSF_lbbbEUlllE_EE10hipError_tT0_T1_T2_T3_mRjT4_P12ihipStream_tbNS1_7vsmem_tEEUlT_E_NS1_11comp_targetILNS1_3genE8ELNS1_11target_archE1030ELNS1_3gpuE2ELNS1_3repE0EEENS1_30default_config_static_selectorELNS0_4arch9wavefront6targetE1EEEvSM_,"axG",@progbits,_ZN7rocprim17ROCPRIM_400000_NS6detail17trampoline_kernelINS0_14default_configENS1_37merge_sort_block_sort_config_selectorIlNS0_10empty_typeEEEZNS1_21merge_sort_block_sortIS3_PlS8_PS5_S9_ZN2at6native12_GLOBAL__N_124unique_dim_cuda_templateIlEESt5tupleIJNSA_6TensorESF_SF_EERKSF_lbbbEUlllE_EE10hipError_tT0_T1_T2_T3_mRjT4_P12ihipStream_tbNS1_7vsmem_tEEUlT_E_NS1_11comp_targetILNS1_3genE8ELNS1_11target_archE1030ELNS1_3gpuE2ELNS1_3repE0EEENS1_30default_config_static_selectorELNS0_4arch9wavefront6targetE1EEEvSM_,comdat
.Lfunc_end517:
	.size	_ZN7rocprim17ROCPRIM_400000_NS6detail17trampoline_kernelINS0_14default_configENS1_37merge_sort_block_sort_config_selectorIlNS0_10empty_typeEEEZNS1_21merge_sort_block_sortIS3_PlS8_PS5_S9_ZN2at6native12_GLOBAL__N_124unique_dim_cuda_templateIlEESt5tupleIJNSA_6TensorESF_SF_EERKSF_lbbbEUlllE_EE10hipError_tT0_T1_T2_T3_mRjT4_P12ihipStream_tbNS1_7vsmem_tEEUlT_E_NS1_11comp_targetILNS1_3genE8ELNS1_11target_archE1030ELNS1_3gpuE2ELNS1_3repE0EEENS1_30default_config_static_selectorELNS0_4arch9wavefront6targetE1EEEvSM_, .Lfunc_end517-_ZN7rocprim17ROCPRIM_400000_NS6detail17trampoline_kernelINS0_14default_configENS1_37merge_sort_block_sort_config_selectorIlNS0_10empty_typeEEEZNS1_21merge_sort_block_sortIS3_PlS8_PS5_S9_ZN2at6native12_GLOBAL__N_124unique_dim_cuda_templateIlEESt5tupleIJNSA_6TensorESF_SF_EERKSF_lbbbEUlllE_EE10hipError_tT0_T1_T2_T3_mRjT4_P12ihipStream_tbNS1_7vsmem_tEEUlT_E_NS1_11comp_targetILNS1_3genE8ELNS1_11target_archE1030ELNS1_3gpuE2ELNS1_3repE0EEENS1_30default_config_static_selectorELNS0_4arch9wavefront6targetE1EEEvSM_
                                        ; -- End function
	.section	.AMDGPU.csdata,"",@progbits
; Kernel info:
; codeLenInByte = 0
; NumSgprs: 6
; NumVgprs: 0
; NumAgprs: 0
; TotalNumVgprs: 0
; ScratchSize: 0
; MemoryBound: 0
; FloatMode: 240
; IeeeMode: 1
; LDSByteSize: 0 bytes/workgroup (compile time only)
; SGPRBlocks: 0
; VGPRBlocks: 0
; NumSGPRsForWavesPerEU: 6
; NumVGPRsForWavesPerEU: 1
; AccumOffset: 4
; Occupancy: 8
; WaveLimiterHint : 0
; COMPUTE_PGM_RSRC2:SCRATCH_EN: 0
; COMPUTE_PGM_RSRC2:USER_SGPR: 2
; COMPUTE_PGM_RSRC2:TRAP_HANDLER: 0
; COMPUTE_PGM_RSRC2:TGID_X_EN: 1
; COMPUTE_PGM_RSRC2:TGID_Y_EN: 0
; COMPUTE_PGM_RSRC2:TGID_Z_EN: 0
; COMPUTE_PGM_RSRC2:TIDIG_COMP_CNT: 0
; COMPUTE_PGM_RSRC3_GFX90A:ACCUM_OFFSET: 0
; COMPUTE_PGM_RSRC3_GFX90A:TG_SPLIT: 0
	.section	.text._ZN7rocprim17ROCPRIM_400000_NS6detail17trampoline_kernelINS0_14default_configENS1_38merge_sort_block_merge_config_selectorIlNS0_10empty_typeEEEZZNS1_27merge_sort_block_merge_implIS3_PlPS5_mZN2at6native12_GLOBAL__N_124unique_dim_cuda_templateIlEESt5tupleIJNSA_6TensorESF_SF_EERKSF_lbbbEUlllE_EE10hipError_tT0_T1_T2_jT3_P12ihipStream_tbPNSt15iterator_traitsISL_E10value_typeEPNSR_ISM_E10value_typeEPSN_NS1_7vsmem_tEENKUlT_SL_SM_SN_E_clIS8_S8_S9_S9_EESK_S10_SL_SM_SN_EUlS10_E_NS1_11comp_targetILNS1_3genE0ELNS1_11target_archE4294967295ELNS1_3gpuE0ELNS1_3repE0EEENS1_48merge_mergepath_partition_config_static_selectorELNS0_4arch9wavefront6targetE1EEEvSM_,"axG",@progbits,_ZN7rocprim17ROCPRIM_400000_NS6detail17trampoline_kernelINS0_14default_configENS1_38merge_sort_block_merge_config_selectorIlNS0_10empty_typeEEEZZNS1_27merge_sort_block_merge_implIS3_PlPS5_mZN2at6native12_GLOBAL__N_124unique_dim_cuda_templateIlEESt5tupleIJNSA_6TensorESF_SF_EERKSF_lbbbEUlllE_EE10hipError_tT0_T1_T2_jT3_P12ihipStream_tbPNSt15iterator_traitsISL_E10value_typeEPNSR_ISM_E10value_typeEPSN_NS1_7vsmem_tEENKUlT_SL_SM_SN_E_clIS8_S8_S9_S9_EESK_S10_SL_SM_SN_EUlS10_E_NS1_11comp_targetILNS1_3genE0ELNS1_11target_archE4294967295ELNS1_3gpuE0ELNS1_3repE0EEENS1_48merge_mergepath_partition_config_static_selectorELNS0_4arch9wavefront6targetE1EEEvSM_,comdat
	.globl	_ZN7rocprim17ROCPRIM_400000_NS6detail17trampoline_kernelINS0_14default_configENS1_38merge_sort_block_merge_config_selectorIlNS0_10empty_typeEEEZZNS1_27merge_sort_block_merge_implIS3_PlPS5_mZN2at6native12_GLOBAL__N_124unique_dim_cuda_templateIlEESt5tupleIJNSA_6TensorESF_SF_EERKSF_lbbbEUlllE_EE10hipError_tT0_T1_T2_jT3_P12ihipStream_tbPNSt15iterator_traitsISL_E10value_typeEPNSR_ISM_E10value_typeEPSN_NS1_7vsmem_tEENKUlT_SL_SM_SN_E_clIS8_S8_S9_S9_EESK_S10_SL_SM_SN_EUlS10_E_NS1_11comp_targetILNS1_3genE0ELNS1_11target_archE4294967295ELNS1_3gpuE0ELNS1_3repE0EEENS1_48merge_mergepath_partition_config_static_selectorELNS0_4arch9wavefront6targetE1EEEvSM_ ; -- Begin function _ZN7rocprim17ROCPRIM_400000_NS6detail17trampoline_kernelINS0_14default_configENS1_38merge_sort_block_merge_config_selectorIlNS0_10empty_typeEEEZZNS1_27merge_sort_block_merge_implIS3_PlPS5_mZN2at6native12_GLOBAL__N_124unique_dim_cuda_templateIlEESt5tupleIJNSA_6TensorESF_SF_EERKSF_lbbbEUlllE_EE10hipError_tT0_T1_T2_jT3_P12ihipStream_tbPNSt15iterator_traitsISL_E10value_typeEPNSR_ISM_E10value_typeEPSN_NS1_7vsmem_tEENKUlT_SL_SM_SN_E_clIS8_S8_S9_S9_EESK_S10_SL_SM_SN_EUlS10_E_NS1_11comp_targetILNS1_3genE0ELNS1_11target_archE4294967295ELNS1_3gpuE0ELNS1_3repE0EEENS1_48merge_mergepath_partition_config_static_selectorELNS0_4arch9wavefront6targetE1EEEvSM_
	.p2align	8
	.type	_ZN7rocprim17ROCPRIM_400000_NS6detail17trampoline_kernelINS0_14default_configENS1_38merge_sort_block_merge_config_selectorIlNS0_10empty_typeEEEZZNS1_27merge_sort_block_merge_implIS3_PlPS5_mZN2at6native12_GLOBAL__N_124unique_dim_cuda_templateIlEESt5tupleIJNSA_6TensorESF_SF_EERKSF_lbbbEUlllE_EE10hipError_tT0_T1_T2_jT3_P12ihipStream_tbPNSt15iterator_traitsISL_E10value_typeEPNSR_ISM_E10value_typeEPSN_NS1_7vsmem_tEENKUlT_SL_SM_SN_E_clIS8_S8_S9_S9_EESK_S10_SL_SM_SN_EUlS10_E_NS1_11comp_targetILNS1_3genE0ELNS1_11target_archE4294967295ELNS1_3gpuE0ELNS1_3repE0EEENS1_48merge_mergepath_partition_config_static_selectorELNS0_4arch9wavefront6targetE1EEEvSM_,@function
_ZN7rocprim17ROCPRIM_400000_NS6detail17trampoline_kernelINS0_14default_configENS1_38merge_sort_block_merge_config_selectorIlNS0_10empty_typeEEEZZNS1_27merge_sort_block_merge_implIS3_PlPS5_mZN2at6native12_GLOBAL__N_124unique_dim_cuda_templateIlEESt5tupleIJNSA_6TensorESF_SF_EERKSF_lbbbEUlllE_EE10hipError_tT0_T1_T2_jT3_P12ihipStream_tbPNSt15iterator_traitsISL_E10value_typeEPNSR_ISM_E10value_typeEPSN_NS1_7vsmem_tEENKUlT_SL_SM_SN_E_clIS8_S8_S9_S9_EESK_S10_SL_SM_SN_EUlS10_E_NS1_11comp_targetILNS1_3genE0ELNS1_11target_archE4294967295ELNS1_3gpuE0ELNS1_3repE0EEENS1_48merge_mergepath_partition_config_static_selectorELNS0_4arch9wavefront6targetE1EEEvSM_: ; @_ZN7rocprim17ROCPRIM_400000_NS6detail17trampoline_kernelINS0_14default_configENS1_38merge_sort_block_merge_config_selectorIlNS0_10empty_typeEEEZZNS1_27merge_sort_block_merge_implIS3_PlPS5_mZN2at6native12_GLOBAL__N_124unique_dim_cuda_templateIlEESt5tupleIJNSA_6TensorESF_SF_EERKSF_lbbbEUlllE_EE10hipError_tT0_T1_T2_jT3_P12ihipStream_tbPNSt15iterator_traitsISL_E10value_typeEPNSR_ISM_E10value_typeEPSN_NS1_7vsmem_tEENKUlT_SL_SM_SN_E_clIS8_S8_S9_S9_EESK_S10_SL_SM_SN_EUlS10_E_NS1_11comp_targetILNS1_3genE0ELNS1_11target_archE4294967295ELNS1_3gpuE0ELNS1_3repE0EEENS1_48merge_mergepath_partition_config_static_selectorELNS0_4arch9wavefront6targetE1EEEvSM_
; %bb.0:
	.section	.rodata,"a",@progbits
	.p2align	6, 0x0
	.amdhsa_kernel _ZN7rocprim17ROCPRIM_400000_NS6detail17trampoline_kernelINS0_14default_configENS1_38merge_sort_block_merge_config_selectorIlNS0_10empty_typeEEEZZNS1_27merge_sort_block_merge_implIS3_PlPS5_mZN2at6native12_GLOBAL__N_124unique_dim_cuda_templateIlEESt5tupleIJNSA_6TensorESF_SF_EERKSF_lbbbEUlllE_EE10hipError_tT0_T1_T2_jT3_P12ihipStream_tbPNSt15iterator_traitsISL_E10value_typeEPNSR_ISM_E10value_typeEPSN_NS1_7vsmem_tEENKUlT_SL_SM_SN_E_clIS8_S8_S9_S9_EESK_S10_SL_SM_SN_EUlS10_E_NS1_11comp_targetILNS1_3genE0ELNS1_11target_archE4294967295ELNS1_3gpuE0ELNS1_3repE0EEENS1_48merge_mergepath_partition_config_static_selectorELNS0_4arch9wavefront6targetE1EEEvSM_
		.amdhsa_group_segment_fixed_size 0
		.amdhsa_private_segment_fixed_size 0
		.amdhsa_kernarg_size 56
		.amdhsa_user_sgpr_count 2
		.amdhsa_user_sgpr_dispatch_ptr 0
		.amdhsa_user_sgpr_queue_ptr 0
		.amdhsa_user_sgpr_kernarg_segment_ptr 1
		.amdhsa_user_sgpr_dispatch_id 0
		.amdhsa_user_sgpr_kernarg_preload_length 0
		.amdhsa_user_sgpr_kernarg_preload_offset 0
		.amdhsa_user_sgpr_private_segment_size 0
		.amdhsa_uses_dynamic_stack 0
		.amdhsa_enable_private_segment 0
		.amdhsa_system_sgpr_workgroup_id_x 1
		.amdhsa_system_sgpr_workgroup_id_y 0
		.amdhsa_system_sgpr_workgroup_id_z 0
		.amdhsa_system_sgpr_workgroup_info 0
		.amdhsa_system_vgpr_workitem_id 0
		.amdhsa_next_free_vgpr 1
		.amdhsa_next_free_sgpr 0
		.amdhsa_accum_offset 4
		.amdhsa_reserve_vcc 0
		.amdhsa_float_round_mode_32 0
		.amdhsa_float_round_mode_16_64 0
		.amdhsa_float_denorm_mode_32 3
		.amdhsa_float_denorm_mode_16_64 3
		.amdhsa_dx10_clamp 1
		.amdhsa_ieee_mode 1
		.amdhsa_fp16_overflow 0
		.amdhsa_tg_split 0
		.amdhsa_exception_fp_ieee_invalid_op 0
		.amdhsa_exception_fp_denorm_src 0
		.amdhsa_exception_fp_ieee_div_zero 0
		.amdhsa_exception_fp_ieee_overflow 0
		.amdhsa_exception_fp_ieee_underflow 0
		.amdhsa_exception_fp_ieee_inexact 0
		.amdhsa_exception_int_div_zero 0
	.end_amdhsa_kernel
	.section	.text._ZN7rocprim17ROCPRIM_400000_NS6detail17trampoline_kernelINS0_14default_configENS1_38merge_sort_block_merge_config_selectorIlNS0_10empty_typeEEEZZNS1_27merge_sort_block_merge_implIS3_PlPS5_mZN2at6native12_GLOBAL__N_124unique_dim_cuda_templateIlEESt5tupleIJNSA_6TensorESF_SF_EERKSF_lbbbEUlllE_EE10hipError_tT0_T1_T2_jT3_P12ihipStream_tbPNSt15iterator_traitsISL_E10value_typeEPNSR_ISM_E10value_typeEPSN_NS1_7vsmem_tEENKUlT_SL_SM_SN_E_clIS8_S8_S9_S9_EESK_S10_SL_SM_SN_EUlS10_E_NS1_11comp_targetILNS1_3genE0ELNS1_11target_archE4294967295ELNS1_3gpuE0ELNS1_3repE0EEENS1_48merge_mergepath_partition_config_static_selectorELNS0_4arch9wavefront6targetE1EEEvSM_,"axG",@progbits,_ZN7rocprim17ROCPRIM_400000_NS6detail17trampoline_kernelINS0_14default_configENS1_38merge_sort_block_merge_config_selectorIlNS0_10empty_typeEEEZZNS1_27merge_sort_block_merge_implIS3_PlPS5_mZN2at6native12_GLOBAL__N_124unique_dim_cuda_templateIlEESt5tupleIJNSA_6TensorESF_SF_EERKSF_lbbbEUlllE_EE10hipError_tT0_T1_T2_jT3_P12ihipStream_tbPNSt15iterator_traitsISL_E10value_typeEPNSR_ISM_E10value_typeEPSN_NS1_7vsmem_tEENKUlT_SL_SM_SN_E_clIS8_S8_S9_S9_EESK_S10_SL_SM_SN_EUlS10_E_NS1_11comp_targetILNS1_3genE0ELNS1_11target_archE4294967295ELNS1_3gpuE0ELNS1_3repE0EEENS1_48merge_mergepath_partition_config_static_selectorELNS0_4arch9wavefront6targetE1EEEvSM_,comdat
.Lfunc_end518:
	.size	_ZN7rocprim17ROCPRIM_400000_NS6detail17trampoline_kernelINS0_14default_configENS1_38merge_sort_block_merge_config_selectorIlNS0_10empty_typeEEEZZNS1_27merge_sort_block_merge_implIS3_PlPS5_mZN2at6native12_GLOBAL__N_124unique_dim_cuda_templateIlEESt5tupleIJNSA_6TensorESF_SF_EERKSF_lbbbEUlllE_EE10hipError_tT0_T1_T2_jT3_P12ihipStream_tbPNSt15iterator_traitsISL_E10value_typeEPNSR_ISM_E10value_typeEPSN_NS1_7vsmem_tEENKUlT_SL_SM_SN_E_clIS8_S8_S9_S9_EESK_S10_SL_SM_SN_EUlS10_E_NS1_11comp_targetILNS1_3genE0ELNS1_11target_archE4294967295ELNS1_3gpuE0ELNS1_3repE0EEENS1_48merge_mergepath_partition_config_static_selectorELNS0_4arch9wavefront6targetE1EEEvSM_, .Lfunc_end518-_ZN7rocprim17ROCPRIM_400000_NS6detail17trampoline_kernelINS0_14default_configENS1_38merge_sort_block_merge_config_selectorIlNS0_10empty_typeEEEZZNS1_27merge_sort_block_merge_implIS3_PlPS5_mZN2at6native12_GLOBAL__N_124unique_dim_cuda_templateIlEESt5tupleIJNSA_6TensorESF_SF_EERKSF_lbbbEUlllE_EE10hipError_tT0_T1_T2_jT3_P12ihipStream_tbPNSt15iterator_traitsISL_E10value_typeEPNSR_ISM_E10value_typeEPSN_NS1_7vsmem_tEENKUlT_SL_SM_SN_E_clIS8_S8_S9_S9_EESK_S10_SL_SM_SN_EUlS10_E_NS1_11comp_targetILNS1_3genE0ELNS1_11target_archE4294967295ELNS1_3gpuE0ELNS1_3repE0EEENS1_48merge_mergepath_partition_config_static_selectorELNS0_4arch9wavefront6targetE1EEEvSM_
                                        ; -- End function
	.section	.AMDGPU.csdata,"",@progbits
; Kernel info:
; codeLenInByte = 0
; NumSgprs: 6
; NumVgprs: 0
; NumAgprs: 0
; TotalNumVgprs: 0
; ScratchSize: 0
; MemoryBound: 0
; FloatMode: 240
; IeeeMode: 1
; LDSByteSize: 0 bytes/workgroup (compile time only)
; SGPRBlocks: 0
; VGPRBlocks: 0
; NumSGPRsForWavesPerEU: 6
; NumVGPRsForWavesPerEU: 1
; AccumOffset: 4
; Occupancy: 8
; WaveLimiterHint : 0
; COMPUTE_PGM_RSRC2:SCRATCH_EN: 0
; COMPUTE_PGM_RSRC2:USER_SGPR: 2
; COMPUTE_PGM_RSRC2:TRAP_HANDLER: 0
; COMPUTE_PGM_RSRC2:TGID_X_EN: 1
; COMPUTE_PGM_RSRC2:TGID_Y_EN: 0
; COMPUTE_PGM_RSRC2:TGID_Z_EN: 0
; COMPUTE_PGM_RSRC2:TIDIG_COMP_CNT: 0
; COMPUTE_PGM_RSRC3_GFX90A:ACCUM_OFFSET: 0
; COMPUTE_PGM_RSRC3_GFX90A:TG_SPLIT: 0
	.section	.text._ZN7rocprim17ROCPRIM_400000_NS6detail17trampoline_kernelINS0_14default_configENS1_38merge_sort_block_merge_config_selectorIlNS0_10empty_typeEEEZZNS1_27merge_sort_block_merge_implIS3_PlPS5_mZN2at6native12_GLOBAL__N_124unique_dim_cuda_templateIlEESt5tupleIJNSA_6TensorESF_SF_EERKSF_lbbbEUlllE_EE10hipError_tT0_T1_T2_jT3_P12ihipStream_tbPNSt15iterator_traitsISL_E10value_typeEPNSR_ISM_E10value_typeEPSN_NS1_7vsmem_tEENKUlT_SL_SM_SN_E_clIS8_S8_S9_S9_EESK_S10_SL_SM_SN_EUlS10_E_NS1_11comp_targetILNS1_3genE10ELNS1_11target_archE1201ELNS1_3gpuE5ELNS1_3repE0EEENS1_48merge_mergepath_partition_config_static_selectorELNS0_4arch9wavefront6targetE1EEEvSM_,"axG",@progbits,_ZN7rocprim17ROCPRIM_400000_NS6detail17trampoline_kernelINS0_14default_configENS1_38merge_sort_block_merge_config_selectorIlNS0_10empty_typeEEEZZNS1_27merge_sort_block_merge_implIS3_PlPS5_mZN2at6native12_GLOBAL__N_124unique_dim_cuda_templateIlEESt5tupleIJNSA_6TensorESF_SF_EERKSF_lbbbEUlllE_EE10hipError_tT0_T1_T2_jT3_P12ihipStream_tbPNSt15iterator_traitsISL_E10value_typeEPNSR_ISM_E10value_typeEPSN_NS1_7vsmem_tEENKUlT_SL_SM_SN_E_clIS8_S8_S9_S9_EESK_S10_SL_SM_SN_EUlS10_E_NS1_11comp_targetILNS1_3genE10ELNS1_11target_archE1201ELNS1_3gpuE5ELNS1_3repE0EEENS1_48merge_mergepath_partition_config_static_selectorELNS0_4arch9wavefront6targetE1EEEvSM_,comdat
	.globl	_ZN7rocprim17ROCPRIM_400000_NS6detail17trampoline_kernelINS0_14default_configENS1_38merge_sort_block_merge_config_selectorIlNS0_10empty_typeEEEZZNS1_27merge_sort_block_merge_implIS3_PlPS5_mZN2at6native12_GLOBAL__N_124unique_dim_cuda_templateIlEESt5tupleIJNSA_6TensorESF_SF_EERKSF_lbbbEUlllE_EE10hipError_tT0_T1_T2_jT3_P12ihipStream_tbPNSt15iterator_traitsISL_E10value_typeEPNSR_ISM_E10value_typeEPSN_NS1_7vsmem_tEENKUlT_SL_SM_SN_E_clIS8_S8_S9_S9_EESK_S10_SL_SM_SN_EUlS10_E_NS1_11comp_targetILNS1_3genE10ELNS1_11target_archE1201ELNS1_3gpuE5ELNS1_3repE0EEENS1_48merge_mergepath_partition_config_static_selectorELNS0_4arch9wavefront6targetE1EEEvSM_ ; -- Begin function _ZN7rocprim17ROCPRIM_400000_NS6detail17trampoline_kernelINS0_14default_configENS1_38merge_sort_block_merge_config_selectorIlNS0_10empty_typeEEEZZNS1_27merge_sort_block_merge_implIS3_PlPS5_mZN2at6native12_GLOBAL__N_124unique_dim_cuda_templateIlEESt5tupleIJNSA_6TensorESF_SF_EERKSF_lbbbEUlllE_EE10hipError_tT0_T1_T2_jT3_P12ihipStream_tbPNSt15iterator_traitsISL_E10value_typeEPNSR_ISM_E10value_typeEPSN_NS1_7vsmem_tEENKUlT_SL_SM_SN_E_clIS8_S8_S9_S9_EESK_S10_SL_SM_SN_EUlS10_E_NS1_11comp_targetILNS1_3genE10ELNS1_11target_archE1201ELNS1_3gpuE5ELNS1_3repE0EEENS1_48merge_mergepath_partition_config_static_selectorELNS0_4arch9wavefront6targetE1EEEvSM_
	.p2align	8
	.type	_ZN7rocprim17ROCPRIM_400000_NS6detail17trampoline_kernelINS0_14default_configENS1_38merge_sort_block_merge_config_selectorIlNS0_10empty_typeEEEZZNS1_27merge_sort_block_merge_implIS3_PlPS5_mZN2at6native12_GLOBAL__N_124unique_dim_cuda_templateIlEESt5tupleIJNSA_6TensorESF_SF_EERKSF_lbbbEUlllE_EE10hipError_tT0_T1_T2_jT3_P12ihipStream_tbPNSt15iterator_traitsISL_E10value_typeEPNSR_ISM_E10value_typeEPSN_NS1_7vsmem_tEENKUlT_SL_SM_SN_E_clIS8_S8_S9_S9_EESK_S10_SL_SM_SN_EUlS10_E_NS1_11comp_targetILNS1_3genE10ELNS1_11target_archE1201ELNS1_3gpuE5ELNS1_3repE0EEENS1_48merge_mergepath_partition_config_static_selectorELNS0_4arch9wavefront6targetE1EEEvSM_,@function
_ZN7rocprim17ROCPRIM_400000_NS6detail17trampoline_kernelINS0_14default_configENS1_38merge_sort_block_merge_config_selectorIlNS0_10empty_typeEEEZZNS1_27merge_sort_block_merge_implIS3_PlPS5_mZN2at6native12_GLOBAL__N_124unique_dim_cuda_templateIlEESt5tupleIJNSA_6TensorESF_SF_EERKSF_lbbbEUlllE_EE10hipError_tT0_T1_T2_jT3_P12ihipStream_tbPNSt15iterator_traitsISL_E10value_typeEPNSR_ISM_E10value_typeEPSN_NS1_7vsmem_tEENKUlT_SL_SM_SN_E_clIS8_S8_S9_S9_EESK_S10_SL_SM_SN_EUlS10_E_NS1_11comp_targetILNS1_3genE10ELNS1_11target_archE1201ELNS1_3gpuE5ELNS1_3repE0EEENS1_48merge_mergepath_partition_config_static_selectorELNS0_4arch9wavefront6targetE1EEEvSM_: ; @_ZN7rocprim17ROCPRIM_400000_NS6detail17trampoline_kernelINS0_14default_configENS1_38merge_sort_block_merge_config_selectorIlNS0_10empty_typeEEEZZNS1_27merge_sort_block_merge_implIS3_PlPS5_mZN2at6native12_GLOBAL__N_124unique_dim_cuda_templateIlEESt5tupleIJNSA_6TensorESF_SF_EERKSF_lbbbEUlllE_EE10hipError_tT0_T1_T2_jT3_P12ihipStream_tbPNSt15iterator_traitsISL_E10value_typeEPNSR_ISM_E10value_typeEPSN_NS1_7vsmem_tEENKUlT_SL_SM_SN_E_clIS8_S8_S9_S9_EESK_S10_SL_SM_SN_EUlS10_E_NS1_11comp_targetILNS1_3genE10ELNS1_11target_archE1201ELNS1_3gpuE5ELNS1_3repE0EEENS1_48merge_mergepath_partition_config_static_selectorELNS0_4arch9wavefront6targetE1EEEvSM_
; %bb.0:
	.section	.rodata,"a",@progbits
	.p2align	6, 0x0
	.amdhsa_kernel _ZN7rocprim17ROCPRIM_400000_NS6detail17trampoline_kernelINS0_14default_configENS1_38merge_sort_block_merge_config_selectorIlNS0_10empty_typeEEEZZNS1_27merge_sort_block_merge_implIS3_PlPS5_mZN2at6native12_GLOBAL__N_124unique_dim_cuda_templateIlEESt5tupleIJNSA_6TensorESF_SF_EERKSF_lbbbEUlllE_EE10hipError_tT0_T1_T2_jT3_P12ihipStream_tbPNSt15iterator_traitsISL_E10value_typeEPNSR_ISM_E10value_typeEPSN_NS1_7vsmem_tEENKUlT_SL_SM_SN_E_clIS8_S8_S9_S9_EESK_S10_SL_SM_SN_EUlS10_E_NS1_11comp_targetILNS1_3genE10ELNS1_11target_archE1201ELNS1_3gpuE5ELNS1_3repE0EEENS1_48merge_mergepath_partition_config_static_selectorELNS0_4arch9wavefront6targetE1EEEvSM_
		.amdhsa_group_segment_fixed_size 0
		.amdhsa_private_segment_fixed_size 0
		.amdhsa_kernarg_size 56
		.amdhsa_user_sgpr_count 2
		.amdhsa_user_sgpr_dispatch_ptr 0
		.amdhsa_user_sgpr_queue_ptr 0
		.amdhsa_user_sgpr_kernarg_segment_ptr 1
		.amdhsa_user_sgpr_dispatch_id 0
		.amdhsa_user_sgpr_kernarg_preload_length 0
		.amdhsa_user_sgpr_kernarg_preload_offset 0
		.amdhsa_user_sgpr_private_segment_size 0
		.amdhsa_uses_dynamic_stack 0
		.amdhsa_enable_private_segment 0
		.amdhsa_system_sgpr_workgroup_id_x 1
		.amdhsa_system_sgpr_workgroup_id_y 0
		.amdhsa_system_sgpr_workgroup_id_z 0
		.amdhsa_system_sgpr_workgroup_info 0
		.amdhsa_system_vgpr_workitem_id 0
		.amdhsa_next_free_vgpr 1
		.amdhsa_next_free_sgpr 0
		.amdhsa_accum_offset 4
		.amdhsa_reserve_vcc 0
		.amdhsa_float_round_mode_32 0
		.amdhsa_float_round_mode_16_64 0
		.amdhsa_float_denorm_mode_32 3
		.amdhsa_float_denorm_mode_16_64 3
		.amdhsa_dx10_clamp 1
		.amdhsa_ieee_mode 1
		.amdhsa_fp16_overflow 0
		.amdhsa_tg_split 0
		.amdhsa_exception_fp_ieee_invalid_op 0
		.amdhsa_exception_fp_denorm_src 0
		.amdhsa_exception_fp_ieee_div_zero 0
		.amdhsa_exception_fp_ieee_overflow 0
		.amdhsa_exception_fp_ieee_underflow 0
		.amdhsa_exception_fp_ieee_inexact 0
		.amdhsa_exception_int_div_zero 0
	.end_amdhsa_kernel
	.section	.text._ZN7rocprim17ROCPRIM_400000_NS6detail17trampoline_kernelINS0_14default_configENS1_38merge_sort_block_merge_config_selectorIlNS0_10empty_typeEEEZZNS1_27merge_sort_block_merge_implIS3_PlPS5_mZN2at6native12_GLOBAL__N_124unique_dim_cuda_templateIlEESt5tupleIJNSA_6TensorESF_SF_EERKSF_lbbbEUlllE_EE10hipError_tT0_T1_T2_jT3_P12ihipStream_tbPNSt15iterator_traitsISL_E10value_typeEPNSR_ISM_E10value_typeEPSN_NS1_7vsmem_tEENKUlT_SL_SM_SN_E_clIS8_S8_S9_S9_EESK_S10_SL_SM_SN_EUlS10_E_NS1_11comp_targetILNS1_3genE10ELNS1_11target_archE1201ELNS1_3gpuE5ELNS1_3repE0EEENS1_48merge_mergepath_partition_config_static_selectorELNS0_4arch9wavefront6targetE1EEEvSM_,"axG",@progbits,_ZN7rocprim17ROCPRIM_400000_NS6detail17trampoline_kernelINS0_14default_configENS1_38merge_sort_block_merge_config_selectorIlNS0_10empty_typeEEEZZNS1_27merge_sort_block_merge_implIS3_PlPS5_mZN2at6native12_GLOBAL__N_124unique_dim_cuda_templateIlEESt5tupleIJNSA_6TensorESF_SF_EERKSF_lbbbEUlllE_EE10hipError_tT0_T1_T2_jT3_P12ihipStream_tbPNSt15iterator_traitsISL_E10value_typeEPNSR_ISM_E10value_typeEPSN_NS1_7vsmem_tEENKUlT_SL_SM_SN_E_clIS8_S8_S9_S9_EESK_S10_SL_SM_SN_EUlS10_E_NS1_11comp_targetILNS1_3genE10ELNS1_11target_archE1201ELNS1_3gpuE5ELNS1_3repE0EEENS1_48merge_mergepath_partition_config_static_selectorELNS0_4arch9wavefront6targetE1EEEvSM_,comdat
.Lfunc_end519:
	.size	_ZN7rocprim17ROCPRIM_400000_NS6detail17trampoline_kernelINS0_14default_configENS1_38merge_sort_block_merge_config_selectorIlNS0_10empty_typeEEEZZNS1_27merge_sort_block_merge_implIS3_PlPS5_mZN2at6native12_GLOBAL__N_124unique_dim_cuda_templateIlEESt5tupleIJNSA_6TensorESF_SF_EERKSF_lbbbEUlllE_EE10hipError_tT0_T1_T2_jT3_P12ihipStream_tbPNSt15iterator_traitsISL_E10value_typeEPNSR_ISM_E10value_typeEPSN_NS1_7vsmem_tEENKUlT_SL_SM_SN_E_clIS8_S8_S9_S9_EESK_S10_SL_SM_SN_EUlS10_E_NS1_11comp_targetILNS1_3genE10ELNS1_11target_archE1201ELNS1_3gpuE5ELNS1_3repE0EEENS1_48merge_mergepath_partition_config_static_selectorELNS0_4arch9wavefront6targetE1EEEvSM_, .Lfunc_end519-_ZN7rocprim17ROCPRIM_400000_NS6detail17trampoline_kernelINS0_14default_configENS1_38merge_sort_block_merge_config_selectorIlNS0_10empty_typeEEEZZNS1_27merge_sort_block_merge_implIS3_PlPS5_mZN2at6native12_GLOBAL__N_124unique_dim_cuda_templateIlEESt5tupleIJNSA_6TensorESF_SF_EERKSF_lbbbEUlllE_EE10hipError_tT0_T1_T2_jT3_P12ihipStream_tbPNSt15iterator_traitsISL_E10value_typeEPNSR_ISM_E10value_typeEPSN_NS1_7vsmem_tEENKUlT_SL_SM_SN_E_clIS8_S8_S9_S9_EESK_S10_SL_SM_SN_EUlS10_E_NS1_11comp_targetILNS1_3genE10ELNS1_11target_archE1201ELNS1_3gpuE5ELNS1_3repE0EEENS1_48merge_mergepath_partition_config_static_selectorELNS0_4arch9wavefront6targetE1EEEvSM_
                                        ; -- End function
	.section	.AMDGPU.csdata,"",@progbits
; Kernel info:
; codeLenInByte = 0
; NumSgprs: 6
; NumVgprs: 0
; NumAgprs: 0
; TotalNumVgprs: 0
; ScratchSize: 0
; MemoryBound: 0
; FloatMode: 240
; IeeeMode: 1
; LDSByteSize: 0 bytes/workgroup (compile time only)
; SGPRBlocks: 0
; VGPRBlocks: 0
; NumSGPRsForWavesPerEU: 6
; NumVGPRsForWavesPerEU: 1
; AccumOffset: 4
; Occupancy: 8
; WaveLimiterHint : 0
; COMPUTE_PGM_RSRC2:SCRATCH_EN: 0
; COMPUTE_PGM_RSRC2:USER_SGPR: 2
; COMPUTE_PGM_RSRC2:TRAP_HANDLER: 0
; COMPUTE_PGM_RSRC2:TGID_X_EN: 1
; COMPUTE_PGM_RSRC2:TGID_Y_EN: 0
; COMPUTE_PGM_RSRC2:TGID_Z_EN: 0
; COMPUTE_PGM_RSRC2:TIDIG_COMP_CNT: 0
; COMPUTE_PGM_RSRC3_GFX90A:ACCUM_OFFSET: 0
; COMPUTE_PGM_RSRC3_GFX90A:TG_SPLIT: 0
	.section	.text._ZN7rocprim17ROCPRIM_400000_NS6detail17trampoline_kernelINS0_14default_configENS1_38merge_sort_block_merge_config_selectorIlNS0_10empty_typeEEEZZNS1_27merge_sort_block_merge_implIS3_PlPS5_mZN2at6native12_GLOBAL__N_124unique_dim_cuda_templateIlEESt5tupleIJNSA_6TensorESF_SF_EERKSF_lbbbEUlllE_EE10hipError_tT0_T1_T2_jT3_P12ihipStream_tbPNSt15iterator_traitsISL_E10value_typeEPNSR_ISM_E10value_typeEPSN_NS1_7vsmem_tEENKUlT_SL_SM_SN_E_clIS8_S8_S9_S9_EESK_S10_SL_SM_SN_EUlS10_E_NS1_11comp_targetILNS1_3genE5ELNS1_11target_archE942ELNS1_3gpuE9ELNS1_3repE0EEENS1_48merge_mergepath_partition_config_static_selectorELNS0_4arch9wavefront6targetE1EEEvSM_,"axG",@progbits,_ZN7rocprim17ROCPRIM_400000_NS6detail17trampoline_kernelINS0_14default_configENS1_38merge_sort_block_merge_config_selectorIlNS0_10empty_typeEEEZZNS1_27merge_sort_block_merge_implIS3_PlPS5_mZN2at6native12_GLOBAL__N_124unique_dim_cuda_templateIlEESt5tupleIJNSA_6TensorESF_SF_EERKSF_lbbbEUlllE_EE10hipError_tT0_T1_T2_jT3_P12ihipStream_tbPNSt15iterator_traitsISL_E10value_typeEPNSR_ISM_E10value_typeEPSN_NS1_7vsmem_tEENKUlT_SL_SM_SN_E_clIS8_S8_S9_S9_EESK_S10_SL_SM_SN_EUlS10_E_NS1_11comp_targetILNS1_3genE5ELNS1_11target_archE942ELNS1_3gpuE9ELNS1_3repE0EEENS1_48merge_mergepath_partition_config_static_selectorELNS0_4arch9wavefront6targetE1EEEvSM_,comdat
	.globl	_ZN7rocprim17ROCPRIM_400000_NS6detail17trampoline_kernelINS0_14default_configENS1_38merge_sort_block_merge_config_selectorIlNS0_10empty_typeEEEZZNS1_27merge_sort_block_merge_implIS3_PlPS5_mZN2at6native12_GLOBAL__N_124unique_dim_cuda_templateIlEESt5tupleIJNSA_6TensorESF_SF_EERKSF_lbbbEUlllE_EE10hipError_tT0_T1_T2_jT3_P12ihipStream_tbPNSt15iterator_traitsISL_E10value_typeEPNSR_ISM_E10value_typeEPSN_NS1_7vsmem_tEENKUlT_SL_SM_SN_E_clIS8_S8_S9_S9_EESK_S10_SL_SM_SN_EUlS10_E_NS1_11comp_targetILNS1_3genE5ELNS1_11target_archE942ELNS1_3gpuE9ELNS1_3repE0EEENS1_48merge_mergepath_partition_config_static_selectorELNS0_4arch9wavefront6targetE1EEEvSM_ ; -- Begin function _ZN7rocprim17ROCPRIM_400000_NS6detail17trampoline_kernelINS0_14default_configENS1_38merge_sort_block_merge_config_selectorIlNS0_10empty_typeEEEZZNS1_27merge_sort_block_merge_implIS3_PlPS5_mZN2at6native12_GLOBAL__N_124unique_dim_cuda_templateIlEESt5tupleIJNSA_6TensorESF_SF_EERKSF_lbbbEUlllE_EE10hipError_tT0_T1_T2_jT3_P12ihipStream_tbPNSt15iterator_traitsISL_E10value_typeEPNSR_ISM_E10value_typeEPSN_NS1_7vsmem_tEENKUlT_SL_SM_SN_E_clIS8_S8_S9_S9_EESK_S10_SL_SM_SN_EUlS10_E_NS1_11comp_targetILNS1_3genE5ELNS1_11target_archE942ELNS1_3gpuE9ELNS1_3repE0EEENS1_48merge_mergepath_partition_config_static_selectorELNS0_4arch9wavefront6targetE1EEEvSM_
	.p2align	8
	.type	_ZN7rocprim17ROCPRIM_400000_NS6detail17trampoline_kernelINS0_14default_configENS1_38merge_sort_block_merge_config_selectorIlNS0_10empty_typeEEEZZNS1_27merge_sort_block_merge_implIS3_PlPS5_mZN2at6native12_GLOBAL__N_124unique_dim_cuda_templateIlEESt5tupleIJNSA_6TensorESF_SF_EERKSF_lbbbEUlllE_EE10hipError_tT0_T1_T2_jT3_P12ihipStream_tbPNSt15iterator_traitsISL_E10value_typeEPNSR_ISM_E10value_typeEPSN_NS1_7vsmem_tEENKUlT_SL_SM_SN_E_clIS8_S8_S9_S9_EESK_S10_SL_SM_SN_EUlS10_E_NS1_11comp_targetILNS1_3genE5ELNS1_11target_archE942ELNS1_3gpuE9ELNS1_3repE0EEENS1_48merge_mergepath_partition_config_static_selectorELNS0_4arch9wavefront6targetE1EEEvSM_,@function
_ZN7rocprim17ROCPRIM_400000_NS6detail17trampoline_kernelINS0_14default_configENS1_38merge_sort_block_merge_config_selectorIlNS0_10empty_typeEEEZZNS1_27merge_sort_block_merge_implIS3_PlPS5_mZN2at6native12_GLOBAL__N_124unique_dim_cuda_templateIlEESt5tupleIJNSA_6TensorESF_SF_EERKSF_lbbbEUlllE_EE10hipError_tT0_T1_T2_jT3_P12ihipStream_tbPNSt15iterator_traitsISL_E10value_typeEPNSR_ISM_E10value_typeEPSN_NS1_7vsmem_tEENKUlT_SL_SM_SN_E_clIS8_S8_S9_S9_EESK_S10_SL_SM_SN_EUlS10_E_NS1_11comp_targetILNS1_3genE5ELNS1_11target_archE942ELNS1_3gpuE9ELNS1_3repE0EEENS1_48merge_mergepath_partition_config_static_selectorELNS0_4arch9wavefront6targetE1EEEvSM_: ; @_ZN7rocprim17ROCPRIM_400000_NS6detail17trampoline_kernelINS0_14default_configENS1_38merge_sort_block_merge_config_selectorIlNS0_10empty_typeEEEZZNS1_27merge_sort_block_merge_implIS3_PlPS5_mZN2at6native12_GLOBAL__N_124unique_dim_cuda_templateIlEESt5tupleIJNSA_6TensorESF_SF_EERKSF_lbbbEUlllE_EE10hipError_tT0_T1_T2_jT3_P12ihipStream_tbPNSt15iterator_traitsISL_E10value_typeEPNSR_ISM_E10value_typeEPSN_NS1_7vsmem_tEENKUlT_SL_SM_SN_E_clIS8_S8_S9_S9_EESK_S10_SL_SM_SN_EUlS10_E_NS1_11comp_targetILNS1_3genE5ELNS1_11target_archE942ELNS1_3gpuE9ELNS1_3repE0EEENS1_48merge_mergepath_partition_config_static_selectorELNS0_4arch9wavefront6targetE1EEEvSM_
; %bb.0:
	s_load_dword s3, s[0:1], 0x0
	v_lshl_or_b32 v0, s2, 7, v0
	s_waitcnt lgkmcnt(0)
	v_cmp_gt_u32_e32 vcc, s3, v0
	s_and_saveexec_b64 s[2:3], vcc
	s_cbranch_execz .LBB520_12
; %bb.1:
	s_load_dwordx4 s[12:15], s[0:1], 0x8
	s_load_dwordx8 s[4:11], s[0:1], 0x18
	v_mov_b32_e32 v5, 0
	v_mov_b32_e32 v7, v5
	s_waitcnt lgkmcnt(0)
	v_mov_b32_e32 v1, s12
	v_alignbit_b32 v1, s13, v1, 9
	v_and_b32_e32 v1, -2, v1
	v_add_u32_e32 v2, -1, v1
	v_sub_u32_e32 v1, 0, v1
	v_and_b32_e32 v4, v0, v1
	v_lshlrev_b64 v[8:9], 10, v[4:5]
	v_mov_b32_e32 v1, s15
	v_cmp_lt_u64_e32 vcc, s[14:15], v[8:9]
	v_mov_b32_e32 v4, s14
	v_and_b32_e32 v6, v2, v0
	v_cndmask_b32_e32 v3, v9, v1, vcc
	v_cndmask_b32_e32 v2, v8, v4, vcc
	v_lshl_add_u64 v[8:9], v[8:9], 0, s[12:13]
	v_cmp_lt_u64_e32 vcc, s[14:15], v[8:9]
	s_nop 1
	v_cndmask_b32_e32 v11, v9, v1, vcc
	v_cndmask_b32_e32 v10, v8, v4, vcc
	v_lshl_add_u64 v[8:9], v[10:11], 0, s[12:13]
	v_cmp_lt_u64_e32 vcc, s[14:15], v[8:9]
	s_nop 1
	v_cndmask_b32_e32 v14, v8, v4, vcc
	v_cndmask_b32_e32 v1, v9, v1, vcc
	v_sub_co_u32_e32 v8, vcc, v14, v2
	v_lshlrev_b64 v[4:5], 10, v[6:7]
	s_nop 0
	v_subb_co_u32_e32 v9, vcc, v1, v3, vcc
	v_cmp_lt_u64_e32 vcc, v[8:9], v[4:5]
	s_nop 1
	v_cndmask_b32_e32 v13, v5, v9, vcc
	v_cndmask_b32_e32 v12, v4, v8, vcc
	v_sub_co_u32_e32 v6, vcc, v10, v2
	s_nop 1
	v_subb_co_u32_e32 v7, vcc, v11, v3, vcc
	v_sub_co_u32_e32 v4, vcc, v10, v14
	s_nop 1
	v_subb_co_u32_e32 v5, vcc, v11, v1, vcc
	v_lshl_add_u64 v[4:5], v[12:13], 0, v[4:5]
	v_cmp_gt_u64_e32 vcc, v[4:5], v[12:13]
	s_nop 1
	v_cndmask_b32_e64 v5, v5, 0, vcc
	v_cndmask_b32_e64 v4, v4, 0, vcc
	v_cmp_lt_u64_e32 vcc, v[12:13], v[6:7]
	s_nop 1
	v_cndmask_b32_e32 v7, v7, v13, vcc
	v_cndmask_b32_e32 v6, v6, v12, vcc
	v_cmp_lt_u64_e32 vcc, v[4:5], v[6:7]
	s_and_saveexec_b64 s[12:13], vcc
	s_cbranch_execz .LBB520_11
; %bb.2:
	v_cmp_gt_i64_e64 s[0:1], s[6:7], 0
	v_lshl_add_u64 v[10:11], v[10:11], 3, s[4:5]
	v_lshl_add_u64 v[8:9], v[2:3], 3, s[4:5]
	v_cndmask_b32_e64 v1, 0, 1, s[0:1]
	v_lshl_add_u64 v[10:11], v[12:13], 3, v[10:11]
	s_mov_b64 s[14:15], 0
	s_lshl_b64 s[16:17], s[6:7], 3
	v_cmp_ne_u32_e64 s[0:1], 1, v1
	s_branch .LBB520_5
.LBB520_3:                              ;   in Loop: Header=BB520_5 Depth=1
	s_or_b64 exec, exec, s[20:21]
.LBB520_4:                              ;   in Loop: Header=BB520_5 Depth=1
	v_lshl_add_u64 v[14:15], v[12:13], 0, 1
	v_cndmask_b32_e64 v7, v7, v13, s[18:19]
	v_cndmask_b32_e64 v6, v6, v12, s[18:19]
	;; [unrolled: 1-line block ×4, first 2 shown]
	v_cmp_ge_u64_e32 vcc, v[4:5], v[6:7]
	s_or_b64 s[14:15], vcc, s[14:15]
	s_andn2_b64 exec, exec, s[14:15]
	s_cbranch_execz .LBB520_10
.LBB520_5:                              ; =>This Loop Header: Depth=1
                                        ;     Child Loop BB520_8 Depth 2
	v_lshl_add_u64 v[12:13], v[6:7], 0, v[4:5]
	v_lshrrev_b64 v[12:13], 1, v[12:13]
	s_and_b64 vcc, exec, s[0:1]
	s_mov_b64 s[18:19], 0
	s_cbranch_vccnz .LBB520_4
; %bb.6:                                ;   in Loop: Header=BB520_5 Depth=1
	v_not_b32_e32 v15, v13
	v_not_b32_e32 v14, v12
	v_lshl_add_u64 v[14:15], v[14:15], 3, v[10:11]
	v_lshl_add_u64 v[16:17], v[12:13], 3, v[8:9]
	global_load_dwordx2 v[14:15], v[14:15], off
	v_mov_b64_e32 v[18:19], s[8:9]
	global_load_dwordx2 v[16:17], v[16:17], off
	s_mov_b64 s[20:21], 0
	s_mov_b64 s[26:27], s[6:7]
                                        ; implicit-def: $sgpr18_sgpr19
                                        ; implicit-def: $sgpr22_sgpr23
                                        ; implicit-def: $sgpr24_sgpr25
                                        ; implicit-def: $sgpr2_sgpr3
                                        ; implicit-def: $sgpr28_sgpr29
	s_waitcnt vmcnt(1)
	v_mul_lo_u32 v1, s16, v15
	v_mul_lo_u32 v20, s17, v14
	v_mad_u64_u32 v[14:15], s[4:5], s16, v14, v[18:19]
	s_waitcnt vmcnt(0)
	v_mul_lo_u32 v21, s16, v17
	v_mul_lo_u32 v22, s17, v16
	v_mad_u64_u32 v[16:17], s[4:5], s16, v16, v[18:19]
	v_add3_u32 v15, v20, v15, v1
	v_add3_u32 v17, v22, v17, v21
	s_branch .LBB520_8
.LBB520_7:                              ;   in Loop: Header=BB520_8 Depth=2
	s_or_b64 exec, exec, s[30:31]
	s_and_b64 s[4:5], exec, s[22:23]
	s_or_b64 s[20:21], s[4:5], s[20:21]
	s_andn2_b64 s[4:5], s[28:29], exec
	s_and_b64 s[28:29], s[24:25], exec
	s_or_b64 s[28:29], s[4:5], s[28:29]
	s_andn2_b64 s[4:5], s[18:19], exec
	s_and_b64 s[18:19], s[2:3], exec
	s_or_b64 s[18:19], s[4:5], s[18:19]
	s_andn2_b64 exec, exec, s[20:21]
	s_cbranch_execz .LBB520_3
.LBB520_8:                              ;   Parent Loop BB520_5 Depth=1
                                        ; =>  This Inner Loop Header: Depth=2
	global_load_dwordx2 v[18:19], v[14:15], off
	global_load_dwordx2 v[20:21], v[16:17], off
	s_andn2_b64 s[30:31], s[2:3], exec
	s_andn2_b64 s[24:25], s[24:25], exec
	s_or_b64 s[22:23], s[22:23], exec
	s_waitcnt vmcnt(0)
	v_cmp_le_i64_e64 s[2:3], v[18:19], v[20:21]
	v_cmp_lt_i64_e32 vcc, v[18:19], v[20:21]
	s_and_b64 s[2:3], s[2:3], s[28:29]
	s_or_b64 s[34:35], vcc, s[2:3]
	s_and_b64 s[2:3], s[34:35], exec
	v_cmp_eq_u64_e64 s[4:5], v[18:19], v[20:21]
	s_or_b64 s[2:3], s[30:31], s[2:3]
	s_and_saveexec_b64 s[30:31], s[4:5]
	s_cbranch_execz .LBB520_7
; %bb.9:                                ;   in Loop: Header=BB520_8 Depth=2
	s_add_u32 s26, s26, -1
	s_addc_u32 s27, s27, -1
	s_cmp_eq_u64 s[26:27], 0
	s_cselect_b64 s[4:5], -1, 0
	s_andn2_b64 s[24:25], s[24:25], exec
	s_and_b64 s[28:29], s[34:35], exec
	s_andn2_b64 s[22:23], s[22:23], exec
	s_and_b64 s[4:5], s[4:5], exec
	v_lshl_add_u64 v[14:15], v[14:15], 0, 8
	v_lshl_add_u64 v[16:17], v[16:17], 0, 8
	s_andn2_b64 s[2:3], s[2:3], exec
	s_or_b64 s[24:25], s[24:25], s[28:29]
	s_or_b64 s[22:23], s[22:23], s[4:5]
                                        ; implicit-def: $sgpr28_sgpr29
	s_branch .LBB520_7
.LBB520_10:
	s_or_b64 exec, exec, s[14:15]
.LBB520_11:
	s_or_b64 exec, exec, s[12:13]
	v_mov_b32_e32 v6, s10
	v_mov_b32_e32 v7, s11
	;; [unrolled: 1-line block ×3, first 2 shown]
	v_lshl_add_u64 v[2:3], v[4:5], 0, v[2:3]
	v_lshl_add_u64 v[0:1], v[0:1], 3, v[6:7]
	global_store_dwordx2 v[0:1], v[2:3], off
.LBB520_12:
	s_endpgm
	.section	.rodata,"a",@progbits
	.p2align	6, 0x0
	.amdhsa_kernel _ZN7rocprim17ROCPRIM_400000_NS6detail17trampoline_kernelINS0_14default_configENS1_38merge_sort_block_merge_config_selectorIlNS0_10empty_typeEEEZZNS1_27merge_sort_block_merge_implIS3_PlPS5_mZN2at6native12_GLOBAL__N_124unique_dim_cuda_templateIlEESt5tupleIJNSA_6TensorESF_SF_EERKSF_lbbbEUlllE_EE10hipError_tT0_T1_T2_jT3_P12ihipStream_tbPNSt15iterator_traitsISL_E10value_typeEPNSR_ISM_E10value_typeEPSN_NS1_7vsmem_tEENKUlT_SL_SM_SN_E_clIS8_S8_S9_S9_EESK_S10_SL_SM_SN_EUlS10_E_NS1_11comp_targetILNS1_3genE5ELNS1_11target_archE942ELNS1_3gpuE9ELNS1_3repE0EEENS1_48merge_mergepath_partition_config_static_selectorELNS0_4arch9wavefront6targetE1EEEvSM_
		.amdhsa_group_segment_fixed_size 0
		.amdhsa_private_segment_fixed_size 0
		.amdhsa_kernarg_size 56
		.amdhsa_user_sgpr_count 2
		.amdhsa_user_sgpr_dispatch_ptr 0
		.amdhsa_user_sgpr_queue_ptr 0
		.amdhsa_user_sgpr_kernarg_segment_ptr 1
		.amdhsa_user_sgpr_dispatch_id 0
		.amdhsa_user_sgpr_kernarg_preload_length 0
		.amdhsa_user_sgpr_kernarg_preload_offset 0
		.amdhsa_user_sgpr_private_segment_size 0
		.amdhsa_uses_dynamic_stack 0
		.amdhsa_enable_private_segment 0
		.amdhsa_system_sgpr_workgroup_id_x 1
		.amdhsa_system_sgpr_workgroup_id_y 0
		.amdhsa_system_sgpr_workgroup_id_z 0
		.amdhsa_system_sgpr_workgroup_info 0
		.amdhsa_system_vgpr_workitem_id 0
		.amdhsa_next_free_vgpr 23
		.amdhsa_next_free_sgpr 36
		.amdhsa_accum_offset 24
		.amdhsa_reserve_vcc 1
		.amdhsa_float_round_mode_32 0
		.amdhsa_float_round_mode_16_64 0
		.amdhsa_float_denorm_mode_32 3
		.amdhsa_float_denorm_mode_16_64 3
		.amdhsa_dx10_clamp 1
		.amdhsa_ieee_mode 1
		.amdhsa_fp16_overflow 0
		.amdhsa_tg_split 0
		.amdhsa_exception_fp_ieee_invalid_op 0
		.amdhsa_exception_fp_denorm_src 0
		.amdhsa_exception_fp_ieee_div_zero 0
		.amdhsa_exception_fp_ieee_overflow 0
		.amdhsa_exception_fp_ieee_underflow 0
		.amdhsa_exception_fp_ieee_inexact 0
		.amdhsa_exception_int_div_zero 0
	.end_amdhsa_kernel
	.section	.text._ZN7rocprim17ROCPRIM_400000_NS6detail17trampoline_kernelINS0_14default_configENS1_38merge_sort_block_merge_config_selectorIlNS0_10empty_typeEEEZZNS1_27merge_sort_block_merge_implIS3_PlPS5_mZN2at6native12_GLOBAL__N_124unique_dim_cuda_templateIlEESt5tupleIJNSA_6TensorESF_SF_EERKSF_lbbbEUlllE_EE10hipError_tT0_T1_T2_jT3_P12ihipStream_tbPNSt15iterator_traitsISL_E10value_typeEPNSR_ISM_E10value_typeEPSN_NS1_7vsmem_tEENKUlT_SL_SM_SN_E_clIS8_S8_S9_S9_EESK_S10_SL_SM_SN_EUlS10_E_NS1_11comp_targetILNS1_3genE5ELNS1_11target_archE942ELNS1_3gpuE9ELNS1_3repE0EEENS1_48merge_mergepath_partition_config_static_selectorELNS0_4arch9wavefront6targetE1EEEvSM_,"axG",@progbits,_ZN7rocprim17ROCPRIM_400000_NS6detail17trampoline_kernelINS0_14default_configENS1_38merge_sort_block_merge_config_selectorIlNS0_10empty_typeEEEZZNS1_27merge_sort_block_merge_implIS3_PlPS5_mZN2at6native12_GLOBAL__N_124unique_dim_cuda_templateIlEESt5tupleIJNSA_6TensorESF_SF_EERKSF_lbbbEUlllE_EE10hipError_tT0_T1_T2_jT3_P12ihipStream_tbPNSt15iterator_traitsISL_E10value_typeEPNSR_ISM_E10value_typeEPSN_NS1_7vsmem_tEENKUlT_SL_SM_SN_E_clIS8_S8_S9_S9_EESK_S10_SL_SM_SN_EUlS10_E_NS1_11comp_targetILNS1_3genE5ELNS1_11target_archE942ELNS1_3gpuE9ELNS1_3repE0EEENS1_48merge_mergepath_partition_config_static_selectorELNS0_4arch9wavefront6targetE1EEEvSM_,comdat
.Lfunc_end520:
	.size	_ZN7rocprim17ROCPRIM_400000_NS6detail17trampoline_kernelINS0_14default_configENS1_38merge_sort_block_merge_config_selectorIlNS0_10empty_typeEEEZZNS1_27merge_sort_block_merge_implIS3_PlPS5_mZN2at6native12_GLOBAL__N_124unique_dim_cuda_templateIlEESt5tupleIJNSA_6TensorESF_SF_EERKSF_lbbbEUlllE_EE10hipError_tT0_T1_T2_jT3_P12ihipStream_tbPNSt15iterator_traitsISL_E10value_typeEPNSR_ISM_E10value_typeEPSN_NS1_7vsmem_tEENKUlT_SL_SM_SN_E_clIS8_S8_S9_S9_EESK_S10_SL_SM_SN_EUlS10_E_NS1_11comp_targetILNS1_3genE5ELNS1_11target_archE942ELNS1_3gpuE9ELNS1_3repE0EEENS1_48merge_mergepath_partition_config_static_selectorELNS0_4arch9wavefront6targetE1EEEvSM_, .Lfunc_end520-_ZN7rocprim17ROCPRIM_400000_NS6detail17trampoline_kernelINS0_14default_configENS1_38merge_sort_block_merge_config_selectorIlNS0_10empty_typeEEEZZNS1_27merge_sort_block_merge_implIS3_PlPS5_mZN2at6native12_GLOBAL__N_124unique_dim_cuda_templateIlEESt5tupleIJNSA_6TensorESF_SF_EERKSF_lbbbEUlllE_EE10hipError_tT0_T1_T2_jT3_P12ihipStream_tbPNSt15iterator_traitsISL_E10value_typeEPNSR_ISM_E10value_typeEPSN_NS1_7vsmem_tEENKUlT_SL_SM_SN_E_clIS8_S8_S9_S9_EESK_S10_SL_SM_SN_EUlS10_E_NS1_11comp_targetILNS1_3genE5ELNS1_11target_archE942ELNS1_3gpuE9ELNS1_3repE0EEENS1_48merge_mergepath_partition_config_static_selectorELNS0_4arch9wavefront6targetE1EEEvSM_
                                        ; -- End function
	.section	.AMDGPU.csdata,"",@progbits
; Kernel info:
; codeLenInByte = 796
; NumSgprs: 42
; NumVgprs: 23
; NumAgprs: 0
; TotalNumVgprs: 23
; ScratchSize: 0
; MemoryBound: 0
; FloatMode: 240
; IeeeMode: 1
; LDSByteSize: 0 bytes/workgroup (compile time only)
; SGPRBlocks: 5
; VGPRBlocks: 2
; NumSGPRsForWavesPerEU: 42
; NumVGPRsForWavesPerEU: 23
; AccumOffset: 24
; Occupancy: 8
; WaveLimiterHint : 0
; COMPUTE_PGM_RSRC2:SCRATCH_EN: 0
; COMPUTE_PGM_RSRC2:USER_SGPR: 2
; COMPUTE_PGM_RSRC2:TRAP_HANDLER: 0
; COMPUTE_PGM_RSRC2:TGID_X_EN: 1
; COMPUTE_PGM_RSRC2:TGID_Y_EN: 0
; COMPUTE_PGM_RSRC2:TGID_Z_EN: 0
; COMPUTE_PGM_RSRC2:TIDIG_COMP_CNT: 0
; COMPUTE_PGM_RSRC3_GFX90A:ACCUM_OFFSET: 5
; COMPUTE_PGM_RSRC3_GFX90A:TG_SPLIT: 0
	.section	.text._ZN7rocprim17ROCPRIM_400000_NS6detail17trampoline_kernelINS0_14default_configENS1_38merge_sort_block_merge_config_selectorIlNS0_10empty_typeEEEZZNS1_27merge_sort_block_merge_implIS3_PlPS5_mZN2at6native12_GLOBAL__N_124unique_dim_cuda_templateIlEESt5tupleIJNSA_6TensorESF_SF_EERKSF_lbbbEUlllE_EE10hipError_tT0_T1_T2_jT3_P12ihipStream_tbPNSt15iterator_traitsISL_E10value_typeEPNSR_ISM_E10value_typeEPSN_NS1_7vsmem_tEENKUlT_SL_SM_SN_E_clIS8_S8_S9_S9_EESK_S10_SL_SM_SN_EUlS10_E_NS1_11comp_targetILNS1_3genE4ELNS1_11target_archE910ELNS1_3gpuE8ELNS1_3repE0EEENS1_48merge_mergepath_partition_config_static_selectorELNS0_4arch9wavefront6targetE1EEEvSM_,"axG",@progbits,_ZN7rocprim17ROCPRIM_400000_NS6detail17trampoline_kernelINS0_14default_configENS1_38merge_sort_block_merge_config_selectorIlNS0_10empty_typeEEEZZNS1_27merge_sort_block_merge_implIS3_PlPS5_mZN2at6native12_GLOBAL__N_124unique_dim_cuda_templateIlEESt5tupleIJNSA_6TensorESF_SF_EERKSF_lbbbEUlllE_EE10hipError_tT0_T1_T2_jT3_P12ihipStream_tbPNSt15iterator_traitsISL_E10value_typeEPNSR_ISM_E10value_typeEPSN_NS1_7vsmem_tEENKUlT_SL_SM_SN_E_clIS8_S8_S9_S9_EESK_S10_SL_SM_SN_EUlS10_E_NS1_11comp_targetILNS1_3genE4ELNS1_11target_archE910ELNS1_3gpuE8ELNS1_3repE0EEENS1_48merge_mergepath_partition_config_static_selectorELNS0_4arch9wavefront6targetE1EEEvSM_,comdat
	.globl	_ZN7rocprim17ROCPRIM_400000_NS6detail17trampoline_kernelINS0_14default_configENS1_38merge_sort_block_merge_config_selectorIlNS0_10empty_typeEEEZZNS1_27merge_sort_block_merge_implIS3_PlPS5_mZN2at6native12_GLOBAL__N_124unique_dim_cuda_templateIlEESt5tupleIJNSA_6TensorESF_SF_EERKSF_lbbbEUlllE_EE10hipError_tT0_T1_T2_jT3_P12ihipStream_tbPNSt15iterator_traitsISL_E10value_typeEPNSR_ISM_E10value_typeEPSN_NS1_7vsmem_tEENKUlT_SL_SM_SN_E_clIS8_S8_S9_S9_EESK_S10_SL_SM_SN_EUlS10_E_NS1_11comp_targetILNS1_3genE4ELNS1_11target_archE910ELNS1_3gpuE8ELNS1_3repE0EEENS1_48merge_mergepath_partition_config_static_selectorELNS0_4arch9wavefront6targetE1EEEvSM_ ; -- Begin function _ZN7rocprim17ROCPRIM_400000_NS6detail17trampoline_kernelINS0_14default_configENS1_38merge_sort_block_merge_config_selectorIlNS0_10empty_typeEEEZZNS1_27merge_sort_block_merge_implIS3_PlPS5_mZN2at6native12_GLOBAL__N_124unique_dim_cuda_templateIlEESt5tupleIJNSA_6TensorESF_SF_EERKSF_lbbbEUlllE_EE10hipError_tT0_T1_T2_jT3_P12ihipStream_tbPNSt15iterator_traitsISL_E10value_typeEPNSR_ISM_E10value_typeEPSN_NS1_7vsmem_tEENKUlT_SL_SM_SN_E_clIS8_S8_S9_S9_EESK_S10_SL_SM_SN_EUlS10_E_NS1_11comp_targetILNS1_3genE4ELNS1_11target_archE910ELNS1_3gpuE8ELNS1_3repE0EEENS1_48merge_mergepath_partition_config_static_selectorELNS0_4arch9wavefront6targetE1EEEvSM_
	.p2align	8
	.type	_ZN7rocprim17ROCPRIM_400000_NS6detail17trampoline_kernelINS0_14default_configENS1_38merge_sort_block_merge_config_selectorIlNS0_10empty_typeEEEZZNS1_27merge_sort_block_merge_implIS3_PlPS5_mZN2at6native12_GLOBAL__N_124unique_dim_cuda_templateIlEESt5tupleIJNSA_6TensorESF_SF_EERKSF_lbbbEUlllE_EE10hipError_tT0_T1_T2_jT3_P12ihipStream_tbPNSt15iterator_traitsISL_E10value_typeEPNSR_ISM_E10value_typeEPSN_NS1_7vsmem_tEENKUlT_SL_SM_SN_E_clIS8_S8_S9_S9_EESK_S10_SL_SM_SN_EUlS10_E_NS1_11comp_targetILNS1_3genE4ELNS1_11target_archE910ELNS1_3gpuE8ELNS1_3repE0EEENS1_48merge_mergepath_partition_config_static_selectorELNS0_4arch9wavefront6targetE1EEEvSM_,@function
_ZN7rocprim17ROCPRIM_400000_NS6detail17trampoline_kernelINS0_14default_configENS1_38merge_sort_block_merge_config_selectorIlNS0_10empty_typeEEEZZNS1_27merge_sort_block_merge_implIS3_PlPS5_mZN2at6native12_GLOBAL__N_124unique_dim_cuda_templateIlEESt5tupleIJNSA_6TensorESF_SF_EERKSF_lbbbEUlllE_EE10hipError_tT0_T1_T2_jT3_P12ihipStream_tbPNSt15iterator_traitsISL_E10value_typeEPNSR_ISM_E10value_typeEPSN_NS1_7vsmem_tEENKUlT_SL_SM_SN_E_clIS8_S8_S9_S9_EESK_S10_SL_SM_SN_EUlS10_E_NS1_11comp_targetILNS1_3genE4ELNS1_11target_archE910ELNS1_3gpuE8ELNS1_3repE0EEENS1_48merge_mergepath_partition_config_static_selectorELNS0_4arch9wavefront6targetE1EEEvSM_: ; @_ZN7rocprim17ROCPRIM_400000_NS6detail17trampoline_kernelINS0_14default_configENS1_38merge_sort_block_merge_config_selectorIlNS0_10empty_typeEEEZZNS1_27merge_sort_block_merge_implIS3_PlPS5_mZN2at6native12_GLOBAL__N_124unique_dim_cuda_templateIlEESt5tupleIJNSA_6TensorESF_SF_EERKSF_lbbbEUlllE_EE10hipError_tT0_T1_T2_jT3_P12ihipStream_tbPNSt15iterator_traitsISL_E10value_typeEPNSR_ISM_E10value_typeEPSN_NS1_7vsmem_tEENKUlT_SL_SM_SN_E_clIS8_S8_S9_S9_EESK_S10_SL_SM_SN_EUlS10_E_NS1_11comp_targetILNS1_3genE4ELNS1_11target_archE910ELNS1_3gpuE8ELNS1_3repE0EEENS1_48merge_mergepath_partition_config_static_selectorELNS0_4arch9wavefront6targetE1EEEvSM_
; %bb.0:
	.section	.rodata,"a",@progbits
	.p2align	6, 0x0
	.amdhsa_kernel _ZN7rocprim17ROCPRIM_400000_NS6detail17trampoline_kernelINS0_14default_configENS1_38merge_sort_block_merge_config_selectorIlNS0_10empty_typeEEEZZNS1_27merge_sort_block_merge_implIS3_PlPS5_mZN2at6native12_GLOBAL__N_124unique_dim_cuda_templateIlEESt5tupleIJNSA_6TensorESF_SF_EERKSF_lbbbEUlllE_EE10hipError_tT0_T1_T2_jT3_P12ihipStream_tbPNSt15iterator_traitsISL_E10value_typeEPNSR_ISM_E10value_typeEPSN_NS1_7vsmem_tEENKUlT_SL_SM_SN_E_clIS8_S8_S9_S9_EESK_S10_SL_SM_SN_EUlS10_E_NS1_11comp_targetILNS1_3genE4ELNS1_11target_archE910ELNS1_3gpuE8ELNS1_3repE0EEENS1_48merge_mergepath_partition_config_static_selectorELNS0_4arch9wavefront6targetE1EEEvSM_
		.amdhsa_group_segment_fixed_size 0
		.amdhsa_private_segment_fixed_size 0
		.amdhsa_kernarg_size 56
		.amdhsa_user_sgpr_count 2
		.amdhsa_user_sgpr_dispatch_ptr 0
		.amdhsa_user_sgpr_queue_ptr 0
		.amdhsa_user_sgpr_kernarg_segment_ptr 1
		.amdhsa_user_sgpr_dispatch_id 0
		.amdhsa_user_sgpr_kernarg_preload_length 0
		.amdhsa_user_sgpr_kernarg_preload_offset 0
		.amdhsa_user_sgpr_private_segment_size 0
		.amdhsa_uses_dynamic_stack 0
		.amdhsa_enable_private_segment 0
		.amdhsa_system_sgpr_workgroup_id_x 1
		.amdhsa_system_sgpr_workgroup_id_y 0
		.amdhsa_system_sgpr_workgroup_id_z 0
		.amdhsa_system_sgpr_workgroup_info 0
		.amdhsa_system_vgpr_workitem_id 0
		.amdhsa_next_free_vgpr 1
		.amdhsa_next_free_sgpr 0
		.amdhsa_accum_offset 4
		.amdhsa_reserve_vcc 0
		.amdhsa_float_round_mode_32 0
		.amdhsa_float_round_mode_16_64 0
		.amdhsa_float_denorm_mode_32 3
		.amdhsa_float_denorm_mode_16_64 3
		.amdhsa_dx10_clamp 1
		.amdhsa_ieee_mode 1
		.amdhsa_fp16_overflow 0
		.amdhsa_tg_split 0
		.amdhsa_exception_fp_ieee_invalid_op 0
		.amdhsa_exception_fp_denorm_src 0
		.amdhsa_exception_fp_ieee_div_zero 0
		.amdhsa_exception_fp_ieee_overflow 0
		.amdhsa_exception_fp_ieee_underflow 0
		.amdhsa_exception_fp_ieee_inexact 0
		.amdhsa_exception_int_div_zero 0
	.end_amdhsa_kernel
	.section	.text._ZN7rocprim17ROCPRIM_400000_NS6detail17trampoline_kernelINS0_14default_configENS1_38merge_sort_block_merge_config_selectorIlNS0_10empty_typeEEEZZNS1_27merge_sort_block_merge_implIS3_PlPS5_mZN2at6native12_GLOBAL__N_124unique_dim_cuda_templateIlEESt5tupleIJNSA_6TensorESF_SF_EERKSF_lbbbEUlllE_EE10hipError_tT0_T1_T2_jT3_P12ihipStream_tbPNSt15iterator_traitsISL_E10value_typeEPNSR_ISM_E10value_typeEPSN_NS1_7vsmem_tEENKUlT_SL_SM_SN_E_clIS8_S8_S9_S9_EESK_S10_SL_SM_SN_EUlS10_E_NS1_11comp_targetILNS1_3genE4ELNS1_11target_archE910ELNS1_3gpuE8ELNS1_3repE0EEENS1_48merge_mergepath_partition_config_static_selectorELNS0_4arch9wavefront6targetE1EEEvSM_,"axG",@progbits,_ZN7rocprim17ROCPRIM_400000_NS6detail17trampoline_kernelINS0_14default_configENS1_38merge_sort_block_merge_config_selectorIlNS0_10empty_typeEEEZZNS1_27merge_sort_block_merge_implIS3_PlPS5_mZN2at6native12_GLOBAL__N_124unique_dim_cuda_templateIlEESt5tupleIJNSA_6TensorESF_SF_EERKSF_lbbbEUlllE_EE10hipError_tT0_T1_T2_jT3_P12ihipStream_tbPNSt15iterator_traitsISL_E10value_typeEPNSR_ISM_E10value_typeEPSN_NS1_7vsmem_tEENKUlT_SL_SM_SN_E_clIS8_S8_S9_S9_EESK_S10_SL_SM_SN_EUlS10_E_NS1_11comp_targetILNS1_3genE4ELNS1_11target_archE910ELNS1_3gpuE8ELNS1_3repE0EEENS1_48merge_mergepath_partition_config_static_selectorELNS0_4arch9wavefront6targetE1EEEvSM_,comdat
.Lfunc_end521:
	.size	_ZN7rocprim17ROCPRIM_400000_NS6detail17trampoline_kernelINS0_14default_configENS1_38merge_sort_block_merge_config_selectorIlNS0_10empty_typeEEEZZNS1_27merge_sort_block_merge_implIS3_PlPS5_mZN2at6native12_GLOBAL__N_124unique_dim_cuda_templateIlEESt5tupleIJNSA_6TensorESF_SF_EERKSF_lbbbEUlllE_EE10hipError_tT0_T1_T2_jT3_P12ihipStream_tbPNSt15iterator_traitsISL_E10value_typeEPNSR_ISM_E10value_typeEPSN_NS1_7vsmem_tEENKUlT_SL_SM_SN_E_clIS8_S8_S9_S9_EESK_S10_SL_SM_SN_EUlS10_E_NS1_11comp_targetILNS1_3genE4ELNS1_11target_archE910ELNS1_3gpuE8ELNS1_3repE0EEENS1_48merge_mergepath_partition_config_static_selectorELNS0_4arch9wavefront6targetE1EEEvSM_, .Lfunc_end521-_ZN7rocprim17ROCPRIM_400000_NS6detail17trampoline_kernelINS0_14default_configENS1_38merge_sort_block_merge_config_selectorIlNS0_10empty_typeEEEZZNS1_27merge_sort_block_merge_implIS3_PlPS5_mZN2at6native12_GLOBAL__N_124unique_dim_cuda_templateIlEESt5tupleIJNSA_6TensorESF_SF_EERKSF_lbbbEUlllE_EE10hipError_tT0_T1_T2_jT3_P12ihipStream_tbPNSt15iterator_traitsISL_E10value_typeEPNSR_ISM_E10value_typeEPSN_NS1_7vsmem_tEENKUlT_SL_SM_SN_E_clIS8_S8_S9_S9_EESK_S10_SL_SM_SN_EUlS10_E_NS1_11comp_targetILNS1_3genE4ELNS1_11target_archE910ELNS1_3gpuE8ELNS1_3repE0EEENS1_48merge_mergepath_partition_config_static_selectorELNS0_4arch9wavefront6targetE1EEEvSM_
                                        ; -- End function
	.section	.AMDGPU.csdata,"",@progbits
; Kernel info:
; codeLenInByte = 0
; NumSgprs: 6
; NumVgprs: 0
; NumAgprs: 0
; TotalNumVgprs: 0
; ScratchSize: 0
; MemoryBound: 0
; FloatMode: 240
; IeeeMode: 1
; LDSByteSize: 0 bytes/workgroup (compile time only)
; SGPRBlocks: 0
; VGPRBlocks: 0
; NumSGPRsForWavesPerEU: 6
; NumVGPRsForWavesPerEU: 1
; AccumOffset: 4
; Occupancy: 8
; WaveLimiterHint : 0
; COMPUTE_PGM_RSRC2:SCRATCH_EN: 0
; COMPUTE_PGM_RSRC2:USER_SGPR: 2
; COMPUTE_PGM_RSRC2:TRAP_HANDLER: 0
; COMPUTE_PGM_RSRC2:TGID_X_EN: 1
; COMPUTE_PGM_RSRC2:TGID_Y_EN: 0
; COMPUTE_PGM_RSRC2:TGID_Z_EN: 0
; COMPUTE_PGM_RSRC2:TIDIG_COMP_CNT: 0
; COMPUTE_PGM_RSRC3_GFX90A:ACCUM_OFFSET: 0
; COMPUTE_PGM_RSRC3_GFX90A:TG_SPLIT: 0
	.section	.text._ZN7rocprim17ROCPRIM_400000_NS6detail17trampoline_kernelINS0_14default_configENS1_38merge_sort_block_merge_config_selectorIlNS0_10empty_typeEEEZZNS1_27merge_sort_block_merge_implIS3_PlPS5_mZN2at6native12_GLOBAL__N_124unique_dim_cuda_templateIlEESt5tupleIJNSA_6TensorESF_SF_EERKSF_lbbbEUlllE_EE10hipError_tT0_T1_T2_jT3_P12ihipStream_tbPNSt15iterator_traitsISL_E10value_typeEPNSR_ISM_E10value_typeEPSN_NS1_7vsmem_tEENKUlT_SL_SM_SN_E_clIS8_S8_S9_S9_EESK_S10_SL_SM_SN_EUlS10_E_NS1_11comp_targetILNS1_3genE3ELNS1_11target_archE908ELNS1_3gpuE7ELNS1_3repE0EEENS1_48merge_mergepath_partition_config_static_selectorELNS0_4arch9wavefront6targetE1EEEvSM_,"axG",@progbits,_ZN7rocprim17ROCPRIM_400000_NS6detail17trampoline_kernelINS0_14default_configENS1_38merge_sort_block_merge_config_selectorIlNS0_10empty_typeEEEZZNS1_27merge_sort_block_merge_implIS3_PlPS5_mZN2at6native12_GLOBAL__N_124unique_dim_cuda_templateIlEESt5tupleIJNSA_6TensorESF_SF_EERKSF_lbbbEUlllE_EE10hipError_tT0_T1_T2_jT3_P12ihipStream_tbPNSt15iterator_traitsISL_E10value_typeEPNSR_ISM_E10value_typeEPSN_NS1_7vsmem_tEENKUlT_SL_SM_SN_E_clIS8_S8_S9_S9_EESK_S10_SL_SM_SN_EUlS10_E_NS1_11comp_targetILNS1_3genE3ELNS1_11target_archE908ELNS1_3gpuE7ELNS1_3repE0EEENS1_48merge_mergepath_partition_config_static_selectorELNS0_4arch9wavefront6targetE1EEEvSM_,comdat
	.globl	_ZN7rocprim17ROCPRIM_400000_NS6detail17trampoline_kernelINS0_14default_configENS1_38merge_sort_block_merge_config_selectorIlNS0_10empty_typeEEEZZNS1_27merge_sort_block_merge_implIS3_PlPS5_mZN2at6native12_GLOBAL__N_124unique_dim_cuda_templateIlEESt5tupleIJNSA_6TensorESF_SF_EERKSF_lbbbEUlllE_EE10hipError_tT0_T1_T2_jT3_P12ihipStream_tbPNSt15iterator_traitsISL_E10value_typeEPNSR_ISM_E10value_typeEPSN_NS1_7vsmem_tEENKUlT_SL_SM_SN_E_clIS8_S8_S9_S9_EESK_S10_SL_SM_SN_EUlS10_E_NS1_11comp_targetILNS1_3genE3ELNS1_11target_archE908ELNS1_3gpuE7ELNS1_3repE0EEENS1_48merge_mergepath_partition_config_static_selectorELNS0_4arch9wavefront6targetE1EEEvSM_ ; -- Begin function _ZN7rocprim17ROCPRIM_400000_NS6detail17trampoline_kernelINS0_14default_configENS1_38merge_sort_block_merge_config_selectorIlNS0_10empty_typeEEEZZNS1_27merge_sort_block_merge_implIS3_PlPS5_mZN2at6native12_GLOBAL__N_124unique_dim_cuda_templateIlEESt5tupleIJNSA_6TensorESF_SF_EERKSF_lbbbEUlllE_EE10hipError_tT0_T1_T2_jT3_P12ihipStream_tbPNSt15iterator_traitsISL_E10value_typeEPNSR_ISM_E10value_typeEPSN_NS1_7vsmem_tEENKUlT_SL_SM_SN_E_clIS8_S8_S9_S9_EESK_S10_SL_SM_SN_EUlS10_E_NS1_11comp_targetILNS1_3genE3ELNS1_11target_archE908ELNS1_3gpuE7ELNS1_3repE0EEENS1_48merge_mergepath_partition_config_static_selectorELNS0_4arch9wavefront6targetE1EEEvSM_
	.p2align	8
	.type	_ZN7rocprim17ROCPRIM_400000_NS6detail17trampoline_kernelINS0_14default_configENS1_38merge_sort_block_merge_config_selectorIlNS0_10empty_typeEEEZZNS1_27merge_sort_block_merge_implIS3_PlPS5_mZN2at6native12_GLOBAL__N_124unique_dim_cuda_templateIlEESt5tupleIJNSA_6TensorESF_SF_EERKSF_lbbbEUlllE_EE10hipError_tT0_T1_T2_jT3_P12ihipStream_tbPNSt15iterator_traitsISL_E10value_typeEPNSR_ISM_E10value_typeEPSN_NS1_7vsmem_tEENKUlT_SL_SM_SN_E_clIS8_S8_S9_S9_EESK_S10_SL_SM_SN_EUlS10_E_NS1_11comp_targetILNS1_3genE3ELNS1_11target_archE908ELNS1_3gpuE7ELNS1_3repE0EEENS1_48merge_mergepath_partition_config_static_selectorELNS0_4arch9wavefront6targetE1EEEvSM_,@function
_ZN7rocprim17ROCPRIM_400000_NS6detail17trampoline_kernelINS0_14default_configENS1_38merge_sort_block_merge_config_selectorIlNS0_10empty_typeEEEZZNS1_27merge_sort_block_merge_implIS3_PlPS5_mZN2at6native12_GLOBAL__N_124unique_dim_cuda_templateIlEESt5tupleIJNSA_6TensorESF_SF_EERKSF_lbbbEUlllE_EE10hipError_tT0_T1_T2_jT3_P12ihipStream_tbPNSt15iterator_traitsISL_E10value_typeEPNSR_ISM_E10value_typeEPSN_NS1_7vsmem_tEENKUlT_SL_SM_SN_E_clIS8_S8_S9_S9_EESK_S10_SL_SM_SN_EUlS10_E_NS1_11comp_targetILNS1_3genE3ELNS1_11target_archE908ELNS1_3gpuE7ELNS1_3repE0EEENS1_48merge_mergepath_partition_config_static_selectorELNS0_4arch9wavefront6targetE1EEEvSM_: ; @_ZN7rocprim17ROCPRIM_400000_NS6detail17trampoline_kernelINS0_14default_configENS1_38merge_sort_block_merge_config_selectorIlNS0_10empty_typeEEEZZNS1_27merge_sort_block_merge_implIS3_PlPS5_mZN2at6native12_GLOBAL__N_124unique_dim_cuda_templateIlEESt5tupleIJNSA_6TensorESF_SF_EERKSF_lbbbEUlllE_EE10hipError_tT0_T1_T2_jT3_P12ihipStream_tbPNSt15iterator_traitsISL_E10value_typeEPNSR_ISM_E10value_typeEPSN_NS1_7vsmem_tEENKUlT_SL_SM_SN_E_clIS8_S8_S9_S9_EESK_S10_SL_SM_SN_EUlS10_E_NS1_11comp_targetILNS1_3genE3ELNS1_11target_archE908ELNS1_3gpuE7ELNS1_3repE0EEENS1_48merge_mergepath_partition_config_static_selectorELNS0_4arch9wavefront6targetE1EEEvSM_
; %bb.0:
	.section	.rodata,"a",@progbits
	.p2align	6, 0x0
	.amdhsa_kernel _ZN7rocprim17ROCPRIM_400000_NS6detail17trampoline_kernelINS0_14default_configENS1_38merge_sort_block_merge_config_selectorIlNS0_10empty_typeEEEZZNS1_27merge_sort_block_merge_implIS3_PlPS5_mZN2at6native12_GLOBAL__N_124unique_dim_cuda_templateIlEESt5tupleIJNSA_6TensorESF_SF_EERKSF_lbbbEUlllE_EE10hipError_tT0_T1_T2_jT3_P12ihipStream_tbPNSt15iterator_traitsISL_E10value_typeEPNSR_ISM_E10value_typeEPSN_NS1_7vsmem_tEENKUlT_SL_SM_SN_E_clIS8_S8_S9_S9_EESK_S10_SL_SM_SN_EUlS10_E_NS1_11comp_targetILNS1_3genE3ELNS1_11target_archE908ELNS1_3gpuE7ELNS1_3repE0EEENS1_48merge_mergepath_partition_config_static_selectorELNS0_4arch9wavefront6targetE1EEEvSM_
		.amdhsa_group_segment_fixed_size 0
		.amdhsa_private_segment_fixed_size 0
		.amdhsa_kernarg_size 56
		.amdhsa_user_sgpr_count 2
		.amdhsa_user_sgpr_dispatch_ptr 0
		.amdhsa_user_sgpr_queue_ptr 0
		.amdhsa_user_sgpr_kernarg_segment_ptr 1
		.amdhsa_user_sgpr_dispatch_id 0
		.amdhsa_user_sgpr_kernarg_preload_length 0
		.amdhsa_user_sgpr_kernarg_preload_offset 0
		.amdhsa_user_sgpr_private_segment_size 0
		.amdhsa_uses_dynamic_stack 0
		.amdhsa_enable_private_segment 0
		.amdhsa_system_sgpr_workgroup_id_x 1
		.amdhsa_system_sgpr_workgroup_id_y 0
		.amdhsa_system_sgpr_workgroup_id_z 0
		.amdhsa_system_sgpr_workgroup_info 0
		.amdhsa_system_vgpr_workitem_id 0
		.amdhsa_next_free_vgpr 1
		.amdhsa_next_free_sgpr 0
		.amdhsa_accum_offset 4
		.amdhsa_reserve_vcc 0
		.amdhsa_float_round_mode_32 0
		.amdhsa_float_round_mode_16_64 0
		.amdhsa_float_denorm_mode_32 3
		.amdhsa_float_denorm_mode_16_64 3
		.amdhsa_dx10_clamp 1
		.amdhsa_ieee_mode 1
		.amdhsa_fp16_overflow 0
		.amdhsa_tg_split 0
		.amdhsa_exception_fp_ieee_invalid_op 0
		.amdhsa_exception_fp_denorm_src 0
		.amdhsa_exception_fp_ieee_div_zero 0
		.amdhsa_exception_fp_ieee_overflow 0
		.amdhsa_exception_fp_ieee_underflow 0
		.amdhsa_exception_fp_ieee_inexact 0
		.amdhsa_exception_int_div_zero 0
	.end_amdhsa_kernel
	.section	.text._ZN7rocprim17ROCPRIM_400000_NS6detail17trampoline_kernelINS0_14default_configENS1_38merge_sort_block_merge_config_selectorIlNS0_10empty_typeEEEZZNS1_27merge_sort_block_merge_implIS3_PlPS5_mZN2at6native12_GLOBAL__N_124unique_dim_cuda_templateIlEESt5tupleIJNSA_6TensorESF_SF_EERKSF_lbbbEUlllE_EE10hipError_tT0_T1_T2_jT3_P12ihipStream_tbPNSt15iterator_traitsISL_E10value_typeEPNSR_ISM_E10value_typeEPSN_NS1_7vsmem_tEENKUlT_SL_SM_SN_E_clIS8_S8_S9_S9_EESK_S10_SL_SM_SN_EUlS10_E_NS1_11comp_targetILNS1_3genE3ELNS1_11target_archE908ELNS1_3gpuE7ELNS1_3repE0EEENS1_48merge_mergepath_partition_config_static_selectorELNS0_4arch9wavefront6targetE1EEEvSM_,"axG",@progbits,_ZN7rocprim17ROCPRIM_400000_NS6detail17trampoline_kernelINS0_14default_configENS1_38merge_sort_block_merge_config_selectorIlNS0_10empty_typeEEEZZNS1_27merge_sort_block_merge_implIS3_PlPS5_mZN2at6native12_GLOBAL__N_124unique_dim_cuda_templateIlEESt5tupleIJNSA_6TensorESF_SF_EERKSF_lbbbEUlllE_EE10hipError_tT0_T1_T2_jT3_P12ihipStream_tbPNSt15iterator_traitsISL_E10value_typeEPNSR_ISM_E10value_typeEPSN_NS1_7vsmem_tEENKUlT_SL_SM_SN_E_clIS8_S8_S9_S9_EESK_S10_SL_SM_SN_EUlS10_E_NS1_11comp_targetILNS1_3genE3ELNS1_11target_archE908ELNS1_3gpuE7ELNS1_3repE0EEENS1_48merge_mergepath_partition_config_static_selectorELNS0_4arch9wavefront6targetE1EEEvSM_,comdat
.Lfunc_end522:
	.size	_ZN7rocprim17ROCPRIM_400000_NS6detail17trampoline_kernelINS0_14default_configENS1_38merge_sort_block_merge_config_selectorIlNS0_10empty_typeEEEZZNS1_27merge_sort_block_merge_implIS3_PlPS5_mZN2at6native12_GLOBAL__N_124unique_dim_cuda_templateIlEESt5tupleIJNSA_6TensorESF_SF_EERKSF_lbbbEUlllE_EE10hipError_tT0_T1_T2_jT3_P12ihipStream_tbPNSt15iterator_traitsISL_E10value_typeEPNSR_ISM_E10value_typeEPSN_NS1_7vsmem_tEENKUlT_SL_SM_SN_E_clIS8_S8_S9_S9_EESK_S10_SL_SM_SN_EUlS10_E_NS1_11comp_targetILNS1_3genE3ELNS1_11target_archE908ELNS1_3gpuE7ELNS1_3repE0EEENS1_48merge_mergepath_partition_config_static_selectorELNS0_4arch9wavefront6targetE1EEEvSM_, .Lfunc_end522-_ZN7rocprim17ROCPRIM_400000_NS6detail17trampoline_kernelINS0_14default_configENS1_38merge_sort_block_merge_config_selectorIlNS0_10empty_typeEEEZZNS1_27merge_sort_block_merge_implIS3_PlPS5_mZN2at6native12_GLOBAL__N_124unique_dim_cuda_templateIlEESt5tupleIJNSA_6TensorESF_SF_EERKSF_lbbbEUlllE_EE10hipError_tT0_T1_T2_jT3_P12ihipStream_tbPNSt15iterator_traitsISL_E10value_typeEPNSR_ISM_E10value_typeEPSN_NS1_7vsmem_tEENKUlT_SL_SM_SN_E_clIS8_S8_S9_S9_EESK_S10_SL_SM_SN_EUlS10_E_NS1_11comp_targetILNS1_3genE3ELNS1_11target_archE908ELNS1_3gpuE7ELNS1_3repE0EEENS1_48merge_mergepath_partition_config_static_selectorELNS0_4arch9wavefront6targetE1EEEvSM_
                                        ; -- End function
	.section	.AMDGPU.csdata,"",@progbits
; Kernel info:
; codeLenInByte = 0
; NumSgprs: 6
; NumVgprs: 0
; NumAgprs: 0
; TotalNumVgprs: 0
; ScratchSize: 0
; MemoryBound: 0
; FloatMode: 240
; IeeeMode: 1
; LDSByteSize: 0 bytes/workgroup (compile time only)
; SGPRBlocks: 0
; VGPRBlocks: 0
; NumSGPRsForWavesPerEU: 6
; NumVGPRsForWavesPerEU: 1
; AccumOffset: 4
; Occupancy: 8
; WaveLimiterHint : 0
; COMPUTE_PGM_RSRC2:SCRATCH_EN: 0
; COMPUTE_PGM_RSRC2:USER_SGPR: 2
; COMPUTE_PGM_RSRC2:TRAP_HANDLER: 0
; COMPUTE_PGM_RSRC2:TGID_X_EN: 1
; COMPUTE_PGM_RSRC2:TGID_Y_EN: 0
; COMPUTE_PGM_RSRC2:TGID_Z_EN: 0
; COMPUTE_PGM_RSRC2:TIDIG_COMP_CNT: 0
; COMPUTE_PGM_RSRC3_GFX90A:ACCUM_OFFSET: 0
; COMPUTE_PGM_RSRC3_GFX90A:TG_SPLIT: 0
	.section	.text._ZN7rocprim17ROCPRIM_400000_NS6detail17trampoline_kernelINS0_14default_configENS1_38merge_sort_block_merge_config_selectorIlNS0_10empty_typeEEEZZNS1_27merge_sort_block_merge_implIS3_PlPS5_mZN2at6native12_GLOBAL__N_124unique_dim_cuda_templateIlEESt5tupleIJNSA_6TensorESF_SF_EERKSF_lbbbEUlllE_EE10hipError_tT0_T1_T2_jT3_P12ihipStream_tbPNSt15iterator_traitsISL_E10value_typeEPNSR_ISM_E10value_typeEPSN_NS1_7vsmem_tEENKUlT_SL_SM_SN_E_clIS8_S8_S9_S9_EESK_S10_SL_SM_SN_EUlS10_E_NS1_11comp_targetILNS1_3genE2ELNS1_11target_archE906ELNS1_3gpuE6ELNS1_3repE0EEENS1_48merge_mergepath_partition_config_static_selectorELNS0_4arch9wavefront6targetE1EEEvSM_,"axG",@progbits,_ZN7rocprim17ROCPRIM_400000_NS6detail17trampoline_kernelINS0_14default_configENS1_38merge_sort_block_merge_config_selectorIlNS0_10empty_typeEEEZZNS1_27merge_sort_block_merge_implIS3_PlPS5_mZN2at6native12_GLOBAL__N_124unique_dim_cuda_templateIlEESt5tupleIJNSA_6TensorESF_SF_EERKSF_lbbbEUlllE_EE10hipError_tT0_T1_T2_jT3_P12ihipStream_tbPNSt15iterator_traitsISL_E10value_typeEPNSR_ISM_E10value_typeEPSN_NS1_7vsmem_tEENKUlT_SL_SM_SN_E_clIS8_S8_S9_S9_EESK_S10_SL_SM_SN_EUlS10_E_NS1_11comp_targetILNS1_3genE2ELNS1_11target_archE906ELNS1_3gpuE6ELNS1_3repE0EEENS1_48merge_mergepath_partition_config_static_selectorELNS0_4arch9wavefront6targetE1EEEvSM_,comdat
	.globl	_ZN7rocprim17ROCPRIM_400000_NS6detail17trampoline_kernelINS0_14default_configENS1_38merge_sort_block_merge_config_selectorIlNS0_10empty_typeEEEZZNS1_27merge_sort_block_merge_implIS3_PlPS5_mZN2at6native12_GLOBAL__N_124unique_dim_cuda_templateIlEESt5tupleIJNSA_6TensorESF_SF_EERKSF_lbbbEUlllE_EE10hipError_tT0_T1_T2_jT3_P12ihipStream_tbPNSt15iterator_traitsISL_E10value_typeEPNSR_ISM_E10value_typeEPSN_NS1_7vsmem_tEENKUlT_SL_SM_SN_E_clIS8_S8_S9_S9_EESK_S10_SL_SM_SN_EUlS10_E_NS1_11comp_targetILNS1_3genE2ELNS1_11target_archE906ELNS1_3gpuE6ELNS1_3repE0EEENS1_48merge_mergepath_partition_config_static_selectorELNS0_4arch9wavefront6targetE1EEEvSM_ ; -- Begin function _ZN7rocprim17ROCPRIM_400000_NS6detail17trampoline_kernelINS0_14default_configENS1_38merge_sort_block_merge_config_selectorIlNS0_10empty_typeEEEZZNS1_27merge_sort_block_merge_implIS3_PlPS5_mZN2at6native12_GLOBAL__N_124unique_dim_cuda_templateIlEESt5tupleIJNSA_6TensorESF_SF_EERKSF_lbbbEUlllE_EE10hipError_tT0_T1_T2_jT3_P12ihipStream_tbPNSt15iterator_traitsISL_E10value_typeEPNSR_ISM_E10value_typeEPSN_NS1_7vsmem_tEENKUlT_SL_SM_SN_E_clIS8_S8_S9_S9_EESK_S10_SL_SM_SN_EUlS10_E_NS1_11comp_targetILNS1_3genE2ELNS1_11target_archE906ELNS1_3gpuE6ELNS1_3repE0EEENS1_48merge_mergepath_partition_config_static_selectorELNS0_4arch9wavefront6targetE1EEEvSM_
	.p2align	8
	.type	_ZN7rocprim17ROCPRIM_400000_NS6detail17trampoline_kernelINS0_14default_configENS1_38merge_sort_block_merge_config_selectorIlNS0_10empty_typeEEEZZNS1_27merge_sort_block_merge_implIS3_PlPS5_mZN2at6native12_GLOBAL__N_124unique_dim_cuda_templateIlEESt5tupleIJNSA_6TensorESF_SF_EERKSF_lbbbEUlllE_EE10hipError_tT0_T1_T2_jT3_P12ihipStream_tbPNSt15iterator_traitsISL_E10value_typeEPNSR_ISM_E10value_typeEPSN_NS1_7vsmem_tEENKUlT_SL_SM_SN_E_clIS8_S8_S9_S9_EESK_S10_SL_SM_SN_EUlS10_E_NS1_11comp_targetILNS1_3genE2ELNS1_11target_archE906ELNS1_3gpuE6ELNS1_3repE0EEENS1_48merge_mergepath_partition_config_static_selectorELNS0_4arch9wavefront6targetE1EEEvSM_,@function
_ZN7rocprim17ROCPRIM_400000_NS6detail17trampoline_kernelINS0_14default_configENS1_38merge_sort_block_merge_config_selectorIlNS0_10empty_typeEEEZZNS1_27merge_sort_block_merge_implIS3_PlPS5_mZN2at6native12_GLOBAL__N_124unique_dim_cuda_templateIlEESt5tupleIJNSA_6TensorESF_SF_EERKSF_lbbbEUlllE_EE10hipError_tT0_T1_T2_jT3_P12ihipStream_tbPNSt15iterator_traitsISL_E10value_typeEPNSR_ISM_E10value_typeEPSN_NS1_7vsmem_tEENKUlT_SL_SM_SN_E_clIS8_S8_S9_S9_EESK_S10_SL_SM_SN_EUlS10_E_NS1_11comp_targetILNS1_3genE2ELNS1_11target_archE906ELNS1_3gpuE6ELNS1_3repE0EEENS1_48merge_mergepath_partition_config_static_selectorELNS0_4arch9wavefront6targetE1EEEvSM_: ; @_ZN7rocprim17ROCPRIM_400000_NS6detail17trampoline_kernelINS0_14default_configENS1_38merge_sort_block_merge_config_selectorIlNS0_10empty_typeEEEZZNS1_27merge_sort_block_merge_implIS3_PlPS5_mZN2at6native12_GLOBAL__N_124unique_dim_cuda_templateIlEESt5tupleIJNSA_6TensorESF_SF_EERKSF_lbbbEUlllE_EE10hipError_tT0_T1_T2_jT3_P12ihipStream_tbPNSt15iterator_traitsISL_E10value_typeEPNSR_ISM_E10value_typeEPSN_NS1_7vsmem_tEENKUlT_SL_SM_SN_E_clIS8_S8_S9_S9_EESK_S10_SL_SM_SN_EUlS10_E_NS1_11comp_targetILNS1_3genE2ELNS1_11target_archE906ELNS1_3gpuE6ELNS1_3repE0EEENS1_48merge_mergepath_partition_config_static_selectorELNS0_4arch9wavefront6targetE1EEEvSM_
; %bb.0:
	.section	.rodata,"a",@progbits
	.p2align	6, 0x0
	.amdhsa_kernel _ZN7rocprim17ROCPRIM_400000_NS6detail17trampoline_kernelINS0_14default_configENS1_38merge_sort_block_merge_config_selectorIlNS0_10empty_typeEEEZZNS1_27merge_sort_block_merge_implIS3_PlPS5_mZN2at6native12_GLOBAL__N_124unique_dim_cuda_templateIlEESt5tupleIJNSA_6TensorESF_SF_EERKSF_lbbbEUlllE_EE10hipError_tT0_T1_T2_jT3_P12ihipStream_tbPNSt15iterator_traitsISL_E10value_typeEPNSR_ISM_E10value_typeEPSN_NS1_7vsmem_tEENKUlT_SL_SM_SN_E_clIS8_S8_S9_S9_EESK_S10_SL_SM_SN_EUlS10_E_NS1_11comp_targetILNS1_3genE2ELNS1_11target_archE906ELNS1_3gpuE6ELNS1_3repE0EEENS1_48merge_mergepath_partition_config_static_selectorELNS0_4arch9wavefront6targetE1EEEvSM_
		.amdhsa_group_segment_fixed_size 0
		.amdhsa_private_segment_fixed_size 0
		.amdhsa_kernarg_size 56
		.amdhsa_user_sgpr_count 2
		.amdhsa_user_sgpr_dispatch_ptr 0
		.amdhsa_user_sgpr_queue_ptr 0
		.amdhsa_user_sgpr_kernarg_segment_ptr 1
		.amdhsa_user_sgpr_dispatch_id 0
		.amdhsa_user_sgpr_kernarg_preload_length 0
		.amdhsa_user_sgpr_kernarg_preload_offset 0
		.amdhsa_user_sgpr_private_segment_size 0
		.amdhsa_uses_dynamic_stack 0
		.amdhsa_enable_private_segment 0
		.amdhsa_system_sgpr_workgroup_id_x 1
		.amdhsa_system_sgpr_workgroup_id_y 0
		.amdhsa_system_sgpr_workgroup_id_z 0
		.amdhsa_system_sgpr_workgroup_info 0
		.amdhsa_system_vgpr_workitem_id 0
		.amdhsa_next_free_vgpr 1
		.amdhsa_next_free_sgpr 0
		.amdhsa_accum_offset 4
		.amdhsa_reserve_vcc 0
		.amdhsa_float_round_mode_32 0
		.amdhsa_float_round_mode_16_64 0
		.amdhsa_float_denorm_mode_32 3
		.amdhsa_float_denorm_mode_16_64 3
		.amdhsa_dx10_clamp 1
		.amdhsa_ieee_mode 1
		.amdhsa_fp16_overflow 0
		.amdhsa_tg_split 0
		.amdhsa_exception_fp_ieee_invalid_op 0
		.amdhsa_exception_fp_denorm_src 0
		.amdhsa_exception_fp_ieee_div_zero 0
		.amdhsa_exception_fp_ieee_overflow 0
		.amdhsa_exception_fp_ieee_underflow 0
		.amdhsa_exception_fp_ieee_inexact 0
		.amdhsa_exception_int_div_zero 0
	.end_amdhsa_kernel
	.section	.text._ZN7rocprim17ROCPRIM_400000_NS6detail17trampoline_kernelINS0_14default_configENS1_38merge_sort_block_merge_config_selectorIlNS0_10empty_typeEEEZZNS1_27merge_sort_block_merge_implIS3_PlPS5_mZN2at6native12_GLOBAL__N_124unique_dim_cuda_templateIlEESt5tupleIJNSA_6TensorESF_SF_EERKSF_lbbbEUlllE_EE10hipError_tT0_T1_T2_jT3_P12ihipStream_tbPNSt15iterator_traitsISL_E10value_typeEPNSR_ISM_E10value_typeEPSN_NS1_7vsmem_tEENKUlT_SL_SM_SN_E_clIS8_S8_S9_S9_EESK_S10_SL_SM_SN_EUlS10_E_NS1_11comp_targetILNS1_3genE2ELNS1_11target_archE906ELNS1_3gpuE6ELNS1_3repE0EEENS1_48merge_mergepath_partition_config_static_selectorELNS0_4arch9wavefront6targetE1EEEvSM_,"axG",@progbits,_ZN7rocprim17ROCPRIM_400000_NS6detail17trampoline_kernelINS0_14default_configENS1_38merge_sort_block_merge_config_selectorIlNS0_10empty_typeEEEZZNS1_27merge_sort_block_merge_implIS3_PlPS5_mZN2at6native12_GLOBAL__N_124unique_dim_cuda_templateIlEESt5tupleIJNSA_6TensorESF_SF_EERKSF_lbbbEUlllE_EE10hipError_tT0_T1_T2_jT3_P12ihipStream_tbPNSt15iterator_traitsISL_E10value_typeEPNSR_ISM_E10value_typeEPSN_NS1_7vsmem_tEENKUlT_SL_SM_SN_E_clIS8_S8_S9_S9_EESK_S10_SL_SM_SN_EUlS10_E_NS1_11comp_targetILNS1_3genE2ELNS1_11target_archE906ELNS1_3gpuE6ELNS1_3repE0EEENS1_48merge_mergepath_partition_config_static_selectorELNS0_4arch9wavefront6targetE1EEEvSM_,comdat
.Lfunc_end523:
	.size	_ZN7rocprim17ROCPRIM_400000_NS6detail17trampoline_kernelINS0_14default_configENS1_38merge_sort_block_merge_config_selectorIlNS0_10empty_typeEEEZZNS1_27merge_sort_block_merge_implIS3_PlPS5_mZN2at6native12_GLOBAL__N_124unique_dim_cuda_templateIlEESt5tupleIJNSA_6TensorESF_SF_EERKSF_lbbbEUlllE_EE10hipError_tT0_T1_T2_jT3_P12ihipStream_tbPNSt15iterator_traitsISL_E10value_typeEPNSR_ISM_E10value_typeEPSN_NS1_7vsmem_tEENKUlT_SL_SM_SN_E_clIS8_S8_S9_S9_EESK_S10_SL_SM_SN_EUlS10_E_NS1_11comp_targetILNS1_3genE2ELNS1_11target_archE906ELNS1_3gpuE6ELNS1_3repE0EEENS1_48merge_mergepath_partition_config_static_selectorELNS0_4arch9wavefront6targetE1EEEvSM_, .Lfunc_end523-_ZN7rocprim17ROCPRIM_400000_NS6detail17trampoline_kernelINS0_14default_configENS1_38merge_sort_block_merge_config_selectorIlNS0_10empty_typeEEEZZNS1_27merge_sort_block_merge_implIS3_PlPS5_mZN2at6native12_GLOBAL__N_124unique_dim_cuda_templateIlEESt5tupleIJNSA_6TensorESF_SF_EERKSF_lbbbEUlllE_EE10hipError_tT0_T1_T2_jT3_P12ihipStream_tbPNSt15iterator_traitsISL_E10value_typeEPNSR_ISM_E10value_typeEPSN_NS1_7vsmem_tEENKUlT_SL_SM_SN_E_clIS8_S8_S9_S9_EESK_S10_SL_SM_SN_EUlS10_E_NS1_11comp_targetILNS1_3genE2ELNS1_11target_archE906ELNS1_3gpuE6ELNS1_3repE0EEENS1_48merge_mergepath_partition_config_static_selectorELNS0_4arch9wavefront6targetE1EEEvSM_
                                        ; -- End function
	.section	.AMDGPU.csdata,"",@progbits
; Kernel info:
; codeLenInByte = 0
; NumSgprs: 6
; NumVgprs: 0
; NumAgprs: 0
; TotalNumVgprs: 0
; ScratchSize: 0
; MemoryBound: 0
; FloatMode: 240
; IeeeMode: 1
; LDSByteSize: 0 bytes/workgroup (compile time only)
; SGPRBlocks: 0
; VGPRBlocks: 0
; NumSGPRsForWavesPerEU: 6
; NumVGPRsForWavesPerEU: 1
; AccumOffset: 4
; Occupancy: 8
; WaveLimiterHint : 0
; COMPUTE_PGM_RSRC2:SCRATCH_EN: 0
; COMPUTE_PGM_RSRC2:USER_SGPR: 2
; COMPUTE_PGM_RSRC2:TRAP_HANDLER: 0
; COMPUTE_PGM_RSRC2:TGID_X_EN: 1
; COMPUTE_PGM_RSRC2:TGID_Y_EN: 0
; COMPUTE_PGM_RSRC2:TGID_Z_EN: 0
; COMPUTE_PGM_RSRC2:TIDIG_COMP_CNT: 0
; COMPUTE_PGM_RSRC3_GFX90A:ACCUM_OFFSET: 0
; COMPUTE_PGM_RSRC3_GFX90A:TG_SPLIT: 0
	.section	.text._ZN7rocprim17ROCPRIM_400000_NS6detail17trampoline_kernelINS0_14default_configENS1_38merge_sort_block_merge_config_selectorIlNS0_10empty_typeEEEZZNS1_27merge_sort_block_merge_implIS3_PlPS5_mZN2at6native12_GLOBAL__N_124unique_dim_cuda_templateIlEESt5tupleIJNSA_6TensorESF_SF_EERKSF_lbbbEUlllE_EE10hipError_tT0_T1_T2_jT3_P12ihipStream_tbPNSt15iterator_traitsISL_E10value_typeEPNSR_ISM_E10value_typeEPSN_NS1_7vsmem_tEENKUlT_SL_SM_SN_E_clIS8_S8_S9_S9_EESK_S10_SL_SM_SN_EUlS10_E_NS1_11comp_targetILNS1_3genE9ELNS1_11target_archE1100ELNS1_3gpuE3ELNS1_3repE0EEENS1_48merge_mergepath_partition_config_static_selectorELNS0_4arch9wavefront6targetE1EEEvSM_,"axG",@progbits,_ZN7rocprim17ROCPRIM_400000_NS6detail17trampoline_kernelINS0_14default_configENS1_38merge_sort_block_merge_config_selectorIlNS0_10empty_typeEEEZZNS1_27merge_sort_block_merge_implIS3_PlPS5_mZN2at6native12_GLOBAL__N_124unique_dim_cuda_templateIlEESt5tupleIJNSA_6TensorESF_SF_EERKSF_lbbbEUlllE_EE10hipError_tT0_T1_T2_jT3_P12ihipStream_tbPNSt15iterator_traitsISL_E10value_typeEPNSR_ISM_E10value_typeEPSN_NS1_7vsmem_tEENKUlT_SL_SM_SN_E_clIS8_S8_S9_S9_EESK_S10_SL_SM_SN_EUlS10_E_NS1_11comp_targetILNS1_3genE9ELNS1_11target_archE1100ELNS1_3gpuE3ELNS1_3repE0EEENS1_48merge_mergepath_partition_config_static_selectorELNS0_4arch9wavefront6targetE1EEEvSM_,comdat
	.globl	_ZN7rocprim17ROCPRIM_400000_NS6detail17trampoline_kernelINS0_14default_configENS1_38merge_sort_block_merge_config_selectorIlNS0_10empty_typeEEEZZNS1_27merge_sort_block_merge_implIS3_PlPS5_mZN2at6native12_GLOBAL__N_124unique_dim_cuda_templateIlEESt5tupleIJNSA_6TensorESF_SF_EERKSF_lbbbEUlllE_EE10hipError_tT0_T1_T2_jT3_P12ihipStream_tbPNSt15iterator_traitsISL_E10value_typeEPNSR_ISM_E10value_typeEPSN_NS1_7vsmem_tEENKUlT_SL_SM_SN_E_clIS8_S8_S9_S9_EESK_S10_SL_SM_SN_EUlS10_E_NS1_11comp_targetILNS1_3genE9ELNS1_11target_archE1100ELNS1_3gpuE3ELNS1_3repE0EEENS1_48merge_mergepath_partition_config_static_selectorELNS0_4arch9wavefront6targetE1EEEvSM_ ; -- Begin function _ZN7rocprim17ROCPRIM_400000_NS6detail17trampoline_kernelINS0_14default_configENS1_38merge_sort_block_merge_config_selectorIlNS0_10empty_typeEEEZZNS1_27merge_sort_block_merge_implIS3_PlPS5_mZN2at6native12_GLOBAL__N_124unique_dim_cuda_templateIlEESt5tupleIJNSA_6TensorESF_SF_EERKSF_lbbbEUlllE_EE10hipError_tT0_T1_T2_jT3_P12ihipStream_tbPNSt15iterator_traitsISL_E10value_typeEPNSR_ISM_E10value_typeEPSN_NS1_7vsmem_tEENKUlT_SL_SM_SN_E_clIS8_S8_S9_S9_EESK_S10_SL_SM_SN_EUlS10_E_NS1_11comp_targetILNS1_3genE9ELNS1_11target_archE1100ELNS1_3gpuE3ELNS1_3repE0EEENS1_48merge_mergepath_partition_config_static_selectorELNS0_4arch9wavefront6targetE1EEEvSM_
	.p2align	8
	.type	_ZN7rocprim17ROCPRIM_400000_NS6detail17trampoline_kernelINS0_14default_configENS1_38merge_sort_block_merge_config_selectorIlNS0_10empty_typeEEEZZNS1_27merge_sort_block_merge_implIS3_PlPS5_mZN2at6native12_GLOBAL__N_124unique_dim_cuda_templateIlEESt5tupleIJNSA_6TensorESF_SF_EERKSF_lbbbEUlllE_EE10hipError_tT0_T1_T2_jT3_P12ihipStream_tbPNSt15iterator_traitsISL_E10value_typeEPNSR_ISM_E10value_typeEPSN_NS1_7vsmem_tEENKUlT_SL_SM_SN_E_clIS8_S8_S9_S9_EESK_S10_SL_SM_SN_EUlS10_E_NS1_11comp_targetILNS1_3genE9ELNS1_11target_archE1100ELNS1_3gpuE3ELNS1_3repE0EEENS1_48merge_mergepath_partition_config_static_selectorELNS0_4arch9wavefront6targetE1EEEvSM_,@function
_ZN7rocprim17ROCPRIM_400000_NS6detail17trampoline_kernelINS0_14default_configENS1_38merge_sort_block_merge_config_selectorIlNS0_10empty_typeEEEZZNS1_27merge_sort_block_merge_implIS3_PlPS5_mZN2at6native12_GLOBAL__N_124unique_dim_cuda_templateIlEESt5tupleIJNSA_6TensorESF_SF_EERKSF_lbbbEUlllE_EE10hipError_tT0_T1_T2_jT3_P12ihipStream_tbPNSt15iterator_traitsISL_E10value_typeEPNSR_ISM_E10value_typeEPSN_NS1_7vsmem_tEENKUlT_SL_SM_SN_E_clIS8_S8_S9_S9_EESK_S10_SL_SM_SN_EUlS10_E_NS1_11comp_targetILNS1_3genE9ELNS1_11target_archE1100ELNS1_3gpuE3ELNS1_3repE0EEENS1_48merge_mergepath_partition_config_static_selectorELNS0_4arch9wavefront6targetE1EEEvSM_: ; @_ZN7rocprim17ROCPRIM_400000_NS6detail17trampoline_kernelINS0_14default_configENS1_38merge_sort_block_merge_config_selectorIlNS0_10empty_typeEEEZZNS1_27merge_sort_block_merge_implIS3_PlPS5_mZN2at6native12_GLOBAL__N_124unique_dim_cuda_templateIlEESt5tupleIJNSA_6TensorESF_SF_EERKSF_lbbbEUlllE_EE10hipError_tT0_T1_T2_jT3_P12ihipStream_tbPNSt15iterator_traitsISL_E10value_typeEPNSR_ISM_E10value_typeEPSN_NS1_7vsmem_tEENKUlT_SL_SM_SN_E_clIS8_S8_S9_S9_EESK_S10_SL_SM_SN_EUlS10_E_NS1_11comp_targetILNS1_3genE9ELNS1_11target_archE1100ELNS1_3gpuE3ELNS1_3repE0EEENS1_48merge_mergepath_partition_config_static_selectorELNS0_4arch9wavefront6targetE1EEEvSM_
; %bb.0:
	.section	.rodata,"a",@progbits
	.p2align	6, 0x0
	.amdhsa_kernel _ZN7rocprim17ROCPRIM_400000_NS6detail17trampoline_kernelINS0_14default_configENS1_38merge_sort_block_merge_config_selectorIlNS0_10empty_typeEEEZZNS1_27merge_sort_block_merge_implIS3_PlPS5_mZN2at6native12_GLOBAL__N_124unique_dim_cuda_templateIlEESt5tupleIJNSA_6TensorESF_SF_EERKSF_lbbbEUlllE_EE10hipError_tT0_T1_T2_jT3_P12ihipStream_tbPNSt15iterator_traitsISL_E10value_typeEPNSR_ISM_E10value_typeEPSN_NS1_7vsmem_tEENKUlT_SL_SM_SN_E_clIS8_S8_S9_S9_EESK_S10_SL_SM_SN_EUlS10_E_NS1_11comp_targetILNS1_3genE9ELNS1_11target_archE1100ELNS1_3gpuE3ELNS1_3repE0EEENS1_48merge_mergepath_partition_config_static_selectorELNS0_4arch9wavefront6targetE1EEEvSM_
		.amdhsa_group_segment_fixed_size 0
		.amdhsa_private_segment_fixed_size 0
		.amdhsa_kernarg_size 56
		.amdhsa_user_sgpr_count 2
		.amdhsa_user_sgpr_dispatch_ptr 0
		.amdhsa_user_sgpr_queue_ptr 0
		.amdhsa_user_sgpr_kernarg_segment_ptr 1
		.amdhsa_user_sgpr_dispatch_id 0
		.amdhsa_user_sgpr_kernarg_preload_length 0
		.amdhsa_user_sgpr_kernarg_preload_offset 0
		.amdhsa_user_sgpr_private_segment_size 0
		.amdhsa_uses_dynamic_stack 0
		.amdhsa_enable_private_segment 0
		.amdhsa_system_sgpr_workgroup_id_x 1
		.amdhsa_system_sgpr_workgroup_id_y 0
		.amdhsa_system_sgpr_workgroup_id_z 0
		.amdhsa_system_sgpr_workgroup_info 0
		.amdhsa_system_vgpr_workitem_id 0
		.amdhsa_next_free_vgpr 1
		.amdhsa_next_free_sgpr 0
		.amdhsa_accum_offset 4
		.amdhsa_reserve_vcc 0
		.amdhsa_float_round_mode_32 0
		.amdhsa_float_round_mode_16_64 0
		.amdhsa_float_denorm_mode_32 3
		.amdhsa_float_denorm_mode_16_64 3
		.amdhsa_dx10_clamp 1
		.amdhsa_ieee_mode 1
		.amdhsa_fp16_overflow 0
		.amdhsa_tg_split 0
		.amdhsa_exception_fp_ieee_invalid_op 0
		.amdhsa_exception_fp_denorm_src 0
		.amdhsa_exception_fp_ieee_div_zero 0
		.amdhsa_exception_fp_ieee_overflow 0
		.amdhsa_exception_fp_ieee_underflow 0
		.amdhsa_exception_fp_ieee_inexact 0
		.amdhsa_exception_int_div_zero 0
	.end_amdhsa_kernel
	.section	.text._ZN7rocprim17ROCPRIM_400000_NS6detail17trampoline_kernelINS0_14default_configENS1_38merge_sort_block_merge_config_selectorIlNS0_10empty_typeEEEZZNS1_27merge_sort_block_merge_implIS3_PlPS5_mZN2at6native12_GLOBAL__N_124unique_dim_cuda_templateIlEESt5tupleIJNSA_6TensorESF_SF_EERKSF_lbbbEUlllE_EE10hipError_tT0_T1_T2_jT3_P12ihipStream_tbPNSt15iterator_traitsISL_E10value_typeEPNSR_ISM_E10value_typeEPSN_NS1_7vsmem_tEENKUlT_SL_SM_SN_E_clIS8_S8_S9_S9_EESK_S10_SL_SM_SN_EUlS10_E_NS1_11comp_targetILNS1_3genE9ELNS1_11target_archE1100ELNS1_3gpuE3ELNS1_3repE0EEENS1_48merge_mergepath_partition_config_static_selectorELNS0_4arch9wavefront6targetE1EEEvSM_,"axG",@progbits,_ZN7rocprim17ROCPRIM_400000_NS6detail17trampoline_kernelINS0_14default_configENS1_38merge_sort_block_merge_config_selectorIlNS0_10empty_typeEEEZZNS1_27merge_sort_block_merge_implIS3_PlPS5_mZN2at6native12_GLOBAL__N_124unique_dim_cuda_templateIlEESt5tupleIJNSA_6TensorESF_SF_EERKSF_lbbbEUlllE_EE10hipError_tT0_T1_T2_jT3_P12ihipStream_tbPNSt15iterator_traitsISL_E10value_typeEPNSR_ISM_E10value_typeEPSN_NS1_7vsmem_tEENKUlT_SL_SM_SN_E_clIS8_S8_S9_S9_EESK_S10_SL_SM_SN_EUlS10_E_NS1_11comp_targetILNS1_3genE9ELNS1_11target_archE1100ELNS1_3gpuE3ELNS1_3repE0EEENS1_48merge_mergepath_partition_config_static_selectorELNS0_4arch9wavefront6targetE1EEEvSM_,comdat
.Lfunc_end524:
	.size	_ZN7rocprim17ROCPRIM_400000_NS6detail17trampoline_kernelINS0_14default_configENS1_38merge_sort_block_merge_config_selectorIlNS0_10empty_typeEEEZZNS1_27merge_sort_block_merge_implIS3_PlPS5_mZN2at6native12_GLOBAL__N_124unique_dim_cuda_templateIlEESt5tupleIJNSA_6TensorESF_SF_EERKSF_lbbbEUlllE_EE10hipError_tT0_T1_T2_jT3_P12ihipStream_tbPNSt15iterator_traitsISL_E10value_typeEPNSR_ISM_E10value_typeEPSN_NS1_7vsmem_tEENKUlT_SL_SM_SN_E_clIS8_S8_S9_S9_EESK_S10_SL_SM_SN_EUlS10_E_NS1_11comp_targetILNS1_3genE9ELNS1_11target_archE1100ELNS1_3gpuE3ELNS1_3repE0EEENS1_48merge_mergepath_partition_config_static_selectorELNS0_4arch9wavefront6targetE1EEEvSM_, .Lfunc_end524-_ZN7rocprim17ROCPRIM_400000_NS6detail17trampoline_kernelINS0_14default_configENS1_38merge_sort_block_merge_config_selectorIlNS0_10empty_typeEEEZZNS1_27merge_sort_block_merge_implIS3_PlPS5_mZN2at6native12_GLOBAL__N_124unique_dim_cuda_templateIlEESt5tupleIJNSA_6TensorESF_SF_EERKSF_lbbbEUlllE_EE10hipError_tT0_T1_T2_jT3_P12ihipStream_tbPNSt15iterator_traitsISL_E10value_typeEPNSR_ISM_E10value_typeEPSN_NS1_7vsmem_tEENKUlT_SL_SM_SN_E_clIS8_S8_S9_S9_EESK_S10_SL_SM_SN_EUlS10_E_NS1_11comp_targetILNS1_3genE9ELNS1_11target_archE1100ELNS1_3gpuE3ELNS1_3repE0EEENS1_48merge_mergepath_partition_config_static_selectorELNS0_4arch9wavefront6targetE1EEEvSM_
                                        ; -- End function
	.section	.AMDGPU.csdata,"",@progbits
; Kernel info:
; codeLenInByte = 0
; NumSgprs: 6
; NumVgprs: 0
; NumAgprs: 0
; TotalNumVgprs: 0
; ScratchSize: 0
; MemoryBound: 0
; FloatMode: 240
; IeeeMode: 1
; LDSByteSize: 0 bytes/workgroup (compile time only)
; SGPRBlocks: 0
; VGPRBlocks: 0
; NumSGPRsForWavesPerEU: 6
; NumVGPRsForWavesPerEU: 1
; AccumOffset: 4
; Occupancy: 8
; WaveLimiterHint : 0
; COMPUTE_PGM_RSRC2:SCRATCH_EN: 0
; COMPUTE_PGM_RSRC2:USER_SGPR: 2
; COMPUTE_PGM_RSRC2:TRAP_HANDLER: 0
; COMPUTE_PGM_RSRC2:TGID_X_EN: 1
; COMPUTE_PGM_RSRC2:TGID_Y_EN: 0
; COMPUTE_PGM_RSRC2:TGID_Z_EN: 0
; COMPUTE_PGM_RSRC2:TIDIG_COMP_CNT: 0
; COMPUTE_PGM_RSRC3_GFX90A:ACCUM_OFFSET: 0
; COMPUTE_PGM_RSRC3_GFX90A:TG_SPLIT: 0
	.section	.text._ZN7rocprim17ROCPRIM_400000_NS6detail17trampoline_kernelINS0_14default_configENS1_38merge_sort_block_merge_config_selectorIlNS0_10empty_typeEEEZZNS1_27merge_sort_block_merge_implIS3_PlPS5_mZN2at6native12_GLOBAL__N_124unique_dim_cuda_templateIlEESt5tupleIJNSA_6TensorESF_SF_EERKSF_lbbbEUlllE_EE10hipError_tT0_T1_T2_jT3_P12ihipStream_tbPNSt15iterator_traitsISL_E10value_typeEPNSR_ISM_E10value_typeEPSN_NS1_7vsmem_tEENKUlT_SL_SM_SN_E_clIS8_S8_S9_S9_EESK_S10_SL_SM_SN_EUlS10_E_NS1_11comp_targetILNS1_3genE8ELNS1_11target_archE1030ELNS1_3gpuE2ELNS1_3repE0EEENS1_48merge_mergepath_partition_config_static_selectorELNS0_4arch9wavefront6targetE1EEEvSM_,"axG",@progbits,_ZN7rocprim17ROCPRIM_400000_NS6detail17trampoline_kernelINS0_14default_configENS1_38merge_sort_block_merge_config_selectorIlNS0_10empty_typeEEEZZNS1_27merge_sort_block_merge_implIS3_PlPS5_mZN2at6native12_GLOBAL__N_124unique_dim_cuda_templateIlEESt5tupleIJNSA_6TensorESF_SF_EERKSF_lbbbEUlllE_EE10hipError_tT0_T1_T2_jT3_P12ihipStream_tbPNSt15iterator_traitsISL_E10value_typeEPNSR_ISM_E10value_typeEPSN_NS1_7vsmem_tEENKUlT_SL_SM_SN_E_clIS8_S8_S9_S9_EESK_S10_SL_SM_SN_EUlS10_E_NS1_11comp_targetILNS1_3genE8ELNS1_11target_archE1030ELNS1_3gpuE2ELNS1_3repE0EEENS1_48merge_mergepath_partition_config_static_selectorELNS0_4arch9wavefront6targetE1EEEvSM_,comdat
	.globl	_ZN7rocprim17ROCPRIM_400000_NS6detail17trampoline_kernelINS0_14default_configENS1_38merge_sort_block_merge_config_selectorIlNS0_10empty_typeEEEZZNS1_27merge_sort_block_merge_implIS3_PlPS5_mZN2at6native12_GLOBAL__N_124unique_dim_cuda_templateIlEESt5tupleIJNSA_6TensorESF_SF_EERKSF_lbbbEUlllE_EE10hipError_tT0_T1_T2_jT3_P12ihipStream_tbPNSt15iterator_traitsISL_E10value_typeEPNSR_ISM_E10value_typeEPSN_NS1_7vsmem_tEENKUlT_SL_SM_SN_E_clIS8_S8_S9_S9_EESK_S10_SL_SM_SN_EUlS10_E_NS1_11comp_targetILNS1_3genE8ELNS1_11target_archE1030ELNS1_3gpuE2ELNS1_3repE0EEENS1_48merge_mergepath_partition_config_static_selectorELNS0_4arch9wavefront6targetE1EEEvSM_ ; -- Begin function _ZN7rocprim17ROCPRIM_400000_NS6detail17trampoline_kernelINS0_14default_configENS1_38merge_sort_block_merge_config_selectorIlNS0_10empty_typeEEEZZNS1_27merge_sort_block_merge_implIS3_PlPS5_mZN2at6native12_GLOBAL__N_124unique_dim_cuda_templateIlEESt5tupleIJNSA_6TensorESF_SF_EERKSF_lbbbEUlllE_EE10hipError_tT0_T1_T2_jT3_P12ihipStream_tbPNSt15iterator_traitsISL_E10value_typeEPNSR_ISM_E10value_typeEPSN_NS1_7vsmem_tEENKUlT_SL_SM_SN_E_clIS8_S8_S9_S9_EESK_S10_SL_SM_SN_EUlS10_E_NS1_11comp_targetILNS1_3genE8ELNS1_11target_archE1030ELNS1_3gpuE2ELNS1_3repE0EEENS1_48merge_mergepath_partition_config_static_selectorELNS0_4arch9wavefront6targetE1EEEvSM_
	.p2align	8
	.type	_ZN7rocprim17ROCPRIM_400000_NS6detail17trampoline_kernelINS0_14default_configENS1_38merge_sort_block_merge_config_selectorIlNS0_10empty_typeEEEZZNS1_27merge_sort_block_merge_implIS3_PlPS5_mZN2at6native12_GLOBAL__N_124unique_dim_cuda_templateIlEESt5tupleIJNSA_6TensorESF_SF_EERKSF_lbbbEUlllE_EE10hipError_tT0_T1_T2_jT3_P12ihipStream_tbPNSt15iterator_traitsISL_E10value_typeEPNSR_ISM_E10value_typeEPSN_NS1_7vsmem_tEENKUlT_SL_SM_SN_E_clIS8_S8_S9_S9_EESK_S10_SL_SM_SN_EUlS10_E_NS1_11comp_targetILNS1_3genE8ELNS1_11target_archE1030ELNS1_3gpuE2ELNS1_3repE0EEENS1_48merge_mergepath_partition_config_static_selectorELNS0_4arch9wavefront6targetE1EEEvSM_,@function
_ZN7rocprim17ROCPRIM_400000_NS6detail17trampoline_kernelINS0_14default_configENS1_38merge_sort_block_merge_config_selectorIlNS0_10empty_typeEEEZZNS1_27merge_sort_block_merge_implIS3_PlPS5_mZN2at6native12_GLOBAL__N_124unique_dim_cuda_templateIlEESt5tupleIJNSA_6TensorESF_SF_EERKSF_lbbbEUlllE_EE10hipError_tT0_T1_T2_jT3_P12ihipStream_tbPNSt15iterator_traitsISL_E10value_typeEPNSR_ISM_E10value_typeEPSN_NS1_7vsmem_tEENKUlT_SL_SM_SN_E_clIS8_S8_S9_S9_EESK_S10_SL_SM_SN_EUlS10_E_NS1_11comp_targetILNS1_3genE8ELNS1_11target_archE1030ELNS1_3gpuE2ELNS1_3repE0EEENS1_48merge_mergepath_partition_config_static_selectorELNS0_4arch9wavefront6targetE1EEEvSM_: ; @_ZN7rocprim17ROCPRIM_400000_NS6detail17trampoline_kernelINS0_14default_configENS1_38merge_sort_block_merge_config_selectorIlNS0_10empty_typeEEEZZNS1_27merge_sort_block_merge_implIS3_PlPS5_mZN2at6native12_GLOBAL__N_124unique_dim_cuda_templateIlEESt5tupleIJNSA_6TensorESF_SF_EERKSF_lbbbEUlllE_EE10hipError_tT0_T1_T2_jT3_P12ihipStream_tbPNSt15iterator_traitsISL_E10value_typeEPNSR_ISM_E10value_typeEPSN_NS1_7vsmem_tEENKUlT_SL_SM_SN_E_clIS8_S8_S9_S9_EESK_S10_SL_SM_SN_EUlS10_E_NS1_11comp_targetILNS1_3genE8ELNS1_11target_archE1030ELNS1_3gpuE2ELNS1_3repE0EEENS1_48merge_mergepath_partition_config_static_selectorELNS0_4arch9wavefront6targetE1EEEvSM_
; %bb.0:
	.section	.rodata,"a",@progbits
	.p2align	6, 0x0
	.amdhsa_kernel _ZN7rocprim17ROCPRIM_400000_NS6detail17trampoline_kernelINS0_14default_configENS1_38merge_sort_block_merge_config_selectorIlNS0_10empty_typeEEEZZNS1_27merge_sort_block_merge_implIS3_PlPS5_mZN2at6native12_GLOBAL__N_124unique_dim_cuda_templateIlEESt5tupleIJNSA_6TensorESF_SF_EERKSF_lbbbEUlllE_EE10hipError_tT0_T1_T2_jT3_P12ihipStream_tbPNSt15iterator_traitsISL_E10value_typeEPNSR_ISM_E10value_typeEPSN_NS1_7vsmem_tEENKUlT_SL_SM_SN_E_clIS8_S8_S9_S9_EESK_S10_SL_SM_SN_EUlS10_E_NS1_11comp_targetILNS1_3genE8ELNS1_11target_archE1030ELNS1_3gpuE2ELNS1_3repE0EEENS1_48merge_mergepath_partition_config_static_selectorELNS0_4arch9wavefront6targetE1EEEvSM_
		.amdhsa_group_segment_fixed_size 0
		.amdhsa_private_segment_fixed_size 0
		.amdhsa_kernarg_size 56
		.amdhsa_user_sgpr_count 2
		.amdhsa_user_sgpr_dispatch_ptr 0
		.amdhsa_user_sgpr_queue_ptr 0
		.amdhsa_user_sgpr_kernarg_segment_ptr 1
		.amdhsa_user_sgpr_dispatch_id 0
		.amdhsa_user_sgpr_kernarg_preload_length 0
		.amdhsa_user_sgpr_kernarg_preload_offset 0
		.amdhsa_user_sgpr_private_segment_size 0
		.amdhsa_uses_dynamic_stack 0
		.amdhsa_enable_private_segment 0
		.amdhsa_system_sgpr_workgroup_id_x 1
		.amdhsa_system_sgpr_workgroup_id_y 0
		.amdhsa_system_sgpr_workgroup_id_z 0
		.amdhsa_system_sgpr_workgroup_info 0
		.amdhsa_system_vgpr_workitem_id 0
		.amdhsa_next_free_vgpr 1
		.amdhsa_next_free_sgpr 0
		.amdhsa_accum_offset 4
		.amdhsa_reserve_vcc 0
		.amdhsa_float_round_mode_32 0
		.amdhsa_float_round_mode_16_64 0
		.amdhsa_float_denorm_mode_32 3
		.amdhsa_float_denorm_mode_16_64 3
		.amdhsa_dx10_clamp 1
		.amdhsa_ieee_mode 1
		.amdhsa_fp16_overflow 0
		.amdhsa_tg_split 0
		.amdhsa_exception_fp_ieee_invalid_op 0
		.amdhsa_exception_fp_denorm_src 0
		.amdhsa_exception_fp_ieee_div_zero 0
		.amdhsa_exception_fp_ieee_overflow 0
		.amdhsa_exception_fp_ieee_underflow 0
		.amdhsa_exception_fp_ieee_inexact 0
		.amdhsa_exception_int_div_zero 0
	.end_amdhsa_kernel
	.section	.text._ZN7rocprim17ROCPRIM_400000_NS6detail17trampoline_kernelINS0_14default_configENS1_38merge_sort_block_merge_config_selectorIlNS0_10empty_typeEEEZZNS1_27merge_sort_block_merge_implIS3_PlPS5_mZN2at6native12_GLOBAL__N_124unique_dim_cuda_templateIlEESt5tupleIJNSA_6TensorESF_SF_EERKSF_lbbbEUlllE_EE10hipError_tT0_T1_T2_jT3_P12ihipStream_tbPNSt15iterator_traitsISL_E10value_typeEPNSR_ISM_E10value_typeEPSN_NS1_7vsmem_tEENKUlT_SL_SM_SN_E_clIS8_S8_S9_S9_EESK_S10_SL_SM_SN_EUlS10_E_NS1_11comp_targetILNS1_3genE8ELNS1_11target_archE1030ELNS1_3gpuE2ELNS1_3repE0EEENS1_48merge_mergepath_partition_config_static_selectorELNS0_4arch9wavefront6targetE1EEEvSM_,"axG",@progbits,_ZN7rocprim17ROCPRIM_400000_NS6detail17trampoline_kernelINS0_14default_configENS1_38merge_sort_block_merge_config_selectorIlNS0_10empty_typeEEEZZNS1_27merge_sort_block_merge_implIS3_PlPS5_mZN2at6native12_GLOBAL__N_124unique_dim_cuda_templateIlEESt5tupleIJNSA_6TensorESF_SF_EERKSF_lbbbEUlllE_EE10hipError_tT0_T1_T2_jT3_P12ihipStream_tbPNSt15iterator_traitsISL_E10value_typeEPNSR_ISM_E10value_typeEPSN_NS1_7vsmem_tEENKUlT_SL_SM_SN_E_clIS8_S8_S9_S9_EESK_S10_SL_SM_SN_EUlS10_E_NS1_11comp_targetILNS1_3genE8ELNS1_11target_archE1030ELNS1_3gpuE2ELNS1_3repE0EEENS1_48merge_mergepath_partition_config_static_selectorELNS0_4arch9wavefront6targetE1EEEvSM_,comdat
.Lfunc_end525:
	.size	_ZN7rocprim17ROCPRIM_400000_NS6detail17trampoline_kernelINS0_14default_configENS1_38merge_sort_block_merge_config_selectorIlNS0_10empty_typeEEEZZNS1_27merge_sort_block_merge_implIS3_PlPS5_mZN2at6native12_GLOBAL__N_124unique_dim_cuda_templateIlEESt5tupleIJNSA_6TensorESF_SF_EERKSF_lbbbEUlllE_EE10hipError_tT0_T1_T2_jT3_P12ihipStream_tbPNSt15iterator_traitsISL_E10value_typeEPNSR_ISM_E10value_typeEPSN_NS1_7vsmem_tEENKUlT_SL_SM_SN_E_clIS8_S8_S9_S9_EESK_S10_SL_SM_SN_EUlS10_E_NS1_11comp_targetILNS1_3genE8ELNS1_11target_archE1030ELNS1_3gpuE2ELNS1_3repE0EEENS1_48merge_mergepath_partition_config_static_selectorELNS0_4arch9wavefront6targetE1EEEvSM_, .Lfunc_end525-_ZN7rocprim17ROCPRIM_400000_NS6detail17trampoline_kernelINS0_14default_configENS1_38merge_sort_block_merge_config_selectorIlNS0_10empty_typeEEEZZNS1_27merge_sort_block_merge_implIS3_PlPS5_mZN2at6native12_GLOBAL__N_124unique_dim_cuda_templateIlEESt5tupleIJNSA_6TensorESF_SF_EERKSF_lbbbEUlllE_EE10hipError_tT0_T1_T2_jT3_P12ihipStream_tbPNSt15iterator_traitsISL_E10value_typeEPNSR_ISM_E10value_typeEPSN_NS1_7vsmem_tEENKUlT_SL_SM_SN_E_clIS8_S8_S9_S9_EESK_S10_SL_SM_SN_EUlS10_E_NS1_11comp_targetILNS1_3genE8ELNS1_11target_archE1030ELNS1_3gpuE2ELNS1_3repE0EEENS1_48merge_mergepath_partition_config_static_selectorELNS0_4arch9wavefront6targetE1EEEvSM_
                                        ; -- End function
	.section	.AMDGPU.csdata,"",@progbits
; Kernel info:
; codeLenInByte = 0
; NumSgprs: 6
; NumVgprs: 0
; NumAgprs: 0
; TotalNumVgprs: 0
; ScratchSize: 0
; MemoryBound: 0
; FloatMode: 240
; IeeeMode: 1
; LDSByteSize: 0 bytes/workgroup (compile time only)
; SGPRBlocks: 0
; VGPRBlocks: 0
; NumSGPRsForWavesPerEU: 6
; NumVGPRsForWavesPerEU: 1
; AccumOffset: 4
; Occupancy: 8
; WaveLimiterHint : 0
; COMPUTE_PGM_RSRC2:SCRATCH_EN: 0
; COMPUTE_PGM_RSRC2:USER_SGPR: 2
; COMPUTE_PGM_RSRC2:TRAP_HANDLER: 0
; COMPUTE_PGM_RSRC2:TGID_X_EN: 1
; COMPUTE_PGM_RSRC2:TGID_Y_EN: 0
; COMPUTE_PGM_RSRC2:TGID_Z_EN: 0
; COMPUTE_PGM_RSRC2:TIDIG_COMP_CNT: 0
; COMPUTE_PGM_RSRC3_GFX90A:ACCUM_OFFSET: 0
; COMPUTE_PGM_RSRC3_GFX90A:TG_SPLIT: 0
	.section	.text._ZN7rocprim17ROCPRIM_400000_NS6detail17trampoline_kernelINS0_14default_configENS1_38merge_sort_block_merge_config_selectorIlNS0_10empty_typeEEEZZNS1_27merge_sort_block_merge_implIS3_PlPS5_mZN2at6native12_GLOBAL__N_124unique_dim_cuda_templateIlEESt5tupleIJNSA_6TensorESF_SF_EERKSF_lbbbEUlllE_EE10hipError_tT0_T1_T2_jT3_P12ihipStream_tbPNSt15iterator_traitsISL_E10value_typeEPNSR_ISM_E10value_typeEPSN_NS1_7vsmem_tEENKUlT_SL_SM_SN_E_clIS8_S8_S9_S9_EESK_S10_SL_SM_SN_EUlS10_E0_NS1_11comp_targetILNS1_3genE0ELNS1_11target_archE4294967295ELNS1_3gpuE0ELNS1_3repE0EEENS1_38merge_mergepath_config_static_selectorELNS0_4arch9wavefront6targetE1EEEvSM_,"axG",@progbits,_ZN7rocprim17ROCPRIM_400000_NS6detail17trampoline_kernelINS0_14default_configENS1_38merge_sort_block_merge_config_selectorIlNS0_10empty_typeEEEZZNS1_27merge_sort_block_merge_implIS3_PlPS5_mZN2at6native12_GLOBAL__N_124unique_dim_cuda_templateIlEESt5tupleIJNSA_6TensorESF_SF_EERKSF_lbbbEUlllE_EE10hipError_tT0_T1_T2_jT3_P12ihipStream_tbPNSt15iterator_traitsISL_E10value_typeEPNSR_ISM_E10value_typeEPSN_NS1_7vsmem_tEENKUlT_SL_SM_SN_E_clIS8_S8_S9_S9_EESK_S10_SL_SM_SN_EUlS10_E0_NS1_11comp_targetILNS1_3genE0ELNS1_11target_archE4294967295ELNS1_3gpuE0ELNS1_3repE0EEENS1_38merge_mergepath_config_static_selectorELNS0_4arch9wavefront6targetE1EEEvSM_,comdat
	.globl	_ZN7rocprim17ROCPRIM_400000_NS6detail17trampoline_kernelINS0_14default_configENS1_38merge_sort_block_merge_config_selectorIlNS0_10empty_typeEEEZZNS1_27merge_sort_block_merge_implIS3_PlPS5_mZN2at6native12_GLOBAL__N_124unique_dim_cuda_templateIlEESt5tupleIJNSA_6TensorESF_SF_EERKSF_lbbbEUlllE_EE10hipError_tT0_T1_T2_jT3_P12ihipStream_tbPNSt15iterator_traitsISL_E10value_typeEPNSR_ISM_E10value_typeEPSN_NS1_7vsmem_tEENKUlT_SL_SM_SN_E_clIS8_S8_S9_S9_EESK_S10_SL_SM_SN_EUlS10_E0_NS1_11comp_targetILNS1_3genE0ELNS1_11target_archE4294967295ELNS1_3gpuE0ELNS1_3repE0EEENS1_38merge_mergepath_config_static_selectorELNS0_4arch9wavefront6targetE1EEEvSM_ ; -- Begin function _ZN7rocprim17ROCPRIM_400000_NS6detail17trampoline_kernelINS0_14default_configENS1_38merge_sort_block_merge_config_selectorIlNS0_10empty_typeEEEZZNS1_27merge_sort_block_merge_implIS3_PlPS5_mZN2at6native12_GLOBAL__N_124unique_dim_cuda_templateIlEESt5tupleIJNSA_6TensorESF_SF_EERKSF_lbbbEUlllE_EE10hipError_tT0_T1_T2_jT3_P12ihipStream_tbPNSt15iterator_traitsISL_E10value_typeEPNSR_ISM_E10value_typeEPSN_NS1_7vsmem_tEENKUlT_SL_SM_SN_E_clIS8_S8_S9_S9_EESK_S10_SL_SM_SN_EUlS10_E0_NS1_11comp_targetILNS1_3genE0ELNS1_11target_archE4294967295ELNS1_3gpuE0ELNS1_3repE0EEENS1_38merge_mergepath_config_static_selectorELNS0_4arch9wavefront6targetE1EEEvSM_
	.p2align	8
	.type	_ZN7rocprim17ROCPRIM_400000_NS6detail17trampoline_kernelINS0_14default_configENS1_38merge_sort_block_merge_config_selectorIlNS0_10empty_typeEEEZZNS1_27merge_sort_block_merge_implIS3_PlPS5_mZN2at6native12_GLOBAL__N_124unique_dim_cuda_templateIlEESt5tupleIJNSA_6TensorESF_SF_EERKSF_lbbbEUlllE_EE10hipError_tT0_T1_T2_jT3_P12ihipStream_tbPNSt15iterator_traitsISL_E10value_typeEPNSR_ISM_E10value_typeEPSN_NS1_7vsmem_tEENKUlT_SL_SM_SN_E_clIS8_S8_S9_S9_EESK_S10_SL_SM_SN_EUlS10_E0_NS1_11comp_targetILNS1_3genE0ELNS1_11target_archE4294967295ELNS1_3gpuE0ELNS1_3repE0EEENS1_38merge_mergepath_config_static_selectorELNS0_4arch9wavefront6targetE1EEEvSM_,@function
_ZN7rocprim17ROCPRIM_400000_NS6detail17trampoline_kernelINS0_14default_configENS1_38merge_sort_block_merge_config_selectorIlNS0_10empty_typeEEEZZNS1_27merge_sort_block_merge_implIS3_PlPS5_mZN2at6native12_GLOBAL__N_124unique_dim_cuda_templateIlEESt5tupleIJNSA_6TensorESF_SF_EERKSF_lbbbEUlllE_EE10hipError_tT0_T1_T2_jT3_P12ihipStream_tbPNSt15iterator_traitsISL_E10value_typeEPNSR_ISM_E10value_typeEPSN_NS1_7vsmem_tEENKUlT_SL_SM_SN_E_clIS8_S8_S9_S9_EESK_S10_SL_SM_SN_EUlS10_E0_NS1_11comp_targetILNS1_3genE0ELNS1_11target_archE4294967295ELNS1_3gpuE0ELNS1_3repE0EEENS1_38merge_mergepath_config_static_selectorELNS0_4arch9wavefront6targetE1EEEvSM_: ; @_ZN7rocprim17ROCPRIM_400000_NS6detail17trampoline_kernelINS0_14default_configENS1_38merge_sort_block_merge_config_selectorIlNS0_10empty_typeEEEZZNS1_27merge_sort_block_merge_implIS3_PlPS5_mZN2at6native12_GLOBAL__N_124unique_dim_cuda_templateIlEESt5tupleIJNSA_6TensorESF_SF_EERKSF_lbbbEUlllE_EE10hipError_tT0_T1_T2_jT3_P12ihipStream_tbPNSt15iterator_traitsISL_E10value_typeEPNSR_ISM_E10value_typeEPSN_NS1_7vsmem_tEENKUlT_SL_SM_SN_E_clIS8_S8_S9_S9_EESK_S10_SL_SM_SN_EUlS10_E0_NS1_11comp_targetILNS1_3genE0ELNS1_11target_archE4294967295ELNS1_3gpuE0ELNS1_3repE0EEENS1_38merge_mergepath_config_static_selectorELNS0_4arch9wavefront6targetE1EEEvSM_
; %bb.0:
	.section	.rodata,"a",@progbits
	.p2align	6, 0x0
	.amdhsa_kernel _ZN7rocprim17ROCPRIM_400000_NS6detail17trampoline_kernelINS0_14default_configENS1_38merge_sort_block_merge_config_selectorIlNS0_10empty_typeEEEZZNS1_27merge_sort_block_merge_implIS3_PlPS5_mZN2at6native12_GLOBAL__N_124unique_dim_cuda_templateIlEESt5tupleIJNSA_6TensorESF_SF_EERKSF_lbbbEUlllE_EE10hipError_tT0_T1_T2_jT3_P12ihipStream_tbPNSt15iterator_traitsISL_E10value_typeEPNSR_ISM_E10value_typeEPSN_NS1_7vsmem_tEENKUlT_SL_SM_SN_E_clIS8_S8_S9_S9_EESK_S10_SL_SM_SN_EUlS10_E0_NS1_11comp_targetILNS1_3genE0ELNS1_11target_archE4294967295ELNS1_3gpuE0ELNS1_3repE0EEENS1_38merge_mergepath_config_static_selectorELNS0_4arch9wavefront6targetE1EEEvSM_
		.amdhsa_group_segment_fixed_size 0
		.amdhsa_private_segment_fixed_size 0
		.amdhsa_kernarg_size 88
		.amdhsa_user_sgpr_count 2
		.amdhsa_user_sgpr_dispatch_ptr 0
		.amdhsa_user_sgpr_queue_ptr 0
		.amdhsa_user_sgpr_kernarg_segment_ptr 1
		.amdhsa_user_sgpr_dispatch_id 0
		.amdhsa_user_sgpr_kernarg_preload_length 0
		.amdhsa_user_sgpr_kernarg_preload_offset 0
		.amdhsa_user_sgpr_private_segment_size 0
		.amdhsa_uses_dynamic_stack 0
		.amdhsa_enable_private_segment 0
		.amdhsa_system_sgpr_workgroup_id_x 1
		.amdhsa_system_sgpr_workgroup_id_y 0
		.amdhsa_system_sgpr_workgroup_id_z 0
		.amdhsa_system_sgpr_workgroup_info 0
		.amdhsa_system_vgpr_workitem_id 0
		.amdhsa_next_free_vgpr 1
		.amdhsa_next_free_sgpr 0
		.amdhsa_accum_offset 4
		.amdhsa_reserve_vcc 0
		.amdhsa_float_round_mode_32 0
		.amdhsa_float_round_mode_16_64 0
		.amdhsa_float_denorm_mode_32 3
		.amdhsa_float_denorm_mode_16_64 3
		.amdhsa_dx10_clamp 1
		.amdhsa_ieee_mode 1
		.amdhsa_fp16_overflow 0
		.amdhsa_tg_split 0
		.amdhsa_exception_fp_ieee_invalid_op 0
		.amdhsa_exception_fp_denorm_src 0
		.amdhsa_exception_fp_ieee_div_zero 0
		.amdhsa_exception_fp_ieee_overflow 0
		.amdhsa_exception_fp_ieee_underflow 0
		.amdhsa_exception_fp_ieee_inexact 0
		.amdhsa_exception_int_div_zero 0
	.end_amdhsa_kernel
	.section	.text._ZN7rocprim17ROCPRIM_400000_NS6detail17trampoline_kernelINS0_14default_configENS1_38merge_sort_block_merge_config_selectorIlNS0_10empty_typeEEEZZNS1_27merge_sort_block_merge_implIS3_PlPS5_mZN2at6native12_GLOBAL__N_124unique_dim_cuda_templateIlEESt5tupleIJNSA_6TensorESF_SF_EERKSF_lbbbEUlllE_EE10hipError_tT0_T1_T2_jT3_P12ihipStream_tbPNSt15iterator_traitsISL_E10value_typeEPNSR_ISM_E10value_typeEPSN_NS1_7vsmem_tEENKUlT_SL_SM_SN_E_clIS8_S8_S9_S9_EESK_S10_SL_SM_SN_EUlS10_E0_NS1_11comp_targetILNS1_3genE0ELNS1_11target_archE4294967295ELNS1_3gpuE0ELNS1_3repE0EEENS1_38merge_mergepath_config_static_selectorELNS0_4arch9wavefront6targetE1EEEvSM_,"axG",@progbits,_ZN7rocprim17ROCPRIM_400000_NS6detail17trampoline_kernelINS0_14default_configENS1_38merge_sort_block_merge_config_selectorIlNS0_10empty_typeEEEZZNS1_27merge_sort_block_merge_implIS3_PlPS5_mZN2at6native12_GLOBAL__N_124unique_dim_cuda_templateIlEESt5tupleIJNSA_6TensorESF_SF_EERKSF_lbbbEUlllE_EE10hipError_tT0_T1_T2_jT3_P12ihipStream_tbPNSt15iterator_traitsISL_E10value_typeEPNSR_ISM_E10value_typeEPSN_NS1_7vsmem_tEENKUlT_SL_SM_SN_E_clIS8_S8_S9_S9_EESK_S10_SL_SM_SN_EUlS10_E0_NS1_11comp_targetILNS1_3genE0ELNS1_11target_archE4294967295ELNS1_3gpuE0ELNS1_3repE0EEENS1_38merge_mergepath_config_static_selectorELNS0_4arch9wavefront6targetE1EEEvSM_,comdat
.Lfunc_end526:
	.size	_ZN7rocprim17ROCPRIM_400000_NS6detail17trampoline_kernelINS0_14default_configENS1_38merge_sort_block_merge_config_selectorIlNS0_10empty_typeEEEZZNS1_27merge_sort_block_merge_implIS3_PlPS5_mZN2at6native12_GLOBAL__N_124unique_dim_cuda_templateIlEESt5tupleIJNSA_6TensorESF_SF_EERKSF_lbbbEUlllE_EE10hipError_tT0_T1_T2_jT3_P12ihipStream_tbPNSt15iterator_traitsISL_E10value_typeEPNSR_ISM_E10value_typeEPSN_NS1_7vsmem_tEENKUlT_SL_SM_SN_E_clIS8_S8_S9_S9_EESK_S10_SL_SM_SN_EUlS10_E0_NS1_11comp_targetILNS1_3genE0ELNS1_11target_archE4294967295ELNS1_3gpuE0ELNS1_3repE0EEENS1_38merge_mergepath_config_static_selectorELNS0_4arch9wavefront6targetE1EEEvSM_, .Lfunc_end526-_ZN7rocprim17ROCPRIM_400000_NS6detail17trampoline_kernelINS0_14default_configENS1_38merge_sort_block_merge_config_selectorIlNS0_10empty_typeEEEZZNS1_27merge_sort_block_merge_implIS3_PlPS5_mZN2at6native12_GLOBAL__N_124unique_dim_cuda_templateIlEESt5tupleIJNSA_6TensorESF_SF_EERKSF_lbbbEUlllE_EE10hipError_tT0_T1_T2_jT3_P12ihipStream_tbPNSt15iterator_traitsISL_E10value_typeEPNSR_ISM_E10value_typeEPSN_NS1_7vsmem_tEENKUlT_SL_SM_SN_E_clIS8_S8_S9_S9_EESK_S10_SL_SM_SN_EUlS10_E0_NS1_11comp_targetILNS1_3genE0ELNS1_11target_archE4294967295ELNS1_3gpuE0ELNS1_3repE0EEENS1_38merge_mergepath_config_static_selectorELNS0_4arch9wavefront6targetE1EEEvSM_
                                        ; -- End function
	.section	.AMDGPU.csdata,"",@progbits
; Kernel info:
; codeLenInByte = 0
; NumSgprs: 6
; NumVgprs: 0
; NumAgprs: 0
; TotalNumVgprs: 0
; ScratchSize: 0
; MemoryBound: 0
; FloatMode: 240
; IeeeMode: 1
; LDSByteSize: 0 bytes/workgroup (compile time only)
; SGPRBlocks: 0
; VGPRBlocks: 0
; NumSGPRsForWavesPerEU: 6
; NumVGPRsForWavesPerEU: 1
; AccumOffset: 4
; Occupancy: 8
; WaveLimiterHint : 0
; COMPUTE_PGM_RSRC2:SCRATCH_EN: 0
; COMPUTE_PGM_RSRC2:USER_SGPR: 2
; COMPUTE_PGM_RSRC2:TRAP_HANDLER: 0
; COMPUTE_PGM_RSRC2:TGID_X_EN: 1
; COMPUTE_PGM_RSRC2:TGID_Y_EN: 0
; COMPUTE_PGM_RSRC2:TGID_Z_EN: 0
; COMPUTE_PGM_RSRC2:TIDIG_COMP_CNT: 0
; COMPUTE_PGM_RSRC3_GFX90A:ACCUM_OFFSET: 0
; COMPUTE_PGM_RSRC3_GFX90A:TG_SPLIT: 0
	.section	.text._ZN7rocprim17ROCPRIM_400000_NS6detail17trampoline_kernelINS0_14default_configENS1_38merge_sort_block_merge_config_selectorIlNS0_10empty_typeEEEZZNS1_27merge_sort_block_merge_implIS3_PlPS5_mZN2at6native12_GLOBAL__N_124unique_dim_cuda_templateIlEESt5tupleIJNSA_6TensorESF_SF_EERKSF_lbbbEUlllE_EE10hipError_tT0_T1_T2_jT3_P12ihipStream_tbPNSt15iterator_traitsISL_E10value_typeEPNSR_ISM_E10value_typeEPSN_NS1_7vsmem_tEENKUlT_SL_SM_SN_E_clIS8_S8_S9_S9_EESK_S10_SL_SM_SN_EUlS10_E0_NS1_11comp_targetILNS1_3genE10ELNS1_11target_archE1201ELNS1_3gpuE5ELNS1_3repE0EEENS1_38merge_mergepath_config_static_selectorELNS0_4arch9wavefront6targetE1EEEvSM_,"axG",@progbits,_ZN7rocprim17ROCPRIM_400000_NS6detail17trampoline_kernelINS0_14default_configENS1_38merge_sort_block_merge_config_selectorIlNS0_10empty_typeEEEZZNS1_27merge_sort_block_merge_implIS3_PlPS5_mZN2at6native12_GLOBAL__N_124unique_dim_cuda_templateIlEESt5tupleIJNSA_6TensorESF_SF_EERKSF_lbbbEUlllE_EE10hipError_tT0_T1_T2_jT3_P12ihipStream_tbPNSt15iterator_traitsISL_E10value_typeEPNSR_ISM_E10value_typeEPSN_NS1_7vsmem_tEENKUlT_SL_SM_SN_E_clIS8_S8_S9_S9_EESK_S10_SL_SM_SN_EUlS10_E0_NS1_11comp_targetILNS1_3genE10ELNS1_11target_archE1201ELNS1_3gpuE5ELNS1_3repE0EEENS1_38merge_mergepath_config_static_selectorELNS0_4arch9wavefront6targetE1EEEvSM_,comdat
	.globl	_ZN7rocprim17ROCPRIM_400000_NS6detail17trampoline_kernelINS0_14default_configENS1_38merge_sort_block_merge_config_selectorIlNS0_10empty_typeEEEZZNS1_27merge_sort_block_merge_implIS3_PlPS5_mZN2at6native12_GLOBAL__N_124unique_dim_cuda_templateIlEESt5tupleIJNSA_6TensorESF_SF_EERKSF_lbbbEUlllE_EE10hipError_tT0_T1_T2_jT3_P12ihipStream_tbPNSt15iterator_traitsISL_E10value_typeEPNSR_ISM_E10value_typeEPSN_NS1_7vsmem_tEENKUlT_SL_SM_SN_E_clIS8_S8_S9_S9_EESK_S10_SL_SM_SN_EUlS10_E0_NS1_11comp_targetILNS1_3genE10ELNS1_11target_archE1201ELNS1_3gpuE5ELNS1_3repE0EEENS1_38merge_mergepath_config_static_selectorELNS0_4arch9wavefront6targetE1EEEvSM_ ; -- Begin function _ZN7rocprim17ROCPRIM_400000_NS6detail17trampoline_kernelINS0_14default_configENS1_38merge_sort_block_merge_config_selectorIlNS0_10empty_typeEEEZZNS1_27merge_sort_block_merge_implIS3_PlPS5_mZN2at6native12_GLOBAL__N_124unique_dim_cuda_templateIlEESt5tupleIJNSA_6TensorESF_SF_EERKSF_lbbbEUlllE_EE10hipError_tT0_T1_T2_jT3_P12ihipStream_tbPNSt15iterator_traitsISL_E10value_typeEPNSR_ISM_E10value_typeEPSN_NS1_7vsmem_tEENKUlT_SL_SM_SN_E_clIS8_S8_S9_S9_EESK_S10_SL_SM_SN_EUlS10_E0_NS1_11comp_targetILNS1_3genE10ELNS1_11target_archE1201ELNS1_3gpuE5ELNS1_3repE0EEENS1_38merge_mergepath_config_static_selectorELNS0_4arch9wavefront6targetE1EEEvSM_
	.p2align	8
	.type	_ZN7rocprim17ROCPRIM_400000_NS6detail17trampoline_kernelINS0_14default_configENS1_38merge_sort_block_merge_config_selectorIlNS0_10empty_typeEEEZZNS1_27merge_sort_block_merge_implIS3_PlPS5_mZN2at6native12_GLOBAL__N_124unique_dim_cuda_templateIlEESt5tupleIJNSA_6TensorESF_SF_EERKSF_lbbbEUlllE_EE10hipError_tT0_T1_T2_jT3_P12ihipStream_tbPNSt15iterator_traitsISL_E10value_typeEPNSR_ISM_E10value_typeEPSN_NS1_7vsmem_tEENKUlT_SL_SM_SN_E_clIS8_S8_S9_S9_EESK_S10_SL_SM_SN_EUlS10_E0_NS1_11comp_targetILNS1_3genE10ELNS1_11target_archE1201ELNS1_3gpuE5ELNS1_3repE0EEENS1_38merge_mergepath_config_static_selectorELNS0_4arch9wavefront6targetE1EEEvSM_,@function
_ZN7rocprim17ROCPRIM_400000_NS6detail17trampoline_kernelINS0_14default_configENS1_38merge_sort_block_merge_config_selectorIlNS0_10empty_typeEEEZZNS1_27merge_sort_block_merge_implIS3_PlPS5_mZN2at6native12_GLOBAL__N_124unique_dim_cuda_templateIlEESt5tupleIJNSA_6TensorESF_SF_EERKSF_lbbbEUlllE_EE10hipError_tT0_T1_T2_jT3_P12ihipStream_tbPNSt15iterator_traitsISL_E10value_typeEPNSR_ISM_E10value_typeEPSN_NS1_7vsmem_tEENKUlT_SL_SM_SN_E_clIS8_S8_S9_S9_EESK_S10_SL_SM_SN_EUlS10_E0_NS1_11comp_targetILNS1_3genE10ELNS1_11target_archE1201ELNS1_3gpuE5ELNS1_3repE0EEENS1_38merge_mergepath_config_static_selectorELNS0_4arch9wavefront6targetE1EEEvSM_: ; @_ZN7rocprim17ROCPRIM_400000_NS6detail17trampoline_kernelINS0_14default_configENS1_38merge_sort_block_merge_config_selectorIlNS0_10empty_typeEEEZZNS1_27merge_sort_block_merge_implIS3_PlPS5_mZN2at6native12_GLOBAL__N_124unique_dim_cuda_templateIlEESt5tupleIJNSA_6TensorESF_SF_EERKSF_lbbbEUlllE_EE10hipError_tT0_T1_T2_jT3_P12ihipStream_tbPNSt15iterator_traitsISL_E10value_typeEPNSR_ISM_E10value_typeEPSN_NS1_7vsmem_tEENKUlT_SL_SM_SN_E_clIS8_S8_S9_S9_EESK_S10_SL_SM_SN_EUlS10_E0_NS1_11comp_targetILNS1_3genE10ELNS1_11target_archE1201ELNS1_3gpuE5ELNS1_3repE0EEENS1_38merge_mergepath_config_static_selectorELNS0_4arch9wavefront6targetE1EEEvSM_
; %bb.0:
	.section	.rodata,"a",@progbits
	.p2align	6, 0x0
	.amdhsa_kernel _ZN7rocprim17ROCPRIM_400000_NS6detail17trampoline_kernelINS0_14default_configENS1_38merge_sort_block_merge_config_selectorIlNS0_10empty_typeEEEZZNS1_27merge_sort_block_merge_implIS3_PlPS5_mZN2at6native12_GLOBAL__N_124unique_dim_cuda_templateIlEESt5tupleIJNSA_6TensorESF_SF_EERKSF_lbbbEUlllE_EE10hipError_tT0_T1_T2_jT3_P12ihipStream_tbPNSt15iterator_traitsISL_E10value_typeEPNSR_ISM_E10value_typeEPSN_NS1_7vsmem_tEENKUlT_SL_SM_SN_E_clIS8_S8_S9_S9_EESK_S10_SL_SM_SN_EUlS10_E0_NS1_11comp_targetILNS1_3genE10ELNS1_11target_archE1201ELNS1_3gpuE5ELNS1_3repE0EEENS1_38merge_mergepath_config_static_selectorELNS0_4arch9wavefront6targetE1EEEvSM_
		.amdhsa_group_segment_fixed_size 0
		.amdhsa_private_segment_fixed_size 0
		.amdhsa_kernarg_size 88
		.amdhsa_user_sgpr_count 2
		.amdhsa_user_sgpr_dispatch_ptr 0
		.amdhsa_user_sgpr_queue_ptr 0
		.amdhsa_user_sgpr_kernarg_segment_ptr 1
		.amdhsa_user_sgpr_dispatch_id 0
		.amdhsa_user_sgpr_kernarg_preload_length 0
		.amdhsa_user_sgpr_kernarg_preload_offset 0
		.amdhsa_user_sgpr_private_segment_size 0
		.amdhsa_uses_dynamic_stack 0
		.amdhsa_enable_private_segment 0
		.amdhsa_system_sgpr_workgroup_id_x 1
		.amdhsa_system_sgpr_workgroup_id_y 0
		.amdhsa_system_sgpr_workgroup_id_z 0
		.amdhsa_system_sgpr_workgroup_info 0
		.amdhsa_system_vgpr_workitem_id 0
		.amdhsa_next_free_vgpr 1
		.amdhsa_next_free_sgpr 0
		.amdhsa_accum_offset 4
		.amdhsa_reserve_vcc 0
		.amdhsa_float_round_mode_32 0
		.amdhsa_float_round_mode_16_64 0
		.amdhsa_float_denorm_mode_32 3
		.amdhsa_float_denorm_mode_16_64 3
		.amdhsa_dx10_clamp 1
		.amdhsa_ieee_mode 1
		.amdhsa_fp16_overflow 0
		.amdhsa_tg_split 0
		.amdhsa_exception_fp_ieee_invalid_op 0
		.amdhsa_exception_fp_denorm_src 0
		.amdhsa_exception_fp_ieee_div_zero 0
		.amdhsa_exception_fp_ieee_overflow 0
		.amdhsa_exception_fp_ieee_underflow 0
		.amdhsa_exception_fp_ieee_inexact 0
		.amdhsa_exception_int_div_zero 0
	.end_amdhsa_kernel
	.section	.text._ZN7rocprim17ROCPRIM_400000_NS6detail17trampoline_kernelINS0_14default_configENS1_38merge_sort_block_merge_config_selectorIlNS0_10empty_typeEEEZZNS1_27merge_sort_block_merge_implIS3_PlPS5_mZN2at6native12_GLOBAL__N_124unique_dim_cuda_templateIlEESt5tupleIJNSA_6TensorESF_SF_EERKSF_lbbbEUlllE_EE10hipError_tT0_T1_T2_jT3_P12ihipStream_tbPNSt15iterator_traitsISL_E10value_typeEPNSR_ISM_E10value_typeEPSN_NS1_7vsmem_tEENKUlT_SL_SM_SN_E_clIS8_S8_S9_S9_EESK_S10_SL_SM_SN_EUlS10_E0_NS1_11comp_targetILNS1_3genE10ELNS1_11target_archE1201ELNS1_3gpuE5ELNS1_3repE0EEENS1_38merge_mergepath_config_static_selectorELNS0_4arch9wavefront6targetE1EEEvSM_,"axG",@progbits,_ZN7rocprim17ROCPRIM_400000_NS6detail17trampoline_kernelINS0_14default_configENS1_38merge_sort_block_merge_config_selectorIlNS0_10empty_typeEEEZZNS1_27merge_sort_block_merge_implIS3_PlPS5_mZN2at6native12_GLOBAL__N_124unique_dim_cuda_templateIlEESt5tupleIJNSA_6TensorESF_SF_EERKSF_lbbbEUlllE_EE10hipError_tT0_T1_T2_jT3_P12ihipStream_tbPNSt15iterator_traitsISL_E10value_typeEPNSR_ISM_E10value_typeEPSN_NS1_7vsmem_tEENKUlT_SL_SM_SN_E_clIS8_S8_S9_S9_EESK_S10_SL_SM_SN_EUlS10_E0_NS1_11comp_targetILNS1_3genE10ELNS1_11target_archE1201ELNS1_3gpuE5ELNS1_3repE0EEENS1_38merge_mergepath_config_static_selectorELNS0_4arch9wavefront6targetE1EEEvSM_,comdat
.Lfunc_end527:
	.size	_ZN7rocprim17ROCPRIM_400000_NS6detail17trampoline_kernelINS0_14default_configENS1_38merge_sort_block_merge_config_selectorIlNS0_10empty_typeEEEZZNS1_27merge_sort_block_merge_implIS3_PlPS5_mZN2at6native12_GLOBAL__N_124unique_dim_cuda_templateIlEESt5tupleIJNSA_6TensorESF_SF_EERKSF_lbbbEUlllE_EE10hipError_tT0_T1_T2_jT3_P12ihipStream_tbPNSt15iterator_traitsISL_E10value_typeEPNSR_ISM_E10value_typeEPSN_NS1_7vsmem_tEENKUlT_SL_SM_SN_E_clIS8_S8_S9_S9_EESK_S10_SL_SM_SN_EUlS10_E0_NS1_11comp_targetILNS1_3genE10ELNS1_11target_archE1201ELNS1_3gpuE5ELNS1_3repE0EEENS1_38merge_mergepath_config_static_selectorELNS0_4arch9wavefront6targetE1EEEvSM_, .Lfunc_end527-_ZN7rocprim17ROCPRIM_400000_NS6detail17trampoline_kernelINS0_14default_configENS1_38merge_sort_block_merge_config_selectorIlNS0_10empty_typeEEEZZNS1_27merge_sort_block_merge_implIS3_PlPS5_mZN2at6native12_GLOBAL__N_124unique_dim_cuda_templateIlEESt5tupleIJNSA_6TensorESF_SF_EERKSF_lbbbEUlllE_EE10hipError_tT0_T1_T2_jT3_P12ihipStream_tbPNSt15iterator_traitsISL_E10value_typeEPNSR_ISM_E10value_typeEPSN_NS1_7vsmem_tEENKUlT_SL_SM_SN_E_clIS8_S8_S9_S9_EESK_S10_SL_SM_SN_EUlS10_E0_NS1_11comp_targetILNS1_3genE10ELNS1_11target_archE1201ELNS1_3gpuE5ELNS1_3repE0EEENS1_38merge_mergepath_config_static_selectorELNS0_4arch9wavefront6targetE1EEEvSM_
                                        ; -- End function
	.section	.AMDGPU.csdata,"",@progbits
; Kernel info:
; codeLenInByte = 0
; NumSgprs: 6
; NumVgprs: 0
; NumAgprs: 0
; TotalNumVgprs: 0
; ScratchSize: 0
; MemoryBound: 0
; FloatMode: 240
; IeeeMode: 1
; LDSByteSize: 0 bytes/workgroup (compile time only)
; SGPRBlocks: 0
; VGPRBlocks: 0
; NumSGPRsForWavesPerEU: 6
; NumVGPRsForWavesPerEU: 1
; AccumOffset: 4
; Occupancy: 8
; WaveLimiterHint : 0
; COMPUTE_PGM_RSRC2:SCRATCH_EN: 0
; COMPUTE_PGM_RSRC2:USER_SGPR: 2
; COMPUTE_PGM_RSRC2:TRAP_HANDLER: 0
; COMPUTE_PGM_RSRC2:TGID_X_EN: 1
; COMPUTE_PGM_RSRC2:TGID_Y_EN: 0
; COMPUTE_PGM_RSRC2:TGID_Z_EN: 0
; COMPUTE_PGM_RSRC2:TIDIG_COMP_CNT: 0
; COMPUTE_PGM_RSRC3_GFX90A:ACCUM_OFFSET: 0
; COMPUTE_PGM_RSRC3_GFX90A:TG_SPLIT: 0
	.section	.text._ZN7rocprim17ROCPRIM_400000_NS6detail17trampoline_kernelINS0_14default_configENS1_38merge_sort_block_merge_config_selectorIlNS0_10empty_typeEEEZZNS1_27merge_sort_block_merge_implIS3_PlPS5_mZN2at6native12_GLOBAL__N_124unique_dim_cuda_templateIlEESt5tupleIJNSA_6TensorESF_SF_EERKSF_lbbbEUlllE_EE10hipError_tT0_T1_T2_jT3_P12ihipStream_tbPNSt15iterator_traitsISL_E10value_typeEPNSR_ISM_E10value_typeEPSN_NS1_7vsmem_tEENKUlT_SL_SM_SN_E_clIS8_S8_S9_S9_EESK_S10_SL_SM_SN_EUlS10_E0_NS1_11comp_targetILNS1_3genE5ELNS1_11target_archE942ELNS1_3gpuE9ELNS1_3repE0EEENS1_38merge_mergepath_config_static_selectorELNS0_4arch9wavefront6targetE1EEEvSM_,"axG",@progbits,_ZN7rocprim17ROCPRIM_400000_NS6detail17trampoline_kernelINS0_14default_configENS1_38merge_sort_block_merge_config_selectorIlNS0_10empty_typeEEEZZNS1_27merge_sort_block_merge_implIS3_PlPS5_mZN2at6native12_GLOBAL__N_124unique_dim_cuda_templateIlEESt5tupleIJNSA_6TensorESF_SF_EERKSF_lbbbEUlllE_EE10hipError_tT0_T1_T2_jT3_P12ihipStream_tbPNSt15iterator_traitsISL_E10value_typeEPNSR_ISM_E10value_typeEPSN_NS1_7vsmem_tEENKUlT_SL_SM_SN_E_clIS8_S8_S9_S9_EESK_S10_SL_SM_SN_EUlS10_E0_NS1_11comp_targetILNS1_3genE5ELNS1_11target_archE942ELNS1_3gpuE9ELNS1_3repE0EEENS1_38merge_mergepath_config_static_selectorELNS0_4arch9wavefront6targetE1EEEvSM_,comdat
	.globl	_ZN7rocprim17ROCPRIM_400000_NS6detail17trampoline_kernelINS0_14default_configENS1_38merge_sort_block_merge_config_selectorIlNS0_10empty_typeEEEZZNS1_27merge_sort_block_merge_implIS3_PlPS5_mZN2at6native12_GLOBAL__N_124unique_dim_cuda_templateIlEESt5tupleIJNSA_6TensorESF_SF_EERKSF_lbbbEUlllE_EE10hipError_tT0_T1_T2_jT3_P12ihipStream_tbPNSt15iterator_traitsISL_E10value_typeEPNSR_ISM_E10value_typeEPSN_NS1_7vsmem_tEENKUlT_SL_SM_SN_E_clIS8_S8_S9_S9_EESK_S10_SL_SM_SN_EUlS10_E0_NS1_11comp_targetILNS1_3genE5ELNS1_11target_archE942ELNS1_3gpuE9ELNS1_3repE0EEENS1_38merge_mergepath_config_static_selectorELNS0_4arch9wavefront6targetE1EEEvSM_ ; -- Begin function _ZN7rocprim17ROCPRIM_400000_NS6detail17trampoline_kernelINS0_14default_configENS1_38merge_sort_block_merge_config_selectorIlNS0_10empty_typeEEEZZNS1_27merge_sort_block_merge_implIS3_PlPS5_mZN2at6native12_GLOBAL__N_124unique_dim_cuda_templateIlEESt5tupleIJNSA_6TensorESF_SF_EERKSF_lbbbEUlllE_EE10hipError_tT0_T1_T2_jT3_P12ihipStream_tbPNSt15iterator_traitsISL_E10value_typeEPNSR_ISM_E10value_typeEPSN_NS1_7vsmem_tEENKUlT_SL_SM_SN_E_clIS8_S8_S9_S9_EESK_S10_SL_SM_SN_EUlS10_E0_NS1_11comp_targetILNS1_3genE5ELNS1_11target_archE942ELNS1_3gpuE9ELNS1_3repE0EEENS1_38merge_mergepath_config_static_selectorELNS0_4arch9wavefront6targetE1EEEvSM_
	.p2align	8
	.type	_ZN7rocprim17ROCPRIM_400000_NS6detail17trampoline_kernelINS0_14default_configENS1_38merge_sort_block_merge_config_selectorIlNS0_10empty_typeEEEZZNS1_27merge_sort_block_merge_implIS3_PlPS5_mZN2at6native12_GLOBAL__N_124unique_dim_cuda_templateIlEESt5tupleIJNSA_6TensorESF_SF_EERKSF_lbbbEUlllE_EE10hipError_tT0_T1_T2_jT3_P12ihipStream_tbPNSt15iterator_traitsISL_E10value_typeEPNSR_ISM_E10value_typeEPSN_NS1_7vsmem_tEENKUlT_SL_SM_SN_E_clIS8_S8_S9_S9_EESK_S10_SL_SM_SN_EUlS10_E0_NS1_11comp_targetILNS1_3genE5ELNS1_11target_archE942ELNS1_3gpuE9ELNS1_3repE0EEENS1_38merge_mergepath_config_static_selectorELNS0_4arch9wavefront6targetE1EEEvSM_,@function
_ZN7rocprim17ROCPRIM_400000_NS6detail17trampoline_kernelINS0_14default_configENS1_38merge_sort_block_merge_config_selectorIlNS0_10empty_typeEEEZZNS1_27merge_sort_block_merge_implIS3_PlPS5_mZN2at6native12_GLOBAL__N_124unique_dim_cuda_templateIlEESt5tupleIJNSA_6TensorESF_SF_EERKSF_lbbbEUlllE_EE10hipError_tT0_T1_T2_jT3_P12ihipStream_tbPNSt15iterator_traitsISL_E10value_typeEPNSR_ISM_E10value_typeEPSN_NS1_7vsmem_tEENKUlT_SL_SM_SN_E_clIS8_S8_S9_S9_EESK_S10_SL_SM_SN_EUlS10_E0_NS1_11comp_targetILNS1_3genE5ELNS1_11target_archE942ELNS1_3gpuE9ELNS1_3repE0EEENS1_38merge_mergepath_config_static_selectorELNS0_4arch9wavefront6targetE1EEEvSM_: ; @_ZN7rocprim17ROCPRIM_400000_NS6detail17trampoline_kernelINS0_14default_configENS1_38merge_sort_block_merge_config_selectorIlNS0_10empty_typeEEEZZNS1_27merge_sort_block_merge_implIS3_PlPS5_mZN2at6native12_GLOBAL__N_124unique_dim_cuda_templateIlEESt5tupleIJNSA_6TensorESF_SF_EERKSF_lbbbEUlllE_EE10hipError_tT0_T1_T2_jT3_P12ihipStream_tbPNSt15iterator_traitsISL_E10value_typeEPNSR_ISM_E10value_typeEPSN_NS1_7vsmem_tEENKUlT_SL_SM_SN_E_clIS8_S8_S9_S9_EESK_S10_SL_SM_SN_EUlS10_E0_NS1_11comp_targetILNS1_3genE5ELNS1_11target_archE942ELNS1_3gpuE9ELNS1_3repE0EEENS1_38merge_mergepath_config_static_selectorELNS0_4arch9wavefront6targetE1EEEvSM_
; %bb.0:
	s_load_dwordx2 s[24:25], s[0:1], 0x58
	s_load_dword s5, s[0:1], 0x38
	s_add_u32 s22, s0, 0x58
	s_addc_u32 s23, s1, 0
	s_waitcnt lgkmcnt(0)
	s_mul_i32 s4, s25, s4
	s_add_i32 s3, s4, s3
	s_mul_i32 s3, s3, s24
	s_add_i32 s20, s3, s2
	s_cmp_ge_u32 s20, s5
	s_cbranch_scc1 .LBB528_138
; %bb.1:
	s_load_dwordx2 s[4:5], s[0:1], 0x50
	s_load_dwordx4 s[12:15], s[0:1], 0x8
	s_load_dwordx4 s[8:11], s[0:1], 0x28
	s_mov_b32 s21, 0
	s_lshl_b64 s[6:7], s[20:21], 3
	s_waitcnt lgkmcnt(0)
	s_add_u32 s4, s4, s6
	s_addc_u32 s5, s5, s7
	v_mov_b32_e32 v1, s10
	v_alignbit_b32 v1, s11, v1, 9
	v_and_b32_e32 v1, -2, v1
	v_sub_u32_e32 v1, 0, v1
	s_load_dwordx4 s[16:19], s[4:5], 0x0
	v_and_b32_e32 v2, s20, v1
	v_mov_b32_e32 v3, 0
	v_lshlrev_b64 v[6:7], 10, v[2:3]
	s_lshl_b64 s[6:7], s[20:21], 10
	v_mov_b32_e32 v5, s7
	v_sub_co_u32_e32 v4, vcc, s6, v6
	v_lshlrev_b64 v[2:3], 11, v[2:3]
	s_nop 0
	v_subb_co_u32_e32 v5, vcc, v5, v7, vcc
	v_lshl_add_u64 v[8:9], v[2:3], 0, s[10:11]
	v_lshl_add_u64 v[2:3], v[8:9], 0, v[4:5]
	s_waitcnt lgkmcnt(0)
	v_mov_b32_e32 v5, s19
	v_subrev_co_u32_e32 v4, vcc, s18, v2
	s_mov_b64 s[4:5], 0x400
	s_nop 0
	v_subb_co_u32_e32 v5, vcc, v3, v5, vcc
	v_or_b32_e32 v1, s20, v1
	v_lshl_add_u64 v[10:11], v[4:5], 0, s[4:5]
	v_cmp_ne_u32_e32 vcc, -1, v1
	v_cmp_lt_u64_e64 s[4:5], s[8:9], v[10:11]
	s_cbranch_vccz .LBB528_3
; %bb.2:
	v_mov_b32_e32 v1, s8
	v_mov_b64_e32 v[4:5], s[18:19]
	v_cndmask_b32_e64 v6, v10, v1, s[4:5]
	s_branch .LBB528_4
.LBB528_3:
	v_sub_co_u32_e32 v6, vcc, v8, v6
	v_mov_b32_e32 v1, s8
	s_nop 0
	v_subb_co_u32_e32 v7, vcc, v9, v7, vcc
	v_cmp_lt_u64_e32 vcc, s[8:9], v[6:7]
	s_nop 1
	v_cndmask_b32_e32 v4, v6, v1, vcc
	v_lshl_add_u64 v[6:7], v[6:7], 0, s[10:11]
	v_cmp_lt_u64_e32 vcc, s[8:9], v[6:7]
	s_nop 1
	v_cndmask_b32_e32 v6, v6, v1, vcc
.LBB528_4:
	s_lshr_b64 s[18:19], s[8:9], 10
	s_cmp_lg_u64 s[18:19], s[20:21]
	s_cselect_b64 s[10:11], -1, 0
	s_lshl_b64 s[4:5], s[16:17], 3
	s_add_u32 s4, s12, s4
	s_addc_u32 s5, s13, s5
	s_cmp_lt_u32 s2, s24
	v_mov_b32_e32 v19, 0
	s_cselect_b32 s2, 12, 18
	global_load_dword v5, v19, s[22:23] offset:14
	s_add_u32 s2, s22, s2
	s_addc_u32 s3, s23, 0
	global_load_ushort v7, v19, s[2:3]
	v_mov_b32_e32 v8, s17
	v_subrev_co_u32_e32 v2, vcc, s16, v2
	v_mov_b32_e32 v9, s9
	s_nop 0
	v_subb_co_u32_e32 v3, vcc, v3, v8, vcc
	v_mov_b32_e32 v10, s8
	v_cmp_lt_u64_e32 vcc, s[8:9], v[2:3]
	v_subrev_u32_e32 v1, s16, v4
	s_cmp_eq_u64 s[18:19], s[20:21]
	v_cndmask_b32_e32 v3, v3, v9, vcc
	v_cndmask_b32_e32 v2, v2, v10, vcc
	v_sub_u32_e32 v25, v6, v2
	v_lshlrev_b64 v[2:3], 3, v[2:3]
	v_lshl_add_u64 v[20:21], s[12:13], 0, v[2:3]
	v_lshlrev_b32_e32 v18, 3, v0
	s_waitcnt vmcnt(1)
	v_lshrrev_b32_e32 v2, 16, v5
	v_and_b32_e32 v3, 0xffff, v5
	v_mul_lo_u32 v2, v3, v2
	s_waitcnt vmcnt(0)
	v_mul_lo_u32 v26, v2, v7
	s_cbranch_scc1 .LBB528_6
; %bb.5:
	v_sub_u32_e32 v4, v0, v1
	v_mov_b32_e32 v5, v19
	v_add_u32_e32 v6, v26, v0
	v_lshl_add_u64 v[2:3], s[4:5], 0, v[18:19]
	v_lshl_add_u64 v[4:5], v[4:5], 3, v[20:21]
	v_cmp_lt_u32_e32 vcc, v0, v1
	v_mov_b32_e32 v7, v19
	v_sub_u32_e32 v8, v6, v1
	v_mov_b32_e32 v9, v19
	v_cndmask_b32_e32 v3, v5, v3, vcc
	v_cndmask_b32_e32 v2, v4, v2, vcc
	v_lshl_add_u64 v[4:5], v[6:7], 3, s[4:5]
	v_lshl_add_u64 v[8:9], v[8:9], 3, v[20:21]
	v_cmp_lt_u32_e32 vcc, v6, v1
	v_mov_b32_e32 v11, v19
	v_mov_b32_e32 v13, v19
	v_cndmask_b32_e32 v4, v8, v4, vcc
	v_add_u32_e32 v8, v6, v26
	v_cndmask_b32_e32 v5, v9, v5, vcc
	v_mov_b32_e32 v9, v19
	v_sub_u32_e32 v10, v8, v1
	v_lshl_add_u64 v[6:7], v[8:9], 3, s[4:5]
	v_lshl_add_u64 v[10:11], v[10:11], 3, v[20:21]
	v_cmp_lt_u32_e32 vcc, v8, v1
	v_mov_b32_e32 v15, v19
	v_mov_b32_e32 v17, v19
	v_cndmask_b32_e32 v6, v10, v6, vcc
	v_add_u32_e32 v10, v8, v26
	v_cndmask_b32_e32 v7, v11, v7, vcc
	v_mov_b32_e32 v11, v19
	v_sub_u32_e32 v12, v10, v1
	;; [unrolled: 10-line block ×3, first 2 shown]
	v_lshl_add_u64 v[10:11], v[12:13], 3, s[4:5]
	v_lshl_add_u64 v[14:15], v[14:15], 3, v[20:21]
	v_cmp_lt_u32_e32 vcc, v12, v1
	global_load_dwordx2 v[2:3], v[2:3], off
	v_add_u32_e32 v24, v1, v25
	v_cndmask_b32_e32 v10, v14, v10, vcc
	v_add_u32_e32 v14, v12, v26
	v_cndmask_b32_e32 v11, v15, v11, vcc
	v_mov_b32_e32 v15, v19
	v_sub_u32_e32 v16, v14, v1
	v_lshl_add_u64 v[12:13], v[14:15], 3, s[4:5]
	v_lshl_add_u64 v[16:17], v[16:17], 3, v[20:21]
	v_cmp_lt_u32_e32 vcc, v14, v1
	global_load_dwordx2 v[4:5], v[4:5], off
	s_nop 0
	v_cndmask_b32_e32 v13, v17, v13, vcc
	v_cndmask_b32_e32 v12, v16, v12, vcc
	v_add_u32_e32 v16, v14, v26
	v_mov_b32_e32 v17, v19
	v_lshl_add_u64 v[14:15], v[16:17], 3, s[4:5]
	v_sub_u32_e32 v22, v16, v1
	v_cmp_lt_u32_e32 vcc, v16, v1
	v_add_u32_e32 v16, v16, v26
	v_lshl_add_u64 v[22:23], v[22:23], 3, v[20:21]
	v_sub_u32_e32 v28, v16, v1
	v_cndmask_b32_e32 v15, v23, v15, vcc
	v_cndmask_b32_e32 v14, v22, v14, vcc
	v_lshl_add_u64 v[22:23], v[16:17], 3, s[4:5]
	v_lshl_add_u64 v[28:29], v[28:29], 3, v[20:21]
	v_cmp_lt_u32_e32 vcc, v16, v1
	global_load_dwordx2 v[6:7], v[6:7], off
	s_nop 0
	v_cndmask_b32_e32 v17, v29, v23, vcc
	v_cndmask_b32_e32 v16, v28, v22, vcc
	global_load_dwordx2 v[8:9], v[8:9], off
	s_nop 0
	global_load_dwordx2 v[10:11], v[10:11], off
	s_nop 0
	;; [unrolled: 2-line block ×4, first 2 shown]
	global_load_dwordx2 v[16:17], v[16:17], off
	s_cbranch_execz .LBB528_7
	s_branch .LBB528_24
.LBB528_6:
                                        ; implicit-def: $vgpr2_vgpr3_vgpr4_vgpr5_vgpr6_vgpr7_vgpr8_vgpr9_vgpr10_vgpr11_vgpr12_vgpr13_vgpr14_vgpr15_vgpr16_vgpr17
                                        ; implicit-def: $vgpr24
.LBB528_7:
	v_add_u32_e32 v24, v1, v25
	v_cmp_lt_u32_e32 vcc, v0, v24
                                        ; implicit-def: $vgpr2_vgpr3_vgpr4_vgpr5_vgpr6_vgpr7_vgpr8_vgpr9_vgpr10_vgpr11_vgpr12_vgpr13_vgpr14_vgpr15_vgpr16_vgpr17
	s_and_saveexec_b64 s[2:3], vcc
	s_cbranch_execz .LBB528_9
; %bb.8:
	v_mov_b32_e32 v19, 0
	s_waitcnt vmcnt(6)
	v_sub_u32_e32 v4, v0, v1
	v_mov_b32_e32 v5, v19
	v_lshl_add_u64 v[2:3], s[4:5], 0, v[18:19]
	v_lshl_add_u64 v[4:5], v[4:5], 3, v[20:21]
	v_cmp_lt_u32_e32 vcc, v0, v1
	s_nop 1
	v_cndmask_b32_e32 v3, v5, v3, vcc
	v_cndmask_b32_e32 v2, v4, v2, vcc
	global_load_dwordx2 v[2:3], v[2:3], off
.LBB528_9:
	s_or_b64 exec, exec, s[2:3]
	v_add_u32_e32 v22, v26, v0
	v_cmp_lt_u32_e32 vcc, v22, v24
	s_and_saveexec_b64 s[2:3], vcc
	s_cbranch_execz .LBB528_11
; %bb.10:
	v_mov_b32_e32 v23, 0
	v_sub_u32_e32 v28, v22, v1
	v_mov_b32_e32 v29, v23
	s_waitcnt vmcnt(6)
	v_lshl_add_u64 v[4:5], v[22:23], 3, s[4:5]
	v_lshl_add_u64 v[28:29], v[28:29], 3, v[20:21]
	v_cmp_lt_u32_e32 vcc, v22, v1
	s_nop 1
	v_cndmask_b32_e32 v5, v29, v5, vcc
	v_cndmask_b32_e32 v4, v28, v4, vcc
	global_load_dwordx2 v[4:5], v[4:5], off
.LBB528_11:
	s_or_b64 exec, exec, s[2:3]
	v_add_u32_e32 v22, v22, v26
	v_cmp_lt_u32_e32 vcc, v22, v24
	s_and_saveexec_b64 s[2:3], vcc
	s_cbranch_execz .LBB528_13
; %bb.12:
	v_mov_b32_e32 v23, 0
	v_sub_u32_e32 v28, v22, v1
	v_mov_b32_e32 v29, v23
	s_waitcnt vmcnt(5)
	v_lshl_add_u64 v[6:7], v[22:23], 3, s[4:5]
	v_lshl_add_u64 v[28:29], v[28:29], 3, v[20:21]
	v_cmp_lt_u32_e32 vcc, v22, v1
	s_nop 1
	v_cndmask_b32_e32 v7, v29, v7, vcc
	v_cndmask_b32_e32 v6, v28, v6, vcc
	global_load_dwordx2 v[6:7], v[6:7], off
.LBB528_13:
	s_or_b64 exec, exec, s[2:3]
	v_add_u32_e32 v22, v22, v26
	v_cmp_lt_u32_e32 vcc, v22, v24
	s_and_saveexec_b64 s[2:3], vcc
	s_cbranch_execz .LBB528_15
; %bb.14:
	v_mov_b32_e32 v23, 0
	v_sub_u32_e32 v28, v22, v1
	v_mov_b32_e32 v29, v23
	s_waitcnt vmcnt(4)
	v_lshl_add_u64 v[8:9], v[22:23], 3, s[4:5]
	v_lshl_add_u64 v[28:29], v[28:29], 3, v[20:21]
	v_cmp_lt_u32_e32 vcc, v22, v1
	s_nop 1
	v_cndmask_b32_e32 v9, v29, v9, vcc
	v_cndmask_b32_e32 v8, v28, v8, vcc
	global_load_dwordx2 v[8:9], v[8:9], off
.LBB528_15:
	s_or_b64 exec, exec, s[2:3]
	v_add_u32_e32 v22, v22, v26
	v_cmp_lt_u32_e32 vcc, v22, v24
	s_and_saveexec_b64 s[2:3], vcc
	s_cbranch_execz .LBB528_17
; %bb.16:
	v_mov_b32_e32 v23, 0
	v_sub_u32_e32 v28, v22, v1
	v_mov_b32_e32 v29, v23
	s_waitcnt vmcnt(3)
	v_lshl_add_u64 v[10:11], v[22:23], 3, s[4:5]
	v_lshl_add_u64 v[28:29], v[28:29], 3, v[20:21]
	v_cmp_lt_u32_e32 vcc, v22, v1
	s_nop 1
	v_cndmask_b32_e32 v11, v29, v11, vcc
	v_cndmask_b32_e32 v10, v28, v10, vcc
	global_load_dwordx2 v[10:11], v[10:11], off
.LBB528_17:
	s_or_b64 exec, exec, s[2:3]
	v_add_u32_e32 v22, v22, v26
	v_cmp_lt_u32_e32 vcc, v22, v24
	s_and_saveexec_b64 s[2:3], vcc
	s_cbranch_execz .LBB528_19
; %bb.18:
	v_mov_b32_e32 v23, 0
	v_sub_u32_e32 v28, v22, v1
	v_mov_b32_e32 v29, v23
	s_waitcnt vmcnt(2)
	v_lshl_add_u64 v[12:13], v[22:23], 3, s[4:5]
	v_lshl_add_u64 v[28:29], v[28:29], 3, v[20:21]
	v_cmp_lt_u32_e32 vcc, v22, v1
	s_nop 1
	v_cndmask_b32_e32 v13, v29, v13, vcc
	v_cndmask_b32_e32 v12, v28, v12, vcc
	global_load_dwordx2 v[12:13], v[12:13], off
.LBB528_19:
	s_or_b64 exec, exec, s[2:3]
	v_add_u32_e32 v22, v22, v26
	v_cmp_lt_u32_e32 vcc, v22, v24
	s_and_saveexec_b64 s[2:3], vcc
	s_cbranch_execz .LBB528_21
; %bb.20:
	v_mov_b32_e32 v23, 0
	v_sub_u32_e32 v28, v22, v1
	v_mov_b32_e32 v29, v23
	s_waitcnt vmcnt(1)
	v_lshl_add_u64 v[14:15], v[22:23], 3, s[4:5]
	v_lshl_add_u64 v[28:29], v[28:29], 3, v[20:21]
	v_cmp_lt_u32_e32 vcc, v22, v1
	s_nop 1
	v_cndmask_b32_e32 v15, v29, v15, vcc
	v_cndmask_b32_e32 v14, v28, v14, vcc
	global_load_dwordx2 v[14:15], v[14:15], off
.LBB528_21:
	s_or_b64 exec, exec, s[2:3]
	v_add_u32_e32 v22, v22, v26
	v_cmp_lt_u32_e32 vcc, v22, v24
	s_and_saveexec_b64 s[2:3], vcc
	s_cbranch_execz .LBB528_23
; %bb.22:
	v_mov_b32_e32 v23, 0
	s_waitcnt vmcnt(0)
	v_lshl_add_u64 v[16:17], v[22:23], 3, s[4:5]
	v_cmp_lt_u32_e32 vcc, v22, v1
	v_sub_u32_e32 v22, v22, v1
	v_lshl_add_u64 v[20:21], v[22:23], 3, v[20:21]
	v_cndmask_b32_e32 v17, v21, v17, vcc
	v_cndmask_b32_e32 v16, v20, v16, vcc
	global_load_dwordx2 v[16:17], v[16:17], off
.LBB528_23:
	s_or_b64 exec, exec, s[2:3]
.LBB528_24:
	s_load_dwordx4 s[16:19], s[0:1], 0x40
	v_min_u32_e32 v19, v24, v18
	v_sub_u32_e64 v25, v19, v25 clamp
	v_min_u32_e32 v26, v19, v1
	v_cmp_lt_u32_e32 vcc, v25, v26
	s_waitcnt vmcnt(0)
	ds_write2st64_b64 v18, v[2:3], v[4:5] offset1:2
	ds_write2st64_b64 v18, v[6:7], v[8:9] offset0:4 offset1:6
	ds_write2st64_b64 v18, v[10:11], v[12:13] offset0:8 offset1:10
	;; [unrolled: 1-line block ×3, first 2 shown]
	s_waitcnt lgkmcnt(0)
	s_barrier
	s_and_saveexec_b64 s[12:13], vcc
	s_cbranch_execz .LBB528_34
; %bb.25:
	v_lshlrev_b32_e32 v20, 3, v19
	v_cmp_gt_i64_e64 s[0:1], s[16:17], 0
	v_lshl_add_u32 v27, v1, 3, v20
	s_mov_b64 s[20:21], 0
	v_cndmask_b32_e64 v20, 0, 1, s[0:1]
	s_lshl_b64 s[22:23], s[16:17], 3
	v_cmp_ne_u32_e64 s[0:1], 1, v20
	s_branch .LBB528_28
.LBB528_26:                             ;   in Loop: Header=BB528_28 Depth=1
	s_or_b64 exec, exec, s[26:27]
.LBB528_27:                             ;   in Loop: Header=BB528_28 Depth=1
	v_add_u32_e32 v20, 1, v28
	v_cndmask_b32_e64 v26, v26, v28, s[24:25]
	v_cndmask_b32_e64 v25, v20, v25, s[24:25]
	v_cmp_ge_u32_e32 vcc, v25, v26
	s_or_b64 s[20:21], vcc, s[20:21]
	s_andn2_b64 exec, exec, s[20:21]
	s_cbranch_execz .LBB528_33
.LBB528_28:                             ; =>This Loop Header: Depth=1
                                        ;     Child Loop BB528_31 Depth 2
	v_add_u32_e32 v20, v26, v25
	v_lshrrev_b32_e32 v28, 1, v20
	s_and_b64 vcc, exec, s[0:1]
	s_mov_b64 s[24:25], 0
	s_cbranch_vccnz .LBB528_27
; %bb.29:                               ;   in Loop: Header=BB528_28 Depth=1
	v_not_b32_e32 v20, v28
	v_lshl_add_u32 v20, v20, 3, v27
	ds_read_b64 v[20:21], v20
	v_lshlrev_b32_e32 v29, 3, v28
	ds_read_b64 v[30:31], v29
	v_mov_b64_e32 v[22:23], s[18:19]
	s_mov_b64 s[26:27], 0
	s_waitcnt lgkmcnt(1)
	v_mul_lo_u32 v29, s22, v21
	v_mul_lo_u32 v32, s23, v20
	v_mad_u64_u32 v[20:21], s[2:3], s22, v20, v[22:23]
	v_add3_u32 v21, v32, v21, v29
	s_waitcnt lgkmcnt(0)
	v_mul_lo_u32 v29, s22, v31
	v_mul_lo_u32 v31, s23, v30
	v_mad_u64_u32 v[22:23], s[2:3], s22, v30, v[22:23]
	v_add3_u32 v23, v31, v23, v29
	s_mov_b64 s[34:35], s[16:17]
                                        ; implicit-def: $sgpr24_sgpr25
                                        ; implicit-def: $sgpr28_sgpr29
                                        ; implicit-def: $sgpr30_sgpr31
                                        ; implicit-def: $sgpr2_sgpr3
                                        ; implicit-def: $sgpr36_sgpr37
	s_branch .LBB528_31
.LBB528_30:                             ;   in Loop: Header=BB528_31 Depth=2
	s_or_b64 exec, exec, s[38:39]
	s_and_b64 s[4:5], exec, s[28:29]
	s_or_b64 s[26:27], s[4:5], s[26:27]
	s_andn2_b64 s[4:5], s[36:37], exec
	s_and_b64 s[36:37], s[30:31], exec
	s_or_b64 s[36:37], s[4:5], s[36:37]
	s_andn2_b64 s[4:5], s[24:25], exec
	s_and_b64 s[24:25], s[2:3], exec
	s_or_b64 s[24:25], s[4:5], s[24:25]
	s_andn2_b64 exec, exec, s[26:27]
	s_cbranch_execz .LBB528_26
.LBB528_31:                             ;   Parent Loop BB528_28 Depth=1
                                        ; =>  This Inner Loop Header: Depth=2
	global_load_dwordx2 v[30:31], v[20:21], off
	global_load_dwordx2 v[32:33], v[22:23], off
	s_andn2_b64 s[38:39], s[2:3], exec
	s_andn2_b64 s[30:31], s[30:31], exec
	s_or_b64 s[28:29], s[28:29], exec
	s_waitcnt vmcnt(0)
	v_cmp_le_i64_e64 s[2:3], v[30:31], v[32:33]
	v_cmp_lt_i64_e32 vcc, v[30:31], v[32:33]
	s_and_b64 s[2:3], s[2:3], s[36:37]
	s_or_b64 s[40:41], vcc, s[2:3]
	s_and_b64 s[2:3], s[40:41], exec
	v_cmp_eq_u64_e64 s[4:5], v[30:31], v[32:33]
	s_or_b64 s[2:3], s[38:39], s[2:3]
	s_and_saveexec_b64 s[38:39], s[4:5]
	s_cbranch_execz .LBB528_30
; %bb.32:                               ;   in Loop: Header=BB528_31 Depth=2
	s_add_u32 s34, s34, -1
	s_addc_u32 s35, s35, -1
	s_cmp_eq_u64 s[34:35], 0
	s_cselect_b64 s[4:5], -1, 0
	s_andn2_b64 s[30:31], s[30:31], exec
	s_and_b64 s[36:37], s[40:41], exec
	s_andn2_b64 s[28:29], s[28:29], exec
	s_and_b64 s[4:5], s[4:5], exec
	v_lshl_add_u64 v[20:21], v[20:21], 0, 8
	v_lshl_add_u64 v[22:23], v[22:23], 0, 8
	s_andn2_b64 s[2:3], s[2:3], exec
	s_or_b64 s[30:31], s[30:31], s[36:37]
	s_or_b64 s[28:29], s[28:29], s[4:5]
                                        ; implicit-def: $sgpr36_sgpr37
	s_branch .LBB528_30
.LBB528_33:
	s_or_b64 exec, exec, s[20:21]
.LBB528_34:
	s_or_b64 exec, exec, s[12:13]
	v_sub_u32_e32 v19, v19, v25
	v_add_u32_e32 v21, v19, v1
	v_cmp_le_u32_e32 vcc, v25, v1
	v_cmp_le_u32_e64 s[0:1], v21, v24
	s_or_b64 s[0:1], vcc, s[0:1]
	s_and_saveexec_b64 s[4:5], s[0:1]
	s_cbranch_execz .LBB528_124
; %bb.35:
	v_cmp_ge_u32_e32 vcc, v25, v1
	v_cmp_lt_u32_e64 s[0:1], v25, v1
                                        ; implicit-def: $vgpr2_vgpr3
	s_and_saveexec_b64 s[2:3], s[0:1]
	s_cbranch_execz .LBB528_37
; %bb.36:
	v_lshlrev_b32_e32 v2, 3, v25
	ds_read_b64 v[2:3], v2
.LBB528_37:
	s_or_b64 exec, exec, s[2:3]
	v_cmp_ge_u32_e64 s[20:21], v21, v24
	v_cmp_lt_u32_e64 s[0:1], v21, v24
                                        ; implicit-def: $vgpr14_vgpr15
	s_and_saveexec_b64 s[2:3], s[0:1]
	s_cbranch_execz .LBB528_39
; %bb.38:
	v_lshlrev_b32_e32 v4, 3, v21
	ds_read_b64 v[14:15], v4
.LBB528_39:
	s_or_b64 exec, exec, s[2:3]
	s_or_b64 s[0:1], vcc, s[20:21]
	s_mov_b64 s[24:25], 0
	v_cmp_gt_i64_e64 s[12:13], s[16:17], 0
	s_xor_b64 s[0:1], s[0:1], -1
	s_and_saveexec_b64 s[22:23], s[0:1]
	s_cbranch_execz .LBB528_47
; %bb.40:
	s_andn2_b64 vcc, exec, s[12:13]
	s_cbranch_vccnz .LBB528_46
; %bb.41:
	s_waitcnt lgkmcnt(0)
	v_mul_lo_u32 v6, v15, s16
	v_mul_lo_u32 v7, v14, s17
	v_mad_u64_u32 v[4:5], s[0:1], v14, s16, 0
	v_add3_u32 v5, v5, v7, v6
	v_mul_lo_u32 v8, v3, s16
	v_mul_lo_u32 v9, v2, s17
	v_mad_u64_u32 v[6:7], s[0:1], v2, s16, 0
	v_add3_u32 v7, v7, v9, v8
	v_lshl_add_u64 v[4:5], v[4:5], 3, s[18:19]
	v_lshl_add_u64 v[6:7], v[6:7], 3, s[18:19]
	s_mov_b64 s[26:27], 0
	s_mov_b64 s[34:35], s[16:17]
                                        ; implicit-def: $sgpr24_sgpr25
                                        ; implicit-def: $sgpr28_sgpr29
                                        ; implicit-def: $sgpr30_sgpr31
                                        ; implicit-def: $sgpr0_sgpr1
                                        ; implicit-def: $sgpr36_sgpr37
	s_branch .LBB528_43
.LBB528_42:                             ;   in Loop: Header=BB528_43 Depth=1
	s_or_b64 exec, exec, s[38:39]
	s_and_b64 s[2:3], exec, s[28:29]
	s_or_b64 s[26:27], s[2:3], s[26:27]
	s_andn2_b64 s[2:3], s[36:37], exec
	s_and_b64 s[36:37], s[30:31], exec
	s_or_b64 s[36:37], s[2:3], s[36:37]
	s_andn2_b64 s[2:3], s[24:25], exec
	s_and_b64 s[24:25], s[0:1], exec
	s_or_b64 s[24:25], s[2:3], s[24:25]
	s_andn2_b64 exec, exec, s[26:27]
	s_cbranch_execz .LBB528_45
.LBB528_43:                             ; =>This Inner Loop Header: Depth=1
	global_load_dwordx2 v[8:9], v[4:5], off
	global_load_dwordx2 v[10:11], v[6:7], off
	s_andn2_b64 s[38:39], s[0:1], exec
	s_andn2_b64 s[30:31], s[30:31], exec
	s_or_b64 s[28:29], s[28:29], exec
	s_waitcnt vmcnt(0)
	v_cmp_le_i64_e64 s[0:1], v[8:9], v[10:11]
	v_cmp_lt_i64_e32 vcc, v[8:9], v[10:11]
	s_and_b64 s[0:1], s[0:1], s[36:37]
	s_or_b64 s[40:41], vcc, s[0:1]
	s_and_b64 s[0:1], s[40:41], exec
	v_cmp_eq_u64_e64 s[2:3], v[8:9], v[10:11]
	s_or_b64 s[0:1], s[38:39], s[0:1]
	s_and_saveexec_b64 s[38:39], s[2:3]
	s_cbranch_execz .LBB528_42
; %bb.44:                               ;   in Loop: Header=BB528_43 Depth=1
	s_add_u32 s34, s34, -1
	s_addc_u32 s35, s35, -1
	s_cmp_eq_u64 s[34:35], 0
	s_cselect_b64 s[2:3], -1, 0
	s_andn2_b64 s[30:31], s[30:31], exec
	s_and_b64 s[36:37], s[40:41], exec
	s_andn2_b64 s[28:29], s[28:29], exec
	s_and_b64 s[2:3], s[2:3], exec
	v_lshl_add_u64 v[4:5], v[4:5], 0, 8
	v_lshl_add_u64 v[6:7], v[6:7], 0, 8
	s_andn2_b64 s[0:1], s[0:1], exec
	s_or_b64 s[30:31], s[30:31], s[36:37]
	s_or_b64 s[28:29], s[28:29], s[2:3]
                                        ; implicit-def: $sgpr36_sgpr37
	s_branch .LBB528_42
.LBB528_45:
	s_or_b64 exec, exec, s[26:27]
.LBB528_46:
	s_xor_b64 s[0:1], s[24:25], -1
	s_andn2_b64 s[2:3], s[20:21], exec
	s_and_b64 s[0:1], s[0:1], exec
	s_or_b64 s[20:21], s[2:3], s[0:1]
.LBB528_47:
	s_or_b64 exec, exec, s[22:23]
	v_cndmask_b32_e64 v4, v21, v25, s[20:21]
	v_cndmask_b32_e64 v5, v24, v1, s[20:21]
	v_add_u32_e32 v6, 1, v4
	v_add_u32_e32 v4, -1, v5
	v_min_u32_e32 v4, v6, v4
	v_lshlrev_b32_e32 v4, 3, v4
	ds_read_b64 v[4:5], v4
	v_cndmask_b32_e64 v8, v6, v21, s[20:21]
	v_cndmask_b32_e64 v9, v25, v6, s[20:21]
	v_cmp_lt_u32_e32 vcc, v8, v24
	s_mov_b64 s[24:25], -1
	s_waitcnt lgkmcnt(0)
	v_cndmask_b32_e64 v16, v5, v15, s[20:21]
	v_cndmask_b32_e64 v17, v4, v14, s[20:21]
	v_cndmask_b32_e64 v19, v3, v5, s[20:21]
	v_cndmask_b32_e64 v20, v2, v4, s[20:21]
	s_mov_b64 s[22:23], -1
	s_and_saveexec_b64 s[26:27], vcc
	s_cbranch_execz .LBB528_58
; %bb.48:
	v_cmp_lt_u32_e32 vcc, v9, v1
	s_mov_b64 s[0:1], 0
	s_and_saveexec_b64 s[22:23], vcc
	s_cbranch_execz .LBB528_57
; %bb.49:
	s_andn2_b64 vcc, exec, s[12:13]
	s_cbranch_vccnz .LBB528_55
; %bb.50:
	v_mul_lo_u32 v6, v16, s16
	v_mul_lo_u32 v7, v17, s17
	v_mad_u64_u32 v[4:5], s[0:1], v17, s16, 0
	v_add3_u32 v5, v5, v7, v6
	v_mul_lo_u32 v10, v19, s16
	v_mul_lo_u32 v11, v20, s17
	v_mad_u64_u32 v[6:7], s[0:1], v20, s16, 0
	v_add3_u32 v7, v7, v11, v10
	v_lshl_add_u64 v[4:5], v[4:5], 3, s[18:19]
	v_lshl_add_u64 v[6:7], v[6:7], 3, s[18:19]
	s_mov_b64 s[30:31], 0
	s_mov_b64 s[38:39], s[16:17]
                                        ; implicit-def: $sgpr28_sgpr29
                                        ; implicit-def: $sgpr34_sgpr35
                                        ; implicit-def: $sgpr36_sgpr37
                                        ; implicit-def: $sgpr0_sgpr1
                                        ; implicit-def: $sgpr40_sgpr41
	s_branch .LBB528_52
.LBB528_51:                             ;   in Loop: Header=BB528_52 Depth=1
	s_or_b64 exec, exec, s[42:43]
	s_and_b64 s[2:3], exec, s[34:35]
	s_or_b64 s[30:31], s[2:3], s[30:31]
	s_andn2_b64 s[2:3], s[40:41], exec
	s_and_b64 s[40:41], s[36:37], exec
	s_or_b64 s[40:41], s[2:3], s[40:41]
	s_andn2_b64 s[2:3], s[28:29], exec
	s_and_b64 s[28:29], s[0:1], exec
	s_or_b64 s[28:29], s[2:3], s[28:29]
	s_andn2_b64 exec, exec, s[30:31]
	s_cbranch_execz .LBB528_54
.LBB528_52:                             ; =>This Inner Loop Header: Depth=1
	global_load_dwordx2 v[10:11], v[4:5], off
	global_load_dwordx2 v[12:13], v[6:7], off
	s_andn2_b64 s[42:43], s[0:1], exec
	s_andn2_b64 s[36:37], s[36:37], exec
	s_or_b64 s[34:35], s[34:35], exec
	s_waitcnt vmcnt(0)
	v_cmp_le_i64_e64 s[0:1], v[10:11], v[12:13]
	v_cmp_lt_i64_e32 vcc, v[10:11], v[12:13]
	s_and_b64 s[0:1], s[0:1], s[40:41]
	s_or_b64 s[44:45], vcc, s[0:1]
	s_and_b64 s[0:1], s[44:45], exec
	v_cmp_eq_u64_e64 s[2:3], v[10:11], v[12:13]
	s_or_b64 s[0:1], s[42:43], s[0:1]
	s_and_saveexec_b64 s[42:43], s[2:3]
	s_cbranch_execz .LBB528_51
; %bb.53:                               ;   in Loop: Header=BB528_52 Depth=1
	s_add_u32 s38, s38, -1
	s_addc_u32 s39, s39, -1
	s_cmp_eq_u64 s[38:39], 0
	s_cselect_b64 s[2:3], -1, 0
	s_andn2_b64 s[36:37], s[36:37], exec
	s_and_b64 s[40:41], s[44:45], exec
	s_andn2_b64 s[34:35], s[34:35], exec
	s_and_b64 s[2:3], s[2:3], exec
	v_lshl_add_u64 v[4:5], v[4:5], 0, 8
	v_lshl_add_u64 v[6:7], v[6:7], 0, 8
	s_andn2_b64 s[0:1], s[0:1], exec
	s_or_b64 s[36:37], s[36:37], s[40:41]
	s_or_b64 s[34:35], s[34:35], s[2:3]
                                        ; implicit-def: $sgpr40_sgpr41
	s_branch .LBB528_51
.LBB528_54:
	s_or_b64 exec, exec, s[30:31]
	s_branch .LBB528_56
.LBB528_55:
	s_mov_b64 s[28:29], 0
.LBB528_56:
	s_xor_b64 s[0:1], s[28:29], -1
	s_and_b64 s[0:1], s[0:1], exec
.LBB528_57:
	s_or_b64 exec, exec, s[22:23]
	s_orn2_b64 s[22:23], s[0:1], exec
.LBB528_58:
	s_or_b64 exec, exec, s[26:27]
	v_cndmask_b32_e64 v4, v8, v9, s[22:23]
	v_cndmask_b32_e64 v5, v24, v1, s[22:23]
	v_add_u32_e32 v6, 1, v4
	v_add_u32_e32 v4, -1, v5
	v_min_u32_e32 v4, v6, v4
	v_lshlrev_b32_e32 v4, 3, v4
	ds_read_b64 v[4:5], v4
	v_cndmask_b32_e64 v10, v6, v8, s[22:23]
	v_cndmask_b32_e64 v11, v9, v6, s[22:23]
	v_cmp_lt_u32_e32 vcc, v10, v24
	s_waitcnt lgkmcnt(0)
	v_cndmask_b32_e64 v21, v5, v16, s[22:23]
	v_cndmask_b32_e64 v22, v4, v17, s[22:23]
	;; [unrolled: 1-line block ×4, first 2 shown]
	s_and_saveexec_b64 s[26:27], vcc
	s_cbranch_execz .LBB528_69
; %bb.59:
	v_cmp_lt_u32_e32 vcc, v11, v1
	s_mov_b64 s[0:1], 0
	s_and_saveexec_b64 s[24:25], vcc
	s_cbranch_execz .LBB528_68
; %bb.60:
	s_andn2_b64 vcc, exec, s[12:13]
	s_cbranch_vccnz .LBB528_66
; %bb.61:
	v_mul_lo_u32 v6, v21, s16
	v_mul_lo_u32 v7, v22, s17
	v_mad_u64_u32 v[4:5], s[0:1], v22, s16, 0
	v_add3_u32 v5, v5, v7, v6
	v_mul_lo_u32 v8, v23, s16
	v_mul_lo_u32 v9, v25, s17
	v_mad_u64_u32 v[6:7], s[0:1], v25, s16, 0
	v_add3_u32 v7, v7, v9, v8
	v_lshl_add_u64 v[4:5], v[4:5], 3, s[18:19]
	v_lshl_add_u64 v[6:7], v[6:7], 3, s[18:19]
	s_mov_b64 s[30:31], 0
	s_mov_b64 s[38:39], s[16:17]
                                        ; implicit-def: $sgpr28_sgpr29
                                        ; implicit-def: $sgpr34_sgpr35
                                        ; implicit-def: $sgpr36_sgpr37
                                        ; implicit-def: $sgpr0_sgpr1
                                        ; implicit-def: $sgpr40_sgpr41
	s_branch .LBB528_63
.LBB528_62:                             ;   in Loop: Header=BB528_63 Depth=1
	s_or_b64 exec, exec, s[42:43]
	s_and_b64 s[2:3], exec, s[34:35]
	s_or_b64 s[30:31], s[2:3], s[30:31]
	s_andn2_b64 s[2:3], s[40:41], exec
	s_and_b64 s[40:41], s[36:37], exec
	s_or_b64 s[40:41], s[2:3], s[40:41]
	s_andn2_b64 s[2:3], s[28:29], exec
	s_and_b64 s[28:29], s[0:1], exec
	s_or_b64 s[28:29], s[2:3], s[28:29]
	s_andn2_b64 exec, exec, s[30:31]
	s_cbranch_execz .LBB528_65
.LBB528_63:                             ; =>This Inner Loop Header: Depth=1
	global_load_dwordx2 v[8:9], v[4:5], off
	global_load_dwordx2 v[12:13], v[6:7], off
	s_andn2_b64 s[42:43], s[0:1], exec
	s_andn2_b64 s[36:37], s[36:37], exec
	s_or_b64 s[34:35], s[34:35], exec
	s_waitcnt vmcnt(0)
	v_cmp_le_i64_e64 s[0:1], v[8:9], v[12:13]
	v_cmp_lt_i64_e32 vcc, v[8:9], v[12:13]
	s_and_b64 s[0:1], s[0:1], s[40:41]
	s_or_b64 s[44:45], vcc, s[0:1]
	s_and_b64 s[0:1], s[44:45], exec
	v_cmp_eq_u64_e64 s[2:3], v[8:9], v[12:13]
	s_or_b64 s[0:1], s[42:43], s[0:1]
	s_and_saveexec_b64 s[42:43], s[2:3]
	s_cbranch_execz .LBB528_62
; %bb.64:                               ;   in Loop: Header=BB528_63 Depth=1
	s_add_u32 s38, s38, -1
	s_addc_u32 s39, s39, -1
	s_cmp_eq_u64 s[38:39], 0
	s_cselect_b64 s[2:3], -1, 0
	s_andn2_b64 s[36:37], s[36:37], exec
	s_and_b64 s[40:41], s[44:45], exec
	s_andn2_b64 s[34:35], s[34:35], exec
	s_and_b64 s[2:3], s[2:3], exec
	v_lshl_add_u64 v[4:5], v[4:5], 0, 8
	v_lshl_add_u64 v[6:7], v[6:7], 0, 8
	s_andn2_b64 s[0:1], s[0:1], exec
	s_or_b64 s[36:37], s[36:37], s[40:41]
	s_or_b64 s[34:35], s[34:35], s[2:3]
                                        ; implicit-def: $sgpr40_sgpr41
	s_branch .LBB528_62
.LBB528_65:
	s_or_b64 exec, exec, s[30:31]
	s_branch .LBB528_67
.LBB528_66:
	s_mov_b64 s[28:29], 0
.LBB528_67:
	s_xor_b64 s[0:1], s[28:29], -1
	s_and_b64 s[0:1], s[0:1], exec
.LBB528_68:
	s_or_b64 exec, exec, s[24:25]
	s_orn2_b64 s[24:25], s[0:1], exec
.LBB528_69:
	s_or_b64 exec, exec, s[26:27]
	v_cndmask_b32_e64 v4, v10, v11, s[24:25]
	v_cndmask_b32_e64 v5, v24, v1, s[24:25]
	v_add_u32_e32 v6, 1, v4
	v_add_u32_e32 v4, -1, v5
	v_min_u32_e32 v4, v6, v4
	v_lshlrev_b32_e32 v4, 3, v4
	ds_read_b64 v[4:5], v4
	v_cndmask_b32_e64 v12, v6, v10, s[24:25]
	v_cndmask_b32_e64 v13, v11, v6, s[24:25]
	v_cmp_lt_u32_e32 vcc, v12, v24
	s_mov_b64 s[28:29], -1
	s_waitcnt lgkmcnt(0)
	v_cndmask_b32_e64 v8, v5, v21, s[24:25]
	v_cndmask_b32_e64 v26, v4, v22, s[24:25]
	;; [unrolled: 1-line block ×4, first 2 shown]
	s_mov_b64 s[26:27], -1
	s_and_saveexec_b64 s[30:31], vcc
	s_cbranch_execz .LBB528_80
; %bb.70:
	v_cmp_lt_u32_e32 vcc, v13, v1
	s_mov_b64 s[0:1], 0
	s_and_saveexec_b64 s[26:27], vcc
	s_cbranch_execz .LBB528_79
; %bb.71:
	s_andn2_b64 vcc, exec, s[12:13]
	s_cbranch_vccnz .LBB528_77
; %bb.72:
	v_mul_lo_u32 v6, v8, s16
	v_mul_lo_u32 v7, v26, s17
	v_mad_u64_u32 v[4:5], s[0:1], v26, s16, 0
	v_add3_u32 v5, v5, v7, v6
	v_mul_lo_u32 v10, v9, s16
	v_mul_lo_u32 v11, v27, s17
	v_mad_u64_u32 v[6:7], s[0:1], v27, s16, 0
	v_add3_u32 v7, v7, v11, v10
	v_lshl_add_u64 v[4:5], v[4:5], 3, s[18:19]
	v_lshl_add_u64 v[6:7], v[6:7], 3, s[18:19]
	s_mov_b64 s[34:35], 0
	s_mov_b64 s[42:43], s[16:17]
                                        ; implicit-def: $sgpr36_sgpr37
                                        ; implicit-def: $sgpr38_sgpr39
                                        ; implicit-def: $sgpr0_sgpr1
                                        ; implicit-def: $sgpr40_sgpr41
                                        ; implicit-def: $sgpr44_sgpr45
	s_branch .LBB528_74
.LBB528_73:                             ;   in Loop: Header=BB528_74 Depth=1
	s_or_b64 exec, exec, s[46:47]
	s_and_b64 s[2:3], exec, s[38:39]
	s_or_b64 s[34:35], s[2:3], s[34:35]
	s_andn2_b64 s[2:3], s[44:45], exec
	s_and_b64 s[44:45], s[40:41], exec
	s_or_b64 s[44:45], s[2:3], s[44:45]
	s_andn2_b64 s[2:3], s[36:37], exec
	s_and_b64 s[36:37], s[0:1], exec
	s_or_b64 s[36:37], s[2:3], s[36:37]
	s_andn2_b64 exec, exec, s[34:35]
	s_cbranch_execz .LBB528_76
.LBB528_74:                             ; =>This Inner Loop Header: Depth=1
	global_load_dwordx2 v[10:11], v[4:5], off
	global_load_dwordx2 v[28:29], v[6:7], off
	s_andn2_b64 s[46:47], s[0:1], exec
	s_andn2_b64 s[40:41], s[40:41], exec
	s_or_b64 s[38:39], s[38:39], exec
	s_waitcnt vmcnt(0)
	v_cmp_le_i64_e64 s[0:1], v[10:11], v[28:29]
	v_cmp_lt_i64_e32 vcc, v[10:11], v[28:29]
	s_and_b64 s[0:1], s[0:1], s[44:45]
	s_or_b64 s[48:49], vcc, s[0:1]
	s_and_b64 s[0:1], s[48:49], exec
	v_cmp_eq_u64_e64 s[2:3], v[10:11], v[28:29]
	s_or_b64 s[0:1], s[46:47], s[0:1]
	s_and_saveexec_b64 s[46:47], s[2:3]
	s_cbranch_execz .LBB528_73
; %bb.75:                               ;   in Loop: Header=BB528_74 Depth=1
	s_add_u32 s42, s42, -1
	s_addc_u32 s43, s43, -1
	s_cmp_eq_u64 s[42:43], 0
	s_cselect_b64 s[2:3], -1, 0
	s_andn2_b64 s[40:41], s[40:41], exec
	s_and_b64 s[44:45], s[48:49], exec
	s_andn2_b64 s[38:39], s[38:39], exec
	s_and_b64 s[2:3], s[2:3], exec
	v_lshl_add_u64 v[4:5], v[4:5], 0, 8
	v_lshl_add_u64 v[6:7], v[6:7], 0, 8
	s_or_b64 s[40:41], s[40:41], s[44:45]
	s_andn2_b64 s[0:1], s[0:1], exec
	s_or_b64 s[38:39], s[38:39], s[2:3]
                                        ; implicit-def: $sgpr44_sgpr45
	s_branch .LBB528_73
.LBB528_76:
	s_or_b64 exec, exec, s[34:35]
	s_xor_b64 s[0:1], s[36:37], -1
	s_branch .LBB528_78
.LBB528_77:
	s_mov_b64 s[0:1], -1
.LBB528_78:
	s_and_b64 s[0:1], s[0:1], exec
.LBB528_79:
	s_or_b64 exec, exec, s[26:27]
	s_orn2_b64 s[26:27], s[0:1], exec
.LBB528_80:
	s_or_b64 exec, exec, s[30:31]
	v_cndmask_b32_e64 v4, v12, v13, s[26:27]
	v_cndmask_b32_e64 v5, v24, v1, s[26:27]
	v_add_u32_e32 v6, 1, v4
	v_add_u32_e32 v4, -1, v5
	v_min_u32_e32 v4, v6, v4
	v_lshlrev_b32_e32 v4, 3, v4
	ds_read_b64 v[4:5], v4
	v_cndmask_b32_e64 v32, v6, v12, s[26:27]
	v_cndmask_b32_e64 v33, v13, v6, s[26:27]
	v_cmp_lt_u32_e32 vcc, v32, v24
	s_waitcnt lgkmcnt(0)
	v_cndmask_b32_e64 v10, v5, v8, s[26:27]
	v_cndmask_b32_e64 v28, v4, v26, s[26:27]
	;; [unrolled: 1-line block ×4, first 2 shown]
	s_and_saveexec_b64 s[30:31], vcc
	s_cbranch_execz .LBB528_91
; %bb.81:
	v_cmp_lt_u32_e32 vcc, v33, v1
	s_mov_b64 s[0:1], 0
	s_and_saveexec_b64 s[28:29], vcc
	s_cbranch_execz .LBB528_90
; %bb.82:
	s_andn2_b64 vcc, exec, s[12:13]
	s_cbranch_vccnz .LBB528_88
; %bb.83:
	v_mul_lo_u32 v6, v10, s16
	v_mul_lo_u32 v7, v28, s17
	v_mad_u64_u32 v[4:5], s[0:1], v28, s16, 0
	v_add3_u32 v5, v5, v7, v6
	v_mul_lo_u32 v12, v11, s16
	v_mul_lo_u32 v13, v29, s17
	v_mad_u64_u32 v[6:7], s[0:1], v29, s16, 0
	v_add3_u32 v7, v7, v13, v12
	v_lshl_add_u64 v[4:5], v[4:5], 3, s[18:19]
	v_lshl_add_u64 v[6:7], v[6:7], 3, s[18:19]
	s_mov_b64 s[34:35], 0
	s_mov_b64 s[42:43], s[16:17]
                                        ; implicit-def: $sgpr36_sgpr37
                                        ; implicit-def: $sgpr38_sgpr39
                                        ; implicit-def: $sgpr0_sgpr1
                                        ; implicit-def: $sgpr40_sgpr41
                                        ; implicit-def: $sgpr44_sgpr45
	s_branch .LBB528_85
.LBB528_84:                             ;   in Loop: Header=BB528_85 Depth=1
	s_or_b64 exec, exec, s[46:47]
	s_and_b64 s[2:3], exec, s[38:39]
	s_or_b64 s[34:35], s[2:3], s[34:35]
	s_andn2_b64 s[2:3], s[44:45], exec
	s_and_b64 s[44:45], s[40:41], exec
	s_or_b64 s[44:45], s[2:3], s[44:45]
	s_andn2_b64 s[2:3], s[36:37], exec
	s_and_b64 s[36:37], s[0:1], exec
	s_or_b64 s[36:37], s[2:3], s[36:37]
	s_andn2_b64 exec, exec, s[34:35]
	s_cbranch_execz .LBB528_87
.LBB528_85:                             ; =>This Inner Loop Header: Depth=1
	global_load_dwordx2 v[12:13], v[4:5], off
	global_load_dwordx2 v[30:31], v[6:7], off
	s_andn2_b64 s[46:47], s[0:1], exec
	s_andn2_b64 s[40:41], s[40:41], exec
	s_or_b64 s[38:39], s[38:39], exec
	s_waitcnt vmcnt(0)
	v_cmp_le_i64_e64 s[0:1], v[12:13], v[30:31]
	v_cmp_lt_i64_e32 vcc, v[12:13], v[30:31]
	s_and_b64 s[0:1], s[0:1], s[44:45]
	s_or_b64 s[48:49], vcc, s[0:1]
	s_and_b64 s[0:1], s[48:49], exec
	v_cmp_eq_u64_e64 s[2:3], v[12:13], v[30:31]
	s_or_b64 s[0:1], s[46:47], s[0:1]
	s_and_saveexec_b64 s[46:47], s[2:3]
	s_cbranch_execz .LBB528_84
; %bb.86:                               ;   in Loop: Header=BB528_85 Depth=1
	s_add_u32 s42, s42, -1
	s_addc_u32 s43, s43, -1
	s_cmp_eq_u64 s[42:43], 0
	s_cselect_b64 s[2:3], -1, 0
	s_andn2_b64 s[40:41], s[40:41], exec
	s_and_b64 s[44:45], s[48:49], exec
	s_andn2_b64 s[38:39], s[38:39], exec
	s_and_b64 s[2:3], s[2:3], exec
	v_lshl_add_u64 v[4:5], v[4:5], 0, 8
	v_lshl_add_u64 v[6:7], v[6:7], 0, 8
	s_or_b64 s[40:41], s[40:41], s[44:45]
	s_andn2_b64 s[0:1], s[0:1], exec
	s_or_b64 s[38:39], s[38:39], s[2:3]
                                        ; implicit-def: $sgpr44_sgpr45
	s_branch .LBB528_84
.LBB528_87:
	s_or_b64 exec, exec, s[34:35]
	s_xor_b64 s[0:1], s[36:37], -1
	s_branch .LBB528_89
.LBB528_88:
	s_mov_b64 s[0:1], -1
.LBB528_89:
	s_and_b64 s[0:1], s[0:1], exec
.LBB528_90:
	s_or_b64 exec, exec, s[28:29]
	s_orn2_b64 s[28:29], s[0:1], exec
.LBB528_91:
	s_or_b64 exec, exec, s[30:31]
	v_cndmask_b32_e64 v4, v32, v33, s[28:29]
	v_cndmask_b32_e64 v5, v24, v1, s[28:29]
	v_add_u32_e32 v6, 1, v4
	v_add_u32_e32 v4, -1, v5
	v_min_u32_e32 v4, v6, v4
	v_lshlrev_b32_e32 v4, 3, v4
	ds_read_b64 v[4:5], v4
	v_cndmask_b32_e64 v34, v6, v32, s[28:29]
	v_cndmask_b32_e64 v38, v33, v6, s[28:29]
	v_cmp_lt_u32_e32 vcc, v34, v24
	s_mov_b64 s[30:31], -1
	s_waitcnt lgkmcnt(0)
	v_cndmask_b32_e64 v12, v5, v10, s[28:29]
	v_cndmask_b32_e64 v30, v4, v28, s[28:29]
	;; [unrolled: 1-line block ×4, first 2 shown]
	s_mov_b64 s[34:35], -1
	s_and_saveexec_b64 s[36:37], vcc
	s_cbranch_execz .LBB528_102
; %bb.92:
	v_cmp_lt_u32_e32 vcc, v38, v1
	s_mov_b64 s[0:1], 0
	s_and_saveexec_b64 s[34:35], vcc
	s_cbranch_execz .LBB528_101
; %bb.93:
	s_andn2_b64 vcc, exec, s[12:13]
	s_cbranch_vccnz .LBB528_99
; %bb.94:
	v_mul_lo_u32 v6, v12, s16
	v_mul_lo_u32 v7, v30, s17
	v_mad_u64_u32 v[4:5], s[0:1], v30, s16, 0
	v_add3_u32 v5, v5, v7, v6
	v_mul_lo_u32 v32, v13, s16
	v_mul_lo_u32 v33, v31, s17
	v_mad_u64_u32 v[6:7], s[0:1], v31, s16, 0
	v_add3_u32 v7, v7, v33, v32
	v_lshl_add_u64 v[4:5], v[4:5], 3, s[18:19]
	v_lshl_add_u64 v[6:7], v[6:7], 3, s[18:19]
	s_mov_b64 s[38:39], 0
	s_mov_b64 s[46:47], s[16:17]
                                        ; implicit-def: $sgpr40_sgpr41
                                        ; implicit-def: $sgpr42_sgpr43
                                        ; implicit-def: $sgpr0_sgpr1
                                        ; implicit-def: $sgpr44_sgpr45
                                        ; implicit-def: $sgpr48_sgpr49
	s_branch .LBB528_96
.LBB528_95:                             ;   in Loop: Header=BB528_96 Depth=1
	s_or_b64 exec, exec, s[50:51]
	s_and_b64 s[2:3], exec, s[42:43]
	s_or_b64 s[38:39], s[2:3], s[38:39]
	s_andn2_b64 s[2:3], s[48:49], exec
	s_and_b64 s[48:49], s[44:45], exec
	s_or_b64 s[48:49], s[2:3], s[48:49]
	s_andn2_b64 s[2:3], s[40:41], exec
	s_and_b64 s[40:41], s[0:1], exec
	s_or_b64 s[40:41], s[2:3], s[40:41]
	s_andn2_b64 exec, exec, s[38:39]
	s_cbranch_execz .LBB528_98
.LBB528_96:                             ; =>This Inner Loop Header: Depth=1
	global_load_dwordx2 v[32:33], v[4:5], off
	global_load_dwordx2 v[36:37], v[6:7], off
	s_andn2_b64 s[50:51], s[0:1], exec
	s_andn2_b64 s[44:45], s[44:45], exec
	s_or_b64 s[42:43], s[42:43], exec
	s_waitcnt vmcnt(0)
	v_cmp_le_i64_e64 s[0:1], v[32:33], v[36:37]
	v_cmp_lt_i64_e32 vcc, v[32:33], v[36:37]
	s_and_b64 s[0:1], s[0:1], s[48:49]
	s_or_b64 s[52:53], vcc, s[0:1]
	s_and_b64 s[0:1], s[52:53], exec
	v_cmp_eq_u64_e64 s[2:3], v[32:33], v[36:37]
	s_or_b64 s[0:1], s[50:51], s[0:1]
	s_and_saveexec_b64 s[50:51], s[2:3]
	s_cbranch_execz .LBB528_95
; %bb.97:                               ;   in Loop: Header=BB528_96 Depth=1
	s_add_u32 s46, s46, -1
	s_addc_u32 s47, s47, -1
	s_cmp_eq_u64 s[46:47], 0
	s_cselect_b64 s[2:3], -1, 0
	s_andn2_b64 s[44:45], s[44:45], exec
	s_and_b64 s[48:49], s[52:53], exec
	s_andn2_b64 s[42:43], s[42:43], exec
	s_and_b64 s[2:3], s[2:3], exec
	v_lshl_add_u64 v[4:5], v[4:5], 0, 8
	v_lshl_add_u64 v[6:7], v[6:7], 0, 8
	s_or_b64 s[44:45], s[44:45], s[48:49]
	s_andn2_b64 s[0:1], s[0:1], exec
	s_or_b64 s[42:43], s[42:43], s[2:3]
                                        ; implicit-def: $sgpr48_sgpr49
	s_branch .LBB528_95
.LBB528_98:
	s_or_b64 exec, exec, s[38:39]
	s_xor_b64 s[0:1], s[40:41], -1
	s_branch .LBB528_100
.LBB528_99:
	s_mov_b64 s[0:1], -1
.LBB528_100:
	s_and_b64 s[0:1], s[0:1], exec
.LBB528_101:
	s_or_b64 exec, exec, s[34:35]
	s_orn2_b64 s[34:35], s[0:1], exec
.LBB528_102:
	s_or_b64 exec, exec, s[36:37]
	v_cndmask_b32_e64 v4, v34, v38, s[34:35]
	v_cndmask_b32_e64 v5, v24, v1, s[34:35]
	v_add_u32_e32 v6, 1, v4
	v_add_u32_e32 v4, -1, v5
	v_min_u32_e32 v4, v6, v4
	v_lshlrev_b32_e32 v4, 3, v4
	ds_read_b64 v[4:5], v4
	v_cndmask_b32_e64 v35, v6, v34, s[34:35]
	v_cndmask_b32_e64 v34, v38, v6, s[34:35]
	v_cmp_lt_u32_e32 vcc, v35, v24
	s_waitcnt lgkmcnt(0)
	v_cndmask_b32_e64 v32, v5, v12, s[34:35]
	v_cndmask_b32_e64 v33, v4, v30, s[34:35]
	;; [unrolled: 1-line block ×4, first 2 shown]
	s_and_saveexec_b64 s[36:37], vcc
	s_cbranch_execz .LBB528_113
; %bb.103:
	v_cmp_lt_u32_e32 vcc, v34, v1
	s_mov_b64 s[0:1], 0
	s_and_saveexec_b64 s[30:31], vcc
	s_cbranch_execz .LBB528_112
; %bb.104:
	s_andn2_b64 vcc, exec, s[12:13]
	s_cbranch_vccnz .LBB528_110
; %bb.105:
	v_mul_lo_u32 v6, v32, s16
	v_mul_lo_u32 v7, v33, s17
	v_mad_u64_u32 v[4:5], s[0:1], v33, s16, 0
	v_add3_u32 v5, v5, v7, v6
	v_mul_lo_u32 v38, v36, s16
	v_mul_lo_u32 v39, v37, s17
	v_mad_u64_u32 v[6:7], s[0:1], v37, s16, 0
	v_add3_u32 v7, v7, v39, v38
	v_lshl_add_u64 v[4:5], v[4:5], 3, s[18:19]
	v_lshl_add_u64 v[6:7], v[6:7], 3, s[18:19]
	s_mov_b64 s[38:39], 0
	s_mov_b64 s[46:47], s[16:17]
                                        ; implicit-def: $sgpr40_sgpr41
                                        ; implicit-def: $sgpr42_sgpr43
                                        ; implicit-def: $sgpr0_sgpr1
                                        ; implicit-def: $sgpr44_sgpr45
                                        ; implicit-def: $sgpr48_sgpr49
	s_branch .LBB528_107
.LBB528_106:                            ;   in Loop: Header=BB528_107 Depth=1
	s_or_b64 exec, exec, s[50:51]
	s_and_b64 s[2:3], exec, s[42:43]
	s_or_b64 s[38:39], s[2:3], s[38:39]
	s_andn2_b64 s[2:3], s[48:49], exec
	s_and_b64 s[48:49], s[44:45], exec
	s_or_b64 s[48:49], s[2:3], s[48:49]
	s_andn2_b64 s[2:3], s[40:41], exec
	s_and_b64 s[40:41], s[0:1], exec
	s_or_b64 s[40:41], s[2:3], s[40:41]
	s_andn2_b64 exec, exec, s[38:39]
	s_cbranch_execz .LBB528_109
.LBB528_107:                            ; =>This Inner Loop Header: Depth=1
	global_load_dwordx2 v[38:39], v[4:5], off
	global_load_dwordx2 v[40:41], v[6:7], off
	s_andn2_b64 s[50:51], s[0:1], exec
	s_andn2_b64 s[44:45], s[44:45], exec
	s_or_b64 s[42:43], s[42:43], exec
	s_waitcnt vmcnt(0)
	v_cmp_le_i64_e64 s[0:1], v[38:39], v[40:41]
	v_cmp_lt_i64_e32 vcc, v[38:39], v[40:41]
	s_and_b64 s[0:1], s[0:1], s[48:49]
	s_or_b64 s[52:53], vcc, s[0:1]
	s_and_b64 s[0:1], s[52:53], exec
	v_cmp_eq_u64_e64 s[2:3], v[38:39], v[40:41]
	s_or_b64 s[0:1], s[50:51], s[0:1]
	s_and_saveexec_b64 s[50:51], s[2:3]
	s_cbranch_execz .LBB528_106
; %bb.108:                              ;   in Loop: Header=BB528_107 Depth=1
	s_add_u32 s46, s46, -1
	s_addc_u32 s47, s47, -1
	s_cmp_eq_u64 s[46:47], 0
	s_cselect_b64 s[2:3], -1, 0
	s_andn2_b64 s[44:45], s[44:45], exec
	s_and_b64 s[48:49], s[52:53], exec
	s_andn2_b64 s[42:43], s[42:43], exec
	s_and_b64 s[2:3], s[2:3], exec
	v_lshl_add_u64 v[4:5], v[4:5], 0, 8
	v_lshl_add_u64 v[6:7], v[6:7], 0, 8
	s_or_b64 s[44:45], s[44:45], s[48:49]
	s_andn2_b64 s[0:1], s[0:1], exec
	s_or_b64 s[42:43], s[42:43], s[2:3]
                                        ; implicit-def: $sgpr48_sgpr49
	s_branch .LBB528_106
.LBB528_109:
	s_or_b64 exec, exec, s[38:39]
	s_xor_b64 s[0:1], s[40:41], -1
	s_branch .LBB528_111
.LBB528_110:
	s_mov_b64 s[0:1], -1
.LBB528_111:
	s_and_b64 s[0:1], s[0:1], exec
.LBB528_112:
	s_or_b64 exec, exec, s[30:31]
	s_orn2_b64 s[30:31], s[0:1], exec
.LBB528_113:
	s_or_b64 exec, exec, s[36:37]
	v_cndmask_b32_e64 v5, v16, v19, s[22:23]
	v_cndmask_b32_e64 v4, v17, v20, s[22:23]
	;; [unrolled: 1-line block ×4, first 2 shown]
	v_add_u32_e32 v19, 1, v16
	v_add_u32_e32 v16, -1, v17
	v_min_u32_e32 v16, v19, v16
	v_lshlrev_b32_e32 v16, 3, v16
	v_cndmask_b32_e64 v7, v21, v23, s[24:25]
	ds_read_b64 v[20:21], v16
	v_cndmask_b32_e64 v6, v22, v25, s[24:25]
	v_cndmask_b32_e64 v22, v19, v35, s[30:31]
	;; [unrolled: 1-line block ×12, first 2 shown]
	s_waitcnt lgkmcnt(0)
	v_cndmask_b32_e64 v17, v36, v21, s[30:31]
	v_cndmask_b32_e64 v16, v37, v20, s[30:31]
	v_cmp_lt_u32_e32 vcc, v22, v24
	s_and_saveexec_b64 s[20:21], vcc
	s_cbranch_execz .LBB528_123
; %bb.114:
	v_cndmask_b32_e64 v19, v34, v19, s[30:31]
	v_cndmask_b32_e64 v21, v21, v32, s[30:31]
	;; [unrolled: 1-line block ×3, first 2 shown]
	v_cmp_lt_u32_e32 vcc, v19, v1
	s_and_saveexec_b64 s[22:23], vcc
	s_cbranch_execz .LBB528_122
; %bb.115:
	s_andn2_b64 vcc, exec, s[12:13]
	s_cbranch_vccnz .LBB528_121
; %bb.116:
	v_mul_lo_u32 v1, v21, s16
	v_mul_lo_u32 v19, v20, s17
	v_mad_u64_u32 v[22:23], s[0:1], v20, s16, 0
	v_add3_u32 v23, v23, v19, v1
	v_mul_lo_u32 v1, v17, s16
	v_mul_lo_u32 v19, v16, s17
	v_mad_u64_u32 v[24:25], s[0:1], v16, s16, 0
	v_add3_u32 v25, v25, v19, v1
	v_lshl_add_u64 v[22:23], v[22:23], 3, s[18:19]
	v_lshl_add_u64 v[24:25], v[24:25], 3, s[18:19]
	s_mov_b64 s[12:13], 0
                                        ; implicit-def: $sgpr18_sgpr19
                                        ; implicit-def: $sgpr24_sgpr25
                                        ; implicit-def: $sgpr0_sgpr1
                                        ; implicit-def: $sgpr26_sgpr27
                                        ; implicit-def: $sgpr28_sgpr29
	s_branch .LBB528_118
.LBB528_117:                            ;   in Loop: Header=BB528_118 Depth=1
	s_or_b64 exec, exec, s[30:31]
	s_and_b64 s[2:3], exec, s[24:25]
	s_or_b64 s[12:13], s[2:3], s[12:13]
	s_andn2_b64 s[2:3], s[28:29], exec
	s_and_b64 s[28:29], s[26:27], exec
	s_or_b64 s[28:29], s[2:3], s[28:29]
	s_andn2_b64 s[2:3], s[18:19], exec
	s_and_b64 s[18:19], s[0:1], exec
	s_or_b64 s[18:19], s[2:3], s[18:19]
	s_andn2_b64 exec, exec, s[12:13]
	s_cbranch_execz .LBB528_120
.LBB528_118:                            ; =>This Inner Loop Header: Depth=1
	global_load_dwordx2 v[26:27], v[22:23], off
	global_load_dwordx2 v[28:29], v[24:25], off
	s_andn2_b64 s[30:31], s[0:1], exec
	s_andn2_b64 s[26:27], s[26:27], exec
	s_or_b64 s[24:25], s[24:25], exec
	s_waitcnt vmcnt(0)
	v_cmp_le_i64_e64 s[0:1], v[26:27], v[28:29]
	v_cmp_lt_i64_e32 vcc, v[26:27], v[28:29]
	s_and_b64 s[0:1], s[0:1], s[28:29]
	s_or_b64 s[34:35], vcc, s[0:1]
	s_and_b64 s[0:1], s[34:35], exec
	v_cmp_eq_u64_e64 s[2:3], v[26:27], v[28:29]
	s_or_b64 s[0:1], s[30:31], s[0:1]
	s_and_saveexec_b64 s[30:31], s[2:3]
	s_cbranch_execz .LBB528_117
; %bb.119:                              ;   in Loop: Header=BB528_118 Depth=1
	s_add_u32 s16, s16, -1
	s_addc_u32 s17, s17, -1
	s_cmp_eq_u64 s[16:17], 0
	s_cselect_b64 s[2:3], -1, 0
	s_andn2_b64 s[26:27], s[26:27], exec
	s_and_b64 s[28:29], s[34:35], exec
	s_andn2_b64 s[24:25], s[24:25], exec
	s_and_b64 s[2:3], s[2:3], exec
	v_lshl_add_u64 v[22:23], v[22:23], 0, 8
	v_lshl_add_u64 v[24:25], v[24:25], 0, 8
	s_or_b64 s[26:27], s[26:27], s[28:29]
	s_andn2_b64 s[0:1], s[0:1], exec
	s_or_b64 s[24:25], s[24:25], s[2:3]
                                        ; implicit-def: $sgpr28_sgpr29
	s_branch .LBB528_117
.LBB528_120:
	s_or_b64 exec, exec, s[12:13]
	v_cndmask_b32_e64 v17, v17, v21, s[18:19]
	v_cndmask_b32_e64 v16, v16, v20, s[18:19]
.LBB528_121:
	v_mov_b64_e32 v[20:21], v[16:17]
.LBB528_122:
	s_or_b64 exec, exec, s[22:23]
	v_mov_b64_e32 v[16:17], v[20:21]
.LBB528_123:
	s_or_b64 exec, exec, s[20:21]
.LBB528_124:
	s_or_b64 exec, exec, s[4:5]
	v_lshrrev_b32_e32 v1, 2, v0
	v_lshlrev_b32_e32 v19, 3, v18
	v_lshl_add_u32 v19, v1, 3, v19
	v_and_b32_e32 v1, 24, v1
	v_or_b32_e32 v25, 0x80, v0
	v_add_u32_e32 v26, v18, v1
	v_lshrrev_b32_e32 v1, 2, v25
	v_and_b32_e32 v1, 56, v1
	v_or_b32_e32 v24, 0x100, v0
	s_barrier
	s_barrier
	ds_write2_b64 v19, v[2:3], v[4:5] offset1:1
	ds_write2_b64 v19, v[6:7], v[8:9] offset0:2 offset1:3
	ds_write2_b64 v19, v[10:11], v[12:13] offset0:4 offset1:5
	;; [unrolled: 1-line block ×3, first 2 shown]
	v_add_u32_e32 v6, v18, v1
	v_lshrrev_b32_e32 v1, 2, v24
	v_and_b32_e32 v1, 0x58, v1
	v_or_b32_e32 v23, 0x180, v0
	v_add_u32_e32 v7, v18, v1
	v_lshrrev_b32_e32 v1, 2, v23
	v_and_b32_e32 v1, 0x78, v1
	v_or_b32_e32 v22, 0x200, v0
	;; [unrolled: 4-line block ×4, first 2 shown]
	v_add_u32_e32 v27, v18, v1
	v_lshrrev_b32_e32 v1, 2, v20
	v_and_b32_e32 v1, 0xd8, v1
	s_lshl_b64 s[0:1], s[6:7], 3
	v_add_u32_e32 v28, v18, v1
	v_or_b32_e32 v1, 0x380, v0
	s_add_u32 s0, s14, s0
	v_lshrrev_b32_e32 v2, 2, v1
	s_addc_u32 s1, s15, s1
	v_and_b32_e32 v2, 0xf8, v2
	v_mov_b32_e32 v19, 0
	v_add_u32_e32 v29, v18, v2
	v_lshl_add_u64 v[2:3], s[0:1], 0, v[18:19]
	s_and_b64 vcc, exec, s[10:11]
	s_waitcnt lgkmcnt(0)
	s_cbranch_vccz .LBB528_126
; %bb.125:
	s_barrier
	ds_read_b64 v[10:11], v26
	ds_read_b64 v[12:13], v6 offset:1024
	ds_read_b64 v[14:15], v7 offset:2048
	;; [unrolled: 1-line block ×7, first 2 shown]
	s_waitcnt lgkmcnt(7)
	global_store_dwordx2 v[2:3], v[10:11], off
	s_waitcnt lgkmcnt(6)
	global_store_dwordx2 v[2:3], v[12:13], off offset:1024
	s_waitcnt lgkmcnt(5)
	global_store_dwordx2 v[2:3], v[14:15], off offset:2048
	;; [unrolled: 2-line block ×3, first 2 shown]
	v_add_co_u32_e32 v10, vcc, 0x1000, v2
	s_nop 1
	v_addc_co_u32_e32 v11, vcc, 0, v3, vcc
	s_waitcnt lgkmcnt(3)
	global_store_dwordx2 v[10:11], v[18:19], off
	s_waitcnt lgkmcnt(2)
	global_store_dwordx2 v[10:11], v[30:31], off offset:1024
	s_waitcnt lgkmcnt(1)
	global_store_dwordx2 v[10:11], v[32:33], off offset:2048
	s_mov_b64 s[0:1], -1
	s_cbranch_execz .LBB528_127
	s_branch .LBB528_136
.LBB528_126:
	s_mov_b64 s[0:1], 0
                                        ; implicit-def: $vgpr4_vgpr5
.LBB528_127:
	s_barrier
	s_waitcnt lgkmcnt(0)
	ds_read_b64 v[16:17], v6 offset:1024
	ds_read_b64 v[14:15], v7 offset:2048
	;; [unrolled: 1-line block ×7, first 2 shown]
	s_sub_i32 s2, s8, s6
	v_cmp_gt_u32_e32 vcc, s2, v0
	s_and_saveexec_b64 s[0:1], vcc
	s_cbranch_execnz .LBB528_139
; %bb.128:
	s_or_b64 exec, exec, s[0:1]
	v_cmp_gt_u32_e32 vcc, s2, v25
	s_and_saveexec_b64 s[0:1], vcc
	s_cbranch_execnz .LBB528_140
.LBB528_129:
	s_or_b64 exec, exec, s[0:1]
	v_cmp_gt_u32_e32 vcc, s2, v24
	s_and_saveexec_b64 s[0:1], vcc
	s_cbranch_execnz .LBB528_141
.LBB528_130:
	s_or_b64 exec, exec, s[0:1]
	v_cmp_gt_u32_e32 vcc, s2, v23
	s_and_saveexec_b64 s[0:1], vcc
	s_cbranch_execnz .LBB528_142
.LBB528_131:
	s_or_b64 exec, exec, s[0:1]
	v_cmp_gt_u32_e32 vcc, s2, v22
	s_and_saveexec_b64 s[0:1], vcc
	s_cbranch_execnz .LBB528_143
.LBB528_132:
	s_or_b64 exec, exec, s[0:1]
	v_cmp_gt_u32_e32 vcc, s2, v21
	s_and_saveexec_b64 s[0:1], vcc
	s_cbranch_execnz .LBB528_144
.LBB528_133:
	s_or_b64 exec, exec, s[0:1]
	v_cmp_gt_u32_e32 vcc, s2, v20
	s_and_saveexec_b64 s[0:1], vcc
	s_cbranch_execz .LBB528_135
.LBB528_134:
	s_waitcnt lgkmcnt(2)
	v_add_co_u32_e32 v8, vcc, 0x1000, v2
	s_nop 1
	v_addc_co_u32_e32 v9, vcc, 0, v3, vcc
	s_waitcnt lgkmcnt(1)
	global_store_dwordx2 v[8:9], v[6:7], off offset:2048
.LBB528_135:
	s_or_b64 exec, exec, s[0:1]
	v_cmp_gt_u32_e64 s[0:1], s2, v1
.LBB528_136:
	s_and_saveexec_b64 s[2:3], s[0:1]
	s_cbranch_execz .LBB528_138
; %bb.137:
	v_add_co_u32_e32 v0, vcc, 0x1000, v2
	s_nop 1
	v_addc_co_u32_e32 v1, vcc, 0, v3, vcc
	s_waitcnt lgkmcnt(0)
	global_store_dwordx2 v[0:1], v[4:5], off offset:3072
.LBB528_138:
	s_endpgm
.LBB528_139:
	ds_read_b64 v[18:19], v26
	s_waitcnt lgkmcnt(0)
	global_store_dwordx2 v[2:3], v[18:19], off
	s_or_b64 exec, exec, s[0:1]
	v_cmp_gt_u32_e32 vcc, s2, v25
	s_and_saveexec_b64 s[0:1], vcc
	s_cbranch_execz .LBB528_129
.LBB528_140:
	s_waitcnt lgkmcnt(6)
	global_store_dwordx2 v[2:3], v[16:17], off offset:1024
	s_or_b64 exec, exec, s[0:1]
	v_cmp_gt_u32_e32 vcc, s2, v24
	s_and_saveexec_b64 s[0:1], vcc
	s_cbranch_execz .LBB528_130
.LBB528_141:
	s_waitcnt lgkmcnt(5)
	global_store_dwordx2 v[2:3], v[14:15], off offset:2048
	s_or_b64 exec, exec, s[0:1]
	v_cmp_gt_u32_e32 vcc, s2, v23
	s_and_saveexec_b64 s[0:1], vcc
	s_cbranch_execz .LBB528_131
.LBB528_142:
	s_waitcnt lgkmcnt(4)
	global_store_dwordx2 v[2:3], v[12:13], off offset:3072
	s_or_b64 exec, exec, s[0:1]
	v_cmp_gt_u32_e32 vcc, s2, v22
	s_and_saveexec_b64 s[0:1], vcc
	s_cbranch_execz .LBB528_132
.LBB528_143:
	s_waitcnt lgkmcnt(4)
	v_add_co_u32_e32 v12, vcc, 0x1000, v2
	s_nop 1
	v_addc_co_u32_e32 v13, vcc, 0, v3, vcc
	s_waitcnt lgkmcnt(3)
	global_store_dwordx2 v[12:13], v[10:11], off
	s_or_b64 exec, exec, s[0:1]
	v_cmp_gt_u32_e32 vcc, s2, v21
	s_and_saveexec_b64 s[0:1], vcc
	s_cbranch_execz .LBB528_133
.LBB528_144:
	s_waitcnt lgkmcnt(3)
	v_add_co_u32_e32 v10, vcc, 0x1000, v2
	s_nop 1
	v_addc_co_u32_e32 v11, vcc, 0, v3, vcc
	s_waitcnt lgkmcnt(2)
	global_store_dwordx2 v[10:11], v[8:9], off offset:1024
	s_or_b64 exec, exec, s[0:1]
	v_cmp_gt_u32_e32 vcc, s2, v20
	s_and_saveexec_b64 s[0:1], vcc
	s_cbranch_execnz .LBB528_134
	s_branch .LBB528_135
	.section	.rodata,"a",@progbits
	.p2align	6, 0x0
	.amdhsa_kernel _ZN7rocprim17ROCPRIM_400000_NS6detail17trampoline_kernelINS0_14default_configENS1_38merge_sort_block_merge_config_selectorIlNS0_10empty_typeEEEZZNS1_27merge_sort_block_merge_implIS3_PlPS5_mZN2at6native12_GLOBAL__N_124unique_dim_cuda_templateIlEESt5tupleIJNSA_6TensorESF_SF_EERKSF_lbbbEUlllE_EE10hipError_tT0_T1_T2_jT3_P12ihipStream_tbPNSt15iterator_traitsISL_E10value_typeEPNSR_ISM_E10value_typeEPSN_NS1_7vsmem_tEENKUlT_SL_SM_SN_E_clIS8_S8_S9_S9_EESK_S10_SL_SM_SN_EUlS10_E0_NS1_11comp_targetILNS1_3genE5ELNS1_11target_archE942ELNS1_3gpuE9ELNS1_3repE0EEENS1_38merge_mergepath_config_static_selectorELNS0_4arch9wavefront6targetE1EEEvSM_
		.amdhsa_group_segment_fixed_size 8448
		.amdhsa_private_segment_fixed_size 0
		.amdhsa_kernarg_size 344
		.amdhsa_user_sgpr_count 2
		.amdhsa_user_sgpr_dispatch_ptr 0
		.amdhsa_user_sgpr_queue_ptr 0
		.amdhsa_user_sgpr_kernarg_segment_ptr 1
		.amdhsa_user_sgpr_dispatch_id 0
		.amdhsa_user_sgpr_kernarg_preload_length 0
		.amdhsa_user_sgpr_kernarg_preload_offset 0
		.amdhsa_user_sgpr_private_segment_size 0
		.amdhsa_uses_dynamic_stack 0
		.amdhsa_enable_private_segment 0
		.amdhsa_system_sgpr_workgroup_id_x 1
		.amdhsa_system_sgpr_workgroup_id_y 1
		.amdhsa_system_sgpr_workgroup_id_z 1
		.amdhsa_system_sgpr_workgroup_info 0
		.amdhsa_system_vgpr_workitem_id 0
		.amdhsa_next_free_vgpr 42
		.amdhsa_next_free_sgpr 54
		.amdhsa_accum_offset 44
		.amdhsa_reserve_vcc 1
		.amdhsa_float_round_mode_32 0
		.amdhsa_float_round_mode_16_64 0
		.amdhsa_float_denorm_mode_32 3
		.amdhsa_float_denorm_mode_16_64 3
		.amdhsa_dx10_clamp 1
		.amdhsa_ieee_mode 1
		.amdhsa_fp16_overflow 0
		.amdhsa_tg_split 0
		.amdhsa_exception_fp_ieee_invalid_op 0
		.amdhsa_exception_fp_denorm_src 0
		.amdhsa_exception_fp_ieee_div_zero 0
		.amdhsa_exception_fp_ieee_overflow 0
		.amdhsa_exception_fp_ieee_underflow 0
		.amdhsa_exception_fp_ieee_inexact 0
		.amdhsa_exception_int_div_zero 0
	.end_amdhsa_kernel
	.section	.text._ZN7rocprim17ROCPRIM_400000_NS6detail17trampoline_kernelINS0_14default_configENS1_38merge_sort_block_merge_config_selectorIlNS0_10empty_typeEEEZZNS1_27merge_sort_block_merge_implIS3_PlPS5_mZN2at6native12_GLOBAL__N_124unique_dim_cuda_templateIlEESt5tupleIJNSA_6TensorESF_SF_EERKSF_lbbbEUlllE_EE10hipError_tT0_T1_T2_jT3_P12ihipStream_tbPNSt15iterator_traitsISL_E10value_typeEPNSR_ISM_E10value_typeEPSN_NS1_7vsmem_tEENKUlT_SL_SM_SN_E_clIS8_S8_S9_S9_EESK_S10_SL_SM_SN_EUlS10_E0_NS1_11comp_targetILNS1_3genE5ELNS1_11target_archE942ELNS1_3gpuE9ELNS1_3repE0EEENS1_38merge_mergepath_config_static_selectorELNS0_4arch9wavefront6targetE1EEEvSM_,"axG",@progbits,_ZN7rocprim17ROCPRIM_400000_NS6detail17trampoline_kernelINS0_14default_configENS1_38merge_sort_block_merge_config_selectorIlNS0_10empty_typeEEEZZNS1_27merge_sort_block_merge_implIS3_PlPS5_mZN2at6native12_GLOBAL__N_124unique_dim_cuda_templateIlEESt5tupleIJNSA_6TensorESF_SF_EERKSF_lbbbEUlllE_EE10hipError_tT0_T1_T2_jT3_P12ihipStream_tbPNSt15iterator_traitsISL_E10value_typeEPNSR_ISM_E10value_typeEPSN_NS1_7vsmem_tEENKUlT_SL_SM_SN_E_clIS8_S8_S9_S9_EESK_S10_SL_SM_SN_EUlS10_E0_NS1_11comp_targetILNS1_3genE5ELNS1_11target_archE942ELNS1_3gpuE9ELNS1_3repE0EEENS1_38merge_mergepath_config_static_selectorELNS0_4arch9wavefront6targetE1EEEvSM_,comdat
.Lfunc_end528:
	.size	_ZN7rocprim17ROCPRIM_400000_NS6detail17trampoline_kernelINS0_14default_configENS1_38merge_sort_block_merge_config_selectorIlNS0_10empty_typeEEEZZNS1_27merge_sort_block_merge_implIS3_PlPS5_mZN2at6native12_GLOBAL__N_124unique_dim_cuda_templateIlEESt5tupleIJNSA_6TensorESF_SF_EERKSF_lbbbEUlllE_EE10hipError_tT0_T1_T2_jT3_P12ihipStream_tbPNSt15iterator_traitsISL_E10value_typeEPNSR_ISM_E10value_typeEPSN_NS1_7vsmem_tEENKUlT_SL_SM_SN_E_clIS8_S8_S9_S9_EESK_S10_SL_SM_SN_EUlS10_E0_NS1_11comp_targetILNS1_3genE5ELNS1_11target_archE942ELNS1_3gpuE9ELNS1_3repE0EEENS1_38merge_mergepath_config_static_selectorELNS0_4arch9wavefront6targetE1EEEvSM_, .Lfunc_end528-_ZN7rocprim17ROCPRIM_400000_NS6detail17trampoline_kernelINS0_14default_configENS1_38merge_sort_block_merge_config_selectorIlNS0_10empty_typeEEEZZNS1_27merge_sort_block_merge_implIS3_PlPS5_mZN2at6native12_GLOBAL__N_124unique_dim_cuda_templateIlEESt5tupleIJNSA_6TensorESF_SF_EERKSF_lbbbEUlllE_EE10hipError_tT0_T1_T2_jT3_P12ihipStream_tbPNSt15iterator_traitsISL_E10value_typeEPNSR_ISM_E10value_typeEPSN_NS1_7vsmem_tEENKUlT_SL_SM_SN_E_clIS8_S8_S9_S9_EESK_S10_SL_SM_SN_EUlS10_E0_NS1_11comp_targetILNS1_3genE5ELNS1_11target_archE942ELNS1_3gpuE9ELNS1_3repE0EEENS1_38merge_mergepath_config_static_selectorELNS0_4arch9wavefront6targetE1EEEvSM_
                                        ; -- End function
	.section	.AMDGPU.csdata,"",@progbits
; Kernel info:
; codeLenInByte = 6584
; NumSgprs: 60
; NumVgprs: 42
; NumAgprs: 0
; TotalNumVgprs: 42
; ScratchSize: 0
; MemoryBound: 0
; FloatMode: 240
; IeeeMode: 1
; LDSByteSize: 8448 bytes/workgroup (compile time only)
; SGPRBlocks: 7
; VGPRBlocks: 5
; NumSGPRsForWavesPerEU: 60
; NumVGPRsForWavesPerEU: 42
; AccumOffset: 44
; Occupancy: 4
; WaveLimiterHint : 1
; COMPUTE_PGM_RSRC2:SCRATCH_EN: 0
; COMPUTE_PGM_RSRC2:USER_SGPR: 2
; COMPUTE_PGM_RSRC2:TRAP_HANDLER: 0
; COMPUTE_PGM_RSRC2:TGID_X_EN: 1
; COMPUTE_PGM_RSRC2:TGID_Y_EN: 1
; COMPUTE_PGM_RSRC2:TGID_Z_EN: 1
; COMPUTE_PGM_RSRC2:TIDIG_COMP_CNT: 0
; COMPUTE_PGM_RSRC3_GFX90A:ACCUM_OFFSET: 10
; COMPUTE_PGM_RSRC3_GFX90A:TG_SPLIT: 0
	.section	.text._ZN7rocprim17ROCPRIM_400000_NS6detail17trampoline_kernelINS0_14default_configENS1_38merge_sort_block_merge_config_selectorIlNS0_10empty_typeEEEZZNS1_27merge_sort_block_merge_implIS3_PlPS5_mZN2at6native12_GLOBAL__N_124unique_dim_cuda_templateIlEESt5tupleIJNSA_6TensorESF_SF_EERKSF_lbbbEUlllE_EE10hipError_tT0_T1_T2_jT3_P12ihipStream_tbPNSt15iterator_traitsISL_E10value_typeEPNSR_ISM_E10value_typeEPSN_NS1_7vsmem_tEENKUlT_SL_SM_SN_E_clIS8_S8_S9_S9_EESK_S10_SL_SM_SN_EUlS10_E0_NS1_11comp_targetILNS1_3genE4ELNS1_11target_archE910ELNS1_3gpuE8ELNS1_3repE0EEENS1_38merge_mergepath_config_static_selectorELNS0_4arch9wavefront6targetE1EEEvSM_,"axG",@progbits,_ZN7rocprim17ROCPRIM_400000_NS6detail17trampoline_kernelINS0_14default_configENS1_38merge_sort_block_merge_config_selectorIlNS0_10empty_typeEEEZZNS1_27merge_sort_block_merge_implIS3_PlPS5_mZN2at6native12_GLOBAL__N_124unique_dim_cuda_templateIlEESt5tupleIJNSA_6TensorESF_SF_EERKSF_lbbbEUlllE_EE10hipError_tT0_T1_T2_jT3_P12ihipStream_tbPNSt15iterator_traitsISL_E10value_typeEPNSR_ISM_E10value_typeEPSN_NS1_7vsmem_tEENKUlT_SL_SM_SN_E_clIS8_S8_S9_S9_EESK_S10_SL_SM_SN_EUlS10_E0_NS1_11comp_targetILNS1_3genE4ELNS1_11target_archE910ELNS1_3gpuE8ELNS1_3repE0EEENS1_38merge_mergepath_config_static_selectorELNS0_4arch9wavefront6targetE1EEEvSM_,comdat
	.globl	_ZN7rocprim17ROCPRIM_400000_NS6detail17trampoline_kernelINS0_14default_configENS1_38merge_sort_block_merge_config_selectorIlNS0_10empty_typeEEEZZNS1_27merge_sort_block_merge_implIS3_PlPS5_mZN2at6native12_GLOBAL__N_124unique_dim_cuda_templateIlEESt5tupleIJNSA_6TensorESF_SF_EERKSF_lbbbEUlllE_EE10hipError_tT0_T1_T2_jT3_P12ihipStream_tbPNSt15iterator_traitsISL_E10value_typeEPNSR_ISM_E10value_typeEPSN_NS1_7vsmem_tEENKUlT_SL_SM_SN_E_clIS8_S8_S9_S9_EESK_S10_SL_SM_SN_EUlS10_E0_NS1_11comp_targetILNS1_3genE4ELNS1_11target_archE910ELNS1_3gpuE8ELNS1_3repE0EEENS1_38merge_mergepath_config_static_selectorELNS0_4arch9wavefront6targetE1EEEvSM_ ; -- Begin function _ZN7rocprim17ROCPRIM_400000_NS6detail17trampoline_kernelINS0_14default_configENS1_38merge_sort_block_merge_config_selectorIlNS0_10empty_typeEEEZZNS1_27merge_sort_block_merge_implIS3_PlPS5_mZN2at6native12_GLOBAL__N_124unique_dim_cuda_templateIlEESt5tupleIJNSA_6TensorESF_SF_EERKSF_lbbbEUlllE_EE10hipError_tT0_T1_T2_jT3_P12ihipStream_tbPNSt15iterator_traitsISL_E10value_typeEPNSR_ISM_E10value_typeEPSN_NS1_7vsmem_tEENKUlT_SL_SM_SN_E_clIS8_S8_S9_S9_EESK_S10_SL_SM_SN_EUlS10_E0_NS1_11comp_targetILNS1_3genE4ELNS1_11target_archE910ELNS1_3gpuE8ELNS1_3repE0EEENS1_38merge_mergepath_config_static_selectorELNS0_4arch9wavefront6targetE1EEEvSM_
	.p2align	8
	.type	_ZN7rocprim17ROCPRIM_400000_NS6detail17trampoline_kernelINS0_14default_configENS1_38merge_sort_block_merge_config_selectorIlNS0_10empty_typeEEEZZNS1_27merge_sort_block_merge_implIS3_PlPS5_mZN2at6native12_GLOBAL__N_124unique_dim_cuda_templateIlEESt5tupleIJNSA_6TensorESF_SF_EERKSF_lbbbEUlllE_EE10hipError_tT0_T1_T2_jT3_P12ihipStream_tbPNSt15iterator_traitsISL_E10value_typeEPNSR_ISM_E10value_typeEPSN_NS1_7vsmem_tEENKUlT_SL_SM_SN_E_clIS8_S8_S9_S9_EESK_S10_SL_SM_SN_EUlS10_E0_NS1_11comp_targetILNS1_3genE4ELNS1_11target_archE910ELNS1_3gpuE8ELNS1_3repE0EEENS1_38merge_mergepath_config_static_selectorELNS0_4arch9wavefront6targetE1EEEvSM_,@function
_ZN7rocprim17ROCPRIM_400000_NS6detail17trampoline_kernelINS0_14default_configENS1_38merge_sort_block_merge_config_selectorIlNS0_10empty_typeEEEZZNS1_27merge_sort_block_merge_implIS3_PlPS5_mZN2at6native12_GLOBAL__N_124unique_dim_cuda_templateIlEESt5tupleIJNSA_6TensorESF_SF_EERKSF_lbbbEUlllE_EE10hipError_tT0_T1_T2_jT3_P12ihipStream_tbPNSt15iterator_traitsISL_E10value_typeEPNSR_ISM_E10value_typeEPSN_NS1_7vsmem_tEENKUlT_SL_SM_SN_E_clIS8_S8_S9_S9_EESK_S10_SL_SM_SN_EUlS10_E0_NS1_11comp_targetILNS1_3genE4ELNS1_11target_archE910ELNS1_3gpuE8ELNS1_3repE0EEENS1_38merge_mergepath_config_static_selectorELNS0_4arch9wavefront6targetE1EEEvSM_: ; @_ZN7rocprim17ROCPRIM_400000_NS6detail17trampoline_kernelINS0_14default_configENS1_38merge_sort_block_merge_config_selectorIlNS0_10empty_typeEEEZZNS1_27merge_sort_block_merge_implIS3_PlPS5_mZN2at6native12_GLOBAL__N_124unique_dim_cuda_templateIlEESt5tupleIJNSA_6TensorESF_SF_EERKSF_lbbbEUlllE_EE10hipError_tT0_T1_T2_jT3_P12ihipStream_tbPNSt15iterator_traitsISL_E10value_typeEPNSR_ISM_E10value_typeEPSN_NS1_7vsmem_tEENKUlT_SL_SM_SN_E_clIS8_S8_S9_S9_EESK_S10_SL_SM_SN_EUlS10_E0_NS1_11comp_targetILNS1_3genE4ELNS1_11target_archE910ELNS1_3gpuE8ELNS1_3repE0EEENS1_38merge_mergepath_config_static_selectorELNS0_4arch9wavefront6targetE1EEEvSM_
; %bb.0:
	.section	.rodata,"a",@progbits
	.p2align	6, 0x0
	.amdhsa_kernel _ZN7rocprim17ROCPRIM_400000_NS6detail17trampoline_kernelINS0_14default_configENS1_38merge_sort_block_merge_config_selectorIlNS0_10empty_typeEEEZZNS1_27merge_sort_block_merge_implIS3_PlPS5_mZN2at6native12_GLOBAL__N_124unique_dim_cuda_templateIlEESt5tupleIJNSA_6TensorESF_SF_EERKSF_lbbbEUlllE_EE10hipError_tT0_T1_T2_jT3_P12ihipStream_tbPNSt15iterator_traitsISL_E10value_typeEPNSR_ISM_E10value_typeEPSN_NS1_7vsmem_tEENKUlT_SL_SM_SN_E_clIS8_S8_S9_S9_EESK_S10_SL_SM_SN_EUlS10_E0_NS1_11comp_targetILNS1_3genE4ELNS1_11target_archE910ELNS1_3gpuE8ELNS1_3repE0EEENS1_38merge_mergepath_config_static_selectorELNS0_4arch9wavefront6targetE1EEEvSM_
		.amdhsa_group_segment_fixed_size 0
		.amdhsa_private_segment_fixed_size 0
		.amdhsa_kernarg_size 88
		.amdhsa_user_sgpr_count 2
		.amdhsa_user_sgpr_dispatch_ptr 0
		.amdhsa_user_sgpr_queue_ptr 0
		.amdhsa_user_sgpr_kernarg_segment_ptr 1
		.amdhsa_user_sgpr_dispatch_id 0
		.amdhsa_user_sgpr_kernarg_preload_length 0
		.amdhsa_user_sgpr_kernarg_preload_offset 0
		.amdhsa_user_sgpr_private_segment_size 0
		.amdhsa_uses_dynamic_stack 0
		.amdhsa_enable_private_segment 0
		.amdhsa_system_sgpr_workgroup_id_x 1
		.amdhsa_system_sgpr_workgroup_id_y 0
		.amdhsa_system_sgpr_workgroup_id_z 0
		.amdhsa_system_sgpr_workgroup_info 0
		.amdhsa_system_vgpr_workitem_id 0
		.amdhsa_next_free_vgpr 1
		.amdhsa_next_free_sgpr 0
		.amdhsa_accum_offset 4
		.amdhsa_reserve_vcc 0
		.amdhsa_float_round_mode_32 0
		.amdhsa_float_round_mode_16_64 0
		.amdhsa_float_denorm_mode_32 3
		.amdhsa_float_denorm_mode_16_64 3
		.amdhsa_dx10_clamp 1
		.amdhsa_ieee_mode 1
		.amdhsa_fp16_overflow 0
		.amdhsa_tg_split 0
		.amdhsa_exception_fp_ieee_invalid_op 0
		.amdhsa_exception_fp_denorm_src 0
		.amdhsa_exception_fp_ieee_div_zero 0
		.amdhsa_exception_fp_ieee_overflow 0
		.amdhsa_exception_fp_ieee_underflow 0
		.amdhsa_exception_fp_ieee_inexact 0
		.amdhsa_exception_int_div_zero 0
	.end_amdhsa_kernel
	.section	.text._ZN7rocprim17ROCPRIM_400000_NS6detail17trampoline_kernelINS0_14default_configENS1_38merge_sort_block_merge_config_selectorIlNS0_10empty_typeEEEZZNS1_27merge_sort_block_merge_implIS3_PlPS5_mZN2at6native12_GLOBAL__N_124unique_dim_cuda_templateIlEESt5tupleIJNSA_6TensorESF_SF_EERKSF_lbbbEUlllE_EE10hipError_tT0_T1_T2_jT3_P12ihipStream_tbPNSt15iterator_traitsISL_E10value_typeEPNSR_ISM_E10value_typeEPSN_NS1_7vsmem_tEENKUlT_SL_SM_SN_E_clIS8_S8_S9_S9_EESK_S10_SL_SM_SN_EUlS10_E0_NS1_11comp_targetILNS1_3genE4ELNS1_11target_archE910ELNS1_3gpuE8ELNS1_3repE0EEENS1_38merge_mergepath_config_static_selectorELNS0_4arch9wavefront6targetE1EEEvSM_,"axG",@progbits,_ZN7rocprim17ROCPRIM_400000_NS6detail17trampoline_kernelINS0_14default_configENS1_38merge_sort_block_merge_config_selectorIlNS0_10empty_typeEEEZZNS1_27merge_sort_block_merge_implIS3_PlPS5_mZN2at6native12_GLOBAL__N_124unique_dim_cuda_templateIlEESt5tupleIJNSA_6TensorESF_SF_EERKSF_lbbbEUlllE_EE10hipError_tT0_T1_T2_jT3_P12ihipStream_tbPNSt15iterator_traitsISL_E10value_typeEPNSR_ISM_E10value_typeEPSN_NS1_7vsmem_tEENKUlT_SL_SM_SN_E_clIS8_S8_S9_S9_EESK_S10_SL_SM_SN_EUlS10_E0_NS1_11comp_targetILNS1_3genE4ELNS1_11target_archE910ELNS1_3gpuE8ELNS1_3repE0EEENS1_38merge_mergepath_config_static_selectorELNS0_4arch9wavefront6targetE1EEEvSM_,comdat
.Lfunc_end529:
	.size	_ZN7rocprim17ROCPRIM_400000_NS6detail17trampoline_kernelINS0_14default_configENS1_38merge_sort_block_merge_config_selectorIlNS0_10empty_typeEEEZZNS1_27merge_sort_block_merge_implIS3_PlPS5_mZN2at6native12_GLOBAL__N_124unique_dim_cuda_templateIlEESt5tupleIJNSA_6TensorESF_SF_EERKSF_lbbbEUlllE_EE10hipError_tT0_T1_T2_jT3_P12ihipStream_tbPNSt15iterator_traitsISL_E10value_typeEPNSR_ISM_E10value_typeEPSN_NS1_7vsmem_tEENKUlT_SL_SM_SN_E_clIS8_S8_S9_S9_EESK_S10_SL_SM_SN_EUlS10_E0_NS1_11comp_targetILNS1_3genE4ELNS1_11target_archE910ELNS1_3gpuE8ELNS1_3repE0EEENS1_38merge_mergepath_config_static_selectorELNS0_4arch9wavefront6targetE1EEEvSM_, .Lfunc_end529-_ZN7rocprim17ROCPRIM_400000_NS6detail17trampoline_kernelINS0_14default_configENS1_38merge_sort_block_merge_config_selectorIlNS0_10empty_typeEEEZZNS1_27merge_sort_block_merge_implIS3_PlPS5_mZN2at6native12_GLOBAL__N_124unique_dim_cuda_templateIlEESt5tupleIJNSA_6TensorESF_SF_EERKSF_lbbbEUlllE_EE10hipError_tT0_T1_T2_jT3_P12ihipStream_tbPNSt15iterator_traitsISL_E10value_typeEPNSR_ISM_E10value_typeEPSN_NS1_7vsmem_tEENKUlT_SL_SM_SN_E_clIS8_S8_S9_S9_EESK_S10_SL_SM_SN_EUlS10_E0_NS1_11comp_targetILNS1_3genE4ELNS1_11target_archE910ELNS1_3gpuE8ELNS1_3repE0EEENS1_38merge_mergepath_config_static_selectorELNS0_4arch9wavefront6targetE1EEEvSM_
                                        ; -- End function
	.section	.AMDGPU.csdata,"",@progbits
; Kernel info:
; codeLenInByte = 0
; NumSgprs: 6
; NumVgprs: 0
; NumAgprs: 0
; TotalNumVgprs: 0
; ScratchSize: 0
; MemoryBound: 0
; FloatMode: 240
; IeeeMode: 1
; LDSByteSize: 0 bytes/workgroup (compile time only)
; SGPRBlocks: 0
; VGPRBlocks: 0
; NumSGPRsForWavesPerEU: 6
; NumVGPRsForWavesPerEU: 1
; AccumOffset: 4
; Occupancy: 8
; WaveLimiterHint : 0
; COMPUTE_PGM_RSRC2:SCRATCH_EN: 0
; COMPUTE_PGM_RSRC2:USER_SGPR: 2
; COMPUTE_PGM_RSRC2:TRAP_HANDLER: 0
; COMPUTE_PGM_RSRC2:TGID_X_EN: 1
; COMPUTE_PGM_RSRC2:TGID_Y_EN: 0
; COMPUTE_PGM_RSRC2:TGID_Z_EN: 0
; COMPUTE_PGM_RSRC2:TIDIG_COMP_CNT: 0
; COMPUTE_PGM_RSRC3_GFX90A:ACCUM_OFFSET: 0
; COMPUTE_PGM_RSRC3_GFX90A:TG_SPLIT: 0
	.section	.text._ZN7rocprim17ROCPRIM_400000_NS6detail17trampoline_kernelINS0_14default_configENS1_38merge_sort_block_merge_config_selectorIlNS0_10empty_typeEEEZZNS1_27merge_sort_block_merge_implIS3_PlPS5_mZN2at6native12_GLOBAL__N_124unique_dim_cuda_templateIlEESt5tupleIJNSA_6TensorESF_SF_EERKSF_lbbbEUlllE_EE10hipError_tT0_T1_T2_jT3_P12ihipStream_tbPNSt15iterator_traitsISL_E10value_typeEPNSR_ISM_E10value_typeEPSN_NS1_7vsmem_tEENKUlT_SL_SM_SN_E_clIS8_S8_S9_S9_EESK_S10_SL_SM_SN_EUlS10_E0_NS1_11comp_targetILNS1_3genE3ELNS1_11target_archE908ELNS1_3gpuE7ELNS1_3repE0EEENS1_38merge_mergepath_config_static_selectorELNS0_4arch9wavefront6targetE1EEEvSM_,"axG",@progbits,_ZN7rocprim17ROCPRIM_400000_NS6detail17trampoline_kernelINS0_14default_configENS1_38merge_sort_block_merge_config_selectorIlNS0_10empty_typeEEEZZNS1_27merge_sort_block_merge_implIS3_PlPS5_mZN2at6native12_GLOBAL__N_124unique_dim_cuda_templateIlEESt5tupleIJNSA_6TensorESF_SF_EERKSF_lbbbEUlllE_EE10hipError_tT0_T1_T2_jT3_P12ihipStream_tbPNSt15iterator_traitsISL_E10value_typeEPNSR_ISM_E10value_typeEPSN_NS1_7vsmem_tEENKUlT_SL_SM_SN_E_clIS8_S8_S9_S9_EESK_S10_SL_SM_SN_EUlS10_E0_NS1_11comp_targetILNS1_3genE3ELNS1_11target_archE908ELNS1_3gpuE7ELNS1_3repE0EEENS1_38merge_mergepath_config_static_selectorELNS0_4arch9wavefront6targetE1EEEvSM_,comdat
	.globl	_ZN7rocprim17ROCPRIM_400000_NS6detail17trampoline_kernelINS0_14default_configENS1_38merge_sort_block_merge_config_selectorIlNS0_10empty_typeEEEZZNS1_27merge_sort_block_merge_implIS3_PlPS5_mZN2at6native12_GLOBAL__N_124unique_dim_cuda_templateIlEESt5tupleIJNSA_6TensorESF_SF_EERKSF_lbbbEUlllE_EE10hipError_tT0_T1_T2_jT3_P12ihipStream_tbPNSt15iterator_traitsISL_E10value_typeEPNSR_ISM_E10value_typeEPSN_NS1_7vsmem_tEENKUlT_SL_SM_SN_E_clIS8_S8_S9_S9_EESK_S10_SL_SM_SN_EUlS10_E0_NS1_11comp_targetILNS1_3genE3ELNS1_11target_archE908ELNS1_3gpuE7ELNS1_3repE0EEENS1_38merge_mergepath_config_static_selectorELNS0_4arch9wavefront6targetE1EEEvSM_ ; -- Begin function _ZN7rocprim17ROCPRIM_400000_NS6detail17trampoline_kernelINS0_14default_configENS1_38merge_sort_block_merge_config_selectorIlNS0_10empty_typeEEEZZNS1_27merge_sort_block_merge_implIS3_PlPS5_mZN2at6native12_GLOBAL__N_124unique_dim_cuda_templateIlEESt5tupleIJNSA_6TensorESF_SF_EERKSF_lbbbEUlllE_EE10hipError_tT0_T1_T2_jT3_P12ihipStream_tbPNSt15iterator_traitsISL_E10value_typeEPNSR_ISM_E10value_typeEPSN_NS1_7vsmem_tEENKUlT_SL_SM_SN_E_clIS8_S8_S9_S9_EESK_S10_SL_SM_SN_EUlS10_E0_NS1_11comp_targetILNS1_3genE3ELNS1_11target_archE908ELNS1_3gpuE7ELNS1_3repE0EEENS1_38merge_mergepath_config_static_selectorELNS0_4arch9wavefront6targetE1EEEvSM_
	.p2align	8
	.type	_ZN7rocprim17ROCPRIM_400000_NS6detail17trampoline_kernelINS0_14default_configENS1_38merge_sort_block_merge_config_selectorIlNS0_10empty_typeEEEZZNS1_27merge_sort_block_merge_implIS3_PlPS5_mZN2at6native12_GLOBAL__N_124unique_dim_cuda_templateIlEESt5tupleIJNSA_6TensorESF_SF_EERKSF_lbbbEUlllE_EE10hipError_tT0_T1_T2_jT3_P12ihipStream_tbPNSt15iterator_traitsISL_E10value_typeEPNSR_ISM_E10value_typeEPSN_NS1_7vsmem_tEENKUlT_SL_SM_SN_E_clIS8_S8_S9_S9_EESK_S10_SL_SM_SN_EUlS10_E0_NS1_11comp_targetILNS1_3genE3ELNS1_11target_archE908ELNS1_3gpuE7ELNS1_3repE0EEENS1_38merge_mergepath_config_static_selectorELNS0_4arch9wavefront6targetE1EEEvSM_,@function
_ZN7rocprim17ROCPRIM_400000_NS6detail17trampoline_kernelINS0_14default_configENS1_38merge_sort_block_merge_config_selectorIlNS0_10empty_typeEEEZZNS1_27merge_sort_block_merge_implIS3_PlPS5_mZN2at6native12_GLOBAL__N_124unique_dim_cuda_templateIlEESt5tupleIJNSA_6TensorESF_SF_EERKSF_lbbbEUlllE_EE10hipError_tT0_T1_T2_jT3_P12ihipStream_tbPNSt15iterator_traitsISL_E10value_typeEPNSR_ISM_E10value_typeEPSN_NS1_7vsmem_tEENKUlT_SL_SM_SN_E_clIS8_S8_S9_S9_EESK_S10_SL_SM_SN_EUlS10_E0_NS1_11comp_targetILNS1_3genE3ELNS1_11target_archE908ELNS1_3gpuE7ELNS1_3repE0EEENS1_38merge_mergepath_config_static_selectorELNS0_4arch9wavefront6targetE1EEEvSM_: ; @_ZN7rocprim17ROCPRIM_400000_NS6detail17trampoline_kernelINS0_14default_configENS1_38merge_sort_block_merge_config_selectorIlNS0_10empty_typeEEEZZNS1_27merge_sort_block_merge_implIS3_PlPS5_mZN2at6native12_GLOBAL__N_124unique_dim_cuda_templateIlEESt5tupleIJNSA_6TensorESF_SF_EERKSF_lbbbEUlllE_EE10hipError_tT0_T1_T2_jT3_P12ihipStream_tbPNSt15iterator_traitsISL_E10value_typeEPNSR_ISM_E10value_typeEPSN_NS1_7vsmem_tEENKUlT_SL_SM_SN_E_clIS8_S8_S9_S9_EESK_S10_SL_SM_SN_EUlS10_E0_NS1_11comp_targetILNS1_3genE3ELNS1_11target_archE908ELNS1_3gpuE7ELNS1_3repE0EEENS1_38merge_mergepath_config_static_selectorELNS0_4arch9wavefront6targetE1EEEvSM_
; %bb.0:
	.section	.rodata,"a",@progbits
	.p2align	6, 0x0
	.amdhsa_kernel _ZN7rocprim17ROCPRIM_400000_NS6detail17trampoline_kernelINS0_14default_configENS1_38merge_sort_block_merge_config_selectorIlNS0_10empty_typeEEEZZNS1_27merge_sort_block_merge_implIS3_PlPS5_mZN2at6native12_GLOBAL__N_124unique_dim_cuda_templateIlEESt5tupleIJNSA_6TensorESF_SF_EERKSF_lbbbEUlllE_EE10hipError_tT0_T1_T2_jT3_P12ihipStream_tbPNSt15iterator_traitsISL_E10value_typeEPNSR_ISM_E10value_typeEPSN_NS1_7vsmem_tEENKUlT_SL_SM_SN_E_clIS8_S8_S9_S9_EESK_S10_SL_SM_SN_EUlS10_E0_NS1_11comp_targetILNS1_3genE3ELNS1_11target_archE908ELNS1_3gpuE7ELNS1_3repE0EEENS1_38merge_mergepath_config_static_selectorELNS0_4arch9wavefront6targetE1EEEvSM_
		.amdhsa_group_segment_fixed_size 0
		.amdhsa_private_segment_fixed_size 0
		.amdhsa_kernarg_size 88
		.amdhsa_user_sgpr_count 2
		.amdhsa_user_sgpr_dispatch_ptr 0
		.amdhsa_user_sgpr_queue_ptr 0
		.amdhsa_user_sgpr_kernarg_segment_ptr 1
		.amdhsa_user_sgpr_dispatch_id 0
		.amdhsa_user_sgpr_kernarg_preload_length 0
		.amdhsa_user_sgpr_kernarg_preload_offset 0
		.amdhsa_user_sgpr_private_segment_size 0
		.amdhsa_uses_dynamic_stack 0
		.amdhsa_enable_private_segment 0
		.amdhsa_system_sgpr_workgroup_id_x 1
		.amdhsa_system_sgpr_workgroup_id_y 0
		.amdhsa_system_sgpr_workgroup_id_z 0
		.amdhsa_system_sgpr_workgroup_info 0
		.amdhsa_system_vgpr_workitem_id 0
		.amdhsa_next_free_vgpr 1
		.amdhsa_next_free_sgpr 0
		.amdhsa_accum_offset 4
		.amdhsa_reserve_vcc 0
		.amdhsa_float_round_mode_32 0
		.amdhsa_float_round_mode_16_64 0
		.amdhsa_float_denorm_mode_32 3
		.amdhsa_float_denorm_mode_16_64 3
		.amdhsa_dx10_clamp 1
		.amdhsa_ieee_mode 1
		.amdhsa_fp16_overflow 0
		.amdhsa_tg_split 0
		.amdhsa_exception_fp_ieee_invalid_op 0
		.amdhsa_exception_fp_denorm_src 0
		.amdhsa_exception_fp_ieee_div_zero 0
		.amdhsa_exception_fp_ieee_overflow 0
		.amdhsa_exception_fp_ieee_underflow 0
		.amdhsa_exception_fp_ieee_inexact 0
		.amdhsa_exception_int_div_zero 0
	.end_amdhsa_kernel
	.section	.text._ZN7rocprim17ROCPRIM_400000_NS6detail17trampoline_kernelINS0_14default_configENS1_38merge_sort_block_merge_config_selectorIlNS0_10empty_typeEEEZZNS1_27merge_sort_block_merge_implIS3_PlPS5_mZN2at6native12_GLOBAL__N_124unique_dim_cuda_templateIlEESt5tupleIJNSA_6TensorESF_SF_EERKSF_lbbbEUlllE_EE10hipError_tT0_T1_T2_jT3_P12ihipStream_tbPNSt15iterator_traitsISL_E10value_typeEPNSR_ISM_E10value_typeEPSN_NS1_7vsmem_tEENKUlT_SL_SM_SN_E_clIS8_S8_S9_S9_EESK_S10_SL_SM_SN_EUlS10_E0_NS1_11comp_targetILNS1_3genE3ELNS1_11target_archE908ELNS1_3gpuE7ELNS1_3repE0EEENS1_38merge_mergepath_config_static_selectorELNS0_4arch9wavefront6targetE1EEEvSM_,"axG",@progbits,_ZN7rocprim17ROCPRIM_400000_NS6detail17trampoline_kernelINS0_14default_configENS1_38merge_sort_block_merge_config_selectorIlNS0_10empty_typeEEEZZNS1_27merge_sort_block_merge_implIS3_PlPS5_mZN2at6native12_GLOBAL__N_124unique_dim_cuda_templateIlEESt5tupleIJNSA_6TensorESF_SF_EERKSF_lbbbEUlllE_EE10hipError_tT0_T1_T2_jT3_P12ihipStream_tbPNSt15iterator_traitsISL_E10value_typeEPNSR_ISM_E10value_typeEPSN_NS1_7vsmem_tEENKUlT_SL_SM_SN_E_clIS8_S8_S9_S9_EESK_S10_SL_SM_SN_EUlS10_E0_NS1_11comp_targetILNS1_3genE3ELNS1_11target_archE908ELNS1_3gpuE7ELNS1_3repE0EEENS1_38merge_mergepath_config_static_selectorELNS0_4arch9wavefront6targetE1EEEvSM_,comdat
.Lfunc_end530:
	.size	_ZN7rocprim17ROCPRIM_400000_NS6detail17trampoline_kernelINS0_14default_configENS1_38merge_sort_block_merge_config_selectorIlNS0_10empty_typeEEEZZNS1_27merge_sort_block_merge_implIS3_PlPS5_mZN2at6native12_GLOBAL__N_124unique_dim_cuda_templateIlEESt5tupleIJNSA_6TensorESF_SF_EERKSF_lbbbEUlllE_EE10hipError_tT0_T1_T2_jT3_P12ihipStream_tbPNSt15iterator_traitsISL_E10value_typeEPNSR_ISM_E10value_typeEPSN_NS1_7vsmem_tEENKUlT_SL_SM_SN_E_clIS8_S8_S9_S9_EESK_S10_SL_SM_SN_EUlS10_E0_NS1_11comp_targetILNS1_3genE3ELNS1_11target_archE908ELNS1_3gpuE7ELNS1_3repE0EEENS1_38merge_mergepath_config_static_selectorELNS0_4arch9wavefront6targetE1EEEvSM_, .Lfunc_end530-_ZN7rocprim17ROCPRIM_400000_NS6detail17trampoline_kernelINS0_14default_configENS1_38merge_sort_block_merge_config_selectorIlNS0_10empty_typeEEEZZNS1_27merge_sort_block_merge_implIS3_PlPS5_mZN2at6native12_GLOBAL__N_124unique_dim_cuda_templateIlEESt5tupleIJNSA_6TensorESF_SF_EERKSF_lbbbEUlllE_EE10hipError_tT0_T1_T2_jT3_P12ihipStream_tbPNSt15iterator_traitsISL_E10value_typeEPNSR_ISM_E10value_typeEPSN_NS1_7vsmem_tEENKUlT_SL_SM_SN_E_clIS8_S8_S9_S9_EESK_S10_SL_SM_SN_EUlS10_E0_NS1_11comp_targetILNS1_3genE3ELNS1_11target_archE908ELNS1_3gpuE7ELNS1_3repE0EEENS1_38merge_mergepath_config_static_selectorELNS0_4arch9wavefront6targetE1EEEvSM_
                                        ; -- End function
	.section	.AMDGPU.csdata,"",@progbits
; Kernel info:
; codeLenInByte = 0
; NumSgprs: 6
; NumVgprs: 0
; NumAgprs: 0
; TotalNumVgprs: 0
; ScratchSize: 0
; MemoryBound: 0
; FloatMode: 240
; IeeeMode: 1
; LDSByteSize: 0 bytes/workgroup (compile time only)
; SGPRBlocks: 0
; VGPRBlocks: 0
; NumSGPRsForWavesPerEU: 6
; NumVGPRsForWavesPerEU: 1
; AccumOffset: 4
; Occupancy: 8
; WaveLimiterHint : 0
; COMPUTE_PGM_RSRC2:SCRATCH_EN: 0
; COMPUTE_PGM_RSRC2:USER_SGPR: 2
; COMPUTE_PGM_RSRC2:TRAP_HANDLER: 0
; COMPUTE_PGM_RSRC2:TGID_X_EN: 1
; COMPUTE_PGM_RSRC2:TGID_Y_EN: 0
; COMPUTE_PGM_RSRC2:TGID_Z_EN: 0
; COMPUTE_PGM_RSRC2:TIDIG_COMP_CNT: 0
; COMPUTE_PGM_RSRC3_GFX90A:ACCUM_OFFSET: 0
; COMPUTE_PGM_RSRC3_GFX90A:TG_SPLIT: 0
	.section	.text._ZN7rocprim17ROCPRIM_400000_NS6detail17trampoline_kernelINS0_14default_configENS1_38merge_sort_block_merge_config_selectorIlNS0_10empty_typeEEEZZNS1_27merge_sort_block_merge_implIS3_PlPS5_mZN2at6native12_GLOBAL__N_124unique_dim_cuda_templateIlEESt5tupleIJNSA_6TensorESF_SF_EERKSF_lbbbEUlllE_EE10hipError_tT0_T1_T2_jT3_P12ihipStream_tbPNSt15iterator_traitsISL_E10value_typeEPNSR_ISM_E10value_typeEPSN_NS1_7vsmem_tEENKUlT_SL_SM_SN_E_clIS8_S8_S9_S9_EESK_S10_SL_SM_SN_EUlS10_E0_NS1_11comp_targetILNS1_3genE2ELNS1_11target_archE906ELNS1_3gpuE6ELNS1_3repE0EEENS1_38merge_mergepath_config_static_selectorELNS0_4arch9wavefront6targetE1EEEvSM_,"axG",@progbits,_ZN7rocprim17ROCPRIM_400000_NS6detail17trampoline_kernelINS0_14default_configENS1_38merge_sort_block_merge_config_selectorIlNS0_10empty_typeEEEZZNS1_27merge_sort_block_merge_implIS3_PlPS5_mZN2at6native12_GLOBAL__N_124unique_dim_cuda_templateIlEESt5tupleIJNSA_6TensorESF_SF_EERKSF_lbbbEUlllE_EE10hipError_tT0_T1_T2_jT3_P12ihipStream_tbPNSt15iterator_traitsISL_E10value_typeEPNSR_ISM_E10value_typeEPSN_NS1_7vsmem_tEENKUlT_SL_SM_SN_E_clIS8_S8_S9_S9_EESK_S10_SL_SM_SN_EUlS10_E0_NS1_11comp_targetILNS1_3genE2ELNS1_11target_archE906ELNS1_3gpuE6ELNS1_3repE0EEENS1_38merge_mergepath_config_static_selectorELNS0_4arch9wavefront6targetE1EEEvSM_,comdat
	.globl	_ZN7rocprim17ROCPRIM_400000_NS6detail17trampoline_kernelINS0_14default_configENS1_38merge_sort_block_merge_config_selectorIlNS0_10empty_typeEEEZZNS1_27merge_sort_block_merge_implIS3_PlPS5_mZN2at6native12_GLOBAL__N_124unique_dim_cuda_templateIlEESt5tupleIJNSA_6TensorESF_SF_EERKSF_lbbbEUlllE_EE10hipError_tT0_T1_T2_jT3_P12ihipStream_tbPNSt15iterator_traitsISL_E10value_typeEPNSR_ISM_E10value_typeEPSN_NS1_7vsmem_tEENKUlT_SL_SM_SN_E_clIS8_S8_S9_S9_EESK_S10_SL_SM_SN_EUlS10_E0_NS1_11comp_targetILNS1_3genE2ELNS1_11target_archE906ELNS1_3gpuE6ELNS1_3repE0EEENS1_38merge_mergepath_config_static_selectorELNS0_4arch9wavefront6targetE1EEEvSM_ ; -- Begin function _ZN7rocprim17ROCPRIM_400000_NS6detail17trampoline_kernelINS0_14default_configENS1_38merge_sort_block_merge_config_selectorIlNS0_10empty_typeEEEZZNS1_27merge_sort_block_merge_implIS3_PlPS5_mZN2at6native12_GLOBAL__N_124unique_dim_cuda_templateIlEESt5tupleIJNSA_6TensorESF_SF_EERKSF_lbbbEUlllE_EE10hipError_tT0_T1_T2_jT3_P12ihipStream_tbPNSt15iterator_traitsISL_E10value_typeEPNSR_ISM_E10value_typeEPSN_NS1_7vsmem_tEENKUlT_SL_SM_SN_E_clIS8_S8_S9_S9_EESK_S10_SL_SM_SN_EUlS10_E0_NS1_11comp_targetILNS1_3genE2ELNS1_11target_archE906ELNS1_3gpuE6ELNS1_3repE0EEENS1_38merge_mergepath_config_static_selectorELNS0_4arch9wavefront6targetE1EEEvSM_
	.p2align	8
	.type	_ZN7rocprim17ROCPRIM_400000_NS6detail17trampoline_kernelINS0_14default_configENS1_38merge_sort_block_merge_config_selectorIlNS0_10empty_typeEEEZZNS1_27merge_sort_block_merge_implIS3_PlPS5_mZN2at6native12_GLOBAL__N_124unique_dim_cuda_templateIlEESt5tupleIJNSA_6TensorESF_SF_EERKSF_lbbbEUlllE_EE10hipError_tT0_T1_T2_jT3_P12ihipStream_tbPNSt15iterator_traitsISL_E10value_typeEPNSR_ISM_E10value_typeEPSN_NS1_7vsmem_tEENKUlT_SL_SM_SN_E_clIS8_S8_S9_S9_EESK_S10_SL_SM_SN_EUlS10_E0_NS1_11comp_targetILNS1_3genE2ELNS1_11target_archE906ELNS1_3gpuE6ELNS1_3repE0EEENS1_38merge_mergepath_config_static_selectorELNS0_4arch9wavefront6targetE1EEEvSM_,@function
_ZN7rocprim17ROCPRIM_400000_NS6detail17trampoline_kernelINS0_14default_configENS1_38merge_sort_block_merge_config_selectorIlNS0_10empty_typeEEEZZNS1_27merge_sort_block_merge_implIS3_PlPS5_mZN2at6native12_GLOBAL__N_124unique_dim_cuda_templateIlEESt5tupleIJNSA_6TensorESF_SF_EERKSF_lbbbEUlllE_EE10hipError_tT0_T1_T2_jT3_P12ihipStream_tbPNSt15iterator_traitsISL_E10value_typeEPNSR_ISM_E10value_typeEPSN_NS1_7vsmem_tEENKUlT_SL_SM_SN_E_clIS8_S8_S9_S9_EESK_S10_SL_SM_SN_EUlS10_E0_NS1_11comp_targetILNS1_3genE2ELNS1_11target_archE906ELNS1_3gpuE6ELNS1_3repE0EEENS1_38merge_mergepath_config_static_selectorELNS0_4arch9wavefront6targetE1EEEvSM_: ; @_ZN7rocprim17ROCPRIM_400000_NS6detail17trampoline_kernelINS0_14default_configENS1_38merge_sort_block_merge_config_selectorIlNS0_10empty_typeEEEZZNS1_27merge_sort_block_merge_implIS3_PlPS5_mZN2at6native12_GLOBAL__N_124unique_dim_cuda_templateIlEESt5tupleIJNSA_6TensorESF_SF_EERKSF_lbbbEUlllE_EE10hipError_tT0_T1_T2_jT3_P12ihipStream_tbPNSt15iterator_traitsISL_E10value_typeEPNSR_ISM_E10value_typeEPSN_NS1_7vsmem_tEENKUlT_SL_SM_SN_E_clIS8_S8_S9_S9_EESK_S10_SL_SM_SN_EUlS10_E0_NS1_11comp_targetILNS1_3genE2ELNS1_11target_archE906ELNS1_3gpuE6ELNS1_3repE0EEENS1_38merge_mergepath_config_static_selectorELNS0_4arch9wavefront6targetE1EEEvSM_
; %bb.0:
	.section	.rodata,"a",@progbits
	.p2align	6, 0x0
	.amdhsa_kernel _ZN7rocprim17ROCPRIM_400000_NS6detail17trampoline_kernelINS0_14default_configENS1_38merge_sort_block_merge_config_selectorIlNS0_10empty_typeEEEZZNS1_27merge_sort_block_merge_implIS3_PlPS5_mZN2at6native12_GLOBAL__N_124unique_dim_cuda_templateIlEESt5tupleIJNSA_6TensorESF_SF_EERKSF_lbbbEUlllE_EE10hipError_tT0_T1_T2_jT3_P12ihipStream_tbPNSt15iterator_traitsISL_E10value_typeEPNSR_ISM_E10value_typeEPSN_NS1_7vsmem_tEENKUlT_SL_SM_SN_E_clIS8_S8_S9_S9_EESK_S10_SL_SM_SN_EUlS10_E0_NS1_11comp_targetILNS1_3genE2ELNS1_11target_archE906ELNS1_3gpuE6ELNS1_3repE0EEENS1_38merge_mergepath_config_static_selectorELNS0_4arch9wavefront6targetE1EEEvSM_
		.amdhsa_group_segment_fixed_size 0
		.amdhsa_private_segment_fixed_size 0
		.amdhsa_kernarg_size 88
		.amdhsa_user_sgpr_count 2
		.amdhsa_user_sgpr_dispatch_ptr 0
		.amdhsa_user_sgpr_queue_ptr 0
		.amdhsa_user_sgpr_kernarg_segment_ptr 1
		.amdhsa_user_sgpr_dispatch_id 0
		.amdhsa_user_sgpr_kernarg_preload_length 0
		.amdhsa_user_sgpr_kernarg_preload_offset 0
		.amdhsa_user_sgpr_private_segment_size 0
		.amdhsa_uses_dynamic_stack 0
		.amdhsa_enable_private_segment 0
		.amdhsa_system_sgpr_workgroup_id_x 1
		.amdhsa_system_sgpr_workgroup_id_y 0
		.amdhsa_system_sgpr_workgroup_id_z 0
		.amdhsa_system_sgpr_workgroup_info 0
		.amdhsa_system_vgpr_workitem_id 0
		.amdhsa_next_free_vgpr 1
		.amdhsa_next_free_sgpr 0
		.amdhsa_accum_offset 4
		.amdhsa_reserve_vcc 0
		.amdhsa_float_round_mode_32 0
		.amdhsa_float_round_mode_16_64 0
		.amdhsa_float_denorm_mode_32 3
		.amdhsa_float_denorm_mode_16_64 3
		.amdhsa_dx10_clamp 1
		.amdhsa_ieee_mode 1
		.amdhsa_fp16_overflow 0
		.amdhsa_tg_split 0
		.amdhsa_exception_fp_ieee_invalid_op 0
		.amdhsa_exception_fp_denorm_src 0
		.amdhsa_exception_fp_ieee_div_zero 0
		.amdhsa_exception_fp_ieee_overflow 0
		.amdhsa_exception_fp_ieee_underflow 0
		.amdhsa_exception_fp_ieee_inexact 0
		.amdhsa_exception_int_div_zero 0
	.end_amdhsa_kernel
	.section	.text._ZN7rocprim17ROCPRIM_400000_NS6detail17trampoline_kernelINS0_14default_configENS1_38merge_sort_block_merge_config_selectorIlNS0_10empty_typeEEEZZNS1_27merge_sort_block_merge_implIS3_PlPS5_mZN2at6native12_GLOBAL__N_124unique_dim_cuda_templateIlEESt5tupleIJNSA_6TensorESF_SF_EERKSF_lbbbEUlllE_EE10hipError_tT0_T1_T2_jT3_P12ihipStream_tbPNSt15iterator_traitsISL_E10value_typeEPNSR_ISM_E10value_typeEPSN_NS1_7vsmem_tEENKUlT_SL_SM_SN_E_clIS8_S8_S9_S9_EESK_S10_SL_SM_SN_EUlS10_E0_NS1_11comp_targetILNS1_3genE2ELNS1_11target_archE906ELNS1_3gpuE6ELNS1_3repE0EEENS1_38merge_mergepath_config_static_selectorELNS0_4arch9wavefront6targetE1EEEvSM_,"axG",@progbits,_ZN7rocprim17ROCPRIM_400000_NS6detail17trampoline_kernelINS0_14default_configENS1_38merge_sort_block_merge_config_selectorIlNS0_10empty_typeEEEZZNS1_27merge_sort_block_merge_implIS3_PlPS5_mZN2at6native12_GLOBAL__N_124unique_dim_cuda_templateIlEESt5tupleIJNSA_6TensorESF_SF_EERKSF_lbbbEUlllE_EE10hipError_tT0_T1_T2_jT3_P12ihipStream_tbPNSt15iterator_traitsISL_E10value_typeEPNSR_ISM_E10value_typeEPSN_NS1_7vsmem_tEENKUlT_SL_SM_SN_E_clIS8_S8_S9_S9_EESK_S10_SL_SM_SN_EUlS10_E0_NS1_11comp_targetILNS1_3genE2ELNS1_11target_archE906ELNS1_3gpuE6ELNS1_3repE0EEENS1_38merge_mergepath_config_static_selectorELNS0_4arch9wavefront6targetE1EEEvSM_,comdat
.Lfunc_end531:
	.size	_ZN7rocprim17ROCPRIM_400000_NS6detail17trampoline_kernelINS0_14default_configENS1_38merge_sort_block_merge_config_selectorIlNS0_10empty_typeEEEZZNS1_27merge_sort_block_merge_implIS3_PlPS5_mZN2at6native12_GLOBAL__N_124unique_dim_cuda_templateIlEESt5tupleIJNSA_6TensorESF_SF_EERKSF_lbbbEUlllE_EE10hipError_tT0_T1_T2_jT3_P12ihipStream_tbPNSt15iterator_traitsISL_E10value_typeEPNSR_ISM_E10value_typeEPSN_NS1_7vsmem_tEENKUlT_SL_SM_SN_E_clIS8_S8_S9_S9_EESK_S10_SL_SM_SN_EUlS10_E0_NS1_11comp_targetILNS1_3genE2ELNS1_11target_archE906ELNS1_3gpuE6ELNS1_3repE0EEENS1_38merge_mergepath_config_static_selectorELNS0_4arch9wavefront6targetE1EEEvSM_, .Lfunc_end531-_ZN7rocprim17ROCPRIM_400000_NS6detail17trampoline_kernelINS0_14default_configENS1_38merge_sort_block_merge_config_selectorIlNS0_10empty_typeEEEZZNS1_27merge_sort_block_merge_implIS3_PlPS5_mZN2at6native12_GLOBAL__N_124unique_dim_cuda_templateIlEESt5tupleIJNSA_6TensorESF_SF_EERKSF_lbbbEUlllE_EE10hipError_tT0_T1_T2_jT3_P12ihipStream_tbPNSt15iterator_traitsISL_E10value_typeEPNSR_ISM_E10value_typeEPSN_NS1_7vsmem_tEENKUlT_SL_SM_SN_E_clIS8_S8_S9_S9_EESK_S10_SL_SM_SN_EUlS10_E0_NS1_11comp_targetILNS1_3genE2ELNS1_11target_archE906ELNS1_3gpuE6ELNS1_3repE0EEENS1_38merge_mergepath_config_static_selectorELNS0_4arch9wavefront6targetE1EEEvSM_
                                        ; -- End function
	.section	.AMDGPU.csdata,"",@progbits
; Kernel info:
; codeLenInByte = 0
; NumSgprs: 6
; NumVgprs: 0
; NumAgprs: 0
; TotalNumVgprs: 0
; ScratchSize: 0
; MemoryBound: 0
; FloatMode: 240
; IeeeMode: 1
; LDSByteSize: 0 bytes/workgroup (compile time only)
; SGPRBlocks: 0
; VGPRBlocks: 0
; NumSGPRsForWavesPerEU: 6
; NumVGPRsForWavesPerEU: 1
; AccumOffset: 4
; Occupancy: 8
; WaveLimiterHint : 0
; COMPUTE_PGM_RSRC2:SCRATCH_EN: 0
; COMPUTE_PGM_RSRC2:USER_SGPR: 2
; COMPUTE_PGM_RSRC2:TRAP_HANDLER: 0
; COMPUTE_PGM_RSRC2:TGID_X_EN: 1
; COMPUTE_PGM_RSRC2:TGID_Y_EN: 0
; COMPUTE_PGM_RSRC2:TGID_Z_EN: 0
; COMPUTE_PGM_RSRC2:TIDIG_COMP_CNT: 0
; COMPUTE_PGM_RSRC3_GFX90A:ACCUM_OFFSET: 0
; COMPUTE_PGM_RSRC3_GFX90A:TG_SPLIT: 0
	.section	.text._ZN7rocprim17ROCPRIM_400000_NS6detail17trampoline_kernelINS0_14default_configENS1_38merge_sort_block_merge_config_selectorIlNS0_10empty_typeEEEZZNS1_27merge_sort_block_merge_implIS3_PlPS5_mZN2at6native12_GLOBAL__N_124unique_dim_cuda_templateIlEESt5tupleIJNSA_6TensorESF_SF_EERKSF_lbbbEUlllE_EE10hipError_tT0_T1_T2_jT3_P12ihipStream_tbPNSt15iterator_traitsISL_E10value_typeEPNSR_ISM_E10value_typeEPSN_NS1_7vsmem_tEENKUlT_SL_SM_SN_E_clIS8_S8_S9_S9_EESK_S10_SL_SM_SN_EUlS10_E0_NS1_11comp_targetILNS1_3genE9ELNS1_11target_archE1100ELNS1_3gpuE3ELNS1_3repE0EEENS1_38merge_mergepath_config_static_selectorELNS0_4arch9wavefront6targetE1EEEvSM_,"axG",@progbits,_ZN7rocprim17ROCPRIM_400000_NS6detail17trampoline_kernelINS0_14default_configENS1_38merge_sort_block_merge_config_selectorIlNS0_10empty_typeEEEZZNS1_27merge_sort_block_merge_implIS3_PlPS5_mZN2at6native12_GLOBAL__N_124unique_dim_cuda_templateIlEESt5tupleIJNSA_6TensorESF_SF_EERKSF_lbbbEUlllE_EE10hipError_tT0_T1_T2_jT3_P12ihipStream_tbPNSt15iterator_traitsISL_E10value_typeEPNSR_ISM_E10value_typeEPSN_NS1_7vsmem_tEENKUlT_SL_SM_SN_E_clIS8_S8_S9_S9_EESK_S10_SL_SM_SN_EUlS10_E0_NS1_11comp_targetILNS1_3genE9ELNS1_11target_archE1100ELNS1_3gpuE3ELNS1_3repE0EEENS1_38merge_mergepath_config_static_selectorELNS0_4arch9wavefront6targetE1EEEvSM_,comdat
	.globl	_ZN7rocprim17ROCPRIM_400000_NS6detail17trampoline_kernelINS0_14default_configENS1_38merge_sort_block_merge_config_selectorIlNS0_10empty_typeEEEZZNS1_27merge_sort_block_merge_implIS3_PlPS5_mZN2at6native12_GLOBAL__N_124unique_dim_cuda_templateIlEESt5tupleIJNSA_6TensorESF_SF_EERKSF_lbbbEUlllE_EE10hipError_tT0_T1_T2_jT3_P12ihipStream_tbPNSt15iterator_traitsISL_E10value_typeEPNSR_ISM_E10value_typeEPSN_NS1_7vsmem_tEENKUlT_SL_SM_SN_E_clIS8_S8_S9_S9_EESK_S10_SL_SM_SN_EUlS10_E0_NS1_11comp_targetILNS1_3genE9ELNS1_11target_archE1100ELNS1_3gpuE3ELNS1_3repE0EEENS1_38merge_mergepath_config_static_selectorELNS0_4arch9wavefront6targetE1EEEvSM_ ; -- Begin function _ZN7rocprim17ROCPRIM_400000_NS6detail17trampoline_kernelINS0_14default_configENS1_38merge_sort_block_merge_config_selectorIlNS0_10empty_typeEEEZZNS1_27merge_sort_block_merge_implIS3_PlPS5_mZN2at6native12_GLOBAL__N_124unique_dim_cuda_templateIlEESt5tupleIJNSA_6TensorESF_SF_EERKSF_lbbbEUlllE_EE10hipError_tT0_T1_T2_jT3_P12ihipStream_tbPNSt15iterator_traitsISL_E10value_typeEPNSR_ISM_E10value_typeEPSN_NS1_7vsmem_tEENKUlT_SL_SM_SN_E_clIS8_S8_S9_S9_EESK_S10_SL_SM_SN_EUlS10_E0_NS1_11comp_targetILNS1_3genE9ELNS1_11target_archE1100ELNS1_3gpuE3ELNS1_3repE0EEENS1_38merge_mergepath_config_static_selectorELNS0_4arch9wavefront6targetE1EEEvSM_
	.p2align	8
	.type	_ZN7rocprim17ROCPRIM_400000_NS6detail17trampoline_kernelINS0_14default_configENS1_38merge_sort_block_merge_config_selectorIlNS0_10empty_typeEEEZZNS1_27merge_sort_block_merge_implIS3_PlPS5_mZN2at6native12_GLOBAL__N_124unique_dim_cuda_templateIlEESt5tupleIJNSA_6TensorESF_SF_EERKSF_lbbbEUlllE_EE10hipError_tT0_T1_T2_jT3_P12ihipStream_tbPNSt15iterator_traitsISL_E10value_typeEPNSR_ISM_E10value_typeEPSN_NS1_7vsmem_tEENKUlT_SL_SM_SN_E_clIS8_S8_S9_S9_EESK_S10_SL_SM_SN_EUlS10_E0_NS1_11comp_targetILNS1_3genE9ELNS1_11target_archE1100ELNS1_3gpuE3ELNS1_3repE0EEENS1_38merge_mergepath_config_static_selectorELNS0_4arch9wavefront6targetE1EEEvSM_,@function
_ZN7rocprim17ROCPRIM_400000_NS6detail17trampoline_kernelINS0_14default_configENS1_38merge_sort_block_merge_config_selectorIlNS0_10empty_typeEEEZZNS1_27merge_sort_block_merge_implIS3_PlPS5_mZN2at6native12_GLOBAL__N_124unique_dim_cuda_templateIlEESt5tupleIJNSA_6TensorESF_SF_EERKSF_lbbbEUlllE_EE10hipError_tT0_T1_T2_jT3_P12ihipStream_tbPNSt15iterator_traitsISL_E10value_typeEPNSR_ISM_E10value_typeEPSN_NS1_7vsmem_tEENKUlT_SL_SM_SN_E_clIS8_S8_S9_S9_EESK_S10_SL_SM_SN_EUlS10_E0_NS1_11comp_targetILNS1_3genE9ELNS1_11target_archE1100ELNS1_3gpuE3ELNS1_3repE0EEENS1_38merge_mergepath_config_static_selectorELNS0_4arch9wavefront6targetE1EEEvSM_: ; @_ZN7rocprim17ROCPRIM_400000_NS6detail17trampoline_kernelINS0_14default_configENS1_38merge_sort_block_merge_config_selectorIlNS0_10empty_typeEEEZZNS1_27merge_sort_block_merge_implIS3_PlPS5_mZN2at6native12_GLOBAL__N_124unique_dim_cuda_templateIlEESt5tupleIJNSA_6TensorESF_SF_EERKSF_lbbbEUlllE_EE10hipError_tT0_T1_T2_jT3_P12ihipStream_tbPNSt15iterator_traitsISL_E10value_typeEPNSR_ISM_E10value_typeEPSN_NS1_7vsmem_tEENKUlT_SL_SM_SN_E_clIS8_S8_S9_S9_EESK_S10_SL_SM_SN_EUlS10_E0_NS1_11comp_targetILNS1_3genE9ELNS1_11target_archE1100ELNS1_3gpuE3ELNS1_3repE0EEENS1_38merge_mergepath_config_static_selectorELNS0_4arch9wavefront6targetE1EEEvSM_
; %bb.0:
	.section	.rodata,"a",@progbits
	.p2align	6, 0x0
	.amdhsa_kernel _ZN7rocprim17ROCPRIM_400000_NS6detail17trampoline_kernelINS0_14default_configENS1_38merge_sort_block_merge_config_selectorIlNS0_10empty_typeEEEZZNS1_27merge_sort_block_merge_implIS3_PlPS5_mZN2at6native12_GLOBAL__N_124unique_dim_cuda_templateIlEESt5tupleIJNSA_6TensorESF_SF_EERKSF_lbbbEUlllE_EE10hipError_tT0_T1_T2_jT3_P12ihipStream_tbPNSt15iterator_traitsISL_E10value_typeEPNSR_ISM_E10value_typeEPSN_NS1_7vsmem_tEENKUlT_SL_SM_SN_E_clIS8_S8_S9_S9_EESK_S10_SL_SM_SN_EUlS10_E0_NS1_11comp_targetILNS1_3genE9ELNS1_11target_archE1100ELNS1_3gpuE3ELNS1_3repE0EEENS1_38merge_mergepath_config_static_selectorELNS0_4arch9wavefront6targetE1EEEvSM_
		.amdhsa_group_segment_fixed_size 0
		.amdhsa_private_segment_fixed_size 0
		.amdhsa_kernarg_size 88
		.amdhsa_user_sgpr_count 2
		.amdhsa_user_sgpr_dispatch_ptr 0
		.amdhsa_user_sgpr_queue_ptr 0
		.amdhsa_user_sgpr_kernarg_segment_ptr 1
		.amdhsa_user_sgpr_dispatch_id 0
		.amdhsa_user_sgpr_kernarg_preload_length 0
		.amdhsa_user_sgpr_kernarg_preload_offset 0
		.amdhsa_user_sgpr_private_segment_size 0
		.amdhsa_uses_dynamic_stack 0
		.amdhsa_enable_private_segment 0
		.amdhsa_system_sgpr_workgroup_id_x 1
		.amdhsa_system_sgpr_workgroup_id_y 0
		.amdhsa_system_sgpr_workgroup_id_z 0
		.amdhsa_system_sgpr_workgroup_info 0
		.amdhsa_system_vgpr_workitem_id 0
		.amdhsa_next_free_vgpr 1
		.amdhsa_next_free_sgpr 0
		.amdhsa_accum_offset 4
		.amdhsa_reserve_vcc 0
		.amdhsa_float_round_mode_32 0
		.amdhsa_float_round_mode_16_64 0
		.amdhsa_float_denorm_mode_32 3
		.amdhsa_float_denorm_mode_16_64 3
		.amdhsa_dx10_clamp 1
		.amdhsa_ieee_mode 1
		.amdhsa_fp16_overflow 0
		.amdhsa_tg_split 0
		.amdhsa_exception_fp_ieee_invalid_op 0
		.amdhsa_exception_fp_denorm_src 0
		.amdhsa_exception_fp_ieee_div_zero 0
		.amdhsa_exception_fp_ieee_overflow 0
		.amdhsa_exception_fp_ieee_underflow 0
		.amdhsa_exception_fp_ieee_inexact 0
		.amdhsa_exception_int_div_zero 0
	.end_amdhsa_kernel
	.section	.text._ZN7rocprim17ROCPRIM_400000_NS6detail17trampoline_kernelINS0_14default_configENS1_38merge_sort_block_merge_config_selectorIlNS0_10empty_typeEEEZZNS1_27merge_sort_block_merge_implIS3_PlPS5_mZN2at6native12_GLOBAL__N_124unique_dim_cuda_templateIlEESt5tupleIJNSA_6TensorESF_SF_EERKSF_lbbbEUlllE_EE10hipError_tT0_T1_T2_jT3_P12ihipStream_tbPNSt15iterator_traitsISL_E10value_typeEPNSR_ISM_E10value_typeEPSN_NS1_7vsmem_tEENKUlT_SL_SM_SN_E_clIS8_S8_S9_S9_EESK_S10_SL_SM_SN_EUlS10_E0_NS1_11comp_targetILNS1_3genE9ELNS1_11target_archE1100ELNS1_3gpuE3ELNS1_3repE0EEENS1_38merge_mergepath_config_static_selectorELNS0_4arch9wavefront6targetE1EEEvSM_,"axG",@progbits,_ZN7rocprim17ROCPRIM_400000_NS6detail17trampoline_kernelINS0_14default_configENS1_38merge_sort_block_merge_config_selectorIlNS0_10empty_typeEEEZZNS1_27merge_sort_block_merge_implIS3_PlPS5_mZN2at6native12_GLOBAL__N_124unique_dim_cuda_templateIlEESt5tupleIJNSA_6TensorESF_SF_EERKSF_lbbbEUlllE_EE10hipError_tT0_T1_T2_jT3_P12ihipStream_tbPNSt15iterator_traitsISL_E10value_typeEPNSR_ISM_E10value_typeEPSN_NS1_7vsmem_tEENKUlT_SL_SM_SN_E_clIS8_S8_S9_S9_EESK_S10_SL_SM_SN_EUlS10_E0_NS1_11comp_targetILNS1_3genE9ELNS1_11target_archE1100ELNS1_3gpuE3ELNS1_3repE0EEENS1_38merge_mergepath_config_static_selectorELNS0_4arch9wavefront6targetE1EEEvSM_,comdat
.Lfunc_end532:
	.size	_ZN7rocprim17ROCPRIM_400000_NS6detail17trampoline_kernelINS0_14default_configENS1_38merge_sort_block_merge_config_selectorIlNS0_10empty_typeEEEZZNS1_27merge_sort_block_merge_implIS3_PlPS5_mZN2at6native12_GLOBAL__N_124unique_dim_cuda_templateIlEESt5tupleIJNSA_6TensorESF_SF_EERKSF_lbbbEUlllE_EE10hipError_tT0_T1_T2_jT3_P12ihipStream_tbPNSt15iterator_traitsISL_E10value_typeEPNSR_ISM_E10value_typeEPSN_NS1_7vsmem_tEENKUlT_SL_SM_SN_E_clIS8_S8_S9_S9_EESK_S10_SL_SM_SN_EUlS10_E0_NS1_11comp_targetILNS1_3genE9ELNS1_11target_archE1100ELNS1_3gpuE3ELNS1_3repE0EEENS1_38merge_mergepath_config_static_selectorELNS0_4arch9wavefront6targetE1EEEvSM_, .Lfunc_end532-_ZN7rocprim17ROCPRIM_400000_NS6detail17trampoline_kernelINS0_14default_configENS1_38merge_sort_block_merge_config_selectorIlNS0_10empty_typeEEEZZNS1_27merge_sort_block_merge_implIS3_PlPS5_mZN2at6native12_GLOBAL__N_124unique_dim_cuda_templateIlEESt5tupleIJNSA_6TensorESF_SF_EERKSF_lbbbEUlllE_EE10hipError_tT0_T1_T2_jT3_P12ihipStream_tbPNSt15iterator_traitsISL_E10value_typeEPNSR_ISM_E10value_typeEPSN_NS1_7vsmem_tEENKUlT_SL_SM_SN_E_clIS8_S8_S9_S9_EESK_S10_SL_SM_SN_EUlS10_E0_NS1_11comp_targetILNS1_3genE9ELNS1_11target_archE1100ELNS1_3gpuE3ELNS1_3repE0EEENS1_38merge_mergepath_config_static_selectorELNS0_4arch9wavefront6targetE1EEEvSM_
                                        ; -- End function
	.section	.AMDGPU.csdata,"",@progbits
; Kernel info:
; codeLenInByte = 0
; NumSgprs: 6
; NumVgprs: 0
; NumAgprs: 0
; TotalNumVgprs: 0
; ScratchSize: 0
; MemoryBound: 0
; FloatMode: 240
; IeeeMode: 1
; LDSByteSize: 0 bytes/workgroup (compile time only)
; SGPRBlocks: 0
; VGPRBlocks: 0
; NumSGPRsForWavesPerEU: 6
; NumVGPRsForWavesPerEU: 1
; AccumOffset: 4
; Occupancy: 8
; WaveLimiterHint : 0
; COMPUTE_PGM_RSRC2:SCRATCH_EN: 0
; COMPUTE_PGM_RSRC2:USER_SGPR: 2
; COMPUTE_PGM_RSRC2:TRAP_HANDLER: 0
; COMPUTE_PGM_RSRC2:TGID_X_EN: 1
; COMPUTE_PGM_RSRC2:TGID_Y_EN: 0
; COMPUTE_PGM_RSRC2:TGID_Z_EN: 0
; COMPUTE_PGM_RSRC2:TIDIG_COMP_CNT: 0
; COMPUTE_PGM_RSRC3_GFX90A:ACCUM_OFFSET: 0
; COMPUTE_PGM_RSRC3_GFX90A:TG_SPLIT: 0
	.section	.text._ZN7rocprim17ROCPRIM_400000_NS6detail17trampoline_kernelINS0_14default_configENS1_38merge_sort_block_merge_config_selectorIlNS0_10empty_typeEEEZZNS1_27merge_sort_block_merge_implIS3_PlPS5_mZN2at6native12_GLOBAL__N_124unique_dim_cuda_templateIlEESt5tupleIJNSA_6TensorESF_SF_EERKSF_lbbbEUlllE_EE10hipError_tT0_T1_T2_jT3_P12ihipStream_tbPNSt15iterator_traitsISL_E10value_typeEPNSR_ISM_E10value_typeEPSN_NS1_7vsmem_tEENKUlT_SL_SM_SN_E_clIS8_S8_S9_S9_EESK_S10_SL_SM_SN_EUlS10_E0_NS1_11comp_targetILNS1_3genE8ELNS1_11target_archE1030ELNS1_3gpuE2ELNS1_3repE0EEENS1_38merge_mergepath_config_static_selectorELNS0_4arch9wavefront6targetE1EEEvSM_,"axG",@progbits,_ZN7rocprim17ROCPRIM_400000_NS6detail17trampoline_kernelINS0_14default_configENS1_38merge_sort_block_merge_config_selectorIlNS0_10empty_typeEEEZZNS1_27merge_sort_block_merge_implIS3_PlPS5_mZN2at6native12_GLOBAL__N_124unique_dim_cuda_templateIlEESt5tupleIJNSA_6TensorESF_SF_EERKSF_lbbbEUlllE_EE10hipError_tT0_T1_T2_jT3_P12ihipStream_tbPNSt15iterator_traitsISL_E10value_typeEPNSR_ISM_E10value_typeEPSN_NS1_7vsmem_tEENKUlT_SL_SM_SN_E_clIS8_S8_S9_S9_EESK_S10_SL_SM_SN_EUlS10_E0_NS1_11comp_targetILNS1_3genE8ELNS1_11target_archE1030ELNS1_3gpuE2ELNS1_3repE0EEENS1_38merge_mergepath_config_static_selectorELNS0_4arch9wavefront6targetE1EEEvSM_,comdat
	.globl	_ZN7rocprim17ROCPRIM_400000_NS6detail17trampoline_kernelINS0_14default_configENS1_38merge_sort_block_merge_config_selectorIlNS0_10empty_typeEEEZZNS1_27merge_sort_block_merge_implIS3_PlPS5_mZN2at6native12_GLOBAL__N_124unique_dim_cuda_templateIlEESt5tupleIJNSA_6TensorESF_SF_EERKSF_lbbbEUlllE_EE10hipError_tT0_T1_T2_jT3_P12ihipStream_tbPNSt15iterator_traitsISL_E10value_typeEPNSR_ISM_E10value_typeEPSN_NS1_7vsmem_tEENKUlT_SL_SM_SN_E_clIS8_S8_S9_S9_EESK_S10_SL_SM_SN_EUlS10_E0_NS1_11comp_targetILNS1_3genE8ELNS1_11target_archE1030ELNS1_3gpuE2ELNS1_3repE0EEENS1_38merge_mergepath_config_static_selectorELNS0_4arch9wavefront6targetE1EEEvSM_ ; -- Begin function _ZN7rocprim17ROCPRIM_400000_NS6detail17trampoline_kernelINS0_14default_configENS1_38merge_sort_block_merge_config_selectorIlNS0_10empty_typeEEEZZNS1_27merge_sort_block_merge_implIS3_PlPS5_mZN2at6native12_GLOBAL__N_124unique_dim_cuda_templateIlEESt5tupleIJNSA_6TensorESF_SF_EERKSF_lbbbEUlllE_EE10hipError_tT0_T1_T2_jT3_P12ihipStream_tbPNSt15iterator_traitsISL_E10value_typeEPNSR_ISM_E10value_typeEPSN_NS1_7vsmem_tEENKUlT_SL_SM_SN_E_clIS8_S8_S9_S9_EESK_S10_SL_SM_SN_EUlS10_E0_NS1_11comp_targetILNS1_3genE8ELNS1_11target_archE1030ELNS1_3gpuE2ELNS1_3repE0EEENS1_38merge_mergepath_config_static_selectorELNS0_4arch9wavefront6targetE1EEEvSM_
	.p2align	8
	.type	_ZN7rocprim17ROCPRIM_400000_NS6detail17trampoline_kernelINS0_14default_configENS1_38merge_sort_block_merge_config_selectorIlNS0_10empty_typeEEEZZNS1_27merge_sort_block_merge_implIS3_PlPS5_mZN2at6native12_GLOBAL__N_124unique_dim_cuda_templateIlEESt5tupleIJNSA_6TensorESF_SF_EERKSF_lbbbEUlllE_EE10hipError_tT0_T1_T2_jT3_P12ihipStream_tbPNSt15iterator_traitsISL_E10value_typeEPNSR_ISM_E10value_typeEPSN_NS1_7vsmem_tEENKUlT_SL_SM_SN_E_clIS8_S8_S9_S9_EESK_S10_SL_SM_SN_EUlS10_E0_NS1_11comp_targetILNS1_3genE8ELNS1_11target_archE1030ELNS1_3gpuE2ELNS1_3repE0EEENS1_38merge_mergepath_config_static_selectorELNS0_4arch9wavefront6targetE1EEEvSM_,@function
_ZN7rocprim17ROCPRIM_400000_NS6detail17trampoline_kernelINS0_14default_configENS1_38merge_sort_block_merge_config_selectorIlNS0_10empty_typeEEEZZNS1_27merge_sort_block_merge_implIS3_PlPS5_mZN2at6native12_GLOBAL__N_124unique_dim_cuda_templateIlEESt5tupleIJNSA_6TensorESF_SF_EERKSF_lbbbEUlllE_EE10hipError_tT0_T1_T2_jT3_P12ihipStream_tbPNSt15iterator_traitsISL_E10value_typeEPNSR_ISM_E10value_typeEPSN_NS1_7vsmem_tEENKUlT_SL_SM_SN_E_clIS8_S8_S9_S9_EESK_S10_SL_SM_SN_EUlS10_E0_NS1_11comp_targetILNS1_3genE8ELNS1_11target_archE1030ELNS1_3gpuE2ELNS1_3repE0EEENS1_38merge_mergepath_config_static_selectorELNS0_4arch9wavefront6targetE1EEEvSM_: ; @_ZN7rocprim17ROCPRIM_400000_NS6detail17trampoline_kernelINS0_14default_configENS1_38merge_sort_block_merge_config_selectorIlNS0_10empty_typeEEEZZNS1_27merge_sort_block_merge_implIS3_PlPS5_mZN2at6native12_GLOBAL__N_124unique_dim_cuda_templateIlEESt5tupleIJNSA_6TensorESF_SF_EERKSF_lbbbEUlllE_EE10hipError_tT0_T1_T2_jT3_P12ihipStream_tbPNSt15iterator_traitsISL_E10value_typeEPNSR_ISM_E10value_typeEPSN_NS1_7vsmem_tEENKUlT_SL_SM_SN_E_clIS8_S8_S9_S9_EESK_S10_SL_SM_SN_EUlS10_E0_NS1_11comp_targetILNS1_3genE8ELNS1_11target_archE1030ELNS1_3gpuE2ELNS1_3repE0EEENS1_38merge_mergepath_config_static_selectorELNS0_4arch9wavefront6targetE1EEEvSM_
; %bb.0:
	.section	.rodata,"a",@progbits
	.p2align	6, 0x0
	.amdhsa_kernel _ZN7rocprim17ROCPRIM_400000_NS6detail17trampoline_kernelINS0_14default_configENS1_38merge_sort_block_merge_config_selectorIlNS0_10empty_typeEEEZZNS1_27merge_sort_block_merge_implIS3_PlPS5_mZN2at6native12_GLOBAL__N_124unique_dim_cuda_templateIlEESt5tupleIJNSA_6TensorESF_SF_EERKSF_lbbbEUlllE_EE10hipError_tT0_T1_T2_jT3_P12ihipStream_tbPNSt15iterator_traitsISL_E10value_typeEPNSR_ISM_E10value_typeEPSN_NS1_7vsmem_tEENKUlT_SL_SM_SN_E_clIS8_S8_S9_S9_EESK_S10_SL_SM_SN_EUlS10_E0_NS1_11comp_targetILNS1_3genE8ELNS1_11target_archE1030ELNS1_3gpuE2ELNS1_3repE0EEENS1_38merge_mergepath_config_static_selectorELNS0_4arch9wavefront6targetE1EEEvSM_
		.amdhsa_group_segment_fixed_size 0
		.amdhsa_private_segment_fixed_size 0
		.amdhsa_kernarg_size 88
		.amdhsa_user_sgpr_count 2
		.amdhsa_user_sgpr_dispatch_ptr 0
		.amdhsa_user_sgpr_queue_ptr 0
		.amdhsa_user_sgpr_kernarg_segment_ptr 1
		.amdhsa_user_sgpr_dispatch_id 0
		.amdhsa_user_sgpr_kernarg_preload_length 0
		.amdhsa_user_sgpr_kernarg_preload_offset 0
		.amdhsa_user_sgpr_private_segment_size 0
		.amdhsa_uses_dynamic_stack 0
		.amdhsa_enable_private_segment 0
		.amdhsa_system_sgpr_workgroup_id_x 1
		.amdhsa_system_sgpr_workgroup_id_y 0
		.amdhsa_system_sgpr_workgroup_id_z 0
		.amdhsa_system_sgpr_workgroup_info 0
		.amdhsa_system_vgpr_workitem_id 0
		.amdhsa_next_free_vgpr 1
		.amdhsa_next_free_sgpr 0
		.amdhsa_accum_offset 4
		.amdhsa_reserve_vcc 0
		.amdhsa_float_round_mode_32 0
		.amdhsa_float_round_mode_16_64 0
		.amdhsa_float_denorm_mode_32 3
		.amdhsa_float_denorm_mode_16_64 3
		.amdhsa_dx10_clamp 1
		.amdhsa_ieee_mode 1
		.amdhsa_fp16_overflow 0
		.amdhsa_tg_split 0
		.amdhsa_exception_fp_ieee_invalid_op 0
		.amdhsa_exception_fp_denorm_src 0
		.amdhsa_exception_fp_ieee_div_zero 0
		.amdhsa_exception_fp_ieee_overflow 0
		.amdhsa_exception_fp_ieee_underflow 0
		.amdhsa_exception_fp_ieee_inexact 0
		.amdhsa_exception_int_div_zero 0
	.end_amdhsa_kernel
	.section	.text._ZN7rocprim17ROCPRIM_400000_NS6detail17trampoline_kernelINS0_14default_configENS1_38merge_sort_block_merge_config_selectorIlNS0_10empty_typeEEEZZNS1_27merge_sort_block_merge_implIS3_PlPS5_mZN2at6native12_GLOBAL__N_124unique_dim_cuda_templateIlEESt5tupleIJNSA_6TensorESF_SF_EERKSF_lbbbEUlllE_EE10hipError_tT0_T1_T2_jT3_P12ihipStream_tbPNSt15iterator_traitsISL_E10value_typeEPNSR_ISM_E10value_typeEPSN_NS1_7vsmem_tEENKUlT_SL_SM_SN_E_clIS8_S8_S9_S9_EESK_S10_SL_SM_SN_EUlS10_E0_NS1_11comp_targetILNS1_3genE8ELNS1_11target_archE1030ELNS1_3gpuE2ELNS1_3repE0EEENS1_38merge_mergepath_config_static_selectorELNS0_4arch9wavefront6targetE1EEEvSM_,"axG",@progbits,_ZN7rocprim17ROCPRIM_400000_NS6detail17trampoline_kernelINS0_14default_configENS1_38merge_sort_block_merge_config_selectorIlNS0_10empty_typeEEEZZNS1_27merge_sort_block_merge_implIS3_PlPS5_mZN2at6native12_GLOBAL__N_124unique_dim_cuda_templateIlEESt5tupleIJNSA_6TensorESF_SF_EERKSF_lbbbEUlllE_EE10hipError_tT0_T1_T2_jT3_P12ihipStream_tbPNSt15iterator_traitsISL_E10value_typeEPNSR_ISM_E10value_typeEPSN_NS1_7vsmem_tEENKUlT_SL_SM_SN_E_clIS8_S8_S9_S9_EESK_S10_SL_SM_SN_EUlS10_E0_NS1_11comp_targetILNS1_3genE8ELNS1_11target_archE1030ELNS1_3gpuE2ELNS1_3repE0EEENS1_38merge_mergepath_config_static_selectorELNS0_4arch9wavefront6targetE1EEEvSM_,comdat
.Lfunc_end533:
	.size	_ZN7rocprim17ROCPRIM_400000_NS6detail17trampoline_kernelINS0_14default_configENS1_38merge_sort_block_merge_config_selectorIlNS0_10empty_typeEEEZZNS1_27merge_sort_block_merge_implIS3_PlPS5_mZN2at6native12_GLOBAL__N_124unique_dim_cuda_templateIlEESt5tupleIJNSA_6TensorESF_SF_EERKSF_lbbbEUlllE_EE10hipError_tT0_T1_T2_jT3_P12ihipStream_tbPNSt15iterator_traitsISL_E10value_typeEPNSR_ISM_E10value_typeEPSN_NS1_7vsmem_tEENKUlT_SL_SM_SN_E_clIS8_S8_S9_S9_EESK_S10_SL_SM_SN_EUlS10_E0_NS1_11comp_targetILNS1_3genE8ELNS1_11target_archE1030ELNS1_3gpuE2ELNS1_3repE0EEENS1_38merge_mergepath_config_static_selectorELNS0_4arch9wavefront6targetE1EEEvSM_, .Lfunc_end533-_ZN7rocprim17ROCPRIM_400000_NS6detail17trampoline_kernelINS0_14default_configENS1_38merge_sort_block_merge_config_selectorIlNS0_10empty_typeEEEZZNS1_27merge_sort_block_merge_implIS3_PlPS5_mZN2at6native12_GLOBAL__N_124unique_dim_cuda_templateIlEESt5tupleIJNSA_6TensorESF_SF_EERKSF_lbbbEUlllE_EE10hipError_tT0_T1_T2_jT3_P12ihipStream_tbPNSt15iterator_traitsISL_E10value_typeEPNSR_ISM_E10value_typeEPSN_NS1_7vsmem_tEENKUlT_SL_SM_SN_E_clIS8_S8_S9_S9_EESK_S10_SL_SM_SN_EUlS10_E0_NS1_11comp_targetILNS1_3genE8ELNS1_11target_archE1030ELNS1_3gpuE2ELNS1_3repE0EEENS1_38merge_mergepath_config_static_selectorELNS0_4arch9wavefront6targetE1EEEvSM_
                                        ; -- End function
	.section	.AMDGPU.csdata,"",@progbits
; Kernel info:
; codeLenInByte = 0
; NumSgprs: 6
; NumVgprs: 0
; NumAgprs: 0
; TotalNumVgprs: 0
; ScratchSize: 0
; MemoryBound: 0
; FloatMode: 240
; IeeeMode: 1
; LDSByteSize: 0 bytes/workgroup (compile time only)
; SGPRBlocks: 0
; VGPRBlocks: 0
; NumSGPRsForWavesPerEU: 6
; NumVGPRsForWavesPerEU: 1
; AccumOffset: 4
; Occupancy: 8
; WaveLimiterHint : 0
; COMPUTE_PGM_RSRC2:SCRATCH_EN: 0
; COMPUTE_PGM_RSRC2:USER_SGPR: 2
; COMPUTE_PGM_RSRC2:TRAP_HANDLER: 0
; COMPUTE_PGM_RSRC2:TGID_X_EN: 1
; COMPUTE_PGM_RSRC2:TGID_Y_EN: 0
; COMPUTE_PGM_RSRC2:TGID_Z_EN: 0
; COMPUTE_PGM_RSRC2:TIDIG_COMP_CNT: 0
; COMPUTE_PGM_RSRC3_GFX90A:ACCUM_OFFSET: 0
; COMPUTE_PGM_RSRC3_GFX90A:TG_SPLIT: 0
	.section	.text._ZN7rocprim17ROCPRIM_400000_NS6detail17trampoline_kernelINS0_14default_configENS1_38merge_sort_block_merge_config_selectorIlNS0_10empty_typeEEEZZNS1_27merge_sort_block_merge_implIS3_PlPS5_mZN2at6native12_GLOBAL__N_124unique_dim_cuda_templateIlEESt5tupleIJNSA_6TensorESF_SF_EERKSF_lbbbEUlllE_EE10hipError_tT0_T1_T2_jT3_P12ihipStream_tbPNSt15iterator_traitsISL_E10value_typeEPNSR_ISM_E10value_typeEPSN_NS1_7vsmem_tEENKUlT_SL_SM_SN_E_clIS8_S8_S9_S9_EESK_S10_SL_SM_SN_EUlS10_E1_NS1_11comp_targetILNS1_3genE0ELNS1_11target_archE4294967295ELNS1_3gpuE0ELNS1_3repE0EEENS1_36merge_oddeven_config_static_selectorELNS0_4arch9wavefront6targetE1EEEvSM_,"axG",@progbits,_ZN7rocprim17ROCPRIM_400000_NS6detail17trampoline_kernelINS0_14default_configENS1_38merge_sort_block_merge_config_selectorIlNS0_10empty_typeEEEZZNS1_27merge_sort_block_merge_implIS3_PlPS5_mZN2at6native12_GLOBAL__N_124unique_dim_cuda_templateIlEESt5tupleIJNSA_6TensorESF_SF_EERKSF_lbbbEUlllE_EE10hipError_tT0_T1_T2_jT3_P12ihipStream_tbPNSt15iterator_traitsISL_E10value_typeEPNSR_ISM_E10value_typeEPSN_NS1_7vsmem_tEENKUlT_SL_SM_SN_E_clIS8_S8_S9_S9_EESK_S10_SL_SM_SN_EUlS10_E1_NS1_11comp_targetILNS1_3genE0ELNS1_11target_archE4294967295ELNS1_3gpuE0ELNS1_3repE0EEENS1_36merge_oddeven_config_static_selectorELNS0_4arch9wavefront6targetE1EEEvSM_,comdat
	.globl	_ZN7rocprim17ROCPRIM_400000_NS6detail17trampoline_kernelINS0_14default_configENS1_38merge_sort_block_merge_config_selectorIlNS0_10empty_typeEEEZZNS1_27merge_sort_block_merge_implIS3_PlPS5_mZN2at6native12_GLOBAL__N_124unique_dim_cuda_templateIlEESt5tupleIJNSA_6TensorESF_SF_EERKSF_lbbbEUlllE_EE10hipError_tT0_T1_T2_jT3_P12ihipStream_tbPNSt15iterator_traitsISL_E10value_typeEPNSR_ISM_E10value_typeEPSN_NS1_7vsmem_tEENKUlT_SL_SM_SN_E_clIS8_S8_S9_S9_EESK_S10_SL_SM_SN_EUlS10_E1_NS1_11comp_targetILNS1_3genE0ELNS1_11target_archE4294967295ELNS1_3gpuE0ELNS1_3repE0EEENS1_36merge_oddeven_config_static_selectorELNS0_4arch9wavefront6targetE1EEEvSM_ ; -- Begin function _ZN7rocprim17ROCPRIM_400000_NS6detail17trampoline_kernelINS0_14default_configENS1_38merge_sort_block_merge_config_selectorIlNS0_10empty_typeEEEZZNS1_27merge_sort_block_merge_implIS3_PlPS5_mZN2at6native12_GLOBAL__N_124unique_dim_cuda_templateIlEESt5tupleIJNSA_6TensorESF_SF_EERKSF_lbbbEUlllE_EE10hipError_tT0_T1_T2_jT3_P12ihipStream_tbPNSt15iterator_traitsISL_E10value_typeEPNSR_ISM_E10value_typeEPSN_NS1_7vsmem_tEENKUlT_SL_SM_SN_E_clIS8_S8_S9_S9_EESK_S10_SL_SM_SN_EUlS10_E1_NS1_11comp_targetILNS1_3genE0ELNS1_11target_archE4294967295ELNS1_3gpuE0ELNS1_3repE0EEENS1_36merge_oddeven_config_static_selectorELNS0_4arch9wavefront6targetE1EEEvSM_
	.p2align	8
	.type	_ZN7rocprim17ROCPRIM_400000_NS6detail17trampoline_kernelINS0_14default_configENS1_38merge_sort_block_merge_config_selectorIlNS0_10empty_typeEEEZZNS1_27merge_sort_block_merge_implIS3_PlPS5_mZN2at6native12_GLOBAL__N_124unique_dim_cuda_templateIlEESt5tupleIJNSA_6TensorESF_SF_EERKSF_lbbbEUlllE_EE10hipError_tT0_T1_T2_jT3_P12ihipStream_tbPNSt15iterator_traitsISL_E10value_typeEPNSR_ISM_E10value_typeEPSN_NS1_7vsmem_tEENKUlT_SL_SM_SN_E_clIS8_S8_S9_S9_EESK_S10_SL_SM_SN_EUlS10_E1_NS1_11comp_targetILNS1_3genE0ELNS1_11target_archE4294967295ELNS1_3gpuE0ELNS1_3repE0EEENS1_36merge_oddeven_config_static_selectorELNS0_4arch9wavefront6targetE1EEEvSM_,@function
_ZN7rocprim17ROCPRIM_400000_NS6detail17trampoline_kernelINS0_14default_configENS1_38merge_sort_block_merge_config_selectorIlNS0_10empty_typeEEEZZNS1_27merge_sort_block_merge_implIS3_PlPS5_mZN2at6native12_GLOBAL__N_124unique_dim_cuda_templateIlEESt5tupleIJNSA_6TensorESF_SF_EERKSF_lbbbEUlllE_EE10hipError_tT0_T1_T2_jT3_P12ihipStream_tbPNSt15iterator_traitsISL_E10value_typeEPNSR_ISM_E10value_typeEPSN_NS1_7vsmem_tEENKUlT_SL_SM_SN_E_clIS8_S8_S9_S9_EESK_S10_SL_SM_SN_EUlS10_E1_NS1_11comp_targetILNS1_3genE0ELNS1_11target_archE4294967295ELNS1_3gpuE0ELNS1_3repE0EEENS1_36merge_oddeven_config_static_selectorELNS0_4arch9wavefront6targetE1EEEvSM_: ; @_ZN7rocprim17ROCPRIM_400000_NS6detail17trampoline_kernelINS0_14default_configENS1_38merge_sort_block_merge_config_selectorIlNS0_10empty_typeEEEZZNS1_27merge_sort_block_merge_implIS3_PlPS5_mZN2at6native12_GLOBAL__N_124unique_dim_cuda_templateIlEESt5tupleIJNSA_6TensorESF_SF_EERKSF_lbbbEUlllE_EE10hipError_tT0_T1_T2_jT3_P12ihipStream_tbPNSt15iterator_traitsISL_E10value_typeEPNSR_ISM_E10value_typeEPSN_NS1_7vsmem_tEENKUlT_SL_SM_SN_E_clIS8_S8_S9_S9_EESK_S10_SL_SM_SN_EUlS10_E1_NS1_11comp_targetILNS1_3genE0ELNS1_11target_archE4294967295ELNS1_3gpuE0ELNS1_3repE0EEENS1_36merge_oddeven_config_static_selectorELNS0_4arch9wavefront6targetE1EEEvSM_
; %bb.0:
	.section	.rodata,"a",@progbits
	.p2align	6, 0x0
	.amdhsa_kernel _ZN7rocprim17ROCPRIM_400000_NS6detail17trampoline_kernelINS0_14default_configENS1_38merge_sort_block_merge_config_selectorIlNS0_10empty_typeEEEZZNS1_27merge_sort_block_merge_implIS3_PlPS5_mZN2at6native12_GLOBAL__N_124unique_dim_cuda_templateIlEESt5tupleIJNSA_6TensorESF_SF_EERKSF_lbbbEUlllE_EE10hipError_tT0_T1_T2_jT3_P12ihipStream_tbPNSt15iterator_traitsISL_E10value_typeEPNSR_ISM_E10value_typeEPSN_NS1_7vsmem_tEENKUlT_SL_SM_SN_E_clIS8_S8_S9_S9_EESK_S10_SL_SM_SN_EUlS10_E1_NS1_11comp_targetILNS1_3genE0ELNS1_11target_archE4294967295ELNS1_3gpuE0ELNS1_3repE0EEENS1_36merge_oddeven_config_static_selectorELNS0_4arch9wavefront6targetE1EEEvSM_
		.amdhsa_group_segment_fixed_size 0
		.amdhsa_private_segment_fixed_size 0
		.amdhsa_kernarg_size 64
		.amdhsa_user_sgpr_count 2
		.amdhsa_user_sgpr_dispatch_ptr 0
		.amdhsa_user_sgpr_queue_ptr 0
		.amdhsa_user_sgpr_kernarg_segment_ptr 1
		.amdhsa_user_sgpr_dispatch_id 0
		.amdhsa_user_sgpr_kernarg_preload_length 0
		.amdhsa_user_sgpr_kernarg_preload_offset 0
		.amdhsa_user_sgpr_private_segment_size 0
		.amdhsa_uses_dynamic_stack 0
		.amdhsa_enable_private_segment 0
		.amdhsa_system_sgpr_workgroup_id_x 1
		.amdhsa_system_sgpr_workgroup_id_y 0
		.amdhsa_system_sgpr_workgroup_id_z 0
		.amdhsa_system_sgpr_workgroup_info 0
		.amdhsa_system_vgpr_workitem_id 0
		.amdhsa_next_free_vgpr 1
		.amdhsa_next_free_sgpr 0
		.amdhsa_accum_offset 4
		.amdhsa_reserve_vcc 0
		.amdhsa_float_round_mode_32 0
		.amdhsa_float_round_mode_16_64 0
		.amdhsa_float_denorm_mode_32 3
		.amdhsa_float_denorm_mode_16_64 3
		.amdhsa_dx10_clamp 1
		.amdhsa_ieee_mode 1
		.amdhsa_fp16_overflow 0
		.amdhsa_tg_split 0
		.amdhsa_exception_fp_ieee_invalid_op 0
		.amdhsa_exception_fp_denorm_src 0
		.amdhsa_exception_fp_ieee_div_zero 0
		.amdhsa_exception_fp_ieee_overflow 0
		.amdhsa_exception_fp_ieee_underflow 0
		.amdhsa_exception_fp_ieee_inexact 0
		.amdhsa_exception_int_div_zero 0
	.end_amdhsa_kernel
	.section	.text._ZN7rocprim17ROCPRIM_400000_NS6detail17trampoline_kernelINS0_14default_configENS1_38merge_sort_block_merge_config_selectorIlNS0_10empty_typeEEEZZNS1_27merge_sort_block_merge_implIS3_PlPS5_mZN2at6native12_GLOBAL__N_124unique_dim_cuda_templateIlEESt5tupleIJNSA_6TensorESF_SF_EERKSF_lbbbEUlllE_EE10hipError_tT0_T1_T2_jT3_P12ihipStream_tbPNSt15iterator_traitsISL_E10value_typeEPNSR_ISM_E10value_typeEPSN_NS1_7vsmem_tEENKUlT_SL_SM_SN_E_clIS8_S8_S9_S9_EESK_S10_SL_SM_SN_EUlS10_E1_NS1_11comp_targetILNS1_3genE0ELNS1_11target_archE4294967295ELNS1_3gpuE0ELNS1_3repE0EEENS1_36merge_oddeven_config_static_selectorELNS0_4arch9wavefront6targetE1EEEvSM_,"axG",@progbits,_ZN7rocprim17ROCPRIM_400000_NS6detail17trampoline_kernelINS0_14default_configENS1_38merge_sort_block_merge_config_selectorIlNS0_10empty_typeEEEZZNS1_27merge_sort_block_merge_implIS3_PlPS5_mZN2at6native12_GLOBAL__N_124unique_dim_cuda_templateIlEESt5tupleIJNSA_6TensorESF_SF_EERKSF_lbbbEUlllE_EE10hipError_tT0_T1_T2_jT3_P12ihipStream_tbPNSt15iterator_traitsISL_E10value_typeEPNSR_ISM_E10value_typeEPSN_NS1_7vsmem_tEENKUlT_SL_SM_SN_E_clIS8_S8_S9_S9_EESK_S10_SL_SM_SN_EUlS10_E1_NS1_11comp_targetILNS1_3genE0ELNS1_11target_archE4294967295ELNS1_3gpuE0ELNS1_3repE0EEENS1_36merge_oddeven_config_static_selectorELNS0_4arch9wavefront6targetE1EEEvSM_,comdat
.Lfunc_end534:
	.size	_ZN7rocprim17ROCPRIM_400000_NS6detail17trampoline_kernelINS0_14default_configENS1_38merge_sort_block_merge_config_selectorIlNS0_10empty_typeEEEZZNS1_27merge_sort_block_merge_implIS3_PlPS5_mZN2at6native12_GLOBAL__N_124unique_dim_cuda_templateIlEESt5tupleIJNSA_6TensorESF_SF_EERKSF_lbbbEUlllE_EE10hipError_tT0_T1_T2_jT3_P12ihipStream_tbPNSt15iterator_traitsISL_E10value_typeEPNSR_ISM_E10value_typeEPSN_NS1_7vsmem_tEENKUlT_SL_SM_SN_E_clIS8_S8_S9_S9_EESK_S10_SL_SM_SN_EUlS10_E1_NS1_11comp_targetILNS1_3genE0ELNS1_11target_archE4294967295ELNS1_3gpuE0ELNS1_3repE0EEENS1_36merge_oddeven_config_static_selectorELNS0_4arch9wavefront6targetE1EEEvSM_, .Lfunc_end534-_ZN7rocprim17ROCPRIM_400000_NS6detail17trampoline_kernelINS0_14default_configENS1_38merge_sort_block_merge_config_selectorIlNS0_10empty_typeEEEZZNS1_27merge_sort_block_merge_implIS3_PlPS5_mZN2at6native12_GLOBAL__N_124unique_dim_cuda_templateIlEESt5tupleIJNSA_6TensorESF_SF_EERKSF_lbbbEUlllE_EE10hipError_tT0_T1_T2_jT3_P12ihipStream_tbPNSt15iterator_traitsISL_E10value_typeEPNSR_ISM_E10value_typeEPSN_NS1_7vsmem_tEENKUlT_SL_SM_SN_E_clIS8_S8_S9_S9_EESK_S10_SL_SM_SN_EUlS10_E1_NS1_11comp_targetILNS1_3genE0ELNS1_11target_archE4294967295ELNS1_3gpuE0ELNS1_3repE0EEENS1_36merge_oddeven_config_static_selectorELNS0_4arch9wavefront6targetE1EEEvSM_
                                        ; -- End function
	.section	.AMDGPU.csdata,"",@progbits
; Kernel info:
; codeLenInByte = 0
; NumSgprs: 6
; NumVgprs: 0
; NumAgprs: 0
; TotalNumVgprs: 0
; ScratchSize: 0
; MemoryBound: 0
; FloatMode: 240
; IeeeMode: 1
; LDSByteSize: 0 bytes/workgroup (compile time only)
; SGPRBlocks: 0
; VGPRBlocks: 0
; NumSGPRsForWavesPerEU: 6
; NumVGPRsForWavesPerEU: 1
; AccumOffset: 4
; Occupancy: 8
; WaveLimiterHint : 0
; COMPUTE_PGM_RSRC2:SCRATCH_EN: 0
; COMPUTE_PGM_RSRC2:USER_SGPR: 2
; COMPUTE_PGM_RSRC2:TRAP_HANDLER: 0
; COMPUTE_PGM_RSRC2:TGID_X_EN: 1
; COMPUTE_PGM_RSRC2:TGID_Y_EN: 0
; COMPUTE_PGM_RSRC2:TGID_Z_EN: 0
; COMPUTE_PGM_RSRC2:TIDIG_COMP_CNT: 0
; COMPUTE_PGM_RSRC3_GFX90A:ACCUM_OFFSET: 0
; COMPUTE_PGM_RSRC3_GFX90A:TG_SPLIT: 0
	.section	.text._ZN7rocprim17ROCPRIM_400000_NS6detail17trampoline_kernelINS0_14default_configENS1_38merge_sort_block_merge_config_selectorIlNS0_10empty_typeEEEZZNS1_27merge_sort_block_merge_implIS3_PlPS5_mZN2at6native12_GLOBAL__N_124unique_dim_cuda_templateIlEESt5tupleIJNSA_6TensorESF_SF_EERKSF_lbbbEUlllE_EE10hipError_tT0_T1_T2_jT3_P12ihipStream_tbPNSt15iterator_traitsISL_E10value_typeEPNSR_ISM_E10value_typeEPSN_NS1_7vsmem_tEENKUlT_SL_SM_SN_E_clIS8_S8_S9_S9_EESK_S10_SL_SM_SN_EUlS10_E1_NS1_11comp_targetILNS1_3genE10ELNS1_11target_archE1201ELNS1_3gpuE5ELNS1_3repE0EEENS1_36merge_oddeven_config_static_selectorELNS0_4arch9wavefront6targetE1EEEvSM_,"axG",@progbits,_ZN7rocprim17ROCPRIM_400000_NS6detail17trampoline_kernelINS0_14default_configENS1_38merge_sort_block_merge_config_selectorIlNS0_10empty_typeEEEZZNS1_27merge_sort_block_merge_implIS3_PlPS5_mZN2at6native12_GLOBAL__N_124unique_dim_cuda_templateIlEESt5tupleIJNSA_6TensorESF_SF_EERKSF_lbbbEUlllE_EE10hipError_tT0_T1_T2_jT3_P12ihipStream_tbPNSt15iterator_traitsISL_E10value_typeEPNSR_ISM_E10value_typeEPSN_NS1_7vsmem_tEENKUlT_SL_SM_SN_E_clIS8_S8_S9_S9_EESK_S10_SL_SM_SN_EUlS10_E1_NS1_11comp_targetILNS1_3genE10ELNS1_11target_archE1201ELNS1_3gpuE5ELNS1_3repE0EEENS1_36merge_oddeven_config_static_selectorELNS0_4arch9wavefront6targetE1EEEvSM_,comdat
	.globl	_ZN7rocprim17ROCPRIM_400000_NS6detail17trampoline_kernelINS0_14default_configENS1_38merge_sort_block_merge_config_selectorIlNS0_10empty_typeEEEZZNS1_27merge_sort_block_merge_implIS3_PlPS5_mZN2at6native12_GLOBAL__N_124unique_dim_cuda_templateIlEESt5tupleIJNSA_6TensorESF_SF_EERKSF_lbbbEUlllE_EE10hipError_tT0_T1_T2_jT3_P12ihipStream_tbPNSt15iterator_traitsISL_E10value_typeEPNSR_ISM_E10value_typeEPSN_NS1_7vsmem_tEENKUlT_SL_SM_SN_E_clIS8_S8_S9_S9_EESK_S10_SL_SM_SN_EUlS10_E1_NS1_11comp_targetILNS1_3genE10ELNS1_11target_archE1201ELNS1_3gpuE5ELNS1_3repE0EEENS1_36merge_oddeven_config_static_selectorELNS0_4arch9wavefront6targetE1EEEvSM_ ; -- Begin function _ZN7rocprim17ROCPRIM_400000_NS6detail17trampoline_kernelINS0_14default_configENS1_38merge_sort_block_merge_config_selectorIlNS0_10empty_typeEEEZZNS1_27merge_sort_block_merge_implIS3_PlPS5_mZN2at6native12_GLOBAL__N_124unique_dim_cuda_templateIlEESt5tupleIJNSA_6TensorESF_SF_EERKSF_lbbbEUlllE_EE10hipError_tT0_T1_T2_jT3_P12ihipStream_tbPNSt15iterator_traitsISL_E10value_typeEPNSR_ISM_E10value_typeEPSN_NS1_7vsmem_tEENKUlT_SL_SM_SN_E_clIS8_S8_S9_S9_EESK_S10_SL_SM_SN_EUlS10_E1_NS1_11comp_targetILNS1_3genE10ELNS1_11target_archE1201ELNS1_3gpuE5ELNS1_3repE0EEENS1_36merge_oddeven_config_static_selectorELNS0_4arch9wavefront6targetE1EEEvSM_
	.p2align	8
	.type	_ZN7rocprim17ROCPRIM_400000_NS6detail17trampoline_kernelINS0_14default_configENS1_38merge_sort_block_merge_config_selectorIlNS0_10empty_typeEEEZZNS1_27merge_sort_block_merge_implIS3_PlPS5_mZN2at6native12_GLOBAL__N_124unique_dim_cuda_templateIlEESt5tupleIJNSA_6TensorESF_SF_EERKSF_lbbbEUlllE_EE10hipError_tT0_T1_T2_jT3_P12ihipStream_tbPNSt15iterator_traitsISL_E10value_typeEPNSR_ISM_E10value_typeEPSN_NS1_7vsmem_tEENKUlT_SL_SM_SN_E_clIS8_S8_S9_S9_EESK_S10_SL_SM_SN_EUlS10_E1_NS1_11comp_targetILNS1_3genE10ELNS1_11target_archE1201ELNS1_3gpuE5ELNS1_3repE0EEENS1_36merge_oddeven_config_static_selectorELNS0_4arch9wavefront6targetE1EEEvSM_,@function
_ZN7rocprim17ROCPRIM_400000_NS6detail17trampoline_kernelINS0_14default_configENS1_38merge_sort_block_merge_config_selectorIlNS0_10empty_typeEEEZZNS1_27merge_sort_block_merge_implIS3_PlPS5_mZN2at6native12_GLOBAL__N_124unique_dim_cuda_templateIlEESt5tupleIJNSA_6TensorESF_SF_EERKSF_lbbbEUlllE_EE10hipError_tT0_T1_T2_jT3_P12ihipStream_tbPNSt15iterator_traitsISL_E10value_typeEPNSR_ISM_E10value_typeEPSN_NS1_7vsmem_tEENKUlT_SL_SM_SN_E_clIS8_S8_S9_S9_EESK_S10_SL_SM_SN_EUlS10_E1_NS1_11comp_targetILNS1_3genE10ELNS1_11target_archE1201ELNS1_3gpuE5ELNS1_3repE0EEENS1_36merge_oddeven_config_static_selectorELNS0_4arch9wavefront6targetE1EEEvSM_: ; @_ZN7rocprim17ROCPRIM_400000_NS6detail17trampoline_kernelINS0_14default_configENS1_38merge_sort_block_merge_config_selectorIlNS0_10empty_typeEEEZZNS1_27merge_sort_block_merge_implIS3_PlPS5_mZN2at6native12_GLOBAL__N_124unique_dim_cuda_templateIlEESt5tupleIJNSA_6TensorESF_SF_EERKSF_lbbbEUlllE_EE10hipError_tT0_T1_T2_jT3_P12ihipStream_tbPNSt15iterator_traitsISL_E10value_typeEPNSR_ISM_E10value_typeEPSN_NS1_7vsmem_tEENKUlT_SL_SM_SN_E_clIS8_S8_S9_S9_EESK_S10_SL_SM_SN_EUlS10_E1_NS1_11comp_targetILNS1_3genE10ELNS1_11target_archE1201ELNS1_3gpuE5ELNS1_3repE0EEENS1_36merge_oddeven_config_static_selectorELNS0_4arch9wavefront6targetE1EEEvSM_
; %bb.0:
	.section	.rodata,"a",@progbits
	.p2align	6, 0x0
	.amdhsa_kernel _ZN7rocprim17ROCPRIM_400000_NS6detail17trampoline_kernelINS0_14default_configENS1_38merge_sort_block_merge_config_selectorIlNS0_10empty_typeEEEZZNS1_27merge_sort_block_merge_implIS3_PlPS5_mZN2at6native12_GLOBAL__N_124unique_dim_cuda_templateIlEESt5tupleIJNSA_6TensorESF_SF_EERKSF_lbbbEUlllE_EE10hipError_tT0_T1_T2_jT3_P12ihipStream_tbPNSt15iterator_traitsISL_E10value_typeEPNSR_ISM_E10value_typeEPSN_NS1_7vsmem_tEENKUlT_SL_SM_SN_E_clIS8_S8_S9_S9_EESK_S10_SL_SM_SN_EUlS10_E1_NS1_11comp_targetILNS1_3genE10ELNS1_11target_archE1201ELNS1_3gpuE5ELNS1_3repE0EEENS1_36merge_oddeven_config_static_selectorELNS0_4arch9wavefront6targetE1EEEvSM_
		.amdhsa_group_segment_fixed_size 0
		.amdhsa_private_segment_fixed_size 0
		.amdhsa_kernarg_size 64
		.amdhsa_user_sgpr_count 2
		.amdhsa_user_sgpr_dispatch_ptr 0
		.amdhsa_user_sgpr_queue_ptr 0
		.amdhsa_user_sgpr_kernarg_segment_ptr 1
		.amdhsa_user_sgpr_dispatch_id 0
		.amdhsa_user_sgpr_kernarg_preload_length 0
		.amdhsa_user_sgpr_kernarg_preload_offset 0
		.amdhsa_user_sgpr_private_segment_size 0
		.amdhsa_uses_dynamic_stack 0
		.amdhsa_enable_private_segment 0
		.amdhsa_system_sgpr_workgroup_id_x 1
		.amdhsa_system_sgpr_workgroup_id_y 0
		.amdhsa_system_sgpr_workgroup_id_z 0
		.amdhsa_system_sgpr_workgroup_info 0
		.amdhsa_system_vgpr_workitem_id 0
		.amdhsa_next_free_vgpr 1
		.amdhsa_next_free_sgpr 0
		.amdhsa_accum_offset 4
		.amdhsa_reserve_vcc 0
		.amdhsa_float_round_mode_32 0
		.amdhsa_float_round_mode_16_64 0
		.amdhsa_float_denorm_mode_32 3
		.amdhsa_float_denorm_mode_16_64 3
		.amdhsa_dx10_clamp 1
		.amdhsa_ieee_mode 1
		.amdhsa_fp16_overflow 0
		.amdhsa_tg_split 0
		.amdhsa_exception_fp_ieee_invalid_op 0
		.amdhsa_exception_fp_denorm_src 0
		.amdhsa_exception_fp_ieee_div_zero 0
		.amdhsa_exception_fp_ieee_overflow 0
		.amdhsa_exception_fp_ieee_underflow 0
		.amdhsa_exception_fp_ieee_inexact 0
		.amdhsa_exception_int_div_zero 0
	.end_amdhsa_kernel
	.section	.text._ZN7rocprim17ROCPRIM_400000_NS6detail17trampoline_kernelINS0_14default_configENS1_38merge_sort_block_merge_config_selectorIlNS0_10empty_typeEEEZZNS1_27merge_sort_block_merge_implIS3_PlPS5_mZN2at6native12_GLOBAL__N_124unique_dim_cuda_templateIlEESt5tupleIJNSA_6TensorESF_SF_EERKSF_lbbbEUlllE_EE10hipError_tT0_T1_T2_jT3_P12ihipStream_tbPNSt15iterator_traitsISL_E10value_typeEPNSR_ISM_E10value_typeEPSN_NS1_7vsmem_tEENKUlT_SL_SM_SN_E_clIS8_S8_S9_S9_EESK_S10_SL_SM_SN_EUlS10_E1_NS1_11comp_targetILNS1_3genE10ELNS1_11target_archE1201ELNS1_3gpuE5ELNS1_3repE0EEENS1_36merge_oddeven_config_static_selectorELNS0_4arch9wavefront6targetE1EEEvSM_,"axG",@progbits,_ZN7rocprim17ROCPRIM_400000_NS6detail17trampoline_kernelINS0_14default_configENS1_38merge_sort_block_merge_config_selectorIlNS0_10empty_typeEEEZZNS1_27merge_sort_block_merge_implIS3_PlPS5_mZN2at6native12_GLOBAL__N_124unique_dim_cuda_templateIlEESt5tupleIJNSA_6TensorESF_SF_EERKSF_lbbbEUlllE_EE10hipError_tT0_T1_T2_jT3_P12ihipStream_tbPNSt15iterator_traitsISL_E10value_typeEPNSR_ISM_E10value_typeEPSN_NS1_7vsmem_tEENKUlT_SL_SM_SN_E_clIS8_S8_S9_S9_EESK_S10_SL_SM_SN_EUlS10_E1_NS1_11comp_targetILNS1_3genE10ELNS1_11target_archE1201ELNS1_3gpuE5ELNS1_3repE0EEENS1_36merge_oddeven_config_static_selectorELNS0_4arch9wavefront6targetE1EEEvSM_,comdat
.Lfunc_end535:
	.size	_ZN7rocprim17ROCPRIM_400000_NS6detail17trampoline_kernelINS0_14default_configENS1_38merge_sort_block_merge_config_selectorIlNS0_10empty_typeEEEZZNS1_27merge_sort_block_merge_implIS3_PlPS5_mZN2at6native12_GLOBAL__N_124unique_dim_cuda_templateIlEESt5tupleIJNSA_6TensorESF_SF_EERKSF_lbbbEUlllE_EE10hipError_tT0_T1_T2_jT3_P12ihipStream_tbPNSt15iterator_traitsISL_E10value_typeEPNSR_ISM_E10value_typeEPSN_NS1_7vsmem_tEENKUlT_SL_SM_SN_E_clIS8_S8_S9_S9_EESK_S10_SL_SM_SN_EUlS10_E1_NS1_11comp_targetILNS1_3genE10ELNS1_11target_archE1201ELNS1_3gpuE5ELNS1_3repE0EEENS1_36merge_oddeven_config_static_selectorELNS0_4arch9wavefront6targetE1EEEvSM_, .Lfunc_end535-_ZN7rocprim17ROCPRIM_400000_NS6detail17trampoline_kernelINS0_14default_configENS1_38merge_sort_block_merge_config_selectorIlNS0_10empty_typeEEEZZNS1_27merge_sort_block_merge_implIS3_PlPS5_mZN2at6native12_GLOBAL__N_124unique_dim_cuda_templateIlEESt5tupleIJNSA_6TensorESF_SF_EERKSF_lbbbEUlllE_EE10hipError_tT0_T1_T2_jT3_P12ihipStream_tbPNSt15iterator_traitsISL_E10value_typeEPNSR_ISM_E10value_typeEPSN_NS1_7vsmem_tEENKUlT_SL_SM_SN_E_clIS8_S8_S9_S9_EESK_S10_SL_SM_SN_EUlS10_E1_NS1_11comp_targetILNS1_3genE10ELNS1_11target_archE1201ELNS1_3gpuE5ELNS1_3repE0EEENS1_36merge_oddeven_config_static_selectorELNS0_4arch9wavefront6targetE1EEEvSM_
                                        ; -- End function
	.section	.AMDGPU.csdata,"",@progbits
; Kernel info:
; codeLenInByte = 0
; NumSgprs: 6
; NumVgprs: 0
; NumAgprs: 0
; TotalNumVgprs: 0
; ScratchSize: 0
; MemoryBound: 0
; FloatMode: 240
; IeeeMode: 1
; LDSByteSize: 0 bytes/workgroup (compile time only)
; SGPRBlocks: 0
; VGPRBlocks: 0
; NumSGPRsForWavesPerEU: 6
; NumVGPRsForWavesPerEU: 1
; AccumOffset: 4
; Occupancy: 8
; WaveLimiterHint : 0
; COMPUTE_PGM_RSRC2:SCRATCH_EN: 0
; COMPUTE_PGM_RSRC2:USER_SGPR: 2
; COMPUTE_PGM_RSRC2:TRAP_HANDLER: 0
; COMPUTE_PGM_RSRC2:TGID_X_EN: 1
; COMPUTE_PGM_RSRC2:TGID_Y_EN: 0
; COMPUTE_PGM_RSRC2:TGID_Z_EN: 0
; COMPUTE_PGM_RSRC2:TIDIG_COMP_CNT: 0
; COMPUTE_PGM_RSRC3_GFX90A:ACCUM_OFFSET: 0
; COMPUTE_PGM_RSRC3_GFX90A:TG_SPLIT: 0
	.section	.text._ZN7rocprim17ROCPRIM_400000_NS6detail17trampoline_kernelINS0_14default_configENS1_38merge_sort_block_merge_config_selectorIlNS0_10empty_typeEEEZZNS1_27merge_sort_block_merge_implIS3_PlPS5_mZN2at6native12_GLOBAL__N_124unique_dim_cuda_templateIlEESt5tupleIJNSA_6TensorESF_SF_EERKSF_lbbbEUlllE_EE10hipError_tT0_T1_T2_jT3_P12ihipStream_tbPNSt15iterator_traitsISL_E10value_typeEPNSR_ISM_E10value_typeEPSN_NS1_7vsmem_tEENKUlT_SL_SM_SN_E_clIS8_S8_S9_S9_EESK_S10_SL_SM_SN_EUlS10_E1_NS1_11comp_targetILNS1_3genE5ELNS1_11target_archE942ELNS1_3gpuE9ELNS1_3repE0EEENS1_36merge_oddeven_config_static_selectorELNS0_4arch9wavefront6targetE1EEEvSM_,"axG",@progbits,_ZN7rocprim17ROCPRIM_400000_NS6detail17trampoline_kernelINS0_14default_configENS1_38merge_sort_block_merge_config_selectorIlNS0_10empty_typeEEEZZNS1_27merge_sort_block_merge_implIS3_PlPS5_mZN2at6native12_GLOBAL__N_124unique_dim_cuda_templateIlEESt5tupleIJNSA_6TensorESF_SF_EERKSF_lbbbEUlllE_EE10hipError_tT0_T1_T2_jT3_P12ihipStream_tbPNSt15iterator_traitsISL_E10value_typeEPNSR_ISM_E10value_typeEPSN_NS1_7vsmem_tEENKUlT_SL_SM_SN_E_clIS8_S8_S9_S9_EESK_S10_SL_SM_SN_EUlS10_E1_NS1_11comp_targetILNS1_3genE5ELNS1_11target_archE942ELNS1_3gpuE9ELNS1_3repE0EEENS1_36merge_oddeven_config_static_selectorELNS0_4arch9wavefront6targetE1EEEvSM_,comdat
	.globl	_ZN7rocprim17ROCPRIM_400000_NS6detail17trampoline_kernelINS0_14default_configENS1_38merge_sort_block_merge_config_selectorIlNS0_10empty_typeEEEZZNS1_27merge_sort_block_merge_implIS3_PlPS5_mZN2at6native12_GLOBAL__N_124unique_dim_cuda_templateIlEESt5tupleIJNSA_6TensorESF_SF_EERKSF_lbbbEUlllE_EE10hipError_tT0_T1_T2_jT3_P12ihipStream_tbPNSt15iterator_traitsISL_E10value_typeEPNSR_ISM_E10value_typeEPSN_NS1_7vsmem_tEENKUlT_SL_SM_SN_E_clIS8_S8_S9_S9_EESK_S10_SL_SM_SN_EUlS10_E1_NS1_11comp_targetILNS1_3genE5ELNS1_11target_archE942ELNS1_3gpuE9ELNS1_3repE0EEENS1_36merge_oddeven_config_static_selectorELNS0_4arch9wavefront6targetE1EEEvSM_ ; -- Begin function _ZN7rocprim17ROCPRIM_400000_NS6detail17trampoline_kernelINS0_14default_configENS1_38merge_sort_block_merge_config_selectorIlNS0_10empty_typeEEEZZNS1_27merge_sort_block_merge_implIS3_PlPS5_mZN2at6native12_GLOBAL__N_124unique_dim_cuda_templateIlEESt5tupleIJNSA_6TensorESF_SF_EERKSF_lbbbEUlllE_EE10hipError_tT0_T1_T2_jT3_P12ihipStream_tbPNSt15iterator_traitsISL_E10value_typeEPNSR_ISM_E10value_typeEPSN_NS1_7vsmem_tEENKUlT_SL_SM_SN_E_clIS8_S8_S9_S9_EESK_S10_SL_SM_SN_EUlS10_E1_NS1_11comp_targetILNS1_3genE5ELNS1_11target_archE942ELNS1_3gpuE9ELNS1_3repE0EEENS1_36merge_oddeven_config_static_selectorELNS0_4arch9wavefront6targetE1EEEvSM_
	.p2align	8
	.type	_ZN7rocprim17ROCPRIM_400000_NS6detail17trampoline_kernelINS0_14default_configENS1_38merge_sort_block_merge_config_selectorIlNS0_10empty_typeEEEZZNS1_27merge_sort_block_merge_implIS3_PlPS5_mZN2at6native12_GLOBAL__N_124unique_dim_cuda_templateIlEESt5tupleIJNSA_6TensorESF_SF_EERKSF_lbbbEUlllE_EE10hipError_tT0_T1_T2_jT3_P12ihipStream_tbPNSt15iterator_traitsISL_E10value_typeEPNSR_ISM_E10value_typeEPSN_NS1_7vsmem_tEENKUlT_SL_SM_SN_E_clIS8_S8_S9_S9_EESK_S10_SL_SM_SN_EUlS10_E1_NS1_11comp_targetILNS1_3genE5ELNS1_11target_archE942ELNS1_3gpuE9ELNS1_3repE0EEENS1_36merge_oddeven_config_static_selectorELNS0_4arch9wavefront6targetE1EEEvSM_,@function
_ZN7rocprim17ROCPRIM_400000_NS6detail17trampoline_kernelINS0_14default_configENS1_38merge_sort_block_merge_config_selectorIlNS0_10empty_typeEEEZZNS1_27merge_sort_block_merge_implIS3_PlPS5_mZN2at6native12_GLOBAL__N_124unique_dim_cuda_templateIlEESt5tupleIJNSA_6TensorESF_SF_EERKSF_lbbbEUlllE_EE10hipError_tT0_T1_T2_jT3_P12ihipStream_tbPNSt15iterator_traitsISL_E10value_typeEPNSR_ISM_E10value_typeEPSN_NS1_7vsmem_tEENKUlT_SL_SM_SN_E_clIS8_S8_S9_S9_EESK_S10_SL_SM_SN_EUlS10_E1_NS1_11comp_targetILNS1_3genE5ELNS1_11target_archE942ELNS1_3gpuE9ELNS1_3repE0EEENS1_36merge_oddeven_config_static_selectorELNS0_4arch9wavefront6targetE1EEEvSM_: ; @_ZN7rocprim17ROCPRIM_400000_NS6detail17trampoline_kernelINS0_14default_configENS1_38merge_sort_block_merge_config_selectorIlNS0_10empty_typeEEEZZNS1_27merge_sort_block_merge_implIS3_PlPS5_mZN2at6native12_GLOBAL__N_124unique_dim_cuda_templateIlEESt5tupleIJNSA_6TensorESF_SF_EERKSF_lbbbEUlllE_EE10hipError_tT0_T1_T2_jT3_P12ihipStream_tbPNSt15iterator_traitsISL_E10value_typeEPNSR_ISM_E10value_typeEPSN_NS1_7vsmem_tEENKUlT_SL_SM_SN_E_clIS8_S8_S9_S9_EESK_S10_SL_SM_SN_EUlS10_E1_NS1_11comp_targetILNS1_3genE5ELNS1_11target_archE942ELNS1_3gpuE9ELNS1_3repE0EEENS1_36merge_oddeven_config_static_selectorELNS0_4arch9wavefront6targetE1EEEvSM_
; %bb.0:
	s_load_dword s22, s[0:1], 0x20
	s_waitcnt lgkmcnt(0)
	s_lshr_b32 s3, s22, 8
	s_cmp_lg_u32 s2, s3
	s_cselect_b64 s[12:13], -1, 0
	s_cmp_eq_u32 s2, s3
	s_cselect_b64 s[6:7], -1, 0
	s_lshl_b32 s20, s2, 8
	s_sub_i32 s3, s22, s20
	v_cmp_gt_u32_e64 s[4:5], s3, v0
	s_or_b64 s[8:9], s[12:13], s[4:5]
	s_and_saveexec_b64 s[10:11], s[8:9]
	s_cbranch_execz .LBB536_54
; %bb.1:
	s_load_dwordx4 s[8:11], s[0:1], 0x0
	s_load_dword s23, s[0:1], 0x28
	s_mov_b32 s21, 0
	s_lshl_b64 s[14:15], s[20:21], 3
	v_lshlrev_b32_e32 v1, 3, v0
	s_waitcnt lgkmcnt(0)
	s_add_u32 s14, s8, s14
	s_addc_u32 s15, s9, s15
	global_load_dwordx2 v[2:3], v1, s[14:15]
	s_lshr_b32 s3, s23, 8
	s_sub_i32 s14, 0, s3
	s_and_b32 s2, s2, s14
	s_and_b32 s3, s2, s3
	s_cmp_lg_u32 s3, 0
	s_cselect_b64 s[16:17], -1, 0
	s_lshl_b32 s21, s2, 8
	s_sub_i32 s2, 0, s23
	s_cmp_eq_u32 s3, 0
	s_cselect_b32 s33, s23, s2
	s_add_i32 s33, s33, s21
	s_cmp_lt_u32 s33, s22
	s_cbranch_scc1 .LBB536_3
; %bb.2:
	v_add_u32_e32 v4, s20, v0
	v_cmp_gt_u32_e32 vcc, s22, v4
	s_or_b64 s[12:13], vcc, s[12:13]
	s_and_b64 s[18:19], s[12:13], exec
	s_cbranch_execz .LBB536_4
	s_branch .LBB536_52
.LBB536_3:
	s_mov_b64 s[18:19], 0
                                        ; implicit-def: $vgpr4
.LBB536_4:
	s_load_dwordx4 s[12:15], s[0:1], 0x30
	s_min_u32 s44, s33, s22
	s_add_i32 s0, s44, s23
	s_min_u32 s45, s0, s22
	s_min_u32 s0, s21, s44
	v_add_u32_e32 v0, s20, v0
	s_add_i32 s21, s21, s44
	v_subrev_u32_e32 v0, s21, v0
	v_add_u32_e32 v14, s0, v0
	s_and_b64 vcc, exec, s[6:7]
	s_cbranch_vccz .LBB536_26
; %bb.5:
                                        ; implicit-def: $vgpr4
	s_and_saveexec_b64 s[20:21], s[4:5]
	s_cbranch_execz .LBB536_29
; %bb.6:
	s_cmp_ge_u32 s33, s45
	v_mov_b32_e32 v15, s44
	s_cbranch_scc1 .LBB536_28
; %bb.7:
	s_waitcnt vmcnt(0) lgkmcnt(0)
	v_mul_lo_u32 v0, v3, s12
	v_mul_lo_u32 v1, v2, s13
	v_mad_u64_u32 v[4:5], s[0:1], v2, s12, 0
	v_cndmask_b32_e64 v6, 0, 1, s[16:17]
	v_cmp_gt_i64_e64 s[2:3], s[12:13], 0
	v_add3_u32 v5, v5, v1, v0
	v_cmp_ne_u32_e64 s[0:1], 1, v6
	v_cndmask_b32_e64 v6, 0, 1, s[2:3]
	s_mov_b64 s[22:23], 0
	v_mov_b64_e32 v[0:1], s[14:15]
	v_lshl_add_u64 v[4:5], v[4:5], 3, s[14:15]
	s_lshl_b64 s[24:25], s[12:13], 3
	v_mov_b32_e32 v16, s45
	v_mov_b32_e32 v15, s44
	;; [unrolled: 1-line block ×3, first 2 shown]
	v_cmp_ne_u32_e64 s[2:3], 1, v6
	s_branch .LBB536_10
.LBB536_8:                              ;   in Loop: Header=BB536_10 Depth=1
	s_or_b64 exec, exec, s[28:29]
.LBB536_9:                              ;   in Loop: Header=BB536_10 Depth=1
	s_waitcnt vmcnt(0)
	v_add_u32_e32 v8, 1, v6
	v_cndmask_b32_e64 v16, v6, v16, s[26:27]
	v_cndmask_b32_e64 v15, v15, v8, s[26:27]
	v_cmp_ge_u32_e32 vcc, v15, v16
	s_or_b64 s[22:23], vcc, s[22:23]
	s_andn2_b64 exec, exec, s[22:23]
	s_cbranch_execz .LBB536_27
.LBB536_10:                             ; =>This Loop Header: Depth=1
                                        ;     Child Loop BB536_14 Depth 2
                                        ;     Child Loop BB536_23 Depth 2
	v_add_u32_e32 v6, v15, v16
	v_lshrrev_b32_e32 v6, 1, v6
	v_lshl_add_u64 v[8:9], v[6:7], 3, s[8:9]
	global_load_dwordx2 v[8:9], v[8:9], off
	s_and_b64 vcc, exec, s[0:1]
	s_mov_b64 s[4:5], -1
                                        ; implicit-def: $sgpr26_sgpr27
	s_cbranch_vccnz .LBB536_19
; %bb.11:                               ;   in Loop: Header=BB536_10 Depth=1
	s_and_b64 vcc, exec, s[2:3]
	s_cbranch_vccnz .LBB536_17
; %bb.12:                               ;   in Loop: Header=BB536_10 Depth=1
	s_waitcnt vmcnt(0)
	v_mad_u64_u32 v[10:11], s[4:5], s24, v8, v[0:1]
	v_mul_lo_u32 v12, s24, v9
	v_mul_lo_u32 v13, s25, v8
	v_add3_u32 v11, v13, v11, v12
	s_mov_b64 s[28:29], 0
	s_mov_b64 s[36:37], s[12:13]
	v_mov_b64_e32 v[12:13], v[4:5]
                                        ; implicit-def: $sgpr26_sgpr27
                                        ; implicit-def: $sgpr30_sgpr31
                                        ; implicit-def: $sgpr34_sgpr35
                                        ; implicit-def: $sgpr4_sgpr5
                                        ; implicit-def: $sgpr38_sgpr39
	s_branch .LBB536_14
.LBB536_13:                             ;   in Loop: Header=BB536_14 Depth=2
	s_or_b64 exec, exec, s[40:41]
	s_and_b64 s[6:7], exec, s[30:31]
	s_or_b64 s[28:29], s[6:7], s[28:29]
	s_andn2_b64 s[6:7], s[38:39], exec
	s_and_b64 s[38:39], s[34:35], exec
	s_or_b64 s[38:39], s[6:7], s[38:39]
	s_andn2_b64 s[6:7], s[26:27], exec
	s_and_b64 s[26:27], s[4:5], exec
	s_or_b64 s[26:27], s[6:7], s[26:27]
	s_andn2_b64 exec, exec, s[28:29]
	s_cbranch_execz .LBB536_16
.LBB536_14:                             ;   Parent Loop BB536_10 Depth=1
                                        ; =>  This Inner Loop Header: Depth=2
	global_load_dwordx2 v[18:19], v[12:13], off
	global_load_dwordx2 v[20:21], v[10:11], off
	s_andn2_b64 s[40:41], s[4:5], exec
	s_andn2_b64 s[34:35], s[34:35], exec
	s_or_b64 s[30:31], s[30:31], exec
	s_waitcnt vmcnt(0)
	v_cmp_le_i64_e64 s[4:5], v[18:19], v[20:21]
	v_cmp_lt_i64_e32 vcc, v[18:19], v[20:21]
	s_and_b64 s[4:5], s[4:5], s[38:39]
	s_or_b64 s[42:43], vcc, s[4:5]
	s_and_b64 s[4:5], s[42:43], exec
	v_cmp_eq_u64_e64 s[6:7], v[18:19], v[20:21]
	s_or_b64 s[4:5], s[40:41], s[4:5]
	s_and_saveexec_b64 s[40:41], s[6:7]
	s_cbranch_execz .LBB536_13
; %bb.15:                               ;   in Loop: Header=BB536_14 Depth=2
	s_add_u32 s36, s36, -1
	s_addc_u32 s37, s37, -1
	s_cmp_eq_u64 s[36:37], 0
	s_cselect_b64 s[6:7], -1, 0
	s_andn2_b64 s[34:35], s[34:35], exec
	s_and_b64 s[38:39], s[42:43], exec
	s_andn2_b64 s[30:31], s[30:31], exec
	s_and_b64 s[6:7], s[6:7], exec
	v_lshl_add_u64 v[12:13], v[12:13], 0, 8
	v_lshl_add_u64 v[10:11], v[10:11], 0, 8
	s_andn2_b64 s[4:5], s[4:5], exec
	s_or_b64 s[34:35], s[34:35], s[38:39]
	s_or_b64 s[30:31], s[30:31], s[6:7]
                                        ; implicit-def: $sgpr38_sgpr39
	s_branch .LBB536_13
.LBB536_16:                             ;   in Loop: Header=BB536_10 Depth=1
	s_or_b64 exec, exec, s[28:29]
	s_branch .LBB536_18
.LBB536_17:                             ;   in Loop: Header=BB536_10 Depth=1
	s_mov_b64 s[26:27], 0
.LBB536_18:                             ;   in Loop: Header=BB536_10 Depth=1
	s_xor_b64 s[26:27], s[26:27], -1
	s_mov_b64 s[4:5], 0
.LBB536_19:                             ;   in Loop: Header=BB536_10 Depth=1
	s_and_b64 vcc, exec, s[4:5]
	s_cbranch_vccz .LBB536_9
; %bb.20:                               ;   in Loop: Header=BB536_10 Depth=1
	s_and_b64 vcc, exec, s[2:3]
	s_cbranch_vccnz .LBB536_25
; %bb.21:                               ;   in Loop: Header=BB536_10 Depth=1
	s_waitcnt vmcnt(0)
	v_mad_u64_u32 v[10:11], s[4:5], s24, v8, v[0:1]
	v_mul_lo_u32 v9, s24, v9
	v_mul_lo_u32 v8, s25, v8
	v_add3_u32 v11, v8, v11, v9
	s_mov_b64 s[28:29], 0
	s_mov_b64 s[36:37], s[12:13]
	v_mov_b64_e32 v[8:9], v[4:5]
                                        ; implicit-def: $sgpr26_sgpr27
                                        ; implicit-def: $sgpr30_sgpr31
                                        ; implicit-def: $sgpr34_sgpr35
                                        ; implicit-def: $sgpr4_sgpr5
                                        ; implicit-def: $sgpr38_sgpr39
	s_branch .LBB536_23
.LBB536_22:                             ;   in Loop: Header=BB536_23 Depth=2
	s_or_b64 exec, exec, s[40:41]
	s_and_b64 s[6:7], exec, s[30:31]
	s_or_b64 s[28:29], s[6:7], s[28:29]
	s_andn2_b64 s[6:7], s[38:39], exec
	s_and_b64 s[38:39], s[34:35], exec
	s_or_b64 s[38:39], s[6:7], s[38:39]
	s_andn2_b64 s[6:7], s[26:27], exec
	s_and_b64 s[26:27], s[4:5], exec
	s_or_b64 s[26:27], s[6:7], s[26:27]
	s_andn2_b64 exec, exec, s[28:29]
	s_cbranch_execz .LBB536_8
.LBB536_23:                             ;   Parent Loop BB536_10 Depth=1
                                        ; =>  This Inner Loop Header: Depth=2
	global_load_dwordx2 v[12:13], v[10:11], off
	global_load_dwordx2 v[18:19], v[8:9], off
	s_andn2_b64 s[40:41], s[4:5], exec
	s_andn2_b64 s[34:35], s[34:35], exec
	s_or_b64 s[30:31], s[30:31], exec
	s_waitcnt vmcnt(0)
	v_cmp_le_i64_e64 s[4:5], v[12:13], v[18:19]
	v_cmp_lt_i64_e32 vcc, v[12:13], v[18:19]
	s_and_b64 s[4:5], s[4:5], s[38:39]
	s_or_b64 s[42:43], vcc, s[4:5]
	s_and_b64 s[4:5], s[42:43], exec
	v_cmp_eq_u64_e64 s[6:7], v[12:13], v[18:19]
	s_or_b64 s[4:5], s[40:41], s[4:5]
	s_and_saveexec_b64 s[40:41], s[6:7]
	s_cbranch_execz .LBB536_22
; %bb.24:                               ;   in Loop: Header=BB536_23 Depth=2
	s_add_u32 s36, s36, -1
	s_addc_u32 s37, s37, -1
	s_cmp_eq_u64 s[36:37], 0
	s_cselect_b64 s[6:7], -1, 0
	s_andn2_b64 s[34:35], s[34:35], exec
	s_and_b64 s[38:39], s[42:43], exec
	s_andn2_b64 s[30:31], s[30:31], exec
	s_and_b64 s[6:7], s[6:7], exec
	v_lshl_add_u64 v[10:11], v[10:11], 0, 8
	v_lshl_add_u64 v[8:9], v[8:9], 0, 8
	s_andn2_b64 s[4:5], s[4:5], exec
	s_or_b64 s[34:35], s[34:35], s[38:39]
	s_or_b64 s[30:31], s[30:31], s[6:7]
                                        ; implicit-def: $sgpr38_sgpr39
	s_branch .LBB536_22
.LBB536_25:                             ;   in Loop: Header=BB536_10 Depth=1
	s_mov_b64 s[26:27], 0
	s_branch .LBB536_9
.LBB536_26:
                                        ; implicit-def: $vgpr4
	s_cbranch_execnz .LBB536_30
	s_branch .LBB536_52
.LBB536_27:
	s_or_b64 exec, exec, s[22:23]
.LBB536_28:
	v_add_u32_e32 v4, v15, v14
	s_or_b64 s[18:19], s[18:19], exec
.LBB536_29:
	s_or_b64 exec, exec, s[20:21]
	s_branch .LBB536_52
.LBB536_30:
	s_cmp_ge_u32 s33, s45
	v_mov_b32_e32 v15, s44
	s_cbranch_scc1 .LBB536_51
; %bb.31:
	s_waitcnt vmcnt(0) lgkmcnt(0)
	v_mul_lo_u32 v0, v3, s12
	v_mul_lo_u32 v1, v2, s13
	v_mad_u64_u32 v[4:5], s[0:1], v2, s12, 0
	v_cndmask_b32_e64 v6, 0, 1, s[16:17]
	v_cmp_gt_i64_e64 s[2:3], s[12:13], 0
	v_add3_u32 v5, v5, v1, v0
	v_cmp_ne_u32_e64 s[0:1], 1, v6
	v_cndmask_b32_e64 v6, 0, 1, s[2:3]
	s_mov_b64 s[18:19], 0
	v_mov_b64_e32 v[0:1], s[14:15]
	v_lshl_add_u64 v[4:5], v[4:5], 3, s[14:15]
	s_lshl_b64 s[14:15], s[12:13], 3
	v_mov_b32_e32 v16, s45
	v_mov_b32_e32 v15, s44
	;; [unrolled: 1-line block ×3, first 2 shown]
	v_cmp_ne_u32_e64 s[2:3], 1, v6
	s_branch .LBB536_34
.LBB536_32:                             ;   in Loop: Header=BB536_34 Depth=1
	s_or_b64 exec, exec, s[20:21]
.LBB536_33:                             ;   in Loop: Header=BB536_34 Depth=1
	s_waitcnt vmcnt(0)
	v_add_u32_e32 v8, 1, v6
	v_cndmask_b32_e64 v16, v6, v16, s[16:17]
	v_cndmask_b32_e64 v15, v15, v8, s[16:17]
	v_cmp_ge_u32_e32 vcc, v15, v16
	s_or_b64 s[18:19], vcc, s[18:19]
	s_andn2_b64 exec, exec, s[18:19]
	s_cbranch_execz .LBB536_50
.LBB536_34:                             ; =>This Loop Header: Depth=1
                                        ;     Child Loop BB536_38 Depth 2
                                        ;     Child Loop BB536_47 Depth 2
	v_add_u32_e32 v6, v15, v16
	v_lshrrev_b32_e32 v6, 1, v6
	v_lshl_add_u64 v[8:9], v[6:7], 3, s[8:9]
	global_load_dwordx2 v[8:9], v[8:9], off
	s_and_b64 vcc, exec, s[0:1]
	s_mov_b64 s[4:5], -1
                                        ; implicit-def: $sgpr16_sgpr17
	s_cbranch_vccnz .LBB536_43
; %bb.35:                               ;   in Loop: Header=BB536_34 Depth=1
	s_and_b64 vcc, exec, s[2:3]
	s_cbranch_vccnz .LBB536_41
; %bb.36:                               ;   in Loop: Header=BB536_34 Depth=1
	s_waitcnt vmcnt(0)
	v_mad_u64_u32 v[10:11], s[4:5], s14, v8, v[0:1]
	v_mul_lo_u32 v12, s14, v9
	v_mul_lo_u32 v13, s15, v8
	v_add3_u32 v11, v13, v11, v12
	s_mov_b64 s[20:21], 0
	s_mov_b64 s[26:27], s[12:13]
	v_mov_b64_e32 v[12:13], v[4:5]
                                        ; implicit-def: $sgpr16_sgpr17
                                        ; implicit-def: $sgpr22_sgpr23
                                        ; implicit-def: $sgpr24_sgpr25
                                        ; implicit-def: $sgpr4_sgpr5
                                        ; implicit-def: $sgpr28_sgpr29
	s_branch .LBB536_38
.LBB536_37:                             ;   in Loop: Header=BB536_38 Depth=2
	s_or_b64 exec, exec, s[30:31]
	s_and_b64 s[6:7], exec, s[22:23]
	s_or_b64 s[20:21], s[6:7], s[20:21]
	s_andn2_b64 s[6:7], s[28:29], exec
	s_and_b64 s[28:29], s[24:25], exec
	s_or_b64 s[28:29], s[6:7], s[28:29]
	s_andn2_b64 s[6:7], s[16:17], exec
	s_and_b64 s[16:17], s[4:5], exec
	s_or_b64 s[16:17], s[6:7], s[16:17]
	s_andn2_b64 exec, exec, s[20:21]
	s_cbranch_execz .LBB536_40
.LBB536_38:                             ;   Parent Loop BB536_34 Depth=1
                                        ; =>  This Inner Loop Header: Depth=2
	global_load_dwordx2 v[18:19], v[12:13], off
	global_load_dwordx2 v[20:21], v[10:11], off
	s_andn2_b64 s[30:31], s[4:5], exec
	s_andn2_b64 s[24:25], s[24:25], exec
	s_or_b64 s[22:23], s[22:23], exec
	s_waitcnt vmcnt(0)
	v_cmp_le_i64_e64 s[4:5], v[18:19], v[20:21]
	v_cmp_lt_i64_e32 vcc, v[18:19], v[20:21]
	s_and_b64 s[4:5], s[4:5], s[28:29]
	s_or_b64 s[34:35], vcc, s[4:5]
	s_and_b64 s[4:5], s[34:35], exec
	v_cmp_eq_u64_e64 s[6:7], v[18:19], v[20:21]
	s_or_b64 s[4:5], s[30:31], s[4:5]
	s_and_saveexec_b64 s[30:31], s[6:7]
	s_cbranch_execz .LBB536_37
; %bb.39:                               ;   in Loop: Header=BB536_38 Depth=2
	s_add_u32 s26, s26, -1
	s_addc_u32 s27, s27, -1
	s_cmp_eq_u64 s[26:27], 0
	s_cselect_b64 s[6:7], -1, 0
	s_andn2_b64 s[24:25], s[24:25], exec
	s_and_b64 s[28:29], s[34:35], exec
	s_andn2_b64 s[22:23], s[22:23], exec
	s_and_b64 s[6:7], s[6:7], exec
	v_lshl_add_u64 v[12:13], v[12:13], 0, 8
	v_lshl_add_u64 v[10:11], v[10:11], 0, 8
	s_andn2_b64 s[4:5], s[4:5], exec
	s_or_b64 s[24:25], s[24:25], s[28:29]
	s_or_b64 s[22:23], s[22:23], s[6:7]
                                        ; implicit-def: $sgpr28_sgpr29
	s_branch .LBB536_37
.LBB536_40:                             ;   in Loop: Header=BB536_34 Depth=1
	s_or_b64 exec, exec, s[20:21]
	s_branch .LBB536_42
.LBB536_41:                             ;   in Loop: Header=BB536_34 Depth=1
	s_mov_b64 s[16:17], 0
.LBB536_42:                             ;   in Loop: Header=BB536_34 Depth=1
	s_xor_b64 s[16:17], s[16:17], -1
	s_mov_b64 s[4:5], 0
.LBB536_43:                             ;   in Loop: Header=BB536_34 Depth=1
	s_and_b64 vcc, exec, s[4:5]
	s_cbranch_vccz .LBB536_33
; %bb.44:                               ;   in Loop: Header=BB536_34 Depth=1
	s_and_b64 vcc, exec, s[2:3]
	s_cbranch_vccnz .LBB536_49
; %bb.45:                               ;   in Loop: Header=BB536_34 Depth=1
	s_waitcnt vmcnt(0)
	v_mad_u64_u32 v[10:11], s[4:5], s14, v8, v[0:1]
	v_mul_lo_u32 v9, s14, v9
	v_mul_lo_u32 v8, s15, v8
	v_add3_u32 v11, v8, v11, v9
	s_mov_b64 s[20:21], 0
	s_mov_b64 s[26:27], s[12:13]
	v_mov_b64_e32 v[8:9], v[4:5]
                                        ; implicit-def: $sgpr16_sgpr17
                                        ; implicit-def: $sgpr22_sgpr23
                                        ; implicit-def: $sgpr24_sgpr25
                                        ; implicit-def: $sgpr4_sgpr5
                                        ; implicit-def: $sgpr28_sgpr29
	s_branch .LBB536_47
.LBB536_46:                             ;   in Loop: Header=BB536_47 Depth=2
	s_or_b64 exec, exec, s[30:31]
	s_and_b64 s[6:7], exec, s[22:23]
	s_or_b64 s[20:21], s[6:7], s[20:21]
	s_andn2_b64 s[6:7], s[28:29], exec
	s_and_b64 s[28:29], s[24:25], exec
	s_or_b64 s[28:29], s[6:7], s[28:29]
	s_andn2_b64 s[6:7], s[16:17], exec
	s_and_b64 s[16:17], s[4:5], exec
	s_or_b64 s[16:17], s[6:7], s[16:17]
	s_andn2_b64 exec, exec, s[20:21]
	s_cbranch_execz .LBB536_32
.LBB536_47:                             ;   Parent Loop BB536_34 Depth=1
                                        ; =>  This Inner Loop Header: Depth=2
	global_load_dwordx2 v[12:13], v[10:11], off
	global_load_dwordx2 v[18:19], v[8:9], off
	s_andn2_b64 s[30:31], s[4:5], exec
	s_andn2_b64 s[24:25], s[24:25], exec
	s_or_b64 s[22:23], s[22:23], exec
	s_waitcnt vmcnt(0)
	v_cmp_le_i64_e64 s[4:5], v[12:13], v[18:19]
	v_cmp_lt_i64_e32 vcc, v[12:13], v[18:19]
	s_and_b64 s[4:5], s[4:5], s[28:29]
	s_or_b64 s[34:35], vcc, s[4:5]
	s_and_b64 s[4:5], s[34:35], exec
	v_cmp_eq_u64_e64 s[6:7], v[12:13], v[18:19]
	s_or_b64 s[4:5], s[30:31], s[4:5]
	s_and_saveexec_b64 s[30:31], s[6:7]
	s_cbranch_execz .LBB536_46
; %bb.48:                               ;   in Loop: Header=BB536_47 Depth=2
	s_add_u32 s26, s26, -1
	s_addc_u32 s27, s27, -1
	s_cmp_eq_u64 s[26:27], 0
	s_cselect_b64 s[6:7], -1, 0
	s_andn2_b64 s[24:25], s[24:25], exec
	s_and_b64 s[28:29], s[34:35], exec
	s_andn2_b64 s[22:23], s[22:23], exec
	s_and_b64 s[6:7], s[6:7], exec
	v_lshl_add_u64 v[10:11], v[10:11], 0, 8
	v_lshl_add_u64 v[8:9], v[8:9], 0, 8
	s_andn2_b64 s[4:5], s[4:5], exec
	s_or_b64 s[24:25], s[24:25], s[28:29]
	s_or_b64 s[22:23], s[22:23], s[6:7]
                                        ; implicit-def: $sgpr28_sgpr29
	s_branch .LBB536_46
.LBB536_49:                             ;   in Loop: Header=BB536_34 Depth=1
	s_mov_b64 s[16:17], 0
	s_branch .LBB536_33
.LBB536_50:
	s_or_b64 exec, exec, s[18:19]
.LBB536_51:
	v_add_u32_e32 v4, v15, v14
	s_mov_b64 s[18:19], -1
.LBB536_52:
	s_and_b64 exec, exec, s[18:19]
	s_cbranch_execz .LBB536_54
; %bb.53:
	v_mov_b32_e32 v0, s10
	v_mov_b32_e32 v1, s11
	;; [unrolled: 1-line block ×3, first 2 shown]
	v_lshl_add_u64 v[0:1], v[4:5], 3, v[0:1]
	s_waitcnt vmcnt(0)
	global_store_dwordx2 v[0:1], v[2:3], off
.LBB536_54:
	s_endpgm
	.section	.rodata,"a",@progbits
	.p2align	6, 0x0
	.amdhsa_kernel _ZN7rocprim17ROCPRIM_400000_NS6detail17trampoline_kernelINS0_14default_configENS1_38merge_sort_block_merge_config_selectorIlNS0_10empty_typeEEEZZNS1_27merge_sort_block_merge_implIS3_PlPS5_mZN2at6native12_GLOBAL__N_124unique_dim_cuda_templateIlEESt5tupleIJNSA_6TensorESF_SF_EERKSF_lbbbEUlllE_EE10hipError_tT0_T1_T2_jT3_P12ihipStream_tbPNSt15iterator_traitsISL_E10value_typeEPNSR_ISM_E10value_typeEPSN_NS1_7vsmem_tEENKUlT_SL_SM_SN_E_clIS8_S8_S9_S9_EESK_S10_SL_SM_SN_EUlS10_E1_NS1_11comp_targetILNS1_3genE5ELNS1_11target_archE942ELNS1_3gpuE9ELNS1_3repE0EEENS1_36merge_oddeven_config_static_selectorELNS0_4arch9wavefront6targetE1EEEvSM_
		.amdhsa_group_segment_fixed_size 0
		.amdhsa_private_segment_fixed_size 0
		.amdhsa_kernarg_size 64
		.amdhsa_user_sgpr_count 2
		.amdhsa_user_sgpr_dispatch_ptr 0
		.amdhsa_user_sgpr_queue_ptr 0
		.amdhsa_user_sgpr_kernarg_segment_ptr 1
		.amdhsa_user_sgpr_dispatch_id 0
		.amdhsa_user_sgpr_kernarg_preload_length 0
		.amdhsa_user_sgpr_kernarg_preload_offset 0
		.amdhsa_user_sgpr_private_segment_size 0
		.amdhsa_uses_dynamic_stack 0
		.amdhsa_enable_private_segment 0
		.amdhsa_system_sgpr_workgroup_id_x 1
		.amdhsa_system_sgpr_workgroup_id_y 0
		.amdhsa_system_sgpr_workgroup_id_z 0
		.amdhsa_system_sgpr_workgroup_info 0
		.amdhsa_system_vgpr_workitem_id 0
		.amdhsa_next_free_vgpr 22
		.amdhsa_next_free_sgpr 46
		.amdhsa_accum_offset 24
		.amdhsa_reserve_vcc 1
		.amdhsa_float_round_mode_32 0
		.amdhsa_float_round_mode_16_64 0
		.amdhsa_float_denorm_mode_32 3
		.amdhsa_float_denorm_mode_16_64 3
		.amdhsa_dx10_clamp 1
		.amdhsa_ieee_mode 1
		.amdhsa_fp16_overflow 0
		.amdhsa_tg_split 0
		.amdhsa_exception_fp_ieee_invalid_op 0
		.amdhsa_exception_fp_denorm_src 0
		.amdhsa_exception_fp_ieee_div_zero 0
		.amdhsa_exception_fp_ieee_overflow 0
		.amdhsa_exception_fp_ieee_underflow 0
		.amdhsa_exception_fp_ieee_inexact 0
		.amdhsa_exception_int_div_zero 0
	.end_amdhsa_kernel
	.section	.text._ZN7rocprim17ROCPRIM_400000_NS6detail17trampoline_kernelINS0_14default_configENS1_38merge_sort_block_merge_config_selectorIlNS0_10empty_typeEEEZZNS1_27merge_sort_block_merge_implIS3_PlPS5_mZN2at6native12_GLOBAL__N_124unique_dim_cuda_templateIlEESt5tupleIJNSA_6TensorESF_SF_EERKSF_lbbbEUlllE_EE10hipError_tT0_T1_T2_jT3_P12ihipStream_tbPNSt15iterator_traitsISL_E10value_typeEPNSR_ISM_E10value_typeEPSN_NS1_7vsmem_tEENKUlT_SL_SM_SN_E_clIS8_S8_S9_S9_EESK_S10_SL_SM_SN_EUlS10_E1_NS1_11comp_targetILNS1_3genE5ELNS1_11target_archE942ELNS1_3gpuE9ELNS1_3repE0EEENS1_36merge_oddeven_config_static_selectorELNS0_4arch9wavefront6targetE1EEEvSM_,"axG",@progbits,_ZN7rocprim17ROCPRIM_400000_NS6detail17trampoline_kernelINS0_14default_configENS1_38merge_sort_block_merge_config_selectorIlNS0_10empty_typeEEEZZNS1_27merge_sort_block_merge_implIS3_PlPS5_mZN2at6native12_GLOBAL__N_124unique_dim_cuda_templateIlEESt5tupleIJNSA_6TensorESF_SF_EERKSF_lbbbEUlllE_EE10hipError_tT0_T1_T2_jT3_P12ihipStream_tbPNSt15iterator_traitsISL_E10value_typeEPNSR_ISM_E10value_typeEPSN_NS1_7vsmem_tEENKUlT_SL_SM_SN_E_clIS8_S8_S9_S9_EESK_S10_SL_SM_SN_EUlS10_E1_NS1_11comp_targetILNS1_3genE5ELNS1_11target_archE942ELNS1_3gpuE9ELNS1_3repE0EEENS1_36merge_oddeven_config_static_selectorELNS0_4arch9wavefront6targetE1EEEvSM_,comdat
.Lfunc_end536:
	.size	_ZN7rocprim17ROCPRIM_400000_NS6detail17trampoline_kernelINS0_14default_configENS1_38merge_sort_block_merge_config_selectorIlNS0_10empty_typeEEEZZNS1_27merge_sort_block_merge_implIS3_PlPS5_mZN2at6native12_GLOBAL__N_124unique_dim_cuda_templateIlEESt5tupleIJNSA_6TensorESF_SF_EERKSF_lbbbEUlllE_EE10hipError_tT0_T1_T2_jT3_P12ihipStream_tbPNSt15iterator_traitsISL_E10value_typeEPNSR_ISM_E10value_typeEPSN_NS1_7vsmem_tEENKUlT_SL_SM_SN_E_clIS8_S8_S9_S9_EESK_S10_SL_SM_SN_EUlS10_E1_NS1_11comp_targetILNS1_3genE5ELNS1_11target_archE942ELNS1_3gpuE9ELNS1_3repE0EEENS1_36merge_oddeven_config_static_selectorELNS0_4arch9wavefront6targetE1EEEvSM_, .Lfunc_end536-_ZN7rocprim17ROCPRIM_400000_NS6detail17trampoline_kernelINS0_14default_configENS1_38merge_sort_block_merge_config_selectorIlNS0_10empty_typeEEEZZNS1_27merge_sort_block_merge_implIS3_PlPS5_mZN2at6native12_GLOBAL__N_124unique_dim_cuda_templateIlEESt5tupleIJNSA_6TensorESF_SF_EERKSF_lbbbEUlllE_EE10hipError_tT0_T1_T2_jT3_P12ihipStream_tbPNSt15iterator_traitsISL_E10value_typeEPNSR_ISM_E10value_typeEPSN_NS1_7vsmem_tEENKUlT_SL_SM_SN_E_clIS8_S8_S9_S9_EESK_S10_SL_SM_SN_EUlS10_E1_NS1_11comp_targetILNS1_3genE5ELNS1_11target_archE942ELNS1_3gpuE9ELNS1_3repE0EEENS1_36merge_oddeven_config_static_selectorELNS0_4arch9wavefront6targetE1EEEvSM_
                                        ; -- End function
	.section	.AMDGPU.csdata,"",@progbits
; Kernel info:
; codeLenInByte = 1784
; NumSgprs: 52
; NumVgprs: 22
; NumAgprs: 0
; TotalNumVgprs: 22
; ScratchSize: 0
; MemoryBound: 0
; FloatMode: 240
; IeeeMode: 1
; LDSByteSize: 0 bytes/workgroup (compile time only)
; SGPRBlocks: 6
; VGPRBlocks: 2
; NumSGPRsForWavesPerEU: 52
; NumVGPRsForWavesPerEU: 22
; AccumOffset: 24
; Occupancy: 8
; WaveLimiterHint : 0
; COMPUTE_PGM_RSRC2:SCRATCH_EN: 0
; COMPUTE_PGM_RSRC2:USER_SGPR: 2
; COMPUTE_PGM_RSRC2:TRAP_HANDLER: 0
; COMPUTE_PGM_RSRC2:TGID_X_EN: 1
; COMPUTE_PGM_RSRC2:TGID_Y_EN: 0
; COMPUTE_PGM_RSRC2:TGID_Z_EN: 0
; COMPUTE_PGM_RSRC2:TIDIG_COMP_CNT: 0
; COMPUTE_PGM_RSRC3_GFX90A:ACCUM_OFFSET: 5
; COMPUTE_PGM_RSRC3_GFX90A:TG_SPLIT: 0
	.section	.text._ZN7rocprim17ROCPRIM_400000_NS6detail17trampoline_kernelINS0_14default_configENS1_38merge_sort_block_merge_config_selectorIlNS0_10empty_typeEEEZZNS1_27merge_sort_block_merge_implIS3_PlPS5_mZN2at6native12_GLOBAL__N_124unique_dim_cuda_templateIlEESt5tupleIJNSA_6TensorESF_SF_EERKSF_lbbbEUlllE_EE10hipError_tT0_T1_T2_jT3_P12ihipStream_tbPNSt15iterator_traitsISL_E10value_typeEPNSR_ISM_E10value_typeEPSN_NS1_7vsmem_tEENKUlT_SL_SM_SN_E_clIS8_S8_S9_S9_EESK_S10_SL_SM_SN_EUlS10_E1_NS1_11comp_targetILNS1_3genE4ELNS1_11target_archE910ELNS1_3gpuE8ELNS1_3repE0EEENS1_36merge_oddeven_config_static_selectorELNS0_4arch9wavefront6targetE1EEEvSM_,"axG",@progbits,_ZN7rocprim17ROCPRIM_400000_NS6detail17trampoline_kernelINS0_14default_configENS1_38merge_sort_block_merge_config_selectorIlNS0_10empty_typeEEEZZNS1_27merge_sort_block_merge_implIS3_PlPS5_mZN2at6native12_GLOBAL__N_124unique_dim_cuda_templateIlEESt5tupleIJNSA_6TensorESF_SF_EERKSF_lbbbEUlllE_EE10hipError_tT0_T1_T2_jT3_P12ihipStream_tbPNSt15iterator_traitsISL_E10value_typeEPNSR_ISM_E10value_typeEPSN_NS1_7vsmem_tEENKUlT_SL_SM_SN_E_clIS8_S8_S9_S9_EESK_S10_SL_SM_SN_EUlS10_E1_NS1_11comp_targetILNS1_3genE4ELNS1_11target_archE910ELNS1_3gpuE8ELNS1_3repE0EEENS1_36merge_oddeven_config_static_selectorELNS0_4arch9wavefront6targetE1EEEvSM_,comdat
	.globl	_ZN7rocprim17ROCPRIM_400000_NS6detail17trampoline_kernelINS0_14default_configENS1_38merge_sort_block_merge_config_selectorIlNS0_10empty_typeEEEZZNS1_27merge_sort_block_merge_implIS3_PlPS5_mZN2at6native12_GLOBAL__N_124unique_dim_cuda_templateIlEESt5tupleIJNSA_6TensorESF_SF_EERKSF_lbbbEUlllE_EE10hipError_tT0_T1_T2_jT3_P12ihipStream_tbPNSt15iterator_traitsISL_E10value_typeEPNSR_ISM_E10value_typeEPSN_NS1_7vsmem_tEENKUlT_SL_SM_SN_E_clIS8_S8_S9_S9_EESK_S10_SL_SM_SN_EUlS10_E1_NS1_11comp_targetILNS1_3genE4ELNS1_11target_archE910ELNS1_3gpuE8ELNS1_3repE0EEENS1_36merge_oddeven_config_static_selectorELNS0_4arch9wavefront6targetE1EEEvSM_ ; -- Begin function _ZN7rocprim17ROCPRIM_400000_NS6detail17trampoline_kernelINS0_14default_configENS1_38merge_sort_block_merge_config_selectorIlNS0_10empty_typeEEEZZNS1_27merge_sort_block_merge_implIS3_PlPS5_mZN2at6native12_GLOBAL__N_124unique_dim_cuda_templateIlEESt5tupleIJNSA_6TensorESF_SF_EERKSF_lbbbEUlllE_EE10hipError_tT0_T1_T2_jT3_P12ihipStream_tbPNSt15iterator_traitsISL_E10value_typeEPNSR_ISM_E10value_typeEPSN_NS1_7vsmem_tEENKUlT_SL_SM_SN_E_clIS8_S8_S9_S9_EESK_S10_SL_SM_SN_EUlS10_E1_NS1_11comp_targetILNS1_3genE4ELNS1_11target_archE910ELNS1_3gpuE8ELNS1_3repE0EEENS1_36merge_oddeven_config_static_selectorELNS0_4arch9wavefront6targetE1EEEvSM_
	.p2align	8
	.type	_ZN7rocprim17ROCPRIM_400000_NS6detail17trampoline_kernelINS0_14default_configENS1_38merge_sort_block_merge_config_selectorIlNS0_10empty_typeEEEZZNS1_27merge_sort_block_merge_implIS3_PlPS5_mZN2at6native12_GLOBAL__N_124unique_dim_cuda_templateIlEESt5tupleIJNSA_6TensorESF_SF_EERKSF_lbbbEUlllE_EE10hipError_tT0_T1_T2_jT3_P12ihipStream_tbPNSt15iterator_traitsISL_E10value_typeEPNSR_ISM_E10value_typeEPSN_NS1_7vsmem_tEENKUlT_SL_SM_SN_E_clIS8_S8_S9_S9_EESK_S10_SL_SM_SN_EUlS10_E1_NS1_11comp_targetILNS1_3genE4ELNS1_11target_archE910ELNS1_3gpuE8ELNS1_3repE0EEENS1_36merge_oddeven_config_static_selectorELNS0_4arch9wavefront6targetE1EEEvSM_,@function
_ZN7rocprim17ROCPRIM_400000_NS6detail17trampoline_kernelINS0_14default_configENS1_38merge_sort_block_merge_config_selectorIlNS0_10empty_typeEEEZZNS1_27merge_sort_block_merge_implIS3_PlPS5_mZN2at6native12_GLOBAL__N_124unique_dim_cuda_templateIlEESt5tupleIJNSA_6TensorESF_SF_EERKSF_lbbbEUlllE_EE10hipError_tT0_T1_T2_jT3_P12ihipStream_tbPNSt15iterator_traitsISL_E10value_typeEPNSR_ISM_E10value_typeEPSN_NS1_7vsmem_tEENKUlT_SL_SM_SN_E_clIS8_S8_S9_S9_EESK_S10_SL_SM_SN_EUlS10_E1_NS1_11comp_targetILNS1_3genE4ELNS1_11target_archE910ELNS1_3gpuE8ELNS1_3repE0EEENS1_36merge_oddeven_config_static_selectorELNS0_4arch9wavefront6targetE1EEEvSM_: ; @_ZN7rocprim17ROCPRIM_400000_NS6detail17trampoline_kernelINS0_14default_configENS1_38merge_sort_block_merge_config_selectorIlNS0_10empty_typeEEEZZNS1_27merge_sort_block_merge_implIS3_PlPS5_mZN2at6native12_GLOBAL__N_124unique_dim_cuda_templateIlEESt5tupleIJNSA_6TensorESF_SF_EERKSF_lbbbEUlllE_EE10hipError_tT0_T1_T2_jT3_P12ihipStream_tbPNSt15iterator_traitsISL_E10value_typeEPNSR_ISM_E10value_typeEPSN_NS1_7vsmem_tEENKUlT_SL_SM_SN_E_clIS8_S8_S9_S9_EESK_S10_SL_SM_SN_EUlS10_E1_NS1_11comp_targetILNS1_3genE4ELNS1_11target_archE910ELNS1_3gpuE8ELNS1_3repE0EEENS1_36merge_oddeven_config_static_selectorELNS0_4arch9wavefront6targetE1EEEvSM_
; %bb.0:
	.section	.rodata,"a",@progbits
	.p2align	6, 0x0
	.amdhsa_kernel _ZN7rocprim17ROCPRIM_400000_NS6detail17trampoline_kernelINS0_14default_configENS1_38merge_sort_block_merge_config_selectorIlNS0_10empty_typeEEEZZNS1_27merge_sort_block_merge_implIS3_PlPS5_mZN2at6native12_GLOBAL__N_124unique_dim_cuda_templateIlEESt5tupleIJNSA_6TensorESF_SF_EERKSF_lbbbEUlllE_EE10hipError_tT0_T1_T2_jT3_P12ihipStream_tbPNSt15iterator_traitsISL_E10value_typeEPNSR_ISM_E10value_typeEPSN_NS1_7vsmem_tEENKUlT_SL_SM_SN_E_clIS8_S8_S9_S9_EESK_S10_SL_SM_SN_EUlS10_E1_NS1_11comp_targetILNS1_3genE4ELNS1_11target_archE910ELNS1_3gpuE8ELNS1_3repE0EEENS1_36merge_oddeven_config_static_selectorELNS0_4arch9wavefront6targetE1EEEvSM_
		.amdhsa_group_segment_fixed_size 0
		.amdhsa_private_segment_fixed_size 0
		.amdhsa_kernarg_size 64
		.amdhsa_user_sgpr_count 2
		.amdhsa_user_sgpr_dispatch_ptr 0
		.amdhsa_user_sgpr_queue_ptr 0
		.amdhsa_user_sgpr_kernarg_segment_ptr 1
		.amdhsa_user_sgpr_dispatch_id 0
		.amdhsa_user_sgpr_kernarg_preload_length 0
		.amdhsa_user_sgpr_kernarg_preload_offset 0
		.amdhsa_user_sgpr_private_segment_size 0
		.amdhsa_uses_dynamic_stack 0
		.amdhsa_enable_private_segment 0
		.amdhsa_system_sgpr_workgroup_id_x 1
		.amdhsa_system_sgpr_workgroup_id_y 0
		.amdhsa_system_sgpr_workgroup_id_z 0
		.amdhsa_system_sgpr_workgroup_info 0
		.amdhsa_system_vgpr_workitem_id 0
		.amdhsa_next_free_vgpr 1
		.amdhsa_next_free_sgpr 0
		.amdhsa_accum_offset 4
		.amdhsa_reserve_vcc 0
		.amdhsa_float_round_mode_32 0
		.amdhsa_float_round_mode_16_64 0
		.amdhsa_float_denorm_mode_32 3
		.amdhsa_float_denorm_mode_16_64 3
		.amdhsa_dx10_clamp 1
		.amdhsa_ieee_mode 1
		.amdhsa_fp16_overflow 0
		.amdhsa_tg_split 0
		.amdhsa_exception_fp_ieee_invalid_op 0
		.amdhsa_exception_fp_denorm_src 0
		.amdhsa_exception_fp_ieee_div_zero 0
		.amdhsa_exception_fp_ieee_overflow 0
		.amdhsa_exception_fp_ieee_underflow 0
		.amdhsa_exception_fp_ieee_inexact 0
		.amdhsa_exception_int_div_zero 0
	.end_amdhsa_kernel
	.section	.text._ZN7rocprim17ROCPRIM_400000_NS6detail17trampoline_kernelINS0_14default_configENS1_38merge_sort_block_merge_config_selectorIlNS0_10empty_typeEEEZZNS1_27merge_sort_block_merge_implIS3_PlPS5_mZN2at6native12_GLOBAL__N_124unique_dim_cuda_templateIlEESt5tupleIJNSA_6TensorESF_SF_EERKSF_lbbbEUlllE_EE10hipError_tT0_T1_T2_jT3_P12ihipStream_tbPNSt15iterator_traitsISL_E10value_typeEPNSR_ISM_E10value_typeEPSN_NS1_7vsmem_tEENKUlT_SL_SM_SN_E_clIS8_S8_S9_S9_EESK_S10_SL_SM_SN_EUlS10_E1_NS1_11comp_targetILNS1_3genE4ELNS1_11target_archE910ELNS1_3gpuE8ELNS1_3repE0EEENS1_36merge_oddeven_config_static_selectorELNS0_4arch9wavefront6targetE1EEEvSM_,"axG",@progbits,_ZN7rocprim17ROCPRIM_400000_NS6detail17trampoline_kernelINS0_14default_configENS1_38merge_sort_block_merge_config_selectorIlNS0_10empty_typeEEEZZNS1_27merge_sort_block_merge_implIS3_PlPS5_mZN2at6native12_GLOBAL__N_124unique_dim_cuda_templateIlEESt5tupleIJNSA_6TensorESF_SF_EERKSF_lbbbEUlllE_EE10hipError_tT0_T1_T2_jT3_P12ihipStream_tbPNSt15iterator_traitsISL_E10value_typeEPNSR_ISM_E10value_typeEPSN_NS1_7vsmem_tEENKUlT_SL_SM_SN_E_clIS8_S8_S9_S9_EESK_S10_SL_SM_SN_EUlS10_E1_NS1_11comp_targetILNS1_3genE4ELNS1_11target_archE910ELNS1_3gpuE8ELNS1_3repE0EEENS1_36merge_oddeven_config_static_selectorELNS0_4arch9wavefront6targetE1EEEvSM_,comdat
.Lfunc_end537:
	.size	_ZN7rocprim17ROCPRIM_400000_NS6detail17trampoline_kernelINS0_14default_configENS1_38merge_sort_block_merge_config_selectorIlNS0_10empty_typeEEEZZNS1_27merge_sort_block_merge_implIS3_PlPS5_mZN2at6native12_GLOBAL__N_124unique_dim_cuda_templateIlEESt5tupleIJNSA_6TensorESF_SF_EERKSF_lbbbEUlllE_EE10hipError_tT0_T1_T2_jT3_P12ihipStream_tbPNSt15iterator_traitsISL_E10value_typeEPNSR_ISM_E10value_typeEPSN_NS1_7vsmem_tEENKUlT_SL_SM_SN_E_clIS8_S8_S9_S9_EESK_S10_SL_SM_SN_EUlS10_E1_NS1_11comp_targetILNS1_3genE4ELNS1_11target_archE910ELNS1_3gpuE8ELNS1_3repE0EEENS1_36merge_oddeven_config_static_selectorELNS0_4arch9wavefront6targetE1EEEvSM_, .Lfunc_end537-_ZN7rocprim17ROCPRIM_400000_NS6detail17trampoline_kernelINS0_14default_configENS1_38merge_sort_block_merge_config_selectorIlNS0_10empty_typeEEEZZNS1_27merge_sort_block_merge_implIS3_PlPS5_mZN2at6native12_GLOBAL__N_124unique_dim_cuda_templateIlEESt5tupleIJNSA_6TensorESF_SF_EERKSF_lbbbEUlllE_EE10hipError_tT0_T1_T2_jT3_P12ihipStream_tbPNSt15iterator_traitsISL_E10value_typeEPNSR_ISM_E10value_typeEPSN_NS1_7vsmem_tEENKUlT_SL_SM_SN_E_clIS8_S8_S9_S9_EESK_S10_SL_SM_SN_EUlS10_E1_NS1_11comp_targetILNS1_3genE4ELNS1_11target_archE910ELNS1_3gpuE8ELNS1_3repE0EEENS1_36merge_oddeven_config_static_selectorELNS0_4arch9wavefront6targetE1EEEvSM_
                                        ; -- End function
	.section	.AMDGPU.csdata,"",@progbits
; Kernel info:
; codeLenInByte = 0
; NumSgprs: 6
; NumVgprs: 0
; NumAgprs: 0
; TotalNumVgprs: 0
; ScratchSize: 0
; MemoryBound: 0
; FloatMode: 240
; IeeeMode: 1
; LDSByteSize: 0 bytes/workgroup (compile time only)
; SGPRBlocks: 0
; VGPRBlocks: 0
; NumSGPRsForWavesPerEU: 6
; NumVGPRsForWavesPerEU: 1
; AccumOffset: 4
; Occupancy: 8
; WaveLimiterHint : 0
; COMPUTE_PGM_RSRC2:SCRATCH_EN: 0
; COMPUTE_PGM_RSRC2:USER_SGPR: 2
; COMPUTE_PGM_RSRC2:TRAP_HANDLER: 0
; COMPUTE_PGM_RSRC2:TGID_X_EN: 1
; COMPUTE_PGM_RSRC2:TGID_Y_EN: 0
; COMPUTE_PGM_RSRC2:TGID_Z_EN: 0
; COMPUTE_PGM_RSRC2:TIDIG_COMP_CNT: 0
; COMPUTE_PGM_RSRC3_GFX90A:ACCUM_OFFSET: 0
; COMPUTE_PGM_RSRC3_GFX90A:TG_SPLIT: 0
	.section	.text._ZN7rocprim17ROCPRIM_400000_NS6detail17trampoline_kernelINS0_14default_configENS1_38merge_sort_block_merge_config_selectorIlNS0_10empty_typeEEEZZNS1_27merge_sort_block_merge_implIS3_PlPS5_mZN2at6native12_GLOBAL__N_124unique_dim_cuda_templateIlEESt5tupleIJNSA_6TensorESF_SF_EERKSF_lbbbEUlllE_EE10hipError_tT0_T1_T2_jT3_P12ihipStream_tbPNSt15iterator_traitsISL_E10value_typeEPNSR_ISM_E10value_typeEPSN_NS1_7vsmem_tEENKUlT_SL_SM_SN_E_clIS8_S8_S9_S9_EESK_S10_SL_SM_SN_EUlS10_E1_NS1_11comp_targetILNS1_3genE3ELNS1_11target_archE908ELNS1_3gpuE7ELNS1_3repE0EEENS1_36merge_oddeven_config_static_selectorELNS0_4arch9wavefront6targetE1EEEvSM_,"axG",@progbits,_ZN7rocprim17ROCPRIM_400000_NS6detail17trampoline_kernelINS0_14default_configENS1_38merge_sort_block_merge_config_selectorIlNS0_10empty_typeEEEZZNS1_27merge_sort_block_merge_implIS3_PlPS5_mZN2at6native12_GLOBAL__N_124unique_dim_cuda_templateIlEESt5tupleIJNSA_6TensorESF_SF_EERKSF_lbbbEUlllE_EE10hipError_tT0_T1_T2_jT3_P12ihipStream_tbPNSt15iterator_traitsISL_E10value_typeEPNSR_ISM_E10value_typeEPSN_NS1_7vsmem_tEENKUlT_SL_SM_SN_E_clIS8_S8_S9_S9_EESK_S10_SL_SM_SN_EUlS10_E1_NS1_11comp_targetILNS1_3genE3ELNS1_11target_archE908ELNS1_3gpuE7ELNS1_3repE0EEENS1_36merge_oddeven_config_static_selectorELNS0_4arch9wavefront6targetE1EEEvSM_,comdat
	.globl	_ZN7rocprim17ROCPRIM_400000_NS6detail17trampoline_kernelINS0_14default_configENS1_38merge_sort_block_merge_config_selectorIlNS0_10empty_typeEEEZZNS1_27merge_sort_block_merge_implIS3_PlPS5_mZN2at6native12_GLOBAL__N_124unique_dim_cuda_templateIlEESt5tupleIJNSA_6TensorESF_SF_EERKSF_lbbbEUlllE_EE10hipError_tT0_T1_T2_jT3_P12ihipStream_tbPNSt15iterator_traitsISL_E10value_typeEPNSR_ISM_E10value_typeEPSN_NS1_7vsmem_tEENKUlT_SL_SM_SN_E_clIS8_S8_S9_S9_EESK_S10_SL_SM_SN_EUlS10_E1_NS1_11comp_targetILNS1_3genE3ELNS1_11target_archE908ELNS1_3gpuE7ELNS1_3repE0EEENS1_36merge_oddeven_config_static_selectorELNS0_4arch9wavefront6targetE1EEEvSM_ ; -- Begin function _ZN7rocprim17ROCPRIM_400000_NS6detail17trampoline_kernelINS0_14default_configENS1_38merge_sort_block_merge_config_selectorIlNS0_10empty_typeEEEZZNS1_27merge_sort_block_merge_implIS3_PlPS5_mZN2at6native12_GLOBAL__N_124unique_dim_cuda_templateIlEESt5tupleIJNSA_6TensorESF_SF_EERKSF_lbbbEUlllE_EE10hipError_tT0_T1_T2_jT3_P12ihipStream_tbPNSt15iterator_traitsISL_E10value_typeEPNSR_ISM_E10value_typeEPSN_NS1_7vsmem_tEENKUlT_SL_SM_SN_E_clIS8_S8_S9_S9_EESK_S10_SL_SM_SN_EUlS10_E1_NS1_11comp_targetILNS1_3genE3ELNS1_11target_archE908ELNS1_3gpuE7ELNS1_3repE0EEENS1_36merge_oddeven_config_static_selectorELNS0_4arch9wavefront6targetE1EEEvSM_
	.p2align	8
	.type	_ZN7rocprim17ROCPRIM_400000_NS6detail17trampoline_kernelINS0_14default_configENS1_38merge_sort_block_merge_config_selectorIlNS0_10empty_typeEEEZZNS1_27merge_sort_block_merge_implIS3_PlPS5_mZN2at6native12_GLOBAL__N_124unique_dim_cuda_templateIlEESt5tupleIJNSA_6TensorESF_SF_EERKSF_lbbbEUlllE_EE10hipError_tT0_T1_T2_jT3_P12ihipStream_tbPNSt15iterator_traitsISL_E10value_typeEPNSR_ISM_E10value_typeEPSN_NS1_7vsmem_tEENKUlT_SL_SM_SN_E_clIS8_S8_S9_S9_EESK_S10_SL_SM_SN_EUlS10_E1_NS1_11comp_targetILNS1_3genE3ELNS1_11target_archE908ELNS1_3gpuE7ELNS1_3repE0EEENS1_36merge_oddeven_config_static_selectorELNS0_4arch9wavefront6targetE1EEEvSM_,@function
_ZN7rocprim17ROCPRIM_400000_NS6detail17trampoline_kernelINS0_14default_configENS1_38merge_sort_block_merge_config_selectorIlNS0_10empty_typeEEEZZNS1_27merge_sort_block_merge_implIS3_PlPS5_mZN2at6native12_GLOBAL__N_124unique_dim_cuda_templateIlEESt5tupleIJNSA_6TensorESF_SF_EERKSF_lbbbEUlllE_EE10hipError_tT0_T1_T2_jT3_P12ihipStream_tbPNSt15iterator_traitsISL_E10value_typeEPNSR_ISM_E10value_typeEPSN_NS1_7vsmem_tEENKUlT_SL_SM_SN_E_clIS8_S8_S9_S9_EESK_S10_SL_SM_SN_EUlS10_E1_NS1_11comp_targetILNS1_3genE3ELNS1_11target_archE908ELNS1_3gpuE7ELNS1_3repE0EEENS1_36merge_oddeven_config_static_selectorELNS0_4arch9wavefront6targetE1EEEvSM_: ; @_ZN7rocprim17ROCPRIM_400000_NS6detail17trampoline_kernelINS0_14default_configENS1_38merge_sort_block_merge_config_selectorIlNS0_10empty_typeEEEZZNS1_27merge_sort_block_merge_implIS3_PlPS5_mZN2at6native12_GLOBAL__N_124unique_dim_cuda_templateIlEESt5tupleIJNSA_6TensorESF_SF_EERKSF_lbbbEUlllE_EE10hipError_tT0_T1_T2_jT3_P12ihipStream_tbPNSt15iterator_traitsISL_E10value_typeEPNSR_ISM_E10value_typeEPSN_NS1_7vsmem_tEENKUlT_SL_SM_SN_E_clIS8_S8_S9_S9_EESK_S10_SL_SM_SN_EUlS10_E1_NS1_11comp_targetILNS1_3genE3ELNS1_11target_archE908ELNS1_3gpuE7ELNS1_3repE0EEENS1_36merge_oddeven_config_static_selectorELNS0_4arch9wavefront6targetE1EEEvSM_
; %bb.0:
	.section	.rodata,"a",@progbits
	.p2align	6, 0x0
	.amdhsa_kernel _ZN7rocprim17ROCPRIM_400000_NS6detail17trampoline_kernelINS0_14default_configENS1_38merge_sort_block_merge_config_selectorIlNS0_10empty_typeEEEZZNS1_27merge_sort_block_merge_implIS3_PlPS5_mZN2at6native12_GLOBAL__N_124unique_dim_cuda_templateIlEESt5tupleIJNSA_6TensorESF_SF_EERKSF_lbbbEUlllE_EE10hipError_tT0_T1_T2_jT3_P12ihipStream_tbPNSt15iterator_traitsISL_E10value_typeEPNSR_ISM_E10value_typeEPSN_NS1_7vsmem_tEENKUlT_SL_SM_SN_E_clIS8_S8_S9_S9_EESK_S10_SL_SM_SN_EUlS10_E1_NS1_11comp_targetILNS1_3genE3ELNS1_11target_archE908ELNS1_3gpuE7ELNS1_3repE0EEENS1_36merge_oddeven_config_static_selectorELNS0_4arch9wavefront6targetE1EEEvSM_
		.amdhsa_group_segment_fixed_size 0
		.amdhsa_private_segment_fixed_size 0
		.amdhsa_kernarg_size 64
		.amdhsa_user_sgpr_count 2
		.amdhsa_user_sgpr_dispatch_ptr 0
		.amdhsa_user_sgpr_queue_ptr 0
		.amdhsa_user_sgpr_kernarg_segment_ptr 1
		.amdhsa_user_sgpr_dispatch_id 0
		.amdhsa_user_sgpr_kernarg_preload_length 0
		.amdhsa_user_sgpr_kernarg_preload_offset 0
		.amdhsa_user_sgpr_private_segment_size 0
		.amdhsa_uses_dynamic_stack 0
		.amdhsa_enable_private_segment 0
		.amdhsa_system_sgpr_workgroup_id_x 1
		.amdhsa_system_sgpr_workgroup_id_y 0
		.amdhsa_system_sgpr_workgroup_id_z 0
		.amdhsa_system_sgpr_workgroup_info 0
		.amdhsa_system_vgpr_workitem_id 0
		.amdhsa_next_free_vgpr 1
		.amdhsa_next_free_sgpr 0
		.amdhsa_accum_offset 4
		.amdhsa_reserve_vcc 0
		.amdhsa_float_round_mode_32 0
		.amdhsa_float_round_mode_16_64 0
		.amdhsa_float_denorm_mode_32 3
		.amdhsa_float_denorm_mode_16_64 3
		.amdhsa_dx10_clamp 1
		.amdhsa_ieee_mode 1
		.amdhsa_fp16_overflow 0
		.amdhsa_tg_split 0
		.amdhsa_exception_fp_ieee_invalid_op 0
		.amdhsa_exception_fp_denorm_src 0
		.amdhsa_exception_fp_ieee_div_zero 0
		.amdhsa_exception_fp_ieee_overflow 0
		.amdhsa_exception_fp_ieee_underflow 0
		.amdhsa_exception_fp_ieee_inexact 0
		.amdhsa_exception_int_div_zero 0
	.end_amdhsa_kernel
	.section	.text._ZN7rocprim17ROCPRIM_400000_NS6detail17trampoline_kernelINS0_14default_configENS1_38merge_sort_block_merge_config_selectorIlNS0_10empty_typeEEEZZNS1_27merge_sort_block_merge_implIS3_PlPS5_mZN2at6native12_GLOBAL__N_124unique_dim_cuda_templateIlEESt5tupleIJNSA_6TensorESF_SF_EERKSF_lbbbEUlllE_EE10hipError_tT0_T1_T2_jT3_P12ihipStream_tbPNSt15iterator_traitsISL_E10value_typeEPNSR_ISM_E10value_typeEPSN_NS1_7vsmem_tEENKUlT_SL_SM_SN_E_clIS8_S8_S9_S9_EESK_S10_SL_SM_SN_EUlS10_E1_NS1_11comp_targetILNS1_3genE3ELNS1_11target_archE908ELNS1_3gpuE7ELNS1_3repE0EEENS1_36merge_oddeven_config_static_selectorELNS0_4arch9wavefront6targetE1EEEvSM_,"axG",@progbits,_ZN7rocprim17ROCPRIM_400000_NS6detail17trampoline_kernelINS0_14default_configENS1_38merge_sort_block_merge_config_selectorIlNS0_10empty_typeEEEZZNS1_27merge_sort_block_merge_implIS3_PlPS5_mZN2at6native12_GLOBAL__N_124unique_dim_cuda_templateIlEESt5tupleIJNSA_6TensorESF_SF_EERKSF_lbbbEUlllE_EE10hipError_tT0_T1_T2_jT3_P12ihipStream_tbPNSt15iterator_traitsISL_E10value_typeEPNSR_ISM_E10value_typeEPSN_NS1_7vsmem_tEENKUlT_SL_SM_SN_E_clIS8_S8_S9_S9_EESK_S10_SL_SM_SN_EUlS10_E1_NS1_11comp_targetILNS1_3genE3ELNS1_11target_archE908ELNS1_3gpuE7ELNS1_3repE0EEENS1_36merge_oddeven_config_static_selectorELNS0_4arch9wavefront6targetE1EEEvSM_,comdat
.Lfunc_end538:
	.size	_ZN7rocprim17ROCPRIM_400000_NS6detail17trampoline_kernelINS0_14default_configENS1_38merge_sort_block_merge_config_selectorIlNS0_10empty_typeEEEZZNS1_27merge_sort_block_merge_implIS3_PlPS5_mZN2at6native12_GLOBAL__N_124unique_dim_cuda_templateIlEESt5tupleIJNSA_6TensorESF_SF_EERKSF_lbbbEUlllE_EE10hipError_tT0_T1_T2_jT3_P12ihipStream_tbPNSt15iterator_traitsISL_E10value_typeEPNSR_ISM_E10value_typeEPSN_NS1_7vsmem_tEENKUlT_SL_SM_SN_E_clIS8_S8_S9_S9_EESK_S10_SL_SM_SN_EUlS10_E1_NS1_11comp_targetILNS1_3genE3ELNS1_11target_archE908ELNS1_3gpuE7ELNS1_3repE0EEENS1_36merge_oddeven_config_static_selectorELNS0_4arch9wavefront6targetE1EEEvSM_, .Lfunc_end538-_ZN7rocprim17ROCPRIM_400000_NS6detail17trampoline_kernelINS0_14default_configENS1_38merge_sort_block_merge_config_selectorIlNS0_10empty_typeEEEZZNS1_27merge_sort_block_merge_implIS3_PlPS5_mZN2at6native12_GLOBAL__N_124unique_dim_cuda_templateIlEESt5tupleIJNSA_6TensorESF_SF_EERKSF_lbbbEUlllE_EE10hipError_tT0_T1_T2_jT3_P12ihipStream_tbPNSt15iterator_traitsISL_E10value_typeEPNSR_ISM_E10value_typeEPSN_NS1_7vsmem_tEENKUlT_SL_SM_SN_E_clIS8_S8_S9_S9_EESK_S10_SL_SM_SN_EUlS10_E1_NS1_11comp_targetILNS1_3genE3ELNS1_11target_archE908ELNS1_3gpuE7ELNS1_3repE0EEENS1_36merge_oddeven_config_static_selectorELNS0_4arch9wavefront6targetE1EEEvSM_
                                        ; -- End function
	.section	.AMDGPU.csdata,"",@progbits
; Kernel info:
; codeLenInByte = 0
; NumSgprs: 6
; NumVgprs: 0
; NumAgprs: 0
; TotalNumVgprs: 0
; ScratchSize: 0
; MemoryBound: 0
; FloatMode: 240
; IeeeMode: 1
; LDSByteSize: 0 bytes/workgroup (compile time only)
; SGPRBlocks: 0
; VGPRBlocks: 0
; NumSGPRsForWavesPerEU: 6
; NumVGPRsForWavesPerEU: 1
; AccumOffset: 4
; Occupancy: 8
; WaveLimiterHint : 0
; COMPUTE_PGM_RSRC2:SCRATCH_EN: 0
; COMPUTE_PGM_RSRC2:USER_SGPR: 2
; COMPUTE_PGM_RSRC2:TRAP_HANDLER: 0
; COMPUTE_PGM_RSRC2:TGID_X_EN: 1
; COMPUTE_PGM_RSRC2:TGID_Y_EN: 0
; COMPUTE_PGM_RSRC2:TGID_Z_EN: 0
; COMPUTE_PGM_RSRC2:TIDIG_COMP_CNT: 0
; COMPUTE_PGM_RSRC3_GFX90A:ACCUM_OFFSET: 0
; COMPUTE_PGM_RSRC3_GFX90A:TG_SPLIT: 0
	.section	.text._ZN7rocprim17ROCPRIM_400000_NS6detail17trampoline_kernelINS0_14default_configENS1_38merge_sort_block_merge_config_selectorIlNS0_10empty_typeEEEZZNS1_27merge_sort_block_merge_implIS3_PlPS5_mZN2at6native12_GLOBAL__N_124unique_dim_cuda_templateIlEESt5tupleIJNSA_6TensorESF_SF_EERKSF_lbbbEUlllE_EE10hipError_tT0_T1_T2_jT3_P12ihipStream_tbPNSt15iterator_traitsISL_E10value_typeEPNSR_ISM_E10value_typeEPSN_NS1_7vsmem_tEENKUlT_SL_SM_SN_E_clIS8_S8_S9_S9_EESK_S10_SL_SM_SN_EUlS10_E1_NS1_11comp_targetILNS1_3genE2ELNS1_11target_archE906ELNS1_3gpuE6ELNS1_3repE0EEENS1_36merge_oddeven_config_static_selectorELNS0_4arch9wavefront6targetE1EEEvSM_,"axG",@progbits,_ZN7rocprim17ROCPRIM_400000_NS6detail17trampoline_kernelINS0_14default_configENS1_38merge_sort_block_merge_config_selectorIlNS0_10empty_typeEEEZZNS1_27merge_sort_block_merge_implIS3_PlPS5_mZN2at6native12_GLOBAL__N_124unique_dim_cuda_templateIlEESt5tupleIJNSA_6TensorESF_SF_EERKSF_lbbbEUlllE_EE10hipError_tT0_T1_T2_jT3_P12ihipStream_tbPNSt15iterator_traitsISL_E10value_typeEPNSR_ISM_E10value_typeEPSN_NS1_7vsmem_tEENKUlT_SL_SM_SN_E_clIS8_S8_S9_S9_EESK_S10_SL_SM_SN_EUlS10_E1_NS1_11comp_targetILNS1_3genE2ELNS1_11target_archE906ELNS1_3gpuE6ELNS1_3repE0EEENS1_36merge_oddeven_config_static_selectorELNS0_4arch9wavefront6targetE1EEEvSM_,comdat
	.globl	_ZN7rocprim17ROCPRIM_400000_NS6detail17trampoline_kernelINS0_14default_configENS1_38merge_sort_block_merge_config_selectorIlNS0_10empty_typeEEEZZNS1_27merge_sort_block_merge_implIS3_PlPS5_mZN2at6native12_GLOBAL__N_124unique_dim_cuda_templateIlEESt5tupleIJNSA_6TensorESF_SF_EERKSF_lbbbEUlllE_EE10hipError_tT0_T1_T2_jT3_P12ihipStream_tbPNSt15iterator_traitsISL_E10value_typeEPNSR_ISM_E10value_typeEPSN_NS1_7vsmem_tEENKUlT_SL_SM_SN_E_clIS8_S8_S9_S9_EESK_S10_SL_SM_SN_EUlS10_E1_NS1_11comp_targetILNS1_3genE2ELNS1_11target_archE906ELNS1_3gpuE6ELNS1_3repE0EEENS1_36merge_oddeven_config_static_selectorELNS0_4arch9wavefront6targetE1EEEvSM_ ; -- Begin function _ZN7rocprim17ROCPRIM_400000_NS6detail17trampoline_kernelINS0_14default_configENS1_38merge_sort_block_merge_config_selectorIlNS0_10empty_typeEEEZZNS1_27merge_sort_block_merge_implIS3_PlPS5_mZN2at6native12_GLOBAL__N_124unique_dim_cuda_templateIlEESt5tupleIJNSA_6TensorESF_SF_EERKSF_lbbbEUlllE_EE10hipError_tT0_T1_T2_jT3_P12ihipStream_tbPNSt15iterator_traitsISL_E10value_typeEPNSR_ISM_E10value_typeEPSN_NS1_7vsmem_tEENKUlT_SL_SM_SN_E_clIS8_S8_S9_S9_EESK_S10_SL_SM_SN_EUlS10_E1_NS1_11comp_targetILNS1_3genE2ELNS1_11target_archE906ELNS1_3gpuE6ELNS1_3repE0EEENS1_36merge_oddeven_config_static_selectorELNS0_4arch9wavefront6targetE1EEEvSM_
	.p2align	8
	.type	_ZN7rocprim17ROCPRIM_400000_NS6detail17trampoline_kernelINS0_14default_configENS1_38merge_sort_block_merge_config_selectorIlNS0_10empty_typeEEEZZNS1_27merge_sort_block_merge_implIS3_PlPS5_mZN2at6native12_GLOBAL__N_124unique_dim_cuda_templateIlEESt5tupleIJNSA_6TensorESF_SF_EERKSF_lbbbEUlllE_EE10hipError_tT0_T1_T2_jT3_P12ihipStream_tbPNSt15iterator_traitsISL_E10value_typeEPNSR_ISM_E10value_typeEPSN_NS1_7vsmem_tEENKUlT_SL_SM_SN_E_clIS8_S8_S9_S9_EESK_S10_SL_SM_SN_EUlS10_E1_NS1_11comp_targetILNS1_3genE2ELNS1_11target_archE906ELNS1_3gpuE6ELNS1_3repE0EEENS1_36merge_oddeven_config_static_selectorELNS0_4arch9wavefront6targetE1EEEvSM_,@function
_ZN7rocprim17ROCPRIM_400000_NS6detail17trampoline_kernelINS0_14default_configENS1_38merge_sort_block_merge_config_selectorIlNS0_10empty_typeEEEZZNS1_27merge_sort_block_merge_implIS3_PlPS5_mZN2at6native12_GLOBAL__N_124unique_dim_cuda_templateIlEESt5tupleIJNSA_6TensorESF_SF_EERKSF_lbbbEUlllE_EE10hipError_tT0_T1_T2_jT3_P12ihipStream_tbPNSt15iterator_traitsISL_E10value_typeEPNSR_ISM_E10value_typeEPSN_NS1_7vsmem_tEENKUlT_SL_SM_SN_E_clIS8_S8_S9_S9_EESK_S10_SL_SM_SN_EUlS10_E1_NS1_11comp_targetILNS1_3genE2ELNS1_11target_archE906ELNS1_3gpuE6ELNS1_3repE0EEENS1_36merge_oddeven_config_static_selectorELNS0_4arch9wavefront6targetE1EEEvSM_: ; @_ZN7rocprim17ROCPRIM_400000_NS6detail17trampoline_kernelINS0_14default_configENS1_38merge_sort_block_merge_config_selectorIlNS0_10empty_typeEEEZZNS1_27merge_sort_block_merge_implIS3_PlPS5_mZN2at6native12_GLOBAL__N_124unique_dim_cuda_templateIlEESt5tupleIJNSA_6TensorESF_SF_EERKSF_lbbbEUlllE_EE10hipError_tT0_T1_T2_jT3_P12ihipStream_tbPNSt15iterator_traitsISL_E10value_typeEPNSR_ISM_E10value_typeEPSN_NS1_7vsmem_tEENKUlT_SL_SM_SN_E_clIS8_S8_S9_S9_EESK_S10_SL_SM_SN_EUlS10_E1_NS1_11comp_targetILNS1_3genE2ELNS1_11target_archE906ELNS1_3gpuE6ELNS1_3repE0EEENS1_36merge_oddeven_config_static_selectorELNS0_4arch9wavefront6targetE1EEEvSM_
; %bb.0:
	.section	.rodata,"a",@progbits
	.p2align	6, 0x0
	.amdhsa_kernel _ZN7rocprim17ROCPRIM_400000_NS6detail17trampoline_kernelINS0_14default_configENS1_38merge_sort_block_merge_config_selectorIlNS0_10empty_typeEEEZZNS1_27merge_sort_block_merge_implIS3_PlPS5_mZN2at6native12_GLOBAL__N_124unique_dim_cuda_templateIlEESt5tupleIJNSA_6TensorESF_SF_EERKSF_lbbbEUlllE_EE10hipError_tT0_T1_T2_jT3_P12ihipStream_tbPNSt15iterator_traitsISL_E10value_typeEPNSR_ISM_E10value_typeEPSN_NS1_7vsmem_tEENKUlT_SL_SM_SN_E_clIS8_S8_S9_S9_EESK_S10_SL_SM_SN_EUlS10_E1_NS1_11comp_targetILNS1_3genE2ELNS1_11target_archE906ELNS1_3gpuE6ELNS1_3repE0EEENS1_36merge_oddeven_config_static_selectorELNS0_4arch9wavefront6targetE1EEEvSM_
		.amdhsa_group_segment_fixed_size 0
		.amdhsa_private_segment_fixed_size 0
		.amdhsa_kernarg_size 64
		.amdhsa_user_sgpr_count 2
		.amdhsa_user_sgpr_dispatch_ptr 0
		.amdhsa_user_sgpr_queue_ptr 0
		.amdhsa_user_sgpr_kernarg_segment_ptr 1
		.amdhsa_user_sgpr_dispatch_id 0
		.amdhsa_user_sgpr_kernarg_preload_length 0
		.amdhsa_user_sgpr_kernarg_preload_offset 0
		.amdhsa_user_sgpr_private_segment_size 0
		.amdhsa_uses_dynamic_stack 0
		.amdhsa_enable_private_segment 0
		.amdhsa_system_sgpr_workgroup_id_x 1
		.amdhsa_system_sgpr_workgroup_id_y 0
		.amdhsa_system_sgpr_workgroup_id_z 0
		.amdhsa_system_sgpr_workgroup_info 0
		.amdhsa_system_vgpr_workitem_id 0
		.amdhsa_next_free_vgpr 1
		.amdhsa_next_free_sgpr 0
		.amdhsa_accum_offset 4
		.amdhsa_reserve_vcc 0
		.amdhsa_float_round_mode_32 0
		.amdhsa_float_round_mode_16_64 0
		.amdhsa_float_denorm_mode_32 3
		.amdhsa_float_denorm_mode_16_64 3
		.amdhsa_dx10_clamp 1
		.amdhsa_ieee_mode 1
		.amdhsa_fp16_overflow 0
		.amdhsa_tg_split 0
		.amdhsa_exception_fp_ieee_invalid_op 0
		.amdhsa_exception_fp_denorm_src 0
		.amdhsa_exception_fp_ieee_div_zero 0
		.amdhsa_exception_fp_ieee_overflow 0
		.amdhsa_exception_fp_ieee_underflow 0
		.amdhsa_exception_fp_ieee_inexact 0
		.amdhsa_exception_int_div_zero 0
	.end_amdhsa_kernel
	.section	.text._ZN7rocprim17ROCPRIM_400000_NS6detail17trampoline_kernelINS0_14default_configENS1_38merge_sort_block_merge_config_selectorIlNS0_10empty_typeEEEZZNS1_27merge_sort_block_merge_implIS3_PlPS5_mZN2at6native12_GLOBAL__N_124unique_dim_cuda_templateIlEESt5tupleIJNSA_6TensorESF_SF_EERKSF_lbbbEUlllE_EE10hipError_tT0_T1_T2_jT3_P12ihipStream_tbPNSt15iterator_traitsISL_E10value_typeEPNSR_ISM_E10value_typeEPSN_NS1_7vsmem_tEENKUlT_SL_SM_SN_E_clIS8_S8_S9_S9_EESK_S10_SL_SM_SN_EUlS10_E1_NS1_11comp_targetILNS1_3genE2ELNS1_11target_archE906ELNS1_3gpuE6ELNS1_3repE0EEENS1_36merge_oddeven_config_static_selectorELNS0_4arch9wavefront6targetE1EEEvSM_,"axG",@progbits,_ZN7rocprim17ROCPRIM_400000_NS6detail17trampoline_kernelINS0_14default_configENS1_38merge_sort_block_merge_config_selectorIlNS0_10empty_typeEEEZZNS1_27merge_sort_block_merge_implIS3_PlPS5_mZN2at6native12_GLOBAL__N_124unique_dim_cuda_templateIlEESt5tupleIJNSA_6TensorESF_SF_EERKSF_lbbbEUlllE_EE10hipError_tT0_T1_T2_jT3_P12ihipStream_tbPNSt15iterator_traitsISL_E10value_typeEPNSR_ISM_E10value_typeEPSN_NS1_7vsmem_tEENKUlT_SL_SM_SN_E_clIS8_S8_S9_S9_EESK_S10_SL_SM_SN_EUlS10_E1_NS1_11comp_targetILNS1_3genE2ELNS1_11target_archE906ELNS1_3gpuE6ELNS1_3repE0EEENS1_36merge_oddeven_config_static_selectorELNS0_4arch9wavefront6targetE1EEEvSM_,comdat
.Lfunc_end539:
	.size	_ZN7rocprim17ROCPRIM_400000_NS6detail17trampoline_kernelINS0_14default_configENS1_38merge_sort_block_merge_config_selectorIlNS0_10empty_typeEEEZZNS1_27merge_sort_block_merge_implIS3_PlPS5_mZN2at6native12_GLOBAL__N_124unique_dim_cuda_templateIlEESt5tupleIJNSA_6TensorESF_SF_EERKSF_lbbbEUlllE_EE10hipError_tT0_T1_T2_jT3_P12ihipStream_tbPNSt15iterator_traitsISL_E10value_typeEPNSR_ISM_E10value_typeEPSN_NS1_7vsmem_tEENKUlT_SL_SM_SN_E_clIS8_S8_S9_S9_EESK_S10_SL_SM_SN_EUlS10_E1_NS1_11comp_targetILNS1_3genE2ELNS1_11target_archE906ELNS1_3gpuE6ELNS1_3repE0EEENS1_36merge_oddeven_config_static_selectorELNS0_4arch9wavefront6targetE1EEEvSM_, .Lfunc_end539-_ZN7rocprim17ROCPRIM_400000_NS6detail17trampoline_kernelINS0_14default_configENS1_38merge_sort_block_merge_config_selectorIlNS0_10empty_typeEEEZZNS1_27merge_sort_block_merge_implIS3_PlPS5_mZN2at6native12_GLOBAL__N_124unique_dim_cuda_templateIlEESt5tupleIJNSA_6TensorESF_SF_EERKSF_lbbbEUlllE_EE10hipError_tT0_T1_T2_jT3_P12ihipStream_tbPNSt15iterator_traitsISL_E10value_typeEPNSR_ISM_E10value_typeEPSN_NS1_7vsmem_tEENKUlT_SL_SM_SN_E_clIS8_S8_S9_S9_EESK_S10_SL_SM_SN_EUlS10_E1_NS1_11comp_targetILNS1_3genE2ELNS1_11target_archE906ELNS1_3gpuE6ELNS1_3repE0EEENS1_36merge_oddeven_config_static_selectorELNS0_4arch9wavefront6targetE1EEEvSM_
                                        ; -- End function
	.section	.AMDGPU.csdata,"",@progbits
; Kernel info:
; codeLenInByte = 0
; NumSgprs: 6
; NumVgprs: 0
; NumAgprs: 0
; TotalNumVgprs: 0
; ScratchSize: 0
; MemoryBound: 0
; FloatMode: 240
; IeeeMode: 1
; LDSByteSize: 0 bytes/workgroup (compile time only)
; SGPRBlocks: 0
; VGPRBlocks: 0
; NumSGPRsForWavesPerEU: 6
; NumVGPRsForWavesPerEU: 1
; AccumOffset: 4
; Occupancy: 8
; WaveLimiterHint : 0
; COMPUTE_PGM_RSRC2:SCRATCH_EN: 0
; COMPUTE_PGM_RSRC2:USER_SGPR: 2
; COMPUTE_PGM_RSRC2:TRAP_HANDLER: 0
; COMPUTE_PGM_RSRC2:TGID_X_EN: 1
; COMPUTE_PGM_RSRC2:TGID_Y_EN: 0
; COMPUTE_PGM_RSRC2:TGID_Z_EN: 0
; COMPUTE_PGM_RSRC2:TIDIG_COMP_CNT: 0
; COMPUTE_PGM_RSRC3_GFX90A:ACCUM_OFFSET: 0
; COMPUTE_PGM_RSRC3_GFX90A:TG_SPLIT: 0
	.section	.text._ZN7rocprim17ROCPRIM_400000_NS6detail17trampoline_kernelINS0_14default_configENS1_38merge_sort_block_merge_config_selectorIlNS0_10empty_typeEEEZZNS1_27merge_sort_block_merge_implIS3_PlPS5_mZN2at6native12_GLOBAL__N_124unique_dim_cuda_templateIlEESt5tupleIJNSA_6TensorESF_SF_EERKSF_lbbbEUlllE_EE10hipError_tT0_T1_T2_jT3_P12ihipStream_tbPNSt15iterator_traitsISL_E10value_typeEPNSR_ISM_E10value_typeEPSN_NS1_7vsmem_tEENKUlT_SL_SM_SN_E_clIS8_S8_S9_S9_EESK_S10_SL_SM_SN_EUlS10_E1_NS1_11comp_targetILNS1_3genE9ELNS1_11target_archE1100ELNS1_3gpuE3ELNS1_3repE0EEENS1_36merge_oddeven_config_static_selectorELNS0_4arch9wavefront6targetE1EEEvSM_,"axG",@progbits,_ZN7rocprim17ROCPRIM_400000_NS6detail17trampoline_kernelINS0_14default_configENS1_38merge_sort_block_merge_config_selectorIlNS0_10empty_typeEEEZZNS1_27merge_sort_block_merge_implIS3_PlPS5_mZN2at6native12_GLOBAL__N_124unique_dim_cuda_templateIlEESt5tupleIJNSA_6TensorESF_SF_EERKSF_lbbbEUlllE_EE10hipError_tT0_T1_T2_jT3_P12ihipStream_tbPNSt15iterator_traitsISL_E10value_typeEPNSR_ISM_E10value_typeEPSN_NS1_7vsmem_tEENKUlT_SL_SM_SN_E_clIS8_S8_S9_S9_EESK_S10_SL_SM_SN_EUlS10_E1_NS1_11comp_targetILNS1_3genE9ELNS1_11target_archE1100ELNS1_3gpuE3ELNS1_3repE0EEENS1_36merge_oddeven_config_static_selectorELNS0_4arch9wavefront6targetE1EEEvSM_,comdat
	.globl	_ZN7rocprim17ROCPRIM_400000_NS6detail17trampoline_kernelINS0_14default_configENS1_38merge_sort_block_merge_config_selectorIlNS0_10empty_typeEEEZZNS1_27merge_sort_block_merge_implIS3_PlPS5_mZN2at6native12_GLOBAL__N_124unique_dim_cuda_templateIlEESt5tupleIJNSA_6TensorESF_SF_EERKSF_lbbbEUlllE_EE10hipError_tT0_T1_T2_jT3_P12ihipStream_tbPNSt15iterator_traitsISL_E10value_typeEPNSR_ISM_E10value_typeEPSN_NS1_7vsmem_tEENKUlT_SL_SM_SN_E_clIS8_S8_S9_S9_EESK_S10_SL_SM_SN_EUlS10_E1_NS1_11comp_targetILNS1_3genE9ELNS1_11target_archE1100ELNS1_3gpuE3ELNS1_3repE0EEENS1_36merge_oddeven_config_static_selectorELNS0_4arch9wavefront6targetE1EEEvSM_ ; -- Begin function _ZN7rocprim17ROCPRIM_400000_NS6detail17trampoline_kernelINS0_14default_configENS1_38merge_sort_block_merge_config_selectorIlNS0_10empty_typeEEEZZNS1_27merge_sort_block_merge_implIS3_PlPS5_mZN2at6native12_GLOBAL__N_124unique_dim_cuda_templateIlEESt5tupleIJNSA_6TensorESF_SF_EERKSF_lbbbEUlllE_EE10hipError_tT0_T1_T2_jT3_P12ihipStream_tbPNSt15iterator_traitsISL_E10value_typeEPNSR_ISM_E10value_typeEPSN_NS1_7vsmem_tEENKUlT_SL_SM_SN_E_clIS8_S8_S9_S9_EESK_S10_SL_SM_SN_EUlS10_E1_NS1_11comp_targetILNS1_3genE9ELNS1_11target_archE1100ELNS1_3gpuE3ELNS1_3repE0EEENS1_36merge_oddeven_config_static_selectorELNS0_4arch9wavefront6targetE1EEEvSM_
	.p2align	8
	.type	_ZN7rocprim17ROCPRIM_400000_NS6detail17trampoline_kernelINS0_14default_configENS1_38merge_sort_block_merge_config_selectorIlNS0_10empty_typeEEEZZNS1_27merge_sort_block_merge_implIS3_PlPS5_mZN2at6native12_GLOBAL__N_124unique_dim_cuda_templateIlEESt5tupleIJNSA_6TensorESF_SF_EERKSF_lbbbEUlllE_EE10hipError_tT0_T1_T2_jT3_P12ihipStream_tbPNSt15iterator_traitsISL_E10value_typeEPNSR_ISM_E10value_typeEPSN_NS1_7vsmem_tEENKUlT_SL_SM_SN_E_clIS8_S8_S9_S9_EESK_S10_SL_SM_SN_EUlS10_E1_NS1_11comp_targetILNS1_3genE9ELNS1_11target_archE1100ELNS1_3gpuE3ELNS1_3repE0EEENS1_36merge_oddeven_config_static_selectorELNS0_4arch9wavefront6targetE1EEEvSM_,@function
_ZN7rocprim17ROCPRIM_400000_NS6detail17trampoline_kernelINS0_14default_configENS1_38merge_sort_block_merge_config_selectorIlNS0_10empty_typeEEEZZNS1_27merge_sort_block_merge_implIS3_PlPS5_mZN2at6native12_GLOBAL__N_124unique_dim_cuda_templateIlEESt5tupleIJNSA_6TensorESF_SF_EERKSF_lbbbEUlllE_EE10hipError_tT0_T1_T2_jT3_P12ihipStream_tbPNSt15iterator_traitsISL_E10value_typeEPNSR_ISM_E10value_typeEPSN_NS1_7vsmem_tEENKUlT_SL_SM_SN_E_clIS8_S8_S9_S9_EESK_S10_SL_SM_SN_EUlS10_E1_NS1_11comp_targetILNS1_3genE9ELNS1_11target_archE1100ELNS1_3gpuE3ELNS1_3repE0EEENS1_36merge_oddeven_config_static_selectorELNS0_4arch9wavefront6targetE1EEEvSM_: ; @_ZN7rocprim17ROCPRIM_400000_NS6detail17trampoline_kernelINS0_14default_configENS1_38merge_sort_block_merge_config_selectorIlNS0_10empty_typeEEEZZNS1_27merge_sort_block_merge_implIS3_PlPS5_mZN2at6native12_GLOBAL__N_124unique_dim_cuda_templateIlEESt5tupleIJNSA_6TensorESF_SF_EERKSF_lbbbEUlllE_EE10hipError_tT0_T1_T2_jT3_P12ihipStream_tbPNSt15iterator_traitsISL_E10value_typeEPNSR_ISM_E10value_typeEPSN_NS1_7vsmem_tEENKUlT_SL_SM_SN_E_clIS8_S8_S9_S9_EESK_S10_SL_SM_SN_EUlS10_E1_NS1_11comp_targetILNS1_3genE9ELNS1_11target_archE1100ELNS1_3gpuE3ELNS1_3repE0EEENS1_36merge_oddeven_config_static_selectorELNS0_4arch9wavefront6targetE1EEEvSM_
; %bb.0:
	.section	.rodata,"a",@progbits
	.p2align	6, 0x0
	.amdhsa_kernel _ZN7rocprim17ROCPRIM_400000_NS6detail17trampoline_kernelINS0_14default_configENS1_38merge_sort_block_merge_config_selectorIlNS0_10empty_typeEEEZZNS1_27merge_sort_block_merge_implIS3_PlPS5_mZN2at6native12_GLOBAL__N_124unique_dim_cuda_templateIlEESt5tupleIJNSA_6TensorESF_SF_EERKSF_lbbbEUlllE_EE10hipError_tT0_T1_T2_jT3_P12ihipStream_tbPNSt15iterator_traitsISL_E10value_typeEPNSR_ISM_E10value_typeEPSN_NS1_7vsmem_tEENKUlT_SL_SM_SN_E_clIS8_S8_S9_S9_EESK_S10_SL_SM_SN_EUlS10_E1_NS1_11comp_targetILNS1_3genE9ELNS1_11target_archE1100ELNS1_3gpuE3ELNS1_3repE0EEENS1_36merge_oddeven_config_static_selectorELNS0_4arch9wavefront6targetE1EEEvSM_
		.amdhsa_group_segment_fixed_size 0
		.amdhsa_private_segment_fixed_size 0
		.amdhsa_kernarg_size 64
		.amdhsa_user_sgpr_count 2
		.amdhsa_user_sgpr_dispatch_ptr 0
		.amdhsa_user_sgpr_queue_ptr 0
		.amdhsa_user_sgpr_kernarg_segment_ptr 1
		.amdhsa_user_sgpr_dispatch_id 0
		.amdhsa_user_sgpr_kernarg_preload_length 0
		.amdhsa_user_sgpr_kernarg_preload_offset 0
		.amdhsa_user_sgpr_private_segment_size 0
		.amdhsa_uses_dynamic_stack 0
		.amdhsa_enable_private_segment 0
		.amdhsa_system_sgpr_workgroup_id_x 1
		.amdhsa_system_sgpr_workgroup_id_y 0
		.amdhsa_system_sgpr_workgroup_id_z 0
		.amdhsa_system_sgpr_workgroup_info 0
		.amdhsa_system_vgpr_workitem_id 0
		.amdhsa_next_free_vgpr 1
		.amdhsa_next_free_sgpr 0
		.amdhsa_accum_offset 4
		.amdhsa_reserve_vcc 0
		.amdhsa_float_round_mode_32 0
		.amdhsa_float_round_mode_16_64 0
		.amdhsa_float_denorm_mode_32 3
		.amdhsa_float_denorm_mode_16_64 3
		.amdhsa_dx10_clamp 1
		.amdhsa_ieee_mode 1
		.amdhsa_fp16_overflow 0
		.amdhsa_tg_split 0
		.amdhsa_exception_fp_ieee_invalid_op 0
		.amdhsa_exception_fp_denorm_src 0
		.amdhsa_exception_fp_ieee_div_zero 0
		.amdhsa_exception_fp_ieee_overflow 0
		.amdhsa_exception_fp_ieee_underflow 0
		.amdhsa_exception_fp_ieee_inexact 0
		.amdhsa_exception_int_div_zero 0
	.end_amdhsa_kernel
	.section	.text._ZN7rocprim17ROCPRIM_400000_NS6detail17trampoline_kernelINS0_14default_configENS1_38merge_sort_block_merge_config_selectorIlNS0_10empty_typeEEEZZNS1_27merge_sort_block_merge_implIS3_PlPS5_mZN2at6native12_GLOBAL__N_124unique_dim_cuda_templateIlEESt5tupleIJNSA_6TensorESF_SF_EERKSF_lbbbEUlllE_EE10hipError_tT0_T1_T2_jT3_P12ihipStream_tbPNSt15iterator_traitsISL_E10value_typeEPNSR_ISM_E10value_typeEPSN_NS1_7vsmem_tEENKUlT_SL_SM_SN_E_clIS8_S8_S9_S9_EESK_S10_SL_SM_SN_EUlS10_E1_NS1_11comp_targetILNS1_3genE9ELNS1_11target_archE1100ELNS1_3gpuE3ELNS1_3repE0EEENS1_36merge_oddeven_config_static_selectorELNS0_4arch9wavefront6targetE1EEEvSM_,"axG",@progbits,_ZN7rocprim17ROCPRIM_400000_NS6detail17trampoline_kernelINS0_14default_configENS1_38merge_sort_block_merge_config_selectorIlNS0_10empty_typeEEEZZNS1_27merge_sort_block_merge_implIS3_PlPS5_mZN2at6native12_GLOBAL__N_124unique_dim_cuda_templateIlEESt5tupleIJNSA_6TensorESF_SF_EERKSF_lbbbEUlllE_EE10hipError_tT0_T1_T2_jT3_P12ihipStream_tbPNSt15iterator_traitsISL_E10value_typeEPNSR_ISM_E10value_typeEPSN_NS1_7vsmem_tEENKUlT_SL_SM_SN_E_clIS8_S8_S9_S9_EESK_S10_SL_SM_SN_EUlS10_E1_NS1_11comp_targetILNS1_3genE9ELNS1_11target_archE1100ELNS1_3gpuE3ELNS1_3repE0EEENS1_36merge_oddeven_config_static_selectorELNS0_4arch9wavefront6targetE1EEEvSM_,comdat
.Lfunc_end540:
	.size	_ZN7rocprim17ROCPRIM_400000_NS6detail17trampoline_kernelINS0_14default_configENS1_38merge_sort_block_merge_config_selectorIlNS0_10empty_typeEEEZZNS1_27merge_sort_block_merge_implIS3_PlPS5_mZN2at6native12_GLOBAL__N_124unique_dim_cuda_templateIlEESt5tupleIJNSA_6TensorESF_SF_EERKSF_lbbbEUlllE_EE10hipError_tT0_T1_T2_jT3_P12ihipStream_tbPNSt15iterator_traitsISL_E10value_typeEPNSR_ISM_E10value_typeEPSN_NS1_7vsmem_tEENKUlT_SL_SM_SN_E_clIS8_S8_S9_S9_EESK_S10_SL_SM_SN_EUlS10_E1_NS1_11comp_targetILNS1_3genE9ELNS1_11target_archE1100ELNS1_3gpuE3ELNS1_3repE0EEENS1_36merge_oddeven_config_static_selectorELNS0_4arch9wavefront6targetE1EEEvSM_, .Lfunc_end540-_ZN7rocprim17ROCPRIM_400000_NS6detail17trampoline_kernelINS0_14default_configENS1_38merge_sort_block_merge_config_selectorIlNS0_10empty_typeEEEZZNS1_27merge_sort_block_merge_implIS3_PlPS5_mZN2at6native12_GLOBAL__N_124unique_dim_cuda_templateIlEESt5tupleIJNSA_6TensorESF_SF_EERKSF_lbbbEUlllE_EE10hipError_tT0_T1_T2_jT3_P12ihipStream_tbPNSt15iterator_traitsISL_E10value_typeEPNSR_ISM_E10value_typeEPSN_NS1_7vsmem_tEENKUlT_SL_SM_SN_E_clIS8_S8_S9_S9_EESK_S10_SL_SM_SN_EUlS10_E1_NS1_11comp_targetILNS1_3genE9ELNS1_11target_archE1100ELNS1_3gpuE3ELNS1_3repE0EEENS1_36merge_oddeven_config_static_selectorELNS0_4arch9wavefront6targetE1EEEvSM_
                                        ; -- End function
	.section	.AMDGPU.csdata,"",@progbits
; Kernel info:
; codeLenInByte = 0
; NumSgprs: 6
; NumVgprs: 0
; NumAgprs: 0
; TotalNumVgprs: 0
; ScratchSize: 0
; MemoryBound: 0
; FloatMode: 240
; IeeeMode: 1
; LDSByteSize: 0 bytes/workgroup (compile time only)
; SGPRBlocks: 0
; VGPRBlocks: 0
; NumSGPRsForWavesPerEU: 6
; NumVGPRsForWavesPerEU: 1
; AccumOffset: 4
; Occupancy: 8
; WaveLimiterHint : 0
; COMPUTE_PGM_RSRC2:SCRATCH_EN: 0
; COMPUTE_PGM_RSRC2:USER_SGPR: 2
; COMPUTE_PGM_RSRC2:TRAP_HANDLER: 0
; COMPUTE_PGM_RSRC2:TGID_X_EN: 1
; COMPUTE_PGM_RSRC2:TGID_Y_EN: 0
; COMPUTE_PGM_RSRC2:TGID_Z_EN: 0
; COMPUTE_PGM_RSRC2:TIDIG_COMP_CNT: 0
; COMPUTE_PGM_RSRC3_GFX90A:ACCUM_OFFSET: 0
; COMPUTE_PGM_RSRC3_GFX90A:TG_SPLIT: 0
	.section	.text._ZN7rocprim17ROCPRIM_400000_NS6detail17trampoline_kernelINS0_14default_configENS1_38merge_sort_block_merge_config_selectorIlNS0_10empty_typeEEEZZNS1_27merge_sort_block_merge_implIS3_PlPS5_mZN2at6native12_GLOBAL__N_124unique_dim_cuda_templateIlEESt5tupleIJNSA_6TensorESF_SF_EERKSF_lbbbEUlllE_EE10hipError_tT0_T1_T2_jT3_P12ihipStream_tbPNSt15iterator_traitsISL_E10value_typeEPNSR_ISM_E10value_typeEPSN_NS1_7vsmem_tEENKUlT_SL_SM_SN_E_clIS8_S8_S9_S9_EESK_S10_SL_SM_SN_EUlS10_E1_NS1_11comp_targetILNS1_3genE8ELNS1_11target_archE1030ELNS1_3gpuE2ELNS1_3repE0EEENS1_36merge_oddeven_config_static_selectorELNS0_4arch9wavefront6targetE1EEEvSM_,"axG",@progbits,_ZN7rocprim17ROCPRIM_400000_NS6detail17trampoline_kernelINS0_14default_configENS1_38merge_sort_block_merge_config_selectorIlNS0_10empty_typeEEEZZNS1_27merge_sort_block_merge_implIS3_PlPS5_mZN2at6native12_GLOBAL__N_124unique_dim_cuda_templateIlEESt5tupleIJNSA_6TensorESF_SF_EERKSF_lbbbEUlllE_EE10hipError_tT0_T1_T2_jT3_P12ihipStream_tbPNSt15iterator_traitsISL_E10value_typeEPNSR_ISM_E10value_typeEPSN_NS1_7vsmem_tEENKUlT_SL_SM_SN_E_clIS8_S8_S9_S9_EESK_S10_SL_SM_SN_EUlS10_E1_NS1_11comp_targetILNS1_3genE8ELNS1_11target_archE1030ELNS1_3gpuE2ELNS1_3repE0EEENS1_36merge_oddeven_config_static_selectorELNS0_4arch9wavefront6targetE1EEEvSM_,comdat
	.globl	_ZN7rocprim17ROCPRIM_400000_NS6detail17trampoline_kernelINS0_14default_configENS1_38merge_sort_block_merge_config_selectorIlNS0_10empty_typeEEEZZNS1_27merge_sort_block_merge_implIS3_PlPS5_mZN2at6native12_GLOBAL__N_124unique_dim_cuda_templateIlEESt5tupleIJNSA_6TensorESF_SF_EERKSF_lbbbEUlllE_EE10hipError_tT0_T1_T2_jT3_P12ihipStream_tbPNSt15iterator_traitsISL_E10value_typeEPNSR_ISM_E10value_typeEPSN_NS1_7vsmem_tEENKUlT_SL_SM_SN_E_clIS8_S8_S9_S9_EESK_S10_SL_SM_SN_EUlS10_E1_NS1_11comp_targetILNS1_3genE8ELNS1_11target_archE1030ELNS1_3gpuE2ELNS1_3repE0EEENS1_36merge_oddeven_config_static_selectorELNS0_4arch9wavefront6targetE1EEEvSM_ ; -- Begin function _ZN7rocprim17ROCPRIM_400000_NS6detail17trampoline_kernelINS0_14default_configENS1_38merge_sort_block_merge_config_selectorIlNS0_10empty_typeEEEZZNS1_27merge_sort_block_merge_implIS3_PlPS5_mZN2at6native12_GLOBAL__N_124unique_dim_cuda_templateIlEESt5tupleIJNSA_6TensorESF_SF_EERKSF_lbbbEUlllE_EE10hipError_tT0_T1_T2_jT3_P12ihipStream_tbPNSt15iterator_traitsISL_E10value_typeEPNSR_ISM_E10value_typeEPSN_NS1_7vsmem_tEENKUlT_SL_SM_SN_E_clIS8_S8_S9_S9_EESK_S10_SL_SM_SN_EUlS10_E1_NS1_11comp_targetILNS1_3genE8ELNS1_11target_archE1030ELNS1_3gpuE2ELNS1_3repE0EEENS1_36merge_oddeven_config_static_selectorELNS0_4arch9wavefront6targetE1EEEvSM_
	.p2align	8
	.type	_ZN7rocprim17ROCPRIM_400000_NS6detail17trampoline_kernelINS0_14default_configENS1_38merge_sort_block_merge_config_selectorIlNS0_10empty_typeEEEZZNS1_27merge_sort_block_merge_implIS3_PlPS5_mZN2at6native12_GLOBAL__N_124unique_dim_cuda_templateIlEESt5tupleIJNSA_6TensorESF_SF_EERKSF_lbbbEUlllE_EE10hipError_tT0_T1_T2_jT3_P12ihipStream_tbPNSt15iterator_traitsISL_E10value_typeEPNSR_ISM_E10value_typeEPSN_NS1_7vsmem_tEENKUlT_SL_SM_SN_E_clIS8_S8_S9_S9_EESK_S10_SL_SM_SN_EUlS10_E1_NS1_11comp_targetILNS1_3genE8ELNS1_11target_archE1030ELNS1_3gpuE2ELNS1_3repE0EEENS1_36merge_oddeven_config_static_selectorELNS0_4arch9wavefront6targetE1EEEvSM_,@function
_ZN7rocprim17ROCPRIM_400000_NS6detail17trampoline_kernelINS0_14default_configENS1_38merge_sort_block_merge_config_selectorIlNS0_10empty_typeEEEZZNS1_27merge_sort_block_merge_implIS3_PlPS5_mZN2at6native12_GLOBAL__N_124unique_dim_cuda_templateIlEESt5tupleIJNSA_6TensorESF_SF_EERKSF_lbbbEUlllE_EE10hipError_tT0_T1_T2_jT3_P12ihipStream_tbPNSt15iterator_traitsISL_E10value_typeEPNSR_ISM_E10value_typeEPSN_NS1_7vsmem_tEENKUlT_SL_SM_SN_E_clIS8_S8_S9_S9_EESK_S10_SL_SM_SN_EUlS10_E1_NS1_11comp_targetILNS1_3genE8ELNS1_11target_archE1030ELNS1_3gpuE2ELNS1_3repE0EEENS1_36merge_oddeven_config_static_selectorELNS0_4arch9wavefront6targetE1EEEvSM_: ; @_ZN7rocprim17ROCPRIM_400000_NS6detail17trampoline_kernelINS0_14default_configENS1_38merge_sort_block_merge_config_selectorIlNS0_10empty_typeEEEZZNS1_27merge_sort_block_merge_implIS3_PlPS5_mZN2at6native12_GLOBAL__N_124unique_dim_cuda_templateIlEESt5tupleIJNSA_6TensorESF_SF_EERKSF_lbbbEUlllE_EE10hipError_tT0_T1_T2_jT3_P12ihipStream_tbPNSt15iterator_traitsISL_E10value_typeEPNSR_ISM_E10value_typeEPSN_NS1_7vsmem_tEENKUlT_SL_SM_SN_E_clIS8_S8_S9_S9_EESK_S10_SL_SM_SN_EUlS10_E1_NS1_11comp_targetILNS1_3genE8ELNS1_11target_archE1030ELNS1_3gpuE2ELNS1_3repE0EEENS1_36merge_oddeven_config_static_selectorELNS0_4arch9wavefront6targetE1EEEvSM_
; %bb.0:
	.section	.rodata,"a",@progbits
	.p2align	6, 0x0
	.amdhsa_kernel _ZN7rocprim17ROCPRIM_400000_NS6detail17trampoline_kernelINS0_14default_configENS1_38merge_sort_block_merge_config_selectorIlNS0_10empty_typeEEEZZNS1_27merge_sort_block_merge_implIS3_PlPS5_mZN2at6native12_GLOBAL__N_124unique_dim_cuda_templateIlEESt5tupleIJNSA_6TensorESF_SF_EERKSF_lbbbEUlllE_EE10hipError_tT0_T1_T2_jT3_P12ihipStream_tbPNSt15iterator_traitsISL_E10value_typeEPNSR_ISM_E10value_typeEPSN_NS1_7vsmem_tEENKUlT_SL_SM_SN_E_clIS8_S8_S9_S9_EESK_S10_SL_SM_SN_EUlS10_E1_NS1_11comp_targetILNS1_3genE8ELNS1_11target_archE1030ELNS1_3gpuE2ELNS1_3repE0EEENS1_36merge_oddeven_config_static_selectorELNS0_4arch9wavefront6targetE1EEEvSM_
		.amdhsa_group_segment_fixed_size 0
		.amdhsa_private_segment_fixed_size 0
		.amdhsa_kernarg_size 64
		.amdhsa_user_sgpr_count 2
		.amdhsa_user_sgpr_dispatch_ptr 0
		.amdhsa_user_sgpr_queue_ptr 0
		.amdhsa_user_sgpr_kernarg_segment_ptr 1
		.amdhsa_user_sgpr_dispatch_id 0
		.amdhsa_user_sgpr_kernarg_preload_length 0
		.amdhsa_user_sgpr_kernarg_preload_offset 0
		.amdhsa_user_sgpr_private_segment_size 0
		.amdhsa_uses_dynamic_stack 0
		.amdhsa_enable_private_segment 0
		.amdhsa_system_sgpr_workgroup_id_x 1
		.amdhsa_system_sgpr_workgroup_id_y 0
		.amdhsa_system_sgpr_workgroup_id_z 0
		.amdhsa_system_sgpr_workgroup_info 0
		.amdhsa_system_vgpr_workitem_id 0
		.amdhsa_next_free_vgpr 1
		.amdhsa_next_free_sgpr 0
		.amdhsa_accum_offset 4
		.amdhsa_reserve_vcc 0
		.amdhsa_float_round_mode_32 0
		.amdhsa_float_round_mode_16_64 0
		.amdhsa_float_denorm_mode_32 3
		.amdhsa_float_denorm_mode_16_64 3
		.amdhsa_dx10_clamp 1
		.amdhsa_ieee_mode 1
		.amdhsa_fp16_overflow 0
		.amdhsa_tg_split 0
		.amdhsa_exception_fp_ieee_invalid_op 0
		.amdhsa_exception_fp_denorm_src 0
		.amdhsa_exception_fp_ieee_div_zero 0
		.amdhsa_exception_fp_ieee_overflow 0
		.amdhsa_exception_fp_ieee_underflow 0
		.amdhsa_exception_fp_ieee_inexact 0
		.amdhsa_exception_int_div_zero 0
	.end_amdhsa_kernel
	.section	.text._ZN7rocprim17ROCPRIM_400000_NS6detail17trampoline_kernelINS0_14default_configENS1_38merge_sort_block_merge_config_selectorIlNS0_10empty_typeEEEZZNS1_27merge_sort_block_merge_implIS3_PlPS5_mZN2at6native12_GLOBAL__N_124unique_dim_cuda_templateIlEESt5tupleIJNSA_6TensorESF_SF_EERKSF_lbbbEUlllE_EE10hipError_tT0_T1_T2_jT3_P12ihipStream_tbPNSt15iterator_traitsISL_E10value_typeEPNSR_ISM_E10value_typeEPSN_NS1_7vsmem_tEENKUlT_SL_SM_SN_E_clIS8_S8_S9_S9_EESK_S10_SL_SM_SN_EUlS10_E1_NS1_11comp_targetILNS1_3genE8ELNS1_11target_archE1030ELNS1_3gpuE2ELNS1_3repE0EEENS1_36merge_oddeven_config_static_selectorELNS0_4arch9wavefront6targetE1EEEvSM_,"axG",@progbits,_ZN7rocprim17ROCPRIM_400000_NS6detail17trampoline_kernelINS0_14default_configENS1_38merge_sort_block_merge_config_selectorIlNS0_10empty_typeEEEZZNS1_27merge_sort_block_merge_implIS3_PlPS5_mZN2at6native12_GLOBAL__N_124unique_dim_cuda_templateIlEESt5tupleIJNSA_6TensorESF_SF_EERKSF_lbbbEUlllE_EE10hipError_tT0_T1_T2_jT3_P12ihipStream_tbPNSt15iterator_traitsISL_E10value_typeEPNSR_ISM_E10value_typeEPSN_NS1_7vsmem_tEENKUlT_SL_SM_SN_E_clIS8_S8_S9_S9_EESK_S10_SL_SM_SN_EUlS10_E1_NS1_11comp_targetILNS1_3genE8ELNS1_11target_archE1030ELNS1_3gpuE2ELNS1_3repE0EEENS1_36merge_oddeven_config_static_selectorELNS0_4arch9wavefront6targetE1EEEvSM_,comdat
.Lfunc_end541:
	.size	_ZN7rocprim17ROCPRIM_400000_NS6detail17trampoline_kernelINS0_14default_configENS1_38merge_sort_block_merge_config_selectorIlNS0_10empty_typeEEEZZNS1_27merge_sort_block_merge_implIS3_PlPS5_mZN2at6native12_GLOBAL__N_124unique_dim_cuda_templateIlEESt5tupleIJNSA_6TensorESF_SF_EERKSF_lbbbEUlllE_EE10hipError_tT0_T1_T2_jT3_P12ihipStream_tbPNSt15iterator_traitsISL_E10value_typeEPNSR_ISM_E10value_typeEPSN_NS1_7vsmem_tEENKUlT_SL_SM_SN_E_clIS8_S8_S9_S9_EESK_S10_SL_SM_SN_EUlS10_E1_NS1_11comp_targetILNS1_3genE8ELNS1_11target_archE1030ELNS1_3gpuE2ELNS1_3repE0EEENS1_36merge_oddeven_config_static_selectorELNS0_4arch9wavefront6targetE1EEEvSM_, .Lfunc_end541-_ZN7rocprim17ROCPRIM_400000_NS6detail17trampoline_kernelINS0_14default_configENS1_38merge_sort_block_merge_config_selectorIlNS0_10empty_typeEEEZZNS1_27merge_sort_block_merge_implIS3_PlPS5_mZN2at6native12_GLOBAL__N_124unique_dim_cuda_templateIlEESt5tupleIJNSA_6TensorESF_SF_EERKSF_lbbbEUlllE_EE10hipError_tT0_T1_T2_jT3_P12ihipStream_tbPNSt15iterator_traitsISL_E10value_typeEPNSR_ISM_E10value_typeEPSN_NS1_7vsmem_tEENKUlT_SL_SM_SN_E_clIS8_S8_S9_S9_EESK_S10_SL_SM_SN_EUlS10_E1_NS1_11comp_targetILNS1_3genE8ELNS1_11target_archE1030ELNS1_3gpuE2ELNS1_3repE0EEENS1_36merge_oddeven_config_static_selectorELNS0_4arch9wavefront6targetE1EEEvSM_
                                        ; -- End function
	.section	.AMDGPU.csdata,"",@progbits
; Kernel info:
; codeLenInByte = 0
; NumSgprs: 6
; NumVgprs: 0
; NumAgprs: 0
; TotalNumVgprs: 0
; ScratchSize: 0
; MemoryBound: 0
; FloatMode: 240
; IeeeMode: 1
; LDSByteSize: 0 bytes/workgroup (compile time only)
; SGPRBlocks: 0
; VGPRBlocks: 0
; NumSGPRsForWavesPerEU: 6
; NumVGPRsForWavesPerEU: 1
; AccumOffset: 4
; Occupancy: 8
; WaveLimiterHint : 0
; COMPUTE_PGM_RSRC2:SCRATCH_EN: 0
; COMPUTE_PGM_RSRC2:USER_SGPR: 2
; COMPUTE_PGM_RSRC2:TRAP_HANDLER: 0
; COMPUTE_PGM_RSRC2:TGID_X_EN: 1
; COMPUTE_PGM_RSRC2:TGID_Y_EN: 0
; COMPUTE_PGM_RSRC2:TGID_Z_EN: 0
; COMPUTE_PGM_RSRC2:TIDIG_COMP_CNT: 0
; COMPUTE_PGM_RSRC3_GFX90A:ACCUM_OFFSET: 0
; COMPUTE_PGM_RSRC3_GFX90A:TG_SPLIT: 0
	.section	.text._ZN7rocprim17ROCPRIM_400000_NS6detail17trampoline_kernelINS0_14default_configENS1_35adjacent_difference_config_selectorILb0ElEEZNS1_24adjacent_difference_implIS3_Lb0ELb0EPlS7_ZN2at6native12_GLOBAL__N_124unique_dim_cuda_templateIlEESt5tupleIJNS8_6TensorESD_SD_EERKSD_lbbbEUlllE1_EE10hipError_tPvRmT2_T3_mT4_P12ihipStream_tbEUlT_E_NS1_11comp_targetILNS1_3genE0ELNS1_11target_archE4294967295ELNS1_3gpuE0ELNS1_3repE0EEENS1_30default_config_static_selectorELNS0_4arch9wavefront6targetE1EEEvT1_,"axG",@progbits,_ZN7rocprim17ROCPRIM_400000_NS6detail17trampoline_kernelINS0_14default_configENS1_35adjacent_difference_config_selectorILb0ElEEZNS1_24adjacent_difference_implIS3_Lb0ELb0EPlS7_ZN2at6native12_GLOBAL__N_124unique_dim_cuda_templateIlEESt5tupleIJNS8_6TensorESD_SD_EERKSD_lbbbEUlllE1_EE10hipError_tPvRmT2_T3_mT4_P12ihipStream_tbEUlT_E_NS1_11comp_targetILNS1_3genE0ELNS1_11target_archE4294967295ELNS1_3gpuE0ELNS1_3repE0EEENS1_30default_config_static_selectorELNS0_4arch9wavefront6targetE1EEEvT1_,comdat
	.globl	_ZN7rocprim17ROCPRIM_400000_NS6detail17trampoline_kernelINS0_14default_configENS1_35adjacent_difference_config_selectorILb0ElEEZNS1_24adjacent_difference_implIS3_Lb0ELb0EPlS7_ZN2at6native12_GLOBAL__N_124unique_dim_cuda_templateIlEESt5tupleIJNS8_6TensorESD_SD_EERKSD_lbbbEUlllE1_EE10hipError_tPvRmT2_T3_mT4_P12ihipStream_tbEUlT_E_NS1_11comp_targetILNS1_3genE0ELNS1_11target_archE4294967295ELNS1_3gpuE0ELNS1_3repE0EEENS1_30default_config_static_selectorELNS0_4arch9wavefront6targetE1EEEvT1_ ; -- Begin function _ZN7rocprim17ROCPRIM_400000_NS6detail17trampoline_kernelINS0_14default_configENS1_35adjacent_difference_config_selectorILb0ElEEZNS1_24adjacent_difference_implIS3_Lb0ELb0EPlS7_ZN2at6native12_GLOBAL__N_124unique_dim_cuda_templateIlEESt5tupleIJNS8_6TensorESD_SD_EERKSD_lbbbEUlllE1_EE10hipError_tPvRmT2_T3_mT4_P12ihipStream_tbEUlT_E_NS1_11comp_targetILNS1_3genE0ELNS1_11target_archE4294967295ELNS1_3gpuE0ELNS1_3repE0EEENS1_30default_config_static_selectorELNS0_4arch9wavefront6targetE1EEEvT1_
	.p2align	8
	.type	_ZN7rocprim17ROCPRIM_400000_NS6detail17trampoline_kernelINS0_14default_configENS1_35adjacent_difference_config_selectorILb0ElEEZNS1_24adjacent_difference_implIS3_Lb0ELb0EPlS7_ZN2at6native12_GLOBAL__N_124unique_dim_cuda_templateIlEESt5tupleIJNS8_6TensorESD_SD_EERKSD_lbbbEUlllE1_EE10hipError_tPvRmT2_T3_mT4_P12ihipStream_tbEUlT_E_NS1_11comp_targetILNS1_3genE0ELNS1_11target_archE4294967295ELNS1_3gpuE0ELNS1_3repE0EEENS1_30default_config_static_selectorELNS0_4arch9wavefront6targetE1EEEvT1_,@function
_ZN7rocprim17ROCPRIM_400000_NS6detail17trampoline_kernelINS0_14default_configENS1_35adjacent_difference_config_selectorILb0ElEEZNS1_24adjacent_difference_implIS3_Lb0ELb0EPlS7_ZN2at6native12_GLOBAL__N_124unique_dim_cuda_templateIlEESt5tupleIJNS8_6TensorESD_SD_EERKSD_lbbbEUlllE1_EE10hipError_tPvRmT2_T3_mT4_P12ihipStream_tbEUlT_E_NS1_11comp_targetILNS1_3genE0ELNS1_11target_archE4294967295ELNS1_3gpuE0ELNS1_3repE0EEENS1_30default_config_static_selectorELNS0_4arch9wavefront6targetE1EEEvT1_: ; @_ZN7rocprim17ROCPRIM_400000_NS6detail17trampoline_kernelINS0_14default_configENS1_35adjacent_difference_config_selectorILb0ElEEZNS1_24adjacent_difference_implIS3_Lb0ELb0EPlS7_ZN2at6native12_GLOBAL__N_124unique_dim_cuda_templateIlEESt5tupleIJNS8_6TensorESD_SD_EERKSD_lbbbEUlllE1_EE10hipError_tPvRmT2_T3_mT4_P12ihipStream_tbEUlT_E_NS1_11comp_targetILNS1_3genE0ELNS1_11target_archE4294967295ELNS1_3gpuE0ELNS1_3repE0EEENS1_30default_config_static_selectorELNS0_4arch9wavefront6targetE1EEEvT1_
; %bb.0:
	.section	.rodata,"a",@progbits
	.p2align	6, 0x0
	.amdhsa_kernel _ZN7rocprim17ROCPRIM_400000_NS6detail17trampoline_kernelINS0_14default_configENS1_35adjacent_difference_config_selectorILb0ElEEZNS1_24adjacent_difference_implIS3_Lb0ELb0EPlS7_ZN2at6native12_GLOBAL__N_124unique_dim_cuda_templateIlEESt5tupleIJNS8_6TensorESD_SD_EERKSD_lbbbEUlllE1_EE10hipError_tPvRmT2_T3_mT4_P12ihipStream_tbEUlT_E_NS1_11comp_targetILNS1_3genE0ELNS1_11target_archE4294967295ELNS1_3gpuE0ELNS1_3repE0EEENS1_30default_config_static_selectorELNS0_4arch9wavefront6targetE1EEEvT1_
		.amdhsa_group_segment_fixed_size 0
		.amdhsa_private_segment_fixed_size 0
		.amdhsa_kernarg_size 64
		.amdhsa_user_sgpr_count 2
		.amdhsa_user_sgpr_dispatch_ptr 0
		.amdhsa_user_sgpr_queue_ptr 0
		.amdhsa_user_sgpr_kernarg_segment_ptr 1
		.amdhsa_user_sgpr_dispatch_id 0
		.amdhsa_user_sgpr_kernarg_preload_length 0
		.amdhsa_user_sgpr_kernarg_preload_offset 0
		.amdhsa_user_sgpr_private_segment_size 0
		.amdhsa_uses_dynamic_stack 0
		.amdhsa_enable_private_segment 0
		.amdhsa_system_sgpr_workgroup_id_x 1
		.amdhsa_system_sgpr_workgroup_id_y 0
		.amdhsa_system_sgpr_workgroup_id_z 0
		.amdhsa_system_sgpr_workgroup_info 0
		.amdhsa_system_vgpr_workitem_id 0
		.amdhsa_next_free_vgpr 1
		.amdhsa_next_free_sgpr 0
		.amdhsa_accum_offset 4
		.amdhsa_reserve_vcc 0
		.amdhsa_float_round_mode_32 0
		.amdhsa_float_round_mode_16_64 0
		.amdhsa_float_denorm_mode_32 3
		.amdhsa_float_denorm_mode_16_64 3
		.amdhsa_dx10_clamp 1
		.amdhsa_ieee_mode 1
		.amdhsa_fp16_overflow 0
		.amdhsa_tg_split 0
		.amdhsa_exception_fp_ieee_invalid_op 0
		.amdhsa_exception_fp_denorm_src 0
		.amdhsa_exception_fp_ieee_div_zero 0
		.amdhsa_exception_fp_ieee_overflow 0
		.amdhsa_exception_fp_ieee_underflow 0
		.amdhsa_exception_fp_ieee_inexact 0
		.amdhsa_exception_int_div_zero 0
	.end_amdhsa_kernel
	.section	.text._ZN7rocprim17ROCPRIM_400000_NS6detail17trampoline_kernelINS0_14default_configENS1_35adjacent_difference_config_selectorILb0ElEEZNS1_24adjacent_difference_implIS3_Lb0ELb0EPlS7_ZN2at6native12_GLOBAL__N_124unique_dim_cuda_templateIlEESt5tupleIJNS8_6TensorESD_SD_EERKSD_lbbbEUlllE1_EE10hipError_tPvRmT2_T3_mT4_P12ihipStream_tbEUlT_E_NS1_11comp_targetILNS1_3genE0ELNS1_11target_archE4294967295ELNS1_3gpuE0ELNS1_3repE0EEENS1_30default_config_static_selectorELNS0_4arch9wavefront6targetE1EEEvT1_,"axG",@progbits,_ZN7rocprim17ROCPRIM_400000_NS6detail17trampoline_kernelINS0_14default_configENS1_35adjacent_difference_config_selectorILb0ElEEZNS1_24adjacent_difference_implIS3_Lb0ELb0EPlS7_ZN2at6native12_GLOBAL__N_124unique_dim_cuda_templateIlEESt5tupleIJNS8_6TensorESD_SD_EERKSD_lbbbEUlllE1_EE10hipError_tPvRmT2_T3_mT4_P12ihipStream_tbEUlT_E_NS1_11comp_targetILNS1_3genE0ELNS1_11target_archE4294967295ELNS1_3gpuE0ELNS1_3repE0EEENS1_30default_config_static_selectorELNS0_4arch9wavefront6targetE1EEEvT1_,comdat
.Lfunc_end542:
	.size	_ZN7rocprim17ROCPRIM_400000_NS6detail17trampoline_kernelINS0_14default_configENS1_35adjacent_difference_config_selectorILb0ElEEZNS1_24adjacent_difference_implIS3_Lb0ELb0EPlS7_ZN2at6native12_GLOBAL__N_124unique_dim_cuda_templateIlEESt5tupleIJNS8_6TensorESD_SD_EERKSD_lbbbEUlllE1_EE10hipError_tPvRmT2_T3_mT4_P12ihipStream_tbEUlT_E_NS1_11comp_targetILNS1_3genE0ELNS1_11target_archE4294967295ELNS1_3gpuE0ELNS1_3repE0EEENS1_30default_config_static_selectorELNS0_4arch9wavefront6targetE1EEEvT1_, .Lfunc_end542-_ZN7rocprim17ROCPRIM_400000_NS6detail17trampoline_kernelINS0_14default_configENS1_35adjacent_difference_config_selectorILb0ElEEZNS1_24adjacent_difference_implIS3_Lb0ELb0EPlS7_ZN2at6native12_GLOBAL__N_124unique_dim_cuda_templateIlEESt5tupleIJNS8_6TensorESD_SD_EERKSD_lbbbEUlllE1_EE10hipError_tPvRmT2_T3_mT4_P12ihipStream_tbEUlT_E_NS1_11comp_targetILNS1_3genE0ELNS1_11target_archE4294967295ELNS1_3gpuE0ELNS1_3repE0EEENS1_30default_config_static_selectorELNS0_4arch9wavefront6targetE1EEEvT1_
                                        ; -- End function
	.section	.AMDGPU.csdata,"",@progbits
; Kernel info:
; codeLenInByte = 0
; NumSgprs: 6
; NumVgprs: 0
; NumAgprs: 0
; TotalNumVgprs: 0
; ScratchSize: 0
; MemoryBound: 0
; FloatMode: 240
; IeeeMode: 1
; LDSByteSize: 0 bytes/workgroup (compile time only)
; SGPRBlocks: 0
; VGPRBlocks: 0
; NumSGPRsForWavesPerEU: 6
; NumVGPRsForWavesPerEU: 1
; AccumOffset: 4
; Occupancy: 8
; WaveLimiterHint : 0
; COMPUTE_PGM_RSRC2:SCRATCH_EN: 0
; COMPUTE_PGM_RSRC2:USER_SGPR: 2
; COMPUTE_PGM_RSRC2:TRAP_HANDLER: 0
; COMPUTE_PGM_RSRC2:TGID_X_EN: 1
; COMPUTE_PGM_RSRC2:TGID_Y_EN: 0
; COMPUTE_PGM_RSRC2:TGID_Z_EN: 0
; COMPUTE_PGM_RSRC2:TIDIG_COMP_CNT: 0
; COMPUTE_PGM_RSRC3_GFX90A:ACCUM_OFFSET: 0
; COMPUTE_PGM_RSRC3_GFX90A:TG_SPLIT: 0
	.section	.text._ZN7rocprim17ROCPRIM_400000_NS6detail17trampoline_kernelINS0_14default_configENS1_35adjacent_difference_config_selectorILb0ElEEZNS1_24adjacent_difference_implIS3_Lb0ELb0EPlS7_ZN2at6native12_GLOBAL__N_124unique_dim_cuda_templateIlEESt5tupleIJNS8_6TensorESD_SD_EERKSD_lbbbEUlllE1_EE10hipError_tPvRmT2_T3_mT4_P12ihipStream_tbEUlT_E_NS1_11comp_targetILNS1_3genE10ELNS1_11target_archE1201ELNS1_3gpuE5ELNS1_3repE0EEENS1_30default_config_static_selectorELNS0_4arch9wavefront6targetE1EEEvT1_,"axG",@progbits,_ZN7rocprim17ROCPRIM_400000_NS6detail17trampoline_kernelINS0_14default_configENS1_35adjacent_difference_config_selectorILb0ElEEZNS1_24adjacent_difference_implIS3_Lb0ELb0EPlS7_ZN2at6native12_GLOBAL__N_124unique_dim_cuda_templateIlEESt5tupleIJNS8_6TensorESD_SD_EERKSD_lbbbEUlllE1_EE10hipError_tPvRmT2_T3_mT4_P12ihipStream_tbEUlT_E_NS1_11comp_targetILNS1_3genE10ELNS1_11target_archE1201ELNS1_3gpuE5ELNS1_3repE0EEENS1_30default_config_static_selectorELNS0_4arch9wavefront6targetE1EEEvT1_,comdat
	.globl	_ZN7rocprim17ROCPRIM_400000_NS6detail17trampoline_kernelINS0_14default_configENS1_35adjacent_difference_config_selectorILb0ElEEZNS1_24adjacent_difference_implIS3_Lb0ELb0EPlS7_ZN2at6native12_GLOBAL__N_124unique_dim_cuda_templateIlEESt5tupleIJNS8_6TensorESD_SD_EERKSD_lbbbEUlllE1_EE10hipError_tPvRmT2_T3_mT4_P12ihipStream_tbEUlT_E_NS1_11comp_targetILNS1_3genE10ELNS1_11target_archE1201ELNS1_3gpuE5ELNS1_3repE0EEENS1_30default_config_static_selectorELNS0_4arch9wavefront6targetE1EEEvT1_ ; -- Begin function _ZN7rocprim17ROCPRIM_400000_NS6detail17trampoline_kernelINS0_14default_configENS1_35adjacent_difference_config_selectorILb0ElEEZNS1_24adjacent_difference_implIS3_Lb0ELb0EPlS7_ZN2at6native12_GLOBAL__N_124unique_dim_cuda_templateIlEESt5tupleIJNS8_6TensorESD_SD_EERKSD_lbbbEUlllE1_EE10hipError_tPvRmT2_T3_mT4_P12ihipStream_tbEUlT_E_NS1_11comp_targetILNS1_3genE10ELNS1_11target_archE1201ELNS1_3gpuE5ELNS1_3repE0EEENS1_30default_config_static_selectorELNS0_4arch9wavefront6targetE1EEEvT1_
	.p2align	8
	.type	_ZN7rocprim17ROCPRIM_400000_NS6detail17trampoline_kernelINS0_14default_configENS1_35adjacent_difference_config_selectorILb0ElEEZNS1_24adjacent_difference_implIS3_Lb0ELb0EPlS7_ZN2at6native12_GLOBAL__N_124unique_dim_cuda_templateIlEESt5tupleIJNS8_6TensorESD_SD_EERKSD_lbbbEUlllE1_EE10hipError_tPvRmT2_T3_mT4_P12ihipStream_tbEUlT_E_NS1_11comp_targetILNS1_3genE10ELNS1_11target_archE1201ELNS1_3gpuE5ELNS1_3repE0EEENS1_30default_config_static_selectorELNS0_4arch9wavefront6targetE1EEEvT1_,@function
_ZN7rocprim17ROCPRIM_400000_NS6detail17trampoline_kernelINS0_14default_configENS1_35adjacent_difference_config_selectorILb0ElEEZNS1_24adjacent_difference_implIS3_Lb0ELb0EPlS7_ZN2at6native12_GLOBAL__N_124unique_dim_cuda_templateIlEESt5tupleIJNS8_6TensorESD_SD_EERKSD_lbbbEUlllE1_EE10hipError_tPvRmT2_T3_mT4_P12ihipStream_tbEUlT_E_NS1_11comp_targetILNS1_3genE10ELNS1_11target_archE1201ELNS1_3gpuE5ELNS1_3repE0EEENS1_30default_config_static_selectorELNS0_4arch9wavefront6targetE1EEEvT1_: ; @_ZN7rocprim17ROCPRIM_400000_NS6detail17trampoline_kernelINS0_14default_configENS1_35adjacent_difference_config_selectorILb0ElEEZNS1_24adjacent_difference_implIS3_Lb0ELb0EPlS7_ZN2at6native12_GLOBAL__N_124unique_dim_cuda_templateIlEESt5tupleIJNS8_6TensorESD_SD_EERKSD_lbbbEUlllE1_EE10hipError_tPvRmT2_T3_mT4_P12ihipStream_tbEUlT_E_NS1_11comp_targetILNS1_3genE10ELNS1_11target_archE1201ELNS1_3gpuE5ELNS1_3repE0EEENS1_30default_config_static_selectorELNS0_4arch9wavefront6targetE1EEEvT1_
; %bb.0:
	.section	.rodata,"a",@progbits
	.p2align	6, 0x0
	.amdhsa_kernel _ZN7rocprim17ROCPRIM_400000_NS6detail17trampoline_kernelINS0_14default_configENS1_35adjacent_difference_config_selectorILb0ElEEZNS1_24adjacent_difference_implIS3_Lb0ELb0EPlS7_ZN2at6native12_GLOBAL__N_124unique_dim_cuda_templateIlEESt5tupleIJNS8_6TensorESD_SD_EERKSD_lbbbEUlllE1_EE10hipError_tPvRmT2_T3_mT4_P12ihipStream_tbEUlT_E_NS1_11comp_targetILNS1_3genE10ELNS1_11target_archE1201ELNS1_3gpuE5ELNS1_3repE0EEENS1_30default_config_static_selectorELNS0_4arch9wavefront6targetE1EEEvT1_
		.amdhsa_group_segment_fixed_size 0
		.amdhsa_private_segment_fixed_size 0
		.amdhsa_kernarg_size 64
		.amdhsa_user_sgpr_count 2
		.amdhsa_user_sgpr_dispatch_ptr 0
		.amdhsa_user_sgpr_queue_ptr 0
		.amdhsa_user_sgpr_kernarg_segment_ptr 1
		.amdhsa_user_sgpr_dispatch_id 0
		.amdhsa_user_sgpr_kernarg_preload_length 0
		.amdhsa_user_sgpr_kernarg_preload_offset 0
		.amdhsa_user_sgpr_private_segment_size 0
		.amdhsa_uses_dynamic_stack 0
		.amdhsa_enable_private_segment 0
		.amdhsa_system_sgpr_workgroup_id_x 1
		.amdhsa_system_sgpr_workgroup_id_y 0
		.amdhsa_system_sgpr_workgroup_id_z 0
		.amdhsa_system_sgpr_workgroup_info 0
		.amdhsa_system_vgpr_workitem_id 0
		.amdhsa_next_free_vgpr 1
		.amdhsa_next_free_sgpr 0
		.amdhsa_accum_offset 4
		.amdhsa_reserve_vcc 0
		.amdhsa_float_round_mode_32 0
		.amdhsa_float_round_mode_16_64 0
		.amdhsa_float_denorm_mode_32 3
		.amdhsa_float_denorm_mode_16_64 3
		.amdhsa_dx10_clamp 1
		.amdhsa_ieee_mode 1
		.amdhsa_fp16_overflow 0
		.amdhsa_tg_split 0
		.amdhsa_exception_fp_ieee_invalid_op 0
		.amdhsa_exception_fp_denorm_src 0
		.amdhsa_exception_fp_ieee_div_zero 0
		.amdhsa_exception_fp_ieee_overflow 0
		.amdhsa_exception_fp_ieee_underflow 0
		.amdhsa_exception_fp_ieee_inexact 0
		.amdhsa_exception_int_div_zero 0
	.end_amdhsa_kernel
	.section	.text._ZN7rocprim17ROCPRIM_400000_NS6detail17trampoline_kernelINS0_14default_configENS1_35adjacent_difference_config_selectorILb0ElEEZNS1_24adjacent_difference_implIS3_Lb0ELb0EPlS7_ZN2at6native12_GLOBAL__N_124unique_dim_cuda_templateIlEESt5tupleIJNS8_6TensorESD_SD_EERKSD_lbbbEUlllE1_EE10hipError_tPvRmT2_T3_mT4_P12ihipStream_tbEUlT_E_NS1_11comp_targetILNS1_3genE10ELNS1_11target_archE1201ELNS1_3gpuE5ELNS1_3repE0EEENS1_30default_config_static_selectorELNS0_4arch9wavefront6targetE1EEEvT1_,"axG",@progbits,_ZN7rocprim17ROCPRIM_400000_NS6detail17trampoline_kernelINS0_14default_configENS1_35adjacent_difference_config_selectorILb0ElEEZNS1_24adjacent_difference_implIS3_Lb0ELb0EPlS7_ZN2at6native12_GLOBAL__N_124unique_dim_cuda_templateIlEESt5tupleIJNS8_6TensorESD_SD_EERKSD_lbbbEUlllE1_EE10hipError_tPvRmT2_T3_mT4_P12ihipStream_tbEUlT_E_NS1_11comp_targetILNS1_3genE10ELNS1_11target_archE1201ELNS1_3gpuE5ELNS1_3repE0EEENS1_30default_config_static_selectorELNS0_4arch9wavefront6targetE1EEEvT1_,comdat
.Lfunc_end543:
	.size	_ZN7rocprim17ROCPRIM_400000_NS6detail17trampoline_kernelINS0_14default_configENS1_35adjacent_difference_config_selectorILb0ElEEZNS1_24adjacent_difference_implIS3_Lb0ELb0EPlS7_ZN2at6native12_GLOBAL__N_124unique_dim_cuda_templateIlEESt5tupleIJNS8_6TensorESD_SD_EERKSD_lbbbEUlllE1_EE10hipError_tPvRmT2_T3_mT4_P12ihipStream_tbEUlT_E_NS1_11comp_targetILNS1_3genE10ELNS1_11target_archE1201ELNS1_3gpuE5ELNS1_3repE0EEENS1_30default_config_static_selectorELNS0_4arch9wavefront6targetE1EEEvT1_, .Lfunc_end543-_ZN7rocprim17ROCPRIM_400000_NS6detail17trampoline_kernelINS0_14default_configENS1_35adjacent_difference_config_selectorILb0ElEEZNS1_24adjacent_difference_implIS3_Lb0ELb0EPlS7_ZN2at6native12_GLOBAL__N_124unique_dim_cuda_templateIlEESt5tupleIJNS8_6TensorESD_SD_EERKSD_lbbbEUlllE1_EE10hipError_tPvRmT2_T3_mT4_P12ihipStream_tbEUlT_E_NS1_11comp_targetILNS1_3genE10ELNS1_11target_archE1201ELNS1_3gpuE5ELNS1_3repE0EEENS1_30default_config_static_selectorELNS0_4arch9wavefront6targetE1EEEvT1_
                                        ; -- End function
	.section	.AMDGPU.csdata,"",@progbits
; Kernel info:
; codeLenInByte = 0
; NumSgprs: 6
; NumVgprs: 0
; NumAgprs: 0
; TotalNumVgprs: 0
; ScratchSize: 0
; MemoryBound: 0
; FloatMode: 240
; IeeeMode: 1
; LDSByteSize: 0 bytes/workgroup (compile time only)
; SGPRBlocks: 0
; VGPRBlocks: 0
; NumSGPRsForWavesPerEU: 6
; NumVGPRsForWavesPerEU: 1
; AccumOffset: 4
; Occupancy: 8
; WaveLimiterHint : 0
; COMPUTE_PGM_RSRC2:SCRATCH_EN: 0
; COMPUTE_PGM_RSRC2:USER_SGPR: 2
; COMPUTE_PGM_RSRC2:TRAP_HANDLER: 0
; COMPUTE_PGM_RSRC2:TGID_X_EN: 1
; COMPUTE_PGM_RSRC2:TGID_Y_EN: 0
; COMPUTE_PGM_RSRC2:TGID_Z_EN: 0
; COMPUTE_PGM_RSRC2:TIDIG_COMP_CNT: 0
; COMPUTE_PGM_RSRC3_GFX90A:ACCUM_OFFSET: 0
; COMPUTE_PGM_RSRC3_GFX90A:TG_SPLIT: 0
	.section	.text._ZN7rocprim17ROCPRIM_400000_NS6detail17trampoline_kernelINS0_14default_configENS1_35adjacent_difference_config_selectorILb0ElEEZNS1_24adjacent_difference_implIS3_Lb0ELb0EPlS7_ZN2at6native12_GLOBAL__N_124unique_dim_cuda_templateIlEESt5tupleIJNS8_6TensorESD_SD_EERKSD_lbbbEUlllE1_EE10hipError_tPvRmT2_T3_mT4_P12ihipStream_tbEUlT_E_NS1_11comp_targetILNS1_3genE5ELNS1_11target_archE942ELNS1_3gpuE9ELNS1_3repE0EEENS1_30default_config_static_selectorELNS0_4arch9wavefront6targetE1EEEvT1_,"axG",@progbits,_ZN7rocprim17ROCPRIM_400000_NS6detail17trampoline_kernelINS0_14default_configENS1_35adjacent_difference_config_selectorILb0ElEEZNS1_24adjacent_difference_implIS3_Lb0ELb0EPlS7_ZN2at6native12_GLOBAL__N_124unique_dim_cuda_templateIlEESt5tupleIJNS8_6TensorESD_SD_EERKSD_lbbbEUlllE1_EE10hipError_tPvRmT2_T3_mT4_P12ihipStream_tbEUlT_E_NS1_11comp_targetILNS1_3genE5ELNS1_11target_archE942ELNS1_3gpuE9ELNS1_3repE0EEENS1_30default_config_static_selectorELNS0_4arch9wavefront6targetE1EEEvT1_,comdat
	.globl	_ZN7rocprim17ROCPRIM_400000_NS6detail17trampoline_kernelINS0_14default_configENS1_35adjacent_difference_config_selectorILb0ElEEZNS1_24adjacent_difference_implIS3_Lb0ELb0EPlS7_ZN2at6native12_GLOBAL__N_124unique_dim_cuda_templateIlEESt5tupleIJNS8_6TensorESD_SD_EERKSD_lbbbEUlllE1_EE10hipError_tPvRmT2_T3_mT4_P12ihipStream_tbEUlT_E_NS1_11comp_targetILNS1_3genE5ELNS1_11target_archE942ELNS1_3gpuE9ELNS1_3repE0EEENS1_30default_config_static_selectorELNS0_4arch9wavefront6targetE1EEEvT1_ ; -- Begin function _ZN7rocprim17ROCPRIM_400000_NS6detail17trampoline_kernelINS0_14default_configENS1_35adjacent_difference_config_selectorILb0ElEEZNS1_24adjacent_difference_implIS3_Lb0ELb0EPlS7_ZN2at6native12_GLOBAL__N_124unique_dim_cuda_templateIlEESt5tupleIJNS8_6TensorESD_SD_EERKSD_lbbbEUlllE1_EE10hipError_tPvRmT2_T3_mT4_P12ihipStream_tbEUlT_E_NS1_11comp_targetILNS1_3genE5ELNS1_11target_archE942ELNS1_3gpuE9ELNS1_3repE0EEENS1_30default_config_static_selectorELNS0_4arch9wavefront6targetE1EEEvT1_
	.p2align	8
	.type	_ZN7rocprim17ROCPRIM_400000_NS6detail17trampoline_kernelINS0_14default_configENS1_35adjacent_difference_config_selectorILb0ElEEZNS1_24adjacent_difference_implIS3_Lb0ELb0EPlS7_ZN2at6native12_GLOBAL__N_124unique_dim_cuda_templateIlEESt5tupleIJNS8_6TensorESD_SD_EERKSD_lbbbEUlllE1_EE10hipError_tPvRmT2_T3_mT4_P12ihipStream_tbEUlT_E_NS1_11comp_targetILNS1_3genE5ELNS1_11target_archE942ELNS1_3gpuE9ELNS1_3repE0EEENS1_30default_config_static_selectorELNS0_4arch9wavefront6targetE1EEEvT1_,@function
_ZN7rocprim17ROCPRIM_400000_NS6detail17trampoline_kernelINS0_14default_configENS1_35adjacent_difference_config_selectorILb0ElEEZNS1_24adjacent_difference_implIS3_Lb0ELb0EPlS7_ZN2at6native12_GLOBAL__N_124unique_dim_cuda_templateIlEESt5tupleIJNS8_6TensorESD_SD_EERKSD_lbbbEUlllE1_EE10hipError_tPvRmT2_T3_mT4_P12ihipStream_tbEUlT_E_NS1_11comp_targetILNS1_3genE5ELNS1_11target_archE942ELNS1_3gpuE9ELNS1_3repE0EEENS1_30default_config_static_selectorELNS0_4arch9wavefront6targetE1EEEvT1_: ; @_ZN7rocprim17ROCPRIM_400000_NS6detail17trampoline_kernelINS0_14default_configENS1_35adjacent_difference_config_selectorILb0ElEEZNS1_24adjacent_difference_implIS3_Lb0ELb0EPlS7_ZN2at6native12_GLOBAL__N_124unique_dim_cuda_templateIlEESt5tupleIJNS8_6TensorESD_SD_EERKSD_lbbbEUlllE1_EE10hipError_tPvRmT2_T3_mT4_P12ihipStream_tbEUlT_E_NS1_11comp_targetILNS1_3genE5ELNS1_11target_archE942ELNS1_3gpuE9ELNS1_3repE0EEENS1_30default_config_static_selectorELNS0_4arch9wavefront6targetE1EEEvT1_
; %bb.0:
	s_load_dwordx8 s[4:11], s[0:1], 0x0
	s_load_dwordx4 s[12:15], s[0:1], 0x20
	s_load_dwordx2 s[18:19], s[0:1], 0x38
	s_mov_b32 s1, 0xcec4e8e0
	v_bfrev_b32_e32 v1, 1
	s_waitcnt lgkmcnt(0)
	s_lshl_b64 s[16:17], s[6:7], 3
	s_add_u32 s24, s4, s16
	s_addc_u32 s25, s5, s17
	s_add_u32 s1, 0x150, s1
	s_addc_u32 s3, 0, 0
	v_add_co_u32_e32 v1, vcc, s1, v1
	s_cmp_lg_u64 vcc, 0
	v_readfirstlane_b32 s4, v1
	s_addc_u32 s1, s3, 0x4ec4eb
	s_mul_hi_u32 s5, s4, 0xfffffcc0
	s_mul_i32 s3, s1, 0xfffffcc0
	s_sub_i32 s5, s5, s4
	s_add_i32 s5, s5, s3
	s_mul_i32 s21, s4, 0xfffffcc0
	s_mul_hi_u32 s3, s4, s5
	s_mul_i32 s20, s4, s5
	s_mul_hi_u32 s4, s4, s21
	s_add_u32 s4, s4, s20
	s_addc_u32 s3, 0, s3
	s_mul_hi_u32 s22, s1, s21
	s_mul_i32 s21, s1, s21
	s_add_u32 s4, s4, s21
	s_mul_hi_u32 s20, s1, s5
	s_addc_u32 s3, s3, s22
	s_addc_u32 s4, s20, 0
	s_mul_i32 s5, s1, s5
	s_add_u32 s3, s3, s5
	s_addc_u32 s4, 0, s4
	v_add_co_u32_e32 v1, vcc, s3, v1
	s_cmp_lg_u64 vcc, 0
	s_addc_u32 s1, s1, s4
	v_readfirstlane_b32 s5, v1
	s_mul_i32 s4, s10, s1
	s_mul_hi_u32 s20, s10, s5
	s_mul_hi_u32 s3, s10, s1
	s_add_u32 s4, s20, s4
	s_addc_u32 s3, 0, s3
	s_mul_hi_u32 s21, s11, s5
	s_mul_i32 s5, s11, s5
	s_add_u32 s4, s4, s5
	s_mul_hi_u32 s20, s11, s1
	s_addc_u32 s3, s3, s21
	s_addc_u32 s4, s20, 0
	s_mul_i32 s1, s11, s1
	s_add_u32 s1, s3, s1
	s_addc_u32 s3, 0, s4
	s_add_u32 s4, s1, 1
	s_addc_u32 s5, s3, 0
	s_add_u32 s20, s1, 2
	s_mul_i32 s22, s3, 0x340
	s_mul_hi_u32 s23, s1, 0x340
	s_addc_u32 s21, s3, 0
	s_add_i32 s23, s23, s22
	s_mul_i32 s22, s1, 0x340
	v_mov_b32_e32 v1, s22
	v_sub_co_u32_e32 v1, vcc, s10, v1
	s_movk_i32 s0, 0x340
	s_cmp_lg_u64 vcc, 0
	s_subb_u32 s22, s11, s23
	v_subrev_co_u32_e32 v2, vcc, s0, v1
	s_cmp_lg_u64 vcc, 0
	s_subb_u32 s0, s22, 0
	v_readfirstlane_b32 s23, v2
	s_cmpk_gt_u32 s23, 0x33f
	s_cselect_b32 s23, -1, 0
	s_cmp_eq_u32 s0, 0
	s_cselect_b32 s0, s23, -1
	s_cmp_lg_u32 s0, 0
	s_cselect_b32 s0, s20, s4
	s_cselect_b32 s4, s21, s5
	v_readfirstlane_b32 s5, v1
	s_cmpk_gt_u32 s5, 0x33f
	s_cselect_b32 s5, -1, 0
	s_cmp_eq_u32 s22, 0
	s_cselect_b32 s5, s5, -1
	s_cmp_lg_u32 s5, 0
	s_cselect_b32 s3, s4, s3
	s_cselect_b32 s4, s0, s1
	s_mul_i32 s0, s3, 0x340
	s_mul_hi_u32 s1, s4, 0x340
	s_add_i32 s1, s1, s0
	s_mul_i32 s0, s4, 0x340
	s_sub_u32 s0, s10, s0
	s_subb_u32 s1, s11, s1
	s_cmp_lg_u64 s[0:1], 0
	s_cselect_b64 s[0:1], -1, 0
	v_cndmask_b32_e64 v1, 0, 1, s[0:1]
	s_mul_i32 s6, s2, 0x340
	v_readfirstlane_b32 s0, v1
	s_add_u32 s4, s4, s0
	s_addc_u32 s5, s3, 0
	s_add_u32 s22, s18, s2
	s_addc_u32 s23, s19, 0
	s_add_u32 s2, s4, -1
	s_addc_u32 s3, s5, -1
	v_mov_b64_e32 v[2:3], s[2:3]
	v_cmp_ge_u64_e64 s[0:1], s[22:23], v[2:3]
	s_mov_b32 s7, 0
	s_mov_b64 s[18:19], -1
	s_and_b64 vcc, exec, s[0:1]
	s_mul_i32 s11, s2, 0xfffffcc0
	s_cbranch_vccz .LBB544_28
; %bb.1:
	s_add_i32 s26, s11, s10
	s_lshl_b64 s[18:19], s[6:7], 3
	s_add_u32 s18, s24, s18
	s_addc_u32 s19, s25, s19
	v_cmp_gt_u32_e32 vcc, s26, v0
                                        ; implicit-def: $vgpr2_vgpr3_vgpr4_vgpr5_vgpr6_vgpr7_vgpr8_vgpr9_vgpr10_vgpr11_vgpr12_vgpr13_vgpr14_vgpr15_vgpr16_vgpr17_vgpr18_vgpr19_vgpr20_vgpr21_vgpr22_vgpr23_vgpr24_vgpr25_vgpr26_vgpr27_vgpr28_vgpr29_vgpr30_vgpr31_vgpr32_vgpr33
	s_and_saveexec_b64 s[20:21], vcc
	s_cbranch_execz .LBB544_3
; %bb.2:
	v_lshlrev_b32_e32 v1, 3, v0
	global_load_dwordx2 v[2:3], v1, s[18:19]
.LBB544_3:
	s_or_b64 exec, exec, s[20:21]
	v_or_b32_e32 v1, 64, v0
	v_cmp_gt_u32_e32 vcc, s26, v1
	s_and_saveexec_b64 s[20:21], vcc
	s_cbranch_execz .LBB544_5
; %bb.4:
	v_lshlrev_b32_e32 v1, 3, v0
	global_load_dwordx2 v[4:5], v1, s[18:19] offset:512
.LBB544_5:
	s_or_b64 exec, exec, s[20:21]
	v_or_b32_e32 v1, 0x80, v0
	v_cmp_gt_u32_e32 vcc, s26, v1
	s_and_saveexec_b64 s[20:21], vcc
	s_cbranch_execz .LBB544_7
; %bb.6:
	v_lshlrev_b32_e32 v1, 3, v0
	global_load_dwordx2 v[6:7], v1, s[18:19] offset:1024
.LBB544_7:
	;; [unrolled: 9-line block ×7, first 2 shown]
	s_or_b64 exec, exec, s[20:21]
	v_or_b32_e32 v1, 0x200, v0
	v_cmp_gt_u32_e32 vcc, s26, v1
	s_and_saveexec_b64 s[20:21], vcc
	s_cbranch_execz .LBB544_19
; %bb.18:
	v_lshlrev_b32_e32 v1, 3, v1
	global_load_dwordx2 v[18:19], v1, s[18:19]
.LBB544_19:
	s_or_b64 exec, exec, s[20:21]
	v_or_b32_e32 v1, 0x240, v0
	v_cmp_gt_u32_e32 vcc, s26, v1
	s_and_saveexec_b64 s[20:21], vcc
	s_cbranch_execz .LBB544_21
; %bb.20:
	v_lshlrev_b32_e32 v1, 3, v1
	global_load_dwordx2 v[20:21], v1, s[18:19]
.LBB544_21:
	s_or_b64 exec, exec, s[20:21]
	v_or_b32_e32 v1, 0x280, v0
	v_cmp_gt_u32_e32 vcc, s26, v1
	s_and_saveexec_b64 s[20:21], vcc
	s_cbranch_execz .LBB544_23
; %bb.22:
	v_lshlrev_b32_e32 v1, 3, v1
	global_load_dwordx2 v[22:23], v1, s[18:19]
.LBB544_23:
	s_or_b64 exec, exec, s[20:21]
	v_or_b32_e32 v1, 0x2c0, v0
	v_cmp_gt_u32_e32 vcc, s26, v1
	s_and_saveexec_b64 s[20:21], vcc
	s_cbranch_execz .LBB544_25
; %bb.24:
	v_lshlrev_b32_e32 v1, 3, v1
	global_load_dwordx2 v[24:25], v1, s[18:19]
.LBB544_25:
	s_or_b64 exec, exec, s[20:21]
	v_or_b32_e32 v1, 0x300, v0
	v_cmp_gt_u32_e32 vcc, s26, v1
	s_and_saveexec_b64 s[20:21], vcc
	s_cbranch_execz .LBB544_27
; %bb.26:
	v_lshlrev_b32_e32 v1, 3, v1
	global_load_dwordx2 v[26:27], v1, s[18:19]
.LBB544_27:
	s_or_b64 exec, exec, s[20:21]
	v_lshlrev_b32_e32 v1, 3, v0
	s_mov_b64 s[18:19], 0
	s_waitcnt vmcnt(0)
	ds_write2st64_b64 v1, v[2:3], v[4:5] offset1:1
	ds_write2st64_b64 v1, v[6:7], v[8:9] offset0:2 offset1:3
	ds_write2st64_b64 v1, v[10:11], v[12:13] offset0:4 offset1:5
	;; [unrolled: 1-line block ×5, first 2 shown]
	ds_write_b64 v1, v[26:27] offset:6144
	s_waitcnt lgkmcnt(0)
	; wave barrier
.LBB544_28:
	s_and_b64 vcc, exec, s[18:19]
	v_lshlrev_b32_e32 v48, 3, v0
	s_cbranch_vccz .LBB544_30
; %bb.29:
	s_lshl_b64 s[18:19], s[6:7], 3
	s_add_u32 s18, s24, s18
	s_addc_u32 s19, s25, s19
	v_mov_b32_e32 v49, 0
	v_lshl_add_u64 v[2:3], s[18:19], 0, v[48:49]
	s_movk_i32 s7, 0x1000
	v_add_co_u32_e32 v2, vcc, s7, v2
	global_load_dwordx2 v[4:5], v48, s[18:19]
	global_load_dwordx2 v[6:7], v48, s[18:19] offset:512
	global_load_dwordx2 v[8:9], v48, s[18:19] offset:1024
	;; [unrolled: 1-line block ×7, first 2 shown]
	v_addc_co_u32_e32 v3, vcc, 0, v3, vcc
	global_load_dwordx2 v[20:21], v[2:3], off
	global_load_dwordx2 v[22:23], v[2:3], off offset:512
	global_load_dwordx2 v[24:25], v[2:3], off offset:1024
	;; [unrolled: 1-line block ×4, first 2 shown]
	s_waitcnt vmcnt(11)
	ds_write2st64_b64 v48, v[4:5], v[6:7] offset1:1
	s_waitcnt vmcnt(9)
	ds_write2st64_b64 v48, v[8:9], v[10:11] offset0:2 offset1:3
	s_waitcnt vmcnt(7)
	ds_write2st64_b64 v48, v[12:13], v[14:15] offset0:4 offset1:5
	;; [unrolled: 2-line block ×5, first 2 shown]
	s_waitcnt vmcnt(0)
	ds_write_b64 v48, v[28:29] offset:6144
	s_waitcnt lgkmcnt(0)
	; wave barrier
.LBB544_30:
	v_mul_u32_u24_e32 v1, 13, v0
	v_lshlrev_b32_e32 v1, 3, v1
	s_waitcnt lgkmcnt(0)
	ds_read2_b64 v[2:5], v1 offset1:1
	ds_read2_b64 v[6:9], v1 offset0:2 offset1:3
	ds_read2_b64 v[10:13], v1 offset0:4 offset1:5
	;; [unrolled: 1-line block ×5, first 2 shown]
	ds_read_b64 v[44:45], v1 offset:96
	s_cmp_eq_u64 s[22:23], 0
	s_mov_b64 s[18:19], 0
	s_waitcnt lgkmcnt(0)
	; wave barrier
	s_waitcnt lgkmcnt(0)
	s_cbranch_scc1 .LBB544_39
; %bb.31:
	s_mov_b32 s7, 0
	s_lshl_b64 s[20:21], s[6:7], 3
	s_add_u32 s7, s24, s20
	s_addc_u32 s21, s25, s21
	s_add_u32 s20, s7, -8
	s_addc_u32 s21, s21, -1
	s_load_dwordx2 s[20:21], s[20:21], 0x0
	s_cmp_lg_u64 s[22:23], s[2:3]
	s_cbranch_scc0 .LBB544_40
; %bb.32:
	v_mul_lo_u32 v1, v25, s12
	v_mul_lo_u32 v28, v24, s13
	v_mad_u64_u32 v[26:27], s[24:25], v24, s12, 0
	v_mov_b64_e32 v[46:47], 0
	v_cmp_lt_i64_e64 s[2:3], s[12:13], 1
	v_add3_u32 v27, v27, v28, v1
	v_cmp_gt_i64_e64 s[18:19], s[12:13], 0
	s_and_b64 vcc, exec, s[2:3]
	v_lshl_add_u64 v[26:27], v[26:27], 3, s[14:15]
	v_mov_b64_e32 v[50:51], v[46:47]
	ds_write_b64 v48, v[44:45]
	s_cbranch_vccnz .LBB544_44
; %bb.33:
	v_mul_lo_u32 v1, v45, s12
	v_mul_lo_u32 v30, v44, s13
	v_mad_u64_u32 v[28:29], s[2:3], v44, s12, 0
	v_add3_u32 v29, v29, v30, v1
	v_lshl_add_u64 v[30:31], v[28:29], 3, s[14:15]
	global_load_dwordx2 v[28:29], v[30:31], off
	global_load_dwordx2 v[32:33], v[26:27], off
	v_mov_b64_e32 v[50:51], 1
	s_waitcnt vmcnt(0)
	v_cmp_eq_u64_e32 vcc, v[28:29], v[32:33]
	s_and_saveexec_b64 s[2:3], vcc
	s_cbranch_execz .LBB544_43
; %bb.34:
	s_add_u32 s24, s12, -1
	v_lshl_add_u64 v[28:29], v[26:27], 0, 8
	v_lshl_add_u64 v[30:31], v[30:31], 0, 8
	s_addc_u32 s25, s13, -1
	s_mov_b64 s[26:27], 0
	s_mov_b64 s[30:31], 0
                                        ; implicit-def: $sgpr28_sgpr29
	s_branch .LBB544_37
.LBB544_35:                             ;   in Loop: Header=BB544_37 Depth=1
	global_load_dwordx2 v[32:33], v[30:31], off
	global_load_dwordx2 v[34:35], v[28:29], off
	s_add_u32 s30, s30, 1
	s_addc_u32 s31, s31, 0
	s_andn2_b64 s[28:29], s[28:29], exec
	v_lshl_add_u64 v[28:29], v[28:29], 0, 8
	v_lshl_add_u64 v[30:31], v[30:31], 0, 8
	s_waitcnt vmcnt(0)
	v_cmp_ne_u64_e32 vcc, v[32:33], v[34:35]
	s_and_b64 s[34:35], vcc, exec
	s_or_b64 s[28:29], s[28:29], s[34:35]
.LBB544_36:                             ;   in Loop: Header=BB544_37 Depth=1
	s_and_b64 s[34:35], exec, s[28:29]
	s_or_b64 s[26:27], s[34:35], s[26:27]
	v_mov_b64_e32 v[32:33], s[30:31]
	s_andn2_b64 exec, exec, s[26:27]
	s_cbranch_execz .LBB544_42
.LBB544_37:                             ; =>This Inner Loop Header: Depth=1
	s_or_b64 s[28:29], s[28:29], exec
	s_cmp_eq_u64 s[24:25], s[30:31]
	s_cbranch_scc0 .LBB544_35
; %bb.38:                               ;   in Loop: Header=BB544_37 Depth=1
                                        ; implicit-def: $vgpr28_vgpr29
                                        ; implicit-def: $vgpr30_vgpr31
	s_mov_b64 s[30:31], s[12:13]
	s_branch .LBB544_36
.LBB544_39:
                                        ; implicit-def: $vgpr26_vgpr27_vgpr28_vgpr29
                                        ; implicit-def: $sgpr24_sgpr25
                                        ; implicit-def: $vgpr50_vgpr51
                                        ; implicit-def: $vgpr52_vgpr53
                                        ; implicit-def: $vgpr46_vgpr47
                                        ; implicit-def: $vgpr70_vgpr71
                                        ; implicit-def: $vgpr68_vgpr69
                                        ; implicit-def: $vgpr66_vgpr67
                                        ; implicit-def: $vgpr64_vgpr65
                                        ; implicit-def: $vgpr62_vgpr63
                                        ; implicit-def: $vgpr60_vgpr61
                                        ; implicit-def: $vgpr58_vgpr59
                                        ; implicit-def: $vgpr56_vgpr57
                                        ; implicit-def: $vgpr54_vgpr55
                                        ; implicit-def: $vgpr72_vgpr73
                                        ; implicit-def: $vgpr82_vgpr83
                                        ; implicit-def: $vgpr74_vgpr75
                                        ; implicit-def: $vgpr76_vgpr77
                                        ; implicit-def: $vgpr78_vgpr79
                                        ; implicit-def: $vgpr80_vgpr81
                                        ; implicit-def: $vgpr28_vgpr29_vgpr30_vgpr31
                                        ; implicit-def: $vgpr32_vgpr33_vgpr34_vgpr35
                                        ; implicit-def: $vgpr36_vgpr37_vgpr38_vgpr39
                                        ; implicit-def: $vgpr40_vgpr41_vgpr42_vgpr43
	s_cbranch_execnz .LBB544_303
	s_branch .LBB544_572
.LBB544_40:
                                        ; implicit-def: $sgpr24_sgpr25
                                        ; implicit-def: $vgpr50_vgpr51
                                        ; implicit-def: $vgpr52_vgpr53
                                        ; implicit-def: $vgpr46_vgpr47
                                        ; implicit-def: $vgpr70_vgpr71
                                        ; implicit-def: $vgpr68_vgpr69
                                        ; implicit-def: $vgpr66_vgpr67
                                        ; implicit-def: $vgpr64_vgpr65
                                        ; implicit-def: $vgpr62_vgpr63
                                        ; implicit-def: $vgpr60_vgpr61
                                        ; implicit-def: $vgpr58_vgpr59
                                        ; implicit-def: $vgpr56_vgpr57
                                        ; implicit-def: $vgpr54_vgpr55
	s_cbranch_execnz .LBB544_156
.LBB544_41:
                                        ; implicit-def: $vgpr26_vgpr27_vgpr28_vgpr29
                                        ; implicit-def: $vgpr72_vgpr73
                                        ; implicit-def: $vgpr82_vgpr83
                                        ; implicit-def: $vgpr74_vgpr75
                                        ; implicit-def: $vgpr76_vgpr77
                                        ; implicit-def: $vgpr78_vgpr79
                                        ; implicit-def: $vgpr80_vgpr81
                                        ; implicit-def: $vgpr32_vgpr33_vgpr34_vgpr35
                                        ; implicit-def: $vgpr36_vgpr37_vgpr38_vgpr39
                                        ; implicit-def: $vgpr40_vgpr41_vgpr42_vgpr43
                                        ; implicit-def: $vgpr28_vgpr29_vgpr30_vgpr31
	s_branch .LBB544_572
.LBB544_42:
	s_or_b64 exec, exec, s[26:27]
	v_cmp_gt_i64_e32 vcc, s[12:13], v[32:33]
	s_mov_b32 s7, 0
	v_mov_b32_e32 v51, s7
	v_cndmask_b32_e64 v50, 0, 1, vcc
.LBB544_43:
	s_or_b64 exec, exec, s[2:3]
.LBB544_44:
	v_mul_lo_u32 v1, v23, s12
	v_mul_lo_u32 v30, v22, s13
	v_mad_u64_u32 v[28:29], s[2:3], v22, s12, 0
	v_add3_u32 v29, v29, v30, v1
	v_cndmask_b32_e64 v1, 0, 1, s[18:19]
	v_cmp_ne_u32_e64 s[2:3], 1, v1
	s_andn2_b64 vcc, exec, s[18:19]
	v_lshl_add_u64 v[28:29], v[28:29], 3, s[14:15]
	v_mov_b64_e32 v[52:53], v[46:47]
	s_cbranch_vccnz .LBB544_53
; %bb.45:
	global_load_dwordx2 v[30:31], v[26:27], off
	global_load_dwordx2 v[32:33], v[28:29], off
	v_mov_b64_e32 v[52:53], 1
	s_waitcnt vmcnt(0)
	v_cmp_eq_u64_e32 vcc, v[30:31], v[32:33]
	s_and_saveexec_b64 s[18:19], vcc
	s_cbranch_execz .LBB544_52
; %bb.46:
	s_add_u32 s24, s12, -1
	v_lshl_add_u64 v[30:31], v[28:29], 0, 8
	v_lshl_add_u64 v[26:27], v[26:27], 0, 8
	s_addc_u32 s25, s13, -1
	s_mov_b64 s[26:27], 0
	s_mov_b64 s[30:31], 0
                                        ; implicit-def: $sgpr28_sgpr29
	s_branch .LBB544_49
.LBB544_47:                             ;   in Loop: Header=BB544_49 Depth=1
	global_load_dwordx2 v[32:33], v[26:27], off
	global_load_dwordx2 v[34:35], v[30:31], off
	s_add_u32 s30, s30, 1
	s_addc_u32 s31, s31, 0
	s_andn2_b64 s[28:29], s[28:29], exec
	v_lshl_add_u64 v[30:31], v[30:31], 0, 8
	v_lshl_add_u64 v[26:27], v[26:27], 0, 8
	s_waitcnt vmcnt(0)
	v_cmp_ne_u64_e32 vcc, v[32:33], v[34:35]
	s_and_b64 s[34:35], vcc, exec
	s_or_b64 s[28:29], s[28:29], s[34:35]
.LBB544_48:                             ;   in Loop: Header=BB544_49 Depth=1
	s_and_b64 s[34:35], exec, s[28:29]
	s_or_b64 s[26:27], s[34:35], s[26:27]
	v_mov_b64_e32 v[32:33], s[30:31]
	s_andn2_b64 exec, exec, s[26:27]
	s_cbranch_execz .LBB544_51
.LBB544_49:                             ; =>This Inner Loop Header: Depth=1
	s_or_b64 s[28:29], s[28:29], exec
	s_cmp_eq_u64 s[24:25], s[30:31]
	s_cbranch_scc0 .LBB544_47
; %bb.50:                               ;   in Loop: Header=BB544_49 Depth=1
                                        ; implicit-def: $vgpr30_vgpr31
                                        ; implicit-def: $vgpr26_vgpr27
	s_mov_b64 s[30:31], s[12:13]
	s_branch .LBB544_48
.LBB544_51:
	s_or_b64 exec, exec, s[26:27]
	v_cmp_gt_i64_e32 vcc, s[12:13], v[32:33]
	s_mov_b32 s7, 0
	v_mov_b32_e32 v53, s7
	v_cndmask_b32_e64 v52, 0, 1, vcc
.LBB544_52:
	s_or_b64 exec, exec, s[18:19]
.LBB544_53:
	v_mul_lo_u32 v1, v21, s12
	v_mul_lo_u32 v30, v20, s13
	v_mad_u64_u32 v[26:27], s[18:19], v20, s12, 0
	v_add3_u32 v27, v27, v30, v1
	s_and_b64 vcc, exec, s[2:3]
	v_lshl_add_u64 v[26:27], v[26:27], 3, s[14:15]
	s_cbranch_vccnz .LBB544_62
; %bb.54:
	global_load_dwordx2 v[30:31], v[28:29], off
	global_load_dwordx2 v[32:33], v[26:27], off
	v_mov_b64_e32 v[46:47], 1
	s_waitcnt vmcnt(0)
	v_cmp_eq_u64_e32 vcc, v[30:31], v[32:33]
	s_and_saveexec_b64 s[18:19], vcc
	s_cbranch_execz .LBB544_61
; %bb.55:
	s_add_u32 s24, s12, -1
	v_lshl_add_u64 v[30:31], v[26:27], 0, 8
	v_lshl_add_u64 v[28:29], v[28:29], 0, 8
	s_addc_u32 s25, s13, -1
	s_mov_b64 s[26:27], 0
	s_mov_b64 s[30:31], 0
                                        ; implicit-def: $sgpr28_sgpr29
	s_branch .LBB544_58
.LBB544_56:                             ;   in Loop: Header=BB544_58 Depth=1
	global_load_dwordx2 v[32:33], v[28:29], off
	global_load_dwordx2 v[34:35], v[30:31], off
	s_add_u32 s30, s30, 1
	s_addc_u32 s31, s31, 0
	s_andn2_b64 s[28:29], s[28:29], exec
	v_lshl_add_u64 v[30:31], v[30:31], 0, 8
	v_lshl_add_u64 v[28:29], v[28:29], 0, 8
	s_waitcnt vmcnt(0)
	v_cmp_ne_u64_e32 vcc, v[32:33], v[34:35]
	s_and_b64 s[34:35], vcc, exec
	s_or_b64 s[28:29], s[28:29], s[34:35]
.LBB544_57:                             ;   in Loop: Header=BB544_58 Depth=1
	s_and_b64 s[34:35], exec, s[28:29]
	s_or_b64 s[26:27], s[34:35], s[26:27]
	v_mov_b64_e32 v[32:33], s[30:31]
	s_andn2_b64 exec, exec, s[26:27]
	s_cbranch_execz .LBB544_60
.LBB544_58:                             ; =>This Inner Loop Header: Depth=1
	s_or_b64 s[28:29], s[28:29], exec
	s_cmp_eq_u64 s[24:25], s[30:31]
	s_cbranch_scc0 .LBB544_56
; %bb.59:                               ;   in Loop: Header=BB544_58 Depth=1
                                        ; implicit-def: $vgpr30_vgpr31
                                        ; implicit-def: $vgpr28_vgpr29
	s_mov_b64 s[30:31], s[12:13]
	s_branch .LBB544_57
.LBB544_60:
	s_or_b64 exec, exec, s[26:27]
	v_cmp_gt_i64_e32 vcc, s[12:13], v[32:33]
	s_mov_b32 s7, 0
	v_mov_b32_e32 v47, s7
	v_cndmask_b32_e64 v46, 0, 1, vcc
.LBB544_61:
	s_or_b64 exec, exec, s[18:19]
.LBB544_62:
	v_mul_lo_u32 v1, v19, s12
	v_mul_lo_u32 v30, v18, s13
	v_mad_u64_u32 v[28:29], s[18:19], v18, s12, 0
	v_add3_u32 v29, v29, v30, v1
	v_mov_b64_e32 v[56:57], 0
	s_and_b64 vcc, exec, s[2:3]
	v_lshl_add_u64 v[28:29], v[28:29], 3, s[14:15]
	v_mov_b64_e32 v[54:55], v[56:57]
	s_cbranch_vccnz .LBB544_71
; %bb.63:
	global_load_dwordx2 v[30:31], v[26:27], off
	global_load_dwordx2 v[32:33], v[28:29], off
	v_mov_b64_e32 v[54:55], 1
	s_waitcnt vmcnt(0)
	v_cmp_eq_u64_e32 vcc, v[30:31], v[32:33]
	s_and_saveexec_b64 s[18:19], vcc
	s_cbranch_execz .LBB544_70
; %bb.64:
	s_add_u32 s24, s12, -1
	v_lshl_add_u64 v[30:31], v[28:29], 0, 8
	v_lshl_add_u64 v[26:27], v[26:27], 0, 8
	s_addc_u32 s25, s13, -1
	s_mov_b64 s[26:27], 0
	s_mov_b64 s[30:31], 0
                                        ; implicit-def: $sgpr28_sgpr29
	s_branch .LBB544_67
.LBB544_65:                             ;   in Loop: Header=BB544_67 Depth=1
	global_load_dwordx2 v[32:33], v[26:27], off
	global_load_dwordx2 v[34:35], v[30:31], off
	s_add_u32 s30, s30, 1
	s_addc_u32 s31, s31, 0
	s_andn2_b64 s[28:29], s[28:29], exec
	v_lshl_add_u64 v[30:31], v[30:31], 0, 8
	v_lshl_add_u64 v[26:27], v[26:27], 0, 8
	s_waitcnt vmcnt(0)
	v_cmp_ne_u64_e32 vcc, v[32:33], v[34:35]
	s_and_b64 s[34:35], vcc, exec
	s_or_b64 s[28:29], s[28:29], s[34:35]
.LBB544_66:                             ;   in Loop: Header=BB544_67 Depth=1
	s_and_b64 s[34:35], exec, s[28:29]
	s_or_b64 s[26:27], s[34:35], s[26:27]
	v_mov_b64_e32 v[32:33], s[30:31]
	s_andn2_b64 exec, exec, s[26:27]
	s_cbranch_execz .LBB544_69
.LBB544_67:                             ; =>This Inner Loop Header: Depth=1
	s_or_b64 s[28:29], s[28:29], exec
	s_cmp_eq_u64 s[24:25], s[30:31]
	s_cbranch_scc0 .LBB544_65
; %bb.68:                               ;   in Loop: Header=BB544_67 Depth=1
                                        ; implicit-def: $vgpr30_vgpr31
                                        ; implicit-def: $vgpr26_vgpr27
	s_mov_b64 s[30:31], s[12:13]
	s_branch .LBB544_66
.LBB544_69:
	s_or_b64 exec, exec, s[26:27]
	v_cmp_gt_i64_e32 vcc, s[12:13], v[32:33]
	s_mov_b32 s7, 0
	v_mov_b32_e32 v55, s7
	v_cndmask_b32_e64 v54, 0, 1, vcc
.LBB544_70:
	s_or_b64 exec, exec, s[18:19]
.LBB544_71:
	v_mul_lo_u32 v1, v17, s12
	v_mul_lo_u32 v30, v16, s13
	v_mad_u64_u32 v[26:27], s[18:19], v16, s12, 0
	v_add3_u32 v27, v27, v30, v1
	s_and_b64 vcc, exec, s[2:3]
	v_lshl_add_u64 v[26:27], v[26:27], 3, s[14:15]
	s_cbranch_vccnz .LBB544_80
; %bb.72:
	global_load_dwordx2 v[30:31], v[28:29], off
	global_load_dwordx2 v[32:33], v[26:27], off
	v_mov_b64_e32 v[56:57], 1
	s_waitcnt vmcnt(0)
	v_cmp_eq_u64_e32 vcc, v[30:31], v[32:33]
	s_and_saveexec_b64 s[18:19], vcc
	s_cbranch_execz .LBB544_79
; %bb.73:
	s_add_u32 s24, s12, -1
	v_lshl_add_u64 v[30:31], v[26:27], 0, 8
	v_lshl_add_u64 v[28:29], v[28:29], 0, 8
	s_addc_u32 s25, s13, -1
	s_mov_b64 s[26:27], 0
	s_mov_b64 s[30:31], 0
                                        ; implicit-def: $sgpr28_sgpr29
	s_branch .LBB544_76
.LBB544_74:                             ;   in Loop: Header=BB544_76 Depth=1
	global_load_dwordx2 v[32:33], v[28:29], off
	global_load_dwordx2 v[34:35], v[30:31], off
	s_add_u32 s30, s30, 1
	s_addc_u32 s31, s31, 0
	s_andn2_b64 s[28:29], s[28:29], exec
	v_lshl_add_u64 v[30:31], v[30:31], 0, 8
	v_lshl_add_u64 v[28:29], v[28:29], 0, 8
	s_waitcnt vmcnt(0)
	v_cmp_ne_u64_e32 vcc, v[32:33], v[34:35]
	s_and_b64 s[34:35], vcc, exec
	s_or_b64 s[28:29], s[28:29], s[34:35]
.LBB544_75:                             ;   in Loop: Header=BB544_76 Depth=1
	s_and_b64 s[34:35], exec, s[28:29]
	s_or_b64 s[26:27], s[34:35], s[26:27]
	v_mov_b64_e32 v[32:33], s[30:31]
	s_andn2_b64 exec, exec, s[26:27]
	s_cbranch_execz .LBB544_78
.LBB544_76:                             ; =>This Inner Loop Header: Depth=1
	s_or_b64 s[28:29], s[28:29], exec
	s_cmp_eq_u64 s[24:25], s[30:31]
	s_cbranch_scc0 .LBB544_74
; %bb.77:                               ;   in Loop: Header=BB544_76 Depth=1
                                        ; implicit-def: $vgpr30_vgpr31
                                        ; implicit-def: $vgpr28_vgpr29
	s_mov_b64 s[30:31], s[12:13]
	s_branch .LBB544_75
.LBB544_78:
	s_or_b64 exec, exec, s[26:27]
	v_cmp_gt_i64_e32 vcc, s[12:13], v[32:33]
	s_mov_b32 s7, 0
	v_mov_b32_e32 v57, s7
	v_cndmask_b32_e64 v56, 0, 1, vcc
.LBB544_79:
	s_or_b64 exec, exec, s[18:19]
.LBB544_80:
	v_mul_lo_u32 v1, v15, s12
	v_mul_lo_u32 v30, v14, s13
	v_mad_u64_u32 v[28:29], s[18:19], v14, s12, 0
	v_add3_u32 v29, v29, v30, v1
	v_mov_b64_e32 v[60:61], 0
	s_and_b64 vcc, exec, s[2:3]
	v_lshl_add_u64 v[28:29], v[28:29], 3, s[14:15]
	v_mov_b64_e32 v[58:59], v[60:61]
	s_cbranch_vccnz .LBB544_89
; %bb.81:
	global_load_dwordx2 v[30:31], v[26:27], off
	global_load_dwordx2 v[32:33], v[28:29], off
	v_mov_b64_e32 v[58:59], 1
	s_waitcnt vmcnt(0)
	v_cmp_eq_u64_e32 vcc, v[30:31], v[32:33]
	s_and_saveexec_b64 s[18:19], vcc
	s_cbranch_execz .LBB544_88
; %bb.82:
	s_add_u32 s24, s12, -1
	v_lshl_add_u64 v[30:31], v[28:29], 0, 8
	v_lshl_add_u64 v[26:27], v[26:27], 0, 8
	s_addc_u32 s25, s13, -1
	s_mov_b64 s[26:27], 0
	s_mov_b64 s[30:31], 0
                                        ; implicit-def: $sgpr28_sgpr29
	s_branch .LBB544_85
.LBB544_83:                             ;   in Loop: Header=BB544_85 Depth=1
	global_load_dwordx2 v[32:33], v[26:27], off
	global_load_dwordx2 v[34:35], v[30:31], off
	s_add_u32 s30, s30, 1
	s_addc_u32 s31, s31, 0
	s_andn2_b64 s[28:29], s[28:29], exec
	v_lshl_add_u64 v[30:31], v[30:31], 0, 8
	v_lshl_add_u64 v[26:27], v[26:27], 0, 8
	s_waitcnt vmcnt(0)
	v_cmp_ne_u64_e32 vcc, v[32:33], v[34:35]
	s_and_b64 s[34:35], vcc, exec
	s_or_b64 s[28:29], s[28:29], s[34:35]
.LBB544_84:                             ;   in Loop: Header=BB544_85 Depth=1
	s_and_b64 s[34:35], exec, s[28:29]
	s_or_b64 s[26:27], s[34:35], s[26:27]
	v_mov_b64_e32 v[32:33], s[30:31]
	s_andn2_b64 exec, exec, s[26:27]
	s_cbranch_execz .LBB544_87
.LBB544_85:                             ; =>This Inner Loop Header: Depth=1
	s_or_b64 s[28:29], s[28:29], exec
	s_cmp_eq_u64 s[24:25], s[30:31]
	s_cbranch_scc0 .LBB544_83
; %bb.86:                               ;   in Loop: Header=BB544_85 Depth=1
                                        ; implicit-def: $vgpr30_vgpr31
                                        ; implicit-def: $vgpr26_vgpr27
	s_mov_b64 s[30:31], s[12:13]
	s_branch .LBB544_84
.LBB544_87:
	s_or_b64 exec, exec, s[26:27]
	v_cmp_gt_i64_e32 vcc, s[12:13], v[32:33]
	s_mov_b32 s7, 0
	v_mov_b32_e32 v59, s7
	v_cndmask_b32_e64 v58, 0, 1, vcc
.LBB544_88:
	s_or_b64 exec, exec, s[18:19]
.LBB544_89:
	v_mul_lo_u32 v1, v13, s12
	v_mul_lo_u32 v30, v12, s13
	v_mad_u64_u32 v[26:27], s[18:19], v12, s12, 0
	v_add3_u32 v27, v27, v30, v1
	s_and_b64 vcc, exec, s[2:3]
	v_lshl_add_u64 v[26:27], v[26:27], 3, s[14:15]
	s_cbranch_vccnz .LBB544_98
; %bb.90:
	global_load_dwordx2 v[30:31], v[28:29], off
	global_load_dwordx2 v[32:33], v[26:27], off
	v_mov_b64_e32 v[60:61], 1
	s_waitcnt vmcnt(0)
	v_cmp_eq_u64_e32 vcc, v[30:31], v[32:33]
	s_and_saveexec_b64 s[18:19], vcc
	s_cbranch_execz .LBB544_97
; %bb.91:
	s_add_u32 s24, s12, -1
	v_lshl_add_u64 v[30:31], v[26:27], 0, 8
	v_lshl_add_u64 v[28:29], v[28:29], 0, 8
	s_addc_u32 s25, s13, -1
	s_mov_b64 s[26:27], 0
	s_mov_b64 s[30:31], 0
                                        ; implicit-def: $sgpr28_sgpr29
	s_branch .LBB544_94
.LBB544_92:                             ;   in Loop: Header=BB544_94 Depth=1
	global_load_dwordx2 v[32:33], v[28:29], off
	global_load_dwordx2 v[34:35], v[30:31], off
	s_add_u32 s30, s30, 1
	s_addc_u32 s31, s31, 0
	s_andn2_b64 s[28:29], s[28:29], exec
	v_lshl_add_u64 v[30:31], v[30:31], 0, 8
	v_lshl_add_u64 v[28:29], v[28:29], 0, 8
	s_waitcnt vmcnt(0)
	v_cmp_ne_u64_e32 vcc, v[32:33], v[34:35]
	s_and_b64 s[34:35], vcc, exec
	s_or_b64 s[28:29], s[28:29], s[34:35]
.LBB544_93:                             ;   in Loop: Header=BB544_94 Depth=1
	s_and_b64 s[34:35], exec, s[28:29]
	s_or_b64 s[26:27], s[34:35], s[26:27]
	v_mov_b64_e32 v[32:33], s[30:31]
	s_andn2_b64 exec, exec, s[26:27]
	s_cbranch_execz .LBB544_96
.LBB544_94:                             ; =>This Inner Loop Header: Depth=1
	s_or_b64 s[28:29], s[28:29], exec
	s_cmp_eq_u64 s[24:25], s[30:31]
	s_cbranch_scc0 .LBB544_92
; %bb.95:                               ;   in Loop: Header=BB544_94 Depth=1
                                        ; implicit-def: $vgpr30_vgpr31
                                        ; implicit-def: $vgpr28_vgpr29
	s_mov_b64 s[30:31], s[12:13]
	s_branch .LBB544_93
.LBB544_96:
	s_or_b64 exec, exec, s[26:27]
	v_cmp_gt_i64_e32 vcc, s[12:13], v[32:33]
	s_mov_b32 s7, 0
	v_mov_b32_e32 v61, s7
	v_cndmask_b32_e64 v60, 0, 1, vcc
.LBB544_97:
	s_or_b64 exec, exec, s[18:19]
.LBB544_98:
	v_mul_lo_u32 v1, v11, s12
	v_mul_lo_u32 v30, v10, s13
	v_mad_u64_u32 v[28:29], s[18:19], v10, s12, 0
	v_add3_u32 v29, v29, v30, v1
	v_mov_b64_e32 v[64:65], 0
	s_and_b64 vcc, exec, s[2:3]
	v_lshl_add_u64 v[28:29], v[28:29], 3, s[14:15]
	v_mov_b64_e32 v[62:63], v[64:65]
	s_cbranch_vccnz .LBB544_107
; %bb.99:
	global_load_dwordx2 v[30:31], v[26:27], off
	global_load_dwordx2 v[32:33], v[28:29], off
	v_mov_b64_e32 v[62:63], 1
	s_waitcnt vmcnt(0)
	v_cmp_eq_u64_e32 vcc, v[30:31], v[32:33]
	s_and_saveexec_b64 s[18:19], vcc
	s_cbranch_execz .LBB544_106
; %bb.100:
	s_add_u32 s24, s12, -1
	v_lshl_add_u64 v[30:31], v[28:29], 0, 8
	v_lshl_add_u64 v[26:27], v[26:27], 0, 8
	s_addc_u32 s25, s13, -1
	s_mov_b64 s[26:27], 0
	s_mov_b64 s[30:31], 0
                                        ; implicit-def: $sgpr28_sgpr29
	s_branch .LBB544_103
.LBB544_101:                            ;   in Loop: Header=BB544_103 Depth=1
	global_load_dwordx2 v[32:33], v[26:27], off
	global_load_dwordx2 v[34:35], v[30:31], off
	s_add_u32 s30, s30, 1
	s_addc_u32 s31, s31, 0
	s_andn2_b64 s[28:29], s[28:29], exec
	v_lshl_add_u64 v[30:31], v[30:31], 0, 8
	v_lshl_add_u64 v[26:27], v[26:27], 0, 8
	s_waitcnt vmcnt(0)
	v_cmp_ne_u64_e32 vcc, v[32:33], v[34:35]
	s_and_b64 s[34:35], vcc, exec
	s_or_b64 s[28:29], s[28:29], s[34:35]
.LBB544_102:                            ;   in Loop: Header=BB544_103 Depth=1
	s_and_b64 s[34:35], exec, s[28:29]
	s_or_b64 s[26:27], s[34:35], s[26:27]
	v_mov_b64_e32 v[32:33], s[30:31]
	s_andn2_b64 exec, exec, s[26:27]
	s_cbranch_execz .LBB544_105
.LBB544_103:                            ; =>This Inner Loop Header: Depth=1
	s_or_b64 s[28:29], s[28:29], exec
	s_cmp_eq_u64 s[24:25], s[30:31]
	s_cbranch_scc0 .LBB544_101
; %bb.104:                              ;   in Loop: Header=BB544_103 Depth=1
                                        ; implicit-def: $vgpr30_vgpr31
                                        ; implicit-def: $vgpr26_vgpr27
	s_mov_b64 s[30:31], s[12:13]
	s_branch .LBB544_102
.LBB544_105:
	s_or_b64 exec, exec, s[26:27]
	v_cmp_gt_i64_e32 vcc, s[12:13], v[32:33]
	s_mov_b32 s7, 0
	v_mov_b32_e32 v63, s7
	v_cndmask_b32_e64 v62, 0, 1, vcc
.LBB544_106:
	s_or_b64 exec, exec, s[18:19]
.LBB544_107:
	v_mul_lo_u32 v1, v9, s12
	v_mul_lo_u32 v30, v8, s13
	v_mad_u64_u32 v[26:27], s[18:19], v8, s12, 0
	v_add3_u32 v27, v27, v30, v1
	s_and_b64 vcc, exec, s[2:3]
	v_lshl_add_u64 v[26:27], v[26:27], 3, s[14:15]
	s_cbranch_vccnz .LBB544_116
; %bb.108:
	global_load_dwordx2 v[30:31], v[28:29], off
	global_load_dwordx2 v[32:33], v[26:27], off
	v_mov_b64_e32 v[64:65], 1
	s_waitcnt vmcnt(0)
	v_cmp_eq_u64_e32 vcc, v[30:31], v[32:33]
	s_and_saveexec_b64 s[18:19], vcc
	s_cbranch_execz .LBB544_115
; %bb.109:
	s_add_u32 s24, s12, -1
	v_lshl_add_u64 v[30:31], v[26:27], 0, 8
	v_lshl_add_u64 v[28:29], v[28:29], 0, 8
	s_addc_u32 s25, s13, -1
	s_mov_b64 s[26:27], 0
	s_mov_b64 s[30:31], 0
                                        ; implicit-def: $sgpr28_sgpr29
	s_branch .LBB544_112
.LBB544_110:                            ;   in Loop: Header=BB544_112 Depth=1
	global_load_dwordx2 v[32:33], v[28:29], off
	global_load_dwordx2 v[34:35], v[30:31], off
	s_add_u32 s30, s30, 1
	s_addc_u32 s31, s31, 0
	s_andn2_b64 s[28:29], s[28:29], exec
	v_lshl_add_u64 v[30:31], v[30:31], 0, 8
	v_lshl_add_u64 v[28:29], v[28:29], 0, 8
	s_waitcnt vmcnt(0)
	v_cmp_ne_u64_e32 vcc, v[32:33], v[34:35]
	s_and_b64 s[34:35], vcc, exec
	s_or_b64 s[28:29], s[28:29], s[34:35]
.LBB544_111:                            ;   in Loop: Header=BB544_112 Depth=1
	s_and_b64 s[34:35], exec, s[28:29]
	s_or_b64 s[26:27], s[34:35], s[26:27]
	v_mov_b64_e32 v[32:33], s[30:31]
	s_andn2_b64 exec, exec, s[26:27]
	s_cbranch_execz .LBB544_114
.LBB544_112:                            ; =>This Inner Loop Header: Depth=1
	s_or_b64 s[28:29], s[28:29], exec
	s_cmp_eq_u64 s[24:25], s[30:31]
	s_cbranch_scc0 .LBB544_110
; %bb.113:                              ;   in Loop: Header=BB544_112 Depth=1
                                        ; implicit-def: $vgpr30_vgpr31
                                        ; implicit-def: $vgpr28_vgpr29
	s_mov_b64 s[30:31], s[12:13]
	s_branch .LBB544_111
.LBB544_114:
	s_or_b64 exec, exec, s[26:27]
	v_cmp_gt_i64_e32 vcc, s[12:13], v[32:33]
	s_mov_b32 s7, 0
	v_mov_b32_e32 v65, s7
	v_cndmask_b32_e64 v64, 0, 1, vcc
.LBB544_115:
	s_or_b64 exec, exec, s[18:19]
.LBB544_116:
	v_mul_lo_u32 v1, v7, s12
	v_mul_lo_u32 v30, v6, s13
	v_mad_u64_u32 v[28:29], s[18:19], v6, s12, 0
	v_add3_u32 v29, v29, v30, v1
	v_mov_b64_e32 v[68:69], 0
	s_and_b64 vcc, exec, s[2:3]
	v_lshl_add_u64 v[28:29], v[28:29], 3, s[14:15]
	v_mov_b64_e32 v[66:67], v[68:69]
	s_cbranch_vccnz .LBB544_125
; %bb.117:
	global_load_dwordx2 v[30:31], v[26:27], off
	global_load_dwordx2 v[32:33], v[28:29], off
	v_mov_b64_e32 v[66:67], 1
	s_waitcnt vmcnt(0)
	v_cmp_eq_u64_e32 vcc, v[30:31], v[32:33]
	s_and_saveexec_b64 s[18:19], vcc
	s_cbranch_execz .LBB544_124
; %bb.118:
	s_add_u32 s24, s12, -1
	v_lshl_add_u64 v[30:31], v[28:29], 0, 8
	v_lshl_add_u64 v[26:27], v[26:27], 0, 8
	s_addc_u32 s25, s13, -1
	s_mov_b64 s[26:27], 0
	s_mov_b64 s[30:31], 0
                                        ; implicit-def: $sgpr28_sgpr29
	s_branch .LBB544_121
.LBB544_119:                            ;   in Loop: Header=BB544_121 Depth=1
	global_load_dwordx2 v[32:33], v[26:27], off
	global_load_dwordx2 v[34:35], v[30:31], off
	s_add_u32 s30, s30, 1
	s_addc_u32 s31, s31, 0
	s_andn2_b64 s[28:29], s[28:29], exec
	v_lshl_add_u64 v[30:31], v[30:31], 0, 8
	v_lshl_add_u64 v[26:27], v[26:27], 0, 8
	s_waitcnt vmcnt(0)
	v_cmp_ne_u64_e32 vcc, v[32:33], v[34:35]
	s_and_b64 s[34:35], vcc, exec
	s_or_b64 s[28:29], s[28:29], s[34:35]
.LBB544_120:                            ;   in Loop: Header=BB544_121 Depth=1
	s_and_b64 s[34:35], exec, s[28:29]
	s_or_b64 s[26:27], s[34:35], s[26:27]
	v_mov_b64_e32 v[32:33], s[30:31]
	s_andn2_b64 exec, exec, s[26:27]
	s_cbranch_execz .LBB544_123
.LBB544_121:                            ; =>This Inner Loop Header: Depth=1
	s_or_b64 s[28:29], s[28:29], exec
	s_cmp_eq_u64 s[24:25], s[30:31]
	s_cbranch_scc0 .LBB544_119
; %bb.122:                              ;   in Loop: Header=BB544_121 Depth=1
                                        ; implicit-def: $vgpr30_vgpr31
                                        ; implicit-def: $vgpr26_vgpr27
	s_mov_b64 s[30:31], s[12:13]
	s_branch .LBB544_120
.LBB544_123:
	s_or_b64 exec, exec, s[26:27]
	v_cmp_gt_i64_e32 vcc, s[12:13], v[32:33]
	s_mov_b32 s7, 0
	v_mov_b32_e32 v67, s7
	v_cndmask_b32_e64 v66, 0, 1, vcc
.LBB544_124:
	s_or_b64 exec, exec, s[18:19]
.LBB544_125:
	v_mul_lo_u32 v1, v5, s12
	v_mul_lo_u32 v30, v4, s13
	v_mad_u64_u32 v[26:27], s[18:19], v4, s12, 0
	v_add3_u32 v27, v27, v30, v1
	s_and_b64 vcc, exec, s[2:3]
	v_lshl_add_u64 v[26:27], v[26:27], 3, s[14:15]
	s_cbranch_vccnz .LBB544_134
; %bb.126:
	global_load_dwordx2 v[30:31], v[28:29], off
	global_load_dwordx2 v[32:33], v[26:27], off
	v_mov_b64_e32 v[68:69], 1
	s_waitcnt vmcnt(0)
	v_cmp_eq_u64_e32 vcc, v[30:31], v[32:33]
	s_and_saveexec_b64 s[18:19], vcc
	s_cbranch_execz .LBB544_133
; %bb.127:
	s_add_u32 s24, s12, -1
	v_lshl_add_u64 v[30:31], v[26:27], 0, 8
	v_lshl_add_u64 v[28:29], v[28:29], 0, 8
	s_addc_u32 s25, s13, -1
	s_mov_b64 s[26:27], 0
	s_mov_b64 s[30:31], 0
                                        ; implicit-def: $sgpr28_sgpr29
	s_branch .LBB544_130
.LBB544_128:                            ;   in Loop: Header=BB544_130 Depth=1
	global_load_dwordx2 v[32:33], v[28:29], off
	global_load_dwordx2 v[34:35], v[30:31], off
	s_add_u32 s30, s30, 1
	s_addc_u32 s31, s31, 0
	s_andn2_b64 s[28:29], s[28:29], exec
	v_lshl_add_u64 v[30:31], v[30:31], 0, 8
	v_lshl_add_u64 v[28:29], v[28:29], 0, 8
	s_waitcnt vmcnt(0)
	v_cmp_ne_u64_e32 vcc, v[32:33], v[34:35]
	s_and_b64 s[34:35], vcc, exec
	s_or_b64 s[28:29], s[28:29], s[34:35]
.LBB544_129:                            ;   in Loop: Header=BB544_130 Depth=1
	s_and_b64 s[34:35], exec, s[28:29]
	s_or_b64 s[26:27], s[34:35], s[26:27]
	v_mov_b64_e32 v[32:33], s[30:31]
	s_andn2_b64 exec, exec, s[26:27]
	s_cbranch_execz .LBB544_132
.LBB544_130:                            ; =>This Inner Loop Header: Depth=1
	s_or_b64 s[28:29], s[28:29], exec
	s_cmp_eq_u64 s[24:25], s[30:31]
	s_cbranch_scc0 .LBB544_128
; %bb.131:                              ;   in Loop: Header=BB544_130 Depth=1
                                        ; implicit-def: $vgpr30_vgpr31
                                        ; implicit-def: $vgpr28_vgpr29
	s_mov_b64 s[30:31], s[12:13]
	s_branch .LBB544_129
.LBB544_132:
	s_or_b64 exec, exec, s[26:27]
	v_cmp_gt_i64_e32 vcc, s[12:13], v[32:33]
	s_mov_b32 s7, 0
	v_mov_b32_e32 v69, s7
	v_cndmask_b32_e64 v68, 0, 1, vcc
.LBB544_133:
	s_or_b64 exec, exec, s[18:19]
.LBB544_134:
	s_and_b64 vcc, exec, s[2:3]
	s_cbranch_vccnz .LBB544_141
; %bb.135:
	v_mul_lo_u32 v1, v3, s12
	v_mul_lo_u32 v30, v2, s13
	v_mad_u64_u32 v[28:29], s[18:19], v2, s12, 0
	v_add3_u32 v29, v29, v30, v1
	v_lshl_add_u64 v[28:29], v[28:29], 3, s[14:15]
	global_load_dwordx2 v[30:31], v[26:27], off
	global_load_dwordx2 v[32:33], v[28:29], off
	v_mov_b64_e32 v[70:71], 1
	s_waitcnt vmcnt(0)
	v_cmp_eq_u64_e32 vcc, v[30:31], v[32:33]
	s_and_saveexec_b64 s[18:19], vcc
	s_cbranch_execz .LBB544_143
; %bb.136:
	s_add_u32 s24, s12, -1
	v_lshl_add_u64 v[28:29], v[28:29], 0, 8
	v_lshl_add_u64 v[26:27], v[26:27], 0, 8
	s_addc_u32 s25, s13, -1
	s_mov_b64 s[26:27], 0
	s_mov_b64 s[30:31], 0
                                        ; implicit-def: $sgpr28_sgpr29
	s_branch .LBB544_139
.LBB544_137:                            ;   in Loop: Header=BB544_139 Depth=1
	global_load_dwordx2 v[30:31], v[26:27], off
	global_load_dwordx2 v[32:33], v[28:29], off
	s_add_u32 s30, s30, 1
	s_addc_u32 s31, s31, 0
	s_andn2_b64 s[28:29], s[28:29], exec
	v_lshl_add_u64 v[28:29], v[28:29], 0, 8
	v_lshl_add_u64 v[26:27], v[26:27], 0, 8
	s_waitcnt vmcnt(0)
	v_cmp_ne_u64_e32 vcc, v[30:31], v[32:33]
	s_and_b64 s[34:35], vcc, exec
	s_or_b64 s[28:29], s[28:29], s[34:35]
.LBB544_138:                            ;   in Loop: Header=BB544_139 Depth=1
	s_and_b64 s[34:35], exec, s[28:29]
	s_or_b64 s[26:27], s[34:35], s[26:27]
	v_mov_b64_e32 v[30:31], s[30:31]
	s_andn2_b64 exec, exec, s[26:27]
	s_cbranch_execz .LBB544_142
.LBB544_139:                            ; =>This Inner Loop Header: Depth=1
	s_or_b64 s[28:29], s[28:29], exec
	s_cmp_eq_u64 s[24:25], s[30:31]
	s_cbranch_scc0 .LBB544_137
; %bb.140:                              ;   in Loop: Header=BB544_139 Depth=1
                                        ; implicit-def: $vgpr28_vgpr29
                                        ; implicit-def: $vgpr26_vgpr27
	s_mov_b64 s[30:31], s[12:13]
	s_branch .LBB544_138
.LBB544_141:
	v_mov_b64_e32 v[70:71], 0
	s_branch .LBB544_144
.LBB544_142:
	s_or_b64 exec, exec, s[26:27]
	v_cmp_gt_i64_e32 vcc, s[12:13], v[30:31]
	s_mov_b32 s7, 0
	v_mov_b32_e32 v71, s7
	v_cndmask_b32_e64 v70, 0, 1, vcc
.LBB544_143:
	s_or_b64 exec, exec, s[18:19]
.LBB544_144:
	v_cmp_ne_u32_e32 vcc, 0, v0
	s_waitcnt lgkmcnt(0)
	v_mov_b64_e32 v[26:27], s[20:21]
	s_waitcnt lgkmcnt(0)
	; wave barrier
	s_and_saveexec_b64 s[18:19], vcc
	s_cbranch_execz .LBB544_146
; %bb.145:
	v_add_u32_e32 v1, -8, v48
	ds_read_b64 v[26:27], v1
.LBB544_146:
	s_or_b64 exec, exec, s[18:19]
	s_mov_b64 s[26:27], 0
	s_and_b64 vcc, exec, s[2:3]
	s_mov_b64 s[24:25], 0
	s_cbranch_vccnz .LBB544_155
; %bb.147:
	v_mul_lo_u32 v1, v3, s12
	v_mul_lo_u32 v30, v2, s13
	v_mad_u64_u32 v[28:29], s[2:3], v2, s12, 0
	v_add3_u32 v29, v29, v30, v1
	s_waitcnt lgkmcnt(0)
	v_mul_lo_u32 v1, v27, s12
	v_mul_lo_u32 v30, v26, s13
	v_mad_u64_u32 v[26:27], s[2:3], v26, s12, 0
	v_add3_u32 v27, v27, v30, v1
	v_lshl_add_u64 v[28:29], v[28:29], 3, s[14:15]
	v_lshl_add_u64 v[26:27], v[26:27], 3, s[14:15]
	global_load_dwordx2 v[30:31], v[28:29], off
	global_load_dwordx2 v[32:33], v[26:27], off
	s_mov_b64 s[24:25], -1
	s_waitcnt vmcnt(0)
	v_cmp_eq_u64_e32 vcc, v[30:31], v[32:33]
	s_and_saveexec_b64 s[2:3], vcc
	s_cbranch_execz .LBB544_154
; %bb.148:
	s_add_u32 s18, s12, -1
	v_lshl_add_u64 v[26:27], v[26:27], 0, 8
	v_lshl_add_u64 v[28:29], v[28:29], 0, 8
	s_addc_u32 s19, s13, -1
	s_mov_b64 s[24:25], 0
	s_mov_b64 s[30:31], 0
                                        ; implicit-def: $sgpr28_sgpr29
	s_branch .LBB544_151
.LBB544_149:                            ;   in Loop: Header=BB544_151 Depth=1
	global_load_dwordx2 v[30:31], v[28:29], off
	global_load_dwordx2 v[32:33], v[26:27], off
	s_add_u32 s30, s30, 1
	s_addc_u32 s31, s31, 0
	s_andn2_b64 s[28:29], s[28:29], exec
	v_lshl_add_u64 v[26:27], v[26:27], 0, 8
	v_lshl_add_u64 v[28:29], v[28:29], 0, 8
	s_waitcnt vmcnt(0)
	v_cmp_ne_u64_e32 vcc, v[30:31], v[32:33]
	s_and_b64 s[34:35], vcc, exec
	s_or_b64 s[28:29], s[28:29], s[34:35]
.LBB544_150:                            ;   in Loop: Header=BB544_151 Depth=1
	s_and_b64 s[34:35], exec, s[28:29]
	s_or_b64 s[24:25], s[34:35], s[24:25]
	v_mov_b64_e32 v[30:31], s[30:31]
	s_andn2_b64 exec, exec, s[24:25]
	s_cbranch_execz .LBB544_153
.LBB544_151:                            ; =>This Inner Loop Header: Depth=1
	s_or_b64 s[28:29], s[28:29], exec
	s_cmp_eq_u64 s[18:19], s[30:31]
	s_cbranch_scc0 .LBB544_149
; %bb.152:                              ;   in Loop: Header=BB544_151 Depth=1
                                        ; implicit-def: $vgpr26_vgpr27
                                        ; implicit-def: $vgpr28_vgpr29
	s_mov_b64 s[30:31], s[12:13]
	s_branch .LBB544_150
.LBB544_153:
	s_or_b64 exec, exec, s[24:25]
	v_cmp_gt_i64_e32 vcc, s[12:13], v[30:31]
	s_orn2_b64 s[24:25], vcc, exec
.LBB544_154:
	s_or_b64 exec, exec, s[2:3]
.LBB544_155:
	s_mov_b64 s[18:19], -1
	s_and_b64 vcc, exec, s[26:27]
	s_cbranch_vccz .LBB544_41
.LBB544_156:
	s_mul_i32 s7, s22, 0xfffffcc0
	s_add_i32 s7, s7, s10
	s_waitcnt lgkmcnt(0)
	v_mad_u32_u24 v26, v0, 13, 12
	v_cmp_gt_i64_e64 s[2:3], s[12:13], 0
	v_cmp_gt_u32_e32 vcc, s7, v26
	v_mul_u32_u24_e32 v1, 13, v0
	v_cndmask_b32_e64 v26, 0, 1, s[2:3]
	v_cmp_ne_u32_e64 s[2:3], 1, v26
	v_mov_b64_e32 v[50:51], v[44:45]
	ds_write_b64 v48, v[44:45]
	s_and_saveexec_b64 s[22:23], vcc
	s_cbranch_execz .LBB544_167
; %bb.157:
	s_and_b64 vcc, exec, s[2:3]
	s_cbranch_vccnz .LBB544_164
; %bb.158:
	v_mul_lo_u32 v28, v45, s12
	v_mul_lo_u32 v29, v44, s13
	v_mad_u64_u32 v[26:27], s[24:25], v44, s12, 0
	v_add3_u32 v27, v27, v29, v28
	v_mul_lo_u32 v28, v25, s12
	v_mul_lo_u32 v29, v24, s13
	v_mad_u64_u32 v[30:31], s[24:25], v24, s12, 0
	v_add3_u32 v31, v31, v29, v28
	v_lshl_add_u64 v[28:29], v[26:27], 3, s[14:15]
	v_lshl_add_u64 v[26:27], v[30:31], 3, s[14:15]
	global_load_dwordx2 v[30:31], v[28:29], off
	global_load_dwordx2 v[32:33], v[26:27], off
	v_mov_b64_e32 v[50:51], 1
	s_waitcnt vmcnt(0)
	v_cmp_eq_u64_e32 vcc, v[30:31], v[32:33]
	s_and_saveexec_b64 s[24:25], vcc
	s_cbranch_execz .LBB544_166
; %bb.159:
	s_add_u32 s26, s12, -1
	v_lshl_add_u64 v[26:27], v[26:27], 0, 8
	v_lshl_add_u64 v[28:29], v[28:29], 0, 8
	s_addc_u32 s27, s13, -1
	s_mov_b64 s[28:29], 0
	s_mov_b64 s[34:35], 0
                                        ; implicit-def: $sgpr30_sgpr31
	s_branch .LBB544_162
.LBB544_160:                            ;   in Loop: Header=BB544_162 Depth=1
	global_load_dwordx2 v[30:31], v[28:29], off
	global_load_dwordx2 v[32:33], v[26:27], off
	s_add_u32 s34, s34, 1
	s_addc_u32 s35, s35, 0
	s_andn2_b64 s[30:31], s[30:31], exec
	v_lshl_add_u64 v[26:27], v[26:27], 0, 8
	v_lshl_add_u64 v[28:29], v[28:29], 0, 8
	s_waitcnt vmcnt(0)
	v_cmp_ne_u64_e32 vcc, v[30:31], v[32:33]
	s_and_b64 s[36:37], vcc, exec
	s_or_b64 s[30:31], s[30:31], s[36:37]
.LBB544_161:                            ;   in Loop: Header=BB544_162 Depth=1
	s_and_b64 s[36:37], exec, s[30:31]
	s_or_b64 s[28:29], s[36:37], s[28:29]
	v_mov_b64_e32 v[30:31], s[34:35]
	s_andn2_b64 exec, exec, s[28:29]
	s_cbranch_execz .LBB544_165
.LBB544_162:                            ; =>This Inner Loop Header: Depth=1
	s_or_b64 s[30:31], s[30:31], exec
	s_cmp_eq_u64 s[26:27], s[34:35]
	s_cbranch_scc0 .LBB544_160
; %bb.163:                              ;   in Loop: Header=BB544_162 Depth=1
                                        ; implicit-def: $vgpr26_vgpr27
                                        ; implicit-def: $vgpr28_vgpr29
	s_mov_b64 s[34:35], s[12:13]
	s_branch .LBB544_161
.LBB544_164:
	v_mov_b64_e32 v[50:51], 0
	s_branch .LBB544_167
.LBB544_165:
	s_or_b64 exec, exec, s[28:29]
	v_cmp_gt_i64_e32 vcc, s[12:13], v[30:31]
	s_mov_b32 s26, 0
	v_mov_b32_e32 v51, s26
	v_cndmask_b32_e64 v50, 0, 1, vcc
.LBB544_166:
	s_or_b64 exec, exec, s[24:25]
.LBB544_167:
	s_or_b64 exec, exec, s[22:23]
	v_add_u32_e32 v26, 11, v1
	v_cmp_gt_u32_e32 vcc, s7, v26
	v_mov_b64_e32 v[52:53], v[24:25]
	s_and_saveexec_b64 s[22:23], vcc
	s_cbranch_execz .LBB544_178
; %bb.168:
	s_and_b64 vcc, exec, s[2:3]
	s_cbranch_vccnz .LBB544_175
; %bb.169:
	v_mul_lo_u32 v28, v25, s12
	v_mul_lo_u32 v29, v24, s13
	v_mad_u64_u32 v[26:27], s[24:25], v24, s12, 0
	v_add3_u32 v27, v27, v29, v28
	v_mul_lo_u32 v28, v23, s12
	v_mul_lo_u32 v29, v22, s13
	v_mad_u64_u32 v[30:31], s[24:25], v22, s12, 0
	v_add3_u32 v31, v31, v29, v28
	v_lshl_add_u64 v[28:29], v[26:27], 3, s[14:15]
	v_lshl_add_u64 v[26:27], v[30:31], 3, s[14:15]
	global_load_dwordx2 v[30:31], v[28:29], off
	global_load_dwordx2 v[32:33], v[26:27], off
	v_mov_b64_e32 v[52:53], 1
	s_waitcnt vmcnt(0)
	v_cmp_eq_u64_e32 vcc, v[30:31], v[32:33]
	s_and_saveexec_b64 s[24:25], vcc
	s_cbranch_execz .LBB544_177
; %bb.170:
	s_add_u32 s26, s12, -1
	v_lshl_add_u64 v[26:27], v[26:27], 0, 8
	v_lshl_add_u64 v[28:29], v[28:29], 0, 8
	s_addc_u32 s27, s13, -1
	s_mov_b64 s[28:29], 0
	s_mov_b64 s[34:35], 0
                                        ; implicit-def: $sgpr30_sgpr31
	s_branch .LBB544_173
.LBB544_171:                            ;   in Loop: Header=BB544_173 Depth=1
	global_load_dwordx2 v[30:31], v[28:29], off
	global_load_dwordx2 v[32:33], v[26:27], off
	s_add_u32 s34, s34, 1
	s_addc_u32 s35, s35, 0
	s_andn2_b64 s[30:31], s[30:31], exec
	v_lshl_add_u64 v[26:27], v[26:27], 0, 8
	v_lshl_add_u64 v[28:29], v[28:29], 0, 8
	s_waitcnt vmcnt(0)
	v_cmp_ne_u64_e32 vcc, v[30:31], v[32:33]
	s_and_b64 s[36:37], vcc, exec
	s_or_b64 s[30:31], s[30:31], s[36:37]
.LBB544_172:                            ;   in Loop: Header=BB544_173 Depth=1
	s_and_b64 s[36:37], exec, s[30:31]
	s_or_b64 s[28:29], s[36:37], s[28:29]
	v_mov_b64_e32 v[30:31], s[34:35]
	s_andn2_b64 exec, exec, s[28:29]
	s_cbranch_execz .LBB544_176
.LBB544_173:                            ; =>This Inner Loop Header: Depth=1
	s_or_b64 s[30:31], s[30:31], exec
	s_cmp_eq_u64 s[26:27], s[34:35]
	s_cbranch_scc0 .LBB544_171
; %bb.174:                              ;   in Loop: Header=BB544_173 Depth=1
                                        ; implicit-def: $vgpr26_vgpr27
                                        ; implicit-def: $vgpr28_vgpr29
	s_mov_b64 s[34:35], s[12:13]
	s_branch .LBB544_172
.LBB544_175:
	v_mov_b64_e32 v[52:53], 0
	s_branch .LBB544_178
.LBB544_176:
	s_or_b64 exec, exec, s[28:29]
	v_cmp_gt_i64_e32 vcc, s[12:13], v[30:31]
	s_mov_b32 s26, 0
	v_mov_b32_e32 v53, s26
	v_cndmask_b32_e64 v52, 0, 1, vcc
.LBB544_177:
	s_or_b64 exec, exec, s[24:25]
.LBB544_178:
	s_or_b64 exec, exec, s[22:23]
	v_add_u32_e32 v26, 10, v1
	v_cmp_gt_u32_e32 vcc, s7, v26
	v_mov_b64_e32 v[46:47], v[22:23]
	s_and_saveexec_b64 s[22:23], vcc
	s_cbranch_execz .LBB544_189
; %bb.179:
	s_and_b64 vcc, exec, s[2:3]
	s_cbranch_vccnz .LBB544_186
; %bb.180:
	v_mul_lo_u32 v28, v23, s12
	v_mul_lo_u32 v29, v22, s13
	v_mad_u64_u32 v[26:27], s[24:25], v22, s12, 0
	v_add3_u32 v27, v27, v29, v28
	v_mul_lo_u32 v28, v21, s12
	v_mul_lo_u32 v29, v20, s13
	v_mad_u64_u32 v[30:31], s[24:25], v20, s12, 0
	v_add3_u32 v31, v31, v29, v28
	v_lshl_add_u64 v[28:29], v[26:27], 3, s[14:15]
	v_lshl_add_u64 v[26:27], v[30:31], 3, s[14:15]
	global_load_dwordx2 v[30:31], v[28:29], off
	global_load_dwordx2 v[32:33], v[26:27], off
	v_mov_b64_e32 v[46:47], 1
	s_waitcnt vmcnt(0)
	v_cmp_eq_u64_e32 vcc, v[30:31], v[32:33]
	s_and_saveexec_b64 s[24:25], vcc
	s_cbranch_execz .LBB544_188
; %bb.181:
	s_add_u32 s26, s12, -1
	v_lshl_add_u64 v[26:27], v[26:27], 0, 8
	v_lshl_add_u64 v[28:29], v[28:29], 0, 8
	s_addc_u32 s27, s13, -1
	s_mov_b64 s[28:29], 0
	s_mov_b64 s[34:35], 0
                                        ; implicit-def: $sgpr30_sgpr31
	s_branch .LBB544_184
.LBB544_182:                            ;   in Loop: Header=BB544_184 Depth=1
	global_load_dwordx2 v[30:31], v[28:29], off
	global_load_dwordx2 v[32:33], v[26:27], off
	s_add_u32 s34, s34, 1
	s_addc_u32 s35, s35, 0
	s_andn2_b64 s[30:31], s[30:31], exec
	v_lshl_add_u64 v[26:27], v[26:27], 0, 8
	v_lshl_add_u64 v[28:29], v[28:29], 0, 8
	s_waitcnt vmcnt(0)
	v_cmp_ne_u64_e32 vcc, v[30:31], v[32:33]
	s_and_b64 s[36:37], vcc, exec
	s_or_b64 s[30:31], s[30:31], s[36:37]
.LBB544_183:                            ;   in Loop: Header=BB544_184 Depth=1
	s_and_b64 s[36:37], exec, s[30:31]
	s_or_b64 s[28:29], s[36:37], s[28:29]
	v_mov_b64_e32 v[30:31], s[34:35]
	s_andn2_b64 exec, exec, s[28:29]
	s_cbranch_execz .LBB544_187
.LBB544_184:                            ; =>This Inner Loop Header: Depth=1
	s_or_b64 s[30:31], s[30:31], exec
	s_cmp_eq_u64 s[26:27], s[34:35]
	s_cbranch_scc0 .LBB544_182
; %bb.185:                              ;   in Loop: Header=BB544_184 Depth=1
                                        ; implicit-def: $vgpr26_vgpr27
                                        ; implicit-def: $vgpr28_vgpr29
	s_mov_b64 s[34:35], s[12:13]
	s_branch .LBB544_183
.LBB544_186:
	v_mov_b64_e32 v[46:47], 0
	s_branch .LBB544_189
.LBB544_187:
	s_or_b64 exec, exec, s[28:29]
	v_cmp_gt_i64_e32 vcc, s[12:13], v[30:31]
	s_mov_b32 s26, 0
	v_mov_b32_e32 v47, s26
	v_cndmask_b32_e64 v46, 0, 1, vcc
.LBB544_188:
	s_or_b64 exec, exec, s[24:25]
.LBB544_189:
	s_or_b64 exec, exec, s[22:23]
	v_add_u32_e32 v26, 9, v1
	v_cmp_gt_u32_e32 vcc, s7, v26
	v_mov_b64_e32 v[54:55], v[20:21]
	s_and_saveexec_b64 s[22:23], vcc
	s_cbranch_execz .LBB544_200
; %bb.190:
	s_and_b64 vcc, exec, s[2:3]
	s_cbranch_vccnz .LBB544_197
; %bb.191:
	v_mul_lo_u32 v28, v21, s12
	v_mul_lo_u32 v29, v20, s13
	v_mad_u64_u32 v[26:27], s[24:25], v20, s12, 0
	v_add3_u32 v27, v27, v29, v28
	v_mul_lo_u32 v28, v19, s12
	v_mul_lo_u32 v29, v18, s13
	v_mad_u64_u32 v[30:31], s[24:25], v18, s12, 0
	v_add3_u32 v31, v31, v29, v28
	v_lshl_add_u64 v[28:29], v[26:27], 3, s[14:15]
	v_lshl_add_u64 v[26:27], v[30:31], 3, s[14:15]
	global_load_dwordx2 v[30:31], v[28:29], off
	global_load_dwordx2 v[32:33], v[26:27], off
	v_mov_b64_e32 v[54:55], 1
	s_waitcnt vmcnt(0)
	v_cmp_eq_u64_e32 vcc, v[30:31], v[32:33]
	s_and_saveexec_b64 s[24:25], vcc
	s_cbranch_execz .LBB544_199
; %bb.192:
	s_add_u32 s26, s12, -1
	v_lshl_add_u64 v[26:27], v[26:27], 0, 8
	v_lshl_add_u64 v[28:29], v[28:29], 0, 8
	s_addc_u32 s27, s13, -1
	s_mov_b64 s[28:29], 0
	s_mov_b64 s[34:35], 0
                                        ; implicit-def: $sgpr30_sgpr31
	s_branch .LBB544_195
.LBB544_193:                            ;   in Loop: Header=BB544_195 Depth=1
	global_load_dwordx2 v[30:31], v[28:29], off
	global_load_dwordx2 v[32:33], v[26:27], off
	s_add_u32 s34, s34, 1
	s_addc_u32 s35, s35, 0
	s_andn2_b64 s[30:31], s[30:31], exec
	v_lshl_add_u64 v[26:27], v[26:27], 0, 8
	v_lshl_add_u64 v[28:29], v[28:29], 0, 8
	s_waitcnt vmcnt(0)
	v_cmp_ne_u64_e32 vcc, v[30:31], v[32:33]
	s_and_b64 s[36:37], vcc, exec
	s_or_b64 s[30:31], s[30:31], s[36:37]
.LBB544_194:                            ;   in Loop: Header=BB544_195 Depth=1
	s_and_b64 s[36:37], exec, s[30:31]
	s_or_b64 s[28:29], s[36:37], s[28:29]
	v_mov_b64_e32 v[30:31], s[34:35]
	s_andn2_b64 exec, exec, s[28:29]
	s_cbranch_execz .LBB544_198
.LBB544_195:                            ; =>This Inner Loop Header: Depth=1
	s_or_b64 s[30:31], s[30:31], exec
	s_cmp_eq_u64 s[26:27], s[34:35]
	s_cbranch_scc0 .LBB544_193
; %bb.196:                              ;   in Loop: Header=BB544_195 Depth=1
                                        ; implicit-def: $vgpr26_vgpr27
                                        ; implicit-def: $vgpr28_vgpr29
	s_mov_b64 s[34:35], s[12:13]
	s_branch .LBB544_194
.LBB544_197:
	v_mov_b64_e32 v[54:55], 0
	s_branch .LBB544_200
.LBB544_198:
	s_or_b64 exec, exec, s[28:29]
	v_cmp_gt_i64_e32 vcc, s[12:13], v[30:31]
	s_mov_b32 s26, 0
	v_mov_b32_e32 v55, s26
	v_cndmask_b32_e64 v54, 0, 1, vcc
.LBB544_199:
	s_or_b64 exec, exec, s[24:25]
.LBB544_200:
	s_or_b64 exec, exec, s[22:23]
	v_add_u32_e32 v26, 8, v1
	v_cmp_gt_u32_e32 vcc, s7, v26
	v_mov_b64_e32 v[56:57], v[18:19]
	s_and_saveexec_b64 s[22:23], vcc
	s_cbranch_execz .LBB544_211
; %bb.201:
	s_and_b64 vcc, exec, s[2:3]
	s_cbranch_vccnz .LBB544_208
; %bb.202:
	v_mul_lo_u32 v28, v19, s12
	v_mul_lo_u32 v29, v18, s13
	v_mad_u64_u32 v[26:27], s[24:25], v18, s12, 0
	v_add3_u32 v27, v27, v29, v28
	v_mul_lo_u32 v28, v17, s12
	v_mul_lo_u32 v29, v16, s13
	v_mad_u64_u32 v[30:31], s[24:25], v16, s12, 0
	v_add3_u32 v31, v31, v29, v28
	v_lshl_add_u64 v[28:29], v[26:27], 3, s[14:15]
	v_lshl_add_u64 v[26:27], v[30:31], 3, s[14:15]
	global_load_dwordx2 v[30:31], v[28:29], off
	global_load_dwordx2 v[32:33], v[26:27], off
	v_mov_b64_e32 v[56:57], 1
	s_waitcnt vmcnt(0)
	v_cmp_eq_u64_e32 vcc, v[30:31], v[32:33]
	s_and_saveexec_b64 s[24:25], vcc
	s_cbranch_execz .LBB544_210
; %bb.203:
	s_add_u32 s26, s12, -1
	v_lshl_add_u64 v[26:27], v[26:27], 0, 8
	v_lshl_add_u64 v[28:29], v[28:29], 0, 8
	s_addc_u32 s27, s13, -1
	s_mov_b64 s[28:29], 0
	s_mov_b64 s[34:35], 0
                                        ; implicit-def: $sgpr30_sgpr31
	s_branch .LBB544_206
.LBB544_204:                            ;   in Loop: Header=BB544_206 Depth=1
	global_load_dwordx2 v[30:31], v[28:29], off
	global_load_dwordx2 v[32:33], v[26:27], off
	s_add_u32 s34, s34, 1
	s_addc_u32 s35, s35, 0
	s_andn2_b64 s[30:31], s[30:31], exec
	v_lshl_add_u64 v[26:27], v[26:27], 0, 8
	v_lshl_add_u64 v[28:29], v[28:29], 0, 8
	s_waitcnt vmcnt(0)
	v_cmp_ne_u64_e32 vcc, v[30:31], v[32:33]
	s_and_b64 s[36:37], vcc, exec
	s_or_b64 s[30:31], s[30:31], s[36:37]
.LBB544_205:                            ;   in Loop: Header=BB544_206 Depth=1
	s_and_b64 s[36:37], exec, s[30:31]
	s_or_b64 s[28:29], s[36:37], s[28:29]
	v_mov_b64_e32 v[30:31], s[34:35]
	s_andn2_b64 exec, exec, s[28:29]
	s_cbranch_execz .LBB544_209
.LBB544_206:                            ; =>This Inner Loop Header: Depth=1
	s_or_b64 s[30:31], s[30:31], exec
	s_cmp_eq_u64 s[26:27], s[34:35]
	s_cbranch_scc0 .LBB544_204
; %bb.207:                              ;   in Loop: Header=BB544_206 Depth=1
                                        ; implicit-def: $vgpr26_vgpr27
                                        ; implicit-def: $vgpr28_vgpr29
	s_mov_b64 s[34:35], s[12:13]
	s_branch .LBB544_205
.LBB544_208:
	v_mov_b64_e32 v[56:57], 0
	s_branch .LBB544_211
.LBB544_209:
	s_or_b64 exec, exec, s[28:29]
	v_cmp_gt_i64_e32 vcc, s[12:13], v[30:31]
	s_mov_b32 s26, 0
	v_mov_b32_e32 v57, s26
	v_cndmask_b32_e64 v56, 0, 1, vcc
.LBB544_210:
	s_or_b64 exec, exec, s[24:25]
.LBB544_211:
	s_or_b64 exec, exec, s[22:23]
	v_add_u32_e32 v26, 7, v1
	v_cmp_gt_u32_e32 vcc, s7, v26
	v_mov_b64_e32 v[58:59], v[16:17]
	s_and_saveexec_b64 s[22:23], vcc
	s_cbranch_execz .LBB544_222
; %bb.212:
	s_and_b64 vcc, exec, s[2:3]
	s_cbranch_vccnz .LBB544_219
; %bb.213:
	v_mul_lo_u32 v28, v17, s12
	v_mul_lo_u32 v29, v16, s13
	v_mad_u64_u32 v[26:27], s[24:25], v16, s12, 0
	v_add3_u32 v27, v27, v29, v28
	v_mul_lo_u32 v28, v15, s12
	v_mul_lo_u32 v29, v14, s13
	v_mad_u64_u32 v[30:31], s[24:25], v14, s12, 0
	v_add3_u32 v31, v31, v29, v28
	v_lshl_add_u64 v[28:29], v[26:27], 3, s[14:15]
	v_lshl_add_u64 v[26:27], v[30:31], 3, s[14:15]
	global_load_dwordx2 v[30:31], v[28:29], off
	global_load_dwordx2 v[32:33], v[26:27], off
	v_mov_b64_e32 v[58:59], 1
	s_waitcnt vmcnt(0)
	v_cmp_eq_u64_e32 vcc, v[30:31], v[32:33]
	s_and_saveexec_b64 s[24:25], vcc
	s_cbranch_execz .LBB544_221
; %bb.214:
	s_add_u32 s26, s12, -1
	v_lshl_add_u64 v[26:27], v[26:27], 0, 8
	v_lshl_add_u64 v[28:29], v[28:29], 0, 8
	s_addc_u32 s27, s13, -1
	s_mov_b64 s[28:29], 0
	s_mov_b64 s[34:35], 0
                                        ; implicit-def: $sgpr30_sgpr31
	s_branch .LBB544_217
.LBB544_215:                            ;   in Loop: Header=BB544_217 Depth=1
	global_load_dwordx2 v[30:31], v[28:29], off
	global_load_dwordx2 v[32:33], v[26:27], off
	s_add_u32 s34, s34, 1
	s_addc_u32 s35, s35, 0
	s_andn2_b64 s[30:31], s[30:31], exec
	v_lshl_add_u64 v[26:27], v[26:27], 0, 8
	v_lshl_add_u64 v[28:29], v[28:29], 0, 8
	s_waitcnt vmcnt(0)
	v_cmp_ne_u64_e32 vcc, v[30:31], v[32:33]
	s_and_b64 s[36:37], vcc, exec
	s_or_b64 s[30:31], s[30:31], s[36:37]
.LBB544_216:                            ;   in Loop: Header=BB544_217 Depth=1
	s_and_b64 s[36:37], exec, s[30:31]
	s_or_b64 s[28:29], s[36:37], s[28:29]
	v_mov_b64_e32 v[30:31], s[34:35]
	s_andn2_b64 exec, exec, s[28:29]
	s_cbranch_execz .LBB544_220
.LBB544_217:                            ; =>This Inner Loop Header: Depth=1
	s_or_b64 s[30:31], s[30:31], exec
	s_cmp_eq_u64 s[26:27], s[34:35]
	s_cbranch_scc0 .LBB544_215
; %bb.218:                              ;   in Loop: Header=BB544_217 Depth=1
                                        ; implicit-def: $vgpr26_vgpr27
                                        ; implicit-def: $vgpr28_vgpr29
	s_mov_b64 s[34:35], s[12:13]
	s_branch .LBB544_216
.LBB544_219:
	v_mov_b64_e32 v[58:59], 0
	s_branch .LBB544_222
.LBB544_220:
	s_or_b64 exec, exec, s[28:29]
	v_cmp_gt_i64_e32 vcc, s[12:13], v[30:31]
	s_mov_b32 s26, 0
	v_mov_b32_e32 v59, s26
	v_cndmask_b32_e64 v58, 0, 1, vcc
.LBB544_221:
	s_or_b64 exec, exec, s[24:25]
.LBB544_222:
	s_or_b64 exec, exec, s[22:23]
	v_add_u32_e32 v26, 6, v1
	v_cmp_gt_u32_e32 vcc, s7, v26
	v_mov_b64_e32 v[60:61], v[14:15]
	s_and_saveexec_b64 s[22:23], vcc
	s_cbranch_execz .LBB544_233
; %bb.223:
	s_and_b64 vcc, exec, s[2:3]
	s_cbranch_vccnz .LBB544_230
; %bb.224:
	v_mul_lo_u32 v28, v15, s12
	v_mul_lo_u32 v29, v14, s13
	v_mad_u64_u32 v[26:27], s[24:25], v14, s12, 0
	v_add3_u32 v27, v27, v29, v28
	v_mul_lo_u32 v28, v13, s12
	v_mul_lo_u32 v29, v12, s13
	v_mad_u64_u32 v[30:31], s[24:25], v12, s12, 0
	v_add3_u32 v31, v31, v29, v28
	v_lshl_add_u64 v[28:29], v[26:27], 3, s[14:15]
	v_lshl_add_u64 v[26:27], v[30:31], 3, s[14:15]
	global_load_dwordx2 v[30:31], v[28:29], off
	global_load_dwordx2 v[32:33], v[26:27], off
	v_mov_b64_e32 v[60:61], 1
	s_waitcnt vmcnt(0)
	v_cmp_eq_u64_e32 vcc, v[30:31], v[32:33]
	s_and_saveexec_b64 s[24:25], vcc
	s_cbranch_execz .LBB544_232
; %bb.225:
	s_add_u32 s26, s12, -1
	v_lshl_add_u64 v[26:27], v[26:27], 0, 8
	v_lshl_add_u64 v[28:29], v[28:29], 0, 8
	s_addc_u32 s27, s13, -1
	s_mov_b64 s[28:29], 0
	s_mov_b64 s[34:35], 0
                                        ; implicit-def: $sgpr30_sgpr31
	s_branch .LBB544_228
.LBB544_226:                            ;   in Loop: Header=BB544_228 Depth=1
	global_load_dwordx2 v[30:31], v[28:29], off
	global_load_dwordx2 v[32:33], v[26:27], off
	s_add_u32 s34, s34, 1
	s_addc_u32 s35, s35, 0
	s_andn2_b64 s[30:31], s[30:31], exec
	v_lshl_add_u64 v[26:27], v[26:27], 0, 8
	v_lshl_add_u64 v[28:29], v[28:29], 0, 8
	s_waitcnt vmcnt(0)
	v_cmp_ne_u64_e32 vcc, v[30:31], v[32:33]
	s_and_b64 s[36:37], vcc, exec
	s_or_b64 s[30:31], s[30:31], s[36:37]
.LBB544_227:                            ;   in Loop: Header=BB544_228 Depth=1
	s_and_b64 s[36:37], exec, s[30:31]
	s_or_b64 s[28:29], s[36:37], s[28:29]
	v_mov_b64_e32 v[30:31], s[34:35]
	s_andn2_b64 exec, exec, s[28:29]
	s_cbranch_execz .LBB544_231
.LBB544_228:                            ; =>This Inner Loop Header: Depth=1
	s_or_b64 s[30:31], s[30:31], exec
	s_cmp_eq_u64 s[26:27], s[34:35]
	s_cbranch_scc0 .LBB544_226
; %bb.229:                              ;   in Loop: Header=BB544_228 Depth=1
                                        ; implicit-def: $vgpr26_vgpr27
                                        ; implicit-def: $vgpr28_vgpr29
	s_mov_b64 s[34:35], s[12:13]
	s_branch .LBB544_227
.LBB544_230:
	v_mov_b64_e32 v[60:61], 0
	s_branch .LBB544_233
.LBB544_231:
	s_or_b64 exec, exec, s[28:29]
	v_cmp_gt_i64_e32 vcc, s[12:13], v[30:31]
	s_mov_b32 s26, 0
	v_mov_b32_e32 v61, s26
	v_cndmask_b32_e64 v60, 0, 1, vcc
.LBB544_232:
	s_or_b64 exec, exec, s[24:25]
.LBB544_233:
	s_or_b64 exec, exec, s[22:23]
	v_add_u32_e32 v26, 5, v1
	v_cmp_gt_u32_e32 vcc, s7, v26
	v_mov_b64_e32 v[62:63], v[12:13]
	s_and_saveexec_b64 s[22:23], vcc
	s_cbranch_execz .LBB544_244
; %bb.234:
	s_and_b64 vcc, exec, s[2:3]
	s_cbranch_vccnz .LBB544_241
; %bb.235:
	v_mul_lo_u32 v28, v13, s12
	v_mul_lo_u32 v29, v12, s13
	v_mad_u64_u32 v[26:27], s[24:25], v12, s12, 0
	v_add3_u32 v27, v27, v29, v28
	v_mul_lo_u32 v28, v11, s12
	v_mul_lo_u32 v29, v10, s13
	v_mad_u64_u32 v[30:31], s[24:25], v10, s12, 0
	v_add3_u32 v31, v31, v29, v28
	v_lshl_add_u64 v[28:29], v[26:27], 3, s[14:15]
	v_lshl_add_u64 v[26:27], v[30:31], 3, s[14:15]
	global_load_dwordx2 v[30:31], v[28:29], off
	global_load_dwordx2 v[32:33], v[26:27], off
	v_mov_b64_e32 v[62:63], 1
	s_waitcnt vmcnt(0)
	v_cmp_eq_u64_e32 vcc, v[30:31], v[32:33]
	s_and_saveexec_b64 s[24:25], vcc
	s_cbranch_execz .LBB544_243
; %bb.236:
	s_add_u32 s26, s12, -1
	v_lshl_add_u64 v[26:27], v[26:27], 0, 8
	v_lshl_add_u64 v[28:29], v[28:29], 0, 8
	s_addc_u32 s27, s13, -1
	s_mov_b64 s[28:29], 0
	s_mov_b64 s[34:35], 0
                                        ; implicit-def: $sgpr30_sgpr31
	s_branch .LBB544_239
.LBB544_237:                            ;   in Loop: Header=BB544_239 Depth=1
	global_load_dwordx2 v[30:31], v[28:29], off
	global_load_dwordx2 v[32:33], v[26:27], off
	s_add_u32 s34, s34, 1
	s_addc_u32 s35, s35, 0
	s_andn2_b64 s[30:31], s[30:31], exec
	v_lshl_add_u64 v[26:27], v[26:27], 0, 8
	v_lshl_add_u64 v[28:29], v[28:29], 0, 8
	s_waitcnt vmcnt(0)
	v_cmp_ne_u64_e32 vcc, v[30:31], v[32:33]
	s_and_b64 s[36:37], vcc, exec
	s_or_b64 s[30:31], s[30:31], s[36:37]
.LBB544_238:                            ;   in Loop: Header=BB544_239 Depth=1
	s_and_b64 s[36:37], exec, s[30:31]
	s_or_b64 s[28:29], s[36:37], s[28:29]
	v_mov_b64_e32 v[30:31], s[34:35]
	s_andn2_b64 exec, exec, s[28:29]
	s_cbranch_execz .LBB544_242
.LBB544_239:                            ; =>This Inner Loop Header: Depth=1
	s_or_b64 s[30:31], s[30:31], exec
	s_cmp_eq_u64 s[26:27], s[34:35]
	s_cbranch_scc0 .LBB544_237
; %bb.240:                              ;   in Loop: Header=BB544_239 Depth=1
                                        ; implicit-def: $vgpr26_vgpr27
                                        ; implicit-def: $vgpr28_vgpr29
	s_mov_b64 s[34:35], s[12:13]
	s_branch .LBB544_238
.LBB544_241:
	v_mov_b64_e32 v[62:63], 0
	s_branch .LBB544_244
.LBB544_242:
	s_or_b64 exec, exec, s[28:29]
	v_cmp_gt_i64_e32 vcc, s[12:13], v[30:31]
	s_mov_b32 s26, 0
	v_mov_b32_e32 v63, s26
	v_cndmask_b32_e64 v62, 0, 1, vcc
.LBB544_243:
	s_or_b64 exec, exec, s[24:25]
.LBB544_244:
	s_or_b64 exec, exec, s[22:23]
	v_add_u32_e32 v26, 4, v1
	v_cmp_gt_u32_e32 vcc, s7, v26
	v_mov_b64_e32 v[64:65], v[10:11]
	s_and_saveexec_b64 s[22:23], vcc
	s_cbranch_execz .LBB544_255
; %bb.245:
	s_and_b64 vcc, exec, s[2:3]
	s_cbranch_vccnz .LBB544_252
; %bb.246:
	v_mul_lo_u32 v28, v11, s12
	v_mul_lo_u32 v29, v10, s13
	v_mad_u64_u32 v[26:27], s[24:25], v10, s12, 0
	v_add3_u32 v27, v27, v29, v28
	v_mul_lo_u32 v28, v9, s12
	v_mul_lo_u32 v29, v8, s13
	v_mad_u64_u32 v[30:31], s[24:25], v8, s12, 0
	v_add3_u32 v31, v31, v29, v28
	v_lshl_add_u64 v[28:29], v[26:27], 3, s[14:15]
	v_lshl_add_u64 v[26:27], v[30:31], 3, s[14:15]
	global_load_dwordx2 v[30:31], v[28:29], off
	global_load_dwordx2 v[32:33], v[26:27], off
	v_mov_b64_e32 v[64:65], 1
	s_waitcnt vmcnt(0)
	v_cmp_eq_u64_e32 vcc, v[30:31], v[32:33]
	s_and_saveexec_b64 s[24:25], vcc
	s_cbranch_execz .LBB544_254
; %bb.247:
	s_add_u32 s26, s12, -1
	v_lshl_add_u64 v[26:27], v[26:27], 0, 8
	v_lshl_add_u64 v[28:29], v[28:29], 0, 8
	s_addc_u32 s27, s13, -1
	s_mov_b64 s[28:29], 0
	s_mov_b64 s[34:35], 0
                                        ; implicit-def: $sgpr30_sgpr31
	s_branch .LBB544_250
.LBB544_248:                            ;   in Loop: Header=BB544_250 Depth=1
	global_load_dwordx2 v[30:31], v[28:29], off
	global_load_dwordx2 v[32:33], v[26:27], off
	s_add_u32 s34, s34, 1
	s_addc_u32 s35, s35, 0
	s_andn2_b64 s[30:31], s[30:31], exec
	v_lshl_add_u64 v[26:27], v[26:27], 0, 8
	v_lshl_add_u64 v[28:29], v[28:29], 0, 8
	s_waitcnt vmcnt(0)
	v_cmp_ne_u64_e32 vcc, v[30:31], v[32:33]
	s_and_b64 s[36:37], vcc, exec
	s_or_b64 s[30:31], s[30:31], s[36:37]
.LBB544_249:                            ;   in Loop: Header=BB544_250 Depth=1
	s_and_b64 s[36:37], exec, s[30:31]
	s_or_b64 s[28:29], s[36:37], s[28:29]
	v_mov_b64_e32 v[30:31], s[34:35]
	s_andn2_b64 exec, exec, s[28:29]
	s_cbranch_execz .LBB544_253
.LBB544_250:                            ; =>This Inner Loop Header: Depth=1
	s_or_b64 s[30:31], s[30:31], exec
	s_cmp_eq_u64 s[26:27], s[34:35]
	s_cbranch_scc0 .LBB544_248
; %bb.251:                              ;   in Loop: Header=BB544_250 Depth=1
                                        ; implicit-def: $vgpr26_vgpr27
                                        ; implicit-def: $vgpr28_vgpr29
	s_mov_b64 s[34:35], s[12:13]
	s_branch .LBB544_249
.LBB544_252:
	v_mov_b64_e32 v[64:65], 0
	s_branch .LBB544_255
.LBB544_253:
	s_or_b64 exec, exec, s[28:29]
	v_cmp_gt_i64_e32 vcc, s[12:13], v[30:31]
	s_mov_b32 s26, 0
	v_mov_b32_e32 v65, s26
	v_cndmask_b32_e64 v64, 0, 1, vcc
.LBB544_254:
	s_or_b64 exec, exec, s[24:25]
.LBB544_255:
	s_or_b64 exec, exec, s[22:23]
	v_add_u32_e32 v26, 3, v1
	v_cmp_gt_u32_e32 vcc, s7, v26
	v_mov_b64_e32 v[66:67], v[8:9]
	s_and_saveexec_b64 s[22:23], vcc
	s_cbranch_execz .LBB544_266
; %bb.256:
	s_and_b64 vcc, exec, s[2:3]
	s_cbranch_vccnz .LBB544_263
; %bb.257:
	v_mul_lo_u32 v28, v9, s12
	v_mul_lo_u32 v29, v8, s13
	v_mad_u64_u32 v[26:27], s[24:25], v8, s12, 0
	v_add3_u32 v27, v27, v29, v28
	v_mul_lo_u32 v28, v7, s12
	v_mul_lo_u32 v29, v6, s13
	v_mad_u64_u32 v[30:31], s[24:25], v6, s12, 0
	v_add3_u32 v31, v31, v29, v28
	v_lshl_add_u64 v[28:29], v[26:27], 3, s[14:15]
	v_lshl_add_u64 v[26:27], v[30:31], 3, s[14:15]
	global_load_dwordx2 v[30:31], v[28:29], off
	global_load_dwordx2 v[32:33], v[26:27], off
	v_mov_b64_e32 v[66:67], 1
	s_waitcnt vmcnt(0)
	v_cmp_eq_u64_e32 vcc, v[30:31], v[32:33]
	s_and_saveexec_b64 s[24:25], vcc
	s_cbranch_execz .LBB544_265
; %bb.258:
	s_add_u32 s26, s12, -1
	v_lshl_add_u64 v[26:27], v[26:27], 0, 8
	v_lshl_add_u64 v[28:29], v[28:29], 0, 8
	s_addc_u32 s27, s13, -1
	s_mov_b64 s[28:29], 0
	s_mov_b64 s[34:35], 0
                                        ; implicit-def: $sgpr30_sgpr31
	s_branch .LBB544_261
.LBB544_259:                            ;   in Loop: Header=BB544_261 Depth=1
	global_load_dwordx2 v[30:31], v[28:29], off
	global_load_dwordx2 v[32:33], v[26:27], off
	s_add_u32 s34, s34, 1
	s_addc_u32 s35, s35, 0
	s_andn2_b64 s[30:31], s[30:31], exec
	v_lshl_add_u64 v[26:27], v[26:27], 0, 8
	v_lshl_add_u64 v[28:29], v[28:29], 0, 8
	s_waitcnt vmcnt(0)
	v_cmp_ne_u64_e32 vcc, v[30:31], v[32:33]
	s_and_b64 s[36:37], vcc, exec
	s_or_b64 s[30:31], s[30:31], s[36:37]
.LBB544_260:                            ;   in Loop: Header=BB544_261 Depth=1
	s_and_b64 s[36:37], exec, s[30:31]
	s_or_b64 s[28:29], s[36:37], s[28:29]
	v_mov_b64_e32 v[30:31], s[34:35]
	s_andn2_b64 exec, exec, s[28:29]
	s_cbranch_execz .LBB544_264
.LBB544_261:                            ; =>This Inner Loop Header: Depth=1
	s_or_b64 s[30:31], s[30:31], exec
	s_cmp_eq_u64 s[26:27], s[34:35]
	s_cbranch_scc0 .LBB544_259
; %bb.262:                              ;   in Loop: Header=BB544_261 Depth=1
                                        ; implicit-def: $vgpr26_vgpr27
                                        ; implicit-def: $vgpr28_vgpr29
	s_mov_b64 s[34:35], s[12:13]
	s_branch .LBB544_260
.LBB544_263:
	v_mov_b64_e32 v[66:67], 0
	s_branch .LBB544_266
.LBB544_264:
	s_or_b64 exec, exec, s[28:29]
	v_cmp_gt_i64_e32 vcc, s[12:13], v[30:31]
	s_mov_b32 s26, 0
	v_mov_b32_e32 v67, s26
	v_cndmask_b32_e64 v66, 0, 1, vcc
.LBB544_265:
	s_or_b64 exec, exec, s[24:25]
.LBB544_266:
	s_or_b64 exec, exec, s[22:23]
	v_add_u32_e32 v26, 2, v1
	v_cmp_gt_u32_e32 vcc, s7, v26
	v_mov_b64_e32 v[68:69], v[6:7]
	s_and_saveexec_b64 s[22:23], vcc
	s_cbranch_execz .LBB544_277
; %bb.267:
	s_and_b64 vcc, exec, s[2:3]
	s_cbranch_vccnz .LBB544_274
; %bb.268:
	v_mul_lo_u32 v28, v7, s12
	v_mul_lo_u32 v29, v6, s13
	v_mad_u64_u32 v[26:27], s[24:25], v6, s12, 0
	v_add3_u32 v27, v27, v29, v28
	v_mul_lo_u32 v28, v5, s12
	v_mul_lo_u32 v29, v4, s13
	v_mad_u64_u32 v[30:31], s[24:25], v4, s12, 0
	v_add3_u32 v31, v31, v29, v28
	v_lshl_add_u64 v[28:29], v[26:27], 3, s[14:15]
	v_lshl_add_u64 v[26:27], v[30:31], 3, s[14:15]
	global_load_dwordx2 v[30:31], v[28:29], off
	global_load_dwordx2 v[32:33], v[26:27], off
	v_mov_b64_e32 v[68:69], 1
	s_waitcnt vmcnt(0)
	v_cmp_eq_u64_e32 vcc, v[30:31], v[32:33]
	s_and_saveexec_b64 s[24:25], vcc
	s_cbranch_execz .LBB544_276
; %bb.269:
	s_add_u32 s26, s12, -1
	v_lshl_add_u64 v[26:27], v[26:27], 0, 8
	v_lshl_add_u64 v[28:29], v[28:29], 0, 8
	s_addc_u32 s27, s13, -1
	s_mov_b64 s[28:29], 0
	s_mov_b64 s[34:35], 0
                                        ; implicit-def: $sgpr30_sgpr31
	s_branch .LBB544_272
.LBB544_270:                            ;   in Loop: Header=BB544_272 Depth=1
	global_load_dwordx2 v[30:31], v[28:29], off
	global_load_dwordx2 v[32:33], v[26:27], off
	s_add_u32 s34, s34, 1
	s_addc_u32 s35, s35, 0
	s_andn2_b64 s[30:31], s[30:31], exec
	v_lshl_add_u64 v[26:27], v[26:27], 0, 8
	v_lshl_add_u64 v[28:29], v[28:29], 0, 8
	s_waitcnt vmcnt(0)
	v_cmp_ne_u64_e32 vcc, v[30:31], v[32:33]
	s_and_b64 s[36:37], vcc, exec
	s_or_b64 s[30:31], s[30:31], s[36:37]
.LBB544_271:                            ;   in Loop: Header=BB544_272 Depth=1
	s_and_b64 s[36:37], exec, s[30:31]
	s_or_b64 s[28:29], s[36:37], s[28:29]
	v_mov_b64_e32 v[30:31], s[34:35]
	s_andn2_b64 exec, exec, s[28:29]
	s_cbranch_execz .LBB544_275
.LBB544_272:                            ; =>This Inner Loop Header: Depth=1
	s_or_b64 s[30:31], s[30:31], exec
	s_cmp_eq_u64 s[26:27], s[34:35]
	s_cbranch_scc0 .LBB544_270
; %bb.273:                              ;   in Loop: Header=BB544_272 Depth=1
                                        ; implicit-def: $vgpr26_vgpr27
                                        ; implicit-def: $vgpr28_vgpr29
	s_mov_b64 s[34:35], s[12:13]
	s_branch .LBB544_271
.LBB544_274:
	v_mov_b64_e32 v[68:69], 0
	s_branch .LBB544_277
.LBB544_275:
	s_or_b64 exec, exec, s[28:29]
	v_cmp_gt_i64_e32 vcc, s[12:13], v[30:31]
	s_mov_b32 s26, 0
	v_mov_b32_e32 v69, s26
	v_cndmask_b32_e64 v68, 0, 1, vcc
.LBB544_276:
	s_or_b64 exec, exec, s[24:25]
.LBB544_277:
	s_or_b64 exec, exec, s[22:23]
	v_add_u32_e32 v26, 1, v1
	v_cmp_gt_u32_e32 vcc, s7, v26
	v_mov_b64_e32 v[70:71], v[4:5]
	s_and_saveexec_b64 s[22:23], vcc
	s_cbranch_execz .LBB544_288
; %bb.278:
	s_and_b64 vcc, exec, s[2:3]
	s_cbranch_vccnz .LBB544_285
; %bb.279:
	v_mul_lo_u32 v28, v5, s12
	v_mul_lo_u32 v29, v4, s13
	v_mad_u64_u32 v[26:27], s[24:25], v4, s12, 0
	v_add3_u32 v27, v27, v29, v28
	v_mul_lo_u32 v28, v3, s12
	v_mul_lo_u32 v29, v2, s13
	v_mad_u64_u32 v[30:31], s[24:25], v2, s12, 0
	v_add3_u32 v31, v31, v29, v28
	v_lshl_add_u64 v[28:29], v[26:27], 3, s[14:15]
	v_lshl_add_u64 v[26:27], v[30:31], 3, s[14:15]
	global_load_dwordx2 v[30:31], v[28:29], off
	global_load_dwordx2 v[32:33], v[26:27], off
	v_mov_b64_e32 v[70:71], 1
	s_waitcnt vmcnt(0)
	v_cmp_eq_u64_e32 vcc, v[30:31], v[32:33]
	s_and_saveexec_b64 s[24:25], vcc
	s_cbranch_execz .LBB544_287
; %bb.280:
	s_add_u32 s26, s12, -1
	v_lshl_add_u64 v[26:27], v[26:27], 0, 8
	v_lshl_add_u64 v[28:29], v[28:29], 0, 8
	s_addc_u32 s27, s13, -1
	s_mov_b64 s[28:29], 0
	s_mov_b64 s[34:35], 0
                                        ; implicit-def: $sgpr30_sgpr31
	s_branch .LBB544_283
.LBB544_281:                            ;   in Loop: Header=BB544_283 Depth=1
	global_load_dwordx2 v[30:31], v[28:29], off
	global_load_dwordx2 v[32:33], v[26:27], off
	s_add_u32 s34, s34, 1
	s_addc_u32 s35, s35, 0
	s_andn2_b64 s[30:31], s[30:31], exec
	v_lshl_add_u64 v[26:27], v[26:27], 0, 8
	v_lshl_add_u64 v[28:29], v[28:29], 0, 8
	s_waitcnt vmcnt(0)
	v_cmp_ne_u64_e32 vcc, v[30:31], v[32:33]
	s_and_b64 s[36:37], vcc, exec
	s_or_b64 s[30:31], s[30:31], s[36:37]
.LBB544_282:                            ;   in Loop: Header=BB544_283 Depth=1
	s_and_b64 s[36:37], exec, s[30:31]
	s_or_b64 s[28:29], s[36:37], s[28:29]
	v_mov_b64_e32 v[30:31], s[34:35]
	s_andn2_b64 exec, exec, s[28:29]
	s_cbranch_execz .LBB544_286
.LBB544_283:                            ; =>This Inner Loop Header: Depth=1
	s_or_b64 s[30:31], s[30:31], exec
	s_cmp_eq_u64 s[26:27], s[34:35]
	s_cbranch_scc0 .LBB544_281
; %bb.284:                              ;   in Loop: Header=BB544_283 Depth=1
                                        ; implicit-def: $vgpr26_vgpr27
                                        ; implicit-def: $vgpr28_vgpr29
	s_mov_b64 s[34:35], s[12:13]
	s_branch .LBB544_282
.LBB544_285:
	v_mov_b64_e32 v[70:71], 0
	s_branch .LBB544_288
.LBB544_286:
	s_or_b64 exec, exec, s[28:29]
	v_cmp_gt_i64_e32 vcc, s[12:13], v[30:31]
	s_mov_b32 s26, 0
	v_mov_b32_e32 v71, s26
	v_cndmask_b32_e64 v70, 0, 1, vcc
.LBB544_287:
	s_or_b64 exec, exec, s[24:25]
.LBB544_288:
	s_or_b64 exec, exec, s[22:23]
	v_cmp_ne_u32_e32 vcc, 0, v0
	v_mov_b64_e32 v[26:27], s[20:21]
	s_waitcnt lgkmcnt(0)
	; wave barrier
	s_waitcnt lgkmcnt(0)
	s_and_saveexec_b64 s[20:21], vcc
	s_cbranch_execz .LBB544_290
; %bb.289:
	v_add_u32_e32 v26, -8, v48
	ds_read_b64 v[26:27], v26
.LBB544_290:
	s_or_b64 exec, exec, s[20:21]
	v_cmp_gt_u32_e32 vcc, s7, v1
                                        ; implicit-def: $sgpr24_sgpr25
	s_and_saveexec_b64 s[20:21], vcc
	s_cbranch_execz .LBB544_302
; %bb.291:
	s_and_b64 vcc, exec, s[2:3]
	s_cbranch_vccnz .LBB544_298
; %bb.292:
	v_mul_lo_u32 v1, v3, s12
	v_mul_lo_u32 v30, v2, s13
	v_mad_u64_u32 v[28:29], s[2:3], v2, s12, 0
	v_add3_u32 v29, v29, v30, v1
	s_waitcnt lgkmcnt(0)
	v_mul_lo_u32 v1, v27, s12
	v_mul_lo_u32 v30, v26, s13
	v_mad_u64_u32 v[26:27], s[2:3], v26, s12, 0
	v_add3_u32 v27, v27, v30, v1
	v_lshl_add_u64 v[28:29], v[28:29], 3, s[14:15]
	v_lshl_add_u64 v[26:27], v[26:27], 3, s[14:15]
	global_load_dwordx2 v[30:31], v[28:29], off
	global_load_dwordx2 v[32:33], v[26:27], off
	s_mov_b64 s[22:23], -1
	s_waitcnt vmcnt(0)
	v_cmp_eq_u64_e32 vcc, v[30:31], v[32:33]
	s_and_saveexec_b64 s[2:3], vcc
	s_cbranch_execz .LBB544_300
; %bb.293:
	s_add_u32 s22, s12, -1
	v_lshl_add_u64 v[26:27], v[26:27], 0, 8
	v_lshl_add_u64 v[28:29], v[28:29], 0, 8
	s_addc_u32 s23, s13, -1
	s_mov_b64 s[24:25], 0
	s_mov_b64 s[28:29], 0
                                        ; implicit-def: $sgpr26_sgpr27
	s_branch .LBB544_296
.LBB544_294:                            ;   in Loop: Header=BB544_296 Depth=1
	global_load_dwordx2 v[30:31], v[28:29], off
	global_load_dwordx2 v[32:33], v[26:27], off
	s_add_u32 s28, s28, 1
	s_addc_u32 s29, s29, 0
	s_andn2_b64 s[26:27], s[26:27], exec
	v_lshl_add_u64 v[26:27], v[26:27], 0, 8
	v_lshl_add_u64 v[28:29], v[28:29], 0, 8
	s_waitcnt vmcnt(0)
	v_cmp_ne_u64_e32 vcc, v[30:31], v[32:33]
	s_and_b64 s[30:31], vcc, exec
	s_or_b64 s[26:27], s[26:27], s[30:31]
.LBB544_295:                            ;   in Loop: Header=BB544_296 Depth=1
	s_and_b64 s[30:31], exec, s[26:27]
	s_or_b64 s[24:25], s[30:31], s[24:25]
	v_mov_b64_e32 v[30:31], s[28:29]
	s_andn2_b64 exec, exec, s[24:25]
	s_cbranch_execz .LBB544_299
.LBB544_296:                            ; =>This Inner Loop Header: Depth=1
	s_or_b64 s[26:27], s[26:27], exec
	s_cmp_eq_u64 s[22:23], s[28:29]
	s_cbranch_scc0 .LBB544_294
; %bb.297:                              ;   in Loop: Header=BB544_296 Depth=1
                                        ; implicit-def: $vgpr26_vgpr27
                                        ; implicit-def: $vgpr28_vgpr29
	s_mov_b64 s[28:29], s[12:13]
	s_branch .LBB544_295
.LBB544_298:
	s_mov_b64 s[22:23], 0
	s_branch .LBB544_301
.LBB544_299:
	s_or_b64 exec, exec, s[24:25]
	v_cmp_gt_i64_e32 vcc, s[12:13], v[30:31]
	s_orn2_b64 s[22:23], vcc, exec
.LBB544_300:
	s_or_b64 exec, exec, s[2:3]
.LBB544_301:
	s_and_b64 s[24:25], s[22:23], exec
	s_or_b64 s[18:19], s[18:19], exec
.LBB544_302:
	s_or_b64 exec, exec, s[20:21]
	v_mov_b64_e32 v[72:73], v[52:53]
	s_waitcnt lgkmcnt(0)
	v_mov_b64_e32 v[26:27], v[46:47]
	v_mov_b64_e32 v[82:83], v[70:71]
	;; [unrolled: 1-line block ×10, first 2 shown]
	s_branch .LBB544_572
.LBB544_303:
	s_cmp_lg_u64 s[4:5], 1
	s_cbranch_scc0 .LBB544_311
; %bb.304:
	v_mul_lo_u32 v1, v25, s12
	v_mul_lo_u32 v28, v24, s13
	s_waitcnt lgkmcnt(0)
	v_mad_u64_u32 v[26:27], s[20:21], v24, s12, 0
	v_mov_b64_e32 v[46:47], 0
	v_cmp_lt_i64_e64 s[2:3], s[12:13], 1
	v_add3_u32 v27, v27, v28, v1
	v_cmp_gt_i64_e64 s[4:5], s[12:13], 0
	s_and_b64 vcc, exec, s[2:3]
	v_lshl_add_u64 v[26:27], v[26:27], 3, s[14:15]
	v_mov_b64_e32 v[50:51], v[46:47]
	ds_write_b64 v48, v[44:45]
	s_cbranch_vccnz .LBB544_314
; %bb.305:
	v_mul_lo_u32 v1, v45, s12
	v_mul_lo_u32 v30, v44, s13
	v_mad_u64_u32 v[28:29], s[2:3], v44, s12, 0
	v_add3_u32 v29, v29, v30, v1
	v_lshl_add_u64 v[30:31], v[28:29], 3, s[14:15]
	global_load_dwordx2 v[28:29], v[30:31], off
	global_load_dwordx2 v[32:33], v[26:27], off
	v_mov_b64_e32 v[50:51], 1
	s_waitcnt vmcnt(0)
	v_cmp_eq_u64_e32 vcc, v[28:29], v[32:33]
	s_and_saveexec_b64 s[2:3], vcc
	s_cbranch_execz .LBB544_313
; %bb.306:
	s_add_u32 s20, s12, -1
	v_lshl_add_u64 v[28:29], v[26:27], 0, 8
	v_lshl_add_u64 v[30:31], v[30:31], 0, 8
	s_addc_u32 s21, s13, -1
	s_mov_b64 s[22:23], 0
	s_mov_b64 s[26:27], 0
                                        ; implicit-def: $sgpr24_sgpr25
	s_branch .LBB544_309
.LBB544_307:                            ;   in Loop: Header=BB544_309 Depth=1
	global_load_dwordx2 v[32:33], v[30:31], off
	global_load_dwordx2 v[34:35], v[28:29], off
	s_add_u32 s26, s26, 1
	s_addc_u32 s27, s27, 0
	s_andn2_b64 s[24:25], s[24:25], exec
	v_lshl_add_u64 v[28:29], v[28:29], 0, 8
	v_lshl_add_u64 v[30:31], v[30:31], 0, 8
	s_waitcnt vmcnt(0)
	v_cmp_ne_u64_e32 vcc, v[32:33], v[34:35]
	s_and_b64 s[28:29], vcc, exec
	s_or_b64 s[24:25], s[24:25], s[28:29]
.LBB544_308:                            ;   in Loop: Header=BB544_309 Depth=1
	s_and_b64 s[28:29], exec, s[24:25]
	s_or_b64 s[22:23], s[28:29], s[22:23]
	v_mov_b64_e32 v[32:33], s[26:27]
	s_andn2_b64 exec, exec, s[22:23]
	s_cbranch_execz .LBB544_312
.LBB544_309:                            ; =>This Inner Loop Header: Depth=1
	s_or_b64 s[24:25], s[24:25], exec
	s_cmp_eq_u64 s[20:21], s[26:27]
	s_cbranch_scc0 .LBB544_307
; %bb.310:                              ;   in Loop: Header=BB544_309 Depth=1
                                        ; implicit-def: $vgpr28_vgpr29
                                        ; implicit-def: $vgpr30_vgpr31
	s_mov_b64 s[26:27], s[12:13]
	s_branch .LBB544_308
.LBB544_311:
                                        ; implicit-def: $vgpr26_vgpr27_vgpr28_vgpr29
                                        ; implicit-def: $sgpr24_sgpr25
                                        ; implicit-def: $vgpr50_vgpr51
                                        ; implicit-def: $vgpr52_vgpr53
                                        ; implicit-def: $vgpr46_vgpr47
                                        ; implicit-def: $vgpr70_vgpr71
                                        ; implicit-def: $vgpr68_vgpr69
                                        ; implicit-def: $vgpr66_vgpr67
                                        ; implicit-def: $vgpr64_vgpr65
                                        ; implicit-def: $vgpr62_vgpr63
                                        ; implicit-def: $vgpr60_vgpr61
                                        ; implicit-def: $vgpr58_vgpr59
                                        ; implicit-def: $vgpr56_vgpr57
                                        ; implicit-def: $vgpr54_vgpr55
                                        ; implicit-def: $vgpr72_vgpr73
                                        ; implicit-def: $vgpr82_vgpr83
                                        ; implicit-def: $vgpr74_vgpr75
                                        ; implicit-def: $vgpr76_vgpr77
                                        ; implicit-def: $vgpr78_vgpr79
                                        ; implicit-def: $vgpr80_vgpr81
                                        ; implicit-def: $vgpr28_vgpr29_vgpr30_vgpr31
                                        ; implicit-def: $vgpr32_vgpr33_vgpr34_vgpr35
                                        ; implicit-def: $vgpr36_vgpr37_vgpr38_vgpr39
                                        ; implicit-def: $vgpr40_vgpr41_vgpr42_vgpr43
	s_cbranch_execnz .LBB544_427
	s_branch .LBB544_572
.LBB544_312:
	s_or_b64 exec, exec, s[22:23]
	v_cmp_gt_i64_e32 vcc, s[12:13], v[32:33]
	s_mov_b32 s7, 0
	v_mov_b32_e32 v51, s7
	v_cndmask_b32_e64 v50, 0, 1, vcc
.LBB544_313:
	s_or_b64 exec, exec, s[2:3]
.LBB544_314:
	v_mul_lo_u32 v1, v23, s12
	v_mul_lo_u32 v30, v22, s13
	v_mad_u64_u32 v[28:29], s[2:3], v22, s12, 0
	v_add3_u32 v29, v29, v30, v1
	v_cndmask_b32_e64 v1, 0, 1, s[4:5]
	v_cmp_ne_u32_e64 s[2:3], 1, v1
	s_andn2_b64 vcc, exec, s[4:5]
	v_lshl_add_u64 v[28:29], v[28:29], 3, s[14:15]
	v_mov_b64_e32 v[52:53], v[46:47]
	s_cbranch_vccnz .LBB544_323
; %bb.315:
	global_load_dwordx2 v[30:31], v[26:27], off
	global_load_dwordx2 v[32:33], v[28:29], off
	v_mov_b64_e32 v[52:53], 1
	s_waitcnt vmcnt(0)
	v_cmp_eq_u64_e32 vcc, v[30:31], v[32:33]
	s_and_saveexec_b64 s[4:5], vcc
	s_cbranch_execz .LBB544_322
; %bb.316:
	s_add_u32 s20, s12, -1
	v_lshl_add_u64 v[30:31], v[28:29], 0, 8
	v_lshl_add_u64 v[26:27], v[26:27], 0, 8
	s_addc_u32 s21, s13, -1
	s_mov_b64 s[22:23], 0
	s_mov_b64 s[26:27], 0
                                        ; implicit-def: $sgpr24_sgpr25
	s_branch .LBB544_319
.LBB544_317:                            ;   in Loop: Header=BB544_319 Depth=1
	global_load_dwordx2 v[32:33], v[26:27], off
	global_load_dwordx2 v[34:35], v[30:31], off
	s_add_u32 s26, s26, 1
	s_addc_u32 s27, s27, 0
	s_andn2_b64 s[24:25], s[24:25], exec
	v_lshl_add_u64 v[30:31], v[30:31], 0, 8
	v_lshl_add_u64 v[26:27], v[26:27], 0, 8
	s_waitcnt vmcnt(0)
	v_cmp_ne_u64_e32 vcc, v[32:33], v[34:35]
	s_and_b64 s[28:29], vcc, exec
	s_or_b64 s[24:25], s[24:25], s[28:29]
.LBB544_318:                            ;   in Loop: Header=BB544_319 Depth=1
	s_and_b64 s[28:29], exec, s[24:25]
	s_or_b64 s[22:23], s[28:29], s[22:23]
	v_mov_b64_e32 v[32:33], s[26:27]
	s_andn2_b64 exec, exec, s[22:23]
	s_cbranch_execz .LBB544_321
.LBB544_319:                            ; =>This Inner Loop Header: Depth=1
	s_or_b64 s[24:25], s[24:25], exec
	s_cmp_eq_u64 s[20:21], s[26:27]
	s_cbranch_scc0 .LBB544_317
; %bb.320:                              ;   in Loop: Header=BB544_319 Depth=1
                                        ; implicit-def: $vgpr30_vgpr31
                                        ; implicit-def: $vgpr26_vgpr27
	s_mov_b64 s[26:27], s[12:13]
	s_branch .LBB544_318
.LBB544_321:
	s_or_b64 exec, exec, s[22:23]
	v_cmp_gt_i64_e32 vcc, s[12:13], v[32:33]
	s_mov_b32 s7, 0
	v_mov_b32_e32 v53, s7
	v_cndmask_b32_e64 v52, 0, 1, vcc
.LBB544_322:
	s_or_b64 exec, exec, s[4:5]
.LBB544_323:
	v_mul_lo_u32 v1, v21, s12
	v_mul_lo_u32 v30, v20, s13
	v_mad_u64_u32 v[26:27], s[4:5], v20, s12, 0
	v_add3_u32 v27, v27, v30, v1
	s_and_b64 vcc, exec, s[2:3]
	v_lshl_add_u64 v[26:27], v[26:27], 3, s[14:15]
	s_cbranch_vccnz .LBB544_332
; %bb.324:
	global_load_dwordx2 v[30:31], v[28:29], off
	global_load_dwordx2 v[32:33], v[26:27], off
	v_mov_b64_e32 v[46:47], 1
	s_waitcnt vmcnt(0)
	v_cmp_eq_u64_e32 vcc, v[30:31], v[32:33]
	s_and_saveexec_b64 s[4:5], vcc
	s_cbranch_execz .LBB544_331
; %bb.325:
	s_add_u32 s20, s12, -1
	v_lshl_add_u64 v[30:31], v[26:27], 0, 8
	v_lshl_add_u64 v[28:29], v[28:29], 0, 8
	s_addc_u32 s21, s13, -1
	s_mov_b64 s[22:23], 0
	s_mov_b64 s[26:27], 0
                                        ; implicit-def: $sgpr24_sgpr25
	s_branch .LBB544_328
.LBB544_326:                            ;   in Loop: Header=BB544_328 Depth=1
	global_load_dwordx2 v[32:33], v[28:29], off
	global_load_dwordx2 v[34:35], v[30:31], off
	s_add_u32 s26, s26, 1
	s_addc_u32 s27, s27, 0
	s_andn2_b64 s[24:25], s[24:25], exec
	v_lshl_add_u64 v[30:31], v[30:31], 0, 8
	v_lshl_add_u64 v[28:29], v[28:29], 0, 8
	s_waitcnt vmcnt(0)
	v_cmp_ne_u64_e32 vcc, v[32:33], v[34:35]
	s_and_b64 s[28:29], vcc, exec
	s_or_b64 s[24:25], s[24:25], s[28:29]
.LBB544_327:                            ;   in Loop: Header=BB544_328 Depth=1
	s_and_b64 s[28:29], exec, s[24:25]
	s_or_b64 s[22:23], s[28:29], s[22:23]
	v_mov_b64_e32 v[32:33], s[26:27]
	s_andn2_b64 exec, exec, s[22:23]
	s_cbranch_execz .LBB544_330
.LBB544_328:                            ; =>This Inner Loop Header: Depth=1
	s_or_b64 s[24:25], s[24:25], exec
	s_cmp_eq_u64 s[20:21], s[26:27]
	s_cbranch_scc0 .LBB544_326
; %bb.329:                              ;   in Loop: Header=BB544_328 Depth=1
                                        ; implicit-def: $vgpr30_vgpr31
                                        ; implicit-def: $vgpr28_vgpr29
	s_mov_b64 s[26:27], s[12:13]
	s_branch .LBB544_327
.LBB544_330:
	s_or_b64 exec, exec, s[22:23]
	v_cmp_gt_i64_e32 vcc, s[12:13], v[32:33]
	s_mov_b32 s7, 0
	v_mov_b32_e32 v47, s7
	v_cndmask_b32_e64 v46, 0, 1, vcc
.LBB544_331:
	s_or_b64 exec, exec, s[4:5]
.LBB544_332:
	v_mul_lo_u32 v1, v19, s12
	v_mul_lo_u32 v30, v18, s13
	v_mad_u64_u32 v[28:29], s[4:5], v18, s12, 0
	v_add3_u32 v29, v29, v30, v1
	v_mov_b64_e32 v[56:57], 0
	s_and_b64 vcc, exec, s[2:3]
	v_lshl_add_u64 v[28:29], v[28:29], 3, s[14:15]
	v_mov_b64_e32 v[54:55], v[56:57]
	s_cbranch_vccnz .LBB544_341
; %bb.333:
	global_load_dwordx2 v[30:31], v[26:27], off
	global_load_dwordx2 v[32:33], v[28:29], off
	v_mov_b64_e32 v[54:55], 1
	s_waitcnt vmcnt(0)
	v_cmp_eq_u64_e32 vcc, v[30:31], v[32:33]
	s_and_saveexec_b64 s[4:5], vcc
	s_cbranch_execz .LBB544_340
; %bb.334:
	s_add_u32 s20, s12, -1
	v_lshl_add_u64 v[30:31], v[28:29], 0, 8
	v_lshl_add_u64 v[26:27], v[26:27], 0, 8
	s_addc_u32 s21, s13, -1
	s_mov_b64 s[22:23], 0
	s_mov_b64 s[26:27], 0
                                        ; implicit-def: $sgpr24_sgpr25
	s_branch .LBB544_337
.LBB544_335:                            ;   in Loop: Header=BB544_337 Depth=1
	global_load_dwordx2 v[32:33], v[26:27], off
	global_load_dwordx2 v[34:35], v[30:31], off
	s_add_u32 s26, s26, 1
	s_addc_u32 s27, s27, 0
	s_andn2_b64 s[24:25], s[24:25], exec
	v_lshl_add_u64 v[30:31], v[30:31], 0, 8
	v_lshl_add_u64 v[26:27], v[26:27], 0, 8
	s_waitcnt vmcnt(0)
	v_cmp_ne_u64_e32 vcc, v[32:33], v[34:35]
	s_and_b64 s[28:29], vcc, exec
	s_or_b64 s[24:25], s[24:25], s[28:29]
.LBB544_336:                            ;   in Loop: Header=BB544_337 Depth=1
	s_and_b64 s[28:29], exec, s[24:25]
	s_or_b64 s[22:23], s[28:29], s[22:23]
	v_mov_b64_e32 v[32:33], s[26:27]
	s_andn2_b64 exec, exec, s[22:23]
	s_cbranch_execz .LBB544_339
.LBB544_337:                            ; =>This Inner Loop Header: Depth=1
	s_or_b64 s[24:25], s[24:25], exec
	s_cmp_eq_u64 s[20:21], s[26:27]
	s_cbranch_scc0 .LBB544_335
; %bb.338:                              ;   in Loop: Header=BB544_337 Depth=1
                                        ; implicit-def: $vgpr30_vgpr31
                                        ; implicit-def: $vgpr26_vgpr27
	s_mov_b64 s[26:27], s[12:13]
	s_branch .LBB544_336
.LBB544_339:
	s_or_b64 exec, exec, s[22:23]
	v_cmp_gt_i64_e32 vcc, s[12:13], v[32:33]
	s_mov_b32 s7, 0
	v_mov_b32_e32 v55, s7
	v_cndmask_b32_e64 v54, 0, 1, vcc
.LBB544_340:
	s_or_b64 exec, exec, s[4:5]
.LBB544_341:
	v_mul_lo_u32 v1, v17, s12
	v_mul_lo_u32 v30, v16, s13
	v_mad_u64_u32 v[26:27], s[4:5], v16, s12, 0
	v_add3_u32 v27, v27, v30, v1
	s_and_b64 vcc, exec, s[2:3]
	v_lshl_add_u64 v[26:27], v[26:27], 3, s[14:15]
	s_cbranch_vccnz .LBB544_350
; %bb.342:
	global_load_dwordx2 v[30:31], v[28:29], off
	global_load_dwordx2 v[32:33], v[26:27], off
	v_mov_b64_e32 v[56:57], 1
	s_waitcnt vmcnt(0)
	v_cmp_eq_u64_e32 vcc, v[30:31], v[32:33]
	s_and_saveexec_b64 s[4:5], vcc
	s_cbranch_execz .LBB544_349
; %bb.343:
	s_add_u32 s20, s12, -1
	v_lshl_add_u64 v[30:31], v[26:27], 0, 8
	v_lshl_add_u64 v[28:29], v[28:29], 0, 8
	s_addc_u32 s21, s13, -1
	s_mov_b64 s[22:23], 0
	s_mov_b64 s[26:27], 0
                                        ; implicit-def: $sgpr24_sgpr25
	s_branch .LBB544_346
.LBB544_344:                            ;   in Loop: Header=BB544_346 Depth=1
	global_load_dwordx2 v[32:33], v[28:29], off
	global_load_dwordx2 v[34:35], v[30:31], off
	s_add_u32 s26, s26, 1
	s_addc_u32 s27, s27, 0
	s_andn2_b64 s[24:25], s[24:25], exec
	v_lshl_add_u64 v[30:31], v[30:31], 0, 8
	v_lshl_add_u64 v[28:29], v[28:29], 0, 8
	s_waitcnt vmcnt(0)
	v_cmp_ne_u64_e32 vcc, v[32:33], v[34:35]
	s_and_b64 s[28:29], vcc, exec
	s_or_b64 s[24:25], s[24:25], s[28:29]
.LBB544_345:                            ;   in Loop: Header=BB544_346 Depth=1
	s_and_b64 s[28:29], exec, s[24:25]
	s_or_b64 s[22:23], s[28:29], s[22:23]
	v_mov_b64_e32 v[32:33], s[26:27]
	s_andn2_b64 exec, exec, s[22:23]
	s_cbranch_execz .LBB544_348
.LBB544_346:                            ; =>This Inner Loop Header: Depth=1
	s_or_b64 s[24:25], s[24:25], exec
	s_cmp_eq_u64 s[20:21], s[26:27]
	s_cbranch_scc0 .LBB544_344
; %bb.347:                              ;   in Loop: Header=BB544_346 Depth=1
                                        ; implicit-def: $vgpr30_vgpr31
                                        ; implicit-def: $vgpr28_vgpr29
	s_mov_b64 s[26:27], s[12:13]
	s_branch .LBB544_345
.LBB544_348:
	s_or_b64 exec, exec, s[22:23]
	v_cmp_gt_i64_e32 vcc, s[12:13], v[32:33]
	s_mov_b32 s7, 0
	v_mov_b32_e32 v57, s7
	v_cndmask_b32_e64 v56, 0, 1, vcc
.LBB544_349:
	s_or_b64 exec, exec, s[4:5]
.LBB544_350:
	v_mul_lo_u32 v1, v15, s12
	v_mul_lo_u32 v30, v14, s13
	v_mad_u64_u32 v[28:29], s[4:5], v14, s12, 0
	v_add3_u32 v29, v29, v30, v1
	v_mov_b64_e32 v[60:61], 0
	s_and_b64 vcc, exec, s[2:3]
	v_lshl_add_u64 v[28:29], v[28:29], 3, s[14:15]
	v_mov_b64_e32 v[58:59], v[60:61]
	s_cbranch_vccnz .LBB544_359
; %bb.351:
	global_load_dwordx2 v[30:31], v[26:27], off
	global_load_dwordx2 v[32:33], v[28:29], off
	v_mov_b64_e32 v[58:59], 1
	s_waitcnt vmcnt(0)
	v_cmp_eq_u64_e32 vcc, v[30:31], v[32:33]
	s_and_saveexec_b64 s[4:5], vcc
	s_cbranch_execz .LBB544_358
; %bb.352:
	s_add_u32 s20, s12, -1
	v_lshl_add_u64 v[30:31], v[28:29], 0, 8
	v_lshl_add_u64 v[26:27], v[26:27], 0, 8
	s_addc_u32 s21, s13, -1
	s_mov_b64 s[22:23], 0
	s_mov_b64 s[26:27], 0
                                        ; implicit-def: $sgpr24_sgpr25
	s_branch .LBB544_355
.LBB544_353:                            ;   in Loop: Header=BB544_355 Depth=1
	global_load_dwordx2 v[32:33], v[26:27], off
	global_load_dwordx2 v[34:35], v[30:31], off
	s_add_u32 s26, s26, 1
	s_addc_u32 s27, s27, 0
	s_andn2_b64 s[24:25], s[24:25], exec
	v_lshl_add_u64 v[30:31], v[30:31], 0, 8
	v_lshl_add_u64 v[26:27], v[26:27], 0, 8
	s_waitcnt vmcnt(0)
	v_cmp_ne_u64_e32 vcc, v[32:33], v[34:35]
	s_and_b64 s[28:29], vcc, exec
	s_or_b64 s[24:25], s[24:25], s[28:29]
.LBB544_354:                            ;   in Loop: Header=BB544_355 Depth=1
	s_and_b64 s[28:29], exec, s[24:25]
	s_or_b64 s[22:23], s[28:29], s[22:23]
	v_mov_b64_e32 v[32:33], s[26:27]
	s_andn2_b64 exec, exec, s[22:23]
	s_cbranch_execz .LBB544_357
.LBB544_355:                            ; =>This Inner Loop Header: Depth=1
	s_or_b64 s[24:25], s[24:25], exec
	s_cmp_eq_u64 s[20:21], s[26:27]
	s_cbranch_scc0 .LBB544_353
; %bb.356:                              ;   in Loop: Header=BB544_355 Depth=1
                                        ; implicit-def: $vgpr30_vgpr31
                                        ; implicit-def: $vgpr26_vgpr27
	s_mov_b64 s[26:27], s[12:13]
	s_branch .LBB544_354
.LBB544_357:
	s_or_b64 exec, exec, s[22:23]
	v_cmp_gt_i64_e32 vcc, s[12:13], v[32:33]
	s_mov_b32 s7, 0
	v_mov_b32_e32 v59, s7
	v_cndmask_b32_e64 v58, 0, 1, vcc
.LBB544_358:
	s_or_b64 exec, exec, s[4:5]
.LBB544_359:
	v_mul_lo_u32 v1, v13, s12
	v_mul_lo_u32 v30, v12, s13
	v_mad_u64_u32 v[26:27], s[4:5], v12, s12, 0
	v_add3_u32 v27, v27, v30, v1
	s_and_b64 vcc, exec, s[2:3]
	v_lshl_add_u64 v[26:27], v[26:27], 3, s[14:15]
	s_cbranch_vccnz .LBB544_368
; %bb.360:
	global_load_dwordx2 v[30:31], v[28:29], off
	global_load_dwordx2 v[32:33], v[26:27], off
	v_mov_b64_e32 v[60:61], 1
	s_waitcnt vmcnt(0)
	v_cmp_eq_u64_e32 vcc, v[30:31], v[32:33]
	s_and_saveexec_b64 s[4:5], vcc
	s_cbranch_execz .LBB544_367
; %bb.361:
	s_add_u32 s20, s12, -1
	v_lshl_add_u64 v[30:31], v[26:27], 0, 8
	v_lshl_add_u64 v[28:29], v[28:29], 0, 8
	s_addc_u32 s21, s13, -1
	s_mov_b64 s[22:23], 0
	s_mov_b64 s[26:27], 0
                                        ; implicit-def: $sgpr24_sgpr25
	s_branch .LBB544_364
.LBB544_362:                            ;   in Loop: Header=BB544_364 Depth=1
	global_load_dwordx2 v[32:33], v[28:29], off
	global_load_dwordx2 v[34:35], v[30:31], off
	s_add_u32 s26, s26, 1
	s_addc_u32 s27, s27, 0
	s_andn2_b64 s[24:25], s[24:25], exec
	v_lshl_add_u64 v[30:31], v[30:31], 0, 8
	v_lshl_add_u64 v[28:29], v[28:29], 0, 8
	s_waitcnt vmcnt(0)
	v_cmp_ne_u64_e32 vcc, v[32:33], v[34:35]
	s_and_b64 s[28:29], vcc, exec
	s_or_b64 s[24:25], s[24:25], s[28:29]
.LBB544_363:                            ;   in Loop: Header=BB544_364 Depth=1
	s_and_b64 s[28:29], exec, s[24:25]
	s_or_b64 s[22:23], s[28:29], s[22:23]
	v_mov_b64_e32 v[32:33], s[26:27]
	s_andn2_b64 exec, exec, s[22:23]
	s_cbranch_execz .LBB544_366
.LBB544_364:                            ; =>This Inner Loop Header: Depth=1
	s_or_b64 s[24:25], s[24:25], exec
	s_cmp_eq_u64 s[20:21], s[26:27]
	s_cbranch_scc0 .LBB544_362
; %bb.365:                              ;   in Loop: Header=BB544_364 Depth=1
                                        ; implicit-def: $vgpr30_vgpr31
                                        ; implicit-def: $vgpr28_vgpr29
	s_mov_b64 s[26:27], s[12:13]
	s_branch .LBB544_363
.LBB544_366:
	s_or_b64 exec, exec, s[22:23]
	v_cmp_gt_i64_e32 vcc, s[12:13], v[32:33]
	s_mov_b32 s7, 0
	v_mov_b32_e32 v61, s7
	v_cndmask_b32_e64 v60, 0, 1, vcc
.LBB544_367:
	s_or_b64 exec, exec, s[4:5]
.LBB544_368:
	v_mul_lo_u32 v1, v11, s12
	v_mul_lo_u32 v30, v10, s13
	v_mad_u64_u32 v[28:29], s[4:5], v10, s12, 0
	v_add3_u32 v29, v29, v30, v1
	v_mov_b64_e32 v[64:65], 0
	s_and_b64 vcc, exec, s[2:3]
	v_lshl_add_u64 v[28:29], v[28:29], 3, s[14:15]
	v_mov_b64_e32 v[62:63], v[64:65]
	s_cbranch_vccnz .LBB544_377
; %bb.369:
	global_load_dwordx2 v[30:31], v[26:27], off
	global_load_dwordx2 v[32:33], v[28:29], off
	v_mov_b64_e32 v[62:63], 1
	s_waitcnt vmcnt(0)
	v_cmp_eq_u64_e32 vcc, v[30:31], v[32:33]
	s_and_saveexec_b64 s[4:5], vcc
	s_cbranch_execz .LBB544_376
; %bb.370:
	s_add_u32 s20, s12, -1
	v_lshl_add_u64 v[30:31], v[28:29], 0, 8
	v_lshl_add_u64 v[26:27], v[26:27], 0, 8
	s_addc_u32 s21, s13, -1
	s_mov_b64 s[22:23], 0
	s_mov_b64 s[26:27], 0
                                        ; implicit-def: $sgpr24_sgpr25
	s_branch .LBB544_373
.LBB544_371:                            ;   in Loop: Header=BB544_373 Depth=1
	global_load_dwordx2 v[32:33], v[26:27], off
	global_load_dwordx2 v[34:35], v[30:31], off
	s_add_u32 s26, s26, 1
	s_addc_u32 s27, s27, 0
	s_andn2_b64 s[24:25], s[24:25], exec
	v_lshl_add_u64 v[30:31], v[30:31], 0, 8
	v_lshl_add_u64 v[26:27], v[26:27], 0, 8
	s_waitcnt vmcnt(0)
	v_cmp_ne_u64_e32 vcc, v[32:33], v[34:35]
	s_and_b64 s[28:29], vcc, exec
	s_or_b64 s[24:25], s[24:25], s[28:29]
.LBB544_372:                            ;   in Loop: Header=BB544_373 Depth=1
	s_and_b64 s[28:29], exec, s[24:25]
	s_or_b64 s[22:23], s[28:29], s[22:23]
	v_mov_b64_e32 v[32:33], s[26:27]
	s_andn2_b64 exec, exec, s[22:23]
	s_cbranch_execz .LBB544_375
.LBB544_373:                            ; =>This Inner Loop Header: Depth=1
	s_or_b64 s[24:25], s[24:25], exec
	s_cmp_eq_u64 s[20:21], s[26:27]
	s_cbranch_scc0 .LBB544_371
; %bb.374:                              ;   in Loop: Header=BB544_373 Depth=1
                                        ; implicit-def: $vgpr30_vgpr31
                                        ; implicit-def: $vgpr26_vgpr27
	s_mov_b64 s[26:27], s[12:13]
	s_branch .LBB544_372
.LBB544_375:
	s_or_b64 exec, exec, s[22:23]
	v_cmp_gt_i64_e32 vcc, s[12:13], v[32:33]
	s_mov_b32 s7, 0
	v_mov_b32_e32 v63, s7
	v_cndmask_b32_e64 v62, 0, 1, vcc
.LBB544_376:
	s_or_b64 exec, exec, s[4:5]
.LBB544_377:
	v_mul_lo_u32 v1, v9, s12
	v_mul_lo_u32 v30, v8, s13
	v_mad_u64_u32 v[26:27], s[4:5], v8, s12, 0
	v_add3_u32 v27, v27, v30, v1
	s_and_b64 vcc, exec, s[2:3]
	v_lshl_add_u64 v[26:27], v[26:27], 3, s[14:15]
	s_cbranch_vccnz .LBB544_386
; %bb.378:
	global_load_dwordx2 v[30:31], v[28:29], off
	global_load_dwordx2 v[32:33], v[26:27], off
	v_mov_b64_e32 v[64:65], 1
	s_waitcnt vmcnt(0)
	v_cmp_eq_u64_e32 vcc, v[30:31], v[32:33]
	s_and_saveexec_b64 s[4:5], vcc
	s_cbranch_execz .LBB544_385
; %bb.379:
	s_add_u32 s20, s12, -1
	v_lshl_add_u64 v[30:31], v[26:27], 0, 8
	v_lshl_add_u64 v[28:29], v[28:29], 0, 8
	s_addc_u32 s21, s13, -1
	s_mov_b64 s[22:23], 0
	s_mov_b64 s[26:27], 0
                                        ; implicit-def: $sgpr24_sgpr25
	s_branch .LBB544_382
.LBB544_380:                            ;   in Loop: Header=BB544_382 Depth=1
	global_load_dwordx2 v[32:33], v[28:29], off
	global_load_dwordx2 v[34:35], v[30:31], off
	s_add_u32 s26, s26, 1
	s_addc_u32 s27, s27, 0
	s_andn2_b64 s[24:25], s[24:25], exec
	v_lshl_add_u64 v[30:31], v[30:31], 0, 8
	v_lshl_add_u64 v[28:29], v[28:29], 0, 8
	s_waitcnt vmcnt(0)
	v_cmp_ne_u64_e32 vcc, v[32:33], v[34:35]
	s_and_b64 s[28:29], vcc, exec
	s_or_b64 s[24:25], s[24:25], s[28:29]
.LBB544_381:                            ;   in Loop: Header=BB544_382 Depth=1
	s_and_b64 s[28:29], exec, s[24:25]
	s_or_b64 s[22:23], s[28:29], s[22:23]
	v_mov_b64_e32 v[32:33], s[26:27]
	s_andn2_b64 exec, exec, s[22:23]
	s_cbranch_execz .LBB544_384
.LBB544_382:                            ; =>This Inner Loop Header: Depth=1
	s_or_b64 s[24:25], s[24:25], exec
	s_cmp_eq_u64 s[20:21], s[26:27]
	s_cbranch_scc0 .LBB544_380
; %bb.383:                              ;   in Loop: Header=BB544_382 Depth=1
                                        ; implicit-def: $vgpr30_vgpr31
                                        ; implicit-def: $vgpr28_vgpr29
	s_mov_b64 s[26:27], s[12:13]
	s_branch .LBB544_381
.LBB544_384:
	s_or_b64 exec, exec, s[22:23]
	v_cmp_gt_i64_e32 vcc, s[12:13], v[32:33]
	s_mov_b32 s7, 0
	v_mov_b32_e32 v65, s7
	v_cndmask_b32_e64 v64, 0, 1, vcc
.LBB544_385:
	s_or_b64 exec, exec, s[4:5]
.LBB544_386:
	v_mul_lo_u32 v1, v7, s12
	v_mul_lo_u32 v30, v6, s13
	v_mad_u64_u32 v[28:29], s[4:5], v6, s12, 0
	v_add3_u32 v29, v29, v30, v1
	v_mov_b64_e32 v[68:69], 0
	s_and_b64 vcc, exec, s[2:3]
	v_lshl_add_u64 v[28:29], v[28:29], 3, s[14:15]
	v_mov_b64_e32 v[66:67], v[68:69]
	s_cbranch_vccnz .LBB544_395
; %bb.387:
	global_load_dwordx2 v[30:31], v[26:27], off
	global_load_dwordx2 v[32:33], v[28:29], off
	v_mov_b64_e32 v[66:67], 1
	s_waitcnt vmcnt(0)
	v_cmp_eq_u64_e32 vcc, v[30:31], v[32:33]
	s_and_saveexec_b64 s[4:5], vcc
	s_cbranch_execz .LBB544_394
; %bb.388:
	s_add_u32 s20, s12, -1
	v_lshl_add_u64 v[30:31], v[28:29], 0, 8
	v_lshl_add_u64 v[26:27], v[26:27], 0, 8
	s_addc_u32 s21, s13, -1
	s_mov_b64 s[22:23], 0
	s_mov_b64 s[26:27], 0
                                        ; implicit-def: $sgpr24_sgpr25
	s_branch .LBB544_391
.LBB544_389:                            ;   in Loop: Header=BB544_391 Depth=1
	global_load_dwordx2 v[32:33], v[26:27], off
	global_load_dwordx2 v[34:35], v[30:31], off
	s_add_u32 s26, s26, 1
	s_addc_u32 s27, s27, 0
	s_andn2_b64 s[24:25], s[24:25], exec
	v_lshl_add_u64 v[30:31], v[30:31], 0, 8
	v_lshl_add_u64 v[26:27], v[26:27], 0, 8
	s_waitcnt vmcnt(0)
	v_cmp_ne_u64_e32 vcc, v[32:33], v[34:35]
	s_and_b64 s[28:29], vcc, exec
	s_or_b64 s[24:25], s[24:25], s[28:29]
.LBB544_390:                            ;   in Loop: Header=BB544_391 Depth=1
	s_and_b64 s[28:29], exec, s[24:25]
	s_or_b64 s[22:23], s[28:29], s[22:23]
	v_mov_b64_e32 v[32:33], s[26:27]
	s_andn2_b64 exec, exec, s[22:23]
	s_cbranch_execz .LBB544_393
.LBB544_391:                            ; =>This Inner Loop Header: Depth=1
	s_or_b64 s[24:25], s[24:25], exec
	s_cmp_eq_u64 s[20:21], s[26:27]
	s_cbranch_scc0 .LBB544_389
; %bb.392:                              ;   in Loop: Header=BB544_391 Depth=1
                                        ; implicit-def: $vgpr30_vgpr31
                                        ; implicit-def: $vgpr26_vgpr27
	s_mov_b64 s[26:27], s[12:13]
	s_branch .LBB544_390
.LBB544_393:
	s_or_b64 exec, exec, s[22:23]
	v_cmp_gt_i64_e32 vcc, s[12:13], v[32:33]
	s_mov_b32 s7, 0
	v_mov_b32_e32 v67, s7
	v_cndmask_b32_e64 v66, 0, 1, vcc
.LBB544_394:
	s_or_b64 exec, exec, s[4:5]
.LBB544_395:
	v_mul_lo_u32 v1, v5, s12
	v_mul_lo_u32 v30, v4, s13
	v_mad_u64_u32 v[26:27], s[4:5], v4, s12, 0
	v_add3_u32 v27, v27, v30, v1
	s_and_b64 vcc, exec, s[2:3]
	v_lshl_add_u64 v[26:27], v[26:27], 3, s[14:15]
	s_cbranch_vccnz .LBB544_404
; %bb.396:
	global_load_dwordx2 v[30:31], v[28:29], off
	global_load_dwordx2 v[32:33], v[26:27], off
	v_mov_b64_e32 v[68:69], 1
	s_waitcnt vmcnt(0)
	v_cmp_eq_u64_e32 vcc, v[30:31], v[32:33]
	s_and_saveexec_b64 s[4:5], vcc
	s_cbranch_execz .LBB544_403
; %bb.397:
	s_add_u32 s20, s12, -1
	v_lshl_add_u64 v[30:31], v[26:27], 0, 8
	v_lshl_add_u64 v[28:29], v[28:29], 0, 8
	s_addc_u32 s21, s13, -1
	s_mov_b64 s[22:23], 0
	s_mov_b64 s[26:27], 0
                                        ; implicit-def: $sgpr24_sgpr25
	s_branch .LBB544_400
.LBB544_398:                            ;   in Loop: Header=BB544_400 Depth=1
	global_load_dwordx2 v[32:33], v[28:29], off
	global_load_dwordx2 v[34:35], v[30:31], off
	s_add_u32 s26, s26, 1
	s_addc_u32 s27, s27, 0
	s_andn2_b64 s[24:25], s[24:25], exec
	v_lshl_add_u64 v[30:31], v[30:31], 0, 8
	v_lshl_add_u64 v[28:29], v[28:29], 0, 8
	s_waitcnt vmcnt(0)
	v_cmp_ne_u64_e32 vcc, v[32:33], v[34:35]
	s_and_b64 s[28:29], vcc, exec
	s_or_b64 s[24:25], s[24:25], s[28:29]
.LBB544_399:                            ;   in Loop: Header=BB544_400 Depth=1
	s_and_b64 s[28:29], exec, s[24:25]
	s_or_b64 s[22:23], s[28:29], s[22:23]
	v_mov_b64_e32 v[32:33], s[26:27]
	s_andn2_b64 exec, exec, s[22:23]
	s_cbranch_execz .LBB544_402
.LBB544_400:                            ; =>This Inner Loop Header: Depth=1
	s_or_b64 s[24:25], s[24:25], exec
	s_cmp_eq_u64 s[20:21], s[26:27]
	s_cbranch_scc0 .LBB544_398
; %bb.401:                              ;   in Loop: Header=BB544_400 Depth=1
                                        ; implicit-def: $vgpr30_vgpr31
                                        ; implicit-def: $vgpr28_vgpr29
	s_mov_b64 s[26:27], s[12:13]
	s_branch .LBB544_399
.LBB544_402:
	s_or_b64 exec, exec, s[22:23]
	v_cmp_gt_i64_e32 vcc, s[12:13], v[32:33]
	s_mov_b32 s7, 0
	v_mov_b32_e32 v69, s7
	v_cndmask_b32_e64 v68, 0, 1, vcc
.LBB544_403:
	s_or_b64 exec, exec, s[4:5]
.LBB544_404:
	s_and_b64 vcc, exec, s[2:3]
	s_cbranch_vccnz .LBB544_411
; %bb.405:
	v_mul_lo_u32 v1, v3, s12
	v_mul_lo_u32 v30, v2, s13
	v_mad_u64_u32 v[28:29], s[4:5], v2, s12, 0
	v_add3_u32 v29, v29, v30, v1
	v_lshl_add_u64 v[28:29], v[28:29], 3, s[14:15]
	global_load_dwordx2 v[30:31], v[26:27], off
	global_load_dwordx2 v[32:33], v[28:29], off
	v_mov_b64_e32 v[70:71], 1
	s_waitcnt vmcnt(0)
	v_cmp_eq_u64_e32 vcc, v[30:31], v[32:33]
	s_and_saveexec_b64 s[4:5], vcc
	s_cbranch_execz .LBB544_413
; %bb.406:
	s_add_u32 s20, s12, -1
	v_lshl_add_u64 v[28:29], v[28:29], 0, 8
	v_lshl_add_u64 v[26:27], v[26:27], 0, 8
	s_addc_u32 s21, s13, -1
	s_mov_b64 s[22:23], 0
	s_mov_b64 s[26:27], 0
                                        ; implicit-def: $sgpr24_sgpr25
	s_branch .LBB544_409
.LBB544_407:                            ;   in Loop: Header=BB544_409 Depth=1
	global_load_dwordx2 v[30:31], v[26:27], off
	global_load_dwordx2 v[32:33], v[28:29], off
	s_add_u32 s26, s26, 1
	s_addc_u32 s27, s27, 0
	s_andn2_b64 s[24:25], s[24:25], exec
	v_lshl_add_u64 v[28:29], v[28:29], 0, 8
	v_lshl_add_u64 v[26:27], v[26:27], 0, 8
	s_waitcnt vmcnt(0)
	v_cmp_ne_u64_e32 vcc, v[30:31], v[32:33]
	s_and_b64 s[28:29], vcc, exec
	s_or_b64 s[24:25], s[24:25], s[28:29]
.LBB544_408:                            ;   in Loop: Header=BB544_409 Depth=1
	s_and_b64 s[28:29], exec, s[24:25]
	s_or_b64 s[22:23], s[28:29], s[22:23]
	v_mov_b64_e32 v[30:31], s[26:27]
	s_andn2_b64 exec, exec, s[22:23]
	s_cbranch_execz .LBB544_412
.LBB544_409:                            ; =>This Inner Loop Header: Depth=1
	s_or_b64 s[24:25], s[24:25], exec
	s_cmp_eq_u64 s[20:21], s[26:27]
	s_cbranch_scc0 .LBB544_407
; %bb.410:                              ;   in Loop: Header=BB544_409 Depth=1
                                        ; implicit-def: $vgpr28_vgpr29
                                        ; implicit-def: $vgpr26_vgpr27
	s_mov_b64 s[26:27], s[12:13]
	s_branch .LBB544_408
.LBB544_411:
	v_mov_b64_e32 v[70:71], 0
	s_branch .LBB544_414
.LBB544_412:
	s_or_b64 exec, exec, s[22:23]
	v_cmp_gt_i64_e32 vcc, s[12:13], v[30:31]
	s_mov_b32 s7, 0
	v_mov_b32_e32 v71, s7
	v_cndmask_b32_e64 v70, 0, 1, vcc
.LBB544_413:
	s_or_b64 exec, exec, s[4:5]
.LBB544_414:
	v_cmp_ne_u32_e32 vcc, 0, v0
	s_waitcnt lgkmcnt(0)
	; wave barrier
	s_waitcnt lgkmcnt(0)
                                        ; implicit-def: $sgpr24_sgpr25
	s_and_saveexec_b64 s[4:5], vcc
	s_cbranch_execz .LBB544_426
; %bb.415:
	s_and_b64 vcc, exec, s[2:3]
	s_cbranch_vccnz .LBB544_422
; %bb.416:
	v_add_u32_e32 v26, -8, v48
	ds_read_b64 v[26:27], v26
	v_mul_lo_u32 v1, v3, s12
	v_mul_lo_u32 v30, v2, s13
	v_mad_u64_u32 v[28:29], s[2:3], v2, s12, 0
	v_add3_u32 v29, v29, v30, v1
	s_waitcnt lgkmcnt(0)
	v_mul_lo_u32 v1, v27, s12
	v_mul_lo_u32 v30, v26, s13
	v_mad_u64_u32 v[26:27], s[2:3], v26, s12, 0
	v_add3_u32 v27, v27, v30, v1
	v_lshl_add_u64 v[28:29], v[28:29], 3, s[14:15]
	v_lshl_add_u64 v[26:27], v[26:27], 3, s[14:15]
	global_load_dwordx2 v[30:31], v[28:29], off
	global_load_dwordx2 v[32:33], v[26:27], off
	s_mov_b64 s[20:21], -1
	s_waitcnt vmcnt(0)
	v_cmp_eq_u64_e32 vcc, v[30:31], v[32:33]
	s_and_saveexec_b64 s[2:3], vcc
	s_cbranch_execz .LBB544_424
; %bb.417:
	s_add_u32 s20, s12, -1
	v_lshl_add_u64 v[26:27], v[26:27], 0, 8
	v_lshl_add_u64 v[28:29], v[28:29], 0, 8
	s_addc_u32 s21, s13, -1
	s_mov_b64 s[22:23], 0
	s_mov_b64 s[26:27], 0
                                        ; implicit-def: $sgpr24_sgpr25
	s_branch .LBB544_420
.LBB544_418:                            ;   in Loop: Header=BB544_420 Depth=1
	global_load_dwordx2 v[30:31], v[28:29], off
	global_load_dwordx2 v[32:33], v[26:27], off
	s_add_u32 s26, s26, 1
	s_addc_u32 s27, s27, 0
	s_andn2_b64 s[24:25], s[24:25], exec
	v_lshl_add_u64 v[26:27], v[26:27], 0, 8
	v_lshl_add_u64 v[28:29], v[28:29], 0, 8
	s_waitcnt vmcnt(0)
	v_cmp_ne_u64_e32 vcc, v[30:31], v[32:33]
	s_and_b64 s[28:29], vcc, exec
	s_or_b64 s[24:25], s[24:25], s[28:29]
.LBB544_419:                            ;   in Loop: Header=BB544_420 Depth=1
	s_and_b64 s[28:29], exec, s[24:25]
	s_or_b64 s[22:23], s[28:29], s[22:23]
	v_mov_b64_e32 v[30:31], s[26:27]
	s_andn2_b64 exec, exec, s[22:23]
	s_cbranch_execz .LBB544_423
.LBB544_420:                            ; =>This Inner Loop Header: Depth=1
	s_or_b64 s[24:25], s[24:25], exec
	s_cmp_eq_u64 s[20:21], s[26:27]
	s_cbranch_scc0 .LBB544_418
; %bb.421:                              ;   in Loop: Header=BB544_420 Depth=1
                                        ; implicit-def: $vgpr26_vgpr27
                                        ; implicit-def: $vgpr28_vgpr29
	s_mov_b64 s[26:27], s[12:13]
	s_branch .LBB544_419
.LBB544_422:
	s_mov_b64 s[20:21], 0
	s_branch .LBB544_425
.LBB544_423:
	s_or_b64 exec, exec, s[22:23]
	v_cmp_gt_i64_e32 vcc, s[12:13], v[30:31]
	s_orn2_b64 s[20:21], vcc, exec
.LBB544_424:
	s_or_b64 exec, exec, s[2:3]
.LBB544_425:
	s_and_b64 s[24:25], s[20:21], exec
	s_or_b64 s[18:19], s[18:19], exec
.LBB544_426:
	s_or_b64 exec, exec, s[4:5]
	v_mov_b64_e32 v[72:73], v[52:53]
	v_mov_b64_e32 v[26:27], v[46:47]
	;; [unrolled: 1-line block ×11, first 2 shown]
	s_branch .LBB544_572
.LBB544_427:
	s_waitcnt lgkmcnt(0)
	v_mad_u32_u24 v26, v0, 13, 12
	v_cmp_gt_i64_e64 s[2:3], s[12:13], 0
	v_cmp_gt_u32_e32 vcc, s10, v26
	v_mul_u32_u24_e32 v1, 13, v0
	v_cndmask_b32_e64 v26, 0, 1, s[2:3]
	v_cmp_ne_u32_e64 s[2:3], 1, v26
	ds_write_b64 v48, v[44:45]
	s_and_saveexec_b64 s[4:5], vcc
	s_cbranch_execz .LBB544_438
; %bb.428:
	s_and_b64 vcc, exec, s[2:3]
	s_cbranch_vccnz .LBB544_435
; %bb.429:
	v_mul_lo_u32 v28, v45, s12
	v_mul_lo_u32 v29, v44, s13
	v_mad_u64_u32 v[26:27], s[20:21], v44, s12, 0
	v_add3_u32 v27, v27, v29, v28
	v_mul_lo_u32 v28, v25, s12
	v_mul_lo_u32 v29, v24, s13
	v_mad_u64_u32 v[30:31], s[20:21], v24, s12, 0
	v_add3_u32 v31, v31, v29, v28
	v_lshl_add_u64 v[28:29], v[26:27], 3, s[14:15]
	v_lshl_add_u64 v[26:27], v[30:31], 3, s[14:15]
	global_load_dwordx2 v[30:31], v[28:29], off
	global_load_dwordx2 v[32:33], v[26:27], off
	v_mov_b64_e32 v[44:45], 1
	s_waitcnt vmcnt(0)
	v_cmp_eq_u64_e32 vcc, v[30:31], v[32:33]
	s_and_saveexec_b64 s[20:21], vcc
	s_cbranch_execz .LBB544_437
; %bb.430:
	s_add_u32 s22, s12, -1
	v_lshl_add_u64 v[26:27], v[26:27], 0, 8
	v_lshl_add_u64 v[28:29], v[28:29], 0, 8
	s_addc_u32 s23, s13, -1
	s_mov_b64 s[24:25], 0
	s_mov_b64 s[28:29], 0
                                        ; implicit-def: $sgpr26_sgpr27
	s_branch .LBB544_433
.LBB544_431:                            ;   in Loop: Header=BB544_433 Depth=1
	global_load_dwordx2 v[30:31], v[28:29], off
	global_load_dwordx2 v[32:33], v[26:27], off
	s_add_u32 s28, s28, 1
	s_addc_u32 s29, s29, 0
	s_andn2_b64 s[26:27], s[26:27], exec
	v_lshl_add_u64 v[26:27], v[26:27], 0, 8
	v_lshl_add_u64 v[28:29], v[28:29], 0, 8
	s_waitcnt vmcnt(0)
	v_cmp_ne_u64_e32 vcc, v[30:31], v[32:33]
	s_and_b64 s[30:31], vcc, exec
	s_or_b64 s[26:27], s[26:27], s[30:31]
.LBB544_432:                            ;   in Loop: Header=BB544_433 Depth=1
	s_and_b64 s[30:31], exec, s[26:27]
	s_or_b64 s[24:25], s[30:31], s[24:25]
	v_mov_b64_e32 v[30:31], s[28:29]
	s_andn2_b64 exec, exec, s[24:25]
	s_cbranch_execz .LBB544_436
.LBB544_433:                            ; =>This Inner Loop Header: Depth=1
	s_or_b64 s[26:27], s[26:27], exec
	s_cmp_eq_u64 s[22:23], s[28:29]
	s_cbranch_scc0 .LBB544_431
; %bb.434:                              ;   in Loop: Header=BB544_433 Depth=1
                                        ; implicit-def: $vgpr26_vgpr27
                                        ; implicit-def: $vgpr28_vgpr29
	s_mov_b64 s[28:29], s[12:13]
	s_branch .LBB544_432
.LBB544_435:
	v_mov_b64_e32 v[44:45], 0
	s_branch .LBB544_438
.LBB544_436:
	s_or_b64 exec, exec, s[24:25]
	v_cmp_gt_i64_e32 vcc, s[12:13], v[30:31]
	s_mov_b32 s7, 0
	v_mov_b32_e32 v45, s7
	v_cndmask_b32_e64 v44, 0, 1, vcc
.LBB544_437:
	s_or_b64 exec, exec, s[20:21]
.LBB544_438:
	s_or_b64 exec, exec, s[4:5]
	v_add_u32_e32 v26, 11, v1
	v_cmp_gt_u32_e32 vcc, s10, v26
	s_and_saveexec_b64 s[4:5], vcc
	s_cbranch_execz .LBB544_449
; %bb.439:
	s_and_b64 vcc, exec, s[2:3]
	s_cbranch_vccnz .LBB544_446
; %bb.440:
	v_mul_lo_u32 v26, v25, s12
	v_mul_lo_u32 v27, v24, s13
	v_mad_u64_u32 v[24:25], s[20:21], v24, s12, 0
	v_add3_u32 v25, v25, v27, v26
	v_mul_lo_u32 v26, v23, s12
	v_mul_lo_u32 v27, v22, s13
	v_mad_u64_u32 v[28:29], s[20:21], v22, s12, 0
	v_add3_u32 v29, v29, v27, v26
	v_lshl_add_u64 v[26:27], v[24:25], 3, s[14:15]
	v_lshl_add_u64 v[28:29], v[28:29], 3, s[14:15]
	global_load_dwordx2 v[24:25], v[26:27], off
	global_load_dwordx2 v[30:31], v[28:29], off
	s_waitcnt vmcnt(0)
	v_cmp_eq_u64_e32 vcc, v[24:25], v[30:31]
	v_mov_b64_e32 v[24:25], 1
	s_and_saveexec_b64 s[20:21], vcc
	s_cbranch_execz .LBB544_448
; %bb.441:
	s_add_u32 s22, s12, -1
	v_lshl_add_u64 v[24:25], v[28:29], 0, 8
	v_lshl_add_u64 v[26:27], v[26:27], 0, 8
	s_addc_u32 s23, s13, -1
	s_mov_b64 s[24:25], 0
	s_mov_b64 s[28:29], 0
                                        ; implicit-def: $sgpr26_sgpr27
	s_branch .LBB544_444
.LBB544_442:                            ;   in Loop: Header=BB544_444 Depth=1
	global_load_dwordx2 v[28:29], v[26:27], off
	global_load_dwordx2 v[30:31], v[24:25], off
	s_add_u32 s28, s28, 1
	s_addc_u32 s29, s29, 0
	s_andn2_b64 s[26:27], s[26:27], exec
	v_lshl_add_u64 v[24:25], v[24:25], 0, 8
	v_lshl_add_u64 v[26:27], v[26:27], 0, 8
	s_waitcnt vmcnt(0)
	v_cmp_ne_u64_e32 vcc, v[28:29], v[30:31]
	s_and_b64 s[30:31], vcc, exec
	s_or_b64 s[26:27], s[26:27], s[30:31]
.LBB544_443:                            ;   in Loop: Header=BB544_444 Depth=1
	s_and_b64 s[30:31], exec, s[26:27]
	s_or_b64 s[24:25], s[30:31], s[24:25]
	v_mov_b64_e32 v[28:29], s[28:29]
	s_andn2_b64 exec, exec, s[24:25]
	s_cbranch_execz .LBB544_447
.LBB544_444:                            ; =>This Inner Loop Header: Depth=1
	s_or_b64 s[26:27], s[26:27], exec
	s_cmp_eq_u64 s[22:23], s[28:29]
	s_cbranch_scc0 .LBB544_442
; %bb.445:                              ;   in Loop: Header=BB544_444 Depth=1
                                        ; implicit-def: $vgpr24_vgpr25
                                        ; implicit-def: $vgpr26_vgpr27
	s_mov_b64 s[28:29], s[12:13]
	s_branch .LBB544_443
.LBB544_446:
	v_mov_b64_e32 v[24:25], 0
	s_branch .LBB544_449
.LBB544_447:
	s_or_b64 exec, exec, s[24:25]
	v_cmp_gt_i64_e32 vcc, s[12:13], v[28:29]
	s_mov_b32 s7, 0
	v_mov_b32_e32 v25, s7
	v_cndmask_b32_e64 v24, 0, 1, vcc
.LBB544_448:
	s_or_b64 exec, exec, s[20:21]
.LBB544_449:
	s_or_b64 exec, exec, s[4:5]
	v_add_u32_e32 v26, 10, v1
	v_cmp_gt_u32_e32 vcc, s10, v26
	s_and_saveexec_b64 s[4:5], vcc
	s_cbranch_execz .LBB544_460
; %bb.450:
	s_and_b64 vcc, exec, s[2:3]
	s_cbranch_vccnz .LBB544_457
; %bb.451:
	v_mul_lo_u32 v26, v23, s12
	v_mul_lo_u32 v27, v22, s13
	v_mad_u64_u32 v[22:23], s[20:21], v22, s12, 0
	v_add3_u32 v23, v23, v27, v26
	v_mul_lo_u32 v26, v21, s12
	v_mul_lo_u32 v27, v20, s13
	v_mad_u64_u32 v[28:29], s[20:21], v20, s12, 0
	v_add3_u32 v29, v29, v27, v26
	v_lshl_add_u64 v[26:27], v[22:23], 3, s[14:15]
	v_lshl_add_u64 v[28:29], v[28:29], 3, s[14:15]
	global_load_dwordx2 v[22:23], v[26:27], off
	global_load_dwordx2 v[30:31], v[28:29], off
	s_waitcnt vmcnt(0)
	v_cmp_eq_u64_e32 vcc, v[22:23], v[30:31]
	v_mov_b64_e32 v[22:23], 1
	s_and_saveexec_b64 s[20:21], vcc
	s_cbranch_execz .LBB544_459
; %bb.452:
	s_add_u32 s22, s12, -1
	v_lshl_add_u64 v[22:23], v[28:29], 0, 8
	v_lshl_add_u64 v[26:27], v[26:27], 0, 8
	s_addc_u32 s23, s13, -1
	s_mov_b64 s[24:25], 0
	s_mov_b64 s[28:29], 0
                                        ; implicit-def: $sgpr26_sgpr27
	s_branch .LBB544_455
.LBB544_453:                            ;   in Loop: Header=BB544_455 Depth=1
	global_load_dwordx2 v[28:29], v[26:27], off
	global_load_dwordx2 v[30:31], v[22:23], off
	s_add_u32 s28, s28, 1
	s_addc_u32 s29, s29, 0
	s_andn2_b64 s[26:27], s[26:27], exec
	v_lshl_add_u64 v[22:23], v[22:23], 0, 8
	v_lshl_add_u64 v[26:27], v[26:27], 0, 8
	s_waitcnt vmcnt(0)
	v_cmp_ne_u64_e32 vcc, v[28:29], v[30:31]
	s_and_b64 s[30:31], vcc, exec
	s_or_b64 s[26:27], s[26:27], s[30:31]
.LBB544_454:                            ;   in Loop: Header=BB544_455 Depth=1
	s_and_b64 s[30:31], exec, s[26:27]
	s_or_b64 s[24:25], s[30:31], s[24:25]
	v_mov_b64_e32 v[28:29], s[28:29]
	s_andn2_b64 exec, exec, s[24:25]
	s_cbranch_execz .LBB544_458
.LBB544_455:                            ; =>This Inner Loop Header: Depth=1
	s_or_b64 s[26:27], s[26:27], exec
	s_cmp_eq_u64 s[22:23], s[28:29]
	s_cbranch_scc0 .LBB544_453
; %bb.456:                              ;   in Loop: Header=BB544_455 Depth=1
                                        ; implicit-def: $vgpr22_vgpr23
                                        ; implicit-def: $vgpr26_vgpr27
	s_mov_b64 s[28:29], s[12:13]
	s_branch .LBB544_454
.LBB544_457:
	v_mov_b64_e32 v[22:23], 0
	s_branch .LBB544_460
.LBB544_458:
	s_or_b64 exec, exec, s[24:25]
	v_cmp_gt_i64_e32 vcc, s[12:13], v[28:29]
	s_mov_b32 s7, 0
	v_mov_b32_e32 v23, s7
	v_cndmask_b32_e64 v22, 0, 1, vcc
.LBB544_459:
	s_or_b64 exec, exec, s[20:21]
.LBB544_460:
	s_or_b64 exec, exec, s[4:5]
	v_add_u32_e32 v26, 9, v1
	v_cmp_gt_u32_e32 vcc, s10, v26
	s_and_saveexec_b64 s[4:5], vcc
	s_cbranch_execz .LBB544_471
; %bb.461:
	s_and_b64 vcc, exec, s[2:3]
	s_cbranch_vccnz .LBB544_468
; %bb.462:
	v_mul_lo_u32 v26, v21, s12
	v_mul_lo_u32 v27, v20, s13
	v_mad_u64_u32 v[20:21], s[20:21], v20, s12, 0
	v_add3_u32 v21, v21, v27, v26
	v_mul_lo_u32 v26, v19, s12
	v_mul_lo_u32 v27, v18, s13
	v_mad_u64_u32 v[28:29], s[20:21], v18, s12, 0
	v_add3_u32 v29, v29, v27, v26
	v_lshl_add_u64 v[26:27], v[20:21], 3, s[14:15]
	v_lshl_add_u64 v[28:29], v[28:29], 3, s[14:15]
	global_load_dwordx2 v[20:21], v[26:27], off
	global_load_dwordx2 v[30:31], v[28:29], off
	s_waitcnt vmcnt(0)
	v_cmp_eq_u64_e32 vcc, v[20:21], v[30:31]
	v_mov_b64_e32 v[20:21], 1
	s_and_saveexec_b64 s[20:21], vcc
	s_cbranch_execz .LBB544_470
; %bb.463:
	s_add_u32 s22, s12, -1
	v_lshl_add_u64 v[20:21], v[28:29], 0, 8
	v_lshl_add_u64 v[26:27], v[26:27], 0, 8
	s_addc_u32 s23, s13, -1
	s_mov_b64 s[24:25], 0
	s_mov_b64 s[28:29], 0
                                        ; implicit-def: $sgpr26_sgpr27
	s_branch .LBB544_466
.LBB544_464:                            ;   in Loop: Header=BB544_466 Depth=1
	global_load_dwordx2 v[28:29], v[26:27], off
	global_load_dwordx2 v[30:31], v[20:21], off
	s_add_u32 s28, s28, 1
	s_addc_u32 s29, s29, 0
	s_andn2_b64 s[26:27], s[26:27], exec
	v_lshl_add_u64 v[20:21], v[20:21], 0, 8
	v_lshl_add_u64 v[26:27], v[26:27], 0, 8
	s_waitcnt vmcnt(0)
	v_cmp_ne_u64_e32 vcc, v[28:29], v[30:31]
	s_and_b64 s[30:31], vcc, exec
	s_or_b64 s[26:27], s[26:27], s[30:31]
.LBB544_465:                            ;   in Loop: Header=BB544_466 Depth=1
	s_and_b64 s[30:31], exec, s[26:27]
	s_or_b64 s[24:25], s[30:31], s[24:25]
	v_mov_b64_e32 v[28:29], s[28:29]
	s_andn2_b64 exec, exec, s[24:25]
	s_cbranch_execz .LBB544_469
.LBB544_466:                            ; =>This Inner Loop Header: Depth=1
	s_or_b64 s[26:27], s[26:27], exec
	s_cmp_eq_u64 s[22:23], s[28:29]
	s_cbranch_scc0 .LBB544_464
; %bb.467:                              ;   in Loop: Header=BB544_466 Depth=1
                                        ; implicit-def: $vgpr20_vgpr21
                                        ; implicit-def: $vgpr26_vgpr27
	s_mov_b64 s[28:29], s[12:13]
	s_branch .LBB544_465
.LBB544_468:
	v_mov_b64_e32 v[20:21], 0
	s_branch .LBB544_471
.LBB544_469:
	s_or_b64 exec, exec, s[24:25]
	v_cmp_gt_i64_e32 vcc, s[12:13], v[28:29]
	s_mov_b32 s7, 0
	v_mov_b32_e32 v21, s7
	v_cndmask_b32_e64 v20, 0, 1, vcc
.LBB544_470:
	s_or_b64 exec, exec, s[20:21]
.LBB544_471:
	s_or_b64 exec, exec, s[4:5]
	v_add_u32_e32 v26, 8, v1
	v_cmp_gt_u32_e32 vcc, s10, v26
	s_and_saveexec_b64 s[4:5], vcc
	s_cbranch_execz .LBB544_482
; %bb.472:
	s_and_b64 vcc, exec, s[2:3]
	s_cbranch_vccnz .LBB544_479
; %bb.473:
	v_mul_lo_u32 v26, v19, s12
	v_mul_lo_u32 v27, v18, s13
	v_mad_u64_u32 v[18:19], s[20:21], v18, s12, 0
	v_add3_u32 v19, v19, v27, v26
	v_mul_lo_u32 v26, v17, s12
	v_mul_lo_u32 v27, v16, s13
	v_mad_u64_u32 v[28:29], s[20:21], v16, s12, 0
	v_add3_u32 v29, v29, v27, v26
	v_lshl_add_u64 v[26:27], v[18:19], 3, s[14:15]
	v_lshl_add_u64 v[28:29], v[28:29], 3, s[14:15]
	global_load_dwordx2 v[18:19], v[26:27], off
	global_load_dwordx2 v[30:31], v[28:29], off
	s_waitcnt vmcnt(0)
	v_cmp_eq_u64_e32 vcc, v[18:19], v[30:31]
	v_mov_b64_e32 v[18:19], 1
	s_and_saveexec_b64 s[20:21], vcc
	s_cbranch_execz .LBB544_481
; %bb.474:
	s_add_u32 s22, s12, -1
	v_lshl_add_u64 v[18:19], v[28:29], 0, 8
	v_lshl_add_u64 v[26:27], v[26:27], 0, 8
	s_addc_u32 s23, s13, -1
	s_mov_b64 s[24:25], 0
	s_mov_b64 s[28:29], 0
                                        ; implicit-def: $sgpr26_sgpr27
	s_branch .LBB544_477
.LBB544_475:                            ;   in Loop: Header=BB544_477 Depth=1
	global_load_dwordx2 v[28:29], v[26:27], off
	global_load_dwordx2 v[30:31], v[18:19], off
	s_add_u32 s28, s28, 1
	s_addc_u32 s29, s29, 0
	s_andn2_b64 s[26:27], s[26:27], exec
	v_lshl_add_u64 v[18:19], v[18:19], 0, 8
	v_lshl_add_u64 v[26:27], v[26:27], 0, 8
	s_waitcnt vmcnt(0)
	v_cmp_ne_u64_e32 vcc, v[28:29], v[30:31]
	s_and_b64 s[30:31], vcc, exec
	s_or_b64 s[26:27], s[26:27], s[30:31]
.LBB544_476:                            ;   in Loop: Header=BB544_477 Depth=1
	s_and_b64 s[30:31], exec, s[26:27]
	s_or_b64 s[24:25], s[30:31], s[24:25]
	v_mov_b64_e32 v[28:29], s[28:29]
	s_andn2_b64 exec, exec, s[24:25]
	s_cbranch_execz .LBB544_480
.LBB544_477:                            ; =>This Inner Loop Header: Depth=1
	s_or_b64 s[26:27], s[26:27], exec
	s_cmp_eq_u64 s[22:23], s[28:29]
	s_cbranch_scc0 .LBB544_475
; %bb.478:                              ;   in Loop: Header=BB544_477 Depth=1
                                        ; implicit-def: $vgpr18_vgpr19
                                        ; implicit-def: $vgpr26_vgpr27
	s_mov_b64 s[28:29], s[12:13]
	s_branch .LBB544_476
.LBB544_479:
	v_mov_b64_e32 v[18:19], 0
	s_branch .LBB544_482
.LBB544_480:
	s_or_b64 exec, exec, s[24:25]
	v_cmp_gt_i64_e32 vcc, s[12:13], v[28:29]
	s_mov_b32 s7, 0
	v_mov_b32_e32 v19, s7
	v_cndmask_b32_e64 v18, 0, 1, vcc
.LBB544_481:
	s_or_b64 exec, exec, s[20:21]
.LBB544_482:
	s_or_b64 exec, exec, s[4:5]
	v_add_u32_e32 v26, 7, v1
	v_cmp_gt_u32_e32 vcc, s10, v26
	s_and_saveexec_b64 s[4:5], vcc
	s_cbranch_execz .LBB544_493
; %bb.483:
	s_and_b64 vcc, exec, s[2:3]
	s_cbranch_vccnz .LBB544_490
; %bb.484:
	v_mul_lo_u32 v26, v17, s12
	v_mul_lo_u32 v27, v16, s13
	v_mad_u64_u32 v[16:17], s[20:21], v16, s12, 0
	v_add3_u32 v17, v17, v27, v26
	v_mul_lo_u32 v26, v15, s12
	v_mul_lo_u32 v27, v14, s13
	v_mad_u64_u32 v[28:29], s[20:21], v14, s12, 0
	v_add3_u32 v29, v29, v27, v26
	v_lshl_add_u64 v[26:27], v[16:17], 3, s[14:15]
	v_lshl_add_u64 v[28:29], v[28:29], 3, s[14:15]
	global_load_dwordx2 v[16:17], v[26:27], off
	global_load_dwordx2 v[30:31], v[28:29], off
	s_waitcnt vmcnt(0)
	v_cmp_eq_u64_e32 vcc, v[16:17], v[30:31]
	v_mov_b64_e32 v[16:17], 1
	s_and_saveexec_b64 s[20:21], vcc
	s_cbranch_execz .LBB544_492
; %bb.485:
	s_add_u32 s22, s12, -1
	v_lshl_add_u64 v[16:17], v[28:29], 0, 8
	v_lshl_add_u64 v[26:27], v[26:27], 0, 8
	s_addc_u32 s23, s13, -1
	s_mov_b64 s[24:25], 0
	s_mov_b64 s[28:29], 0
                                        ; implicit-def: $sgpr26_sgpr27
	s_branch .LBB544_488
.LBB544_486:                            ;   in Loop: Header=BB544_488 Depth=1
	global_load_dwordx2 v[28:29], v[26:27], off
	global_load_dwordx2 v[30:31], v[16:17], off
	s_add_u32 s28, s28, 1
	s_addc_u32 s29, s29, 0
	s_andn2_b64 s[26:27], s[26:27], exec
	v_lshl_add_u64 v[16:17], v[16:17], 0, 8
	v_lshl_add_u64 v[26:27], v[26:27], 0, 8
	s_waitcnt vmcnt(0)
	v_cmp_ne_u64_e32 vcc, v[28:29], v[30:31]
	s_and_b64 s[30:31], vcc, exec
	s_or_b64 s[26:27], s[26:27], s[30:31]
.LBB544_487:                            ;   in Loop: Header=BB544_488 Depth=1
	s_and_b64 s[30:31], exec, s[26:27]
	s_or_b64 s[24:25], s[30:31], s[24:25]
	v_mov_b64_e32 v[28:29], s[28:29]
	s_andn2_b64 exec, exec, s[24:25]
	s_cbranch_execz .LBB544_491
.LBB544_488:                            ; =>This Inner Loop Header: Depth=1
	s_or_b64 s[26:27], s[26:27], exec
	s_cmp_eq_u64 s[22:23], s[28:29]
	s_cbranch_scc0 .LBB544_486
; %bb.489:                              ;   in Loop: Header=BB544_488 Depth=1
                                        ; implicit-def: $vgpr16_vgpr17
                                        ; implicit-def: $vgpr26_vgpr27
	s_mov_b64 s[28:29], s[12:13]
	s_branch .LBB544_487
.LBB544_490:
	v_mov_b64_e32 v[16:17], 0
	s_branch .LBB544_493
.LBB544_491:
	s_or_b64 exec, exec, s[24:25]
	v_cmp_gt_i64_e32 vcc, s[12:13], v[28:29]
	s_mov_b32 s7, 0
	v_mov_b32_e32 v17, s7
	v_cndmask_b32_e64 v16, 0, 1, vcc
.LBB544_492:
	s_or_b64 exec, exec, s[20:21]
.LBB544_493:
	s_or_b64 exec, exec, s[4:5]
	v_add_u32_e32 v26, 6, v1
	v_cmp_gt_u32_e32 vcc, s10, v26
	s_and_saveexec_b64 s[4:5], vcc
	s_cbranch_execz .LBB544_504
; %bb.494:
	s_and_b64 vcc, exec, s[2:3]
	s_cbranch_vccnz .LBB544_501
; %bb.495:
	v_mul_lo_u32 v26, v15, s12
	v_mul_lo_u32 v27, v14, s13
	v_mad_u64_u32 v[14:15], s[20:21], v14, s12, 0
	v_add3_u32 v15, v15, v27, v26
	v_mul_lo_u32 v26, v13, s12
	v_mul_lo_u32 v27, v12, s13
	v_mad_u64_u32 v[28:29], s[20:21], v12, s12, 0
	v_add3_u32 v29, v29, v27, v26
	v_lshl_add_u64 v[26:27], v[14:15], 3, s[14:15]
	v_lshl_add_u64 v[28:29], v[28:29], 3, s[14:15]
	global_load_dwordx2 v[14:15], v[26:27], off
	global_load_dwordx2 v[30:31], v[28:29], off
	s_waitcnt vmcnt(0)
	v_cmp_eq_u64_e32 vcc, v[14:15], v[30:31]
	v_mov_b64_e32 v[14:15], 1
	s_and_saveexec_b64 s[20:21], vcc
	s_cbranch_execz .LBB544_503
; %bb.496:
	s_add_u32 s22, s12, -1
	v_lshl_add_u64 v[14:15], v[28:29], 0, 8
	v_lshl_add_u64 v[26:27], v[26:27], 0, 8
	s_addc_u32 s23, s13, -1
	s_mov_b64 s[24:25], 0
	s_mov_b64 s[28:29], 0
                                        ; implicit-def: $sgpr26_sgpr27
	s_branch .LBB544_499
.LBB544_497:                            ;   in Loop: Header=BB544_499 Depth=1
	global_load_dwordx2 v[28:29], v[26:27], off
	global_load_dwordx2 v[30:31], v[14:15], off
	s_add_u32 s28, s28, 1
	s_addc_u32 s29, s29, 0
	s_andn2_b64 s[26:27], s[26:27], exec
	v_lshl_add_u64 v[14:15], v[14:15], 0, 8
	v_lshl_add_u64 v[26:27], v[26:27], 0, 8
	s_waitcnt vmcnt(0)
	v_cmp_ne_u64_e32 vcc, v[28:29], v[30:31]
	s_and_b64 s[30:31], vcc, exec
	s_or_b64 s[26:27], s[26:27], s[30:31]
.LBB544_498:                            ;   in Loop: Header=BB544_499 Depth=1
	s_and_b64 s[30:31], exec, s[26:27]
	s_or_b64 s[24:25], s[30:31], s[24:25]
	v_mov_b64_e32 v[28:29], s[28:29]
	s_andn2_b64 exec, exec, s[24:25]
	s_cbranch_execz .LBB544_502
.LBB544_499:                            ; =>This Inner Loop Header: Depth=1
	s_or_b64 s[26:27], s[26:27], exec
	s_cmp_eq_u64 s[22:23], s[28:29]
	s_cbranch_scc0 .LBB544_497
; %bb.500:                              ;   in Loop: Header=BB544_499 Depth=1
                                        ; implicit-def: $vgpr14_vgpr15
                                        ; implicit-def: $vgpr26_vgpr27
	s_mov_b64 s[28:29], s[12:13]
	s_branch .LBB544_498
.LBB544_501:
	v_mov_b64_e32 v[14:15], 0
	s_branch .LBB544_504
.LBB544_502:
	s_or_b64 exec, exec, s[24:25]
	v_cmp_gt_i64_e32 vcc, s[12:13], v[28:29]
	s_mov_b32 s7, 0
	v_mov_b32_e32 v15, s7
	v_cndmask_b32_e64 v14, 0, 1, vcc
.LBB544_503:
	s_or_b64 exec, exec, s[20:21]
.LBB544_504:
	s_or_b64 exec, exec, s[4:5]
	v_add_u32_e32 v26, 5, v1
	v_cmp_gt_u32_e32 vcc, s10, v26
	s_and_saveexec_b64 s[4:5], vcc
	s_cbranch_execz .LBB544_515
; %bb.505:
	s_and_b64 vcc, exec, s[2:3]
	s_cbranch_vccnz .LBB544_512
; %bb.506:
	v_mul_lo_u32 v26, v13, s12
	v_mul_lo_u32 v27, v12, s13
	v_mad_u64_u32 v[12:13], s[20:21], v12, s12, 0
	v_add3_u32 v13, v13, v27, v26
	v_mul_lo_u32 v26, v11, s12
	v_mul_lo_u32 v27, v10, s13
	v_mad_u64_u32 v[28:29], s[20:21], v10, s12, 0
	v_add3_u32 v29, v29, v27, v26
	v_lshl_add_u64 v[26:27], v[12:13], 3, s[14:15]
	v_lshl_add_u64 v[28:29], v[28:29], 3, s[14:15]
	global_load_dwordx2 v[12:13], v[26:27], off
	global_load_dwordx2 v[30:31], v[28:29], off
	s_waitcnt vmcnt(0)
	v_cmp_eq_u64_e32 vcc, v[12:13], v[30:31]
	v_mov_b64_e32 v[12:13], 1
	s_and_saveexec_b64 s[20:21], vcc
	s_cbranch_execz .LBB544_514
; %bb.507:
	s_add_u32 s22, s12, -1
	v_lshl_add_u64 v[12:13], v[28:29], 0, 8
	v_lshl_add_u64 v[26:27], v[26:27], 0, 8
	s_addc_u32 s23, s13, -1
	s_mov_b64 s[24:25], 0
	s_mov_b64 s[28:29], 0
                                        ; implicit-def: $sgpr26_sgpr27
	s_branch .LBB544_510
.LBB544_508:                            ;   in Loop: Header=BB544_510 Depth=1
	global_load_dwordx2 v[28:29], v[26:27], off
	global_load_dwordx2 v[30:31], v[12:13], off
	s_add_u32 s28, s28, 1
	s_addc_u32 s29, s29, 0
	s_andn2_b64 s[26:27], s[26:27], exec
	v_lshl_add_u64 v[12:13], v[12:13], 0, 8
	v_lshl_add_u64 v[26:27], v[26:27], 0, 8
	s_waitcnt vmcnt(0)
	v_cmp_ne_u64_e32 vcc, v[28:29], v[30:31]
	s_and_b64 s[30:31], vcc, exec
	s_or_b64 s[26:27], s[26:27], s[30:31]
.LBB544_509:                            ;   in Loop: Header=BB544_510 Depth=1
	s_and_b64 s[30:31], exec, s[26:27]
	s_or_b64 s[24:25], s[30:31], s[24:25]
	v_mov_b64_e32 v[28:29], s[28:29]
	s_andn2_b64 exec, exec, s[24:25]
	s_cbranch_execz .LBB544_513
.LBB544_510:                            ; =>This Inner Loop Header: Depth=1
	s_or_b64 s[26:27], s[26:27], exec
	s_cmp_eq_u64 s[22:23], s[28:29]
	s_cbranch_scc0 .LBB544_508
; %bb.511:                              ;   in Loop: Header=BB544_510 Depth=1
                                        ; implicit-def: $vgpr12_vgpr13
                                        ; implicit-def: $vgpr26_vgpr27
	s_mov_b64 s[28:29], s[12:13]
	s_branch .LBB544_509
.LBB544_512:
	v_mov_b64_e32 v[12:13], 0
	s_branch .LBB544_515
.LBB544_513:
	s_or_b64 exec, exec, s[24:25]
	v_cmp_gt_i64_e32 vcc, s[12:13], v[28:29]
	s_mov_b32 s7, 0
	v_mov_b32_e32 v13, s7
	v_cndmask_b32_e64 v12, 0, 1, vcc
.LBB544_514:
	s_or_b64 exec, exec, s[20:21]
.LBB544_515:
	s_or_b64 exec, exec, s[4:5]
	v_add_u32_e32 v26, 4, v1
	v_cmp_gt_u32_e32 vcc, s10, v26
	s_and_saveexec_b64 s[4:5], vcc
	s_cbranch_execz .LBB544_526
; %bb.516:
	s_and_b64 vcc, exec, s[2:3]
	s_cbranch_vccnz .LBB544_523
; %bb.517:
	v_mul_lo_u32 v26, v11, s12
	v_mul_lo_u32 v27, v10, s13
	v_mad_u64_u32 v[10:11], s[20:21], v10, s12, 0
	v_add3_u32 v11, v11, v27, v26
	v_mul_lo_u32 v26, v9, s12
	v_mul_lo_u32 v27, v8, s13
	v_mad_u64_u32 v[28:29], s[20:21], v8, s12, 0
	v_add3_u32 v29, v29, v27, v26
	v_lshl_add_u64 v[26:27], v[10:11], 3, s[14:15]
	v_lshl_add_u64 v[28:29], v[28:29], 3, s[14:15]
	global_load_dwordx2 v[10:11], v[26:27], off
	global_load_dwordx2 v[30:31], v[28:29], off
	s_waitcnt vmcnt(0)
	v_cmp_eq_u64_e32 vcc, v[10:11], v[30:31]
	v_mov_b64_e32 v[10:11], 1
	s_and_saveexec_b64 s[20:21], vcc
	s_cbranch_execz .LBB544_525
; %bb.518:
	s_add_u32 s22, s12, -1
	v_lshl_add_u64 v[10:11], v[28:29], 0, 8
	v_lshl_add_u64 v[26:27], v[26:27], 0, 8
	s_addc_u32 s23, s13, -1
	s_mov_b64 s[24:25], 0
	s_mov_b64 s[28:29], 0
                                        ; implicit-def: $sgpr26_sgpr27
	s_branch .LBB544_521
.LBB544_519:                            ;   in Loop: Header=BB544_521 Depth=1
	global_load_dwordx2 v[28:29], v[26:27], off
	global_load_dwordx2 v[30:31], v[10:11], off
	s_add_u32 s28, s28, 1
	s_addc_u32 s29, s29, 0
	s_andn2_b64 s[26:27], s[26:27], exec
	v_lshl_add_u64 v[10:11], v[10:11], 0, 8
	v_lshl_add_u64 v[26:27], v[26:27], 0, 8
	s_waitcnt vmcnt(0)
	v_cmp_ne_u64_e32 vcc, v[28:29], v[30:31]
	s_and_b64 s[30:31], vcc, exec
	s_or_b64 s[26:27], s[26:27], s[30:31]
.LBB544_520:                            ;   in Loop: Header=BB544_521 Depth=1
	s_and_b64 s[30:31], exec, s[26:27]
	s_or_b64 s[24:25], s[30:31], s[24:25]
	v_mov_b64_e32 v[28:29], s[28:29]
	s_andn2_b64 exec, exec, s[24:25]
	s_cbranch_execz .LBB544_524
.LBB544_521:                            ; =>This Inner Loop Header: Depth=1
	s_or_b64 s[26:27], s[26:27], exec
	s_cmp_eq_u64 s[22:23], s[28:29]
	s_cbranch_scc0 .LBB544_519
; %bb.522:                              ;   in Loop: Header=BB544_521 Depth=1
                                        ; implicit-def: $vgpr10_vgpr11
                                        ; implicit-def: $vgpr26_vgpr27
	s_mov_b64 s[28:29], s[12:13]
	s_branch .LBB544_520
.LBB544_523:
	v_mov_b64_e32 v[10:11], 0
	s_branch .LBB544_526
.LBB544_524:
	s_or_b64 exec, exec, s[24:25]
	v_cmp_gt_i64_e32 vcc, s[12:13], v[28:29]
	s_mov_b32 s7, 0
	v_mov_b32_e32 v11, s7
	v_cndmask_b32_e64 v10, 0, 1, vcc
.LBB544_525:
	s_or_b64 exec, exec, s[20:21]
.LBB544_526:
	s_or_b64 exec, exec, s[4:5]
	v_add_u32_e32 v26, 3, v1
	v_cmp_gt_u32_e32 vcc, s10, v26
	s_and_saveexec_b64 s[4:5], vcc
	s_cbranch_execz .LBB544_537
; %bb.527:
	s_and_b64 vcc, exec, s[2:3]
	s_cbranch_vccnz .LBB544_534
; %bb.528:
	v_mul_lo_u32 v26, v9, s12
	v_mul_lo_u32 v27, v8, s13
	v_mad_u64_u32 v[8:9], s[20:21], v8, s12, 0
	v_add3_u32 v9, v9, v27, v26
	v_mul_lo_u32 v26, v7, s12
	v_mul_lo_u32 v27, v6, s13
	v_mad_u64_u32 v[28:29], s[20:21], v6, s12, 0
	v_add3_u32 v29, v29, v27, v26
	v_lshl_add_u64 v[26:27], v[8:9], 3, s[14:15]
	v_lshl_add_u64 v[28:29], v[28:29], 3, s[14:15]
	global_load_dwordx2 v[8:9], v[26:27], off
	global_load_dwordx2 v[30:31], v[28:29], off
	s_waitcnt vmcnt(0)
	v_cmp_eq_u64_e32 vcc, v[8:9], v[30:31]
	v_mov_b64_e32 v[8:9], 1
	s_and_saveexec_b64 s[20:21], vcc
	s_cbranch_execz .LBB544_536
; %bb.529:
	s_add_u32 s22, s12, -1
	v_lshl_add_u64 v[8:9], v[28:29], 0, 8
	v_lshl_add_u64 v[26:27], v[26:27], 0, 8
	s_addc_u32 s23, s13, -1
	s_mov_b64 s[24:25], 0
	s_mov_b64 s[28:29], 0
                                        ; implicit-def: $sgpr26_sgpr27
	s_branch .LBB544_532
.LBB544_530:                            ;   in Loop: Header=BB544_532 Depth=1
	global_load_dwordx2 v[28:29], v[26:27], off
	global_load_dwordx2 v[30:31], v[8:9], off
	s_add_u32 s28, s28, 1
	s_addc_u32 s29, s29, 0
	s_andn2_b64 s[26:27], s[26:27], exec
	v_lshl_add_u64 v[8:9], v[8:9], 0, 8
	v_lshl_add_u64 v[26:27], v[26:27], 0, 8
	s_waitcnt vmcnt(0)
	v_cmp_ne_u64_e32 vcc, v[28:29], v[30:31]
	s_and_b64 s[30:31], vcc, exec
	s_or_b64 s[26:27], s[26:27], s[30:31]
.LBB544_531:                            ;   in Loop: Header=BB544_532 Depth=1
	s_and_b64 s[30:31], exec, s[26:27]
	s_or_b64 s[24:25], s[30:31], s[24:25]
	v_mov_b64_e32 v[28:29], s[28:29]
	s_andn2_b64 exec, exec, s[24:25]
	s_cbranch_execz .LBB544_535
.LBB544_532:                            ; =>This Inner Loop Header: Depth=1
	s_or_b64 s[26:27], s[26:27], exec
	s_cmp_eq_u64 s[22:23], s[28:29]
	s_cbranch_scc0 .LBB544_530
; %bb.533:                              ;   in Loop: Header=BB544_532 Depth=1
                                        ; implicit-def: $vgpr8_vgpr9
                                        ; implicit-def: $vgpr26_vgpr27
	s_mov_b64 s[28:29], s[12:13]
	s_branch .LBB544_531
.LBB544_534:
	v_mov_b64_e32 v[8:9], 0
	s_branch .LBB544_537
.LBB544_535:
	s_or_b64 exec, exec, s[24:25]
	v_cmp_gt_i64_e32 vcc, s[12:13], v[28:29]
	s_mov_b32 s7, 0
	v_mov_b32_e32 v9, s7
	v_cndmask_b32_e64 v8, 0, 1, vcc
.LBB544_536:
	s_or_b64 exec, exec, s[20:21]
.LBB544_537:
	s_or_b64 exec, exec, s[4:5]
	v_add_u32_e32 v26, 2, v1
	v_cmp_gt_u32_e32 vcc, s10, v26
	s_and_saveexec_b64 s[4:5], vcc
	s_cbranch_execz .LBB544_548
; %bb.538:
	s_and_b64 vcc, exec, s[2:3]
	s_cbranch_vccnz .LBB544_545
; %bb.539:
	v_mul_lo_u32 v26, v7, s12
	v_mul_lo_u32 v27, v6, s13
	v_mad_u64_u32 v[6:7], s[20:21], v6, s12, 0
	v_add3_u32 v7, v7, v27, v26
	v_mul_lo_u32 v26, v5, s12
	v_mul_lo_u32 v27, v4, s13
	v_mad_u64_u32 v[28:29], s[20:21], v4, s12, 0
	v_add3_u32 v29, v29, v27, v26
	v_lshl_add_u64 v[26:27], v[6:7], 3, s[14:15]
	v_lshl_add_u64 v[28:29], v[28:29], 3, s[14:15]
	global_load_dwordx2 v[6:7], v[26:27], off
	global_load_dwordx2 v[30:31], v[28:29], off
	s_waitcnt vmcnt(0)
	v_cmp_eq_u64_e32 vcc, v[6:7], v[30:31]
	v_mov_b64_e32 v[6:7], 1
	s_and_saveexec_b64 s[20:21], vcc
	s_cbranch_execz .LBB544_547
; %bb.540:
	s_add_u32 s22, s12, -1
	v_lshl_add_u64 v[6:7], v[28:29], 0, 8
	v_lshl_add_u64 v[26:27], v[26:27], 0, 8
	s_addc_u32 s23, s13, -1
	s_mov_b64 s[24:25], 0
	s_mov_b64 s[28:29], 0
                                        ; implicit-def: $sgpr26_sgpr27
	s_branch .LBB544_543
.LBB544_541:                            ;   in Loop: Header=BB544_543 Depth=1
	global_load_dwordx2 v[28:29], v[26:27], off
	global_load_dwordx2 v[30:31], v[6:7], off
	s_add_u32 s28, s28, 1
	s_addc_u32 s29, s29, 0
	s_andn2_b64 s[26:27], s[26:27], exec
	v_lshl_add_u64 v[6:7], v[6:7], 0, 8
	v_lshl_add_u64 v[26:27], v[26:27], 0, 8
	s_waitcnt vmcnt(0)
	v_cmp_ne_u64_e32 vcc, v[28:29], v[30:31]
	s_and_b64 s[30:31], vcc, exec
	s_or_b64 s[26:27], s[26:27], s[30:31]
.LBB544_542:                            ;   in Loop: Header=BB544_543 Depth=1
	s_and_b64 s[30:31], exec, s[26:27]
	s_or_b64 s[24:25], s[30:31], s[24:25]
	v_mov_b64_e32 v[28:29], s[28:29]
	s_andn2_b64 exec, exec, s[24:25]
	s_cbranch_execz .LBB544_546
.LBB544_543:                            ; =>This Inner Loop Header: Depth=1
	s_or_b64 s[26:27], s[26:27], exec
	s_cmp_eq_u64 s[22:23], s[28:29]
	s_cbranch_scc0 .LBB544_541
; %bb.544:                              ;   in Loop: Header=BB544_543 Depth=1
                                        ; implicit-def: $vgpr6_vgpr7
                                        ; implicit-def: $vgpr26_vgpr27
	s_mov_b64 s[28:29], s[12:13]
	s_branch .LBB544_542
.LBB544_545:
	v_mov_b64_e32 v[6:7], 0
	s_branch .LBB544_548
.LBB544_546:
	s_or_b64 exec, exec, s[24:25]
	v_cmp_gt_i64_e32 vcc, s[12:13], v[28:29]
	s_mov_b32 s7, 0
	v_mov_b32_e32 v7, s7
	v_cndmask_b32_e64 v6, 0, 1, vcc
.LBB544_547:
	s_or_b64 exec, exec, s[20:21]
.LBB544_548:
	s_or_b64 exec, exec, s[4:5]
	v_add_u32_e32 v26, 1, v1
	v_cmp_gt_u32_e32 vcc, s10, v26
	s_and_saveexec_b64 s[4:5], vcc
	s_cbranch_execz .LBB544_559
; %bb.549:
	s_and_b64 vcc, exec, s[2:3]
	s_cbranch_vccnz .LBB544_556
; %bb.550:
	v_mul_lo_u32 v26, v5, s12
	v_mul_lo_u32 v27, v4, s13
	v_mad_u64_u32 v[4:5], s[20:21], v4, s12, 0
	v_add3_u32 v5, v5, v27, v26
	v_mul_lo_u32 v26, v3, s12
	v_mul_lo_u32 v27, v2, s13
	v_mad_u64_u32 v[28:29], s[20:21], v2, s12, 0
	v_add3_u32 v29, v29, v27, v26
	v_lshl_add_u64 v[26:27], v[4:5], 3, s[14:15]
	v_lshl_add_u64 v[28:29], v[28:29], 3, s[14:15]
	global_load_dwordx2 v[4:5], v[26:27], off
	global_load_dwordx2 v[30:31], v[28:29], off
	s_waitcnt vmcnt(0)
	v_cmp_eq_u64_e32 vcc, v[4:5], v[30:31]
	v_mov_b64_e32 v[4:5], 1
	s_and_saveexec_b64 s[20:21], vcc
	s_cbranch_execz .LBB544_558
; %bb.551:
	s_add_u32 s22, s12, -1
	v_lshl_add_u64 v[4:5], v[28:29], 0, 8
	v_lshl_add_u64 v[26:27], v[26:27], 0, 8
	s_addc_u32 s23, s13, -1
	s_mov_b64 s[24:25], 0
	s_mov_b64 s[28:29], 0
                                        ; implicit-def: $sgpr26_sgpr27
	s_branch .LBB544_554
.LBB544_552:                            ;   in Loop: Header=BB544_554 Depth=1
	global_load_dwordx2 v[28:29], v[26:27], off
	global_load_dwordx2 v[30:31], v[4:5], off
	s_add_u32 s28, s28, 1
	s_addc_u32 s29, s29, 0
	s_andn2_b64 s[26:27], s[26:27], exec
	v_lshl_add_u64 v[4:5], v[4:5], 0, 8
	v_lshl_add_u64 v[26:27], v[26:27], 0, 8
	s_waitcnt vmcnt(0)
	v_cmp_ne_u64_e32 vcc, v[28:29], v[30:31]
	s_and_b64 s[30:31], vcc, exec
	s_or_b64 s[26:27], s[26:27], s[30:31]
.LBB544_553:                            ;   in Loop: Header=BB544_554 Depth=1
	s_and_b64 s[30:31], exec, s[26:27]
	s_or_b64 s[24:25], s[30:31], s[24:25]
	v_mov_b64_e32 v[28:29], s[28:29]
	s_andn2_b64 exec, exec, s[24:25]
	s_cbranch_execz .LBB544_557
.LBB544_554:                            ; =>This Inner Loop Header: Depth=1
	s_or_b64 s[26:27], s[26:27], exec
	s_cmp_eq_u64 s[22:23], s[28:29]
	s_cbranch_scc0 .LBB544_552
; %bb.555:                              ;   in Loop: Header=BB544_554 Depth=1
                                        ; implicit-def: $vgpr4_vgpr5
                                        ; implicit-def: $vgpr26_vgpr27
	s_mov_b64 s[28:29], s[12:13]
	s_branch .LBB544_553
.LBB544_556:
	v_mov_b64_e32 v[4:5], 0
	s_branch .LBB544_559
.LBB544_557:
	s_or_b64 exec, exec, s[24:25]
	v_cmp_gt_i64_e32 vcc, s[12:13], v[28:29]
	s_mov_b32 s7, 0
	v_mov_b32_e32 v5, s7
	v_cndmask_b32_e64 v4, 0, 1, vcc
.LBB544_558:
	s_or_b64 exec, exec, s[20:21]
.LBB544_559:
	s_or_b64 exec, exec, s[4:5]
	v_cmp_ne_u32_e32 vcc, 0, v0
	v_cmp_gt_u32_e64 s[4:5], s10, v1
	s_and_b64 s[20:21], vcc, s[4:5]
	s_waitcnt lgkmcnt(0)
	; wave barrier
	s_waitcnt lgkmcnt(0)
                                        ; implicit-def: $sgpr24_sgpr25
	s_and_saveexec_b64 s[4:5], s[20:21]
	s_cbranch_execz .LBB544_571
; %bb.560:
	s_and_b64 vcc, exec, s[2:3]
	s_cbranch_vccnz .LBB544_567
; %bb.561:
	v_mul_lo_u32 v1, v3, s12
	v_add_u32_e32 v3, -8, v48
	ds_read_b64 v[26:27], v3
	v_mul_lo_u32 v28, v2, s13
	v_mad_u64_u32 v[2:3], s[2:3], v2, s12, 0
	v_add3_u32 v3, v3, v28, v1
	s_waitcnt lgkmcnt(0)
	v_mul_lo_u32 v1, v27, s12
	v_mul_lo_u32 v27, v26, s13
	v_mad_u64_u32 v[28:29], s[2:3], v26, s12, 0
	v_add3_u32 v29, v29, v27, v1
	v_lshl_add_u64 v[26:27], v[2:3], 3, s[14:15]
	v_lshl_add_u64 v[2:3], v[28:29], 3, s[14:15]
	global_load_dwordx2 v[28:29], v[26:27], off
	global_load_dwordx2 v[30:31], v[2:3], off
	s_mov_b64 s[14:15], -1
	s_waitcnt vmcnt(0)
	v_cmp_eq_u64_e32 vcc, v[28:29], v[30:31]
	s_and_saveexec_b64 s[2:3], vcc
	s_cbranch_execz .LBB544_569
; %bb.562:
	s_add_u32 s14, s12, -1
	v_lshl_add_u64 v[2:3], v[2:3], 0, 8
	v_lshl_add_u64 v[26:27], v[26:27], 0, 8
	s_addc_u32 s15, s13, -1
	s_mov_b64 s[20:21], 0
	s_mov_b64 s[24:25], 0
                                        ; implicit-def: $sgpr22_sgpr23
	s_branch .LBB544_565
.LBB544_563:                            ;   in Loop: Header=BB544_565 Depth=1
	global_load_dwordx2 v[28:29], v[26:27], off
	global_load_dwordx2 v[30:31], v[2:3], off
	s_add_u32 s24, s24, 1
	s_addc_u32 s25, s25, 0
	s_andn2_b64 s[22:23], s[22:23], exec
	v_lshl_add_u64 v[2:3], v[2:3], 0, 8
	v_lshl_add_u64 v[26:27], v[26:27], 0, 8
	s_waitcnt vmcnt(0)
	v_cmp_ne_u64_e32 vcc, v[28:29], v[30:31]
	s_and_b64 s[26:27], vcc, exec
	s_or_b64 s[22:23], s[22:23], s[26:27]
.LBB544_564:                            ;   in Loop: Header=BB544_565 Depth=1
	s_and_b64 s[26:27], exec, s[22:23]
	s_or_b64 s[20:21], s[26:27], s[20:21]
	v_mov_b64_e32 v[28:29], s[24:25]
	s_andn2_b64 exec, exec, s[20:21]
	s_cbranch_execz .LBB544_568
.LBB544_565:                            ; =>This Inner Loop Header: Depth=1
	s_or_b64 s[22:23], s[22:23], exec
	s_cmp_eq_u64 s[14:15], s[24:25]
	s_cbranch_scc0 .LBB544_563
; %bb.566:                              ;   in Loop: Header=BB544_565 Depth=1
                                        ; implicit-def: $vgpr2_vgpr3
                                        ; implicit-def: $vgpr26_vgpr27
	s_mov_b64 s[24:25], s[12:13]
	s_branch .LBB544_564
.LBB544_567:
	s_mov_b64 s[14:15], 0
	s_branch .LBB544_570
.LBB544_568:
	s_or_b64 exec, exec, s[20:21]
	v_cmp_gt_i64_e32 vcc, s[12:13], v[28:29]
	s_orn2_b64 s[14:15], vcc, exec
.LBB544_569:
	s_or_b64 exec, exec, s[2:3]
.LBB544_570:
	s_and_b64 s[24:25], s[14:15], exec
	s_or_b64 s[18:19], s[18:19], exec
.LBB544_571:
	s_or_b64 exec, exec, s[4:5]
	v_mov_b64_e32 v[50:51], v[44:45]
	v_mov_b64_e32 v[52:53], v[24:25]
	;; [unrolled: 1-line block ×23, first 2 shown]
.LBB544_572:
	s_and_saveexec_b64 s[2:3], s[18:19]
	s_cbranch_execz .LBB544_574
; %bb.573:
	s_mov_b32 s4, 0
	v_cndmask_b32_e64 v2, 0, 1, s[24:25]
	v_mov_b32_e32 v3, s4
	v_mov_b64_e32 v[30:31], v[54:55]
	v_mov_b64_e32 v[80:81], v[56:57]
	;; [unrolled: 1-line block ×9, first 2 shown]
	s_waitcnt lgkmcnt(0)
	v_mov_b64_e32 v[26:27], v[46:47]
	v_mov_b64_e32 v[72:73], v[52:53]
.LBB544_574:
	s_or_b64 exec, exec, s[2:3]
	s_add_u32 s4, s8, s16
	s_addc_u32 s5, s9, s17
	s_and_b64 vcc, exec, s[0:1]
	s_waitcnt lgkmcnt(0)
	; wave barrier
	s_waitcnt lgkmcnt(0)
	s_cbranch_vccz .LBB544_600
; %bb.575:
	s_movk_i32 s2, 0x68
	v_mul_u32_u24_e32 v1, 0x68, v0
	v_mov_b32_e32 v4, v82
	v_mov_b32_e32 v5, v83
	v_mul_i32_i24_e32 v28, 0xffffffa0, v0
	ds_write2_b64 v1, v[2:3], v[4:5] offset1:1
	ds_write2_b64 v1, v[74:75], v[42:43] offset0:2 offset1:3
	ds_write2_b64 v1, v[76:77], v[38:39] offset0:4 offset1:5
	;; [unrolled: 1-line block ×5, first 2 shown]
	ds_write_b64 v1, v[50:51] offset:96
	v_mad_u32_u24 v4, v0, s2, v28
	s_waitcnt lgkmcnt(0)
	; wave barrier
	s_waitcnt lgkmcnt(0)
	ds_read2st64_b64 v[44:47], v4 offset0:1 offset1:2
	ds_read2st64_b64 v[20:23], v4 offset0:3 offset1:4
	;; [unrolled: 1-line block ×6, first 2 shown]
	s_mov_b32 s7, 0
	s_add_i32 s11, s11, s10
	s_lshl_b64 s[0:1], s[6:7], 3
	s_add_u32 s0, s4, s0
	s_addc_u32 s1, s5, s1
	v_mov_b32_e32 v49, 0
	v_lshl_add_u64 v[24:25], s[0:1], 0, v[48:49]
	v_cmp_gt_u32_e32 vcc, s11, v0
	s_and_saveexec_b64 s[0:1], vcc
	s_cbranch_execz .LBB544_577
; %bb.576:
	v_add_u32_e32 v1, v1, v28
	ds_read_b64 v[28:29], v1
	s_waitcnt lgkmcnt(0)
	global_store_dwordx2 v[24:25], v[28:29], off
.LBB544_577:
	s_or_b64 exec, exec, s[0:1]
	v_or_b32_e32 v1, 64, v0
	v_cmp_gt_u32_e32 vcc, s11, v1
	s_and_saveexec_b64 s[0:1], vcc
	s_cbranch_execz .LBB544_579
; %bb.578:
	s_waitcnt lgkmcnt(5)
	global_store_dwordx2 v[24:25], v[44:45], off offset:512
.LBB544_579:
	s_or_b64 exec, exec, s[0:1]
	v_or_b32_e32 v1, 0x80, v0
	v_cmp_gt_u32_e32 vcc, s11, v1
	s_and_saveexec_b64 s[0:1], vcc
	s_cbranch_execz .LBB544_581
; %bb.580:
	s_waitcnt lgkmcnt(5)
	global_store_dwordx2 v[24:25], v[46:47], off offset:1024
.LBB544_581:
	;; [unrolled: 9-line block ×7, first 2 shown]
	s_or_b64 exec, exec, s[0:1]
	v_or_b32_e32 v1, 0x200, v0
	v_cmp_gt_u32_e32 vcc, s11, v1
	s_and_saveexec_b64 s[0:1], vcc
	s_cbranch_execz .LBB544_593
; %bb.592:
	s_waitcnt lgkmcnt(2)
	v_add_co_u32_e32 v12, vcc, 0x1000, v24
	s_nop 1
	v_addc_co_u32_e32 v13, vcc, 0, v25, vcc
	global_store_dwordx2 v[12:13], v[14:15], off
.LBB544_593:
	s_or_b64 exec, exec, s[0:1]
	v_or_b32_e32 v1, 0x240, v0
	v_cmp_gt_u32_e32 vcc, s11, v1
	s_and_saveexec_b64 s[0:1], vcc
	s_cbranch_execz .LBB544_595
; %bb.594:
	s_waitcnt lgkmcnt(2)
	v_add_co_u32_e32 v12, vcc, 0x1000, v24
	s_nop 1
	v_addc_co_u32_e32 v13, vcc, 0, v25, vcc
	s_waitcnt lgkmcnt(1)
	global_store_dwordx2 v[12:13], v[8:9], off offset:512
.LBB544_595:
	s_or_b64 exec, exec, s[0:1]
	v_or_b32_e32 v1, 0x280, v0
	v_cmp_gt_u32_e32 vcc, s11, v1
	s_and_saveexec_b64 s[0:1], vcc
	s_cbranch_execz .LBB544_597
; %bb.596:
	s_waitcnt lgkmcnt(1)
	v_add_co_u32_e32 v8, vcc, 0x1000, v24
	s_nop 1
	v_addc_co_u32_e32 v9, vcc, 0, v25, vcc
	global_store_dwordx2 v[8:9], v[10:11], off offset:1024
.LBB544_597:
	s_or_b64 exec, exec, s[0:1]
	v_or_b32_e32 v1, 0x2c0, v0
	v_cmp_gt_u32_e32 vcc, s11, v1
	s_and_saveexec_b64 s[0:1], vcc
	s_cbranch_execz .LBB544_599
; %bb.598:
	s_waitcnt lgkmcnt(1)
	v_add_co_u32_e32 v8, vcc, 0x1000, v24
	s_nop 1
	v_addc_co_u32_e32 v9, vcc, 0, v25, vcc
	s_waitcnt lgkmcnt(0)
	global_store_dwordx2 v[8:9], v[4:5], off offset:1536
.LBB544_599:
	s_or_b64 exec, exec, s[0:1]
	v_or_b32_e32 v1, 0x300, v0
	v_cmp_gt_u32_e64 s[0:1], s11, v1
	s_branch .LBB544_602
.LBB544_600:
	s_mov_b64 s[0:1], 0
                                        ; implicit-def: $vgpr6_vgpr7
                                        ; implicit-def: $vgpr24_vgpr25
	s_cbranch_execz .LBB544_602
; %bb.601:
	s_mov_b32 s7, 0
	s_lshl_b64 s[2:3], s[6:7], 3
	v_mul_u32_u24_e32 v1, 0x68, v0
	s_add_u32 s2, s4, s2
	s_movk_i32 s4, 0x68
	ds_write2_b64 v1, v[2:3], v[82:83] offset1:1
	ds_write2_b64 v1, v[74:75], v[42:43] offset0:2 offset1:3
	ds_write2_b64 v1, v[76:77], v[38:39] offset0:4 offset1:5
	;; [unrolled: 1-line block ×5, first 2 shown]
	ds_write_b64 v1, v[50:51] offset:96
	v_mul_i32_i24_e32 v1, 0xffffffa0, v0
	s_waitcnt lgkmcnt(7)
	v_mad_u32_u24 v4, v0, s4, v1
	s_addc_u32 s3, s5, s3
	s_waitcnt lgkmcnt(0)
	; wave barrier
	s_waitcnt lgkmcnt(0)
	ds_read2st64_b64 v[0:3], v4 offset1:1
	ds_read2st64_b64 v[8:11], v4 offset0:2 offset1:3
	ds_read2st64_b64 v[12:15], v4 offset0:4 offset1:5
	;; [unrolled: 1-line block ×5, first 2 shown]
	ds_read_b64 v[6:7], v4 offset:6144
	v_mov_b32_e32 v49, 0
	v_lshl_add_u64 v[24:25], s[2:3], 0, v[48:49]
	s_waitcnt lgkmcnt(6)
	global_store_dwordx2 v48, v[0:1], s[2:3]
	global_store_dwordx2 v48, v[2:3], s[2:3] offset:512
	s_waitcnt lgkmcnt(5)
	global_store_dwordx2 v48, v[8:9], s[2:3] offset:1024
	global_store_dwordx2 v48, v[10:11], s[2:3] offset:1536
	s_waitcnt lgkmcnt(4)
	global_store_dwordx2 v48, v[12:13], s[2:3] offset:2048
	;; [unrolled: 3-line block ×3, first 2 shown]
	global_store_dwordx2 v48, v[18:19], s[2:3] offset:3584
	v_add_co_u32_e32 v0, vcc, 0x1000, v24
	s_or_b64 s[0:1], s[0:1], exec
	s_nop 0
	v_addc_co_u32_e32 v1, vcc, 0, v25, vcc
	s_waitcnt lgkmcnt(2)
	global_store_dwordx2 v[0:1], v[20:21], off
	global_store_dwordx2 v[0:1], v[22:23], off offset:512
	s_waitcnt lgkmcnt(1)
	global_store_dwordx2 v[0:1], v[26:27], off offset:1024
	global_store_dwordx2 v[0:1], v[28:29], off offset:1536
.LBB544_602:
	s_and_saveexec_b64 s[2:3], s[0:1]
	s_cbranch_execnz .LBB544_604
; %bb.603:
	s_endpgm
.LBB544_604:
	v_add_co_u32_e32 v0, vcc, 0x1000, v24
	s_nop 1
	v_addc_co_u32_e32 v1, vcc, 0, v25, vcc
	s_waitcnt lgkmcnt(0)
	global_store_dwordx2 v[0:1], v[6:7], off offset:2048
	s_endpgm
	.section	.rodata,"a",@progbits
	.p2align	6, 0x0
	.amdhsa_kernel _ZN7rocprim17ROCPRIM_400000_NS6detail17trampoline_kernelINS0_14default_configENS1_35adjacent_difference_config_selectorILb0ElEEZNS1_24adjacent_difference_implIS3_Lb0ELb0EPlS7_ZN2at6native12_GLOBAL__N_124unique_dim_cuda_templateIlEESt5tupleIJNS8_6TensorESD_SD_EERKSD_lbbbEUlllE1_EE10hipError_tPvRmT2_T3_mT4_P12ihipStream_tbEUlT_E_NS1_11comp_targetILNS1_3genE5ELNS1_11target_archE942ELNS1_3gpuE9ELNS1_3repE0EEENS1_30default_config_static_selectorELNS0_4arch9wavefront6targetE1EEEvT1_
		.amdhsa_group_segment_fixed_size 6656
		.amdhsa_private_segment_fixed_size 0
		.amdhsa_kernarg_size 64
		.amdhsa_user_sgpr_count 2
		.amdhsa_user_sgpr_dispatch_ptr 0
		.amdhsa_user_sgpr_queue_ptr 0
		.amdhsa_user_sgpr_kernarg_segment_ptr 1
		.amdhsa_user_sgpr_dispatch_id 0
		.amdhsa_user_sgpr_kernarg_preload_length 0
		.amdhsa_user_sgpr_kernarg_preload_offset 0
		.amdhsa_user_sgpr_private_segment_size 0
		.amdhsa_uses_dynamic_stack 0
		.amdhsa_enable_private_segment 0
		.amdhsa_system_sgpr_workgroup_id_x 1
		.amdhsa_system_sgpr_workgroup_id_y 0
		.amdhsa_system_sgpr_workgroup_id_z 0
		.amdhsa_system_sgpr_workgroup_info 0
		.amdhsa_system_vgpr_workitem_id 0
		.amdhsa_next_free_vgpr 84
		.amdhsa_next_free_sgpr 38
		.amdhsa_accum_offset 84
		.amdhsa_reserve_vcc 1
		.amdhsa_float_round_mode_32 0
		.amdhsa_float_round_mode_16_64 0
		.amdhsa_float_denorm_mode_32 3
		.amdhsa_float_denorm_mode_16_64 3
		.amdhsa_dx10_clamp 1
		.amdhsa_ieee_mode 1
		.amdhsa_fp16_overflow 0
		.amdhsa_tg_split 0
		.amdhsa_exception_fp_ieee_invalid_op 0
		.amdhsa_exception_fp_denorm_src 0
		.amdhsa_exception_fp_ieee_div_zero 0
		.amdhsa_exception_fp_ieee_overflow 0
		.amdhsa_exception_fp_ieee_underflow 0
		.amdhsa_exception_fp_ieee_inexact 0
		.amdhsa_exception_int_div_zero 0
	.end_amdhsa_kernel
	.section	.text._ZN7rocprim17ROCPRIM_400000_NS6detail17trampoline_kernelINS0_14default_configENS1_35adjacent_difference_config_selectorILb0ElEEZNS1_24adjacent_difference_implIS3_Lb0ELb0EPlS7_ZN2at6native12_GLOBAL__N_124unique_dim_cuda_templateIlEESt5tupleIJNS8_6TensorESD_SD_EERKSD_lbbbEUlllE1_EE10hipError_tPvRmT2_T3_mT4_P12ihipStream_tbEUlT_E_NS1_11comp_targetILNS1_3genE5ELNS1_11target_archE942ELNS1_3gpuE9ELNS1_3repE0EEENS1_30default_config_static_selectorELNS0_4arch9wavefront6targetE1EEEvT1_,"axG",@progbits,_ZN7rocprim17ROCPRIM_400000_NS6detail17trampoline_kernelINS0_14default_configENS1_35adjacent_difference_config_selectorILb0ElEEZNS1_24adjacent_difference_implIS3_Lb0ELb0EPlS7_ZN2at6native12_GLOBAL__N_124unique_dim_cuda_templateIlEESt5tupleIJNS8_6TensorESD_SD_EERKSD_lbbbEUlllE1_EE10hipError_tPvRmT2_T3_mT4_P12ihipStream_tbEUlT_E_NS1_11comp_targetILNS1_3genE5ELNS1_11target_archE942ELNS1_3gpuE9ELNS1_3repE0EEENS1_30default_config_static_selectorELNS0_4arch9wavefront6targetE1EEEvT1_,comdat
.Lfunc_end544:
	.size	_ZN7rocprim17ROCPRIM_400000_NS6detail17trampoline_kernelINS0_14default_configENS1_35adjacent_difference_config_selectorILb0ElEEZNS1_24adjacent_difference_implIS3_Lb0ELb0EPlS7_ZN2at6native12_GLOBAL__N_124unique_dim_cuda_templateIlEESt5tupleIJNS8_6TensorESD_SD_EERKSD_lbbbEUlllE1_EE10hipError_tPvRmT2_T3_mT4_P12ihipStream_tbEUlT_E_NS1_11comp_targetILNS1_3genE5ELNS1_11target_archE942ELNS1_3gpuE9ELNS1_3repE0EEENS1_30default_config_static_selectorELNS0_4arch9wavefront6targetE1EEEvT1_, .Lfunc_end544-_ZN7rocprim17ROCPRIM_400000_NS6detail17trampoline_kernelINS0_14default_configENS1_35adjacent_difference_config_selectorILb0ElEEZNS1_24adjacent_difference_implIS3_Lb0ELb0EPlS7_ZN2at6native12_GLOBAL__N_124unique_dim_cuda_templateIlEESt5tupleIJNS8_6TensorESD_SD_EERKSD_lbbbEUlllE1_EE10hipError_tPvRmT2_T3_mT4_P12ihipStream_tbEUlT_E_NS1_11comp_targetILNS1_3genE5ELNS1_11target_archE942ELNS1_3gpuE9ELNS1_3repE0EEENS1_30default_config_static_selectorELNS0_4arch9wavefront6targetE1EEEvT1_
                                        ; -- End function
	.section	.AMDGPU.csdata,"",@progbits
; Kernel info:
; codeLenInByte = 18140
; NumSgprs: 44
; NumVgprs: 84
; NumAgprs: 0
; TotalNumVgprs: 84
; ScratchSize: 0
; MemoryBound: 1
; FloatMode: 240
; IeeeMode: 1
; LDSByteSize: 6656 bytes/workgroup (compile time only)
; SGPRBlocks: 5
; VGPRBlocks: 10
; NumSGPRsForWavesPerEU: 44
; NumVGPRsForWavesPerEU: 84
; AccumOffset: 84
; Occupancy: 3
; WaveLimiterHint : 1
; COMPUTE_PGM_RSRC2:SCRATCH_EN: 0
; COMPUTE_PGM_RSRC2:USER_SGPR: 2
; COMPUTE_PGM_RSRC2:TRAP_HANDLER: 0
; COMPUTE_PGM_RSRC2:TGID_X_EN: 1
; COMPUTE_PGM_RSRC2:TGID_Y_EN: 0
; COMPUTE_PGM_RSRC2:TGID_Z_EN: 0
; COMPUTE_PGM_RSRC2:TIDIG_COMP_CNT: 0
; COMPUTE_PGM_RSRC3_GFX90A:ACCUM_OFFSET: 20
; COMPUTE_PGM_RSRC3_GFX90A:TG_SPLIT: 0
	.section	.text._ZN7rocprim17ROCPRIM_400000_NS6detail17trampoline_kernelINS0_14default_configENS1_35adjacent_difference_config_selectorILb0ElEEZNS1_24adjacent_difference_implIS3_Lb0ELb0EPlS7_ZN2at6native12_GLOBAL__N_124unique_dim_cuda_templateIlEESt5tupleIJNS8_6TensorESD_SD_EERKSD_lbbbEUlllE1_EE10hipError_tPvRmT2_T3_mT4_P12ihipStream_tbEUlT_E_NS1_11comp_targetILNS1_3genE4ELNS1_11target_archE910ELNS1_3gpuE8ELNS1_3repE0EEENS1_30default_config_static_selectorELNS0_4arch9wavefront6targetE1EEEvT1_,"axG",@progbits,_ZN7rocprim17ROCPRIM_400000_NS6detail17trampoline_kernelINS0_14default_configENS1_35adjacent_difference_config_selectorILb0ElEEZNS1_24adjacent_difference_implIS3_Lb0ELb0EPlS7_ZN2at6native12_GLOBAL__N_124unique_dim_cuda_templateIlEESt5tupleIJNS8_6TensorESD_SD_EERKSD_lbbbEUlllE1_EE10hipError_tPvRmT2_T3_mT4_P12ihipStream_tbEUlT_E_NS1_11comp_targetILNS1_3genE4ELNS1_11target_archE910ELNS1_3gpuE8ELNS1_3repE0EEENS1_30default_config_static_selectorELNS0_4arch9wavefront6targetE1EEEvT1_,comdat
	.globl	_ZN7rocprim17ROCPRIM_400000_NS6detail17trampoline_kernelINS0_14default_configENS1_35adjacent_difference_config_selectorILb0ElEEZNS1_24adjacent_difference_implIS3_Lb0ELb0EPlS7_ZN2at6native12_GLOBAL__N_124unique_dim_cuda_templateIlEESt5tupleIJNS8_6TensorESD_SD_EERKSD_lbbbEUlllE1_EE10hipError_tPvRmT2_T3_mT4_P12ihipStream_tbEUlT_E_NS1_11comp_targetILNS1_3genE4ELNS1_11target_archE910ELNS1_3gpuE8ELNS1_3repE0EEENS1_30default_config_static_selectorELNS0_4arch9wavefront6targetE1EEEvT1_ ; -- Begin function _ZN7rocprim17ROCPRIM_400000_NS6detail17trampoline_kernelINS0_14default_configENS1_35adjacent_difference_config_selectorILb0ElEEZNS1_24adjacent_difference_implIS3_Lb0ELb0EPlS7_ZN2at6native12_GLOBAL__N_124unique_dim_cuda_templateIlEESt5tupleIJNS8_6TensorESD_SD_EERKSD_lbbbEUlllE1_EE10hipError_tPvRmT2_T3_mT4_P12ihipStream_tbEUlT_E_NS1_11comp_targetILNS1_3genE4ELNS1_11target_archE910ELNS1_3gpuE8ELNS1_3repE0EEENS1_30default_config_static_selectorELNS0_4arch9wavefront6targetE1EEEvT1_
	.p2align	8
	.type	_ZN7rocprim17ROCPRIM_400000_NS6detail17trampoline_kernelINS0_14default_configENS1_35adjacent_difference_config_selectorILb0ElEEZNS1_24adjacent_difference_implIS3_Lb0ELb0EPlS7_ZN2at6native12_GLOBAL__N_124unique_dim_cuda_templateIlEESt5tupleIJNS8_6TensorESD_SD_EERKSD_lbbbEUlllE1_EE10hipError_tPvRmT2_T3_mT4_P12ihipStream_tbEUlT_E_NS1_11comp_targetILNS1_3genE4ELNS1_11target_archE910ELNS1_3gpuE8ELNS1_3repE0EEENS1_30default_config_static_selectorELNS0_4arch9wavefront6targetE1EEEvT1_,@function
_ZN7rocprim17ROCPRIM_400000_NS6detail17trampoline_kernelINS0_14default_configENS1_35adjacent_difference_config_selectorILb0ElEEZNS1_24adjacent_difference_implIS3_Lb0ELb0EPlS7_ZN2at6native12_GLOBAL__N_124unique_dim_cuda_templateIlEESt5tupleIJNS8_6TensorESD_SD_EERKSD_lbbbEUlllE1_EE10hipError_tPvRmT2_T3_mT4_P12ihipStream_tbEUlT_E_NS1_11comp_targetILNS1_3genE4ELNS1_11target_archE910ELNS1_3gpuE8ELNS1_3repE0EEENS1_30default_config_static_selectorELNS0_4arch9wavefront6targetE1EEEvT1_: ; @_ZN7rocprim17ROCPRIM_400000_NS6detail17trampoline_kernelINS0_14default_configENS1_35adjacent_difference_config_selectorILb0ElEEZNS1_24adjacent_difference_implIS3_Lb0ELb0EPlS7_ZN2at6native12_GLOBAL__N_124unique_dim_cuda_templateIlEESt5tupleIJNS8_6TensorESD_SD_EERKSD_lbbbEUlllE1_EE10hipError_tPvRmT2_T3_mT4_P12ihipStream_tbEUlT_E_NS1_11comp_targetILNS1_3genE4ELNS1_11target_archE910ELNS1_3gpuE8ELNS1_3repE0EEENS1_30default_config_static_selectorELNS0_4arch9wavefront6targetE1EEEvT1_
; %bb.0:
	.section	.rodata,"a",@progbits
	.p2align	6, 0x0
	.amdhsa_kernel _ZN7rocprim17ROCPRIM_400000_NS6detail17trampoline_kernelINS0_14default_configENS1_35adjacent_difference_config_selectorILb0ElEEZNS1_24adjacent_difference_implIS3_Lb0ELb0EPlS7_ZN2at6native12_GLOBAL__N_124unique_dim_cuda_templateIlEESt5tupleIJNS8_6TensorESD_SD_EERKSD_lbbbEUlllE1_EE10hipError_tPvRmT2_T3_mT4_P12ihipStream_tbEUlT_E_NS1_11comp_targetILNS1_3genE4ELNS1_11target_archE910ELNS1_3gpuE8ELNS1_3repE0EEENS1_30default_config_static_selectorELNS0_4arch9wavefront6targetE1EEEvT1_
		.amdhsa_group_segment_fixed_size 0
		.amdhsa_private_segment_fixed_size 0
		.amdhsa_kernarg_size 64
		.amdhsa_user_sgpr_count 2
		.amdhsa_user_sgpr_dispatch_ptr 0
		.amdhsa_user_sgpr_queue_ptr 0
		.amdhsa_user_sgpr_kernarg_segment_ptr 1
		.amdhsa_user_sgpr_dispatch_id 0
		.amdhsa_user_sgpr_kernarg_preload_length 0
		.amdhsa_user_sgpr_kernarg_preload_offset 0
		.amdhsa_user_sgpr_private_segment_size 0
		.amdhsa_uses_dynamic_stack 0
		.amdhsa_enable_private_segment 0
		.amdhsa_system_sgpr_workgroup_id_x 1
		.amdhsa_system_sgpr_workgroup_id_y 0
		.amdhsa_system_sgpr_workgroup_id_z 0
		.amdhsa_system_sgpr_workgroup_info 0
		.amdhsa_system_vgpr_workitem_id 0
		.amdhsa_next_free_vgpr 1
		.amdhsa_next_free_sgpr 0
		.amdhsa_accum_offset 4
		.amdhsa_reserve_vcc 0
		.amdhsa_float_round_mode_32 0
		.amdhsa_float_round_mode_16_64 0
		.amdhsa_float_denorm_mode_32 3
		.amdhsa_float_denorm_mode_16_64 3
		.amdhsa_dx10_clamp 1
		.amdhsa_ieee_mode 1
		.amdhsa_fp16_overflow 0
		.amdhsa_tg_split 0
		.amdhsa_exception_fp_ieee_invalid_op 0
		.amdhsa_exception_fp_denorm_src 0
		.amdhsa_exception_fp_ieee_div_zero 0
		.amdhsa_exception_fp_ieee_overflow 0
		.amdhsa_exception_fp_ieee_underflow 0
		.amdhsa_exception_fp_ieee_inexact 0
		.amdhsa_exception_int_div_zero 0
	.end_amdhsa_kernel
	.section	.text._ZN7rocprim17ROCPRIM_400000_NS6detail17trampoline_kernelINS0_14default_configENS1_35adjacent_difference_config_selectorILb0ElEEZNS1_24adjacent_difference_implIS3_Lb0ELb0EPlS7_ZN2at6native12_GLOBAL__N_124unique_dim_cuda_templateIlEESt5tupleIJNS8_6TensorESD_SD_EERKSD_lbbbEUlllE1_EE10hipError_tPvRmT2_T3_mT4_P12ihipStream_tbEUlT_E_NS1_11comp_targetILNS1_3genE4ELNS1_11target_archE910ELNS1_3gpuE8ELNS1_3repE0EEENS1_30default_config_static_selectorELNS0_4arch9wavefront6targetE1EEEvT1_,"axG",@progbits,_ZN7rocprim17ROCPRIM_400000_NS6detail17trampoline_kernelINS0_14default_configENS1_35adjacent_difference_config_selectorILb0ElEEZNS1_24adjacent_difference_implIS3_Lb0ELb0EPlS7_ZN2at6native12_GLOBAL__N_124unique_dim_cuda_templateIlEESt5tupleIJNS8_6TensorESD_SD_EERKSD_lbbbEUlllE1_EE10hipError_tPvRmT2_T3_mT4_P12ihipStream_tbEUlT_E_NS1_11comp_targetILNS1_3genE4ELNS1_11target_archE910ELNS1_3gpuE8ELNS1_3repE0EEENS1_30default_config_static_selectorELNS0_4arch9wavefront6targetE1EEEvT1_,comdat
.Lfunc_end545:
	.size	_ZN7rocprim17ROCPRIM_400000_NS6detail17trampoline_kernelINS0_14default_configENS1_35adjacent_difference_config_selectorILb0ElEEZNS1_24adjacent_difference_implIS3_Lb0ELb0EPlS7_ZN2at6native12_GLOBAL__N_124unique_dim_cuda_templateIlEESt5tupleIJNS8_6TensorESD_SD_EERKSD_lbbbEUlllE1_EE10hipError_tPvRmT2_T3_mT4_P12ihipStream_tbEUlT_E_NS1_11comp_targetILNS1_3genE4ELNS1_11target_archE910ELNS1_3gpuE8ELNS1_3repE0EEENS1_30default_config_static_selectorELNS0_4arch9wavefront6targetE1EEEvT1_, .Lfunc_end545-_ZN7rocprim17ROCPRIM_400000_NS6detail17trampoline_kernelINS0_14default_configENS1_35adjacent_difference_config_selectorILb0ElEEZNS1_24adjacent_difference_implIS3_Lb0ELb0EPlS7_ZN2at6native12_GLOBAL__N_124unique_dim_cuda_templateIlEESt5tupleIJNS8_6TensorESD_SD_EERKSD_lbbbEUlllE1_EE10hipError_tPvRmT2_T3_mT4_P12ihipStream_tbEUlT_E_NS1_11comp_targetILNS1_3genE4ELNS1_11target_archE910ELNS1_3gpuE8ELNS1_3repE0EEENS1_30default_config_static_selectorELNS0_4arch9wavefront6targetE1EEEvT1_
                                        ; -- End function
	.section	.AMDGPU.csdata,"",@progbits
; Kernel info:
; codeLenInByte = 0
; NumSgprs: 6
; NumVgprs: 0
; NumAgprs: 0
; TotalNumVgprs: 0
; ScratchSize: 0
; MemoryBound: 0
; FloatMode: 240
; IeeeMode: 1
; LDSByteSize: 0 bytes/workgroup (compile time only)
; SGPRBlocks: 0
; VGPRBlocks: 0
; NumSGPRsForWavesPerEU: 6
; NumVGPRsForWavesPerEU: 1
; AccumOffset: 4
; Occupancy: 8
; WaveLimiterHint : 0
; COMPUTE_PGM_RSRC2:SCRATCH_EN: 0
; COMPUTE_PGM_RSRC2:USER_SGPR: 2
; COMPUTE_PGM_RSRC2:TRAP_HANDLER: 0
; COMPUTE_PGM_RSRC2:TGID_X_EN: 1
; COMPUTE_PGM_RSRC2:TGID_Y_EN: 0
; COMPUTE_PGM_RSRC2:TGID_Z_EN: 0
; COMPUTE_PGM_RSRC2:TIDIG_COMP_CNT: 0
; COMPUTE_PGM_RSRC3_GFX90A:ACCUM_OFFSET: 0
; COMPUTE_PGM_RSRC3_GFX90A:TG_SPLIT: 0
	.section	.text._ZN7rocprim17ROCPRIM_400000_NS6detail17trampoline_kernelINS0_14default_configENS1_35adjacent_difference_config_selectorILb0ElEEZNS1_24adjacent_difference_implIS3_Lb0ELb0EPlS7_ZN2at6native12_GLOBAL__N_124unique_dim_cuda_templateIlEESt5tupleIJNS8_6TensorESD_SD_EERKSD_lbbbEUlllE1_EE10hipError_tPvRmT2_T3_mT4_P12ihipStream_tbEUlT_E_NS1_11comp_targetILNS1_3genE3ELNS1_11target_archE908ELNS1_3gpuE7ELNS1_3repE0EEENS1_30default_config_static_selectorELNS0_4arch9wavefront6targetE1EEEvT1_,"axG",@progbits,_ZN7rocprim17ROCPRIM_400000_NS6detail17trampoline_kernelINS0_14default_configENS1_35adjacent_difference_config_selectorILb0ElEEZNS1_24adjacent_difference_implIS3_Lb0ELb0EPlS7_ZN2at6native12_GLOBAL__N_124unique_dim_cuda_templateIlEESt5tupleIJNS8_6TensorESD_SD_EERKSD_lbbbEUlllE1_EE10hipError_tPvRmT2_T3_mT4_P12ihipStream_tbEUlT_E_NS1_11comp_targetILNS1_3genE3ELNS1_11target_archE908ELNS1_3gpuE7ELNS1_3repE0EEENS1_30default_config_static_selectorELNS0_4arch9wavefront6targetE1EEEvT1_,comdat
	.globl	_ZN7rocprim17ROCPRIM_400000_NS6detail17trampoline_kernelINS0_14default_configENS1_35adjacent_difference_config_selectorILb0ElEEZNS1_24adjacent_difference_implIS3_Lb0ELb0EPlS7_ZN2at6native12_GLOBAL__N_124unique_dim_cuda_templateIlEESt5tupleIJNS8_6TensorESD_SD_EERKSD_lbbbEUlllE1_EE10hipError_tPvRmT2_T3_mT4_P12ihipStream_tbEUlT_E_NS1_11comp_targetILNS1_3genE3ELNS1_11target_archE908ELNS1_3gpuE7ELNS1_3repE0EEENS1_30default_config_static_selectorELNS0_4arch9wavefront6targetE1EEEvT1_ ; -- Begin function _ZN7rocprim17ROCPRIM_400000_NS6detail17trampoline_kernelINS0_14default_configENS1_35adjacent_difference_config_selectorILb0ElEEZNS1_24adjacent_difference_implIS3_Lb0ELb0EPlS7_ZN2at6native12_GLOBAL__N_124unique_dim_cuda_templateIlEESt5tupleIJNS8_6TensorESD_SD_EERKSD_lbbbEUlllE1_EE10hipError_tPvRmT2_T3_mT4_P12ihipStream_tbEUlT_E_NS1_11comp_targetILNS1_3genE3ELNS1_11target_archE908ELNS1_3gpuE7ELNS1_3repE0EEENS1_30default_config_static_selectorELNS0_4arch9wavefront6targetE1EEEvT1_
	.p2align	8
	.type	_ZN7rocprim17ROCPRIM_400000_NS6detail17trampoline_kernelINS0_14default_configENS1_35adjacent_difference_config_selectorILb0ElEEZNS1_24adjacent_difference_implIS3_Lb0ELb0EPlS7_ZN2at6native12_GLOBAL__N_124unique_dim_cuda_templateIlEESt5tupleIJNS8_6TensorESD_SD_EERKSD_lbbbEUlllE1_EE10hipError_tPvRmT2_T3_mT4_P12ihipStream_tbEUlT_E_NS1_11comp_targetILNS1_3genE3ELNS1_11target_archE908ELNS1_3gpuE7ELNS1_3repE0EEENS1_30default_config_static_selectorELNS0_4arch9wavefront6targetE1EEEvT1_,@function
_ZN7rocprim17ROCPRIM_400000_NS6detail17trampoline_kernelINS0_14default_configENS1_35adjacent_difference_config_selectorILb0ElEEZNS1_24adjacent_difference_implIS3_Lb0ELb0EPlS7_ZN2at6native12_GLOBAL__N_124unique_dim_cuda_templateIlEESt5tupleIJNS8_6TensorESD_SD_EERKSD_lbbbEUlllE1_EE10hipError_tPvRmT2_T3_mT4_P12ihipStream_tbEUlT_E_NS1_11comp_targetILNS1_3genE3ELNS1_11target_archE908ELNS1_3gpuE7ELNS1_3repE0EEENS1_30default_config_static_selectorELNS0_4arch9wavefront6targetE1EEEvT1_: ; @_ZN7rocprim17ROCPRIM_400000_NS6detail17trampoline_kernelINS0_14default_configENS1_35adjacent_difference_config_selectorILb0ElEEZNS1_24adjacent_difference_implIS3_Lb0ELb0EPlS7_ZN2at6native12_GLOBAL__N_124unique_dim_cuda_templateIlEESt5tupleIJNS8_6TensorESD_SD_EERKSD_lbbbEUlllE1_EE10hipError_tPvRmT2_T3_mT4_P12ihipStream_tbEUlT_E_NS1_11comp_targetILNS1_3genE3ELNS1_11target_archE908ELNS1_3gpuE7ELNS1_3repE0EEENS1_30default_config_static_selectorELNS0_4arch9wavefront6targetE1EEEvT1_
; %bb.0:
	.section	.rodata,"a",@progbits
	.p2align	6, 0x0
	.amdhsa_kernel _ZN7rocprim17ROCPRIM_400000_NS6detail17trampoline_kernelINS0_14default_configENS1_35adjacent_difference_config_selectorILb0ElEEZNS1_24adjacent_difference_implIS3_Lb0ELb0EPlS7_ZN2at6native12_GLOBAL__N_124unique_dim_cuda_templateIlEESt5tupleIJNS8_6TensorESD_SD_EERKSD_lbbbEUlllE1_EE10hipError_tPvRmT2_T3_mT4_P12ihipStream_tbEUlT_E_NS1_11comp_targetILNS1_3genE3ELNS1_11target_archE908ELNS1_3gpuE7ELNS1_3repE0EEENS1_30default_config_static_selectorELNS0_4arch9wavefront6targetE1EEEvT1_
		.amdhsa_group_segment_fixed_size 0
		.amdhsa_private_segment_fixed_size 0
		.amdhsa_kernarg_size 64
		.amdhsa_user_sgpr_count 2
		.amdhsa_user_sgpr_dispatch_ptr 0
		.amdhsa_user_sgpr_queue_ptr 0
		.amdhsa_user_sgpr_kernarg_segment_ptr 1
		.amdhsa_user_sgpr_dispatch_id 0
		.amdhsa_user_sgpr_kernarg_preload_length 0
		.amdhsa_user_sgpr_kernarg_preload_offset 0
		.amdhsa_user_sgpr_private_segment_size 0
		.amdhsa_uses_dynamic_stack 0
		.amdhsa_enable_private_segment 0
		.amdhsa_system_sgpr_workgroup_id_x 1
		.amdhsa_system_sgpr_workgroup_id_y 0
		.amdhsa_system_sgpr_workgroup_id_z 0
		.amdhsa_system_sgpr_workgroup_info 0
		.amdhsa_system_vgpr_workitem_id 0
		.amdhsa_next_free_vgpr 1
		.amdhsa_next_free_sgpr 0
		.amdhsa_accum_offset 4
		.amdhsa_reserve_vcc 0
		.amdhsa_float_round_mode_32 0
		.amdhsa_float_round_mode_16_64 0
		.amdhsa_float_denorm_mode_32 3
		.amdhsa_float_denorm_mode_16_64 3
		.amdhsa_dx10_clamp 1
		.amdhsa_ieee_mode 1
		.amdhsa_fp16_overflow 0
		.amdhsa_tg_split 0
		.amdhsa_exception_fp_ieee_invalid_op 0
		.amdhsa_exception_fp_denorm_src 0
		.amdhsa_exception_fp_ieee_div_zero 0
		.amdhsa_exception_fp_ieee_overflow 0
		.amdhsa_exception_fp_ieee_underflow 0
		.amdhsa_exception_fp_ieee_inexact 0
		.amdhsa_exception_int_div_zero 0
	.end_amdhsa_kernel
	.section	.text._ZN7rocprim17ROCPRIM_400000_NS6detail17trampoline_kernelINS0_14default_configENS1_35adjacent_difference_config_selectorILb0ElEEZNS1_24adjacent_difference_implIS3_Lb0ELb0EPlS7_ZN2at6native12_GLOBAL__N_124unique_dim_cuda_templateIlEESt5tupleIJNS8_6TensorESD_SD_EERKSD_lbbbEUlllE1_EE10hipError_tPvRmT2_T3_mT4_P12ihipStream_tbEUlT_E_NS1_11comp_targetILNS1_3genE3ELNS1_11target_archE908ELNS1_3gpuE7ELNS1_3repE0EEENS1_30default_config_static_selectorELNS0_4arch9wavefront6targetE1EEEvT1_,"axG",@progbits,_ZN7rocprim17ROCPRIM_400000_NS6detail17trampoline_kernelINS0_14default_configENS1_35adjacent_difference_config_selectorILb0ElEEZNS1_24adjacent_difference_implIS3_Lb0ELb0EPlS7_ZN2at6native12_GLOBAL__N_124unique_dim_cuda_templateIlEESt5tupleIJNS8_6TensorESD_SD_EERKSD_lbbbEUlllE1_EE10hipError_tPvRmT2_T3_mT4_P12ihipStream_tbEUlT_E_NS1_11comp_targetILNS1_3genE3ELNS1_11target_archE908ELNS1_3gpuE7ELNS1_3repE0EEENS1_30default_config_static_selectorELNS0_4arch9wavefront6targetE1EEEvT1_,comdat
.Lfunc_end546:
	.size	_ZN7rocprim17ROCPRIM_400000_NS6detail17trampoline_kernelINS0_14default_configENS1_35adjacent_difference_config_selectorILb0ElEEZNS1_24adjacent_difference_implIS3_Lb0ELb0EPlS7_ZN2at6native12_GLOBAL__N_124unique_dim_cuda_templateIlEESt5tupleIJNS8_6TensorESD_SD_EERKSD_lbbbEUlllE1_EE10hipError_tPvRmT2_T3_mT4_P12ihipStream_tbEUlT_E_NS1_11comp_targetILNS1_3genE3ELNS1_11target_archE908ELNS1_3gpuE7ELNS1_3repE0EEENS1_30default_config_static_selectorELNS0_4arch9wavefront6targetE1EEEvT1_, .Lfunc_end546-_ZN7rocprim17ROCPRIM_400000_NS6detail17trampoline_kernelINS0_14default_configENS1_35adjacent_difference_config_selectorILb0ElEEZNS1_24adjacent_difference_implIS3_Lb0ELb0EPlS7_ZN2at6native12_GLOBAL__N_124unique_dim_cuda_templateIlEESt5tupleIJNS8_6TensorESD_SD_EERKSD_lbbbEUlllE1_EE10hipError_tPvRmT2_T3_mT4_P12ihipStream_tbEUlT_E_NS1_11comp_targetILNS1_3genE3ELNS1_11target_archE908ELNS1_3gpuE7ELNS1_3repE0EEENS1_30default_config_static_selectorELNS0_4arch9wavefront6targetE1EEEvT1_
                                        ; -- End function
	.section	.AMDGPU.csdata,"",@progbits
; Kernel info:
; codeLenInByte = 0
; NumSgprs: 6
; NumVgprs: 0
; NumAgprs: 0
; TotalNumVgprs: 0
; ScratchSize: 0
; MemoryBound: 0
; FloatMode: 240
; IeeeMode: 1
; LDSByteSize: 0 bytes/workgroup (compile time only)
; SGPRBlocks: 0
; VGPRBlocks: 0
; NumSGPRsForWavesPerEU: 6
; NumVGPRsForWavesPerEU: 1
; AccumOffset: 4
; Occupancy: 8
; WaveLimiterHint : 0
; COMPUTE_PGM_RSRC2:SCRATCH_EN: 0
; COMPUTE_PGM_RSRC2:USER_SGPR: 2
; COMPUTE_PGM_RSRC2:TRAP_HANDLER: 0
; COMPUTE_PGM_RSRC2:TGID_X_EN: 1
; COMPUTE_PGM_RSRC2:TGID_Y_EN: 0
; COMPUTE_PGM_RSRC2:TGID_Z_EN: 0
; COMPUTE_PGM_RSRC2:TIDIG_COMP_CNT: 0
; COMPUTE_PGM_RSRC3_GFX90A:ACCUM_OFFSET: 0
; COMPUTE_PGM_RSRC3_GFX90A:TG_SPLIT: 0
	.section	.text._ZN7rocprim17ROCPRIM_400000_NS6detail17trampoline_kernelINS0_14default_configENS1_35adjacent_difference_config_selectorILb0ElEEZNS1_24adjacent_difference_implIS3_Lb0ELb0EPlS7_ZN2at6native12_GLOBAL__N_124unique_dim_cuda_templateIlEESt5tupleIJNS8_6TensorESD_SD_EERKSD_lbbbEUlllE1_EE10hipError_tPvRmT2_T3_mT4_P12ihipStream_tbEUlT_E_NS1_11comp_targetILNS1_3genE2ELNS1_11target_archE906ELNS1_3gpuE6ELNS1_3repE0EEENS1_30default_config_static_selectorELNS0_4arch9wavefront6targetE1EEEvT1_,"axG",@progbits,_ZN7rocprim17ROCPRIM_400000_NS6detail17trampoline_kernelINS0_14default_configENS1_35adjacent_difference_config_selectorILb0ElEEZNS1_24adjacent_difference_implIS3_Lb0ELb0EPlS7_ZN2at6native12_GLOBAL__N_124unique_dim_cuda_templateIlEESt5tupleIJNS8_6TensorESD_SD_EERKSD_lbbbEUlllE1_EE10hipError_tPvRmT2_T3_mT4_P12ihipStream_tbEUlT_E_NS1_11comp_targetILNS1_3genE2ELNS1_11target_archE906ELNS1_3gpuE6ELNS1_3repE0EEENS1_30default_config_static_selectorELNS0_4arch9wavefront6targetE1EEEvT1_,comdat
	.globl	_ZN7rocprim17ROCPRIM_400000_NS6detail17trampoline_kernelINS0_14default_configENS1_35adjacent_difference_config_selectorILb0ElEEZNS1_24adjacent_difference_implIS3_Lb0ELb0EPlS7_ZN2at6native12_GLOBAL__N_124unique_dim_cuda_templateIlEESt5tupleIJNS8_6TensorESD_SD_EERKSD_lbbbEUlllE1_EE10hipError_tPvRmT2_T3_mT4_P12ihipStream_tbEUlT_E_NS1_11comp_targetILNS1_3genE2ELNS1_11target_archE906ELNS1_3gpuE6ELNS1_3repE0EEENS1_30default_config_static_selectorELNS0_4arch9wavefront6targetE1EEEvT1_ ; -- Begin function _ZN7rocprim17ROCPRIM_400000_NS6detail17trampoline_kernelINS0_14default_configENS1_35adjacent_difference_config_selectorILb0ElEEZNS1_24adjacent_difference_implIS3_Lb0ELb0EPlS7_ZN2at6native12_GLOBAL__N_124unique_dim_cuda_templateIlEESt5tupleIJNS8_6TensorESD_SD_EERKSD_lbbbEUlllE1_EE10hipError_tPvRmT2_T3_mT4_P12ihipStream_tbEUlT_E_NS1_11comp_targetILNS1_3genE2ELNS1_11target_archE906ELNS1_3gpuE6ELNS1_3repE0EEENS1_30default_config_static_selectorELNS0_4arch9wavefront6targetE1EEEvT1_
	.p2align	8
	.type	_ZN7rocprim17ROCPRIM_400000_NS6detail17trampoline_kernelINS0_14default_configENS1_35adjacent_difference_config_selectorILb0ElEEZNS1_24adjacent_difference_implIS3_Lb0ELb0EPlS7_ZN2at6native12_GLOBAL__N_124unique_dim_cuda_templateIlEESt5tupleIJNS8_6TensorESD_SD_EERKSD_lbbbEUlllE1_EE10hipError_tPvRmT2_T3_mT4_P12ihipStream_tbEUlT_E_NS1_11comp_targetILNS1_3genE2ELNS1_11target_archE906ELNS1_3gpuE6ELNS1_3repE0EEENS1_30default_config_static_selectorELNS0_4arch9wavefront6targetE1EEEvT1_,@function
_ZN7rocprim17ROCPRIM_400000_NS6detail17trampoline_kernelINS0_14default_configENS1_35adjacent_difference_config_selectorILb0ElEEZNS1_24adjacent_difference_implIS3_Lb0ELb0EPlS7_ZN2at6native12_GLOBAL__N_124unique_dim_cuda_templateIlEESt5tupleIJNS8_6TensorESD_SD_EERKSD_lbbbEUlllE1_EE10hipError_tPvRmT2_T3_mT4_P12ihipStream_tbEUlT_E_NS1_11comp_targetILNS1_3genE2ELNS1_11target_archE906ELNS1_3gpuE6ELNS1_3repE0EEENS1_30default_config_static_selectorELNS0_4arch9wavefront6targetE1EEEvT1_: ; @_ZN7rocprim17ROCPRIM_400000_NS6detail17trampoline_kernelINS0_14default_configENS1_35adjacent_difference_config_selectorILb0ElEEZNS1_24adjacent_difference_implIS3_Lb0ELb0EPlS7_ZN2at6native12_GLOBAL__N_124unique_dim_cuda_templateIlEESt5tupleIJNS8_6TensorESD_SD_EERKSD_lbbbEUlllE1_EE10hipError_tPvRmT2_T3_mT4_P12ihipStream_tbEUlT_E_NS1_11comp_targetILNS1_3genE2ELNS1_11target_archE906ELNS1_3gpuE6ELNS1_3repE0EEENS1_30default_config_static_selectorELNS0_4arch9wavefront6targetE1EEEvT1_
; %bb.0:
	.section	.rodata,"a",@progbits
	.p2align	6, 0x0
	.amdhsa_kernel _ZN7rocprim17ROCPRIM_400000_NS6detail17trampoline_kernelINS0_14default_configENS1_35adjacent_difference_config_selectorILb0ElEEZNS1_24adjacent_difference_implIS3_Lb0ELb0EPlS7_ZN2at6native12_GLOBAL__N_124unique_dim_cuda_templateIlEESt5tupleIJNS8_6TensorESD_SD_EERKSD_lbbbEUlllE1_EE10hipError_tPvRmT2_T3_mT4_P12ihipStream_tbEUlT_E_NS1_11comp_targetILNS1_3genE2ELNS1_11target_archE906ELNS1_3gpuE6ELNS1_3repE0EEENS1_30default_config_static_selectorELNS0_4arch9wavefront6targetE1EEEvT1_
		.amdhsa_group_segment_fixed_size 0
		.amdhsa_private_segment_fixed_size 0
		.amdhsa_kernarg_size 64
		.amdhsa_user_sgpr_count 2
		.amdhsa_user_sgpr_dispatch_ptr 0
		.amdhsa_user_sgpr_queue_ptr 0
		.amdhsa_user_sgpr_kernarg_segment_ptr 1
		.amdhsa_user_sgpr_dispatch_id 0
		.amdhsa_user_sgpr_kernarg_preload_length 0
		.amdhsa_user_sgpr_kernarg_preload_offset 0
		.amdhsa_user_sgpr_private_segment_size 0
		.amdhsa_uses_dynamic_stack 0
		.amdhsa_enable_private_segment 0
		.amdhsa_system_sgpr_workgroup_id_x 1
		.amdhsa_system_sgpr_workgroup_id_y 0
		.amdhsa_system_sgpr_workgroup_id_z 0
		.amdhsa_system_sgpr_workgroup_info 0
		.amdhsa_system_vgpr_workitem_id 0
		.amdhsa_next_free_vgpr 1
		.amdhsa_next_free_sgpr 0
		.amdhsa_accum_offset 4
		.amdhsa_reserve_vcc 0
		.amdhsa_float_round_mode_32 0
		.amdhsa_float_round_mode_16_64 0
		.amdhsa_float_denorm_mode_32 3
		.amdhsa_float_denorm_mode_16_64 3
		.amdhsa_dx10_clamp 1
		.amdhsa_ieee_mode 1
		.amdhsa_fp16_overflow 0
		.amdhsa_tg_split 0
		.amdhsa_exception_fp_ieee_invalid_op 0
		.amdhsa_exception_fp_denorm_src 0
		.amdhsa_exception_fp_ieee_div_zero 0
		.amdhsa_exception_fp_ieee_overflow 0
		.amdhsa_exception_fp_ieee_underflow 0
		.amdhsa_exception_fp_ieee_inexact 0
		.amdhsa_exception_int_div_zero 0
	.end_amdhsa_kernel
	.section	.text._ZN7rocprim17ROCPRIM_400000_NS6detail17trampoline_kernelINS0_14default_configENS1_35adjacent_difference_config_selectorILb0ElEEZNS1_24adjacent_difference_implIS3_Lb0ELb0EPlS7_ZN2at6native12_GLOBAL__N_124unique_dim_cuda_templateIlEESt5tupleIJNS8_6TensorESD_SD_EERKSD_lbbbEUlllE1_EE10hipError_tPvRmT2_T3_mT4_P12ihipStream_tbEUlT_E_NS1_11comp_targetILNS1_3genE2ELNS1_11target_archE906ELNS1_3gpuE6ELNS1_3repE0EEENS1_30default_config_static_selectorELNS0_4arch9wavefront6targetE1EEEvT1_,"axG",@progbits,_ZN7rocprim17ROCPRIM_400000_NS6detail17trampoline_kernelINS0_14default_configENS1_35adjacent_difference_config_selectorILb0ElEEZNS1_24adjacent_difference_implIS3_Lb0ELb0EPlS7_ZN2at6native12_GLOBAL__N_124unique_dim_cuda_templateIlEESt5tupleIJNS8_6TensorESD_SD_EERKSD_lbbbEUlllE1_EE10hipError_tPvRmT2_T3_mT4_P12ihipStream_tbEUlT_E_NS1_11comp_targetILNS1_3genE2ELNS1_11target_archE906ELNS1_3gpuE6ELNS1_3repE0EEENS1_30default_config_static_selectorELNS0_4arch9wavefront6targetE1EEEvT1_,comdat
.Lfunc_end547:
	.size	_ZN7rocprim17ROCPRIM_400000_NS6detail17trampoline_kernelINS0_14default_configENS1_35adjacent_difference_config_selectorILb0ElEEZNS1_24adjacent_difference_implIS3_Lb0ELb0EPlS7_ZN2at6native12_GLOBAL__N_124unique_dim_cuda_templateIlEESt5tupleIJNS8_6TensorESD_SD_EERKSD_lbbbEUlllE1_EE10hipError_tPvRmT2_T3_mT4_P12ihipStream_tbEUlT_E_NS1_11comp_targetILNS1_3genE2ELNS1_11target_archE906ELNS1_3gpuE6ELNS1_3repE0EEENS1_30default_config_static_selectorELNS0_4arch9wavefront6targetE1EEEvT1_, .Lfunc_end547-_ZN7rocprim17ROCPRIM_400000_NS6detail17trampoline_kernelINS0_14default_configENS1_35adjacent_difference_config_selectorILb0ElEEZNS1_24adjacent_difference_implIS3_Lb0ELb0EPlS7_ZN2at6native12_GLOBAL__N_124unique_dim_cuda_templateIlEESt5tupleIJNS8_6TensorESD_SD_EERKSD_lbbbEUlllE1_EE10hipError_tPvRmT2_T3_mT4_P12ihipStream_tbEUlT_E_NS1_11comp_targetILNS1_3genE2ELNS1_11target_archE906ELNS1_3gpuE6ELNS1_3repE0EEENS1_30default_config_static_selectorELNS0_4arch9wavefront6targetE1EEEvT1_
                                        ; -- End function
	.section	.AMDGPU.csdata,"",@progbits
; Kernel info:
; codeLenInByte = 0
; NumSgprs: 6
; NumVgprs: 0
; NumAgprs: 0
; TotalNumVgprs: 0
; ScratchSize: 0
; MemoryBound: 0
; FloatMode: 240
; IeeeMode: 1
; LDSByteSize: 0 bytes/workgroup (compile time only)
; SGPRBlocks: 0
; VGPRBlocks: 0
; NumSGPRsForWavesPerEU: 6
; NumVGPRsForWavesPerEU: 1
; AccumOffset: 4
; Occupancy: 8
; WaveLimiterHint : 0
; COMPUTE_PGM_RSRC2:SCRATCH_EN: 0
; COMPUTE_PGM_RSRC2:USER_SGPR: 2
; COMPUTE_PGM_RSRC2:TRAP_HANDLER: 0
; COMPUTE_PGM_RSRC2:TGID_X_EN: 1
; COMPUTE_PGM_RSRC2:TGID_Y_EN: 0
; COMPUTE_PGM_RSRC2:TGID_Z_EN: 0
; COMPUTE_PGM_RSRC2:TIDIG_COMP_CNT: 0
; COMPUTE_PGM_RSRC3_GFX90A:ACCUM_OFFSET: 0
; COMPUTE_PGM_RSRC3_GFX90A:TG_SPLIT: 0
	.section	.text._ZN7rocprim17ROCPRIM_400000_NS6detail17trampoline_kernelINS0_14default_configENS1_35adjacent_difference_config_selectorILb0ElEEZNS1_24adjacent_difference_implIS3_Lb0ELb0EPlS7_ZN2at6native12_GLOBAL__N_124unique_dim_cuda_templateIlEESt5tupleIJNS8_6TensorESD_SD_EERKSD_lbbbEUlllE1_EE10hipError_tPvRmT2_T3_mT4_P12ihipStream_tbEUlT_E_NS1_11comp_targetILNS1_3genE9ELNS1_11target_archE1100ELNS1_3gpuE3ELNS1_3repE0EEENS1_30default_config_static_selectorELNS0_4arch9wavefront6targetE1EEEvT1_,"axG",@progbits,_ZN7rocprim17ROCPRIM_400000_NS6detail17trampoline_kernelINS0_14default_configENS1_35adjacent_difference_config_selectorILb0ElEEZNS1_24adjacent_difference_implIS3_Lb0ELb0EPlS7_ZN2at6native12_GLOBAL__N_124unique_dim_cuda_templateIlEESt5tupleIJNS8_6TensorESD_SD_EERKSD_lbbbEUlllE1_EE10hipError_tPvRmT2_T3_mT4_P12ihipStream_tbEUlT_E_NS1_11comp_targetILNS1_3genE9ELNS1_11target_archE1100ELNS1_3gpuE3ELNS1_3repE0EEENS1_30default_config_static_selectorELNS0_4arch9wavefront6targetE1EEEvT1_,comdat
	.globl	_ZN7rocprim17ROCPRIM_400000_NS6detail17trampoline_kernelINS0_14default_configENS1_35adjacent_difference_config_selectorILb0ElEEZNS1_24adjacent_difference_implIS3_Lb0ELb0EPlS7_ZN2at6native12_GLOBAL__N_124unique_dim_cuda_templateIlEESt5tupleIJNS8_6TensorESD_SD_EERKSD_lbbbEUlllE1_EE10hipError_tPvRmT2_T3_mT4_P12ihipStream_tbEUlT_E_NS1_11comp_targetILNS1_3genE9ELNS1_11target_archE1100ELNS1_3gpuE3ELNS1_3repE0EEENS1_30default_config_static_selectorELNS0_4arch9wavefront6targetE1EEEvT1_ ; -- Begin function _ZN7rocprim17ROCPRIM_400000_NS6detail17trampoline_kernelINS0_14default_configENS1_35adjacent_difference_config_selectorILb0ElEEZNS1_24adjacent_difference_implIS3_Lb0ELb0EPlS7_ZN2at6native12_GLOBAL__N_124unique_dim_cuda_templateIlEESt5tupleIJNS8_6TensorESD_SD_EERKSD_lbbbEUlllE1_EE10hipError_tPvRmT2_T3_mT4_P12ihipStream_tbEUlT_E_NS1_11comp_targetILNS1_3genE9ELNS1_11target_archE1100ELNS1_3gpuE3ELNS1_3repE0EEENS1_30default_config_static_selectorELNS0_4arch9wavefront6targetE1EEEvT1_
	.p2align	8
	.type	_ZN7rocprim17ROCPRIM_400000_NS6detail17trampoline_kernelINS0_14default_configENS1_35adjacent_difference_config_selectorILb0ElEEZNS1_24adjacent_difference_implIS3_Lb0ELb0EPlS7_ZN2at6native12_GLOBAL__N_124unique_dim_cuda_templateIlEESt5tupleIJNS8_6TensorESD_SD_EERKSD_lbbbEUlllE1_EE10hipError_tPvRmT2_T3_mT4_P12ihipStream_tbEUlT_E_NS1_11comp_targetILNS1_3genE9ELNS1_11target_archE1100ELNS1_3gpuE3ELNS1_3repE0EEENS1_30default_config_static_selectorELNS0_4arch9wavefront6targetE1EEEvT1_,@function
_ZN7rocprim17ROCPRIM_400000_NS6detail17trampoline_kernelINS0_14default_configENS1_35adjacent_difference_config_selectorILb0ElEEZNS1_24adjacent_difference_implIS3_Lb0ELb0EPlS7_ZN2at6native12_GLOBAL__N_124unique_dim_cuda_templateIlEESt5tupleIJNS8_6TensorESD_SD_EERKSD_lbbbEUlllE1_EE10hipError_tPvRmT2_T3_mT4_P12ihipStream_tbEUlT_E_NS1_11comp_targetILNS1_3genE9ELNS1_11target_archE1100ELNS1_3gpuE3ELNS1_3repE0EEENS1_30default_config_static_selectorELNS0_4arch9wavefront6targetE1EEEvT1_: ; @_ZN7rocprim17ROCPRIM_400000_NS6detail17trampoline_kernelINS0_14default_configENS1_35adjacent_difference_config_selectorILb0ElEEZNS1_24adjacent_difference_implIS3_Lb0ELb0EPlS7_ZN2at6native12_GLOBAL__N_124unique_dim_cuda_templateIlEESt5tupleIJNS8_6TensorESD_SD_EERKSD_lbbbEUlllE1_EE10hipError_tPvRmT2_T3_mT4_P12ihipStream_tbEUlT_E_NS1_11comp_targetILNS1_3genE9ELNS1_11target_archE1100ELNS1_3gpuE3ELNS1_3repE0EEENS1_30default_config_static_selectorELNS0_4arch9wavefront6targetE1EEEvT1_
; %bb.0:
	.section	.rodata,"a",@progbits
	.p2align	6, 0x0
	.amdhsa_kernel _ZN7rocprim17ROCPRIM_400000_NS6detail17trampoline_kernelINS0_14default_configENS1_35adjacent_difference_config_selectorILb0ElEEZNS1_24adjacent_difference_implIS3_Lb0ELb0EPlS7_ZN2at6native12_GLOBAL__N_124unique_dim_cuda_templateIlEESt5tupleIJNS8_6TensorESD_SD_EERKSD_lbbbEUlllE1_EE10hipError_tPvRmT2_T3_mT4_P12ihipStream_tbEUlT_E_NS1_11comp_targetILNS1_3genE9ELNS1_11target_archE1100ELNS1_3gpuE3ELNS1_3repE0EEENS1_30default_config_static_selectorELNS0_4arch9wavefront6targetE1EEEvT1_
		.amdhsa_group_segment_fixed_size 0
		.amdhsa_private_segment_fixed_size 0
		.amdhsa_kernarg_size 64
		.amdhsa_user_sgpr_count 2
		.amdhsa_user_sgpr_dispatch_ptr 0
		.amdhsa_user_sgpr_queue_ptr 0
		.amdhsa_user_sgpr_kernarg_segment_ptr 1
		.amdhsa_user_sgpr_dispatch_id 0
		.amdhsa_user_sgpr_kernarg_preload_length 0
		.amdhsa_user_sgpr_kernarg_preload_offset 0
		.amdhsa_user_sgpr_private_segment_size 0
		.amdhsa_uses_dynamic_stack 0
		.amdhsa_enable_private_segment 0
		.amdhsa_system_sgpr_workgroup_id_x 1
		.amdhsa_system_sgpr_workgroup_id_y 0
		.amdhsa_system_sgpr_workgroup_id_z 0
		.amdhsa_system_sgpr_workgroup_info 0
		.amdhsa_system_vgpr_workitem_id 0
		.amdhsa_next_free_vgpr 1
		.amdhsa_next_free_sgpr 0
		.amdhsa_accum_offset 4
		.amdhsa_reserve_vcc 0
		.amdhsa_float_round_mode_32 0
		.amdhsa_float_round_mode_16_64 0
		.amdhsa_float_denorm_mode_32 3
		.amdhsa_float_denorm_mode_16_64 3
		.amdhsa_dx10_clamp 1
		.amdhsa_ieee_mode 1
		.amdhsa_fp16_overflow 0
		.amdhsa_tg_split 0
		.amdhsa_exception_fp_ieee_invalid_op 0
		.amdhsa_exception_fp_denorm_src 0
		.amdhsa_exception_fp_ieee_div_zero 0
		.amdhsa_exception_fp_ieee_overflow 0
		.amdhsa_exception_fp_ieee_underflow 0
		.amdhsa_exception_fp_ieee_inexact 0
		.amdhsa_exception_int_div_zero 0
	.end_amdhsa_kernel
	.section	.text._ZN7rocprim17ROCPRIM_400000_NS6detail17trampoline_kernelINS0_14default_configENS1_35adjacent_difference_config_selectorILb0ElEEZNS1_24adjacent_difference_implIS3_Lb0ELb0EPlS7_ZN2at6native12_GLOBAL__N_124unique_dim_cuda_templateIlEESt5tupleIJNS8_6TensorESD_SD_EERKSD_lbbbEUlllE1_EE10hipError_tPvRmT2_T3_mT4_P12ihipStream_tbEUlT_E_NS1_11comp_targetILNS1_3genE9ELNS1_11target_archE1100ELNS1_3gpuE3ELNS1_3repE0EEENS1_30default_config_static_selectorELNS0_4arch9wavefront6targetE1EEEvT1_,"axG",@progbits,_ZN7rocprim17ROCPRIM_400000_NS6detail17trampoline_kernelINS0_14default_configENS1_35adjacent_difference_config_selectorILb0ElEEZNS1_24adjacent_difference_implIS3_Lb0ELb0EPlS7_ZN2at6native12_GLOBAL__N_124unique_dim_cuda_templateIlEESt5tupleIJNS8_6TensorESD_SD_EERKSD_lbbbEUlllE1_EE10hipError_tPvRmT2_T3_mT4_P12ihipStream_tbEUlT_E_NS1_11comp_targetILNS1_3genE9ELNS1_11target_archE1100ELNS1_3gpuE3ELNS1_3repE0EEENS1_30default_config_static_selectorELNS0_4arch9wavefront6targetE1EEEvT1_,comdat
.Lfunc_end548:
	.size	_ZN7rocprim17ROCPRIM_400000_NS6detail17trampoline_kernelINS0_14default_configENS1_35adjacent_difference_config_selectorILb0ElEEZNS1_24adjacent_difference_implIS3_Lb0ELb0EPlS7_ZN2at6native12_GLOBAL__N_124unique_dim_cuda_templateIlEESt5tupleIJNS8_6TensorESD_SD_EERKSD_lbbbEUlllE1_EE10hipError_tPvRmT2_T3_mT4_P12ihipStream_tbEUlT_E_NS1_11comp_targetILNS1_3genE9ELNS1_11target_archE1100ELNS1_3gpuE3ELNS1_3repE0EEENS1_30default_config_static_selectorELNS0_4arch9wavefront6targetE1EEEvT1_, .Lfunc_end548-_ZN7rocprim17ROCPRIM_400000_NS6detail17trampoline_kernelINS0_14default_configENS1_35adjacent_difference_config_selectorILb0ElEEZNS1_24adjacent_difference_implIS3_Lb0ELb0EPlS7_ZN2at6native12_GLOBAL__N_124unique_dim_cuda_templateIlEESt5tupleIJNS8_6TensorESD_SD_EERKSD_lbbbEUlllE1_EE10hipError_tPvRmT2_T3_mT4_P12ihipStream_tbEUlT_E_NS1_11comp_targetILNS1_3genE9ELNS1_11target_archE1100ELNS1_3gpuE3ELNS1_3repE0EEENS1_30default_config_static_selectorELNS0_4arch9wavefront6targetE1EEEvT1_
                                        ; -- End function
	.section	.AMDGPU.csdata,"",@progbits
; Kernel info:
; codeLenInByte = 0
; NumSgprs: 6
; NumVgprs: 0
; NumAgprs: 0
; TotalNumVgprs: 0
; ScratchSize: 0
; MemoryBound: 0
; FloatMode: 240
; IeeeMode: 1
; LDSByteSize: 0 bytes/workgroup (compile time only)
; SGPRBlocks: 0
; VGPRBlocks: 0
; NumSGPRsForWavesPerEU: 6
; NumVGPRsForWavesPerEU: 1
; AccumOffset: 4
; Occupancy: 8
; WaveLimiterHint : 0
; COMPUTE_PGM_RSRC2:SCRATCH_EN: 0
; COMPUTE_PGM_RSRC2:USER_SGPR: 2
; COMPUTE_PGM_RSRC2:TRAP_HANDLER: 0
; COMPUTE_PGM_RSRC2:TGID_X_EN: 1
; COMPUTE_PGM_RSRC2:TGID_Y_EN: 0
; COMPUTE_PGM_RSRC2:TGID_Z_EN: 0
; COMPUTE_PGM_RSRC2:TIDIG_COMP_CNT: 0
; COMPUTE_PGM_RSRC3_GFX90A:ACCUM_OFFSET: 0
; COMPUTE_PGM_RSRC3_GFX90A:TG_SPLIT: 0
	.section	.text._ZN7rocprim17ROCPRIM_400000_NS6detail17trampoline_kernelINS0_14default_configENS1_35adjacent_difference_config_selectorILb0ElEEZNS1_24adjacent_difference_implIS3_Lb0ELb0EPlS7_ZN2at6native12_GLOBAL__N_124unique_dim_cuda_templateIlEESt5tupleIJNS8_6TensorESD_SD_EERKSD_lbbbEUlllE1_EE10hipError_tPvRmT2_T3_mT4_P12ihipStream_tbEUlT_E_NS1_11comp_targetILNS1_3genE8ELNS1_11target_archE1030ELNS1_3gpuE2ELNS1_3repE0EEENS1_30default_config_static_selectorELNS0_4arch9wavefront6targetE1EEEvT1_,"axG",@progbits,_ZN7rocprim17ROCPRIM_400000_NS6detail17trampoline_kernelINS0_14default_configENS1_35adjacent_difference_config_selectorILb0ElEEZNS1_24adjacent_difference_implIS3_Lb0ELb0EPlS7_ZN2at6native12_GLOBAL__N_124unique_dim_cuda_templateIlEESt5tupleIJNS8_6TensorESD_SD_EERKSD_lbbbEUlllE1_EE10hipError_tPvRmT2_T3_mT4_P12ihipStream_tbEUlT_E_NS1_11comp_targetILNS1_3genE8ELNS1_11target_archE1030ELNS1_3gpuE2ELNS1_3repE0EEENS1_30default_config_static_selectorELNS0_4arch9wavefront6targetE1EEEvT1_,comdat
	.globl	_ZN7rocprim17ROCPRIM_400000_NS6detail17trampoline_kernelINS0_14default_configENS1_35adjacent_difference_config_selectorILb0ElEEZNS1_24adjacent_difference_implIS3_Lb0ELb0EPlS7_ZN2at6native12_GLOBAL__N_124unique_dim_cuda_templateIlEESt5tupleIJNS8_6TensorESD_SD_EERKSD_lbbbEUlllE1_EE10hipError_tPvRmT2_T3_mT4_P12ihipStream_tbEUlT_E_NS1_11comp_targetILNS1_3genE8ELNS1_11target_archE1030ELNS1_3gpuE2ELNS1_3repE0EEENS1_30default_config_static_selectorELNS0_4arch9wavefront6targetE1EEEvT1_ ; -- Begin function _ZN7rocprim17ROCPRIM_400000_NS6detail17trampoline_kernelINS0_14default_configENS1_35adjacent_difference_config_selectorILb0ElEEZNS1_24adjacent_difference_implIS3_Lb0ELb0EPlS7_ZN2at6native12_GLOBAL__N_124unique_dim_cuda_templateIlEESt5tupleIJNS8_6TensorESD_SD_EERKSD_lbbbEUlllE1_EE10hipError_tPvRmT2_T3_mT4_P12ihipStream_tbEUlT_E_NS1_11comp_targetILNS1_3genE8ELNS1_11target_archE1030ELNS1_3gpuE2ELNS1_3repE0EEENS1_30default_config_static_selectorELNS0_4arch9wavefront6targetE1EEEvT1_
	.p2align	8
	.type	_ZN7rocprim17ROCPRIM_400000_NS6detail17trampoline_kernelINS0_14default_configENS1_35adjacent_difference_config_selectorILb0ElEEZNS1_24adjacent_difference_implIS3_Lb0ELb0EPlS7_ZN2at6native12_GLOBAL__N_124unique_dim_cuda_templateIlEESt5tupleIJNS8_6TensorESD_SD_EERKSD_lbbbEUlllE1_EE10hipError_tPvRmT2_T3_mT4_P12ihipStream_tbEUlT_E_NS1_11comp_targetILNS1_3genE8ELNS1_11target_archE1030ELNS1_3gpuE2ELNS1_3repE0EEENS1_30default_config_static_selectorELNS0_4arch9wavefront6targetE1EEEvT1_,@function
_ZN7rocprim17ROCPRIM_400000_NS6detail17trampoline_kernelINS0_14default_configENS1_35adjacent_difference_config_selectorILb0ElEEZNS1_24adjacent_difference_implIS3_Lb0ELb0EPlS7_ZN2at6native12_GLOBAL__N_124unique_dim_cuda_templateIlEESt5tupleIJNS8_6TensorESD_SD_EERKSD_lbbbEUlllE1_EE10hipError_tPvRmT2_T3_mT4_P12ihipStream_tbEUlT_E_NS1_11comp_targetILNS1_3genE8ELNS1_11target_archE1030ELNS1_3gpuE2ELNS1_3repE0EEENS1_30default_config_static_selectorELNS0_4arch9wavefront6targetE1EEEvT1_: ; @_ZN7rocprim17ROCPRIM_400000_NS6detail17trampoline_kernelINS0_14default_configENS1_35adjacent_difference_config_selectorILb0ElEEZNS1_24adjacent_difference_implIS3_Lb0ELb0EPlS7_ZN2at6native12_GLOBAL__N_124unique_dim_cuda_templateIlEESt5tupleIJNS8_6TensorESD_SD_EERKSD_lbbbEUlllE1_EE10hipError_tPvRmT2_T3_mT4_P12ihipStream_tbEUlT_E_NS1_11comp_targetILNS1_3genE8ELNS1_11target_archE1030ELNS1_3gpuE2ELNS1_3repE0EEENS1_30default_config_static_selectorELNS0_4arch9wavefront6targetE1EEEvT1_
; %bb.0:
	.section	.rodata,"a",@progbits
	.p2align	6, 0x0
	.amdhsa_kernel _ZN7rocprim17ROCPRIM_400000_NS6detail17trampoline_kernelINS0_14default_configENS1_35adjacent_difference_config_selectorILb0ElEEZNS1_24adjacent_difference_implIS3_Lb0ELb0EPlS7_ZN2at6native12_GLOBAL__N_124unique_dim_cuda_templateIlEESt5tupleIJNS8_6TensorESD_SD_EERKSD_lbbbEUlllE1_EE10hipError_tPvRmT2_T3_mT4_P12ihipStream_tbEUlT_E_NS1_11comp_targetILNS1_3genE8ELNS1_11target_archE1030ELNS1_3gpuE2ELNS1_3repE0EEENS1_30default_config_static_selectorELNS0_4arch9wavefront6targetE1EEEvT1_
		.amdhsa_group_segment_fixed_size 0
		.amdhsa_private_segment_fixed_size 0
		.amdhsa_kernarg_size 64
		.amdhsa_user_sgpr_count 2
		.amdhsa_user_sgpr_dispatch_ptr 0
		.amdhsa_user_sgpr_queue_ptr 0
		.amdhsa_user_sgpr_kernarg_segment_ptr 1
		.amdhsa_user_sgpr_dispatch_id 0
		.amdhsa_user_sgpr_kernarg_preload_length 0
		.amdhsa_user_sgpr_kernarg_preload_offset 0
		.amdhsa_user_sgpr_private_segment_size 0
		.amdhsa_uses_dynamic_stack 0
		.amdhsa_enable_private_segment 0
		.amdhsa_system_sgpr_workgroup_id_x 1
		.amdhsa_system_sgpr_workgroup_id_y 0
		.amdhsa_system_sgpr_workgroup_id_z 0
		.amdhsa_system_sgpr_workgroup_info 0
		.amdhsa_system_vgpr_workitem_id 0
		.amdhsa_next_free_vgpr 1
		.amdhsa_next_free_sgpr 0
		.amdhsa_accum_offset 4
		.amdhsa_reserve_vcc 0
		.amdhsa_float_round_mode_32 0
		.amdhsa_float_round_mode_16_64 0
		.amdhsa_float_denorm_mode_32 3
		.amdhsa_float_denorm_mode_16_64 3
		.amdhsa_dx10_clamp 1
		.amdhsa_ieee_mode 1
		.amdhsa_fp16_overflow 0
		.amdhsa_tg_split 0
		.amdhsa_exception_fp_ieee_invalid_op 0
		.amdhsa_exception_fp_denorm_src 0
		.amdhsa_exception_fp_ieee_div_zero 0
		.amdhsa_exception_fp_ieee_overflow 0
		.amdhsa_exception_fp_ieee_underflow 0
		.amdhsa_exception_fp_ieee_inexact 0
		.amdhsa_exception_int_div_zero 0
	.end_amdhsa_kernel
	.section	.text._ZN7rocprim17ROCPRIM_400000_NS6detail17trampoline_kernelINS0_14default_configENS1_35adjacent_difference_config_selectorILb0ElEEZNS1_24adjacent_difference_implIS3_Lb0ELb0EPlS7_ZN2at6native12_GLOBAL__N_124unique_dim_cuda_templateIlEESt5tupleIJNS8_6TensorESD_SD_EERKSD_lbbbEUlllE1_EE10hipError_tPvRmT2_T3_mT4_P12ihipStream_tbEUlT_E_NS1_11comp_targetILNS1_3genE8ELNS1_11target_archE1030ELNS1_3gpuE2ELNS1_3repE0EEENS1_30default_config_static_selectorELNS0_4arch9wavefront6targetE1EEEvT1_,"axG",@progbits,_ZN7rocprim17ROCPRIM_400000_NS6detail17trampoline_kernelINS0_14default_configENS1_35adjacent_difference_config_selectorILb0ElEEZNS1_24adjacent_difference_implIS3_Lb0ELb0EPlS7_ZN2at6native12_GLOBAL__N_124unique_dim_cuda_templateIlEESt5tupleIJNS8_6TensorESD_SD_EERKSD_lbbbEUlllE1_EE10hipError_tPvRmT2_T3_mT4_P12ihipStream_tbEUlT_E_NS1_11comp_targetILNS1_3genE8ELNS1_11target_archE1030ELNS1_3gpuE2ELNS1_3repE0EEENS1_30default_config_static_selectorELNS0_4arch9wavefront6targetE1EEEvT1_,comdat
.Lfunc_end549:
	.size	_ZN7rocprim17ROCPRIM_400000_NS6detail17trampoline_kernelINS0_14default_configENS1_35adjacent_difference_config_selectorILb0ElEEZNS1_24adjacent_difference_implIS3_Lb0ELb0EPlS7_ZN2at6native12_GLOBAL__N_124unique_dim_cuda_templateIlEESt5tupleIJNS8_6TensorESD_SD_EERKSD_lbbbEUlllE1_EE10hipError_tPvRmT2_T3_mT4_P12ihipStream_tbEUlT_E_NS1_11comp_targetILNS1_3genE8ELNS1_11target_archE1030ELNS1_3gpuE2ELNS1_3repE0EEENS1_30default_config_static_selectorELNS0_4arch9wavefront6targetE1EEEvT1_, .Lfunc_end549-_ZN7rocprim17ROCPRIM_400000_NS6detail17trampoline_kernelINS0_14default_configENS1_35adjacent_difference_config_selectorILb0ElEEZNS1_24adjacent_difference_implIS3_Lb0ELb0EPlS7_ZN2at6native12_GLOBAL__N_124unique_dim_cuda_templateIlEESt5tupleIJNS8_6TensorESD_SD_EERKSD_lbbbEUlllE1_EE10hipError_tPvRmT2_T3_mT4_P12ihipStream_tbEUlT_E_NS1_11comp_targetILNS1_3genE8ELNS1_11target_archE1030ELNS1_3gpuE2ELNS1_3repE0EEENS1_30default_config_static_selectorELNS0_4arch9wavefront6targetE1EEEvT1_
                                        ; -- End function
	.section	.AMDGPU.csdata,"",@progbits
; Kernel info:
; codeLenInByte = 0
; NumSgprs: 6
; NumVgprs: 0
; NumAgprs: 0
; TotalNumVgprs: 0
; ScratchSize: 0
; MemoryBound: 0
; FloatMode: 240
; IeeeMode: 1
; LDSByteSize: 0 bytes/workgroup (compile time only)
; SGPRBlocks: 0
; VGPRBlocks: 0
; NumSGPRsForWavesPerEU: 6
; NumVGPRsForWavesPerEU: 1
; AccumOffset: 4
; Occupancy: 8
; WaveLimiterHint : 0
; COMPUTE_PGM_RSRC2:SCRATCH_EN: 0
; COMPUTE_PGM_RSRC2:USER_SGPR: 2
; COMPUTE_PGM_RSRC2:TRAP_HANDLER: 0
; COMPUTE_PGM_RSRC2:TGID_X_EN: 1
; COMPUTE_PGM_RSRC2:TGID_Y_EN: 0
; COMPUTE_PGM_RSRC2:TGID_Z_EN: 0
; COMPUTE_PGM_RSRC2:TIDIG_COMP_CNT: 0
; COMPUTE_PGM_RSRC3_GFX90A:ACCUM_OFFSET: 0
; COMPUTE_PGM_RSRC3_GFX90A:TG_SPLIT: 0
	.section	.text._ZN7rocprim17ROCPRIM_400000_NS6detail17trampoline_kernelINS0_14default_configENS1_25transform_config_selectorIlLb0EEEZNS1_14transform_implILb0ES3_S5_NS0_18transform_iteratorINS0_17counting_iteratorImlEEZNS1_24adjacent_difference_implIS3_Lb1ELb0EPlSB_ZN2at6native12_GLOBAL__N_124unique_dim_cuda_templateIlEESt5tupleIJNSC_6TensorESH_SH_EERKSH_lbbbEUlllE1_EE10hipError_tPvRmT2_T3_mT4_P12ihipStream_tbEUlmE_lEESB_NS0_8identityIvEEEESM_SP_SQ_mSR_ST_bEUlT_E_NS1_11comp_targetILNS1_3genE0ELNS1_11target_archE4294967295ELNS1_3gpuE0ELNS1_3repE0EEENS1_30default_config_static_selectorELNS0_4arch9wavefront6targetE1EEEvT1_,"axG",@progbits,_ZN7rocprim17ROCPRIM_400000_NS6detail17trampoline_kernelINS0_14default_configENS1_25transform_config_selectorIlLb0EEEZNS1_14transform_implILb0ES3_S5_NS0_18transform_iteratorINS0_17counting_iteratorImlEEZNS1_24adjacent_difference_implIS3_Lb1ELb0EPlSB_ZN2at6native12_GLOBAL__N_124unique_dim_cuda_templateIlEESt5tupleIJNSC_6TensorESH_SH_EERKSH_lbbbEUlllE1_EE10hipError_tPvRmT2_T3_mT4_P12ihipStream_tbEUlmE_lEESB_NS0_8identityIvEEEESM_SP_SQ_mSR_ST_bEUlT_E_NS1_11comp_targetILNS1_3genE0ELNS1_11target_archE4294967295ELNS1_3gpuE0ELNS1_3repE0EEENS1_30default_config_static_selectorELNS0_4arch9wavefront6targetE1EEEvT1_,comdat
	.globl	_ZN7rocprim17ROCPRIM_400000_NS6detail17trampoline_kernelINS0_14default_configENS1_25transform_config_selectorIlLb0EEEZNS1_14transform_implILb0ES3_S5_NS0_18transform_iteratorINS0_17counting_iteratorImlEEZNS1_24adjacent_difference_implIS3_Lb1ELb0EPlSB_ZN2at6native12_GLOBAL__N_124unique_dim_cuda_templateIlEESt5tupleIJNSC_6TensorESH_SH_EERKSH_lbbbEUlllE1_EE10hipError_tPvRmT2_T3_mT4_P12ihipStream_tbEUlmE_lEESB_NS0_8identityIvEEEESM_SP_SQ_mSR_ST_bEUlT_E_NS1_11comp_targetILNS1_3genE0ELNS1_11target_archE4294967295ELNS1_3gpuE0ELNS1_3repE0EEENS1_30default_config_static_selectorELNS0_4arch9wavefront6targetE1EEEvT1_ ; -- Begin function _ZN7rocprim17ROCPRIM_400000_NS6detail17trampoline_kernelINS0_14default_configENS1_25transform_config_selectorIlLb0EEEZNS1_14transform_implILb0ES3_S5_NS0_18transform_iteratorINS0_17counting_iteratorImlEEZNS1_24adjacent_difference_implIS3_Lb1ELb0EPlSB_ZN2at6native12_GLOBAL__N_124unique_dim_cuda_templateIlEESt5tupleIJNSC_6TensorESH_SH_EERKSH_lbbbEUlllE1_EE10hipError_tPvRmT2_T3_mT4_P12ihipStream_tbEUlmE_lEESB_NS0_8identityIvEEEESM_SP_SQ_mSR_ST_bEUlT_E_NS1_11comp_targetILNS1_3genE0ELNS1_11target_archE4294967295ELNS1_3gpuE0ELNS1_3repE0EEENS1_30default_config_static_selectorELNS0_4arch9wavefront6targetE1EEEvT1_
	.p2align	8
	.type	_ZN7rocprim17ROCPRIM_400000_NS6detail17trampoline_kernelINS0_14default_configENS1_25transform_config_selectorIlLb0EEEZNS1_14transform_implILb0ES3_S5_NS0_18transform_iteratorINS0_17counting_iteratorImlEEZNS1_24adjacent_difference_implIS3_Lb1ELb0EPlSB_ZN2at6native12_GLOBAL__N_124unique_dim_cuda_templateIlEESt5tupleIJNSC_6TensorESH_SH_EERKSH_lbbbEUlllE1_EE10hipError_tPvRmT2_T3_mT4_P12ihipStream_tbEUlmE_lEESB_NS0_8identityIvEEEESM_SP_SQ_mSR_ST_bEUlT_E_NS1_11comp_targetILNS1_3genE0ELNS1_11target_archE4294967295ELNS1_3gpuE0ELNS1_3repE0EEENS1_30default_config_static_selectorELNS0_4arch9wavefront6targetE1EEEvT1_,@function
_ZN7rocprim17ROCPRIM_400000_NS6detail17trampoline_kernelINS0_14default_configENS1_25transform_config_selectorIlLb0EEEZNS1_14transform_implILb0ES3_S5_NS0_18transform_iteratorINS0_17counting_iteratorImlEEZNS1_24adjacent_difference_implIS3_Lb1ELb0EPlSB_ZN2at6native12_GLOBAL__N_124unique_dim_cuda_templateIlEESt5tupleIJNSC_6TensorESH_SH_EERKSH_lbbbEUlllE1_EE10hipError_tPvRmT2_T3_mT4_P12ihipStream_tbEUlmE_lEESB_NS0_8identityIvEEEESM_SP_SQ_mSR_ST_bEUlT_E_NS1_11comp_targetILNS1_3genE0ELNS1_11target_archE4294967295ELNS1_3gpuE0ELNS1_3repE0EEENS1_30default_config_static_selectorELNS0_4arch9wavefront6targetE1EEEvT1_: ; @_ZN7rocprim17ROCPRIM_400000_NS6detail17trampoline_kernelINS0_14default_configENS1_25transform_config_selectorIlLb0EEEZNS1_14transform_implILb0ES3_S5_NS0_18transform_iteratorINS0_17counting_iteratorImlEEZNS1_24adjacent_difference_implIS3_Lb1ELb0EPlSB_ZN2at6native12_GLOBAL__N_124unique_dim_cuda_templateIlEESt5tupleIJNSC_6TensorESH_SH_EERKSH_lbbbEUlllE1_EE10hipError_tPvRmT2_T3_mT4_P12ihipStream_tbEUlmE_lEESB_NS0_8identityIvEEEESM_SP_SQ_mSR_ST_bEUlT_E_NS1_11comp_targetILNS1_3genE0ELNS1_11target_archE4294967295ELNS1_3gpuE0ELNS1_3repE0EEENS1_30default_config_static_selectorELNS0_4arch9wavefront6targetE1EEEvT1_
; %bb.0:
	.section	.rodata,"a",@progbits
	.p2align	6, 0x0
	.amdhsa_kernel _ZN7rocprim17ROCPRIM_400000_NS6detail17trampoline_kernelINS0_14default_configENS1_25transform_config_selectorIlLb0EEEZNS1_14transform_implILb0ES3_S5_NS0_18transform_iteratorINS0_17counting_iteratorImlEEZNS1_24adjacent_difference_implIS3_Lb1ELb0EPlSB_ZN2at6native12_GLOBAL__N_124unique_dim_cuda_templateIlEESt5tupleIJNSC_6TensorESH_SH_EERKSH_lbbbEUlllE1_EE10hipError_tPvRmT2_T3_mT4_P12ihipStream_tbEUlmE_lEESB_NS0_8identityIvEEEESM_SP_SQ_mSR_ST_bEUlT_E_NS1_11comp_targetILNS1_3genE0ELNS1_11target_archE4294967295ELNS1_3gpuE0ELNS1_3repE0EEENS1_30default_config_static_selectorELNS0_4arch9wavefront6targetE1EEEvT1_
		.amdhsa_group_segment_fixed_size 0
		.amdhsa_private_segment_fixed_size 0
		.amdhsa_kernarg_size 56
		.amdhsa_user_sgpr_count 2
		.amdhsa_user_sgpr_dispatch_ptr 0
		.amdhsa_user_sgpr_queue_ptr 0
		.amdhsa_user_sgpr_kernarg_segment_ptr 1
		.amdhsa_user_sgpr_dispatch_id 0
		.amdhsa_user_sgpr_kernarg_preload_length 0
		.amdhsa_user_sgpr_kernarg_preload_offset 0
		.amdhsa_user_sgpr_private_segment_size 0
		.amdhsa_uses_dynamic_stack 0
		.amdhsa_enable_private_segment 0
		.amdhsa_system_sgpr_workgroup_id_x 1
		.amdhsa_system_sgpr_workgroup_id_y 0
		.amdhsa_system_sgpr_workgroup_id_z 0
		.amdhsa_system_sgpr_workgroup_info 0
		.amdhsa_system_vgpr_workitem_id 0
		.amdhsa_next_free_vgpr 1
		.amdhsa_next_free_sgpr 0
		.amdhsa_accum_offset 4
		.amdhsa_reserve_vcc 0
		.amdhsa_float_round_mode_32 0
		.amdhsa_float_round_mode_16_64 0
		.amdhsa_float_denorm_mode_32 3
		.amdhsa_float_denorm_mode_16_64 3
		.amdhsa_dx10_clamp 1
		.amdhsa_ieee_mode 1
		.amdhsa_fp16_overflow 0
		.amdhsa_tg_split 0
		.amdhsa_exception_fp_ieee_invalid_op 0
		.amdhsa_exception_fp_denorm_src 0
		.amdhsa_exception_fp_ieee_div_zero 0
		.amdhsa_exception_fp_ieee_overflow 0
		.amdhsa_exception_fp_ieee_underflow 0
		.amdhsa_exception_fp_ieee_inexact 0
		.amdhsa_exception_int_div_zero 0
	.end_amdhsa_kernel
	.section	.text._ZN7rocprim17ROCPRIM_400000_NS6detail17trampoline_kernelINS0_14default_configENS1_25transform_config_selectorIlLb0EEEZNS1_14transform_implILb0ES3_S5_NS0_18transform_iteratorINS0_17counting_iteratorImlEEZNS1_24adjacent_difference_implIS3_Lb1ELb0EPlSB_ZN2at6native12_GLOBAL__N_124unique_dim_cuda_templateIlEESt5tupleIJNSC_6TensorESH_SH_EERKSH_lbbbEUlllE1_EE10hipError_tPvRmT2_T3_mT4_P12ihipStream_tbEUlmE_lEESB_NS0_8identityIvEEEESM_SP_SQ_mSR_ST_bEUlT_E_NS1_11comp_targetILNS1_3genE0ELNS1_11target_archE4294967295ELNS1_3gpuE0ELNS1_3repE0EEENS1_30default_config_static_selectorELNS0_4arch9wavefront6targetE1EEEvT1_,"axG",@progbits,_ZN7rocprim17ROCPRIM_400000_NS6detail17trampoline_kernelINS0_14default_configENS1_25transform_config_selectorIlLb0EEEZNS1_14transform_implILb0ES3_S5_NS0_18transform_iteratorINS0_17counting_iteratorImlEEZNS1_24adjacent_difference_implIS3_Lb1ELb0EPlSB_ZN2at6native12_GLOBAL__N_124unique_dim_cuda_templateIlEESt5tupleIJNSC_6TensorESH_SH_EERKSH_lbbbEUlllE1_EE10hipError_tPvRmT2_T3_mT4_P12ihipStream_tbEUlmE_lEESB_NS0_8identityIvEEEESM_SP_SQ_mSR_ST_bEUlT_E_NS1_11comp_targetILNS1_3genE0ELNS1_11target_archE4294967295ELNS1_3gpuE0ELNS1_3repE0EEENS1_30default_config_static_selectorELNS0_4arch9wavefront6targetE1EEEvT1_,comdat
.Lfunc_end550:
	.size	_ZN7rocprim17ROCPRIM_400000_NS6detail17trampoline_kernelINS0_14default_configENS1_25transform_config_selectorIlLb0EEEZNS1_14transform_implILb0ES3_S5_NS0_18transform_iteratorINS0_17counting_iteratorImlEEZNS1_24adjacent_difference_implIS3_Lb1ELb0EPlSB_ZN2at6native12_GLOBAL__N_124unique_dim_cuda_templateIlEESt5tupleIJNSC_6TensorESH_SH_EERKSH_lbbbEUlllE1_EE10hipError_tPvRmT2_T3_mT4_P12ihipStream_tbEUlmE_lEESB_NS0_8identityIvEEEESM_SP_SQ_mSR_ST_bEUlT_E_NS1_11comp_targetILNS1_3genE0ELNS1_11target_archE4294967295ELNS1_3gpuE0ELNS1_3repE0EEENS1_30default_config_static_selectorELNS0_4arch9wavefront6targetE1EEEvT1_, .Lfunc_end550-_ZN7rocprim17ROCPRIM_400000_NS6detail17trampoline_kernelINS0_14default_configENS1_25transform_config_selectorIlLb0EEEZNS1_14transform_implILb0ES3_S5_NS0_18transform_iteratorINS0_17counting_iteratorImlEEZNS1_24adjacent_difference_implIS3_Lb1ELb0EPlSB_ZN2at6native12_GLOBAL__N_124unique_dim_cuda_templateIlEESt5tupleIJNSC_6TensorESH_SH_EERKSH_lbbbEUlllE1_EE10hipError_tPvRmT2_T3_mT4_P12ihipStream_tbEUlmE_lEESB_NS0_8identityIvEEEESM_SP_SQ_mSR_ST_bEUlT_E_NS1_11comp_targetILNS1_3genE0ELNS1_11target_archE4294967295ELNS1_3gpuE0ELNS1_3repE0EEENS1_30default_config_static_selectorELNS0_4arch9wavefront6targetE1EEEvT1_
                                        ; -- End function
	.section	.AMDGPU.csdata,"",@progbits
; Kernel info:
; codeLenInByte = 0
; NumSgprs: 6
; NumVgprs: 0
; NumAgprs: 0
; TotalNumVgprs: 0
; ScratchSize: 0
; MemoryBound: 0
; FloatMode: 240
; IeeeMode: 1
; LDSByteSize: 0 bytes/workgroup (compile time only)
; SGPRBlocks: 0
; VGPRBlocks: 0
; NumSGPRsForWavesPerEU: 6
; NumVGPRsForWavesPerEU: 1
; AccumOffset: 4
; Occupancy: 8
; WaveLimiterHint : 0
; COMPUTE_PGM_RSRC2:SCRATCH_EN: 0
; COMPUTE_PGM_RSRC2:USER_SGPR: 2
; COMPUTE_PGM_RSRC2:TRAP_HANDLER: 0
; COMPUTE_PGM_RSRC2:TGID_X_EN: 1
; COMPUTE_PGM_RSRC2:TGID_Y_EN: 0
; COMPUTE_PGM_RSRC2:TGID_Z_EN: 0
; COMPUTE_PGM_RSRC2:TIDIG_COMP_CNT: 0
; COMPUTE_PGM_RSRC3_GFX90A:ACCUM_OFFSET: 0
; COMPUTE_PGM_RSRC3_GFX90A:TG_SPLIT: 0
	.section	.text._ZN7rocprim17ROCPRIM_400000_NS6detail17trampoline_kernelINS0_14default_configENS1_25transform_config_selectorIlLb0EEEZNS1_14transform_implILb0ES3_S5_NS0_18transform_iteratorINS0_17counting_iteratorImlEEZNS1_24adjacent_difference_implIS3_Lb1ELb0EPlSB_ZN2at6native12_GLOBAL__N_124unique_dim_cuda_templateIlEESt5tupleIJNSC_6TensorESH_SH_EERKSH_lbbbEUlllE1_EE10hipError_tPvRmT2_T3_mT4_P12ihipStream_tbEUlmE_lEESB_NS0_8identityIvEEEESM_SP_SQ_mSR_ST_bEUlT_E_NS1_11comp_targetILNS1_3genE5ELNS1_11target_archE942ELNS1_3gpuE9ELNS1_3repE0EEENS1_30default_config_static_selectorELNS0_4arch9wavefront6targetE1EEEvT1_,"axG",@progbits,_ZN7rocprim17ROCPRIM_400000_NS6detail17trampoline_kernelINS0_14default_configENS1_25transform_config_selectorIlLb0EEEZNS1_14transform_implILb0ES3_S5_NS0_18transform_iteratorINS0_17counting_iteratorImlEEZNS1_24adjacent_difference_implIS3_Lb1ELb0EPlSB_ZN2at6native12_GLOBAL__N_124unique_dim_cuda_templateIlEESt5tupleIJNSC_6TensorESH_SH_EERKSH_lbbbEUlllE1_EE10hipError_tPvRmT2_T3_mT4_P12ihipStream_tbEUlmE_lEESB_NS0_8identityIvEEEESM_SP_SQ_mSR_ST_bEUlT_E_NS1_11comp_targetILNS1_3genE5ELNS1_11target_archE942ELNS1_3gpuE9ELNS1_3repE0EEENS1_30default_config_static_selectorELNS0_4arch9wavefront6targetE1EEEvT1_,comdat
	.globl	_ZN7rocprim17ROCPRIM_400000_NS6detail17trampoline_kernelINS0_14default_configENS1_25transform_config_selectorIlLb0EEEZNS1_14transform_implILb0ES3_S5_NS0_18transform_iteratorINS0_17counting_iteratorImlEEZNS1_24adjacent_difference_implIS3_Lb1ELb0EPlSB_ZN2at6native12_GLOBAL__N_124unique_dim_cuda_templateIlEESt5tupleIJNSC_6TensorESH_SH_EERKSH_lbbbEUlllE1_EE10hipError_tPvRmT2_T3_mT4_P12ihipStream_tbEUlmE_lEESB_NS0_8identityIvEEEESM_SP_SQ_mSR_ST_bEUlT_E_NS1_11comp_targetILNS1_3genE5ELNS1_11target_archE942ELNS1_3gpuE9ELNS1_3repE0EEENS1_30default_config_static_selectorELNS0_4arch9wavefront6targetE1EEEvT1_ ; -- Begin function _ZN7rocprim17ROCPRIM_400000_NS6detail17trampoline_kernelINS0_14default_configENS1_25transform_config_selectorIlLb0EEEZNS1_14transform_implILb0ES3_S5_NS0_18transform_iteratorINS0_17counting_iteratorImlEEZNS1_24adjacent_difference_implIS3_Lb1ELb0EPlSB_ZN2at6native12_GLOBAL__N_124unique_dim_cuda_templateIlEESt5tupleIJNSC_6TensorESH_SH_EERKSH_lbbbEUlllE1_EE10hipError_tPvRmT2_T3_mT4_P12ihipStream_tbEUlmE_lEESB_NS0_8identityIvEEEESM_SP_SQ_mSR_ST_bEUlT_E_NS1_11comp_targetILNS1_3genE5ELNS1_11target_archE942ELNS1_3gpuE9ELNS1_3repE0EEENS1_30default_config_static_selectorELNS0_4arch9wavefront6targetE1EEEvT1_
	.p2align	8
	.type	_ZN7rocprim17ROCPRIM_400000_NS6detail17trampoline_kernelINS0_14default_configENS1_25transform_config_selectorIlLb0EEEZNS1_14transform_implILb0ES3_S5_NS0_18transform_iteratorINS0_17counting_iteratorImlEEZNS1_24adjacent_difference_implIS3_Lb1ELb0EPlSB_ZN2at6native12_GLOBAL__N_124unique_dim_cuda_templateIlEESt5tupleIJNSC_6TensorESH_SH_EERKSH_lbbbEUlllE1_EE10hipError_tPvRmT2_T3_mT4_P12ihipStream_tbEUlmE_lEESB_NS0_8identityIvEEEESM_SP_SQ_mSR_ST_bEUlT_E_NS1_11comp_targetILNS1_3genE5ELNS1_11target_archE942ELNS1_3gpuE9ELNS1_3repE0EEENS1_30default_config_static_selectorELNS0_4arch9wavefront6targetE1EEEvT1_,@function
_ZN7rocprim17ROCPRIM_400000_NS6detail17trampoline_kernelINS0_14default_configENS1_25transform_config_selectorIlLb0EEEZNS1_14transform_implILb0ES3_S5_NS0_18transform_iteratorINS0_17counting_iteratorImlEEZNS1_24adjacent_difference_implIS3_Lb1ELb0EPlSB_ZN2at6native12_GLOBAL__N_124unique_dim_cuda_templateIlEESt5tupleIJNSC_6TensorESH_SH_EERKSH_lbbbEUlllE1_EE10hipError_tPvRmT2_T3_mT4_P12ihipStream_tbEUlmE_lEESB_NS0_8identityIvEEEESM_SP_SQ_mSR_ST_bEUlT_E_NS1_11comp_targetILNS1_3genE5ELNS1_11target_archE942ELNS1_3gpuE9ELNS1_3repE0EEENS1_30default_config_static_selectorELNS0_4arch9wavefront6targetE1EEEvT1_: ; @_ZN7rocprim17ROCPRIM_400000_NS6detail17trampoline_kernelINS0_14default_configENS1_25transform_config_selectorIlLb0EEEZNS1_14transform_implILb0ES3_S5_NS0_18transform_iteratorINS0_17counting_iteratorImlEEZNS1_24adjacent_difference_implIS3_Lb1ELb0EPlSB_ZN2at6native12_GLOBAL__N_124unique_dim_cuda_templateIlEESt5tupleIJNSC_6TensorESH_SH_EERKSH_lbbbEUlllE1_EE10hipError_tPvRmT2_T3_mT4_P12ihipStream_tbEUlmE_lEESB_NS0_8identityIvEEEESM_SP_SQ_mSR_ST_bEUlT_E_NS1_11comp_targetILNS1_3genE5ELNS1_11target_archE942ELNS1_3gpuE9ELNS1_3repE0EEENS1_30default_config_static_selectorELNS0_4arch9wavefront6targetE1EEEvT1_
; %bb.0:
	s_load_dwordx4 s[8:11], s[0:1], 0x18
	s_load_dwordx2 s[12:13], s[0:1], 0x28
	s_load_dwordx4 s[4:7], s[0:1], 0x0
	s_load_dword s14, s[0:1], 0x10
	s_load_dword s3, s[0:1], 0x38
	s_waitcnt lgkmcnt(0)
	s_lshl_b64 s[0:1], s[8:9], 3
	s_add_u32 s11, s12, s0
	s_addc_u32 s16, s13, s1
	s_lshl_b32 s12, s2, 10
	s_add_i32 s3, s3, -1
	s_add_u32 s0, s4, s12
	s_addc_u32 s1, s5, 0
	s_add_u32 s4, s0, s8
	s_addc_u32 s5, s1, s9
	s_mov_b32 s13, 0
	s_cmp_lg_u32 s2, s3
	v_lshlrev_b32_e32 v6, 3, v0
	s_cbranch_scc0 .LBB551_2
; %bb.1:
	v_mov_b32_e32 v1, 0
	v_lshl_add_u64 v[2:3], s[4:5], 0, v[0:1]
	v_mad_u64_u32 v[4:5], s[0:1], v2, s14, 0
	v_mov_b32_e32 v2, v5
	v_mad_u64_u32 v[2:3], s[0:1], v3, s14, v[2:3]
	s_mov_b32 s15, s13
	v_mov_b32_e32 v5, v2
	v_lshl_add_u64 v[2:3], v[4:5], 3, s[6:7]
	s_lshl_b64 s[0:1], s[14:15], 12
	global_load_dwordx2 v[10:11], v[2:3], off
	v_lshl_add_u64 v[2:3], v[2:3], 0, s[0:1]
	global_load_dwordx2 v[4:5], v[2:3], off
	s_lshl_b64 s[2:3], s[12:13], 3
	s_add_u32 s2, s11, s2
	v_mov_b32_e32 v7, v1
	s_addc_u32 s3, s16, s3
	v_lshl_add_u64 v[8:9], s[2:3], 0, v[6:7]
	s_waitcnt vmcnt(1)
	global_store_dwordx2 v6, v[10:11], s[2:3]
	s_mov_b64 s[2:3], -1
	s_cbranch_execz .LBB551_3
	s_branch .LBB551_12
.LBB551_2:
	s_mov_b64 s[2:3], 0
                                        ; implicit-def: $vgpr4_vgpr5
                                        ; implicit-def: $vgpr8_vgpr9
.LBB551_3:
	s_sub_i32 s8, s10, s12
	v_cmp_gt_u32_e32 vcc, s8, v0
                                        ; implicit-def: $vgpr2_vgpr3_vgpr4_vgpr5
	s_and_saveexec_b64 s[0:1], vcc
	s_cbranch_execz .LBB551_5
; %bb.4:
	v_mov_b32_e32 v1, 0
	v_lshl_add_u64 v[2:3], s[4:5], 0, v[0:1]
	s_waitcnt vmcnt(1)
	v_mad_u64_u32 v[4:5], s[18:19], v2, s14, 0
	v_mov_b32_e32 v2, v5
	v_mad_u64_u32 v[2:3], s[18:19], v3, s14, v[2:3]
	v_mov_b32_e32 v5, v2
	v_lshl_add_u64 v[2:3], v[4:5], 3, s[6:7]
	global_load_dwordx2 v[2:3], v[2:3], off
.LBB551_5:
	s_or_b64 exec, exec, s[0:1]
	v_or_b32_e32 v0, 0x200, v0
	v_cmp_gt_u32_e64 s[0:1], s8, v0
	s_and_saveexec_b64 s[8:9], s[0:1]
	s_cbranch_execz .LBB551_7
; %bb.6:
	v_mov_b32_e32 v1, 0
	v_lshl_add_u64 v[0:1], s[4:5], 0, v[0:1]
	s_waitcnt vmcnt(1)
	v_mad_u64_u32 v[4:5], s[4:5], v0, s14, 0
	v_mov_b32_e32 v0, v5
	v_mad_u64_u32 v[0:1], s[4:5], v1, s14, v[0:1]
	v_mov_b32_e32 v5, v0
	v_lshl_add_u64 v[0:1], v[4:5], 3, s[6:7]
	global_load_dwordx2 v[4:5], v[0:1], off
.LBB551_7:
	s_or_b64 exec, exec, s[8:9]
	s_lshl_b64 s[4:5], s[12:13], 3
	s_add_u32 s4, s11, s4
	s_addc_u32 s5, s16, s5
	v_mov_b32_e32 v7, 0
	v_lshl_add_u64 v[8:9], s[4:5], 0, v[6:7]
	s_and_saveexec_b64 s[4:5], vcc
	s_cbranch_execz .LBB551_9
; %bb.8:
	s_waitcnt vmcnt(0)
	global_store_dwordx2 v[8:9], v[2:3], off
.LBB551_9:
	s_or_b64 exec, exec, s[4:5]
	s_and_saveexec_b64 s[4:5], s[0:1]
; %bb.10:
	s_or_b64 s[2:3], s[2:3], exec
; %bb.11:
	s_or_b64 exec, exec, s[4:5]
.LBB551_12:
	s_and_saveexec_b64 s[0:1], s[2:3]
	s_cbranch_execnz .LBB551_14
; %bb.13:
	s_endpgm
.LBB551_14:
	v_add_co_u32_e32 v0, vcc, 0x1000, v8
	s_nop 1
	v_addc_co_u32_e32 v1, vcc, 0, v9, vcc
	s_waitcnt vmcnt(0)
	global_store_dwordx2 v[0:1], v[4:5], off
	s_endpgm
	.section	.rodata,"a",@progbits
	.p2align	6, 0x0
	.amdhsa_kernel _ZN7rocprim17ROCPRIM_400000_NS6detail17trampoline_kernelINS0_14default_configENS1_25transform_config_selectorIlLb0EEEZNS1_14transform_implILb0ES3_S5_NS0_18transform_iteratorINS0_17counting_iteratorImlEEZNS1_24adjacent_difference_implIS3_Lb1ELb0EPlSB_ZN2at6native12_GLOBAL__N_124unique_dim_cuda_templateIlEESt5tupleIJNSC_6TensorESH_SH_EERKSH_lbbbEUlllE1_EE10hipError_tPvRmT2_T3_mT4_P12ihipStream_tbEUlmE_lEESB_NS0_8identityIvEEEESM_SP_SQ_mSR_ST_bEUlT_E_NS1_11comp_targetILNS1_3genE5ELNS1_11target_archE942ELNS1_3gpuE9ELNS1_3repE0EEENS1_30default_config_static_selectorELNS0_4arch9wavefront6targetE1EEEvT1_
		.amdhsa_group_segment_fixed_size 0
		.amdhsa_private_segment_fixed_size 0
		.amdhsa_kernarg_size 312
		.amdhsa_user_sgpr_count 2
		.amdhsa_user_sgpr_dispatch_ptr 0
		.amdhsa_user_sgpr_queue_ptr 0
		.amdhsa_user_sgpr_kernarg_segment_ptr 1
		.amdhsa_user_sgpr_dispatch_id 0
		.amdhsa_user_sgpr_kernarg_preload_length 0
		.amdhsa_user_sgpr_kernarg_preload_offset 0
		.amdhsa_user_sgpr_private_segment_size 0
		.amdhsa_uses_dynamic_stack 0
		.amdhsa_enable_private_segment 0
		.amdhsa_system_sgpr_workgroup_id_x 1
		.amdhsa_system_sgpr_workgroup_id_y 0
		.amdhsa_system_sgpr_workgroup_id_z 0
		.amdhsa_system_sgpr_workgroup_info 0
		.amdhsa_system_vgpr_workitem_id 0
		.amdhsa_next_free_vgpr 12
		.amdhsa_next_free_sgpr 20
		.amdhsa_accum_offset 12
		.amdhsa_reserve_vcc 1
		.amdhsa_float_round_mode_32 0
		.amdhsa_float_round_mode_16_64 0
		.amdhsa_float_denorm_mode_32 3
		.amdhsa_float_denorm_mode_16_64 3
		.amdhsa_dx10_clamp 1
		.amdhsa_ieee_mode 1
		.amdhsa_fp16_overflow 0
		.amdhsa_tg_split 0
		.amdhsa_exception_fp_ieee_invalid_op 0
		.amdhsa_exception_fp_denorm_src 0
		.amdhsa_exception_fp_ieee_div_zero 0
		.amdhsa_exception_fp_ieee_overflow 0
		.amdhsa_exception_fp_ieee_underflow 0
		.amdhsa_exception_fp_ieee_inexact 0
		.amdhsa_exception_int_div_zero 0
	.end_amdhsa_kernel
	.section	.text._ZN7rocprim17ROCPRIM_400000_NS6detail17trampoline_kernelINS0_14default_configENS1_25transform_config_selectorIlLb0EEEZNS1_14transform_implILb0ES3_S5_NS0_18transform_iteratorINS0_17counting_iteratorImlEEZNS1_24adjacent_difference_implIS3_Lb1ELb0EPlSB_ZN2at6native12_GLOBAL__N_124unique_dim_cuda_templateIlEESt5tupleIJNSC_6TensorESH_SH_EERKSH_lbbbEUlllE1_EE10hipError_tPvRmT2_T3_mT4_P12ihipStream_tbEUlmE_lEESB_NS0_8identityIvEEEESM_SP_SQ_mSR_ST_bEUlT_E_NS1_11comp_targetILNS1_3genE5ELNS1_11target_archE942ELNS1_3gpuE9ELNS1_3repE0EEENS1_30default_config_static_selectorELNS0_4arch9wavefront6targetE1EEEvT1_,"axG",@progbits,_ZN7rocprim17ROCPRIM_400000_NS6detail17trampoline_kernelINS0_14default_configENS1_25transform_config_selectorIlLb0EEEZNS1_14transform_implILb0ES3_S5_NS0_18transform_iteratorINS0_17counting_iteratorImlEEZNS1_24adjacent_difference_implIS3_Lb1ELb0EPlSB_ZN2at6native12_GLOBAL__N_124unique_dim_cuda_templateIlEESt5tupleIJNSC_6TensorESH_SH_EERKSH_lbbbEUlllE1_EE10hipError_tPvRmT2_T3_mT4_P12ihipStream_tbEUlmE_lEESB_NS0_8identityIvEEEESM_SP_SQ_mSR_ST_bEUlT_E_NS1_11comp_targetILNS1_3genE5ELNS1_11target_archE942ELNS1_3gpuE9ELNS1_3repE0EEENS1_30default_config_static_selectorELNS0_4arch9wavefront6targetE1EEEvT1_,comdat
.Lfunc_end551:
	.size	_ZN7rocprim17ROCPRIM_400000_NS6detail17trampoline_kernelINS0_14default_configENS1_25transform_config_selectorIlLb0EEEZNS1_14transform_implILb0ES3_S5_NS0_18transform_iteratorINS0_17counting_iteratorImlEEZNS1_24adjacent_difference_implIS3_Lb1ELb0EPlSB_ZN2at6native12_GLOBAL__N_124unique_dim_cuda_templateIlEESt5tupleIJNSC_6TensorESH_SH_EERKSH_lbbbEUlllE1_EE10hipError_tPvRmT2_T3_mT4_P12ihipStream_tbEUlmE_lEESB_NS0_8identityIvEEEESM_SP_SQ_mSR_ST_bEUlT_E_NS1_11comp_targetILNS1_3genE5ELNS1_11target_archE942ELNS1_3gpuE9ELNS1_3repE0EEENS1_30default_config_static_selectorELNS0_4arch9wavefront6targetE1EEEvT1_, .Lfunc_end551-_ZN7rocprim17ROCPRIM_400000_NS6detail17trampoline_kernelINS0_14default_configENS1_25transform_config_selectorIlLb0EEEZNS1_14transform_implILb0ES3_S5_NS0_18transform_iteratorINS0_17counting_iteratorImlEEZNS1_24adjacent_difference_implIS3_Lb1ELb0EPlSB_ZN2at6native12_GLOBAL__N_124unique_dim_cuda_templateIlEESt5tupleIJNSC_6TensorESH_SH_EERKSH_lbbbEUlllE1_EE10hipError_tPvRmT2_T3_mT4_P12ihipStream_tbEUlmE_lEESB_NS0_8identityIvEEEESM_SP_SQ_mSR_ST_bEUlT_E_NS1_11comp_targetILNS1_3genE5ELNS1_11target_archE942ELNS1_3gpuE9ELNS1_3repE0EEENS1_30default_config_static_selectorELNS0_4arch9wavefront6targetE1EEEvT1_
                                        ; -- End function
	.section	.AMDGPU.csdata,"",@progbits
; Kernel info:
; codeLenInByte = 488
; NumSgprs: 26
; NumVgprs: 12
; NumAgprs: 0
; TotalNumVgprs: 12
; ScratchSize: 0
; MemoryBound: 0
; FloatMode: 240
; IeeeMode: 1
; LDSByteSize: 0 bytes/workgroup (compile time only)
; SGPRBlocks: 3
; VGPRBlocks: 1
; NumSGPRsForWavesPerEU: 26
; NumVGPRsForWavesPerEU: 12
; AccumOffset: 12
; Occupancy: 8
; WaveLimiterHint : 0
; COMPUTE_PGM_RSRC2:SCRATCH_EN: 0
; COMPUTE_PGM_RSRC2:USER_SGPR: 2
; COMPUTE_PGM_RSRC2:TRAP_HANDLER: 0
; COMPUTE_PGM_RSRC2:TGID_X_EN: 1
; COMPUTE_PGM_RSRC2:TGID_Y_EN: 0
; COMPUTE_PGM_RSRC2:TGID_Z_EN: 0
; COMPUTE_PGM_RSRC2:TIDIG_COMP_CNT: 0
; COMPUTE_PGM_RSRC3_GFX90A:ACCUM_OFFSET: 2
; COMPUTE_PGM_RSRC3_GFX90A:TG_SPLIT: 0
	.section	.text._ZN7rocprim17ROCPRIM_400000_NS6detail17trampoline_kernelINS0_14default_configENS1_25transform_config_selectorIlLb0EEEZNS1_14transform_implILb0ES3_S5_NS0_18transform_iteratorINS0_17counting_iteratorImlEEZNS1_24adjacent_difference_implIS3_Lb1ELb0EPlSB_ZN2at6native12_GLOBAL__N_124unique_dim_cuda_templateIlEESt5tupleIJNSC_6TensorESH_SH_EERKSH_lbbbEUlllE1_EE10hipError_tPvRmT2_T3_mT4_P12ihipStream_tbEUlmE_lEESB_NS0_8identityIvEEEESM_SP_SQ_mSR_ST_bEUlT_E_NS1_11comp_targetILNS1_3genE4ELNS1_11target_archE910ELNS1_3gpuE8ELNS1_3repE0EEENS1_30default_config_static_selectorELNS0_4arch9wavefront6targetE1EEEvT1_,"axG",@progbits,_ZN7rocprim17ROCPRIM_400000_NS6detail17trampoline_kernelINS0_14default_configENS1_25transform_config_selectorIlLb0EEEZNS1_14transform_implILb0ES3_S5_NS0_18transform_iteratorINS0_17counting_iteratorImlEEZNS1_24adjacent_difference_implIS3_Lb1ELb0EPlSB_ZN2at6native12_GLOBAL__N_124unique_dim_cuda_templateIlEESt5tupleIJNSC_6TensorESH_SH_EERKSH_lbbbEUlllE1_EE10hipError_tPvRmT2_T3_mT4_P12ihipStream_tbEUlmE_lEESB_NS0_8identityIvEEEESM_SP_SQ_mSR_ST_bEUlT_E_NS1_11comp_targetILNS1_3genE4ELNS1_11target_archE910ELNS1_3gpuE8ELNS1_3repE0EEENS1_30default_config_static_selectorELNS0_4arch9wavefront6targetE1EEEvT1_,comdat
	.globl	_ZN7rocprim17ROCPRIM_400000_NS6detail17trampoline_kernelINS0_14default_configENS1_25transform_config_selectorIlLb0EEEZNS1_14transform_implILb0ES3_S5_NS0_18transform_iteratorINS0_17counting_iteratorImlEEZNS1_24adjacent_difference_implIS3_Lb1ELb0EPlSB_ZN2at6native12_GLOBAL__N_124unique_dim_cuda_templateIlEESt5tupleIJNSC_6TensorESH_SH_EERKSH_lbbbEUlllE1_EE10hipError_tPvRmT2_T3_mT4_P12ihipStream_tbEUlmE_lEESB_NS0_8identityIvEEEESM_SP_SQ_mSR_ST_bEUlT_E_NS1_11comp_targetILNS1_3genE4ELNS1_11target_archE910ELNS1_3gpuE8ELNS1_3repE0EEENS1_30default_config_static_selectorELNS0_4arch9wavefront6targetE1EEEvT1_ ; -- Begin function _ZN7rocprim17ROCPRIM_400000_NS6detail17trampoline_kernelINS0_14default_configENS1_25transform_config_selectorIlLb0EEEZNS1_14transform_implILb0ES3_S5_NS0_18transform_iteratorINS0_17counting_iteratorImlEEZNS1_24adjacent_difference_implIS3_Lb1ELb0EPlSB_ZN2at6native12_GLOBAL__N_124unique_dim_cuda_templateIlEESt5tupleIJNSC_6TensorESH_SH_EERKSH_lbbbEUlllE1_EE10hipError_tPvRmT2_T3_mT4_P12ihipStream_tbEUlmE_lEESB_NS0_8identityIvEEEESM_SP_SQ_mSR_ST_bEUlT_E_NS1_11comp_targetILNS1_3genE4ELNS1_11target_archE910ELNS1_3gpuE8ELNS1_3repE0EEENS1_30default_config_static_selectorELNS0_4arch9wavefront6targetE1EEEvT1_
	.p2align	8
	.type	_ZN7rocprim17ROCPRIM_400000_NS6detail17trampoline_kernelINS0_14default_configENS1_25transform_config_selectorIlLb0EEEZNS1_14transform_implILb0ES3_S5_NS0_18transform_iteratorINS0_17counting_iteratorImlEEZNS1_24adjacent_difference_implIS3_Lb1ELb0EPlSB_ZN2at6native12_GLOBAL__N_124unique_dim_cuda_templateIlEESt5tupleIJNSC_6TensorESH_SH_EERKSH_lbbbEUlllE1_EE10hipError_tPvRmT2_T3_mT4_P12ihipStream_tbEUlmE_lEESB_NS0_8identityIvEEEESM_SP_SQ_mSR_ST_bEUlT_E_NS1_11comp_targetILNS1_3genE4ELNS1_11target_archE910ELNS1_3gpuE8ELNS1_3repE0EEENS1_30default_config_static_selectorELNS0_4arch9wavefront6targetE1EEEvT1_,@function
_ZN7rocprim17ROCPRIM_400000_NS6detail17trampoline_kernelINS0_14default_configENS1_25transform_config_selectorIlLb0EEEZNS1_14transform_implILb0ES3_S5_NS0_18transform_iteratorINS0_17counting_iteratorImlEEZNS1_24adjacent_difference_implIS3_Lb1ELb0EPlSB_ZN2at6native12_GLOBAL__N_124unique_dim_cuda_templateIlEESt5tupleIJNSC_6TensorESH_SH_EERKSH_lbbbEUlllE1_EE10hipError_tPvRmT2_T3_mT4_P12ihipStream_tbEUlmE_lEESB_NS0_8identityIvEEEESM_SP_SQ_mSR_ST_bEUlT_E_NS1_11comp_targetILNS1_3genE4ELNS1_11target_archE910ELNS1_3gpuE8ELNS1_3repE0EEENS1_30default_config_static_selectorELNS0_4arch9wavefront6targetE1EEEvT1_: ; @_ZN7rocprim17ROCPRIM_400000_NS6detail17trampoline_kernelINS0_14default_configENS1_25transform_config_selectorIlLb0EEEZNS1_14transform_implILb0ES3_S5_NS0_18transform_iteratorINS0_17counting_iteratorImlEEZNS1_24adjacent_difference_implIS3_Lb1ELb0EPlSB_ZN2at6native12_GLOBAL__N_124unique_dim_cuda_templateIlEESt5tupleIJNSC_6TensorESH_SH_EERKSH_lbbbEUlllE1_EE10hipError_tPvRmT2_T3_mT4_P12ihipStream_tbEUlmE_lEESB_NS0_8identityIvEEEESM_SP_SQ_mSR_ST_bEUlT_E_NS1_11comp_targetILNS1_3genE4ELNS1_11target_archE910ELNS1_3gpuE8ELNS1_3repE0EEENS1_30default_config_static_selectorELNS0_4arch9wavefront6targetE1EEEvT1_
; %bb.0:
	.section	.rodata,"a",@progbits
	.p2align	6, 0x0
	.amdhsa_kernel _ZN7rocprim17ROCPRIM_400000_NS6detail17trampoline_kernelINS0_14default_configENS1_25transform_config_selectorIlLb0EEEZNS1_14transform_implILb0ES3_S5_NS0_18transform_iteratorINS0_17counting_iteratorImlEEZNS1_24adjacent_difference_implIS3_Lb1ELb0EPlSB_ZN2at6native12_GLOBAL__N_124unique_dim_cuda_templateIlEESt5tupleIJNSC_6TensorESH_SH_EERKSH_lbbbEUlllE1_EE10hipError_tPvRmT2_T3_mT4_P12ihipStream_tbEUlmE_lEESB_NS0_8identityIvEEEESM_SP_SQ_mSR_ST_bEUlT_E_NS1_11comp_targetILNS1_3genE4ELNS1_11target_archE910ELNS1_3gpuE8ELNS1_3repE0EEENS1_30default_config_static_selectorELNS0_4arch9wavefront6targetE1EEEvT1_
		.amdhsa_group_segment_fixed_size 0
		.amdhsa_private_segment_fixed_size 0
		.amdhsa_kernarg_size 56
		.amdhsa_user_sgpr_count 2
		.amdhsa_user_sgpr_dispatch_ptr 0
		.amdhsa_user_sgpr_queue_ptr 0
		.amdhsa_user_sgpr_kernarg_segment_ptr 1
		.amdhsa_user_sgpr_dispatch_id 0
		.amdhsa_user_sgpr_kernarg_preload_length 0
		.amdhsa_user_sgpr_kernarg_preload_offset 0
		.amdhsa_user_sgpr_private_segment_size 0
		.amdhsa_uses_dynamic_stack 0
		.amdhsa_enable_private_segment 0
		.amdhsa_system_sgpr_workgroup_id_x 1
		.amdhsa_system_sgpr_workgroup_id_y 0
		.amdhsa_system_sgpr_workgroup_id_z 0
		.amdhsa_system_sgpr_workgroup_info 0
		.amdhsa_system_vgpr_workitem_id 0
		.amdhsa_next_free_vgpr 1
		.amdhsa_next_free_sgpr 0
		.amdhsa_accum_offset 4
		.amdhsa_reserve_vcc 0
		.amdhsa_float_round_mode_32 0
		.amdhsa_float_round_mode_16_64 0
		.amdhsa_float_denorm_mode_32 3
		.amdhsa_float_denorm_mode_16_64 3
		.amdhsa_dx10_clamp 1
		.amdhsa_ieee_mode 1
		.amdhsa_fp16_overflow 0
		.amdhsa_tg_split 0
		.amdhsa_exception_fp_ieee_invalid_op 0
		.amdhsa_exception_fp_denorm_src 0
		.amdhsa_exception_fp_ieee_div_zero 0
		.amdhsa_exception_fp_ieee_overflow 0
		.amdhsa_exception_fp_ieee_underflow 0
		.amdhsa_exception_fp_ieee_inexact 0
		.amdhsa_exception_int_div_zero 0
	.end_amdhsa_kernel
	.section	.text._ZN7rocprim17ROCPRIM_400000_NS6detail17trampoline_kernelINS0_14default_configENS1_25transform_config_selectorIlLb0EEEZNS1_14transform_implILb0ES3_S5_NS0_18transform_iteratorINS0_17counting_iteratorImlEEZNS1_24adjacent_difference_implIS3_Lb1ELb0EPlSB_ZN2at6native12_GLOBAL__N_124unique_dim_cuda_templateIlEESt5tupleIJNSC_6TensorESH_SH_EERKSH_lbbbEUlllE1_EE10hipError_tPvRmT2_T3_mT4_P12ihipStream_tbEUlmE_lEESB_NS0_8identityIvEEEESM_SP_SQ_mSR_ST_bEUlT_E_NS1_11comp_targetILNS1_3genE4ELNS1_11target_archE910ELNS1_3gpuE8ELNS1_3repE0EEENS1_30default_config_static_selectorELNS0_4arch9wavefront6targetE1EEEvT1_,"axG",@progbits,_ZN7rocprim17ROCPRIM_400000_NS6detail17trampoline_kernelINS0_14default_configENS1_25transform_config_selectorIlLb0EEEZNS1_14transform_implILb0ES3_S5_NS0_18transform_iteratorINS0_17counting_iteratorImlEEZNS1_24adjacent_difference_implIS3_Lb1ELb0EPlSB_ZN2at6native12_GLOBAL__N_124unique_dim_cuda_templateIlEESt5tupleIJNSC_6TensorESH_SH_EERKSH_lbbbEUlllE1_EE10hipError_tPvRmT2_T3_mT4_P12ihipStream_tbEUlmE_lEESB_NS0_8identityIvEEEESM_SP_SQ_mSR_ST_bEUlT_E_NS1_11comp_targetILNS1_3genE4ELNS1_11target_archE910ELNS1_3gpuE8ELNS1_3repE0EEENS1_30default_config_static_selectorELNS0_4arch9wavefront6targetE1EEEvT1_,comdat
.Lfunc_end552:
	.size	_ZN7rocprim17ROCPRIM_400000_NS6detail17trampoline_kernelINS0_14default_configENS1_25transform_config_selectorIlLb0EEEZNS1_14transform_implILb0ES3_S5_NS0_18transform_iteratorINS0_17counting_iteratorImlEEZNS1_24adjacent_difference_implIS3_Lb1ELb0EPlSB_ZN2at6native12_GLOBAL__N_124unique_dim_cuda_templateIlEESt5tupleIJNSC_6TensorESH_SH_EERKSH_lbbbEUlllE1_EE10hipError_tPvRmT2_T3_mT4_P12ihipStream_tbEUlmE_lEESB_NS0_8identityIvEEEESM_SP_SQ_mSR_ST_bEUlT_E_NS1_11comp_targetILNS1_3genE4ELNS1_11target_archE910ELNS1_3gpuE8ELNS1_3repE0EEENS1_30default_config_static_selectorELNS0_4arch9wavefront6targetE1EEEvT1_, .Lfunc_end552-_ZN7rocprim17ROCPRIM_400000_NS6detail17trampoline_kernelINS0_14default_configENS1_25transform_config_selectorIlLb0EEEZNS1_14transform_implILb0ES3_S5_NS0_18transform_iteratorINS0_17counting_iteratorImlEEZNS1_24adjacent_difference_implIS3_Lb1ELb0EPlSB_ZN2at6native12_GLOBAL__N_124unique_dim_cuda_templateIlEESt5tupleIJNSC_6TensorESH_SH_EERKSH_lbbbEUlllE1_EE10hipError_tPvRmT2_T3_mT4_P12ihipStream_tbEUlmE_lEESB_NS0_8identityIvEEEESM_SP_SQ_mSR_ST_bEUlT_E_NS1_11comp_targetILNS1_3genE4ELNS1_11target_archE910ELNS1_3gpuE8ELNS1_3repE0EEENS1_30default_config_static_selectorELNS0_4arch9wavefront6targetE1EEEvT1_
                                        ; -- End function
	.section	.AMDGPU.csdata,"",@progbits
; Kernel info:
; codeLenInByte = 0
; NumSgprs: 6
; NumVgprs: 0
; NumAgprs: 0
; TotalNumVgprs: 0
; ScratchSize: 0
; MemoryBound: 0
; FloatMode: 240
; IeeeMode: 1
; LDSByteSize: 0 bytes/workgroup (compile time only)
; SGPRBlocks: 0
; VGPRBlocks: 0
; NumSGPRsForWavesPerEU: 6
; NumVGPRsForWavesPerEU: 1
; AccumOffset: 4
; Occupancy: 8
; WaveLimiterHint : 0
; COMPUTE_PGM_RSRC2:SCRATCH_EN: 0
; COMPUTE_PGM_RSRC2:USER_SGPR: 2
; COMPUTE_PGM_RSRC2:TRAP_HANDLER: 0
; COMPUTE_PGM_RSRC2:TGID_X_EN: 1
; COMPUTE_PGM_RSRC2:TGID_Y_EN: 0
; COMPUTE_PGM_RSRC2:TGID_Z_EN: 0
; COMPUTE_PGM_RSRC2:TIDIG_COMP_CNT: 0
; COMPUTE_PGM_RSRC3_GFX90A:ACCUM_OFFSET: 0
; COMPUTE_PGM_RSRC3_GFX90A:TG_SPLIT: 0
	.section	.text._ZN7rocprim17ROCPRIM_400000_NS6detail17trampoline_kernelINS0_14default_configENS1_25transform_config_selectorIlLb0EEEZNS1_14transform_implILb0ES3_S5_NS0_18transform_iteratorINS0_17counting_iteratorImlEEZNS1_24adjacent_difference_implIS3_Lb1ELb0EPlSB_ZN2at6native12_GLOBAL__N_124unique_dim_cuda_templateIlEESt5tupleIJNSC_6TensorESH_SH_EERKSH_lbbbEUlllE1_EE10hipError_tPvRmT2_T3_mT4_P12ihipStream_tbEUlmE_lEESB_NS0_8identityIvEEEESM_SP_SQ_mSR_ST_bEUlT_E_NS1_11comp_targetILNS1_3genE3ELNS1_11target_archE908ELNS1_3gpuE7ELNS1_3repE0EEENS1_30default_config_static_selectorELNS0_4arch9wavefront6targetE1EEEvT1_,"axG",@progbits,_ZN7rocprim17ROCPRIM_400000_NS6detail17trampoline_kernelINS0_14default_configENS1_25transform_config_selectorIlLb0EEEZNS1_14transform_implILb0ES3_S5_NS0_18transform_iteratorINS0_17counting_iteratorImlEEZNS1_24adjacent_difference_implIS3_Lb1ELb0EPlSB_ZN2at6native12_GLOBAL__N_124unique_dim_cuda_templateIlEESt5tupleIJNSC_6TensorESH_SH_EERKSH_lbbbEUlllE1_EE10hipError_tPvRmT2_T3_mT4_P12ihipStream_tbEUlmE_lEESB_NS0_8identityIvEEEESM_SP_SQ_mSR_ST_bEUlT_E_NS1_11comp_targetILNS1_3genE3ELNS1_11target_archE908ELNS1_3gpuE7ELNS1_3repE0EEENS1_30default_config_static_selectorELNS0_4arch9wavefront6targetE1EEEvT1_,comdat
	.globl	_ZN7rocprim17ROCPRIM_400000_NS6detail17trampoline_kernelINS0_14default_configENS1_25transform_config_selectorIlLb0EEEZNS1_14transform_implILb0ES3_S5_NS0_18transform_iteratorINS0_17counting_iteratorImlEEZNS1_24adjacent_difference_implIS3_Lb1ELb0EPlSB_ZN2at6native12_GLOBAL__N_124unique_dim_cuda_templateIlEESt5tupleIJNSC_6TensorESH_SH_EERKSH_lbbbEUlllE1_EE10hipError_tPvRmT2_T3_mT4_P12ihipStream_tbEUlmE_lEESB_NS0_8identityIvEEEESM_SP_SQ_mSR_ST_bEUlT_E_NS1_11comp_targetILNS1_3genE3ELNS1_11target_archE908ELNS1_3gpuE7ELNS1_3repE0EEENS1_30default_config_static_selectorELNS0_4arch9wavefront6targetE1EEEvT1_ ; -- Begin function _ZN7rocprim17ROCPRIM_400000_NS6detail17trampoline_kernelINS0_14default_configENS1_25transform_config_selectorIlLb0EEEZNS1_14transform_implILb0ES3_S5_NS0_18transform_iteratorINS0_17counting_iteratorImlEEZNS1_24adjacent_difference_implIS3_Lb1ELb0EPlSB_ZN2at6native12_GLOBAL__N_124unique_dim_cuda_templateIlEESt5tupleIJNSC_6TensorESH_SH_EERKSH_lbbbEUlllE1_EE10hipError_tPvRmT2_T3_mT4_P12ihipStream_tbEUlmE_lEESB_NS0_8identityIvEEEESM_SP_SQ_mSR_ST_bEUlT_E_NS1_11comp_targetILNS1_3genE3ELNS1_11target_archE908ELNS1_3gpuE7ELNS1_3repE0EEENS1_30default_config_static_selectorELNS0_4arch9wavefront6targetE1EEEvT1_
	.p2align	8
	.type	_ZN7rocprim17ROCPRIM_400000_NS6detail17trampoline_kernelINS0_14default_configENS1_25transform_config_selectorIlLb0EEEZNS1_14transform_implILb0ES3_S5_NS0_18transform_iteratorINS0_17counting_iteratorImlEEZNS1_24adjacent_difference_implIS3_Lb1ELb0EPlSB_ZN2at6native12_GLOBAL__N_124unique_dim_cuda_templateIlEESt5tupleIJNSC_6TensorESH_SH_EERKSH_lbbbEUlllE1_EE10hipError_tPvRmT2_T3_mT4_P12ihipStream_tbEUlmE_lEESB_NS0_8identityIvEEEESM_SP_SQ_mSR_ST_bEUlT_E_NS1_11comp_targetILNS1_3genE3ELNS1_11target_archE908ELNS1_3gpuE7ELNS1_3repE0EEENS1_30default_config_static_selectorELNS0_4arch9wavefront6targetE1EEEvT1_,@function
_ZN7rocprim17ROCPRIM_400000_NS6detail17trampoline_kernelINS0_14default_configENS1_25transform_config_selectorIlLb0EEEZNS1_14transform_implILb0ES3_S5_NS0_18transform_iteratorINS0_17counting_iteratorImlEEZNS1_24adjacent_difference_implIS3_Lb1ELb0EPlSB_ZN2at6native12_GLOBAL__N_124unique_dim_cuda_templateIlEESt5tupleIJNSC_6TensorESH_SH_EERKSH_lbbbEUlllE1_EE10hipError_tPvRmT2_T3_mT4_P12ihipStream_tbEUlmE_lEESB_NS0_8identityIvEEEESM_SP_SQ_mSR_ST_bEUlT_E_NS1_11comp_targetILNS1_3genE3ELNS1_11target_archE908ELNS1_3gpuE7ELNS1_3repE0EEENS1_30default_config_static_selectorELNS0_4arch9wavefront6targetE1EEEvT1_: ; @_ZN7rocprim17ROCPRIM_400000_NS6detail17trampoline_kernelINS0_14default_configENS1_25transform_config_selectorIlLb0EEEZNS1_14transform_implILb0ES3_S5_NS0_18transform_iteratorINS0_17counting_iteratorImlEEZNS1_24adjacent_difference_implIS3_Lb1ELb0EPlSB_ZN2at6native12_GLOBAL__N_124unique_dim_cuda_templateIlEESt5tupleIJNSC_6TensorESH_SH_EERKSH_lbbbEUlllE1_EE10hipError_tPvRmT2_T3_mT4_P12ihipStream_tbEUlmE_lEESB_NS0_8identityIvEEEESM_SP_SQ_mSR_ST_bEUlT_E_NS1_11comp_targetILNS1_3genE3ELNS1_11target_archE908ELNS1_3gpuE7ELNS1_3repE0EEENS1_30default_config_static_selectorELNS0_4arch9wavefront6targetE1EEEvT1_
; %bb.0:
	.section	.rodata,"a",@progbits
	.p2align	6, 0x0
	.amdhsa_kernel _ZN7rocprim17ROCPRIM_400000_NS6detail17trampoline_kernelINS0_14default_configENS1_25transform_config_selectorIlLb0EEEZNS1_14transform_implILb0ES3_S5_NS0_18transform_iteratorINS0_17counting_iteratorImlEEZNS1_24adjacent_difference_implIS3_Lb1ELb0EPlSB_ZN2at6native12_GLOBAL__N_124unique_dim_cuda_templateIlEESt5tupleIJNSC_6TensorESH_SH_EERKSH_lbbbEUlllE1_EE10hipError_tPvRmT2_T3_mT4_P12ihipStream_tbEUlmE_lEESB_NS0_8identityIvEEEESM_SP_SQ_mSR_ST_bEUlT_E_NS1_11comp_targetILNS1_3genE3ELNS1_11target_archE908ELNS1_3gpuE7ELNS1_3repE0EEENS1_30default_config_static_selectorELNS0_4arch9wavefront6targetE1EEEvT1_
		.amdhsa_group_segment_fixed_size 0
		.amdhsa_private_segment_fixed_size 0
		.amdhsa_kernarg_size 56
		.amdhsa_user_sgpr_count 2
		.amdhsa_user_sgpr_dispatch_ptr 0
		.amdhsa_user_sgpr_queue_ptr 0
		.amdhsa_user_sgpr_kernarg_segment_ptr 1
		.amdhsa_user_sgpr_dispatch_id 0
		.amdhsa_user_sgpr_kernarg_preload_length 0
		.amdhsa_user_sgpr_kernarg_preload_offset 0
		.amdhsa_user_sgpr_private_segment_size 0
		.amdhsa_uses_dynamic_stack 0
		.amdhsa_enable_private_segment 0
		.amdhsa_system_sgpr_workgroup_id_x 1
		.amdhsa_system_sgpr_workgroup_id_y 0
		.amdhsa_system_sgpr_workgroup_id_z 0
		.amdhsa_system_sgpr_workgroup_info 0
		.amdhsa_system_vgpr_workitem_id 0
		.amdhsa_next_free_vgpr 1
		.amdhsa_next_free_sgpr 0
		.amdhsa_accum_offset 4
		.amdhsa_reserve_vcc 0
		.amdhsa_float_round_mode_32 0
		.amdhsa_float_round_mode_16_64 0
		.amdhsa_float_denorm_mode_32 3
		.amdhsa_float_denorm_mode_16_64 3
		.amdhsa_dx10_clamp 1
		.amdhsa_ieee_mode 1
		.amdhsa_fp16_overflow 0
		.amdhsa_tg_split 0
		.amdhsa_exception_fp_ieee_invalid_op 0
		.amdhsa_exception_fp_denorm_src 0
		.amdhsa_exception_fp_ieee_div_zero 0
		.amdhsa_exception_fp_ieee_overflow 0
		.amdhsa_exception_fp_ieee_underflow 0
		.amdhsa_exception_fp_ieee_inexact 0
		.amdhsa_exception_int_div_zero 0
	.end_amdhsa_kernel
	.section	.text._ZN7rocprim17ROCPRIM_400000_NS6detail17trampoline_kernelINS0_14default_configENS1_25transform_config_selectorIlLb0EEEZNS1_14transform_implILb0ES3_S5_NS0_18transform_iteratorINS0_17counting_iteratorImlEEZNS1_24adjacent_difference_implIS3_Lb1ELb0EPlSB_ZN2at6native12_GLOBAL__N_124unique_dim_cuda_templateIlEESt5tupleIJNSC_6TensorESH_SH_EERKSH_lbbbEUlllE1_EE10hipError_tPvRmT2_T3_mT4_P12ihipStream_tbEUlmE_lEESB_NS0_8identityIvEEEESM_SP_SQ_mSR_ST_bEUlT_E_NS1_11comp_targetILNS1_3genE3ELNS1_11target_archE908ELNS1_3gpuE7ELNS1_3repE0EEENS1_30default_config_static_selectorELNS0_4arch9wavefront6targetE1EEEvT1_,"axG",@progbits,_ZN7rocprim17ROCPRIM_400000_NS6detail17trampoline_kernelINS0_14default_configENS1_25transform_config_selectorIlLb0EEEZNS1_14transform_implILb0ES3_S5_NS0_18transform_iteratorINS0_17counting_iteratorImlEEZNS1_24adjacent_difference_implIS3_Lb1ELb0EPlSB_ZN2at6native12_GLOBAL__N_124unique_dim_cuda_templateIlEESt5tupleIJNSC_6TensorESH_SH_EERKSH_lbbbEUlllE1_EE10hipError_tPvRmT2_T3_mT4_P12ihipStream_tbEUlmE_lEESB_NS0_8identityIvEEEESM_SP_SQ_mSR_ST_bEUlT_E_NS1_11comp_targetILNS1_3genE3ELNS1_11target_archE908ELNS1_3gpuE7ELNS1_3repE0EEENS1_30default_config_static_selectorELNS0_4arch9wavefront6targetE1EEEvT1_,comdat
.Lfunc_end553:
	.size	_ZN7rocprim17ROCPRIM_400000_NS6detail17trampoline_kernelINS0_14default_configENS1_25transform_config_selectorIlLb0EEEZNS1_14transform_implILb0ES3_S5_NS0_18transform_iteratorINS0_17counting_iteratorImlEEZNS1_24adjacent_difference_implIS3_Lb1ELb0EPlSB_ZN2at6native12_GLOBAL__N_124unique_dim_cuda_templateIlEESt5tupleIJNSC_6TensorESH_SH_EERKSH_lbbbEUlllE1_EE10hipError_tPvRmT2_T3_mT4_P12ihipStream_tbEUlmE_lEESB_NS0_8identityIvEEEESM_SP_SQ_mSR_ST_bEUlT_E_NS1_11comp_targetILNS1_3genE3ELNS1_11target_archE908ELNS1_3gpuE7ELNS1_3repE0EEENS1_30default_config_static_selectorELNS0_4arch9wavefront6targetE1EEEvT1_, .Lfunc_end553-_ZN7rocprim17ROCPRIM_400000_NS6detail17trampoline_kernelINS0_14default_configENS1_25transform_config_selectorIlLb0EEEZNS1_14transform_implILb0ES3_S5_NS0_18transform_iteratorINS0_17counting_iteratorImlEEZNS1_24adjacent_difference_implIS3_Lb1ELb0EPlSB_ZN2at6native12_GLOBAL__N_124unique_dim_cuda_templateIlEESt5tupleIJNSC_6TensorESH_SH_EERKSH_lbbbEUlllE1_EE10hipError_tPvRmT2_T3_mT4_P12ihipStream_tbEUlmE_lEESB_NS0_8identityIvEEEESM_SP_SQ_mSR_ST_bEUlT_E_NS1_11comp_targetILNS1_3genE3ELNS1_11target_archE908ELNS1_3gpuE7ELNS1_3repE0EEENS1_30default_config_static_selectorELNS0_4arch9wavefront6targetE1EEEvT1_
                                        ; -- End function
	.section	.AMDGPU.csdata,"",@progbits
; Kernel info:
; codeLenInByte = 0
; NumSgprs: 6
; NumVgprs: 0
; NumAgprs: 0
; TotalNumVgprs: 0
; ScratchSize: 0
; MemoryBound: 0
; FloatMode: 240
; IeeeMode: 1
; LDSByteSize: 0 bytes/workgroup (compile time only)
; SGPRBlocks: 0
; VGPRBlocks: 0
; NumSGPRsForWavesPerEU: 6
; NumVGPRsForWavesPerEU: 1
; AccumOffset: 4
; Occupancy: 8
; WaveLimiterHint : 0
; COMPUTE_PGM_RSRC2:SCRATCH_EN: 0
; COMPUTE_PGM_RSRC2:USER_SGPR: 2
; COMPUTE_PGM_RSRC2:TRAP_HANDLER: 0
; COMPUTE_PGM_RSRC2:TGID_X_EN: 1
; COMPUTE_PGM_RSRC2:TGID_Y_EN: 0
; COMPUTE_PGM_RSRC2:TGID_Z_EN: 0
; COMPUTE_PGM_RSRC2:TIDIG_COMP_CNT: 0
; COMPUTE_PGM_RSRC3_GFX90A:ACCUM_OFFSET: 0
; COMPUTE_PGM_RSRC3_GFX90A:TG_SPLIT: 0
	.section	.text._ZN7rocprim17ROCPRIM_400000_NS6detail17trampoline_kernelINS0_14default_configENS1_25transform_config_selectorIlLb0EEEZNS1_14transform_implILb0ES3_S5_NS0_18transform_iteratorINS0_17counting_iteratorImlEEZNS1_24adjacent_difference_implIS3_Lb1ELb0EPlSB_ZN2at6native12_GLOBAL__N_124unique_dim_cuda_templateIlEESt5tupleIJNSC_6TensorESH_SH_EERKSH_lbbbEUlllE1_EE10hipError_tPvRmT2_T3_mT4_P12ihipStream_tbEUlmE_lEESB_NS0_8identityIvEEEESM_SP_SQ_mSR_ST_bEUlT_E_NS1_11comp_targetILNS1_3genE2ELNS1_11target_archE906ELNS1_3gpuE6ELNS1_3repE0EEENS1_30default_config_static_selectorELNS0_4arch9wavefront6targetE1EEEvT1_,"axG",@progbits,_ZN7rocprim17ROCPRIM_400000_NS6detail17trampoline_kernelINS0_14default_configENS1_25transform_config_selectorIlLb0EEEZNS1_14transform_implILb0ES3_S5_NS0_18transform_iteratorINS0_17counting_iteratorImlEEZNS1_24adjacent_difference_implIS3_Lb1ELb0EPlSB_ZN2at6native12_GLOBAL__N_124unique_dim_cuda_templateIlEESt5tupleIJNSC_6TensorESH_SH_EERKSH_lbbbEUlllE1_EE10hipError_tPvRmT2_T3_mT4_P12ihipStream_tbEUlmE_lEESB_NS0_8identityIvEEEESM_SP_SQ_mSR_ST_bEUlT_E_NS1_11comp_targetILNS1_3genE2ELNS1_11target_archE906ELNS1_3gpuE6ELNS1_3repE0EEENS1_30default_config_static_selectorELNS0_4arch9wavefront6targetE1EEEvT1_,comdat
	.globl	_ZN7rocprim17ROCPRIM_400000_NS6detail17trampoline_kernelINS0_14default_configENS1_25transform_config_selectorIlLb0EEEZNS1_14transform_implILb0ES3_S5_NS0_18transform_iteratorINS0_17counting_iteratorImlEEZNS1_24adjacent_difference_implIS3_Lb1ELb0EPlSB_ZN2at6native12_GLOBAL__N_124unique_dim_cuda_templateIlEESt5tupleIJNSC_6TensorESH_SH_EERKSH_lbbbEUlllE1_EE10hipError_tPvRmT2_T3_mT4_P12ihipStream_tbEUlmE_lEESB_NS0_8identityIvEEEESM_SP_SQ_mSR_ST_bEUlT_E_NS1_11comp_targetILNS1_3genE2ELNS1_11target_archE906ELNS1_3gpuE6ELNS1_3repE0EEENS1_30default_config_static_selectorELNS0_4arch9wavefront6targetE1EEEvT1_ ; -- Begin function _ZN7rocprim17ROCPRIM_400000_NS6detail17trampoline_kernelINS0_14default_configENS1_25transform_config_selectorIlLb0EEEZNS1_14transform_implILb0ES3_S5_NS0_18transform_iteratorINS0_17counting_iteratorImlEEZNS1_24adjacent_difference_implIS3_Lb1ELb0EPlSB_ZN2at6native12_GLOBAL__N_124unique_dim_cuda_templateIlEESt5tupleIJNSC_6TensorESH_SH_EERKSH_lbbbEUlllE1_EE10hipError_tPvRmT2_T3_mT4_P12ihipStream_tbEUlmE_lEESB_NS0_8identityIvEEEESM_SP_SQ_mSR_ST_bEUlT_E_NS1_11comp_targetILNS1_3genE2ELNS1_11target_archE906ELNS1_3gpuE6ELNS1_3repE0EEENS1_30default_config_static_selectorELNS0_4arch9wavefront6targetE1EEEvT1_
	.p2align	8
	.type	_ZN7rocprim17ROCPRIM_400000_NS6detail17trampoline_kernelINS0_14default_configENS1_25transform_config_selectorIlLb0EEEZNS1_14transform_implILb0ES3_S5_NS0_18transform_iteratorINS0_17counting_iteratorImlEEZNS1_24adjacent_difference_implIS3_Lb1ELb0EPlSB_ZN2at6native12_GLOBAL__N_124unique_dim_cuda_templateIlEESt5tupleIJNSC_6TensorESH_SH_EERKSH_lbbbEUlllE1_EE10hipError_tPvRmT2_T3_mT4_P12ihipStream_tbEUlmE_lEESB_NS0_8identityIvEEEESM_SP_SQ_mSR_ST_bEUlT_E_NS1_11comp_targetILNS1_3genE2ELNS1_11target_archE906ELNS1_3gpuE6ELNS1_3repE0EEENS1_30default_config_static_selectorELNS0_4arch9wavefront6targetE1EEEvT1_,@function
_ZN7rocprim17ROCPRIM_400000_NS6detail17trampoline_kernelINS0_14default_configENS1_25transform_config_selectorIlLb0EEEZNS1_14transform_implILb0ES3_S5_NS0_18transform_iteratorINS0_17counting_iteratorImlEEZNS1_24adjacent_difference_implIS3_Lb1ELb0EPlSB_ZN2at6native12_GLOBAL__N_124unique_dim_cuda_templateIlEESt5tupleIJNSC_6TensorESH_SH_EERKSH_lbbbEUlllE1_EE10hipError_tPvRmT2_T3_mT4_P12ihipStream_tbEUlmE_lEESB_NS0_8identityIvEEEESM_SP_SQ_mSR_ST_bEUlT_E_NS1_11comp_targetILNS1_3genE2ELNS1_11target_archE906ELNS1_3gpuE6ELNS1_3repE0EEENS1_30default_config_static_selectorELNS0_4arch9wavefront6targetE1EEEvT1_: ; @_ZN7rocprim17ROCPRIM_400000_NS6detail17trampoline_kernelINS0_14default_configENS1_25transform_config_selectorIlLb0EEEZNS1_14transform_implILb0ES3_S5_NS0_18transform_iteratorINS0_17counting_iteratorImlEEZNS1_24adjacent_difference_implIS3_Lb1ELb0EPlSB_ZN2at6native12_GLOBAL__N_124unique_dim_cuda_templateIlEESt5tupleIJNSC_6TensorESH_SH_EERKSH_lbbbEUlllE1_EE10hipError_tPvRmT2_T3_mT4_P12ihipStream_tbEUlmE_lEESB_NS0_8identityIvEEEESM_SP_SQ_mSR_ST_bEUlT_E_NS1_11comp_targetILNS1_3genE2ELNS1_11target_archE906ELNS1_3gpuE6ELNS1_3repE0EEENS1_30default_config_static_selectorELNS0_4arch9wavefront6targetE1EEEvT1_
; %bb.0:
	.section	.rodata,"a",@progbits
	.p2align	6, 0x0
	.amdhsa_kernel _ZN7rocprim17ROCPRIM_400000_NS6detail17trampoline_kernelINS0_14default_configENS1_25transform_config_selectorIlLb0EEEZNS1_14transform_implILb0ES3_S5_NS0_18transform_iteratorINS0_17counting_iteratorImlEEZNS1_24adjacent_difference_implIS3_Lb1ELb0EPlSB_ZN2at6native12_GLOBAL__N_124unique_dim_cuda_templateIlEESt5tupleIJNSC_6TensorESH_SH_EERKSH_lbbbEUlllE1_EE10hipError_tPvRmT2_T3_mT4_P12ihipStream_tbEUlmE_lEESB_NS0_8identityIvEEEESM_SP_SQ_mSR_ST_bEUlT_E_NS1_11comp_targetILNS1_3genE2ELNS1_11target_archE906ELNS1_3gpuE6ELNS1_3repE0EEENS1_30default_config_static_selectorELNS0_4arch9wavefront6targetE1EEEvT1_
		.amdhsa_group_segment_fixed_size 0
		.amdhsa_private_segment_fixed_size 0
		.amdhsa_kernarg_size 56
		.amdhsa_user_sgpr_count 2
		.amdhsa_user_sgpr_dispatch_ptr 0
		.amdhsa_user_sgpr_queue_ptr 0
		.amdhsa_user_sgpr_kernarg_segment_ptr 1
		.amdhsa_user_sgpr_dispatch_id 0
		.amdhsa_user_sgpr_kernarg_preload_length 0
		.amdhsa_user_sgpr_kernarg_preload_offset 0
		.amdhsa_user_sgpr_private_segment_size 0
		.amdhsa_uses_dynamic_stack 0
		.amdhsa_enable_private_segment 0
		.amdhsa_system_sgpr_workgroup_id_x 1
		.amdhsa_system_sgpr_workgroup_id_y 0
		.amdhsa_system_sgpr_workgroup_id_z 0
		.amdhsa_system_sgpr_workgroup_info 0
		.amdhsa_system_vgpr_workitem_id 0
		.amdhsa_next_free_vgpr 1
		.amdhsa_next_free_sgpr 0
		.amdhsa_accum_offset 4
		.amdhsa_reserve_vcc 0
		.amdhsa_float_round_mode_32 0
		.amdhsa_float_round_mode_16_64 0
		.amdhsa_float_denorm_mode_32 3
		.amdhsa_float_denorm_mode_16_64 3
		.amdhsa_dx10_clamp 1
		.amdhsa_ieee_mode 1
		.amdhsa_fp16_overflow 0
		.amdhsa_tg_split 0
		.amdhsa_exception_fp_ieee_invalid_op 0
		.amdhsa_exception_fp_denorm_src 0
		.amdhsa_exception_fp_ieee_div_zero 0
		.amdhsa_exception_fp_ieee_overflow 0
		.amdhsa_exception_fp_ieee_underflow 0
		.amdhsa_exception_fp_ieee_inexact 0
		.amdhsa_exception_int_div_zero 0
	.end_amdhsa_kernel
	.section	.text._ZN7rocprim17ROCPRIM_400000_NS6detail17trampoline_kernelINS0_14default_configENS1_25transform_config_selectorIlLb0EEEZNS1_14transform_implILb0ES3_S5_NS0_18transform_iteratorINS0_17counting_iteratorImlEEZNS1_24adjacent_difference_implIS3_Lb1ELb0EPlSB_ZN2at6native12_GLOBAL__N_124unique_dim_cuda_templateIlEESt5tupleIJNSC_6TensorESH_SH_EERKSH_lbbbEUlllE1_EE10hipError_tPvRmT2_T3_mT4_P12ihipStream_tbEUlmE_lEESB_NS0_8identityIvEEEESM_SP_SQ_mSR_ST_bEUlT_E_NS1_11comp_targetILNS1_3genE2ELNS1_11target_archE906ELNS1_3gpuE6ELNS1_3repE0EEENS1_30default_config_static_selectorELNS0_4arch9wavefront6targetE1EEEvT1_,"axG",@progbits,_ZN7rocprim17ROCPRIM_400000_NS6detail17trampoline_kernelINS0_14default_configENS1_25transform_config_selectorIlLb0EEEZNS1_14transform_implILb0ES3_S5_NS0_18transform_iteratorINS0_17counting_iteratorImlEEZNS1_24adjacent_difference_implIS3_Lb1ELb0EPlSB_ZN2at6native12_GLOBAL__N_124unique_dim_cuda_templateIlEESt5tupleIJNSC_6TensorESH_SH_EERKSH_lbbbEUlllE1_EE10hipError_tPvRmT2_T3_mT4_P12ihipStream_tbEUlmE_lEESB_NS0_8identityIvEEEESM_SP_SQ_mSR_ST_bEUlT_E_NS1_11comp_targetILNS1_3genE2ELNS1_11target_archE906ELNS1_3gpuE6ELNS1_3repE0EEENS1_30default_config_static_selectorELNS0_4arch9wavefront6targetE1EEEvT1_,comdat
.Lfunc_end554:
	.size	_ZN7rocprim17ROCPRIM_400000_NS6detail17trampoline_kernelINS0_14default_configENS1_25transform_config_selectorIlLb0EEEZNS1_14transform_implILb0ES3_S5_NS0_18transform_iteratorINS0_17counting_iteratorImlEEZNS1_24adjacent_difference_implIS3_Lb1ELb0EPlSB_ZN2at6native12_GLOBAL__N_124unique_dim_cuda_templateIlEESt5tupleIJNSC_6TensorESH_SH_EERKSH_lbbbEUlllE1_EE10hipError_tPvRmT2_T3_mT4_P12ihipStream_tbEUlmE_lEESB_NS0_8identityIvEEEESM_SP_SQ_mSR_ST_bEUlT_E_NS1_11comp_targetILNS1_3genE2ELNS1_11target_archE906ELNS1_3gpuE6ELNS1_3repE0EEENS1_30default_config_static_selectorELNS0_4arch9wavefront6targetE1EEEvT1_, .Lfunc_end554-_ZN7rocprim17ROCPRIM_400000_NS6detail17trampoline_kernelINS0_14default_configENS1_25transform_config_selectorIlLb0EEEZNS1_14transform_implILb0ES3_S5_NS0_18transform_iteratorINS0_17counting_iteratorImlEEZNS1_24adjacent_difference_implIS3_Lb1ELb0EPlSB_ZN2at6native12_GLOBAL__N_124unique_dim_cuda_templateIlEESt5tupleIJNSC_6TensorESH_SH_EERKSH_lbbbEUlllE1_EE10hipError_tPvRmT2_T3_mT4_P12ihipStream_tbEUlmE_lEESB_NS0_8identityIvEEEESM_SP_SQ_mSR_ST_bEUlT_E_NS1_11comp_targetILNS1_3genE2ELNS1_11target_archE906ELNS1_3gpuE6ELNS1_3repE0EEENS1_30default_config_static_selectorELNS0_4arch9wavefront6targetE1EEEvT1_
                                        ; -- End function
	.section	.AMDGPU.csdata,"",@progbits
; Kernel info:
; codeLenInByte = 0
; NumSgprs: 6
; NumVgprs: 0
; NumAgprs: 0
; TotalNumVgprs: 0
; ScratchSize: 0
; MemoryBound: 0
; FloatMode: 240
; IeeeMode: 1
; LDSByteSize: 0 bytes/workgroup (compile time only)
; SGPRBlocks: 0
; VGPRBlocks: 0
; NumSGPRsForWavesPerEU: 6
; NumVGPRsForWavesPerEU: 1
; AccumOffset: 4
; Occupancy: 8
; WaveLimiterHint : 0
; COMPUTE_PGM_RSRC2:SCRATCH_EN: 0
; COMPUTE_PGM_RSRC2:USER_SGPR: 2
; COMPUTE_PGM_RSRC2:TRAP_HANDLER: 0
; COMPUTE_PGM_RSRC2:TGID_X_EN: 1
; COMPUTE_PGM_RSRC2:TGID_Y_EN: 0
; COMPUTE_PGM_RSRC2:TGID_Z_EN: 0
; COMPUTE_PGM_RSRC2:TIDIG_COMP_CNT: 0
; COMPUTE_PGM_RSRC3_GFX90A:ACCUM_OFFSET: 0
; COMPUTE_PGM_RSRC3_GFX90A:TG_SPLIT: 0
	.section	.text._ZN7rocprim17ROCPRIM_400000_NS6detail17trampoline_kernelINS0_14default_configENS1_25transform_config_selectorIlLb0EEEZNS1_14transform_implILb0ES3_S5_NS0_18transform_iteratorINS0_17counting_iteratorImlEEZNS1_24adjacent_difference_implIS3_Lb1ELb0EPlSB_ZN2at6native12_GLOBAL__N_124unique_dim_cuda_templateIlEESt5tupleIJNSC_6TensorESH_SH_EERKSH_lbbbEUlllE1_EE10hipError_tPvRmT2_T3_mT4_P12ihipStream_tbEUlmE_lEESB_NS0_8identityIvEEEESM_SP_SQ_mSR_ST_bEUlT_E_NS1_11comp_targetILNS1_3genE10ELNS1_11target_archE1201ELNS1_3gpuE5ELNS1_3repE0EEENS1_30default_config_static_selectorELNS0_4arch9wavefront6targetE1EEEvT1_,"axG",@progbits,_ZN7rocprim17ROCPRIM_400000_NS6detail17trampoline_kernelINS0_14default_configENS1_25transform_config_selectorIlLb0EEEZNS1_14transform_implILb0ES3_S5_NS0_18transform_iteratorINS0_17counting_iteratorImlEEZNS1_24adjacent_difference_implIS3_Lb1ELb0EPlSB_ZN2at6native12_GLOBAL__N_124unique_dim_cuda_templateIlEESt5tupleIJNSC_6TensorESH_SH_EERKSH_lbbbEUlllE1_EE10hipError_tPvRmT2_T3_mT4_P12ihipStream_tbEUlmE_lEESB_NS0_8identityIvEEEESM_SP_SQ_mSR_ST_bEUlT_E_NS1_11comp_targetILNS1_3genE10ELNS1_11target_archE1201ELNS1_3gpuE5ELNS1_3repE0EEENS1_30default_config_static_selectorELNS0_4arch9wavefront6targetE1EEEvT1_,comdat
	.globl	_ZN7rocprim17ROCPRIM_400000_NS6detail17trampoline_kernelINS0_14default_configENS1_25transform_config_selectorIlLb0EEEZNS1_14transform_implILb0ES3_S5_NS0_18transform_iteratorINS0_17counting_iteratorImlEEZNS1_24adjacent_difference_implIS3_Lb1ELb0EPlSB_ZN2at6native12_GLOBAL__N_124unique_dim_cuda_templateIlEESt5tupleIJNSC_6TensorESH_SH_EERKSH_lbbbEUlllE1_EE10hipError_tPvRmT2_T3_mT4_P12ihipStream_tbEUlmE_lEESB_NS0_8identityIvEEEESM_SP_SQ_mSR_ST_bEUlT_E_NS1_11comp_targetILNS1_3genE10ELNS1_11target_archE1201ELNS1_3gpuE5ELNS1_3repE0EEENS1_30default_config_static_selectorELNS0_4arch9wavefront6targetE1EEEvT1_ ; -- Begin function _ZN7rocprim17ROCPRIM_400000_NS6detail17trampoline_kernelINS0_14default_configENS1_25transform_config_selectorIlLb0EEEZNS1_14transform_implILb0ES3_S5_NS0_18transform_iteratorINS0_17counting_iteratorImlEEZNS1_24adjacent_difference_implIS3_Lb1ELb0EPlSB_ZN2at6native12_GLOBAL__N_124unique_dim_cuda_templateIlEESt5tupleIJNSC_6TensorESH_SH_EERKSH_lbbbEUlllE1_EE10hipError_tPvRmT2_T3_mT4_P12ihipStream_tbEUlmE_lEESB_NS0_8identityIvEEEESM_SP_SQ_mSR_ST_bEUlT_E_NS1_11comp_targetILNS1_3genE10ELNS1_11target_archE1201ELNS1_3gpuE5ELNS1_3repE0EEENS1_30default_config_static_selectorELNS0_4arch9wavefront6targetE1EEEvT1_
	.p2align	8
	.type	_ZN7rocprim17ROCPRIM_400000_NS6detail17trampoline_kernelINS0_14default_configENS1_25transform_config_selectorIlLb0EEEZNS1_14transform_implILb0ES3_S5_NS0_18transform_iteratorINS0_17counting_iteratorImlEEZNS1_24adjacent_difference_implIS3_Lb1ELb0EPlSB_ZN2at6native12_GLOBAL__N_124unique_dim_cuda_templateIlEESt5tupleIJNSC_6TensorESH_SH_EERKSH_lbbbEUlllE1_EE10hipError_tPvRmT2_T3_mT4_P12ihipStream_tbEUlmE_lEESB_NS0_8identityIvEEEESM_SP_SQ_mSR_ST_bEUlT_E_NS1_11comp_targetILNS1_3genE10ELNS1_11target_archE1201ELNS1_3gpuE5ELNS1_3repE0EEENS1_30default_config_static_selectorELNS0_4arch9wavefront6targetE1EEEvT1_,@function
_ZN7rocprim17ROCPRIM_400000_NS6detail17trampoline_kernelINS0_14default_configENS1_25transform_config_selectorIlLb0EEEZNS1_14transform_implILb0ES3_S5_NS0_18transform_iteratorINS0_17counting_iteratorImlEEZNS1_24adjacent_difference_implIS3_Lb1ELb0EPlSB_ZN2at6native12_GLOBAL__N_124unique_dim_cuda_templateIlEESt5tupleIJNSC_6TensorESH_SH_EERKSH_lbbbEUlllE1_EE10hipError_tPvRmT2_T3_mT4_P12ihipStream_tbEUlmE_lEESB_NS0_8identityIvEEEESM_SP_SQ_mSR_ST_bEUlT_E_NS1_11comp_targetILNS1_3genE10ELNS1_11target_archE1201ELNS1_3gpuE5ELNS1_3repE0EEENS1_30default_config_static_selectorELNS0_4arch9wavefront6targetE1EEEvT1_: ; @_ZN7rocprim17ROCPRIM_400000_NS6detail17trampoline_kernelINS0_14default_configENS1_25transform_config_selectorIlLb0EEEZNS1_14transform_implILb0ES3_S5_NS0_18transform_iteratorINS0_17counting_iteratorImlEEZNS1_24adjacent_difference_implIS3_Lb1ELb0EPlSB_ZN2at6native12_GLOBAL__N_124unique_dim_cuda_templateIlEESt5tupleIJNSC_6TensorESH_SH_EERKSH_lbbbEUlllE1_EE10hipError_tPvRmT2_T3_mT4_P12ihipStream_tbEUlmE_lEESB_NS0_8identityIvEEEESM_SP_SQ_mSR_ST_bEUlT_E_NS1_11comp_targetILNS1_3genE10ELNS1_11target_archE1201ELNS1_3gpuE5ELNS1_3repE0EEENS1_30default_config_static_selectorELNS0_4arch9wavefront6targetE1EEEvT1_
; %bb.0:
	.section	.rodata,"a",@progbits
	.p2align	6, 0x0
	.amdhsa_kernel _ZN7rocprim17ROCPRIM_400000_NS6detail17trampoline_kernelINS0_14default_configENS1_25transform_config_selectorIlLb0EEEZNS1_14transform_implILb0ES3_S5_NS0_18transform_iteratorINS0_17counting_iteratorImlEEZNS1_24adjacent_difference_implIS3_Lb1ELb0EPlSB_ZN2at6native12_GLOBAL__N_124unique_dim_cuda_templateIlEESt5tupleIJNSC_6TensorESH_SH_EERKSH_lbbbEUlllE1_EE10hipError_tPvRmT2_T3_mT4_P12ihipStream_tbEUlmE_lEESB_NS0_8identityIvEEEESM_SP_SQ_mSR_ST_bEUlT_E_NS1_11comp_targetILNS1_3genE10ELNS1_11target_archE1201ELNS1_3gpuE5ELNS1_3repE0EEENS1_30default_config_static_selectorELNS0_4arch9wavefront6targetE1EEEvT1_
		.amdhsa_group_segment_fixed_size 0
		.amdhsa_private_segment_fixed_size 0
		.amdhsa_kernarg_size 56
		.amdhsa_user_sgpr_count 2
		.amdhsa_user_sgpr_dispatch_ptr 0
		.amdhsa_user_sgpr_queue_ptr 0
		.amdhsa_user_sgpr_kernarg_segment_ptr 1
		.amdhsa_user_sgpr_dispatch_id 0
		.amdhsa_user_sgpr_kernarg_preload_length 0
		.amdhsa_user_sgpr_kernarg_preload_offset 0
		.amdhsa_user_sgpr_private_segment_size 0
		.amdhsa_uses_dynamic_stack 0
		.amdhsa_enable_private_segment 0
		.amdhsa_system_sgpr_workgroup_id_x 1
		.amdhsa_system_sgpr_workgroup_id_y 0
		.amdhsa_system_sgpr_workgroup_id_z 0
		.amdhsa_system_sgpr_workgroup_info 0
		.amdhsa_system_vgpr_workitem_id 0
		.amdhsa_next_free_vgpr 1
		.amdhsa_next_free_sgpr 0
		.amdhsa_accum_offset 4
		.amdhsa_reserve_vcc 0
		.amdhsa_float_round_mode_32 0
		.amdhsa_float_round_mode_16_64 0
		.amdhsa_float_denorm_mode_32 3
		.amdhsa_float_denorm_mode_16_64 3
		.amdhsa_dx10_clamp 1
		.amdhsa_ieee_mode 1
		.amdhsa_fp16_overflow 0
		.amdhsa_tg_split 0
		.amdhsa_exception_fp_ieee_invalid_op 0
		.amdhsa_exception_fp_denorm_src 0
		.amdhsa_exception_fp_ieee_div_zero 0
		.amdhsa_exception_fp_ieee_overflow 0
		.amdhsa_exception_fp_ieee_underflow 0
		.amdhsa_exception_fp_ieee_inexact 0
		.amdhsa_exception_int_div_zero 0
	.end_amdhsa_kernel
	.section	.text._ZN7rocprim17ROCPRIM_400000_NS6detail17trampoline_kernelINS0_14default_configENS1_25transform_config_selectorIlLb0EEEZNS1_14transform_implILb0ES3_S5_NS0_18transform_iteratorINS0_17counting_iteratorImlEEZNS1_24adjacent_difference_implIS3_Lb1ELb0EPlSB_ZN2at6native12_GLOBAL__N_124unique_dim_cuda_templateIlEESt5tupleIJNSC_6TensorESH_SH_EERKSH_lbbbEUlllE1_EE10hipError_tPvRmT2_T3_mT4_P12ihipStream_tbEUlmE_lEESB_NS0_8identityIvEEEESM_SP_SQ_mSR_ST_bEUlT_E_NS1_11comp_targetILNS1_3genE10ELNS1_11target_archE1201ELNS1_3gpuE5ELNS1_3repE0EEENS1_30default_config_static_selectorELNS0_4arch9wavefront6targetE1EEEvT1_,"axG",@progbits,_ZN7rocprim17ROCPRIM_400000_NS6detail17trampoline_kernelINS0_14default_configENS1_25transform_config_selectorIlLb0EEEZNS1_14transform_implILb0ES3_S5_NS0_18transform_iteratorINS0_17counting_iteratorImlEEZNS1_24adjacent_difference_implIS3_Lb1ELb0EPlSB_ZN2at6native12_GLOBAL__N_124unique_dim_cuda_templateIlEESt5tupleIJNSC_6TensorESH_SH_EERKSH_lbbbEUlllE1_EE10hipError_tPvRmT2_T3_mT4_P12ihipStream_tbEUlmE_lEESB_NS0_8identityIvEEEESM_SP_SQ_mSR_ST_bEUlT_E_NS1_11comp_targetILNS1_3genE10ELNS1_11target_archE1201ELNS1_3gpuE5ELNS1_3repE0EEENS1_30default_config_static_selectorELNS0_4arch9wavefront6targetE1EEEvT1_,comdat
.Lfunc_end555:
	.size	_ZN7rocprim17ROCPRIM_400000_NS6detail17trampoline_kernelINS0_14default_configENS1_25transform_config_selectorIlLb0EEEZNS1_14transform_implILb0ES3_S5_NS0_18transform_iteratorINS0_17counting_iteratorImlEEZNS1_24adjacent_difference_implIS3_Lb1ELb0EPlSB_ZN2at6native12_GLOBAL__N_124unique_dim_cuda_templateIlEESt5tupleIJNSC_6TensorESH_SH_EERKSH_lbbbEUlllE1_EE10hipError_tPvRmT2_T3_mT4_P12ihipStream_tbEUlmE_lEESB_NS0_8identityIvEEEESM_SP_SQ_mSR_ST_bEUlT_E_NS1_11comp_targetILNS1_3genE10ELNS1_11target_archE1201ELNS1_3gpuE5ELNS1_3repE0EEENS1_30default_config_static_selectorELNS0_4arch9wavefront6targetE1EEEvT1_, .Lfunc_end555-_ZN7rocprim17ROCPRIM_400000_NS6detail17trampoline_kernelINS0_14default_configENS1_25transform_config_selectorIlLb0EEEZNS1_14transform_implILb0ES3_S5_NS0_18transform_iteratorINS0_17counting_iteratorImlEEZNS1_24adjacent_difference_implIS3_Lb1ELb0EPlSB_ZN2at6native12_GLOBAL__N_124unique_dim_cuda_templateIlEESt5tupleIJNSC_6TensorESH_SH_EERKSH_lbbbEUlllE1_EE10hipError_tPvRmT2_T3_mT4_P12ihipStream_tbEUlmE_lEESB_NS0_8identityIvEEEESM_SP_SQ_mSR_ST_bEUlT_E_NS1_11comp_targetILNS1_3genE10ELNS1_11target_archE1201ELNS1_3gpuE5ELNS1_3repE0EEENS1_30default_config_static_selectorELNS0_4arch9wavefront6targetE1EEEvT1_
                                        ; -- End function
	.section	.AMDGPU.csdata,"",@progbits
; Kernel info:
; codeLenInByte = 0
; NumSgprs: 6
; NumVgprs: 0
; NumAgprs: 0
; TotalNumVgprs: 0
; ScratchSize: 0
; MemoryBound: 0
; FloatMode: 240
; IeeeMode: 1
; LDSByteSize: 0 bytes/workgroup (compile time only)
; SGPRBlocks: 0
; VGPRBlocks: 0
; NumSGPRsForWavesPerEU: 6
; NumVGPRsForWavesPerEU: 1
; AccumOffset: 4
; Occupancy: 8
; WaveLimiterHint : 0
; COMPUTE_PGM_RSRC2:SCRATCH_EN: 0
; COMPUTE_PGM_RSRC2:USER_SGPR: 2
; COMPUTE_PGM_RSRC2:TRAP_HANDLER: 0
; COMPUTE_PGM_RSRC2:TGID_X_EN: 1
; COMPUTE_PGM_RSRC2:TGID_Y_EN: 0
; COMPUTE_PGM_RSRC2:TGID_Z_EN: 0
; COMPUTE_PGM_RSRC2:TIDIG_COMP_CNT: 0
; COMPUTE_PGM_RSRC3_GFX90A:ACCUM_OFFSET: 0
; COMPUTE_PGM_RSRC3_GFX90A:TG_SPLIT: 0
	.section	.text._ZN7rocprim17ROCPRIM_400000_NS6detail17trampoline_kernelINS0_14default_configENS1_25transform_config_selectorIlLb0EEEZNS1_14transform_implILb0ES3_S5_NS0_18transform_iteratorINS0_17counting_iteratorImlEEZNS1_24adjacent_difference_implIS3_Lb1ELb0EPlSB_ZN2at6native12_GLOBAL__N_124unique_dim_cuda_templateIlEESt5tupleIJNSC_6TensorESH_SH_EERKSH_lbbbEUlllE1_EE10hipError_tPvRmT2_T3_mT4_P12ihipStream_tbEUlmE_lEESB_NS0_8identityIvEEEESM_SP_SQ_mSR_ST_bEUlT_E_NS1_11comp_targetILNS1_3genE10ELNS1_11target_archE1200ELNS1_3gpuE4ELNS1_3repE0EEENS1_30default_config_static_selectorELNS0_4arch9wavefront6targetE1EEEvT1_,"axG",@progbits,_ZN7rocprim17ROCPRIM_400000_NS6detail17trampoline_kernelINS0_14default_configENS1_25transform_config_selectorIlLb0EEEZNS1_14transform_implILb0ES3_S5_NS0_18transform_iteratorINS0_17counting_iteratorImlEEZNS1_24adjacent_difference_implIS3_Lb1ELb0EPlSB_ZN2at6native12_GLOBAL__N_124unique_dim_cuda_templateIlEESt5tupleIJNSC_6TensorESH_SH_EERKSH_lbbbEUlllE1_EE10hipError_tPvRmT2_T3_mT4_P12ihipStream_tbEUlmE_lEESB_NS0_8identityIvEEEESM_SP_SQ_mSR_ST_bEUlT_E_NS1_11comp_targetILNS1_3genE10ELNS1_11target_archE1200ELNS1_3gpuE4ELNS1_3repE0EEENS1_30default_config_static_selectorELNS0_4arch9wavefront6targetE1EEEvT1_,comdat
	.globl	_ZN7rocprim17ROCPRIM_400000_NS6detail17trampoline_kernelINS0_14default_configENS1_25transform_config_selectorIlLb0EEEZNS1_14transform_implILb0ES3_S5_NS0_18transform_iteratorINS0_17counting_iteratorImlEEZNS1_24adjacent_difference_implIS3_Lb1ELb0EPlSB_ZN2at6native12_GLOBAL__N_124unique_dim_cuda_templateIlEESt5tupleIJNSC_6TensorESH_SH_EERKSH_lbbbEUlllE1_EE10hipError_tPvRmT2_T3_mT4_P12ihipStream_tbEUlmE_lEESB_NS0_8identityIvEEEESM_SP_SQ_mSR_ST_bEUlT_E_NS1_11comp_targetILNS1_3genE10ELNS1_11target_archE1200ELNS1_3gpuE4ELNS1_3repE0EEENS1_30default_config_static_selectorELNS0_4arch9wavefront6targetE1EEEvT1_ ; -- Begin function _ZN7rocprim17ROCPRIM_400000_NS6detail17trampoline_kernelINS0_14default_configENS1_25transform_config_selectorIlLb0EEEZNS1_14transform_implILb0ES3_S5_NS0_18transform_iteratorINS0_17counting_iteratorImlEEZNS1_24adjacent_difference_implIS3_Lb1ELb0EPlSB_ZN2at6native12_GLOBAL__N_124unique_dim_cuda_templateIlEESt5tupleIJNSC_6TensorESH_SH_EERKSH_lbbbEUlllE1_EE10hipError_tPvRmT2_T3_mT4_P12ihipStream_tbEUlmE_lEESB_NS0_8identityIvEEEESM_SP_SQ_mSR_ST_bEUlT_E_NS1_11comp_targetILNS1_3genE10ELNS1_11target_archE1200ELNS1_3gpuE4ELNS1_3repE0EEENS1_30default_config_static_selectorELNS0_4arch9wavefront6targetE1EEEvT1_
	.p2align	8
	.type	_ZN7rocprim17ROCPRIM_400000_NS6detail17trampoline_kernelINS0_14default_configENS1_25transform_config_selectorIlLb0EEEZNS1_14transform_implILb0ES3_S5_NS0_18transform_iteratorINS0_17counting_iteratorImlEEZNS1_24adjacent_difference_implIS3_Lb1ELb0EPlSB_ZN2at6native12_GLOBAL__N_124unique_dim_cuda_templateIlEESt5tupleIJNSC_6TensorESH_SH_EERKSH_lbbbEUlllE1_EE10hipError_tPvRmT2_T3_mT4_P12ihipStream_tbEUlmE_lEESB_NS0_8identityIvEEEESM_SP_SQ_mSR_ST_bEUlT_E_NS1_11comp_targetILNS1_3genE10ELNS1_11target_archE1200ELNS1_3gpuE4ELNS1_3repE0EEENS1_30default_config_static_selectorELNS0_4arch9wavefront6targetE1EEEvT1_,@function
_ZN7rocprim17ROCPRIM_400000_NS6detail17trampoline_kernelINS0_14default_configENS1_25transform_config_selectorIlLb0EEEZNS1_14transform_implILb0ES3_S5_NS0_18transform_iteratorINS0_17counting_iteratorImlEEZNS1_24adjacent_difference_implIS3_Lb1ELb0EPlSB_ZN2at6native12_GLOBAL__N_124unique_dim_cuda_templateIlEESt5tupleIJNSC_6TensorESH_SH_EERKSH_lbbbEUlllE1_EE10hipError_tPvRmT2_T3_mT4_P12ihipStream_tbEUlmE_lEESB_NS0_8identityIvEEEESM_SP_SQ_mSR_ST_bEUlT_E_NS1_11comp_targetILNS1_3genE10ELNS1_11target_archE1200ELNS1_3gpuE4ELNS1_3repE0EEENS1_30default_config_static_selectorELNS0_4arch9wavefront6targetE1EEEvT1_: ; @_ZN7rocprim17ROCPRIM_400000_NS6detail17trampoline_kernelINS0_14default_configENS1_25transform_config_selectorIlLb0EEEZNS1_14transform_implILb0ES3_S5_NS0_18transform_iteratorINS0_17counting_iteratorImlEEZNS1_24adjacent_difference_implIS3_Lb1ELb0EPlSB_ZN2at6native12_GLOBAL__N_124unique_dim_cuda_templateIlEESt5tupleIJNSC_6TensorESH_SH_EERKSH_lbbbEUlllE1_EE10hipError_tPvRmT2_T3_mT4_P12ihipStream_tbEUlmE_lEESB_NS0_8identityIvEEEESM_SP_SQ_mSR_ST_bEUlT_E_NS1_11comp_targetILNS1_3genE10ELNS1_11target_archE1200ELNS1_3gpuE4ELNS1_3repE0EEENS1_30default_config_static_selectorELNS0_4arch9wavefront6targetE1EEEvT1_
; %bb.0:
	.section	.rodata,"a",@progbits
	.p2align	6, 0x0
	.amdhsa_kernel _ZN7rocprim17ROCPRIM_400000_NS6detail17trampoline_kernelINS0_14default_configENS1_25transform_config_selectorIlLb0EEEZNS1_14transform_implILb0ES3_S5_NS0_18transform_iteratorINS0_17counting_iteratorImlEEZNS1_24adjacent_difference_implIS3_Lb1ELb0EPlSB_ZN2at6native12_GLOBAL__N_124unique_dim_cuda_templateIlEESt5tupleIJNSC_6TensorESH_SH_EERKSH_lbbbEUlllE1_EE10hipError_tPvRmT2_T3_mT4_P12ihipStream_tbEUlmE_lEESB_NS0_8identityIvEEEESM_SP_SQ_mSR_ST_bEUlT_E_NS1_11comp_targetILNS1_3genE10ELNS1_11target_archE1200ELNS1_3gpuE4ELNS1_3repE0EEENS1_30default_config_static_selectorELNS0_4arch9wavefront6targetE1EEEvT1_
		.amdhsa_group_segment_fixed_size 0
		.amdhsa_private_segment_fixed_size 0
		.amdhsa_kernarg_size 56
		.amdhsa_user_sgpr_count 2
		.amdhsa_user_sgpr_dispatch_ptr 0
		.amdhsa_user_sgpr_queue_ptr 0
		.amdhsa_user_sgpr_kernarg_segment_ptr 1
		.amdhsa_user_sgpr_dispatch_id 0
		.amdhsa_user_sgpr_kernarg_preload_length 0
		.amdhsa_user_sgpr_kernarg_preload_offset 0
		.amdhsa_user_sgpr_private_segment_size 0
		.amdhsa_uses_dynamic_stack 0
		.amdhsa_enable_private_segment 0
		.amdhsa_system_sgpr_workgroup_id_x 1
		.amdhsa_system_sgpr_workgroup_id_y 0
		.amdhsa_system_sgpr_workgroup_id_z 0
		.amdhsa_system_sgpr_workgroup_info 0
		.amdhsa_system_vgpr_workitem_id 0
		.amdhsa_next_free_vgpr 1
		.amdhsa_next_free_sgpr 0
		.amdhsa_accum_offset 4
		.amdhsa_reserve_vcc 0
		.amdhsa_float_round_mode_32 0
		.amdhsa_float_round_mode_16_64 0
		.amdhsa_float_denorm_mode_32 3
		.amdhsa_float_denorm_mode_16_64 3
		.amdhsa_dx10_clamp 1
		.amdhsa_ieee_mode 1
		.amdhsa_fp16_overflow 0
		.amdhsa_tg_split 0
		.amdhsa_exception_fp_ieee_invalid_op 0
		.amdhsa_exception_fp_denorm_src 0
		.amdhsa_exception_fp_ieee_div_zero 0
		.amdhsa_exception_fp_ieee_overflow 0
		.amdhsa_exception_fp_ieee_underflow 0
		.amdhsa_exception_fp_ieee_inexact 0
		.amdhsa_exception_int_div_zero 0
	.end_amdhsa_kernel
	.section	.text._ZN7rocprim17ROCPRIM_400000_NS6detail17trampoline_kernelINS0_14default_configENS1_25transform_config_selectorIlLb0EEEZNS1_14transform_implILb0ES3_S5_NS0_18transform_iteratorINS0_17counting_iteratorImlEEZNS1_24adjacent_difference_implIS3_Lb1ELb0EPlSB_ZN2at6native12_GLOBAL__N_124unique_dim_cuda_templateIlEESt5tupleIJNSC_6TensorESH_SH_EERKSH_lbbbEUlllE1_EE10hipError_tPvRmT2_T3_mT4_P12ihipStream_tbEUlmE_lEESB_NS0_8identityIvEEEESM_SP_SQ_mSR_ST_bEUlT_E_NS1_11comp_targetILNS1_3genE10ELNS1_11target_archE1200ELNS1_3gpuE4ELNS1_3repE0EEENS1_30default_config_static_selectorELNS0_4arch9wavefront6targetE1EEEvT1_,"axG",@progbits,_ZN7rocprim17ROCPRIM_400000_NS6detail17trampoline_kernelINS0_14default_configENS1_25transform_config_selectorIlLb0EEEZNS1_14transform_implILb0ES3_S5_NS0_18transform_iteratorINS0_17counting_iteratorImlEEZNS1_24adjacent_difference_implIS3_Lb1ELb0EPlSB_ZN2at6native12_GLOBAL__N_124unique_dim_cuda_templateIlEESt5tupleIJNSC_6TensorESH_SH_EERKSH_lbbbEUlllE1_EE10hipError_tPvRmT2_T3_mT4_P12ihipStream_tbEUlmE_lEESB_NS0_8identityIvEEEESM_SP_SQ_mSR_ST_bEUlT_E_NS1_11comp_targetILNS1_3genE10ELNS1_11target_archE1200ELNS1_3gpuE4ELNS1_3repE0EEENS1_30default_config_static_selectorELNS0_4arch9wavefront6targetE1EEEvT1_,comdat
.Lfunc_end556:
	.size	_ZN7rocprim17ROCPRIM_400000_NS6detail17trampoline_kernelINS0_14default_configENS1_25transform_config_selectorIlLb0EEEZNS1_14transform_implILb0ES3_S5_NS0_18transform_iteratorINS0_17counting_iteratorImlEEZNS1_24adjacent_difference_implIS3_Lb1ELb0EPlSB_ZN2at6native12_GLOBAL__N_124unique_dim_cuda_templateIlEESt5tupleIJNSC_6TensorESH_SH_EERKSH_lbbbEUlllE1_EE10hipError_tPvRmT2_T3_mT4_P12ihipStream_tbEUlmE_lEESB_NS0_8identityIvEEEESM_SP_SQ_mSR_ST_bEUlT_E_NS1_11comp_targetILNS1_3genE10ELNS1_11target_archE1200ELNS1_3gpuE4ELNS1_3repE0EEENS1_30default_config_static_selectorELNS0_4arch9wavefront6targetE1EEEvT1_, .Lfunc_end556-_ZN7rocprim17ROCPRIM_400000_NS6detail17trampoline_kernelINS0_14default_configENS1_25transform_config_selectorIlLb0EEEZNS1_14transform_implILb0ES3_S5_NS0_18transform_iteratorINS0_17counting_iteratorImlEEZNS1_24adjacent_difference_implIS3_Lb1ELb0EPlSB_ZN2at6native12_GLOBAL__N_124unique_dim_cuda_templateIlEESt5tupleIJNSC_6TensorESH_SH_EERKSH_lbbbEUlllE1_EE10hipError_tPvRmT2_T3_mT4_P12ihipStream_tbEUlmE_lEESB_NS0_8identityIvEEEESM_SP_SQ_mSR_ST_bEUlT_E_NS1_11comp_targetILNS1_3genE10ELNS1_11target_archE1200ELNS1_3gpuE4ELNS1_3repE0EEENS1_30default_config_static_selectorELNS0_4arch9wavefront6targetE1EEEvT1_
                                        ; -- End function
	.section	.AMDGPU.csdata,"",@progbits
; Kernel info:
; codeLenInByte = 0
; NumSgprs: 6
; NumVgprs: 0
; NumAgprs: 0
; TotalNumVgprs: 0
; ScratchSize: 0
; MemoryBound: 0
; FloatMode: 240
; IeeeMode: 1
; LDSByteSize: 0 bytes/workgroup (compile time only)
; SGPRBlocks: 0
; VGPRBlocks: 0
; NumSGPRsForWavesPerEU: 6
; NumVGPRsForWavesPerEU: 1
; AccumOffset: 4
; Occupancy: 8
; WaveLimiterHint : 0
; COMPUTE_PGM_RSRC2:SCRATCH_EN: 0
; COMPUTE_PGM_RSRC2:USER_SGPR: 2
; COMPUTE_PGM_RSRC2:TRAP_HANDLER: 0
; COMPUTE_PGM_RSRC2:TGID_X_EN: 1
; COMPUTE_PGM_RSRC2:TGID_Y_EN: 0
; COMPUTE_PGM_RSRC2:TGID_Z_EN: 0
; COMPUTE_PGM_RSRC2:TIDIG_COMP_CNT: 0
; COMPUTE_PGM_RSRC3_GFX90A:ACCUM_OFFSET: 0
; COMPUTE_PGM_RSRC3_GFX90A:TG_SPLIT: 0
	.section	.text._ZN7rocprim17ROCPRIM_400000_NS6detail17trampoline_kernelINS0_14default_configENS1_25transform_config_selectorIlLb0EEEZNS1_14transform_implILb0ES3_S5_NS0_18transform_iteratorINS0_17counting_iteratorImlEEZNS1_24adjacent_difference_implIS3_Lb1ELb0EPlSB_ZN2at6native12_GLOBAL__N_124unique_dim_cuda_templateIlEESt5tupleIJNSC_6TensorESH_SH_EERKSH_lbbbEUlllE1_EE10hipError_tPvRmT2_T3_mT4_P12ihipStream_tbEUlmE_lEESB_NS0_8identityIvEEEESM_SP_SQ_mSR_ST_bEUlT_E_NS1_11comp_targetILNS1_3genE9ELNS1_11target_archE1100ELNS1_3gpuE3ELNS1_3repE0EEENS1_30default_config_static_selectorELNS0_4arch9wavefront6targetE1EEEvT1_,"axG",@progbits,_ZN7rocprim17ROCPRIM_400000_NS6detail17trampoline_kernelINS0_14default_configENS1_25transform_config_selectorIlLb0EEEZNS1_14transform_implILb0ES3_S5_NS0_18transform_iteratorINS0_17counting_iteratorImlEEZNS1_24adjacent_difference_implIS3_Lb1ELb0EPlSB_ZN2at6native12_GLOBAL__N_124unique_dim_cuda_templateIlEESt5tupleIJNSC_6TensorESH_SH_EERKSH_lbbbEUlllE1_EE10hipError_tPvRmT2_T3_mT4_P12ihipStream_tbEUlmE_lEESB_NS0_8identityIvEEEESM_SP_SQ_mSR_ST_bEUlT_E_NS1_11comp_targetILNS1_3genE9ELNS1_11target_archE1100ELNS1_3gpuE3ELNS1_3repE0EEENS1_30default_config_static_selectorELNS0_4arch9wavefront6targetE1EEEvT1_,comdat
	.globl	_ZN7rocprim17ROCPRIM_400000_NS6detail17trampoline_kernelINS0_14default_configENS1_25transform_config_selectorIlLb0EEEZNS1_14transform_implILb0ES3_S5_NS0_18transform_iteratorINS0_17counting_iteratorImlEEZNS1_24adjacent_difference_implIS3_Lb1ELb0EPlSB_ZN2at6native12_GLOBAL__N_124unique_dim_cuda_templateIlEESt5tupleIJNSC_6TensorESH_SH_EERKSH_lbbbEUlllE1_EE10hipError_tPvRmT2_T3_mT4_P12ihipStream_tbEUlmE_lEESB_NS0_8identityIvEEEESM_SP_SQ_mSR_ST_bEUlT_E_NS1_11comp_targetILNS1_3genE9ELNS1_11target_archE1100ELNS1_3gpuE3ELNS1_3repE0EEENS1_30default_config_static_selectorELNS0_4arch9wavefront6targetE1EEEvT1_ ; -- Begin function _ZN7rocprim17ROCPRIM_400000_NS6detail17trampoline_kernelINS0_14default_configENS1_25transform_config_selectorIlLb0EEEZNS1_14transform_implILb0ES3_S5_NS0_18transform_iteratorINS0_17counting_iteratorImlEEZNS1_24adjacent_difference_implIS3_Lb1ELb0EPlSB_ZN2at6native12_GLOBAL__N_124unique_dim_cuda_templateIlEESt5tupleIJNSC_6TensorESH_SH_EERKSH_lbbbEUlllE1_EE10hipError_tPvRmT2_T3_mT4_P12ihipStream_tbEUlmE_lEESB_NS0_8identityIvEEEESM_SP_SQ_mSR_ST_bEUlT_E_NS1_11comp_targetILNS1_3genE9ELNS1_11target_archE1100ELNS1_3gpuE3ELNS1_3repE0EEENS1_30default_config_static_selectorELNS0_4arch9wavefront6targetE1EEEvT1_
	.p2align	8
	.type	_ZN7rocprim17ROCPRIM_400000_NS6detail17trampoline_kernelINS0_14default_configENS1_25transform_config_selectorIlLb0EEEZNS1_14transform_implILb0ES3_S5_NS0_18transform_iteratorINS0_17counting_iteratorImlEEZNS1_24adjacent_difference_implIS3_Lb1ELb0EPlSB_ZN2at6native12_GLOBAL__N_124unique_dim_cuda_templateIlEESt5tupleIJNSC_6TensorESH_SH_EERKSH_lbbbEUlllE1_EE10hipError_tPvRmT2_T3_mT4_P12ihipStream_tbEUlmE_lEESB_NS0_8identityIvEEEESM_SP_SQ_mSR_ST_bEUlT_E_NS1_11comp_targetILNS1_3genE9ELNS1_11target_archE1100ELNS1_3gpuE3ELNS1_3repE0EEENS1_30default_config_static_selectorELNS0_4arch9wavefront6targetE1EEEvT1_,@function
_ZN7rocprim17ROCPRIM_400000_NS6detail17trampoline_kernelINS0_14default_configENS1_25transform_config_selectorIlLb0EEEZNS1_14transform_implILb0ES3_S5_NS0_18transform_iteratorINS0_17counting_iteratorImlEEZNS1_24adjacent_difference_implIS3_Lb1ELb0EPlSB_ZN2at6native12_GLOBAL__N_124unique_dim_cuda_templateIlEESt5tupleIJNSC_6TensorESH_SH_EERKSH_lbbbEUlllE1_EE10hipError_tPvRmT2_T3_mT4_P12ihipStream_tbEUlmE_lEESB_NS0_8identityIvEEEESM_SP_SQ_mSR_ST_bEUlT_E_NS1_11comp_targetILNS1_3genE9ELNS1_11target_archE1100ELNS1_3gpuE3ELNS1_3repE0EEENS1_30default_config_static_selectorELNS0_4arch9wavefront6targetE1EEEvT1_: ; @_ZN7rocprim17ROCPRIM_400000_NS6detail17trampoline_kernelINS0_14default_configENS1_25transform_config_selectorIlLb0EEEZNS1_14transform_implILb0ES3_S5_NS0_18transform_iteratorINS0_17counting_iteratorImlEEZNS1_24adjacent_difference_implIS3_Lb1ELb0EPlSB_ZN2at6native12_GLOBAL__N_124unique_dim_cuda_templateIlEESt5tupleIJNSC_6TensorESH_SH_EERKSH_lbbbEUlllE1_EE10hipError_tPvRmT2_T3_mT4_P12ihipStream_tbEUlmE_lEESB_NS0_8identityIvEEEESM_SP_SQ_mSR_ST_bEUlT_E_NS1_11comp_targetILNS1_3genE9ELNS1_11target_archE1100ELNS1_3gpuE3ELNS1_3repE0EEENS1_30default_config_static_selectorELNS0_4arch9wavefront6targetE1EEEvT1_
; %bb.0:
	.section	.rodata,"a",@progbits
	.p2align	6, 0x0
	.amdhsa_kernel _ZN7rocprim17ROCPRIM_400000_NS6detail17trampoline_kernelINS0_14default_configENS1_25transform_config_selectorIlLb0EEEZNS1_14transform_implILb0ES3_S5_NS0_18transform_iteratorINS0_17counting_iteratorImlEEZNS1_24adjacent_difference_implIS3_Lb1ELb0EPlSB_ZN2at6native12_GLOBAL__N_124unique_dim_cuda_templateIlEESt5tupleIJNSC_6TensorESH_SH_EERKSH_lbbbEUlllE1_EE10hipError_tPvRmT2_T3_mT4_P12ihipStream_tbEUlmE_lEESB_NS0_8identityIvEEEESM_SP_SQ_mSR_ST_bEUlT_E_NS1_11comp_targetILNS1_3genE9ELNS1_11target_archE1100ELNS1_3gpuE3ELNS1_3repE0EEENS1_30default_config_static_selectorELNS0_4arch9wavefront6targetE1EEEvT1_
		.amdhsa_group_segment_fixed_size 0
		.amdhsa_private_segment_fixed_size 0
		.amdhsa_kernarg_size 56
		.amdhsa_user_sgpr_count 2
		.amdhsa_user_sgpr_dispatch_ptr 0
		.amdhsa_user_sgpr_queue_ptr 0
		.amdhsa_user_sgpr_kernarg_segment_ptr 1
		.amdhsa_user_sgpr_dispatch_id 0
		.amdhsa_user_sgpr_kernarg_preload_length 0
		.amdhsa_user_sgpr_kernarg_preload_offset 0
		.amdhsa_user_sgpr_private_segment_size 0
		.amdhsa_uses_dynamic_stack 0
		.amdhsa_enable_private_segment 0
		.amdhsa_system_sgpr_workgroup_id_x 1
		.amdhsa_system_sgpr_workgroup_id_y 0
		.amdhsa_system_sgpr_workgroup_id_z 0
		.amdhsa_system_sgpr_workgroup_info 0
		.amdhsa_system_vgpr_workitem_id 0
		.amdhsa_next_free_vgpr 1
		.amdhsa_next_free_sgpr 0
		.amdhsa_accum_offset 4
		.amdhsa_reserve_vcc 0
		.amdhsa_float_round_mode_32 0
		.amdhsa_float_round_mode_16_64 0
		.amdhsa_float_denorm_mode_32 3
		.amdhsa_float_denorm_mode_16_64 3
		.amdhsa_dx10_clamp 1
		.amdhsa_ieee_mode 1
		.amdhsa_fp16_overflow 0
		.amdhsa_tg_split 0
		.amdhsa_exception_fp_ieee_invalid_op 0
		.amdhsa_exception_fp_denorm_src 0
		.amdhsa_exception_fp_ieee_div_zero 0
		.amdhsa_exception_fp_ieee_overflow 0
		.amdhsa_exception_fp_ieee_underflow 0
		.amdhsa_exception_fp_ieee_inexact 0
		.amdhsa_exception_int_div_zero 0
	.end_amdhsa_kernel
	.section	.text._ZN7rocprim17ROCPRIM_400000_NS6detail17trampoline_kernelINS0_14default_configENS1_25transform_config_selectorIlLb0EEEZNS1_14transform_implILb0ES3_S5_NS0_18transform_iteratorINS0_17counting_iteratorImlEEZNS1_24adjacent_difference_implIS3_Lb1ELb0EPlSB_ZN2at6native12_GLOBAL__N_124unique_dim_cuda_templateIlEESt5tupleIJNSC_6TensorESH_SH_EERKSH_lbbbEUlllE1_EE10hipError_tPvRmT2_T3_mT4_P12ihipStream_tbEUlmE_lEESB_NS0_8identityIvEEEESM_SP_SQ_mSR_ST_bEUlT_E_NS1_11comp_targetILNS1_3genE9ELNS1_11target_archE1100ELNS1_3gpuE3ELNS1_3repE0EEENS1_30default_config_static_selectorELNS0_4arch9wavefront6targetE1EEEvT1_,"axG",@progbits,_ZN7rocprim17ROCPRIM_400000_NS6detail17trampoline_kernelINS0_14default_configENS1_25transform_config_selectorIlLb0EEEZNS1_14transform_implILb0ES3_S5_NS0_18transform_iteratorINS0_17counting_iteratorImlEEZNS1_24adjacent_difference_implIS3_Lb1ELb0EPlSB_ZN2at6native12_GLOBAL__N_124unique_dim_cuda_templateIlEESt5tupleIJNSC_6TensorESH_SH_EERKSH_lbbbEUlllE1_EE10hipError_tPvRmT2_T3_mT4_P12ihipStream_tbEUlmE_lEESB_NS0_8identityIvEEEESM_SP_SQ_mSR_ST_bEUlT_E_NS1_11comp_targetILNS1_3genE9ELNS1_11target_archE1100ELNS1_3gpuE3ELNS1_3repE0EEENS1_30default_config_static_selectorELNS0_4arch9wavefront6targetE1EEEvT1_,comdat
.Lfunc_end557:
	.size	_ZN7rocprim17ROCPRIM_400000_NS6detail17trampoline_kernelINS0_14default_configENS1_25transform_config_selectorIlLb0EEEZNS1_14transform_implILb0ES3_S5_NS0_18transform_iteratorINS0_17counting_iteratorImlEEZNS1_24adjacent_difference_implIS3_Lb1ELb0EPlSB_ZN2at6native12_GLOBAL__N_124unique_dim_cuda_templateIlEESt5tupleIJNSC_6TensorESH_SH_EERKSH_lbbbEUlllE1_EE10hipError_tPvRmT2_T3_mT4_P12ihipStream_tbEUlmE_lEESB_NS0_8identityIvEEEESM_SP_SQ_mSR_ST_bEUlT_E_NS1_11comp_targetILNS1_3genE9ELNS1_11target_archE1100ELNS1_3gpuE3ELNS1_3repE0EEENS1_30default_config_static_selectorELNS0_4arch9wavefront6targetE1EEEvT1_, .Lfunc_end557-_ZN7rocprim17ROCPRIM_400000_NS6detail17trampoline_kernelINS0_14default_configENS1_25transform_config_selectorIlLb0EEEZNS1_14transform_implILb0ES3_S5_NS0_18transform_iteratorINS0_17counting_iteratorImlEEZNS1_24adjacent_difference_implIS3_Lb1ELb0EPlSB_ZN2at6native12_GLOBAL__N_124unique_dim_cuda_templateIlEESt5tupleIJNSC_6TensorESH_SH_EERKSH_lbbbEUlllE1_EE10hipError_tPvRmT2_T3_mT4_P12ihipStream_tbEUlmE_lEESB_NS0_8identityIvEEEESM_SP_SQ_mSR_ST_bEUlT_E_NS1_11comp_targetILNS1_3genE9ELNS1_11target_archE1100ELNS1_3gpuE3ELNS1_3repE0EEENS1_30default_config_static_selectorELNS0_4arch9wavefront6targetE1EEEvT1_
                                        ; -- End function
	.section	.AMDGPU.csdata,"",@progbits
; Kernel info:
; codeLenInByte = 0
; NumSgprs: 6
; NumVgprs: 0
; NumAgprs: 0
; TotalNumVgprs: 0
; ScratchSize: 0
; MemoryBound: 0
; FloatMode: 240
; IeeeMode: 1
; LDSByteSize: 0 bytes/workgroup (compile time only)
; SGPRBlocks: 0
; VGPRBlocks: 0
; NumSGPRsForWavesPerEU: 6
; NumVGPRsForWavesPerEU: 1
; AccumOffset: 4
; Occupancy: 8
; WaveLimiterHint : 0
; COMPUTE_PGM_RSRC2:SCRATCH_EN: 0
; COMPUTE_PGM_RSRC2:USER_SGPR: 2
; COMPUTE_PGM_RSRC2:TRAP_HANDLER: 0
; COMPUTE_PGM_RSRC2:TGID_X_EN: 1
; COMPUTE_PGM_RSRC2:TGID_Y_EN: 0
; COMPUTE_PGM_RSRC2:TGID_Z_EN: 0
; COMPUTE_PGM_RSRC2:TIDIG_COMP_CNT: 0
; COMPUTE_PGM_RSRC3_GFX90A:ACCUM_OFFSET: 0
; COMPUTE_PGM_RSRC3_GFX90A:TG_SPLIT: 0
	.section	.text._ZN7rocprim17ROCPRIM_400000_NS6detail17trampoline_kernelINS0_14default_configENS1_25transform_config_selectorIlLb0EEEZNS1_14transform_implILb0ES3_S5_NS0_18transform_iteratorINS0_17counting_iteratorImlEEZNS1_24adjacent_difference_implIS3_Lb1ELb0EPlSB_ZN2at6native12_GLOBAL__N_124unique_dim_cuda_templateIlEESt5tupleIJNSC_6TensorESH_SH_EERKSH_lbbbEUlllE1_EE10hipError_tPvRmT2_T3_mT4_P12ihipStream_tbEUlmE_lEESB_NS0_8identityIvEEEESM_SP_SQ_mSR_ST_bEUlT_E_NS1_11comp_targetILNS1_3genE8ELNS1_11target_archE1030ELNS1_3gpuE2ELNS1_3repE0EEENS1_30default_config_static_selectorELNS0_4arch9wavefront6targetE1EEEvT1_,"axG",@progbits,_ZN7rocprim17ROCPRIM_400000_NS6detail17trampoline_kernelINS0_14default_configENS1_25transform_config_selectorIlLb0EEEZNS1_14transform_implILb0ES3_S5_NS0_18transform_iteratorINS0_17counting_iteratorImlEEZNS1_24adjacent_difference_implIS3_Lb1ELb0EPlSB_ZN2at6native12_GLOBAL__N_124unique_dim_cuda_templateIlEESt5tupleIJNSC_6TensorESH_SH_EERKSH_lbbbEUlllE1_EE10hipError_tPvRmT2_T3_mT4_P12ihipStream_tbEUlmE_lEESB_NS0_8identityIvEEEESM_SP_SQ_mSR_ST_bEUlT_E_NS1_11comp_targetILNS1_3genE8ELNS1_11target_archE1030ELNS1_3gpuE2ELNS1_3repE0EEENS1_30default_config_static_selectorELNS0_4arch9wavefront6targetE1EEEvT1_,comdat
	.globl	_ZN7rocprim17ROCPRIM_400000_NS6detail17trampoline_kernelINS0_14default_configENS1_25transform_config_selectorIlLb0EEEZNS1_14transform_implILb0ES3_S5_NS0_18transform_iteratorINS0_17counting_iteratorImlEEZNS1_24adjacent_difference_implIS3_Lb1ELb0EPlSB_ZN2at6native12_GLOBAL__N_124unique_dim_cuda_templateIlEESt5tupleIJNSC_6TensorESH_SH_EERKSH_lbbbEUlllE1_EE10hipError_tPvRmT2_T3_mT4_P12ihipStream_tbEUlmE_lEESB_NS0_8identityIvEEEESM_SP_SQ_mSR_ST_bEUlT_E_NS1_11comp_targetILNS1_3genE8ELNS1_11target_archE1030ELNS1_3gpuE2ELNS1_3repE0EEENS1_30default_config_static_selectorELNS0_4arch9wavefront6targetE1EEEvT1_ ; -- Begin function _ZN7rocprim17ROCPRIM_400000_NS6detail17trampoline_kernelINS0_14default_configENS1_25transform_config_selectorIlLb0EEEZNS1_14transform_implILb0ES3_S5_NS0_18transform_iteratorINS0_17counting_iteratorImlEEZNS1_24adjacent_difference_implIS3_Lb1ELb0EPlSB_ZN2at6native12_GLOBAL__N_124unique_dim_cuda_templateIlEESt5tupleIJNSC_6TensorESH_SH_EERKSH_lbbbEUlllE1_EE10hipError_tPvRmT2_T3_mT4_P12ihipStream_tbEUlmE_lEESB_NS0_8identityIvEEEESM_SP_SQ_mSR_ST_bEUlT_E_NS1_11comp_targetILNS1_3genE8ELNS1_11target_archE1030ELNS1_3gpuE2ELNS1_3repE0EEENS1_30default_config_static_selectorELNS0_4arch9wavefront6targetE1EEEvT1_
	.p2align	8
	.type	_ZN7rocprim17ROCPRIM_400000_NS6detail17trampoline_kernelINS0_14default_configENS1_25transform_config_selectorIlLb0EEEZNS1_14transform_implILb0ES3_S5_NS0_18transform_iteratorINS0_17counting_iteratorImlEEZNS1_24adjacent_difference_implIS3_Lb1ELb0EPlSB_ZN2at6native12_GLOBAL__N_124unique_dim_cuda_templateIlEESt5tupleIJNSC_6TensorESH_SH_EERKSH_lbbbEUlllE1_EE10hipError_tPvRmT2_T3_mT4_P12ihipStream_tbEUlmE_lEESB_NS0_8identityIvEEEESM_SP_SQ_mSR_ST_bEUlT_E_NS1_11comp_targetILNS1_3genE8ELNS1_11target_archE1030ELNS1_3gpuE2ELNS1_3repE0EEENS1_30default_config_static_selectorELNS0_4arch9wavefront6targetE1EEEvT1_,@function
_ZN7rocprim17ROCPRIM_400000_NS6detail17trampoline_kernelINS0_14default_configENS1_25transform_config_selectorIlLb0EEEZNS1_14transform_implILb0ES3_S5_NS0_18transform_iteratorINS0_17counting_iteratorImlEEZNS1_24adjacent_difference_implIS3_Lb1ELb0EPlSB_ZN2at6native12_GLOBAL__N_124unique_dim_cuda_templateIlEESt5tupleIJNSC_6TensorESH_SH_EERKSH_lbbbEUlllE1_EE10hipError_tPvRmT2_T3_mT4_P12ihipStream_tbEUlmE_lEESB_NS0_8identityIvEEEESM_SP_SQ_mSR_ST_bEUlT_E_NS1_11comp_targetILNS1_3genE8ELNS1_11target_archE1030ELNS1_3gpuE2ELNS1_3repE0EEENS1_30default_config_static_selectorELNS0_4arch9wavefront6targetE1EEEvT1_: ; @_ZN7rocprim17ROCPRIM_400000_NS6detail17trampoline_kernelINS0_14default_configENS1_25transform_config_selectorIlLb0EEEZNS1_14transform_implILb0ES3_S5_NS0_18transform_iteratorINS0_17counting_iteratorImlEEZNS1_24adjacent_difference_implIS3_Lb1ELb0EPlSB_ZN2at6native12_GLOBAL__N_124unique_dim_cuda_templateIlEESt5tupleIJNSC_6TensorESH_SH_EERKSH_lbbbEUlllE1_EE10hipError_tPvRmT2_T3_mT4_P12ihipStream_tbEUlmE_lEESB_NS0_8identityIvEEEESM_SP_SQ_mSR_ST_bEUlT_E_NS1_11comp_targetILNS1_3genE8ELNS1_11target_archE1030ELNS1_3gpuE2ELNS1_3repE0EEENS1_30default_config_static_selectorELNS0_4arch9wavefront6targetE1EEEvT1_
; %bb.0:
	.section	.rodata,"a",@progbits
	.p2align	6, 0x0
	.amdhsa_kernel _ZN7rocprim17ROCPRIM_400000_NS6detail17trampoline_kernelINS0_14default_configENS1_25transform_config_selectorIlLb0EEEZNS1_14transform_implILb0ES3_S5_NS0_18transform_iteratorINS0_17counting_iteratorImlEEZNS1_24adjacent_difference_implIS3_Lb1ELb0EPlSB_ZN2at6native12_GLOBAL__N_124unique_dim_cuda_templateIlEESt5tupleIJNSC_6TensorESH_SH_EERKSH_lbbbEUlllE1_EE10hipError_tPvRmT2_T3_mT4_P12ihipStream_tbEUlmE_lEESB_NS0_8identityIvEEEESM_SP_SQ_mSR_ST_bEUlT_E_NS1_11comp_targetILNS1_3genE8ELNS1_11target_archE1030ELNS1_3gpuE2ELNS1_3repE0EEENS1_30default_config_static_selectorELNS0_4arch9wavefront6targetE1EEEvT1_
		.amdhsa_group_segment_fixed_size 0
		.amdhsa_private_segment_fixed_size 0
		.amdhsa_kernarg_size 56
		.amdhsa_user_sgpr_count 2
		.amdhsa_user_sgpr_dispatch_ptr 0
		.amdhsa_user_sgpr_queue_ptr 0
		.amdhsa_user_sgpr_kernarg_segment_ptr 1
		.amdhsa_user_sgpr_dispatch_id 0
		.amdhsa_user_sgpr_kernarg_preload_length 0
		.amdhsa_user_sgpr_kernarg_preload_offset 0
		.amdhsa_user_sgpr_private_segment_size 0
		.amdhsa_uses_dynamic_stack 0
		.amdhsa_enable_private_segment 0
		.amdhsa_system_sgpr_workgroup_id_x 1
		.amdhsa_system_sgpr_workgroup_id_y 0
		.amdhsa_system_sgpr_workgroup_id_z 0
		.amdhsa_system_sgpr_workgroup_info 0
		.amdhsa_system_vgpr_workitem_id 0
		.amdhsa_next_free_vgpr 1
		.amdhsa_next_free_sgpr 0
		.amdhsa_accum_offset 4
		.amdhsa_reserve_vcc 0
		.amdhsa_float_round_mode_32 0
		.amdhsa_float_round_mode_16_64 0
		.amdhsa_float_denorm_mode_32 3
		.amdhsa_float_denorm_mode_16_64 3
		.amdhsa_dx10_clamp 1
		.amdhsa_ieee_mode 1
		.amdhsa_fp16_overflow 0
		.amdhsa_tg_split 0
		.amdhsa_exception_fp_ieee_invalid_op 0
		.amdhsa_exception_fp_denorm_src 0
		.amdhsa_exception_fp_ieee_div_zero 0
		.amdhsa_exception_fp_ieee_overflow 0
		.amdhsa_exception_fp_ieee_underflow 0
		.amdhsa_exception_fp_ieee_inexact 0
		.amdhsa_exception_int_div_zero 0
	.end_amdhsa_kernel
	.section	.text._ZN7rocprim17ROCPRIM_400000_NS6detail17trampoline_kernelINS0_14default_configENS1_25transform_config_selectorIlLb0EEEZNS1_14transform_implILb0ES3_S5_NS0_18transform_iteratorINS0_17counting_iteratorImlEEZNS1_24adjacent_difference_implIS3_Lb1ELb0EPlSB_ZN2at6native12_GLOBAL__N_124unique_dim_cuda_templateIlEESt5tupleIJNSC_6TensorESH_SH_EERKSH_lbbbEUlllE1_EE10hipError_tPvRmT2_T3_mT4_P12ihipStream_tbEUlmE_lEESB_NS0_8identityIvEEEESM_SP_SQ_mSR_ST_bEUlT_E_NS1_11comp_targetILNS1_3genE8ELNS1_11target_archE1030ELNS1_3gpuE2ELNS1_3repE0EEENS1_30default_config_static_selectorELNS0_4arch9wavefront6targetE1EEEvT1_,"axG",@progbits,_ZN7rocprim17ROCPRIM_400000_NS6detail17trampoline_kernelINS0_14default_configENS1_25transform_config_selectorIlLb0EEEZNS1_14transform_implILb0ES3_S5_NS0_18transform_iteratorINS0_17counting_iteratorImlEEZNS1_24adjacent_difference_implIS3_Lb1ELb0EPlSB_ZN2at6native12_GLOBAL__N_124unique_dim_cuda_templateIlEESt5tupleIJNSC_6TensorESH_SH_EERKSH_lbbbEUlllE1_EE10hipError_tPvRmT2_T3_mT4_P12ihipStream_tbEUlmE_lEESB_NS0_8identityIvEEEESM_SP_SQ_mSR_ST_bEUlT_E_NS1_11comp_targetILNS1_3genE8ELNS1_11target_archE1030ELNS1_3gpuE2ELNS1_3repE0EEENS1_30default_config_static_selectorELNS0_4arch9wavefront6targetE1EEEvT1_,comdat
.Lfunc_end558:
	.size	_ZN7rocprim17ROCPRIM_400000_NS6detail17trampoline_kernelINS0_14default_configENS1_25transform_config_selectorIlLb0EEEZNS1_14transform_implILb0ES3_S5_NS0_18transform_iteratorINS0_17counting_iteratorImlEEZNS1_24adjacent_difference_implIS3_Lb1ELb0EPlSB_ZN2at6native12_GLOBAL__N_124unique_dim_cuda_templateIlEESt5tupleIJNSC_6TensorESH_SH_EERKSH_lbbbEUlllE1_EE10hipError_tPvRmT2_T3_mT4_P12ihipStream_tbEUlmE_lEESB_NS0_8identityIvEEEESM_SP_SQ_mSR_ST_bEUlT_E_NS1_11comp_targetILNS1_3genE8ELNS1_11target_archE1030ELNS1_3gpuE2ELNS1_3repE0EEENS1_30default_config_static_selectorELNS0_4arch9wavefront6targetE1EEEvT1_, .Lfunc_end558-_ZN7rocprim17ROCPRIM_400000_NS6detail17trampoline_kernelINS0_14default_configENS1_25transform_config_selectorIlLb0EEEZNS1_14transform_implILb0ES3_S5_NS0_18transform_iteratorINS0_17counting_iteratorImlEEZNS1_24adjacent_difference_implIS3_Lb1ELb0EPlSB_ZN2at6native12_GLOBAL__N_124unique_dim_cuda_templateIlEESt5tupleIJNSC_6TensorESH_SH_EERKSH_lbbbEUlllE1_EE10hipError_tPvRmT2_T3_mT4_P12ihipStream_tbEUlmE_lEESB_NS0_8identityIvEEEESM_SP_SQ_mSR_ST_bEUlT_E_NS1_11comp_targetILNS1_3genE8ELNS1_11target_archE1030ELNS1_3gpuE2ELNS1_3repE0EEENS1_30default_config_static_selectorELNS0_4arch9wavefront6targetE1EEEvT1_
                                        ; -- End function
	.section	.AMDGPU.csdata,"",@progbits
; Kernel info:
; codeLenInByte = 0
; NumSgprs: 6
; NumVgprs: 0
; NumAgprs: 0
; TotalNumVgprs: 0
; ScratchSize: 0
; MemoryBound: 0
; FloatMode: 240
; IeeeMode: 1
; LDSByteSize: 0 bytes/workgroup (compile time only)
; SGPRBlocks: 0
; VGPRBlocks: 0
; NumSGPRsForWavesPerEU: 6
; NumVGPRsForWavesPerEU: 1
; AccumOffset: 4
; Occupancy: 8
; WaveLimiterHint : 0
; COMPUTE_PGM_RSRC2:SCRATCH_EN: 0
; COMPUTE_PGM_RSRC2:USER_SGPR: 2
; COMPUTE_PGM_RSRC2:TRAP_HANDLER: 0
; COMPUTE_PGM_RSRC2:TGID_X_EN: 1
; COMPUTE_PGM_RSRC2:TGID_Y_EN: 0
; COMPUTE_PGM_RSRC2:TGID_Z_EN: 0
; COMPUTE_PGM_RSRC2:TIDIG_COMP_CNT: 0
; COMPUTE_PGM_RSRC3_GFX90A:ACCUM_OFFSET: 0
; COMPUTE_PGM_RSRC3_GFX90A:TG_SPLIT: 0
	.section	.text._ZN7rocprim17ROCPRIM_400000_NS6detail17trampoline_kernelINS0_14default_configENS1_35adjacent_difference_config_selectorILb1ElEEZNS1_24adjacent_difference_implIS3_Lb1ELb0EPlS7_ZN2at6native12_GLOBAL__N_124unique_dim_cuda_templateIlEESt5tupleIJNS8_6TensorESD_SD_EERKSD_lbbbEUlllE1_EE10hipError_tPvRmT2_T3_mT4_P12ihipStream_tbEUlT_E_NS1_11comp_targetILNS1_3genE0ELNS1_11target_archE4294967295ELNS1_3gpuE0ELNS1_3repE0EEENS1_30default_config_static_selectorELNS0_4arch9wavefront6targetE1EEEvT1_,"axG",@progbits,_ZN7rocprim17ROCPRIM_400000_NS6detail17trampoline_kernelINS0_14default_configENS1_35adjacent_difference_config_selectorILb1ElEEZNS1_24adjacent_difference_implIS3_Lb1ELb0EPlS7_ZN2at6native12_GLOBAL__N_124unique_dim_cuda_templateIlEESt5tupleIJNS8_6TensorESD_SD_EERKSD_lbbbEUlllE1_EE10hipError_tPvRmT2_T3_mT4_P12ihipStream_tbEUlT_E_NS1_11comp_targetILNS1_3genE0ELNS1_11target_archE4294967295ELNS1_3gpuE0ELNS1_3repE0EEENS1_30default_config_static_selectorELNS0_4arch9wavefront6targetE1EEEvT1_,comdat
	.globl	_ZN7rocprim17ROCPRIM_400000_NS6detail17trampoline_kernelINS0_14default_configENS1_35adjacent_difference_config_selectorILb1ElEEZNS1_24adjacent_difference_implIS3_Lb1ELb0EPlS7_ZN2at6native12_GLOBAL__N_124unique_dim_cuda_templateIlEESt5tupleIJNS8_6TensorESD_SD_EERKSD_lbbbEUlllE1_EE10hipError_tPvRmT2_T3_mT4_P12ihipStream_tbEUlT_E_NS1_11comp_targetILNS1_3genE0ELNS1_11target_archE4294967295ELNS1_3gpuE0ELNS1_3repE0EEENS1_30default_config_static_selectorELNS0_4arch9wavefront6targetE1EEEvT1_ ; -- Begin function _ZN7rocprim17ROCPRIM_400000_NS6detail17trampoline_kernelINS0_14default_configENS1_35adjacent_difference_config_selectorILb1ElEEZNS1_24adjacent_difference_implIS3_Lb1ELb0EPlS7_ZN2at6native12_GLOBAL__N_124unique_dim_cuda_templateIlEESt5tupleIJNS8_6TensorESD_SD_EERKSD_lbbbEUlllE1_EE10hipError_tPvRmT2_T3_mT4_P12ihipStream_tbEUlT_E_NS1_11comp_targetILNS1_3genE0ELNS1_11target_archE4294967295ELNS1_3gpuE0ELNS1_3repE0EEENS1_30default_config_static_selectorELNS0_4arch9wavefront6targetE1EEEvT1_
	.p2align	8
	.type	_ZN7rocprim17ROCPRIM_400000_NS6detail17trampoline_kernelINS0_14default_configENS1_35adjacent_difference_config_selectorILb1ElEEZNS1_24adjacent_difference_implIS3_Lb1ELb0EPlS7_ZN2at6native12_GLOBAL__N_124unique_dim_cuda_templateIlEESt5tupleIJNS8_6TensorESD_SD_EERKSD_lbbbEUlllE1_EE10hipError_tPvRmT2_T3_mT4_P12ihipStream_tbEUlT_E_NS1_11comp_targetILNS1_3genE0ELNS1_11target_archE4294967295ELNS1_3gpuE0ELNS1_3repE0EEENS1_30default_config_static_selectorELNS0_4arch9wavefront6targetE1EEEvT1_,@function
_ZN7rocprim17ROCPRIM_400000_NS6detail17trampoline_kernelINS0_14default_configENS1_35adjacent_difference_config_selectorILb1ElEEZNS1_24adjacent_difference_implIS3_Lb1ELb0EPlS7_ZN2at6native12_GLOBAL__N_124unique_dim_cuda_templateIlEESt5tupleIJNS8_6TensorESD_SD_EERKSD_lbbbEUlllE1_EE10hipError_tPvRmT2_T3_mT4_P12ihipStream_tbEUlT_E_NS1_11comp_targetILNS1_3genE0ELNS1_11target_archE4294967295ELNS1_3gpuE0ELNS1_3repE0EEENS1_30default_config_static_selectorELNS0_4arch9wavefront6targetE1EEEvT1_: ; @_ZN7rocprim17ROCPRIM_400000_NS6detail17trampoline_kernelINS0_14default_configENS1_35adjacent_difference_config_selectorILb1ElEEZNS1_24adjacent_difference_implIS3_Lb1ELb0EPlS7_ZN2at6native12_GLOBAL__N_124unique_dim_cuda_templateIlEESt5tupleIJNS8_6TensorESD_SD_EERKSD_lbbbEUlllE1_EE10hipError_tPvRmT2_T3_mT4_P12ihipStream_tbEUlT_E_NS1_11comp_targetILNS1_3genE0ELNS1_11target_archE4294967295ELNS1_3gpuE0ELNS1_3repE0EEENS1_30default_config_static_selectorELNS0_4arch9wavefront6targetE1EEEvT1_
; %bb.0:
	.section	.rodata,"a",@progbits
	.p2align	6, 0x0
	.amdhsa_kernel _ZN7rocprim17ROCPRIM_400000_NS6detail17trampoline_kernelINS0_14default_configENS1_35adjacent_difference_config_selectorILb1ElEEZNS1_24adjacent_difference_implIS3_Lb1ELb0EPlS7_ZN2at6native12_GLOBAL__N_124unique_dim_cuda_templateIlEESt5tupleIJNS8_6TensorESD_SD_EERKSD_lbbbEUlllE1_EE10hipError_tPvRmT2_T3_mT4_P12ihipStream_tbEUlT_E_NS1_11comp_targetILNS1_3genE0ELNS1_11target_archE4294967295ELNS1_3gpuE0ELNS1_3repE0EEENS1_30default_config_static_selectorELNS0_4arch9wavefront6targetE1EEEvT1_
		.amdhsa_group_segment_fixed_size 0
		.amdhsa_private_segment_fixed_size 0
		.amdhsa_kernarg_size 64
		.amdhsa_user_sgpr_count 2
		.amdhsa_user_sgpr_dispatch_ptr 0
		.amdhsa_user_sgpr_queue_ptr 0
		.amdhsa_user_sgpr_kernarg_segment_ptr 1
		.amdhsa_user_sgpr_dispatch_id 0
		.amdhsa_user_sgpr_kernarg_preload_length 0
		.amdhsa_user_sgpr_kernarg_preload_offset 0
		.amdhsa_user_sgpr_private_segment_size 0
		.amdhsa_uses_dynamic_stack 0
		.amdhsa_enable_private_segment 0
		.amdhsa_system_sgpr_workgroup_id_x 1
		.amdhsa_system_sgpr_workgroup_id_y 0
		.amdhsa_system_sgpr_workgroup_id_z 0
		.amdhsa_system_sgpr_workgroup_info 0
		.amdhsa_system_vgpr_workitem_id 0
		.amdhsa_next_free_vgpr 1
		.amdhsa_next_free_sgpr 0
		.amdhsa_accum_offset 4
		.amdhsa_reserve_vcc 0
		.amdhsa_float_round_mode_32 0
		.amdhsa_float_round_mode_16_64 0
		.amdhsa_float_denorm_mode_32 3
		.amdhsa_float_denorm_mode_16_64 3
		.amdhsa_dx10_clamp 1
		.amdhsa_ieee_mode 1
		.amdhsa_fp16_overflow 0
		.amdhsa_tg_split 0
		.amdhsa_exception_fp_ieee_invalid_op 0
		.amdhsa_exception_fp_denorm_src 0
		.amdhsa_exception_fp_ieee_div_zero 0
		.amdhsa_exception_fp_ieee_overflow 0
		.amdhsa_exception_fp_ieee_underflow 0
		.amdhsa_exception_fp_ieee_inexact 0
		.amdhsa_exception_int_div_zero 0
	.end_amdhsa_kernel
	.section	.text._ZN7rocprim17ROCPRIM_400000_NS6detail17trampoline_kernelINS0_14default_configENS1_35adjacent_difference_config_selectorILb1ElEEZNS1_24adjacent_difference_implIS3_Lb1ELb0EPlS7_ZN2at6native12_GLOBAL__N_124unique_dim_cuda_templateIlEESt5tupleIJNS8_6TensorESD_SD_EERKSD_lbbbEUlllE1_EE10hipError_tPvRmT2_T3_mT4_P12ihipStream_tbEUlT_E_NS1_11comp_targetILNS1_3genE0ELNS1_11target_archE4294967295ELNS1_3gpuE0ELNS1_3repE0EEENS1_30default_config_static_selectorELNS0_4arch9wavefront6targetE1EEEvT1_,"axG",@progbits,_ZN7rocprim17ROCPRIM_400000_NS6detail17trampoline_kernelINS0_14default_configENS1_35adjacent_difference_config_selectorILb1ElEEZNS1_24adjacent_difference_implIS3_Lb1ELb0EPlS7_ZN2at6native12_GLOBAL__N_124unique_dim_cuda_templateIlEESt5tupleIJNS8_6TensorESD_SD_EERKSD_lbbbEUlllE1_EE10hipError_tPvRmT2_T3_mT4_P12ihipStream_tbEUlT_E_NS1_11comp_targetILNS1_3genE0ELNS1_11target_archE4294967295ELNS1_3gpuE0ELNS1_3repE0EEENS1_30default_config_static_selectorELNS0_4arch9wavefront6targetE1EEEvT1_,comdat
.Lfunc_end559:
	.size	_ZN7rocprim17ROCPRIM_400000_NS6detail17trampoline_kernelINS0_14default_configENS1_35adjacent_difference_config_selectorILb1ElEEZNS1_24adjacent_difference_implIS3_Lb1ELb0EPlS7_ZN2at6native12_GLOBAL__N_124unique_dim_cuda_templateIlEESt5tupleIJNS8_6TensorESD_SD_EERKSD_lbbbEUlllE1_EE10hipError_tPvRmT2_T3_mT4_P12ihipStream_tbEUlT_E_NS1_11comp_targetILNS1_3genE0ELNS1_11target_archE4294967295ELNS1_3gpuE0ELNS1_3repE0EEENS1_30default_config_static_selectorELNS0_4arch9wavefront6targetE1EEEvT1_, .Lfunc_end559-_ZN7rocprim17ROCPRIM_400000_NS6detail17trampoline_kernelINS0_14default_configENS1_35adjacent_difference_config_selectorILb1ElEEZNS1_24adjacent_difference_implIS3_Lb1ELb0EPlS7_ZN2at6native12_GLOBAL__N_124unique_dim_cuda_templateIlEESt5tupleIJNS8_6TensorESD_SD_EERKSD_lbbbEUlllE1_EE10hipError_tPvRmT2_T3_mT4_P12ihipStream_tbEUlT_E_NS1_11comp_targetILNS1_3genE0ELNS1_11target_archE4294967295ELNS1_3gpuE0ELNS1_3repE0EEENS1_30default_config_static_selectorELNS0_4arch9wavefront6targetE1EEEvT1_
                                        ; -- End function
	.section	.AMDGPU.csdata,"",@progbits
; Kernel info:
; codeLenInByte = 0
; NumSgprs: 6
; NumVgprs: 0
; NumAgprs: 0
; TotalNumVgprs: 0
; ScratchSize: 0
; MemoryBound: 0
; FloatMode: 240
; IeeeMode: 1
; LDSByteSize: 0 bytes/workgroup (compile time only)
; SGPRBlocks: 0
; VGPRBlocks: 0
; NumSGPRsForWavesPerEU: 6
; NumVGPRsForWavesPerEU: 1
; AccumOffset: 4
; Occupancy: 8
; WaveLimiterHint : 0
; COMPUTE_PGM_RSRC2:SCRATCH_EN: 0
; COMPUTE_PGM_RSRC2:USER_SGPR: 2
; COMPUTE_PGM_RSRC2:TRAP_HANDLER: 0
; COMPUTE_PGM_RSRC2:TGID_X_EN: 1
; COMPUTE_PGM_RSRC2:TGID_Y_EN: 0
; COMPUTE_PGM_RSRC2:TGID_Z_EN: 0
; COMPUTE_PGM_RSRC2:TIDIG_COMP_CNT: 0
; COMPUTE_PGM_RSRC3_GFX90A:ACCUM_OFFSET: 0
; COMPUTE_PGM_RSRC3_GFX90A:TG_SPLIT: 0
	.section	.text._ZN7rocprim17ROCPRIM_400000_NS6detail17trampoline_kernelINS0_14default_configENS1_35adjacent_difference_config_selectorILb1ElEEZNS1_24adjacent_difference_implIS3_Lb1ELb0EPlS7_ZN2at6native12_GLOBAL__N_124unique_dim_cuda_templateIlEESt5tupleIJNS8_6TensorESD_SD_EERKSD_lbbbEUlllE1_EE10hipError_tPvRmT2_T3_mT4_P12ihipStream_tbEUlT_E_NS1_11comp_targetILNS1_3genE10ELNS1_11target_archE1201ELNS1_3gpuE5ELNS1_3repE0EEENS1_30default_config_static_selectorELNS0_4arch9wavefront6targetE1EEEvT1_,"axG",@progbits,_ZN7rocprim17ROCPRIM_400000_NS6detail17trampoline_kernelINS0_14default_configENS1_35adjacent_difference_config_selectorILb1ElEEZNS1_24adjacent_difference_implIS3_Lb1ELb0EPlS7_ZN2at6native12_GLOBAL__N_124unique_dim_cuda_templateIlEESt5tupleIJNS8_6TensorESD_SD_EERKSD_lbbbEUlllE1_EE10hipError_tPvRmT2_T3_mT4_P12ihipStream_tbEUlT_E_NS1_11comp_targetILNS1_3genE10ELNS1_11target_archE1201ELNS1_3gpuE5ELNS1_3repE0EEENS1_30default_config_static_selectorELNS0_4arch9wavefront6targetE1EEEvT1_,comdat
	.globl	_ZN7rocprim17ROCPRIM_400000_NS6detail17trampoline_kernelINS0_14default_configENS1_35adjacent_difference_config_selectorILb1ElEEZNS1_24adjacent_difference_implIS3_Lb1ELb0EPlS7_ZN2at6native12_GLOBAL__N_124unique_dim_cuda_templateIlEESt5tupleIJNS8_6TensorESD_SD_EERKSD_lbbbEUlllE1_EE10hipError_tPvRmT2_T3_mT4_P12ihipStream_tbEUlT_E_NS1_11comp_targetILNS1_3genE10ELNS1_11target_archE1201ELNS1_3gpuE5ELNS1_3repE0EEENS1_30default_config_static_selectorELNS0_4arch9wavefront6targetE1EEEvT1_ ; -- Begin function _ZN7rocprim17ROCPRIM_400000_NS6detail17trampoline_kernelINS0_14default_configENS1_35adjacent_difference_config_selectorILb1ElEEZNS1_24adjacent_difference_implIS3_Lb1ELb0EPlS7_ZN2at6native12_GLOBAL__N_124unique_dim_cuda_templateIlEESt5tupleIJNS8_6TensorESD_SD_EERKSD_lbbbEUlllE1_EE10hipError_tPvRmT2_T3_mT4_P12ihipStream_tbEUlT_E_NS1_11comp_targetILNS1_3genE10ELNS1_11target_archE1201ELNS1_3gpuE5ELNS1_3repE0EEENS1_30default_config_static_selectorELNS0_4arch9wavefront6targetE1EEEvT1_
	.p2align	8
	.type	_ZN7rocprim17ROCPRIM_400000_NS6detail17trampoline_kernelINS0_14default_configENS1_35adjacent_difference_config_selectorILb1ElEEZNS1_24adjacent_difference_implIS3_Lb1ELb0EPlS7_ZN2at6native12_GLOBAL__N_124unique_dim_cuda_templateIlEESt5tupleIJNS8_6TensorESD_SD_EERKSD_lbbbEUlllE1_EE10hipError_tPvRmT2_T3_mT4_P12ihipStream_tbEUlT_E_NS1_11comp_targetILNS1_3genE10ELNS1_11target_archE1201ELNS1_3gpuE5ELNS1_3repE0EEENS1_30default_config_static_selectorELNS0_4arch9wavefront6targetE1EEEvT1_,@function
_ZN7rocprim17ROCPRIM_400000_NS6detail17trampoline_kernelINS0_14default_configENS1_35adjacent_difference_config_selectorILb1ElEEZNS1_24adjacent_difference_implIS3_Lb1ELb0EPlS7_ZN2at6native12_GLOBAL__N_124unique_dim_cuda_templateIlEESt5tupleIJNS8_6TensorESD_SD_EERKSD_lbbbEUlllE1_EE10hipError_tPvRmT2_T3_mT4_P12ihipStream_tbEUlT_E_NS1_11comp_targetILNS1_3genE10ELNS1_11target_archE1201ELNS1_3gpuE5ELNS1_3repE0EEENS1_30default_config_static_selectorELNS0_4arch9wavefront6targetE1EEEvT1_: ; @_ZN7rocprim17ROCPRIM_400000_NS6detail17trampoline_kernelINS0_14default_configENS1_35adjacent_difference_config_selectorILb1ElEEZNS1_24adjacent_difference_implIS3_Lb1ELb0EPlS7_ZN2at6native12_GLOBAL__N_124unique_dim_cuda_templateIlEESt5tupleIJNS8_6TensorESD_SD_EERKSD_lbbbEUlllE1_EE10hipError_tPvRmT2_T3_mT4_P12ihipStream_tbEUlT_E_NS1_11comp_targetILNS1_3genE10ELNS1_11target_archE1201ELNS1_3gpuE5ELNS1_3repE0EEENS1_30default_config_static_selectorELNS0_4arch9wavefront6targetE1EEEvT1_
; %bb.0:
	.section	.rodata,"a",@progbits
	.p2align	6, 0x0
	.amdhsa_kernel _ZN7rocprim17ROCPRIM_400000_NS6detail17trampoline_kernelINS0_14default_configENS1_35adjacent_difference_config_selectorILb1ElEEZNS1_24adjacent_difference_implIS3_Lb1ELb0EPlS7_ZN2at6native12_GLOBAL__N_124unique_dim_cuda_templateIlEESt5tupleIJNS8_6TensorESD_SD_EERKSD_lbbbEUlllE1_EE10hipError_tPvRmT2_T3_mT4_P12ihipStream_tbEUlT_E_NS1_11comp_targetILNS1_3genE10ELNS1_11target_archE1201ELNS1_3gpuE5ELNS1_3repE0EEENS1_30default_config_static_selectorELNS0_4arch9wavefront6targetE1EEEvT1_
		.amdhsa_group_segment_fixed_size 0
		.amdhsa_private_segment_fixed_size 0
		.amdhsa_kernarg_size 64
		.amdhsa_user_sgpr_count 2
		.amdhsa_user_sgpr_dispatch_ptr 0
		.amdhsa_user_sgpr_queue_ptr 0
		.amdhsa_user_sgpr_kernarg_segment_ptr 1
		.amdhsa_user_sgpr_dispatch_id 0
		.amdhsa_user_sgpr_kernarg_preload_length 0
		.amdhsa_user_sgpr_kernarg_preload_offset 0
		.amdhsa_user_sgpr_private_segment_size 0
		.amdhsa_uses_dynamic_stack 0
		.amdhsa_enable_private_segment 0
		.amdhsa_system_sgpr_workgroup_id_x 1
		.amdhsa_system_sgpr_workgroup_id_y 0
		.amdhsa_system_sgpr_workgroup_id_z 0
		.amdhsa_system_sgpr_workgroup_info 0
		.amdhsa_system_vgpr_workitem_id 0
		.amdhsa_next_free_vgpr 1
		.amdhsa_next_free_sgpr 0
		.amdhsa_accum_offset 4
		.amdhsa_reserve_vcc 0
		.amdhsa_float_round_mode_32 0
		.amdhsa_float_round_mode_16_64 0
		.amdhsa_float_denorm_mode_32 3
		.amdhsa_float_denorm_mode_16_64 3
		.amdhsa_dx10_clamp 1
		.amdhsa_ieee_mode 1
		.amdhsa_fp16_overflow 0
		.amdhsa_tg_split 0
		.amdhsa_exception_fp_ieee_invalid_op 0
		.amdhsa_exception_fp_denorm_src 0
		.amdhsa_exception_fp_ieee_div_zero 0
		.amdhsa_exception_fp_ieee_overflow 0
		.amdhsa_exception_fp_ieee_underflow 0
		.amdhsa_exception_fp_ieee_inexact 0
		.amdhsa_exception_int_div_zero 0
	.end_amdhsa_kernel
	.section	.text._ZN7rocprim17ROCPRIM_400000_NS6detail17trampoline_kernelINS0_14default_configENS1_35adjacent_difference_config_selectorILb1ElEEZNS1_24adjacent_difference_implIS3_Lb1ELb0EPlS7_ZN2at6native12_GLOBAL__N_124unique_dim_cuda_templateIlEESt5tupleIJNS8_6TensorESD_SD_EERKSD_lbbbEUlllE1_EE10hipError_tPvRmT2_T3_mT4_P12ihipStream_tbEUlT_E_NS1_11comp_targetILNS1_3genE10ELNS1_11target_archE1201ELNS1_3gpuE5ELNS1_3repE0EEENS1_30default_config_static_selectorELNS0_4arch9wavefront6targetE1EEEvT1_,"axG",@progbits,_ZN7rocprim17ROCPRIM_400000_NS6detail17trampoline_kernelINS0_14default_configENS1_35adjacent_difference_config_selectorILb1ElEEZNS1_24adjacent_difference_implIS3_Lb1ELb0EPlS7_ZN2at6native12_GLOBAL__N_124unique_dim_cuda_templateIlEESt5tupleIJNS8_6TensorESD_SD_EERKSD_lbbbEUlllE1_EE10hipError_tPvRmT2_T3_mT4_P12ihipStream_tbEUlT_E_NS1_11comp_targetILNS1_3genE10ELNS1_11target_archE1201ELNS1_3gpuE5ELNS1_3repE0EEENS1_30default_config_static_selectorELNS0_4arch9wavefront6targetE1EEEvT1_,comdat
.Lfunc_end560:
	.size	_ZN7rocprim17ROCPRIM_400000_NS6detail17trampoline_kernelINS0_14default_configENS1_35adjacent_difference_config_selectorILb1ElEEZNS1_24adjacent_difference_implIS3_Lb1ELb0EPlS7_ZN2at6native12_GLOBAL__N_124unique_dim_cuda_templateIlEESt5tupleIJNS8_6TensorESD_SD_EERKSD_lbbbEUlllE1_EE10hipError_tPvRmT2_T3_mT4_P12ihipStream_tbEUlT_E_NS1_11comp_targetILNS1_3genE10ELNS1_11target_archE1201ELNS1_3gpuE5ELNS1_3repE0EEENS1_30default_config_static_selectorELNS0_4arch9wavefront6targetE1EEEvT1_, .Lfunc_end560-_ZN7rocprim17ROCPRIM_400000_NS6detail17trampoline_kernelINS0_14default_configENS1_35adjacent_difference_config_selectorILb1ElEEZNS1_24adjacent_difference_implIS3_Lb1ELb0EPlS7_ZN2at6native12_GLOBAL__N_124unique_dim_cuda_templateIlEESt5tupleIJNS8_6TensorESD_SD_EERKSD_lbbbEUlllE1_EE10hipError_tPvRmT2_T3_mT4_P12ihipStream_tbEUlT_E_NS1_11comp_targetILNS1_3genE10ELNS1_11target_archE1201ELNS1_3gpuE5ELNS1_3repE0EEENS1_30default_config_static_selectorELNS0_4arch9wavefront6targetE1EEEvT1_
                                        ; -- End function
	.section	.AMDGPU.csdata,"",@progbits
; Kernel info:
; codeLenInByte = 0
; NumSgprs: 6
; NumVgprs: 0
; NumAgprs: 0
; TotalNumVgprs: 0
; ScratchSize: 0
; MemoryBound: 0
; FloatMode: 240
; IeeeMode: 1
; LDSByteSize: 0 bytes/workgroup (compile time only)
; SGPRBlocks: 0
; VGPRBlocks: 0
; NumSGPRsForWavesPerEU: 6
; NumVGPRsForWavesPerEU: 1
; AccumOffset: 4
; Occupancy: 8
; WaveLimiterHint : 0
; COMPUTE_PGM_RSRC2:SCRATCH_EN: 0
; COMPUTE_PGM_RSRC2:USER_SGPR: 2
; COMPUTE_PGM_RSRC2:TRAP_HANDLER: 0
; COMPUTE_PGM_RSRC2:TGID_X_EN: 1
; COMPUTE_PGM_RSRC2:TGID_Y_EN: 0
; COMPUTE_PGM_RSRC2:TGID_Z_EN: 0
; COMPUTE_PGM_RSRC2:TIDIG_COMP_CNT: 0
; COMPUTE_PGM_RSRC3_GFX90A:ACCUM_OFFSET: 0
; COMPUTE_PGM_RSRC3_GFX90A:TG_SPLIT: 0
	.section	.text._ZN7rocprim17ROCPRIM_400000_NS6detail17trampoline_kernelINS0_14default_configENS1_35adjacent_difference_config_selectorILb1ElEEZNS1_24adjacent_difference_implIS3_Lb1ELb0EPlS7_ZN2at6native12_GLOBAL__N_124unique_dim_cuda_templateIlEESt5tupleIJNS8_6TensorESD_SD_EERKSD_lbbbEUlllE1_EE10hipError_tPvRmT2_T3_mT4_P12ihipStream_tbEUlT_E_NS1_11comp_targetILNS1_3genE5ELNS1_11target_archE942ELNS1_3gpuE9ELNS1_3repE0EEENS1_30default_config_static_selectorELNS0_4arch9wavefront6targetE1EEEvT1_,"axG",@progbits,_ZN7rocprim17ROCPRIM_400000_NS6detail17trampoline_kernelINS0_14default_configENS1_35adjacent_difference_config_selectorILb1ElEEZNS1_24adjacent_difference_implIS3_Lb1ELb0EPlS7_ZN2at6native12_GLOBAL__N_124unique_dim_cuda_templateIlEESt5tupleIJNS8_6TensorESD_SD_EERKSD_lbbbEUlllE1_EE10hipError_tPvRmT2_T3_mT4_P12ihipStream_tbEUlT_E_NS1_11comp_targetILNS1_3genE5ELNS1_11target_archE942ELNS1_3gpuE9ELNS1_3repE0EEENS1_30default_config_static_selectorELNS0_4arch9wavefront6targetE1EEEvT1_,comdat
	.globl	_ZN7rocprim17ROCPRIM_400000_NS6detail17trampoline_kernelINS0_14default_configENS1_35adjacent_difference_config_selectorILb1ElEEZNS1_24adjacent_difference_implIS3_Lb1ELb0EPlS7_ZN2at6native12_GLOBAL__N_124unique_dim_cuda_templateIlEESt5tupleIJNS8_6TensorESD_SD_EERKSD_lbbbEUlllE1_EE10hipError_tPvRmT2_T3_mT4_P12ihipStream_tbEUlT_E_NS1_11comp_targetILNS1_3genE5ELNS1_11target_archE942ELNS1_3gpuE9ELNS1_3repE0EEENS1_30default_config_static_selectorELNS0_4arch9wavefront6targetE1EEEvT1_ ; -- Begin function _ZN7rocprim17ROCPRIM_400000_NS6detail17trampoline_kernelINS0_14default_configENS1_35adjacent_difference_config_selectorILb1ElEEZNS1_24adjacent_difference_implIS3_Lb1ELb0EPlS7_ZN2at6native12_GLOBAL__N_124unique_dim_cuda_templateIlEESt5tupleIJNS8_6TensorESD_SD_EERKSD_lbbbEUlllE1_EE10hipError_tPvRmT2_T3_mT4_P12ihipStream_tbEUlT_E_NS1_11comp_targetILNS1_3genE5ELNS1_11target_archE942ELNS1_3gpuE9ELNS1_3repE0EEENS1_30default_config_static_selectorELNS0_4arch9wavefront6targetE1EEEvT1_
	.p2align	8
	.type	_ZN7rocprim17ROCPRIM_400000_NS6detail17trampoline_kernelINS0_14default_configENS1_35adjacent_difference_config_selectorILb1ElEEZNS1_24adjacent_difference_implIS3_Lb1ELb0EPlS7_ZN2at6native12_GLOBAL__N_124unique_dim_cuda_templateIlEESt5tupleIJNS8_6TensorESD_SD_EERKSD_lbbbEUlllE1_EE10hipError_tPvRmT2_T3_mT4_P12ihipStream_tbEUlT_E_NS1_11comp_targetILNS1_3genE5ELNS1_11target_archE942ELNS1_3gpuE9ELNS1_3repE0EEENS1_30default_config_static_selectorELNS0_4arch9wavefront6targetE1EEEvT1_,@function
_ZN7rocprim17ROCPRIM_400000_NS6detail17trampoline_kernelINS0_14default_configENS1_35adjacent_difference_config_selectorILb1ElEEZNS1_24adjacent_difference_implIS3_Lb1ELb0EPlS7_ZN2at6native12_GLOBAL__N_124unique_dim_cuda_templateIlEESt5tupleIJNS8_6TensorESD_SD_EERKSD_lbbbEUlllE1_EE10hipError_tPvRmT2_T3_mT4_P12ihipStream_tbEUlT_E_NS1_11comp_targetILNS1_3genE5ELNS1_11target_archE942ELNS1_3gpuE9ELNS1_3repE0EEENS1_30default_config_static_selectorELNS0_4arch9wavefront6targetE1EEEvT1_: ; @_ZN7rocprim17ROCPRIM_400000_NS6detail17trampoline_kernelINS0_14default_configENS1_35adjacent_difference_config_selectorILb1ElEEZNS1_24adjacent_difference_implIS3_Lb1ELb0EPlS7_ZN2at6native12_GLOBAL__N_124unique_dim_cuda_templateIlEESt5tupleIJNS8_6TensorESD_SD_EERKSD_lbbbEUlllE1_EE10hipError_tPvRmT2_T3_mT4_P12ihipStream_tbEUlT_E_NS1_11comp_targetILNS1_3genE5ELNS1_11target_archE942ELNS1_3gpuE9ELNS1_3repE0EEENS1_30default_config_static_selectorELNS0_4arch9wavefront6targetE1EEEvT1_
; %bb.0:
	s_load_dwordx16 s[4:19], s[0:1], 0x0
	s_mov_b32 s1, 0x545d15a0
	v_bfrev_b32_e32 v1, 4
	s_movk_i32 s0, 0xb00
	s_mul_i32 s20, s2, 0xb00
	s_waitcnt lgkmcnt(0)
	s_lshl_b64 s[6:7], s[6:7], 3
	s_add_u32 s30, s4, s6
	s_addc_u32 s31, s5, s7
	s_add_u32 s1, 0x74, s1
	s_addc_u32 s4, 0, 0
	v_add_co_u32_e32 v1, vcc, s1, v1
	s_cmp_lg_u64 vcc, 0
	v_readfirstlane_b32 s5, v1
	s_addc_u32 s1, s4, 0x1745d1
	s_mul_hi_u32 s21, s5, 0xfffff500
	s_mul_i32 s4, s1, 0xfffff500
	s_sub_i32 s21, s21, s5
	s_add_i32 s21, s21, s4
	s_mul_i32 s23, s5, 0xfffff500
	s_mul_hi_u32 s4, s5, s21
	s_mul_i32 s22, s5, s21
	s_mul_hi_u32 s5, s5, s23
	s_add_u32 s5, s5, s22
	s_addc_u32 s4, 0, s4
	s_mul_hi_u32 s24, s1, s23
	s_mul_i32 s23, s1, s23
	s_add_u32 s5, s5, s23
	s_mul_hi_u32 s22, s1, s21
	s_addc_u32 s4, s4, s24
	s_addc_u32 s5, s22, 0
	s_mul_i32 s21, s1, s21
	s_add_u32 s4, s4, s21
	s_addc_u32 s5, 0, s5
	v_add_co_u32_e32 v1, vcc, s4, v1
	s_cmp_lg_u64 vcc, 0
	s_addc_u32 s1, s1, s5
	v_readfirstlane_b32 s21, v1
	s_mul_i32 s5, s10, s1
	s_mul_hi_u32 s22, s10, s21
	s_mul_hi_u32 s4, s10, s1
	s_add_u32 s5, s22, s5
	s_addc_u32 s4, 0, s4
	s_mul_hi_u32 s23, s11, s21
	s_mul_i32 s21, s11, s21
	s_add_u32 s5, s5, s21
	s_mul_hi_u32 s22, s11, s1
	s_addc_u32 s4, s4, s23
	s_addc_u32 s5, s22, 0
	s_mul_i32 s1, s11, s1
	s_add_u32 s1, s4, s1
	s_addc_u32 s4, 0, s5
	s_add_u32 s5, s1, 1
	s_addc_u32 s21, s4, 0
	s_add_u32 s22, s1, 2
	s_mul_i32 s24, s4, 0xb00
	s_mul_hi_u32 s25, s1, 0xb00
	s_addc_u32 s23, s4, 0
	s_add_i32 s25, s25, s24
	s_mul_i32 s24, s1, 0xb00
	v_mov_b32_e32 v1, s24
	v_sub_co_u32_e32 v1, vcc, s10, v1
	s_cmp_lg_u64 vcc, 0
	s_subb_u32 s24, s11, s25
	v_subrev_co_u32_e32 v2, vcc, s0, v1
	s_cmp_lg_u64 vcc, 0
	s_subb_u32 s0, s24, 0
	v_readfirstlane_b32 s25, v2
	s_cmpk_gt_u32 s25, 0xaff
	s_cselect_b32 s25, -1, 0
	s_cmp_eq_u32 s0, 0
	s_cselect_b32 s0, s25, -1
	s_cmp_lg_u32 s0, 0
	s_cselect_b32 s0, s22, s5
	s_cselect_b32 s5, s23, s21
	v_readfirstlane_b32 s21, v1
	s_cmpk_gt_u32 s21, 0xaff
	s_cselect_b32 s21, -1, 0
	s_cmp_eq_u32 s24, 0
	s_cselect_b32 s21, s21, -1
	s_cmp_lg_u32 s21, 0
	s_cselect_b32 s5, s5, s4
	s_cselect_b32 s4, s0, s1
	s_mul_i32 s0, s5, 0xb00
	s_mul_hi_u32 s1, s4, 0xb00
	s_add_i32 s1, s1, s0
	s_mul_i32 s0, s4, 0xb00
	s_sub_u32 s0, s10, s0
	s_subb_u32 s1, s11, s1
	s_cmp_lg_u64 s[0:1], 0
	s_cselect_b64 s[0:1], -1, 0
	v_cndmask_b32_e64 v1, 0, 1, s[0:1]
	s_mov_b32 s3, 0
	v_readfirstlane_b32 s0, v1
	s_add_u32 s4, s4, s0
	s_addc_u32 s5, s5, 0
	s_add_u32 s24, s18, s2
	s_addc_u32 s25, s19, 0
	s_add_u32 s26, s4, -1
	s_addc_u32 s27, s5, -1
	v_mov_b64_e32 v[2:3], s[26:27]
	v_cmp_ge_u64_e64 s[0:1], s[24:25], v[2:3]
	s_mov_b64 s[22:23], -1
	s_and_b64 vcc, exec, s[0:1]
	s_mul_i32 s11, s26, 0xfffff500
	s_cbranch_vccz .LBB561_24
; %bb.1:
	s_mov_b32 s21, s3
	s_add_i32 s33, s11, s10
	s_lshl_b64 s[22:23], s[20:21], 3
	s_add_u32 s22, s30, s22
	s_addc_u32 s23, s31, s23
	v_cmp_gt_u32_e32 vcc, s33, v0
                                        ; implicit-def: $vgpr2_vgpr3_vgpr4_vgpr5_vgpr6_vgpr7_vgpr8_vgpr9_vgpr10_vgpr11_vgpr12_vgpr13_vgpr14_vgpr15_vgpr16_vgpr17_vgpr18_vgpr19_vgpr20_vgpr21_vgpr22_vgpr23_vgpr24_vgpr25_vgpr26_vgpr27_vgpr28_vgpr29_vgpr30_vgpr31_vgpr32_vgpr33
	s_and_saveexec_b64 s[28:29], vcc
	s_cbranch_execz .LBB561_3
; %bb.2:
	v_lshlrev_b32_e32 v1, 3, v0
	global_load_dwordx2 v[2:3], v1, s[22:23]
.LBB561_3:
	s_or_b64 exec, exec, s[28:29]
	v_or_b32_e32 v1, 0x100, v0
	v_cmp_gt_u32_e32 vcc, s33, v1
	s_and_saveexec_b64 s[28:29], vcc
	s_cbranch_execz .LBB561_5
; %bb.4:
	v_lshlrev_b32_e32 v1, 3, v0
	global_load_dwordx2 v[4:5], v1, s[22:23] offset:2048
.LBB561_5:
	s_or_b64 exec, exec, s[28:29]
	v_or_b32_e32 v1, 0x200, v0
	v_cmp_gt_u32_e32 vcc, s33, v1
	s_and_saveexec_b64 s[28:29], vcc
	s_cbranch_execz .LBB561_7
; %bb.6:
	v_lshlrev_b32_e32 v1, 3, v1
	global_load_dwordx2 v[6:7], v1, s[22:23]
.LBB561_7:
	s_or_b64 exec, exec, s[28:29]
	v_or_b32_e32 v1, 0x300, v0
	v_cmp_gt_u32_e32 vcc, s33, v1
	s_and_saveexec_b64 s[28:29], vcc
	s_cbranch_execz .LBB561_9
; %bb.8:
	v_lshlrev_b32_e32 v1, 3, v1
	global_load_dwordx2 v[8:9], v1, s[22:23]
.LBB561_9:
	;; [unrolled: 9-line block ×9, first 2 shown]
	s_or_b64 exec, exec, s[28:29]
	v_lshlrev_b32_e32 v1, 3, v0
	s_mov_b64 s[22:23], 0
	s_waitcnt vmcnt(0)
	ds_write2st64_b64 v1, v[2:3], v[4:5] offset1:4
	ds_write2st64_b64 v1, v[6:7], v[8:9] offset0:8 offset1:12
	ds_write2st64_b64 v1, v[10:11], v[12:13] offset0:16 offset1:20
	;; [unrolled: 1-line block ×4, first 2 shown]
	ds_write_b64 v1, v[22:23] offset:20480
	s_waitcnt lgkmcnt(0)
	s_barrier
.LBB561_24:
	s_and_b64 vcc, exec, s[22:23]
	v_lshlrev_b32_e32 v40, 3, v0
	s_cbranch_vccz .LBB561_26
; %bb.25:
	s_mov_b32 s21, 0
	s_lshl_b64 s[22:23], s[20:21], 3
	s_add_u32 s22, s30, s22
	s_addc_u32 s23, s31, s23
	v_mov_b32_e32 v41, 0
	v_lshl_add_u64 v[2:3], s[22:23], 0, v[40:41]
	v_add_co_u32_e32 v8, vcc, 0x1000, v2
	global_load_dwordx2 v[4:5], v40, s[22:23]
	global_load_dwordx2 v[6:7], v40, s[22:23] offset:2048
	v_addc_co_u32_e32 v9, vcc, 0, v3, vcc
	v_add_co_u32_e32 v10, vcc, 0x2000, v2
	s_nop 1
	v_addc_co_u32_e32 v11, vcc, 0, v3, vcc
	global_load_dwordx2 v[12:13], v[8:9], off
	global_load_dwordx2 v[14:15], v[8:9], off offset:2048
	global_load_dwordx2 v[16:17], v[10:11], off
	global_load_dwordx2 v[18:19], v[10:11], off offset:2048
	v_add_co_u32_e32 v8, vcc, 0x3000, v2
	s_nop 1
	v_addc_co_u32_e32 v9, vcc, 0, v3, vcc
	v_add_co_u32_e32 v10, vcc, 0x4000, v2
	s_nop 1
	v_addc_co_u32_e32 v11, vcc, 0, v3, vcc
	global_load_dwordx2 v[20:21], v[8:9], off
	global_load_dwordx2 v[22:23], v[8:9], off offset:2048
	global_load_dwordx2 v[24:25], v[10:11], off
	global_load_dwordx2 v[26:27], v[10:11], off offset:2048
	v_add_co_u32_e32 v2, vcc, 0x5000, v2
	s_nop 1
	v_addc_co_u32_e32 v3, vcc, 0, v3, vcc
	global_load_dwordx2 v[2:3], v[2:3], off
	s_waitcnt vmcnt(9)
	ds_write2st64_b64 v40, v[4:5], v[6:7] offset1:4
	s_waitcnt vmcnt(7)
	ds_write2st64_b64 v40, v[12:13], v[14:15] offset0:8 offset1:12
	s_waitcnt vmcnt(5)
	ds_write2st64_b64 v40, v[16:17], v[18:19] offset0:16 offset1:20
	;; [unrolled: 2-line block ×4, first 2 shown]
	s_waitcnt vmcnt(0)
	ds_write_b64 v40, v[2:3] offset:20480
	s_waitcnt lgkmcnt(0)
	s_barrier
.LBB561_26:
	v_mul_u32_u24_e32 v1, 11, v0
	v_lshlrev_b32_e32 v1, 3, v1
	ds_read2_b64 v[2:5], v1 offset1:1
	ds_read2_b64 v[6:9], v1 offset0:2 offset1:3
	ds_read2_b64 v[10:13], v1 offset0:4 offset1:5
	;; [unrolled: 1-line block ×4, first 2 shown]
	ds_read_b64 v[36:37], v1 offset:80
	s_cmp_eq_u64 s[24:25], 0
	s_mov_b64 s[22:23], 0
	s_waitcnt lgkmcnt(0)
	s_barrier
	s_cbranch_scc1 .LBB561_35
; %bb.27:
	s_lshl_b64 s[18:19], s[18:19], 3
	s_add_u32 s16, s16, s18
	s_addc_u32 s17, s17, s19
	s_lshl_b64 s[2:3], s[2:3], 3
	s_add_u32 s2, s16, s2
	s_addc_u32 s3, s17, s3
	s_add_u32 s2, s2, -8
	s_addc_u32 s3, s3, -1
	s_load_dwordx2 s[16:17], s[2:3], 0x0
	s_cmp_lg_u64 s[24:25], s[26:27]
	s_cbranch_scc0 .LBB561_36
; %bb.28:
	v_mul_lo_u32 v1, v21, s12
	v_mul_lo_u32 v24, v20, s13
	v_mad_u64_u32 v[22:23], s[22:23], v20, s12, 0
	v_mov_b64_e32 v[38:39], 0
	v_cmp_lt_i64_e64 s[2:3], s[12:13], 1
	v_add3_u32 v23, v23, v24, v1
	v_cmp_gt_i64_e64 s[18:19], s[12:13], 0
	s_and_b64 vcc, exec, s[2:3]
	v_lshl_add_u64 v[22:23], v[22:23], 3, s[14:15]
	v_mov_b64_e32 v[42:43], v[38:39]
	ds_write_b64 v40, v[36:37]
	s_cbranch_vccnz .LBB561_40
; %bb.29:
	v_mul_lo_u32 v1, v37, s12
	v_mul_lo_u32 v26, v36, s13
	v_mad_u64_u32 v[24:25], s[2:3], v36, s12, 0
	v_add3_u32 v25, v25, v26, v1
	v_lshl_add_u64 v[26:27], v[24:25], 3, s[14:15]
	global_load_dwordx2 v[24:25], v[26:27], off
	global_load_dwordx2 v[28:29], v[22:23], off
	v_mov_b64_e32 v[42:43], 1
	s_waitcnt vmcnt(0)
	v_cmp_eq_u64_e32 vcc, v[24:25], v[28:29]
	s_and_saveexec_b64 s[2:3], vcc
	s_cbranch_execz .LBB561_39
; %bb.30:
	s_add_u32 s22, s12, -1
	v_lshl_add_u64 v[24:25], v[22:23], 0, 8
	v_lshl_add_u64 v[26:27], v[26:27], 0, 8
	s_addc_u32 s23, s13, -1
	s_mov_b64 s[26:27], 0
	s_mov_b64 s[30:31], 0
                                        ; implicit-def: $sgpr28_sgpr29
	s_branch .LBB561_33
.LBB561_31:                             ;   in Loop: Header=BB561_33 Depth=1
	global_load_dwordx2 v[28:29], v[26:27], off
	global_load_dwordx2 v[30:31], v[24:25], off
	s_add_u32 s30, s30, 1
	s_addc_u32 s31, s31, 0
	s_andn2_b64 s[28:29], s[28:29], exec
	v_lshl_add_u64 v[24:25], v[24:25], 0, 8
	v_lshl_add_u64 v[26:27], v[26:27], 0, 8
	s_waitcnt vmcnt(0)
	v_cmp_ne_u64_e32 vcc, v[28:29], v[30:31]
	s_and_b64 s[34:35], vcc, exec
	s_or_b64 s[28:29], s[28:29], s[34:35]
.LBB561_32:                             ;   in Loop: Header=BB561_33 Depth=1
	s_and_b64 s[34:35], exec, s[28:29]
	s_or_b64 s[26:27], s[34:35], s[26:27]
	v_mov_b64_e32 v[28:29], s[30:31]
	s_andn2_b64 exec, exec, s[26:27]
	s_cbranch_execz .LBB561_38
.LBB561_33:                             ; =>This Inner Loop Header: Depth=1
	s_or_b64 s[28:29], s[28:29], exec
	s_cmp_eq_u64 s[22:23], s[30:31]
	s_cbranch_scc0 .LBB561_31
; %bb.34:                               ;   in Loop: Header=BB561_33 Depth=1
                                        ; implicit-def: $vgpr24_vgpr25
                                        ; implicit-def: $vgpr26_vgpr27
	s_mov_b64 s[30:31], s[12:13]
	s_branch .LBB561_32
.LBB561_35:
                                        ; implicit-def: $vgpr22_vgpr23_vgpr24_vgpr25
                                        ; implicit-def: $sgpr18_sgpr19
                                        ; implicit-def: $vgpr42_vgpr43
                                        ; implicit-def: $vgpr44_vgpr45
                                        ; implicit-def: $vgpr38_vgpr39
                                        ; implicit-def: $vgpr58_vgpr59
                                        ; implicit-def: $vgpr56_vgpr57
                                        ; implicit-def: $vgpr54_vgpr55
                                        ; implicit-def: $vgpr52_vgpr53
                                        ; implicit-def: $vgpr50_vgpr51
                                        ; implicit-def: $vgpr48_vgpr49
                                        ; implicit-def: $vgpr46_vgpr47
                                        ; implicit-def: $vgpr60_vgpr61
                                        ; implicit-def: $vgpr68_vgpr69
                                        ; implicit-def: $vgpr62_vgpr63
                                        ; implicit-def: $vgpr64_vgpr65
                                        ; implicit-def: $vgpr66_vgpr67
                                        ; implicit-def: $vgpr24_vgpr25_vgpr26_vgpr27
                                        ; implicit-def: $vgpr28_vgpr29_vgpr30_vgpr31
                                        ; implicit-def: $vgpr32_vgpr33_vgpr34_vgpr35
	s_cbranch_execnz .LBB561_259
	s_branch .LBB561_488
.LBB561_36:
                                        ; implicit-def: $sgpr18_sgpr19
                                        ; implicit-def: $vgpr42_vgpr43
                                        ; implicit-def: $vgpr44_vgpr45
                                        ; implicit-def: $vgpr38_vgpr39
                                        ; implicit-def: $vgpr58_vgpr59
                                        ; implicit-def: $vgpr56_vgpr57
                                        ; implicit-def: $vgpr54_vgpr55
                                        ; implicit-def: $vgpr52_vgpr53
                                        ; implicit-def: $vgpr50_vgpr51
                                        ; implicit-def: $vgpr48_vgpr49
                                        ; implicit-def: $vgpr46_vgpr47
	s_cbranch_execnz .LBB561_134
.LBB561_37:
                                        ; implicit-def: $vgpr22_vgpr23_vgpr24_vgpr25
                                        ; implicit-def: $vgpr60_vgpr61
                                        ; implicit-def: $vgpr68_vgpr69
                                        ; implicit-def: $vgpr62_vgpr63
                                        ; implicit-def: $vgpr64_vgpr65
                                        ; implicit-def: $vgpr66_vgpr67
                                        ; implicit-def: $vgpr28_vgpr29_vgpr30_vgpr31
                                        ; implicit-def: $vgpr32_vgpr33_vgpr34_vgpr35
                                        ; implicit-def: $vgpr24_vgpr25_vgpr26_vgpr27
	s_branch .LBB561_488
.LBB561_38:
	s_or_b64 exec, exec, s[26:27]
	v_cmp_gt_i64_e32 vcc, s[12:13], v[28:29]
	s_mov_b32 s21, 0
	v_mov_b32_e32 v43, s21
	v_cndmask_b32_e64 v42, 0, 1, vcc
.LBB561_39:
	s_or_b64 exec, exec, s[2:3]
.LBB561_40:
	v_mul_lo_u32 v1, v19, s12
	v_mul_lo_u32 v26, v18, s13
	v_mad_u64_u32 v[24:25], s[2:3], v18, s12, 0
	v_add3_u32 v25, v25, v26, v1
	v_cndmask_b32_e64 v1, 0, 1, s[18:19]
	v_cmp_ne_u32_e64 s[2:3], 1, v1
	s_andn2_b64 vcc, exec, s[18:19]
	v_lshl_add_u64 v[24:25], v[24:25], 3, s[14:15]
	v_mov_b64_e32 v[44:45], v[38:39]
	s_cbranch_vccnz .LBB561_49
; %bb.41:
	global_load_dwordx2 v[26:27], v[22:23], off
	global_load_dwordx2 v[28:29], v[24:25], off
	v_mov_b64_e32 v[44:45], 1
	s_waitcnt vmcnt(0)
	v_cmp_eq_u64_e32 vcc, v[26:27], v[28:29]
	s_and_saveexec_b64 s[18:19], vcc
	s_cbranch_execz .LBB561_48
; %bb.42:
	s_add_u32 s22, s12, -1
	v_lshl_add_u64 v[26:27], v[24:25], 0, 8
	v_lshl_add_u64 v[22:23], v[22:23], 0, 8
	s_addc_u32 s23, s13, -1
	s_mov_b64 s[26:27], 0
	s_mov_b64 s[30:31], 0
                                        ; implicit-def: $sgpr28_sgpr29
	s_branch .LBB561_45
.LBB561_43:                             ;   in Loop: Header=BB561_45 Depth=1
	global_load_dwordx2 v[28:29], v[22:23], off
	global_load_dwordx2 v[30:31], v[26:27], off
	s_add_u32 s30, s30, 1
	s_addc_u32 s31, s31, 0
	s_andn2_b64 s[28:29], s[28:29], exec
	v_lshl_add_u64 v[26:27], v[26:27], 0, 8
	v_lshl_add_u64 v[22:23], v[22:23], 0, 8
	s_waitcnt vmcnt(0)
	v_cmp_ne_u64_e32 vcc, v[28:29], v[30:31]
	s_and_b64 s[34:35], vcc, exec
	s_or_b64 s[28:29], s[28:29], s[34:35]
.LBB561_44:                             ;   in Loop: Header=BB561_45 Depth=1
	s_and_b64 s[34:35], exec, s[28:29]
	s_or_b64 s[26:27], s[34:35], s[26:27]
	v_mov_b64_e32 v[28:29], s[30:31]
	s_andn2_b64 exec, exec, s[26:27]
	s_cbranch_execz .LBB561_47
.LBB561_45:                             ; =>This Inner Loop Header: Depth=1
	s_or_b64 s[28:29], s[28:29], exec
	s_cmp_eq_u64 s[22:23], s[30:31]
	s_cbranch_scc0 .LBB561_43
; %bb.46:                               ;   in Loop: Header=BB561_45 Depth=1
                                        ; implicit-def: $vgpr26_vgpr27
                                        ; implicit-def: $vgpr22_vgpr23
	s_mov_b64 s[30:31], s[12:13]
	s_branch .LBB561_44
.LBB561_47:
	s_or_b64 exec, exec, s[26:27]
	v_cmp_gt_i64_e32 vcc, s[12:13], v[28:29]
	s_mov_b32 s21, 0
	v_mov_b32_e32 v45, s21
	v_cndmask_b32_e64 v44, 0, 1, vcc
.LBB561_48:
	s_or_b64 exec, exec, s[18:19]
.LBB561_49:
	v_mul_lo_u32 v1, v17, s12
	v_mul_lo_u32 v26, v16, s13
	v_mad_u64_u32 v[22:23], s[18:19], v16, s12, 0
	v_add3_u32 v23, v23, v26, v1
	s_and_b64 vcc, exec, s[2:3]
	v_lshl_add_u64 v[22:23], v[22:23], 3, s[14:15]
	s_cbranch_vccnz .LBB561_58
; %bb.50:
	global_load_dwordx2 v[26:27], v[24:25], off
	global_load_dwordx2 v[28:29], v[22:23], off
	v_mov_b64_e32 v[38:39], 1
	s_waitcnt vmcnt(0)
	v_cmp_eq_u64_e32 vcc, v[26:27], v[28:29]
	s_and_saveexec_b64 s[18:19], vcc
	s_cbranch_execz .LBB561_57
; %bb.51:
	s_add_u32 s22, s12, -1
	v_lshl_add_u64 v[26:27], v[22:23], 0, 8
	v_lshl_add_u64 v[24:25], v[24:25], 0, 8
	s_addc_u32 s23, s13, -1
	s_mov_b64 s[26:27], 0
	s_mov_b64 s[30:31], 0
                                        ; implicit-def: $sgpr28_sgpr29
	s_branch .LBB561_54
.LBB561_52:                             ;   in Loop: Header=BB561_54 Depth=1
	global_load_dwordx2 v[28:29], v[24:25], off
	global_load_dwordx2 v[30:31], v[26:27], off
	s_add_u32 s30, s30, 1
	s_addc_u32 s31, s31, 0
	s_andn2_b64 s[28:29], s[28:29], exec
	v_lshl_add_u64 v[26:27], v[26:27], 0, 8
	v_lshl_add_u64 v[24:25], v[24:25], 0, 8
	s_waitcnt vmcnt(0)
	v_cmp_ne_u64_e32 vcc, v[28:29], v[30:31]
	s_and_b64 s[34:35], vcc, exec
	s_or_b64 s[28:29], s[28:29], s[34:35]
.LBB561_53:                             ;   in Loop: Header=BB561_54 Depth=1
	s_and_b64 s[34:35], exec, s[28:29]
	s_or_b64 s[26:27], s[34:35], s[26:27]
	v_mov_b64_e32 v[28:29], s[30:31]
	s_andn2_b64 exec, exec, s[26:27]
	s_cbranch_execz .LBB561_56
.LBB561_54:                             ; =>This Inner Loop Header: Depth=1
	s_or_b64 s[28:29], s[28:29], exec
	s_cmp_eq_u64 s[22:23], s[30:31]
	s_cbranch_scc0 .LBB561_52
; %bb.55:                               ;   in Loop: Header=BB561_54 Depth=1
                                        ; implicit-def: $vgpr26_vgpr27
                                        ; implicit-def: $vgpr24_vgpr25
	s_mov_b64 s[30:31], s[12:13]
	s_branch .LBB561_53
.LBB561_56:
	s_or_b64 exec, exec, s[26:27]
	v_cmp_gt_i64_e32 vcc, s[12:13], v[28:29]
	s_mov_b32 s21, 0
	v_mov_b32_e32 v39, s21
	v_cndmask_b32_e64 v38, 0, 1, vcc
.LBB561_57:
	s_or_b64 exec, exec, s[18:19]
.LBB561_58:
	v_mul_lo_u32 v1, v15, s12
	v_mul_lo_u32 v26, v14, s13
	v_mad_u64_u32 v[24:25], s[18:19], v14, s12, 0
	v_add3_u32 v25, v25, v26, v1
	v_mov_b64_e32 v[48:49], 0
	s_and_b64 vcc, exec, s[2:3]
	v_lshl_add_u64 v[24:25], v[24:25], 3, s[14:15]
	v_mov_b64_e32 v[46:47], v[48:49]
	s_cbranch_vccnz .LBB561_67
; %bb.59:
	global_load_dwordx2 v[26:27], v[22:23], off
	global_load_dwordx2 v[28:29], v[24:25], off
	v_mov_b64_e32 v[46:47], 1
	s_waitcnt vmcnt(0)
	v_cmp_eq_u64_e32 vcc, v[26:27], v[28:29]
	s_and_saveexec_b64 s[18:19], vcc
	s_cbranch_execz .LBB561_66
; %bb.60:
	s_add_u32 s22, s12, -1
	v_lshl_add_u64 v[26:27], v[24:25], 0, 8
	v_lshl_add_u64 v[22:23], v[22:23], 0, 8
	s_addc_u32 s23, s13, -1
	s_mov_b64 s[26:27], 0
	s_mov_b64 s[30:31], 0
                                        ; implicit-def: $sgpr28_sgpr29
	s_branch .LBB561_63
.LBB561_61:                             ;   in Loop: Header=BB561_63 Depth=1
	global_load_dwordx2 v[28:29], v[22:23], off
	global_load_dwordx2 v[30:31], v[26:27], off
	s_add_u32 s30, s30, 1
	s_addc_u32 s31, s31, 0
	s_andn2_b64 s[28:29], s[28:29], exec
	v_lshl_add_u64 v[26:27], v[26:27], 0, 8
	v_lshl_add_u64 v[22:23], v[22:23], 0, 8
	s_waitcnt vmcnt(0)
	v_cmp_ne_u64_e32 vcc, v[28:29], v[30:31]
	s_and_b64 s[34:35], vcc, exec
	s_or_b64 s[28:29], s[28:29], s[34:35]
.LBB561_62:                             ;   in Loop: Header=BB561_63 Depth=1
	s_and_b64 s[34:35], exec, s[28:29]
	s_or_b64 s[26:27], s[34:35], s[26:27]
	v_mov_b64_e32 v[28:29], s[30:31]
	s_andn2_b64 exec, exec, s[26:27]
	s_cbranch_execz .LBB561_65
.LBB561_63:                             ; =>This Inner Loop Header: Depth=1
	s_or_b64 s[28:29], s[28:29], exec
	s_cmp_eq_u64 s[22:23], s[30:31]
	s_cbranch_scc0 .LBB561_61
; %bb.64:                               ;   in Loop: Header=BB561_63 Depth=1
                                        ; implicit-def: $vgpr26_vgpr27
                                        ; implicit-def: $vgpr22_vgpr23
	s_mov_b64 s[30:31], s[12:13]
	s_branch .LBB561_62
.LBB561_65:
	s_or_b64 exec, exec, s[26:27]
	v_cmp_gt_i64_e32 vcc, s[12:13], v[28:29]
	s_mov_b32 s21, 0
	v_mov_b32_e32 v47, s21
	v_cndmask_b32_e64 v46, 0, 1, vcc
.LBB561_66:
	s_or_b64 exec, exec, s[18:19]
.LBB561_67:
	v_mul_lo_u32 v1, v13, s12
	v_mul_lo_u32 v26, v12, s13
	v_mad_u64_u32 v[22:23], s[18:19], v12, s12, 0
	v_add3_u32 v23, v23, v26, v1
	s_and_b64 vcc, exec, s[2:3]
	v_lshl_add_u64 v[22:23], v[22:23], 3, s[14:15]
	s_cbranch_vccnz .LBB561_76
; %bb.68:
	global_load_dwordx2 v[26:27], v[24:25], off
	global_load_dwordx2 v[28:29], v[22:23], off
	v_mov_b64_e32 v[48:49], 1
	s_waitcnt vmcnt(0)
	v_cmp_eq_u64_e32 vcc, v[26:27], v[28:29]
	s_and_saveexec_b64 s[18:19], vcc
	s_cbranch_execz .LBB561_75
; %bb.69:
	s_add_u32 s22, s12, -1
	v_lshl_add_u64 v[26:27], v[22:23], 0, 8
	v_lshl_add_u64 v[24:25], v[24:25], 0, 8
	s_addc_u32 s23, s13, -1
	s_mov_b64 s[26:27], 0
	s_mov_b64 s[30:31], 0
                                        ; implicit-def: $sgpr28_sgpr29
	s_branch .LBB561_72
.LBB561_70:                             ;   in Loop: Header=BB561_72 Depth=1
	global_load_dwordx2 v[28:29], v[24:25], off
	global_load_dwordx2 v[30:31], v[26:27], off
	s_add_u32 s30, s30, 1
	s_addc_u32 s31, s31, 0
	s_andn2_b64 s[28:29], s[28:29], exec
	v_lshl_add_u64 v[26:27], v[26:27], 0, 8
	v_lshl_add_u64 v[24:25], v[24:25], 0, 8
	s_waitcnt vmcnt(0)
	v_cmp_ne_u64_e32 vcc, v[28:29], v[30:31]
	s_and_b64 s[34:35], vcc, exec
	s_or_b64 s[28:29], s[28:29], s[34:35]
.LBB561_71:                             ;   in Loop: Header=BB561_72 Depth=1
	s_and_b64 s[34:35], exec, s[28:29]
	s_or_b64 s[26:27], s[34:35], s[26:27]
	v_mov_b64_e32 v[28:29], s[30:31]
	s_andn2_b64 exec, exec, s[26:27]
	s_cbranch_execz .LBB561_74
.LBB561_72:                             ; =>This Inner Loop Header: Depth=1
	s_or_b64 s[28:29], s[28:29], exec
	s_cmp_eq_u64 s[22:23], s[30:31]
	s_cbranch_scc0 .LBB561_70
; %bb.73:                               ;   in Loop: Header=BB561_72 Depth=1
                                        ; implicit-def: $vgpr26_vgpr27
                                        ; implicit-def: $vgpr24_vgpr25
	s_mov_b64 s[30:31], s[12:13]
	s_branch .LBB561_71
.LBB561_74:
	s_or_b64 exec, exec, s[26:27]
	v_cmp_gt_i64_e32 vcc, s[12:13], v[28:29]
	s_mov_b32 s21, 0
	v_mov_b32_e32 v49, s21
	v_cndmask_b32_e64 v48, 0, 1, vcc
.LBB561_75:
	s_or_b64 exec, exec, s[18:19]
.LBB561_76:
	v_mul_lo_u32 v1, v11, s12
	v_mul_lo_u32 v26, v10, s13
	v_mad_u64_u32 v[24:25], s[18:19], v10, s12, 0
	v_add3_u32 v25, v25, v26, v1
	v_mov_b64_e32 v[52:53], 0
	s_and_b64 vcc, exec, s[2:3]
	v_lshl_add_u64 v[24:25], v[24:25], 3, s[14:15]
	v_mov_b64_e32 v[50:51], v[52:53]
	s_cbranch_vccnz .LBB561_85
; %bb.77:
	global_load_dwordx2 v[26:27], v[22:23], off
	global_load_dwordx2 v[28:29], v[24:25], off
	v_mov_b64_e32 v[50:51], 1
	s_waitcnt vmcnt(0)
	v_cmp_eq_u64_e32 vcc, v[26:27], v[28:29]
	s_and_saveexec_b64 s[18:19], vcc
	s_cbranch_execz .LBB561_84
; %bb.78:
	s_add_u32 s22, s12, -1
	v_lshl_add_u64 v[26:27], v[24:25], 0, 8
	v_lshl_add_u64 v[22:23], v[22:23], 0, 8
	s_addc_u32 s23, s13, -1
	s_mov_b64 s[26:27], 0
	s_mov_b64 s[30:31], 0
                                        ; implicit-def: $sgpr28_sgpr29
	s_branch .LBB561_81
.LBB561_79:                             ;   in Loop: Header=BB561_81 Depth=1
	global_load_dwordx2 v[28:29], v[22:23], off
	global_load_dwordx2 v[30:31], v[26:27], off
	s_add_u32 s30, s30, 1
	s_addc_u32 s31, s31, 0
	s_andn2_b64 s[28:29], s[28:29], exec
	v_lshl_add_u64 v[26:27], v[26:27], 0, 8
	v_lshl_add_u64 v[22:23], v[22:23], 0, 8
	s_waitcnt vmcnt(0)
	v_cmp_ne_u64_e32 vcc, v[28:29], v[30:31]
	s_and_b64 s[34:35], vcc, exec
	s_or_b64 s[28:29], s[28:29], s[34:35]
.LBB561_80:                             ;   in Loop: Header=BB561_81 Depth=1
	s_and_b64 s[34:35], exec, s[28:29]
	s_or_b64 s[26:27], s[34:35], s[26:27]
	v_mov_b64_e32 v[28:29], s[30:31]
	s_andn2_b64 exec, exec, s[26:27]
	s_cbranch_execz .LBB561_83
.LBB561_81:                             ; =>This Inner Loop Header: Depth=1
	s_or_b64 s[28:29], s[28:29], exec
	s_cmp_eq_u64 s[22:23], s[30:31]
	s_cbranch_scc0 .LBB561_79
; %bb.82:                               ;   in Loop: Header=BB561_81 Depth=1
                                        ; implicit-def: $vgpr26_vgpr27
                                        ; implicit-def: $vgpr22_vgpr23
	s_mov_b64 s[30:31], s[12:13]
	s_branch .LBB561_80
.LBB561_83:
	s_or_b64 exec, exec, s[26:27]
	v_cmp_gt_i64_e32 vcc, s[12:13], v[28:29]
	s_mov_b32 s21, 0
	v_mov_b32_e32 v51, s21
	v_cndmask_b32_e64 v50, 0, 1, vcc
.LBB561_84:
	s_or_b64 exec, exec, s[18:19]
.LBB561_85:
	v_mul_lo_u32 v1, v9, s12
	v_mul_lo_u32 v26, v8, s13
	v_mad_u64_u32 v[22:23], s[18:19], v8, s12, 0
	v_add3_u32 v23, v23, v26, v1
	s_and_b64 vcc, exec, s[2:3]
	v_lshl_add_u64 v[22:23], v[22:23], 3, s[14:15]
	s_cbranch_vccnz .LBB561_94
; %bb.86:
	global_load_dwordx2 v[26:27], v[24:25], off
	global_load_dwordx2 v[28:29], v[22:23], off
	v_mov_b64_e32 v[52:53], 1
	s_waitcnt vmcnt(0)
	v_cmp_eq_u64_e32 vcc, v[26:27], v[28:29]
	s_and_saveexec_b64 s[18:19], vcc
	s_cbranch_execz .LBB561_93
; %bb.87:
	s_add_u32 s22, s12, -1
	v_lshl_add_u64 v[26:27], v[22:23], 0, 8
	v_lshl_add_u64 v[24:25], v[24:25], 0, 8
	s_addc_u32 s23, s13, -1
	s_mov_b64 s[26:27], 0
	s_mov_b64 s[30:31], 0
                                        ; implicit-def: $sgpr28_sgpr29
	s_branch .LBB561_90
.LBB561_88:                             ;   in Loop: Header=BB561_90 Depth=1
	global_load_dwordx2 v[28:29], v[24:25], off
	global_load_dwordx2 v[30:31], v[26:27], off
	s_add_u32 s30, s30, 1
	s_addc_u32 s31, s31, 0
	s_andn2_b64 s[28:29], s[28:29], exec
	v_lshl_add_u64 v[26:27], v[26:27], 0, 8
	v_lshl_add_u64 v[24:25], v[24:25], 0, 8
	s_waitcnt vmcnt(0)
	v_cmp_ne_u64_e32 vcc, v[28:29], v[30:31]
	s_and_b64 s[34:35], vcc, exec
	s_or_b64 s[28:29], s[28:29], s[34:35]
.LBB561_89:                             ;   in Loop: Header=BB561_90 Depth=1
	s_and_b64 s[34:35], exec, s[28:29]
	s_or_b64 s[26:27], s[34:35], s[26:27]
	v_mov_b64_e32 v[28:29], s[30:31]
	s_andn2_b64 exec, exec, s[26:27]
	s_cbranch_execz .LBB561_92
.LBB561_90:                             ; =>This Inner Loop Header: Depth=1
	s_or_b64 s[28:29], s[28:29], exec
	s_cmp_eq_u64 s[22:23], s[30:31]
	s_cbranch_scc0 .LBB561_88
; %bb.91:                               ;   in Loop: Header=BB561_90 Depth=1
                                        ; implicit-def: $vgpr26_vgpr27
                                        ; implicit-def: $vgpr24_vgpr25
	s_mov_b64 s[30:31], s[12:13]
	s_branch .LBB561_89
.LBB561_92:
	s_or_b64 exec, exec, s[26:27]
	v_cmp_gt_i64_e32 vcc, s[12:13], v[28:29]
	s_mov_b32 s21, 0
	v_mov_b32_e32 v53, s21
	v_cndmask_b32_e64 v52, 0, 1, vcc
.LBB561_93:
	s_or_b64 exec, exec, s[18:19]
.LBB561_94:
	v_mul_lo_u32 v1, v7, s12
	v_mul_lo_u32 v26, v6, s13
	v_mad_u64_u32 v[24:25], s[18:19], v6, s12, 0
	v_add3_u32 v25, v25, v26, v1
	v_mov_b64_e32 v[56:57], 0
	s_and_b64 vcc, exec, s[2:3]
	v_lshl_add_u64 v[24:25], v[24:25], 3, s[14:15]
	v_mov_b64_e32 v[54:55], v[56:57]
	s_cbranch_vccnz .LBB561_103
; %bb.95:
	global_load_dwordx2 v[26:27], v[22:23], off
	global_load_dwordx2 v[28:29], v[24:25], off
	v_mov_b64_e32 v[54:55], 1
	s_waitcnt vmcnt(0)
	v_cmp_eq_u64_e32 vcc, v[26:27], v[28:29]
	s_and_saveexec_b64 s[18:19], vcc
	s_cbranch_execz .LBB561_102
; %bb.96:
	s_add_u32 s22, s12, -1
	v_lshl_add_u64 v[26:27], v[24:25], 0, 8
	v_lshl_add_u64 v[22:23], v[22:23], 0, 8
	s_addc_u32 s23, s13, -1
	s_mov_b64 s[26:27], 0
	s_mov_b64 s[30:31], 0
                                        ; implicit-def: $sgpr28_sgpr29
	s_branch .LBB561_99
.LBB561_97:                             ;   in Loop: Header=BB561_99 Depth=1
	global_load_dwordx2 v[28:29], v[22:23], off
	global_load_dwordx2 v[30:31], v[26:27], off
	s_add_u32 s30, s30, 1
	s_addc_u32 s31, s31, 0
	s_andn2_b64 s[28:29], s[28:29], exec
	v_lshl_add_u64 v[26:27], v[26:27], 0, 8
	v_lshl_add_u64 v[22:23], v[22:23], 0, 8
	s_waitcnt vmcnt(0)
	v_cmp_ne_u64_e32 vcc, v[28:29], v[30:31]
	s_and_b64 s[34:35], vcc, exec
	s_or_b64 s[28:29], s[28:29], s[34:35]
.LBB561_98:                             ;   in Loop: Header=BB561_99 Depth=1
	s_and_b64 s[34:35], exec, s[28:29]
	s_or_b64 s[26:27], s[34:35], s[26:27]
	v_mov_b64_e32 v[28:29], s[30:31]
	s_andn2_b64 exec, exec, s[26:27]
	s_cbranch_execz .LBB561_101
.LBB561_99:                             ; =>This Inner Loop Header: Depth=1
	s_or_b64 s[28:29], s[28:29], exec
	s_cmp_eq_u64 s[22:23], s[30:31]
	s_cbranch_scc0 .LBB561_97
; %bb.100:                              ;   in Loop: Header=BB561_99 Depth=1
                                        ; implicit-def: $vgpr26_vgpr27
                                        ; implicit-def: $vgpr22_vgpr23
	s_mov_b64 s[30:31], s[12:13]
	s_branch .LBB561_98
.LBB561_101:
	s_or_b64 exec, exec, s[26:27]
	v_cmp_gt_i64_e32 vcc, s[12:13], v[28:29]
	s_mov_b32 s21, 0
	v_mov_b32_e32 v55, s21
	v_cndmask_b32_e64 v54, 0, 1, vcc
.LBB561_102:
	s_or_b64 exec, exec, s[18:19]
.LBB561_103:
	v_mul_lo_u32 v1, v5, s12
	v_mul_lo_u32 v26, v4, s13
	v_mad_u64_u32 v[22:23], s[18:19], v4, s12, 0
	v_add3_u32 v23, v23, v26, v1
	s_and_b64 vcc, exec, s[2:3]
	v_lshl_add_u64 v[22:23], v[22:23], 3, s[14:15]
	s_cbranch_vccnz .LBB561_112
; %bb.104:
	global_load_dwordx2 v[26:27], v[24:25], off
	global_load_dwordx2 v[28:29], v[22:23], off
	v_mov_b64_e32 v[56:57], 1
	s_waitcnt vmcnt(0)
	v_cmp_eq_u64_e32 vcc, v[26:27], v[28:29]
	s_and_saveexec_b64 s[18:19], vcc
	s_cbranch_execz .LBB561_111
; %bb.105:
	s_add_u32 s22, s12, -1
	v_lshl_add_u64 v[26:27], v[22:23], 0, 8
	v_lshl_add_u64 v[24:25], v[24:25], 0, 8
	s_addc_u32 s23, s13, -1
	s_mov_b64 s[26:27], 0
	s_mov_b64 s[30:31], 0
                                        ; implicit-def: $sgpr28_sgpr29
	s_branch .LBB561_108
.LBB561_106:                            ;   in Loop: Header=BB561_108 Depth=1
	global_load_dwordx2 v[28:29], v[24:25], off
	global_load_dwordx2 v[30:31], v[26:27], off
	s_add_u32 s30, s30, 1
	s_addc_u32 s31, s31, 0
	s_andn2_b64 s[28:29], s[28:29], exec
	v_lshl_add_u64 v[26:27], v[26:27], 0, 8
	v_lshl_add_u64 v[24:25], v[24:25], 0, 8
	s_waitcnt vmcnt(0)
	v_cmp_ne_u64_e32 vcc, v[28:29], v[30:31]
	s_and_b64 s[34:35], vcc, exec
	s_or_b64 s[28:29], s[28:29], s[34:35]
.LBB561_107:                            ;   in Loop: Header=BB561_108 Depth=1
	s_and_b64 s[34:35], exec, s[28:29]
	s_or_b64 s[26:27], s[34:35], s[26:27]
	v_mov_b64_e32 v[28:29], s[30:31]
	s_andn2_b64 exec, exec, s[26:27]
	s_cbranch_execz .LBB561_110
.LBB561_108:                            ; =>This Inner Loop Header: Depth=1
	s_or_b64 s[28:29], s[28:29], exec
	s_cmp_eq_u64 s[22:23], s[30:31]
	s_cbranch_scc0 .LBB561_106
; %bb.109:                              ;   in Loop: Header=BB561_108 Depth=1
                                        ; implicit-def: $vgpr26_vgpr27
                                        ; implicit-def: $vgpr24_vgpr25
	s_mov_b64 s[30:31], s[12:13]
	s_branch .LBB561_107
.LBB561_110:
	s_or_b64 exec, exec, s[26:27]
	v_cmp_gt_i64_e32 vcc, s[12:13], v[28:29]
	s_mov_b32 s21, 0
	v_mov_b32_e32 v57, s21
	v_cndmask_b32_e64 v56, 0, 1, vcc
.LBB561_111:
	s_or_b64 exec, exec, s[18:19]
.LBB561_112:
	s_and_b64 vcc, exec, s[2:3]
	s_cbranch_vccnz .LBB561_119
; %bb.113:
	v_mul_lo_u32 v1, v3, s12
	v_mul_lo_u32 v26, v2, s13
	v_mad_u64_u32 v[24:25], s[18:19], v2, s12, 0
	v_add3_u32 v25, v25, v26, v1
	v_lshl_add_u64 v[24:25], v[24:25], 3, s[14:15]
	global_load_dwordx2 v[26:27], v[22:23], off
	global_load_dwordx2 v[28:29], v[24:25], off
	v_mov_b64_e32 v[58:59], 1
	s_waitcnt vmcnt(0)
	v_cmp_eq_u64_e32 vcc, v[26:27], v[28:29]
	s_and_saveexec_b64 s[18:19], vcc
	s_cbranch_execz .LBB561_121
; %bb.114:
	s_add_u32 s22, s12, -1
	v_lshl_add_u64 v[24:25], v[24:25], 0, 8
	v_lshl_add_u64 v[22:23], v[22:23], 0, 8
	s_addc_u32 s23, s13, -1
	s_mov_b64 s[26:27], 0
	s_mov_b64 s[30:31], 0
                                        ; implicit-def: $sgpr28_sgpr29
	s_branch .LBB561_117
.LBB561_115:                            ;   in Loop: Header=BB561_117 Depth=1
	global_load_dwordx2 v[26:27], v[22:23], off
	global_load_dwordx2 v[28:29], v[24:25], off
	s_add_u32 s30, s30, 1
	s_addc_u32 s31, s31, 0
	s_andn2_b64 s[28:29], s[28:29], exec
	v_lshl_add_u64 v[24:25], v[24:25], 0, 8
	v_lshl_add_u64 v[22:23], v[22:23], 0, 8
	s_waitcnt vmcnt(0)
	v_cmp_ne_u64_e32 vcc, v[26:27], v[28:29]
	s_and_b64 s[34:35], vcc, exec
	s_or_b64 s[28:29], s[28:29], s[34:35]
.LBB561_116:                            ;   in Loop: Header=BB561_117 Depth=1
	s_and_b64 s[34:35], exec, s[28:29]
	s_or_b64 s[26:27], s[34:35], s[26:27]
	v_mov_b64_e32 v[26:27], s[30:31]
	s_andn2_b64 exec, exec, s[26:27]
	s_cbranch_execz .LBB561_120
.LBB561_117:                            ; =>This Inner Loop Header: Depth=1
	s_or_b64 s[28:29], s[28:29], exec
	s_cmp_eq_u64 s[22:23], s[30:31]
	s_cbranch_scc0 .LBB561_115
; %bb.118:                              ;   in Loop: Header=BB561_117 Depth=1
                                        ; implicit-def: $vgpr24_vgpr25
                                        ; implicit-def: $vgpr22_vgpr23
	s_mov_b64 s[30:31], s[12:13]
	s_branch .LBB561_116
.LBB561_119:
	v_mov_b64_e32 v[58:59], 0
	s_branch .LBB561_122
.LBB561_120:
	s_or_b64 exec, exec, s[26:27]
	v_cmp_gt_i64_e32 vcc, s[12:13], v[26:27]
	s_mov_b32 s21, 0
	v_mov_b32_e32 v59, s21
	v_cndmask_b32_e64 v58, 0, 1, vcc
.LBB561_121:
	s_or_b64 exec, exec, s[18:19]
.LBB561_122:
	v_cmp_ne_u32_e32 vcc, 0, v0
	s_waitcnt lgkmcnt(0)
	v_mov_b64_e32 v[22:23], s[16:17]
	s_barrier
	s_and_saveexec_b64 s[18:19], vcc
	s_cbranch_execz .LBB561_124
; %bb.123:
	v_add_u32_e32 v1, -8, v40
	ds_read_b64 v[22:23], v1
.LBB561_124:
	s_or_b64 exec, exec, s[18:19]
	s_mov_b64 s[26:27], 0
	s_and_b64 vcc, exec, s[2:3]
	s_mov_b64 s[18:19], 0
	s_cbranch_vccnz .LBB561_133
; %bb.125:
	v_mul_lo_u32 v1, v3, s12
	v_mul_lo_u32 v26, v2, s13
	v_mad_u64_u32 v[24:25], s[2:3], v2, s12, 0
	v_add3_u32 v25, v25, v26, v1
	s_waitcnt lgkmcnt(0)
	v_mul_lo_u32 v1, v23, s12
	v_mul_lo_u32 v26, v22, s13
	v_mad_u64_u32 v[22:23], s[2:3], v22, s12, 0
	v_add3_u32 v23, v23, v26, v1
	v_lshl_add_u64 v[24:25], v[24:25], 3, s[14:15]
	v_lshl_add_u64 v[22:23], v[22:23], 3, s[14:15]
	global_load_dwordx2 v[26:27], v[24:25], off
	global_load_dwordx2 v[28:29], v[22:23], off
	s_mov_b64 s[18:19], -1
	s_waitcnt vmcnt(0)
	v_cmp_eq_u64_e32 vcc, v[26:27], v[28:29]
	s_and_saveexec_b64 s[2:3], vcc
	s_cbranch_execz .LBB561_132
; %bb.126:
	s_add_u32 s18, s12, -1
	v_lshl_add_u64 v[22:23], v[22:23], 0, 8
	v_lshl_add_u64 v[24:25], v[24:25], 0, 8
	s_addc_u32 s19, s13, -1
	s_mov_b64 s[22:23], 0
	s_mov_b64 s[30:31], 0
                                        ; implicit-def: $sgpr28_sgpr29
	s_branch .LBB561_129
.LBB561_127:                            ;   in Loop: Header=BB561_129 Depth=1
	global_load_dwordx2 v[26:27], v[24:25], off
	global_load_dwordx2 v[28:29], v[22:23], off
	s_add_u32 s30, s30, 1
	s_addc_u32 s31, s31, 0
	s_andn2_b64 s[28:29], s[28:29], exec
	v_lshl_add_u64 v[22:23], v[22:23], 0, 8
	v_lshl_add_u64 v[24:25], v[24:25], 0, 8
	s_waitcnt vmcnt(0)
	v_cmp_ne_u64_e32 vcc, v[26:27], v[28:29]
	s_and_b64 s[34:35], vcc, exec
	s_or_b64 s[28:29], s[28:29], s[34:35]
.LBB561_128:                            ;   in Loop: Header=BB561_129 Depth=1
	s_and_b64 s[34:35], exec, s[28:29]
	s_or_b64 s[22:23], s[34:35], s[22:23]
	v_mov_b64_e32 v[26:27], s[30:31]
	s_andn2_b64 exec, exec, s[22:23]
	s_cbranch_execz .LBB561_131
.LBB561_129:                            ; =>This Inner Loop Header: Depth=1
	s_or_b64 s[28:29], s[28:29], exec
	s_cmp_eq_u64 s[18:19], s[30:31]
	s_cbranch_scc0 .LBB561_127
; %bb.130:                              ;   in Loop: Header=BB561_129 Depth=1
                                        ; implicit-def: $vgpr22_vgpr23
                                        ; implicit-def: $vgpr24_vgpr25
	s_mov_b64 s[30:31], s[12:13]
	s_branch .LBB561_128
.LBB561_131:
	s_or_b64 exec, exec, s[22:23]
	v_cmp_gt_i64_e32 vcc, s[12:13], v[26:27]
	s_orn2_b64 s[18:19], vcc, exec
.LBB561_132:
	s_or_b64 exec, exec, s[2:3]
.LBB561_133:
	s_mov_b64 s[22:23], -1
	s_and_b64 vcc, exec, s[26:27]
	s_cbranch_vccz .LBB561_37
.LBB561_134:
	s_mul_i32 s21, s24, 0xfffff500
	s_add_i32 s21, s21, s10
	s_waitcnt lgkmcnt(0)
	v_mad_u32_u24 v22, v0, 11, 10
	v_cmp_gt_i64_e64 s[2:3], s[12:13], 0
	v_cmp_gt_u32_e32 vcc, s21, v22
	v_mul_u32_u24_e32 v1, 11, v0
	v_cndmask_b32_e64 v22, 0, 1, s[2:3]
	v_cmp_ne_u32_e64 s[2:3], 1, v22
	v_mov_b64_e32 v[42:43], v[36:37]
	ds_write_b64 v40, v[36:37]
	s_and_saveexec_b64 s[18:19], vcc
	s_cbranch_execz .LBB561_145
; %bb.135:
	s_and_b64 vcc, exec, s[2:3]
	s_cbranch_vccnz .LBB561_142
; %bb.136:
	v_mul_lo_u32 v24, v37, s12
	v_mul_lo_u32 v25, v36, s13
	v_mad_u64_u32 v[22:23], s[24:25], v36, s12, 0
	v_add3_u32 v23, v23, v25, v24
	v_mul_lo_u32 v24, v21, s12
	v_mul_lo_u32 v25, v20, s13
	v_mad_u64_u32 v[26:27], s[24:25], v20, s12, 0
	v_add3_u32 v27, v27, v25, v24
	v_lshl_add_u64 v[24:25], v[22:23], 3, s[14:15]
	v_lshl_add_u64 v[22:23], v[26:27], 3, s[14:15]
	global_load_dwordx2 v[26:27], v[24:25], off
	global_load_dwordx2 v[28:29], v[22:23], off
	v_mov_b64_e32 v[42:43], 1
	s_waitcnt vmcnt(0)
	v_cmp_eq_u64_e32 vcc, v[26:27], v[28:29]
	s_and_saveexec_b64 s[24:25], vcc
	s_cbranch_execz .LBB561_144
; %bb.137:
	s_add_u32 s26, s12, -1
	v_lshl_add_u64 v[22:23], v[22:23], 0, 8
	v_lshl_add_u64 v[24:25], v[24:25], 0, 8
	s_addc_u32 s27, s13, -1
	s_mov_b64 s[28:29], 0
	s_mov_b64 s[34:35], 0
                                        ; implicit-def: $sgpr30_sgpr31
	s_branch .LBB561_140
.LBB561_138:                            ;   in Loop: Header=BB561_140 Depth=1
	global_load_dwordx2 v[26:27], v[24:25], off
	global_load_dwordx2 v[28:29], v[22:23], off
	s_add_u32 s34, s34, 1
	s_addc_u32 s35, s35, 0
	s_andn2_b64 s[30:31], s[30:31], exec
	v_lshl_add_u64 v[22:23], v[22:23], 0, 8
	v_lshl_add_u64 v[24:25], v[24:25], 0, 8
	s_waitcnt vmcnt(0)
	v_cmp_ne_u64_e32 vcc, v[26:27], v[28:29]
	s_and_b64 s[36:37], vcc, exec
	s_or_b64 s[30:31], s[30:31], s[36:37]
.LBB561_139:                            ;   in Loop: Header=BB561_140 Depth=1
	s_and_b64 s[36:37], exec, s[30:31]
	s_or_b64 s[28:29], s[36:37], s[28:29]
	v_mov_b64_e32 v[26:27], s[34:35]
	s_andn2_b64 exec, exec, s[28:29]
	s_cbranch_execz .LBB561_143
.LBB561_140:                            ; =>This Inner Loop Header: Depth=1
	s_or_b64 s[30:31], s[30:31], exec
	s_cmp_eq_u64 s[26:27], s[34:35]
	s_cbranch_scc0 .LBB561_138
; %bb.141:                              ;   in Loop: Header=BB561_140 Depth=1
                                        ; implicit-def: $vgpr22_vgpr23
                                        ; implicit-def: $vgpr24_vgpr25
	s_mov_b64 s[34:35], s[12:13]
	s_branch .LBB561_139
.LBB561_142:
	v_mov_b64_e32 v[42:43], 0
	s_branch .LBB561_145
.LBB561_143:
	s_or_b64 exec, exec, s[28:29]
	v_cmp_gt_i64_e32 vcc, s[12:13], v[26:27]
	s_mov_b32 s26, 0
	v_mov_b32_e32 v43, s26
	v_cndmask_b32_e64 v42, 0, 1, vcc
.LBB561_144:
	s_or_b64 exec, exec, s[24:25]
.LBB561_145:
	s_or_b64 exec, exec, s[18:19]
	v_add_u32_e32 v22, 9, v1
	v_cmp_gt_u32_e32 vcc, s21, v22
	v_mov_b64_e32 v[44:45], v[20:21]
	s_and_saveexec_b64 s[18:19], vcc
	s_cbranch_execz .LBB561_156
; %bb.146:
	s_and_b64 vcc, exec, s[2:3]
	s_cbranch_vccnz .LBB561_153
; %bb.147:
	v_mul_lo_u32 v24, v21, s12
	v_mul_lo_u32 v25, v20, s13
	v_mad_u64_u32 v[22:23], s[24:25], v20, s12, 0
	v_add3_u32 v23, v23, v25, v24
	v_mul_lo_u32 v24, v19, s12
	v_mul_lo_u32 v25, v18, s13
	v_mad_u64_u32 v[26:27], s[24:25], v18, s12, 0
	v_add3_u32 v27, v27, v25, v24
	v_lshl_add_u64 v[24:25], v[22:23], 3, s[14:15]
	v_lshl_add_u64 v[22:23], v[26:27], 3, s[14:15]
	global_load_dwordx2 v[26:27], v[24:25], off
	global_load_dwordx2 v[28:29], v[22:23], off
	v_mov_b64_e32 v[44:45], 1
	s_waitcnt vmcnt(0)
	v_cmp_eq_u64_e32 vcc, v[26:27], v[28:29]
	s_and_saveexec_b64 s[24:25], vcc
	s_cbranch_execz .LBB561_155
; %bb.148:
	s_add_u32 s26, s12, -1
	v_lshl_add_u64 v[22:23], v[22:23], 0, 8
	v_lshl_add_u64 v[24:25], v[24:25], 0, 8
	s_addc_u32 s27, s13, -1
	s_mov_b64 s[28:29], 0
	s_mov_b64 s[34:35], 0
                                        ; implicit-def: $sgpr30_sgpr31
	s_branch .LBB561_151
.LBB561_149:                            ;   in Loop: Header=BB561_151 Depth=1
	global_load_dwordx2 v[26:27], v[24:25], off
	global_load_dwordx2 v[28:29], v[22:23], off
	s_add_u32 s34, s34, 1
	s_addc_u32 s35, s35, 0
	s_andn2_b64 s[30:31], s[30:31], exec
	v_lshl_add_u64 v[22:23], v[22:23], 0, 8
	v_lshl_add_u64 v[24:25], v[24:25], 0, 8
	s_waitcnt vmcnt(0)
	v_cmp_ne_u64_e32 vcc, v[26:27], v[28:29]
	s_and_b64 s[36:37], vcc, exec
	s_or_b64 s[30:31], s[30:31], s[36:37]
.LBB561_150:                            ;   in Loop: Header=BB561_151 Depth=1
	s_and_b64 s[36:37], exec, s[30:31]
	s_or_b64 s[28:29], s[36:37], s[28:29]
	v_mov_b64_e32 v[26:27], s[34:35]
	s_andn2_b64 exec, exec, s[28:29]
	s_cbranch_execz .LBB561_154
.LBB561_151:                            ; =>This Inner Loop Header: Depth=1
	s_or_b64 s[30:31], s[30:31], exec
	s_cmp_eq_u64 s[26:27], s[34:35]
	s_cbranch_scc0 .LBB561_149
; %bb.152:                              ;   in Loop: Header=BB561_151 Depth=1
                                        ; implicit-def: $vgpr22_vgpr23
                                        ; implicit-def: $vgpr24_vgpr25
	s_mov_b64 s[34:35], s[12:13]
	s_branch .LBB561_150
.LBB561_153:
	v_mov_b64_e32 v[44:45], 0
	s_branch .LBB561_156
.LBB561_154:
	s_or_b64 exec, exec, s[28:29]
	v_cmp_gt_i64_e32 vcc, s[12:13], v[26:27]
	s_mov_b32 s26, 0
	v_mov_b32_e32 v45, s26
	v_cndmask_b32_e64 v44, 0, 1, vcc
.LBB561_155:
	s_or_b64 exec, exec, s[24:25]
.LBB561_156:
	s_or_b64 exec, exec, s[18:19]
	v_add_u32_e32 v22, 8, v1
	v_cmp_gt_u32_e32 vcc, s21, v22
	v_mov_b64_e32 v[38:39], v[18:19]
	s_and_saveexec_b64 s[18:19], vcc
	s_cbranch_execz .LBB561_167
; %bb.157:
	s_and_b64 vcc, exec, s[2:3]
	s_cbranch_vccnz .LBB561_164
; %bb.158:
	v_mul_lo_u32 v24, v19, s12
	v_mul_lo_u32 v25, v18, s13
	v_mad_u64_u32 v[22:23], s[24:25], v18, s12, 0
	v_add3_u32 v23, v23, v25, v24
	v_mul_lo_u32 v24, v17, s12
	v_mul_lo_u32 v25, v16, s13
	v_mad_u64_u32 v[26:27], s[24:25], v16, s12, 0
	v_add3_u32 v27, v27, v25, v24
	v_lshl_add_u64 v[24:25], v[22:23], 3, s[14:15]
	v_lshl_add_u64 v[22:23], v[26:27], 3, s[14:15]
	global_load_dwordx2 v[26:27], v[24:25], off
	global_load_dwordx2 v[28:29], v[22:23], off
	v_mov_b64_e32 v[38:39], 1
	s_waitcnt vmcnt(0)
	v_cmp_eq_u64_e32 vcc, v[26:27], v[28:29]
	s_and_saveexec_b64 s[24:25], vcc
	s_cbranch_execz .LBB561_166
; %bb.159:
	s_add_u32 s26, s12, -1
	v_lshl_add_u64 v[22:23], v[22:23], 0, 8
	v_lshl_add_u64 v[24:25], v[24:25], 0, 8
	s_addc_u32 s27, s13, -1
	s_mov_b64 s[28:29], 0
	s_mov_b64 s[34:35], 0
                                        ; implicit-def: $sgpr30_sgpr31
	s_branch .LBB561_162
.LBB561_160:                            ;   in Loop: Header=BB561_162 Depth=1
	global_load_dwordx2 v[26:27], v[24:25], off
	global_load_dwordx2 v[28:29], v[22:23], off
	s_add_u32 s34, s34, 1
	s_addc_u32 s35, s35, 0
	s_andn2_b64 s[30:31], s[30:31], exec
	v_lshl_add_u64 v[22:23], v[22:23], 0, 8
	v_lshl_add_u64 v[24:25], v[24:25], 0, 8
	s_waitcnt vmcnt(0)
	v_cmp_ne_u64_e32 vcc, v[26:27], v[28:29]
	s_and_b64 s[36:37], vcc, exec
	s_or_b64 s[30:31], s[30:31], s[36:37]
.LBB561_161:                            ;   in Loop: Header=BB561_162 Depth=1
	s_and_b64 s[36:37], exec, s[30:31]
	s_or_b64 s[28:29], s[36:37], s[28:29]
	v_mov_b64_e32 v[26:27], s[34:35]
	s_andn2_b64 exec, exec, s[28:29]
	s_cbranch_execz .LBB561_165
.LBB561_162:                            ; =>This Inner Loop Header: Depth=1
	s_or_b64 s[30:31], s[30:31], exec
	s_cmp_eq_u64 s[26:27], s[34:35]
	s_cbranch_scc0 .LBB561_160
; %bb.163:                              ;   in Loop: Header=BB561_162 Depth=1
                                        ; implicit-def: $vgpr22_vgpr23
                                        ; implicit-def: $vgpr24_vgpr25
	s_mov_b64 s[34:35], s[12:13]
	s_branch .LBB561_161
.LBB561_164:
	v_mov_b64_e32 v[38:39], 0
	s_branch .LBB561_167
.LBB561_165:
	s_or_b64 exec, exec, s[28:29]
	v_cmp_gt_i64_e32 vcc, s[12:13], v[26:27]
	s_mov_b32 s26, 0
	v_mov_b32_e32 v39, s26
	v_cndmask_b32_e64 v38, 0, 1, vcc
.LBB561_166:
	s_or_b64 exec, exec, s[24:25]
.LBB561_167:
	s_or_b64 exec, exec, s[18:19]
	v_add_u32_e32 v22, 7, v1
	v_cmp_gt_u32_e32 vcc, s21, v22
	v_mov_b64_e32 v[46:47], v[16:17]
	s_and_saveexec_b64 s[18:19], vcc
	s_cbranch_execz .LBB561_178
; %bb.168:
	s_and_b64 vcc, exec, s[2:3]
	s_cbranch_vccnz .LBB561_175
; %bb.169:
	v_mul_lo_u32 v24, v17, s12
	v_mul_lo_u32 v25, v16, s13
	v_mad_u64_u32 v[22:23], s[24:25], v16, s12, 0
	v_add3_u32 v23, v23, v25, v24
	v_mul_lo_u32 v24, v15, s12
	v_mul_lo_u32 v25, v14, s13
	v_mad_u64_u32 v[26:27], s[24:25], v14, s12, 0
	v_add3_u32 v27, v27, v25, v24
	v_lshl_add_u64 v[24:25], v[22:23], 3, s[14:15]
	v_lshl_add_u64 v[22:23], v[26:27], 3, s[14:15]
	global_load_dwordx2 v[26:27], v[24:25], off
	global_load_dwordx2 v[28:29], v[22:23], off
	v_mov_b64_e32 v[46:47], 1
	s_waitcnt vmcnt(0)
	v_cmp_eq_u64_e32 vcc, v[26:27], v[28:29]
	s_and_saveexec_b64 s[24:25], vcc
	s_cbranch_execz .LBB561_177
; %bb.170:
	s_add_u32 s26, s12, -1
	v_lshl_add_u64 v[22:23], v[22:23], 0, 8
	v_lshl_add_u64 v[24:25], v[24:25], 0, 8
	s_addc_u32 s27, s13, -1
	s_mov_b64 s[28:29], 0
	s_mov_b64 s[34:35], 0
                                        ; implicit-def: $sgpr30_sgpr31
	s_branch .LBB561_173
.LBB561_171:                            ;   in Loop: Header=BB561_173 Depth=1
	global_load_dwordx2 v[26:27], v[24:25], off
	global_load_dwordx2 v[28:29], v[22:23], off
	s_add_u32 s34, s34, 1
	s_addc_u32 s35, s35, 0
	s_andn2_b64 s[30:31], s[30:31], exec
	v_lshl_add_u64 v[22:23], v[22:23], 0, 8
	v_lshl_add_u64 v[24:25], v[24:25], 0, 8
	s_waitcnt vmcnt(0)
	v_cmp_ne_u64_e32 vcc, v[26:27], v[28:29]
	s_and_b64 s[36:37], vcc, exec
	s_or_b64 s[30:31], s[30:31], s[36:37]
.LBB561_172:                            ;   in Loop: Header=BB561_173 Depth=1
	s_and_b64 s[36:37], exec, s[30:31]
	s_or_b64 s[28:29], s[36:37], s[28:29]
	v_mov_b64_e32 v[26:27], s[34:35]
	s_andn2_b64 exec, exec, s[28:29]
	s_cbranch_execz .LBB561_176
.LBB561_173:                            ; =>This Inner Loop Header: Depth=1
	s_or_b64 s[30:31], s[30:31], exec
	s_cmp_eq_u64 s[26:27], s[34:35]
	s_cbranch_scc0 .LBB561_171
; %bb.174:                              ;   in Loop: Header=BB561_173 Depth=1
                                        ; implicit-def: $vgpr22_vgpr23
                                        ; implicit-def: $vgpr24_vgpr25
	s_mov_b64 s[34:35], s[12:13]
	s_branch .LBB561_172
.LBB561_175:
	v_mov_b64_e32 v[46:47], 0
	s_branch .LBB561_178
.LBB561_176:
	s_or_b64 exec, exec, s[28:29]
	v_cmp_gt_i64_e32 vcc, s[12:13], v[26:27]
	s_mov_b32 s26, 0
	v_mov_b32_e32 v47, s26
	v_cndmask_b32_e64 v46, 0, 1, vcc
.LBB561_177:
	s_or_b64 exec, exec, s[24:25]
.LBB561_178:
	s_or_b64 exec, exec, s[18:19]
	v_add_u32_e32 v22, 6, v1
	v_cmp_gt_u32_e32 vcc, s21, v22
	v_mov_b64_e32 v[48:49], v[14:15]
	s_and_saveexec_b64 s[18:19], vcc
	s_cbranch_execz .LBB561_189
; %bb.179:
	s_and_b64 vcc, exec, s[2:3]
	s_cbranch_vccnz .LBB561_186
; %bb.180:
	v_mul_lo_u32 v24, v15, s12
	v_mul_lo_u32 v25, v14, s13
	v_mad_u64_u32 v[22:23], s[24:25], v14, s12, 0
	v_add3_u32 v23, v23, v25, v24
	v_mul_lo_u32 v24, v13, s12
	v_mul_lo_u32 v25, v12, s13
	v_mad_u64_u32 v[26:27], s[24:25], v12, s12, 0
	v_add3_u32 v27, v27, v25, v24
	v_lshl_add_u64 v[24:25], v[22:23], 3, s[14:15]
	v_lshl_add_u64 v[22:23], v[26:27], 3, s[14:15]
	global_load_dwordx2 v[26:27], v[24:25], off
	global_load_dwordx2 v[28:29], v[22:23], off
	v_mov_b64_e32 v[48:49], 1
	s_waitcnt vmcnt(0)
	v_cmp_eq_u64_e32 vcc, v[26:27], v[28:29]
	s_and_saveexec_b64 s[24:25], vcc
	s_cbranch_execz .LBB561_188
; %bb.181:
	s_add_u32 s26, s12, -1
	v_lshl_add_u64 v[22:23], v[22:23], 0, 8
	v_lshl_add_u64 v[24:25], v[24:25], 0, 8
	s_addc_u32 s27, s13, -1
	s_mov_b64 s[28:29], 0
	s_mov_b64 s[34:35], 0
                                        ; implicit-def: $sgpr30_sgpr31
	s_branch .LBB561_184
.LBB561_182:                            ;   in Loop: Header=BB561_184 Depth=1
	global_load_dwordx2 v[26:27], v[24:25], off
	global_load_dwordx2 v[28:29], v[22:23], off
	s_add_u32 s34, s34, 1
	s_addc_u32 s35, s35, 0
	s_andn2_b64 s[30:31], s[30:31], exec
	v_lshl_add_u64 v[22:23], v[22:23], 0, 8
	v_lshl_add_u64 v[24:25], v[24:25], 0, 8
	s_waitcnt vmcnt(0)
	v_cmp_ne_u64_e32 vcc, v[26:27], v[28:29]
	s_and_b64 s[36:37], vcc, exec
	s_or_b64 s[30:31], s[30:31], s[36:37]
.LBB561_183:                            ;   in Loop: Header=BB561_184 Depth=1
	s_and_b64 s[36:37], exec, s[30:31]
	s_or_b64 s[28:29], s[36:37], s[28:29]
	v_mov_b64_e32 v[26:27], s[34:35]
	s_andn2_b64 exec, exec, s[28:29]
	s_cbranch_execz .LBB561_187
.LBB561_184:                            ; =>This Inner Loop Header: Depth=1
	s_or_b64 s[30:31], s[30:31], exec
	s_cmp_eq_u64 s[26:27], s[34:35]
	s_cbranch_scc0 .LBB561_182
; %bb.185:                              ;   in Loop: Header=BB561_184 Depth=1
                                        ; implicit-def: $vgpr22_vgpr23
                                        ; implicit-def: $vgpr24_vgpr25
	s_mov_b64 s[34:35], s[12:13]
	s_branch .LBB561_183
.LBB561_186:
	v_mov_b64_e32 v[48:49], 0
	s_branch .LBB561_189
.LBB561_187:
	s_or_b64 exec, exec, s[28:29]
	v_cmp_gt_i64_e32 vcc, s[12:13], v[26:27]
	s_mov_b32 s26, 0
	v_mov_b32_e32 v49, s26
	v_cndmask_b32_e64 v48, 0, 1, vcc
.LBB561_188:
	s_or_b64 exec, exec, s[24:25]
.LBB561_189:
	s_or_b64 exec, exec, s[18:19]
	v_add_u32_e32 v22, 5, v1
	v_cmp_gt_u32_e32 vcc, s21, v22
	v_mov_b64_e32 v[50:51], v[12:13]
	s_and_saveexec_b64 s[18:19], vcc
	s_cbranch_execz .LBB561_200
; %bb.190:
	s_and_b64 vcc, exec, s[2:3]
	s_cbranch_vccnz .LBB561_197
; %bb.191:
	v_mul_lo_u32 v24, v13, s12
	v_mul_lo_u32 v25, v12, s13
	v_mad_u64_u32 v[22:23], s[24:25], v12, s12, 0
	v_add3_u32 v23, v23, v25, v24
	v_mul_lo_u32 v24, v11, s12
	v_mul_lo_u32 v25, v10, s13
	v_mad_u64_u32 v[26:27], s[24:25], v10, s12, 0
	v_add3_u32 v27, v27, v25, v24
	v_lshl_add_u64 v[24:25], v[22:23], 3, s[14:15]
	v_lshl_add_u64 v[22:23], v[26:27], 3, s[14:15]
	global_load_dwordx2 v[26:27], v[24:25], off
	global_load_dwordx2 v[28:29], v[22:23], off
	v_mov_b64_e32 v[50:51], 1
	s_waitcnt vmcnt(0)
	v_cmp_eq_u64_e32 vcc, v[26:27], v[28:29]
	s_and_saveexec_b64 s[24:25], vcc
	s_cbranch_execz .LBB561_199
; %bb.192:
	s_add_u32 s26, s12, -1
	v_lshl_add_u64 v[22:23], v[22:23], 0, 8
	v_lshl_add_u64 v[24:25], v[24:25], 0, 8
	s_addc_u32 s27, s13, -1
	s_mov_b64 s[28:29], 0
	s_mov_b64 s[34:35], 0
                                        ; implicit-def: $sgpr30_sgpr31
	s_branch .LBB561_195
.LBB561_193:                            ;   in Loop: Header=BB561_195 Depth=1
	global_load_dwordx2 v[26:27], v[24:25], off
	global_load_dwordx2 v[28:29], v[22:23], off
	s_add_u32 s34, s34, 1
	s_addc_u32 s35, s35, 0
	s_andn2_b64 s[30:31], s[30:31], exec
	v_lshl_add_u64 v[22:23], v[22:23], 0, 8
	v_lshl_add_u64 v[24:25], v[24:25], 0, 8
	s_waitcnt vmcnt(0)
	v_cmp_ne_u64_e32 vcc, v[26:27], v[28:29]
	s_and_b64 s[36:37], vcc, exec
	s_or_b64 s[30:31], s[30:31], s[36:37]
.LBB561_194:                            ;   in Loop: Header=BB561_195 Depth=1
	s_and_b64 s[36:37], exec, s[30:31]
	s_or_b64 s[28:29], s[36:37], s[28:29]
	v_mov_b64_e32 v[26:27], s[34:35]
	s_andn2_b64 exec, exec, s[28:29]
	s_cbranch_execz .LBB561_198
.LBB561_195:                            ; =>This Inner Loop Header: Depth=1
	s_or_b64 s[30:31], s[30:31], exec
	s_cmp_eq_u64 s[26:27], s[34:35]
	s_cbranch_scc0 .LBB561_193
; %bb.196:                              ;   in Loop: Header=BB561_195 Depth=1
                                        ; implicit-def: $vgpr22_vgpr23
                                        ; implicit-def: $vgpr24_vgpr25
	s_mov_b64 s[34:35], s[12:13]
	s_branch .LBB561_194
.LBB561_197:
	v_mov_b64_e32 v[50:51], 0
	s_branch .LBB561_200
.LBB561_198:
	s_or_b64 exec, exec, s[28:29]
	v_cmp_gt_i64_e32 vcc, s[12:13], v[26:27]
	s_mov_b32 s26, 0
	v_mov_b32_e32 v51, s26
	v_cndmask_b32_e64 v50, 0, 1, vcc
.LBB561_199:
	s_or_b64 exec, exec, s[24:25]
.LBB561_200:
	s_or_b64 exec, exec, s[18:19]
	v_add_u32_e32 v22, 4, v1
	v_cmp_gt_u32_e32 vcc, s21, v22
	v_mov_b64_e32 v[52:53], v[10:11]
	s_and_saveexec_b64 s[18:19], vcc
	s_cbranch_execz .LBB561_211
; %bb.201:
	s_and_b64 vcc, exec, s[2:3]
	s_cbranch_vccnz .LBB561_208
; %bb.202:
	v_mul_lo_u32 v24, v11, s12
	v_mul_lo_u32 v25, v10, s13
	v_mad_u64_u32 v[22:23], s[24:25], v10, s12, 0
	v_add3_u32 v23, v23, v25, v24
	v_mul_lo_u32 v24, v9, s12
	v_mul_lo_u32 v25, v8, s13
	v_mad_u64_u32 v[26:27], s[24:25], v8, s12, 0
	v_add3_u32 v27, v27, v25, v24
	v_lshl_add_u64 v[24:25], v[22:23], 3, s[14:15]
	v_lshl_add_u64 v[22:23], v[26:27], 3, s[14:15]
	global_load_dwordx2 v[26:27], v[24:25], off
	global_load_dwordx2 v[28:29], v[22:23], off
	v_mov_b64_e32 v[52:53], 1
	s_waitcnt vmcnt(0)
	v_cmp_eq_u64_e32 vcc, v[26:27], v[28:29]
	s_and_saveexec_b64 s[24:25], vcc
	s_cbranch_execz .LBB561_210
; %bb.203:
	s_add_u32 s26, s12, -1
	v_lshl_add_u64 v[22:23], v[22:23], 0, 8
	v_lshl_add_u64 v[24:25], v[24:25], 0, 8
	s_addc_u32 s27, s13, -1
	s_mov_b64 s[28:29], 0
	s_mov_b64 s[34:35], 0
                                        ; implicit-def: $sgpr30_sgpr31
	s_branch .LBB561_206
.LBB561_204:                            ;   in Loop: Header=BB561_206 Depth=1
	global_load_dwordx2 v[26:27], v[24:25], off
	global_load_dwordx2 v[28:29], v[22:23], off
	s_add_u32 s34, s34, 1
	s_addc_u32 s35, s35, 0
	s_andn2_b64 s[30:31], s[30:31], exec
	v_lshl_add_u64 v[22:23], v[22:23], 0, 8
	v_lshl_add_u64 v[24:25], v[24:25], 0, 8
	s_waitcnt vmcnt(0)
	v_cmp_ne_u64_e32 vcc, v[26:27], v[28:29]
	s_and_b64 s[36:37], vcc, exec
	s_or_b64 s[30:31], s[30:31], s[36:37]
.LBB561_205:                            ;   in Loop: Header=BB561_206 Depth=1
	s_and_b64 s[36:37], exec, s[30:31]
	s_or_b64 s[28:29], s[36:37], s[28:29]
	v_mov_b64_e32 v[26:27], s[34:35]
	s_andn2_b64 exec, exec, s[28:29]
	s_cbranch_execz .LBB561_209
.LBB561_206:                            ; =>This Inner Loop Header: Depth=1
	s_or_b64 s[30:31], s[30:31], exec
	s_cmp_eq_u64 s[26:27], s[34:35]
	s_cbranch_scc0 .LBB561_204
; %bb.207:                              ;   in Loop: Header=BB561_206 Depth=1
                                        ; implicit-def: $vgpr22_vgpr23
                                        ; implicit-def: $vgpr24_vgpr25
	s_mov_b64 s[34:35], s[12:13]
	s_branch .LBB561_205
.LBB561_208:
	v_mov_b64_e32 v[52:53], 0
	s_branch .LBB561_211
.LBB561_209:
	s_or_b64 exec, exec, s[28:29]
	v_cmp_gt_i64_e32 vcc, s[12:13], v[26:27]
	s_mov_b32 s26, 0
	v_mov_b32_e32 v53, s26
	v_cndmask_b32_e64 v52, 0, 1, vcc
.LBB561_210:
	s_or_b64 exec, exec, s[24:25]
.LBB561_211:
	s_or_b64 exec, exec, s[18:19]
	v_add_u32_e32 v22, 3, v1
	v_cmp_gt_u32_e32 vcc, s21, v22
	v_mov_b64_e32 v[54:55], v[8:9]
	s_and_saveexec_b64 s[18:19], vcc
	s_cbranch_execz .LBB561_222
; %bb.212:
	s_and_b64 vcc, exec, s[2:3]
	s_cbranch_vccnz .LBB561_219
; %bb.213:
	v_mul_lo_u32 v24, v9, s12
	v_mul_lo_u32 v25, v8, s13
	v_mad_u64_u32 v[22:23], s[24:25], v8, s12, 0
	v_add3_u32 v23, v23, v25, v24
	v_mul_lo_u32 v24, v7, s12
	v_mul_lo_u32 v25, v6, s13
	v_mad_u64_u32 v[26:27], s[24:25], v6, s12, 0
	v_add3_u32 v27, v27, v25, v24
	v_lshl_add_u64 v[24:25], v[22:23], 3, s[14:15]
	v_lshl_add_u64 v[22:23], v[26:27], 3, s[14:15]
	global_load_dwordx2 v[26:27], v[24:25], off
	global_load_dwordx2 v[28:29], v[22:23], off
	v_mov_b64_e32 v[54:55], 1
	s_waitcnt vmcnt(0)
	v_cmp_eq_u64_e32 vcc, v[26:27], v[28:29]
	s_and_saveexec_b64 s[24:25], vcc
	s_cbranch_execz .LBB561_221
; %bb.214:
	s_add_u32 s26, s12, -1
	v_lshl_add_u64 v[22:23], v[22:23], 0, 8
	v_lshl_add_u64 v[24:25], v[24:25], 0, 8
	s_addc_u32 s27, s13, -1
	s_mov_b64 s[28:29], 0
	s_mov_b64 s[34:35], 0
                                        ; implicit-def: $sgpr30_sgpr31
	s_branch .LBB561_217
.LBB561_215:                            ;   in Loop: Header=BB561_217 Depth=1
	global_load_dwordx2 v[26:27], v[24:25], off
	global_load_dwordx2 v[28:29], v[22:23], off
	s_add_u32 s34, s34, 1
	s_addc_u32 s35, s35, 0
	s_andn2_b64 s[30:31], s[30:31], exec
	v_lshl_add_u64 v[22:23], v[22:23], 0, 8
	v_lshl_add_u64 v[24:25], v[24:25], 0, 8
	s_waitcnt vmcnt(0)
	v_cmp_ne_u64_e32 vcc, v[26:27], v[28:29]
	s_and_b64 s[36:37], vcc, exec
	s_or_b64 s[30:31], s[30:31], s[36:37]
.LBB561_216:                            ;   in Loop: Header=BB561_217 Depth=1
	s_and_b64 s[36:37], exec, s[30:31]
	s_or_b64 s[28:29], s[36:37], s[28:29]
	v_mov_b64_e32 v[26:27], s[34:35]
	s_andn2_b64 exec, exec, s[28:29]
	s_cbranch_execz .LBB561_220
.LBB561_217:                            ; =>This Inner Loop Header: Depth=1
	s_or_b64 s[30:31], s[30:31], exec
	s_cmp_eq_u64 s[26:27], s[34:35]
	s_cbranch_scc0 .LBB561_215
; %bb.218:                              ;   in Loop: Header=BB561_217 Depth=1
                                        ; implicit-def: $vgpr22_vgpr23
                                        ; implicit-def: $vgpr24_vgpr25
	s_mov_b64 s[34:35], s[12:13]
	s_branch .LBB561_216
.LBB561_219:
	v_mov_b64_e32 v[54:55], 0
	s_branch .LBB561_222
.LBB561_220:
	s_or_b64 exec, exec, s[28:29]
	v_cmp_gt_i64_e32 vcc, s[12:13], v[26:27]
	s_mov_b32 s26, 0
	v_mov_b32_e32 v55, s26
	v_cndmask_b32_e64 v54, 0, 1, vcc
.LBB561_221:
	s_or_b64 exec, exec, s[24:25]
.LBB561_222:
	s_or_b64 exec, exec, s[18:19]
	v_add_u32_e32 v22, 2, v1
	v_cmp_gt_u32_e32 vcc, s21, v22
	v_mov_b64_e32 v[56:57], v[6:7]
	s_and_saveexec_b64 s[18:19], vcc
	s_cbranch_execz .LBB561_233
; %bb.223:
	s_and_b64 vcc, exec, s[2:3]
	s_cbranch_vccnz .LBB561_230
; %bb.224:
	v_mul_lo_u32 v24, v7, s12
	v_mul_lo_u32 v25, v6, s13
	v_mad_u64_u32 v[22:23], s[24:25], v6, s12, 0
	v_add3_u32 v23, v23, v25, v24
	v_mul_lo_u32 v24, v5, s12
	v_mul_lo_u32 v25, v4, s13
	v_mad_u64_u32 v[26:27], s[24:25], v4, s12, 0
	v_add3_u32 v27, v27, v25, v24
	v_lshl_add_u64 v[24:25], v[22:23], 3, s[14:15]
	v_lshl_add_u64 v[22:23], v[26:27], 3, s[14:15]
	global_load_dwordx2 v[26:27], v[24:25], off
	global_load_dwordx2 v[28:29], v[22:23], off
	v_mov_b64_e32 v[56:57], 1
	s_waitcnt vmcnt(0)
	v_cmp_eq_u64_e32 vcc, v[26:27], v[28:29]
	s_and_saveexec_b64 s[24:25], vcc
	s_cbranch_execz .LBB561_232
; %bb.225:
	s_add_u32 s26, s12, -1
	v_lshl_add_u64 v[22:23], v[22:23], 0, 8
	v_lshl_add_u64 v[24:25], v[24:25], 0, 8
	s_addc_u32 s27, s13, -1
	s_mov_b64 s[28:29], 0
	s_mov_b64 s[34:35], 0
                                        ; implicit-def: $sgpr30_sgpr31
	s_branch .LBB561_228
.LBB561_226:                            ;   in Loop: Header=BB561_228 Depth=1
	global_load_dwordx2 v[26:27], v[24:25], off
	global_load_dwordx2 v[28:29], v[22:23], off
	s_add_u32 s34, s34, 1
	s_addc_u32 s35, s35, 0
	s_andn2_b64 s[30:31], s[30:31], exec
	v_lshl_add_u64 v[22:23], v[22:23], 0, 8
	v_lshl_add_u64 v[24:25], v[24:25], 0, 8
	s_waitcnt vmcnt(0)
	v_cmp_ne_u64_e32 vcc, v[26:27], v[28:29]
	s_and_b64 s[36:37], vcc, exec
	s_or_b64 s[30:31], s[30:31], s[36:37]
.LBB561_227:                            ;   in Loop: Header=BB561_228 Depth=1
	s_and_b64 s[36:37], exec, s[30:31]
	s_or_b64 s[28:29], s[36:37], s[28:29]
	v_mov_b64_e32 v[26:27], s[34:35]
	s_andn2_b64 exec, exec, s[28:29]
	s_cbranch_execz .LBB561_231
.LBB561_228:                            ; =>This Inner Loop Header: Depth=1
	s_or_b64 s[30:31], s[30:31], exec
	s_cmp_eq_u64 s[26:27], s[34:35]
	s_cbranch_scc0 .LBB561_226
; %bb.229:                              ;   in Loop: Header=BB561_228 Depth=1
                                        ; implicit-def: $vgpr22_vgpr23
                                        ; implicit-def: $vgpr24_vgpr25
	s_mov_b64 s[34:35], s[12:13]
	s_branch .LBB561_227
.LBB561_230:
	v_mov_b64_e32 v[56:57], 0
	s_branch .LBB561_233
.LBB561_231:
	s_or_b64 exec, exec, s[28:29]
	v_cmp_gt_i64_e32 vcc, s[12:13], v[26:27]
	s_mov_b32 s26, 0
	v_mov_b32_e32 v57, s26
	v_cndmask_b32_e64 v56, 0, 1, vcc
.LBB561_232:
	s_or_b64 exec, exec, s[24:25]
.LBB561_233:
	s_or_b64 exec, exec, s[18:19]
	v_add_u32_e32 v22, 1, v1
	v_cmp_gt_u32_e32 vcc, s21, v22
	v_mov_b64_e32 v[58:59], v[4:5]
	s_and_saveexec_b64 s[18:19], vcc
	s_cbranch_execz .LBB561_244
; %bb.234:
	s_and_b64 vcc, exec, s[2:3]
	s_cbranch_vccnz .LBB561_241
; %bb.235:
	v_mul_lo_u32 v24, v5, s12
	v_mul_lo_u32 v25, v4, s13
	v_mad_u64_u32 v[22:23], s[24:25], v4, s12, 0
	v_add3_u32 v23, v23, v25, v24
	v_mul_lo_u32 v24, v3, s12
	v_mul_lo_u32 v25, v2, s13
	v_mad_u64_u32 v[26:27], s[24:25], v2, s12, 0
	v_add3_u32 v27, v27, v25, v24
	v_lshl_add_u64 v[24:25], v[22:23], 3, s[14:15]
	v_lshl_add_u64 v[22:23], v[26:27], 3, s[14:15]
	global_load_dwordx2 v[26:27], v[24:25], off
	global_load_dwordx2 v[28:29], v[22:23], off
	v_mov_b64_e32 v[58:59], 1
	s_waitcnt vmcnt(0)
	v_cmp_eq_u64_e32 vcc, v[26:27], v[28:29]
	s_and_saveexec_b64 s[24:25], vcc
	s_cbranch_execz .LBB561_243
; %bb.236:
	s_add_u32 s26, s12, -1
	v_lshl_add_u64 v[22:23], v[22:23], 0, 8
	v_lshl_add_u64 v[24:25], v[24:25], 0, 8
	s_addc_u32 s27, s13, -1
	s_mov_b64 s[28:29], 0
	s_mov_b64 s[34:35], 0
                                        ; implicit-def: $sgpr30_sgpr31
	s_branch .LBB561_239
.LBB561_237:                            ;   in Loop: Header=BB561_239 Depth=1
	global_load_dwordx2 v[26:27], v[24:25], off
	global_load_dwordx2 v[28:29], v[22:23], off
	s_add_u32 s34, s34, 1
	s_addc_u32 s35, s35, 0
	s_andn2_b64 s[30:31], s[30:31], exec
	v_lshl_add_u64 v[22:23], v[22:23], 0, 8
	v_lshl_add_u64 v[24:25], v[24:25], 0, 8
	s_waitcnt vmcnt(0)
	v_cmp_ne_u64_e32 vcc, v[26:27], v[28:29]
	s_and_b64 s[36:37], vcc, exec
	s_or_b64 s[30:31], s[30:31], s[36:37]
.LBB561_238:                            ;   in Loop: Header=BB561_239 Depth=1
	s_and_b64 s[36:37], exec, s[30:31]
	s_or_b64 s[28:29], s[36:37], s[28:29]
	v_mov_b64_e32 v[26:27], s[34:35]
	s_andn2_b64 exec, exec, s[28:29]
	s_cbranch_execz .LBB561_242
.LBB561_239:                            ; =>This Inner Loop Header: Depth=1
	s_or_b64 s[30:31], s[30:31], exec
	s_cmp_eq_u64 s[26:27], s[34:35]
	s_cbranch_scc0 .LBB561_237
; %bb.240:                              ;   in Loop: Header=BB561_239 Depth=1
                                        ; implicit-def: $vgpr22_vgpr23
                                        ; implicit-def: $vgpr24_vgpr25
	s_mov_b64 s[34:35], s[12:13]
	s_branch .LBB561_238
.LBB561_241:
	v_mov_b64_e32 v[58:59], 0
	s_branch .LBB561_244
.LBB561_242:
	s_or_b64 exec, exec, s[28:29]
	v_cmp_gt_i64_e32 vcc, s[12:13], v[26:27]
	s_mov_b32 s26, 0
	v_mov_b32_e32 v59, s26
	v_cndmask_b32_e64 v58, 0, 1, vcc
.LBB561_243:
	s_or_b64 exec, exec, s[24:25]
.LBB561_244:
	s_or_b64 exec, exec, s[18:19]
	v_cmp_ne_u32_e32 vcc, 0, v0
	v_mov_b64_e32 v[22:23], s[16:17]
	s_waitcnt lgkmcnt(0)
	s_barrier
	s_and_saveexec_b64 s[16:17], vcc
	s_cbranch_execz .LBB561_246
; %bb.245:
	v_add_u32_e32 v22, -8, v40
	ds_read_b64 v[22:23], v22
.LBB561_246:
	s_or_b64 exec, exec, s[16:17]
	v_cmp_gt_u32_e32 vcc, s21, v1
                                        ; implicit-def: $sgpr18_sgpr19
	s_and_saveexec_b64 s[16:17], vcc
	s_cbranch_execz .LBB561_258
; %bb.247:
	s_and_b64 vcc, exec, s[2:3]
	s_cbranch_vccnz .LBB561_254
; %bb.248:
	v_mul_lo_u32 v1, v3, s12
	v_mul_lo_u32 v26, v2, s13
	v_mad_u64_u32 v[24:25], s[2:3], v2, s12, 0
	v_add3_u32 v25, v25, v26, v1
	s_waitcnt lgkmcnt(0)
	v_mul_lo_u32 v1, v23, s12
	v_mul_lo_u32 v26, v22, s13
	v_mad_u64_u32 v[22:23], s[2:3], v22, s12, 0
	v_add3_u32 v23, v23, v26, v1
	v_lshl_add_u64 v[24:25], v[24:25], 3, s[14:15]
	v_lshl_add_u64 v[22:23], v[22:23], 3, s[14:15]
	global_load_dwordx2 v[26:27], v[24:25], off
	global_load_dwordx2 v[28:29], v[22:23], off
	s_mov_b64 s[18:19], -1
	s_waitcnt vmcnt(0)
	v_cmp_eq_u64_e32 vcc, v[26:27], v[28:29]
	s_and_saveexec_b64 s[2:3], vcc
	s_cbranch_execz .LBB561_256
; %bb.249:
	s_add_u32 s18, s12, -1
	v_lshl_add_u64 v[22:23], v[22:23], 0, 8
	v_lshl_add_u64 v[24:25], v[24:25], 0, 8
	s_addc_u32 s19, s13, -1
	s_mov_b64 s[24:25], 0
	s_mov_b64 s[28:29], 0
                                        ; implicit-def: $sgpr26_sgpr27
	s_branch .LBB561_252
.LBB561_250:                            ;   in Loop: Header=BB561_252 Depth=1
	global_load_dwordx2 v[26:27], v[24:25], off
	global_load_dwordx2 v[28:29], v[22:23], off
	s_add_u32 s28, s28, 1
	s_addc_u32 s29, s29, 0
	s_andn2_b64 s[26:27], s[26:27], exec
	v_lshl_add_u64 v[22:23], v[22:23], 0, 8
	v_lshl_add_u64 v[24:25], v[24:25], 0, 8
	s_waitcnt vmcnt(0)
	v_cmp_ne_u64_e32 vcc, v[26:27], v[28:29]
	s_and_b64 s[30:31], vcc, exec
	s_or_b64 s[26:27], s[26:27], s[30:31]
.LBB561_251:                            ;   in Loop: Header=BB561_252 Depth=1
	s_and_b64 s[30:31], exec, s[26:27]
	s_or_b64 s[24:25], s[30:31], s[24:25]
	v_mov_b64_e32 v[26:27], s[28:29]
	s_andn2_b64 exec, exec, s[24:25]
	s_cbranch_execz .LBB561_255
.LBB561_252:                            ; =>This Inner Loop Header: Depth=1
	s_or_b64 s[26:27], s[26:27], exec
	s_cmp_eq_u64 s[18:19], s[28:29]
	s_cbranch_scc0 .LBB561_250
; %bb.253:                              ;   in Loop: Header=BB561_252 Depth=1
                                        ; implicit-def: $vgpr22_vgpr23
                                        ; implicit-def: $vgpr24_vgpr25
	s_mov_b64 s[28:29], s[12:13]
	s_branch .LBB561_251
.LBB561_254:
	s_mov_b64 s[18:19], 0
	s_branch .LBB561_257
.LBB561_255:
	s_or_b64 exec, exec, s[24:25]
	v_cmp_gt_i64_e32 vcc, s[12:13], v[26:27]
	s_orn2_b64 s[18:19], vcc, exec
.LBB561_256:
	s_or_b64 exec, exec, s[2:3]
.LBB561_257:
	s_and_b64 s[18:19], s[18:19], exec
	s_or_b64 s[22:23], s[22:23], exec
.LBB561_258:
	s_or_b64 exec, exec, s[16:17]
	v_mov_b64_e32 v[60:61], v[44:45]
	s_waitcnt lgkmcnt(0)
	v_mov_b64_e32 v[22:23], v[38:39]
	v_mov_b64_e32 v[68:69], v[58:59]
	v_mov_b64_e32 v[62:63], v[56:57]
	v_mov_b64_e32 v[34:35], v[54:55]
	v_mov_b64_e32 v[64:65], v[52:53]
	v_mov_b64_e32 v[30:31], v[50:51]
	v_mov_b64_e32 v[66:67], v[48:49]
	v_mov_b64_e32 v[26:27], v[46:47]
	s_branch .LBB561_488
.LBB561_259:
	s_cmp_lg_u64 s[4:5], 1
	s_cbranch_scc0 .LBB561_267
; %bb.260:
	v_mul_lo_u32 v1, v21, s12
	v_mul_lo_u32 v24, v20, s13
	s_waitcnt lgkmcnt(0)
	v_mad_u64_u32 v[22:23], s[16:17], v20, s12, 0
	v_mov_b64_e32 v[38:39], 0
	v_cmp_lt_i64_e64 s[2:3], s[12:13], 1
	v_add3_u32 v23, v23, v24, v1
	v_cmp_gt_i64_e64 s[4:5], s[12:13], 0
	s_and_b64 vcc, exec, s[2:3]
	v_lshl_add_u64 v[22:23], v[22:23], 3, s[14:15]
	v_mov_b64_e32 v[42:43], v[38:39]
	ds_write_b64 v40, v[36:37]
	s_cbranch_vccnz .LBB561_270
; %bb.261:
	v_mul_lo_u32 v1, v37, s12
	v_mul_lo_u32 v26, v36, s13
	v_mad_u64_u32 v[24:25], s[2:3], v36, s12, 0
	v_add3_u32 v25, v25, v26, v1
	v_lshl_add_u64 v[26:27], v[24:25], 3, s[14:15]
	global_load_dwordx2 v[24:25], v[26:27], off
	global_load_dwordx2 v[28:29], v[22:23], off
	v_mov_b64_e32 v[42:43], 1
	s_waitcnt vmcnt(0)
	v_cmp_eq_u64_e32 vcc, v[24:25], v[28:29]
	s_and_saveexec_b64 s[2:3], vcc
	s_cbranch_execz .LBB561_269
; %bb.262:
	s_add_u32 s16, s12, -1
	v_lshl_add_u64 v[24:25], v[22:23], 0, 8
	v_lshl_add_u64 v[26:27], v[26:27], 0, 8
	s_addc_u32 s17, s13, -1
	s_mov_b64 s[18:19], 0
	s_mov_b64 s[26:27], 0
                                        ; implicit-def: $sgpr24_sgpr25
	s_branch .LBB561_265
.LBB561_263:                            ;   in Loop: Header=BB561_265 Depth=1
	global_load_dwordx2 v[28:29], v[26:27], off
	global_load_dwordx2 v[30:31], v[24:25], off
	s_add_u32 s26, s26, 1
	s_addc_u32 s27, s27, 0
	s_andn2_b64 s[24:25], s[24:25], exec
	v_lshl_add_u64 v[24:25], v[24:25], 0, 8
	v_lshl_add_u64 v[26:27], v[26:27], 0, 8
	s_waitcnt vmcnt(0)
	v_cmp_ne_u64_e32 vcc, v[28:29], v[30:31]
	s_and_b64 s[28:29], vcc, exec
	s_or_b64 s[24:25], s[24:25], s[28:29]
.LBB561_264:                            ;   in Loop: Header=BB561_265 Depth=1
	s_and_b64 s[28:29], exec, s[24:25]
	s_or_b64 s[18:19], s[28:29], s[18:19]
	v_mov_b64_e32 v[28:29], s[26:27]
	s_andn2_b64 exec, exec, s[18:19]
	s_cbranch_execz .LBB561_268
.LBB561_265:                            ; =>This Inner Loop Header: Depth=1
	s_or_b64 s[24:25], s[24:25], exec
	s_cmp_eq_u64 s[16:17], s[26:27]
	s_cbranch_scc0 .LBB561_263
; %bb.266:                              ;   in Loop: Header=BB561_265 Depth=1
                                        ; implicit-def: $vgpr24_vgpr25
                                        ; implicit-def: $vgpr26_vgpr27
	s_mov_b64 s[26:27], s[12:13]
	s_branch .LBB561_264
.LBB561_267:
                                        ; implicit-def: $vgpr22_vgpr23_vgpr24_vgpr25
                                        ; implicit-def: $sgpr18_sgpr19
                                        ; implicit-def: $vgpr42_vgpr43
                                        ; implicit-def: $vgpr44_vgpr45
                                        ; implicit-def: $vgpr38_vgpr39
                                        ; implicit-def: $vgpr58_vgpr59
                                        ; implicit-def: $vgpr56_vgpr57
                                        ; implicit-def: $vgpr54_vgpr55
                                        ; implicit-def: $vgpr52_vgpr53
                                        ; implicit-def: $vgpr50_vgpr51
                                        ; implicit-def: $vgpr48_vgpr49
                                        ; implicit-def: $vgpr46_vgpr47
                                        ; implicit-def: $vgpr60_vgpr61
                                        ; implicit-def: $vgpr68_vgpr69
                                        ; implicit-def: $vgpr62_vgpr63
                                        ; implicit-def: $vgpr64_vgpr65
                                        ; implicit-def: $vgpr66_vgpr67
                                        ; implicit-def: $vgpr24_vgpr25_vgpr26_vgpr27
                                        ; implicit-def: $vgpr28_vgpr29_vgpr30_vgpr31
                                        ; implicit-def: $vgpr32_vgpr33_vgpr34_vgpr35
	s_cbranch_execnz .LBB561_365
	s_branch .LBB561_488
.LBB561_268:
	s_or_b64 exec, exec, s[18:19]
	v_cmp_gt_i64_e32 vcc, s[12:13], v[28:29]
	s_mov_b32 s16, 0
	v_mov_b32_e32 v43, s16
	v_cndmask_b32_e64 v42, 0, 1, vcc
.LBB561_269:
	s_or_b64 exec, exec, s[2:3]
.LBB561_270:
	v_mul_lo_u32 v1, v19, s12
	v_mul_lo_u32 v26, v18, s13
	v_mad_u64_u32 v[24:25], s[2:3], v18, s12, 0
	v_add3_u32 v25, v25, v26, v1
	v_cndmask_b32_e64 v1, 0, 1, s[4:5]
	v_cmp_ne_u32_e64 s[2:3], 1, v1
	s_andn2_b64 vcc, exec, s[4:5]
	v_lshl_add_u64 v[24:25], v[24:25], 3, s[14:15]
	v_mov_b64_e32 v[44:45], v[38:39]
	s_cbranch_vccnz .LBB561_279
; %bb.271:
	global_load_dwordx2 v[26:27], v[22:23], off
	global_load_dwordx2 v[28:29], v[24:25], off
	v_mov_b64_e32 v[44:45], 1
	s_waitcnt vmcnt(0)
	v_cmp_eq_u64_e32 vcc, v[26:27], v[28:29]
	s_and_saveexec_b64 s[4:5], vcc
	s_cbranch_execz .LBB561_278
; %bb.272:
	s_add_u32 s16, s12, -1
	v_lshl_add_u64 v[26:27], v[24:25], 0, 8
	v_lshl_add_u64 v[22:23], v[22:23], 0, 8
	s_addc_u32 s17, s13, -1
	s_mov_b64 s[18:19], 0
	s_mov_b64 s[26:27], 0
                                        ; implicit-def: $sgpr24_sgpr25
	s_branch .LBB561_275
.LBB561_273:                            ;   in Loop: Header=BB561_275 Depth=1
	global_load_dwordx2 v[28:29], v[22:23], off
	global_load_dwordx2 v[30:31], v[26:27], off
	s_add_u32 s26, s26, 1
	s_addc_u32 s27, s27, 0
	s_andn2_b64 s[24:25], s[24:25], exec
	v_lshl_add_u64 v[26:27], v[26:27], 0, 8
	v_lshl_add_u64 v[22:23], v[22:23], 0, 8
	s_waitcnt vmcnt(0)
	v_cmp_ne_u64_e32 vcc, v[28:29], v[30:31]
	s_and_b64 s[28:29], vcc, exec
	s_or_b64 s[24:25], s[24:25], s[28:29]
.LBB561_274:                            ;   in Loop: Header=BB561_275 Depth=1
	s_and_b64 s[28:29], exec, s[24:25]
	s_or_b64 s[18:19], s[28:29], s[18:19]
	v_mov_b64_e32 v[28:29], s[26:27]
	s_andn2_b64 exec, exec, s[18:19]
	s_cbranch_execz .LBB561_277
.LBB561_275:                            ; =>This Inner Loop Header: Depth=1
	s_or_b64 s[24:25], s[24:25], exec
	s_cmp_eq_u64 s[16:17], s[26:27]
	s_cbranch_scc0 .LBB561_273
; %bb.276:                              ;   in Loop: Header=BB561_275 Depth=1
                                        ; implicit-def: $vgpr26_vgpr27
                                        ; implicit-def: $vgpr22_vgpr23
	s_mov_b64 s[26:27], s[12:13]
	s_branch .LBB561_274
.LBB561_277:
	s_or_b64 exec, exec, s[18:19]
	v_cmp_gt_i64_e32 vcc, s[12:13], v[28:29]
	s_mov_b32 s16, 0
	v_mov_b32_e32 v45, s16
	v_cndmask_b32_e64 v44, 0, 1, vcc
.LBB561_278:
	s_or_b64 exec, exec, s[4:5]
.LBB561_279:
	v_mul_lo_u32 v1, v17, s12
	v_mul_lo_u32 v26, v16, s13
	v_mad_u64_u32 v[22:23], s[4:5], v16, s12, 0
	v_add3_u32 v23, v23, v26, v1
	s_and_b64 vcc, exec, s[2:3]
	v_lshl_add_u64 v[22:23], v[22:23], 3, s[14:15]
	s_cbranch_vccnz .LBB561_288
; %bb.280:
	global_load_dwordx2 v[26:27], v[24:25], off
	global_load_dwordx2 v[28:29], v[22:23], off
	v_mov_b64_e32 v[38:39], 1
	s_waitcnt vmcnt(0)
	v_cmp_eq_u64_e32 vcc, v[26:27], v[28:29]
	s_and_saveexec_b64 s[4:5], vcc
	s_cbranch_execz .LBB561_287
; %bb.281:
	s_add_u32 s16, s12, -1
	v_lshl_add_u64 v[26:27], v[22:23], 0, 8
	v_lshl_add_u64 v[24:25], v[24:25], 0, 8
	s_addc_u32 s17, s13, -1
	s_mov_b64 s[18:19], 0
	s_mov_b64 s[26:27], 0
                                        ; implicit-def: $sgpr24_sgpr25
	s_branch .LBB561_284
.LBB561_282:                            ;   in Loop: Header=BB561_284 Depth=1
	global_load_dwordx2 v[28:29], v[24:25], off
	global_load_dwordx2 v[30:31], v[26:27], off
	s_add_u32 s26, s26, 1
	s_addc_u32 s27, s27, 0
	s_andn2_b64 s[24:25], s[24:25], exec
	v_lshl_add_u64 v[26:27], v[26:27], 0, 8
	v_lshl_add_u64 v[24:25], v[24:25], 0, 8
	s_waitcnt vmcnt(0)
	v_cmp_ne_u64_e32 vcc, v[28:29], v[30:31]
	s_and_b64 s[28:29], vcc, exec
	s_or_b64 s[24:25], s[24:25], s[28:29]
.LBB561_283:                            ;   in Loop: Header=BB561_284 Depth=1
	s_and_b64 s[28:29], exec, s[24:25]
	s_or_b64 s[18:19], s[28:29], s[18:19]
	v_mov_b64_e32 v[28:29], s[26:27]
	s_andn2_b64 exec, exec, s[18:19]
	s_cbranch_execz .LBB561_286
.LBB561_284:                            ; =>This Inner Loop Header: Depth=1
	s_or_b64 s[24:25], s[24:25], exec
	s_cmp_eq_u64 s[16:17], s[26:27]
	s_cbranch_scc0 .LBB561_282
; %bb.285:                              ;   in Loop: Header=BB561_284 Depth=1
                                        ; implicit-def: $vgpr26_vgpr27
                                        ; implicit-def: $vgpr24_vgpr25
	s_mov_b64 s[26:27], s[12:13]
	s_branch .LBB561_283
.LBB561_286:
	s_or_b64 exec, exec, s[18:19]
	v_cmp_gt_i64_e32 vcc, s[12:13], v[28:29]
	s_mov_b32 s16, 0
	v_mov_b32_e32 v39, s16
	v_cndmask_b32_e64 v38, 0, 1, vcc
.LBB561_287:
	s_or_b64 exec, exec, s[4:5]
.LBB561_288:
	v_mul_lo_u32 v1, v15, s12
	v_mul_lo_u32 v26, v14, s13
	v_mad_u64_u32 v[24:25], s[4:5], v14, s12, 0
	v_add3_u32 v25, v25, v26, v1
	v_mov_b64_e32 v[48:49], 0
	s_and_b64 vcc, exec, s[2:3]
	v_lshl_add_u64 v[24:25], v[24:25], 3, s[14:15]
	v_mov_b64_e32 v[46:47], v[48:49]
	s_cbranch_vccnz .LBB561_297
; %bb.289:
	global_load_dwordx2 v[26:27], v[22:23], off
	global_load_dwordx2 v[28:29], v[24:25], off
	v_mov_b64_e32 v[46:47], 1
	s_waitcnt vmcnt(0)
	v_cmp_eq_u64_e32 vcc, v[26:27], v[28:29]
	s_and_saveexec_b64 s[4:5], vcc
	s_cbranch_execz .LBB561_296
; %bb.290:
	s_add_u32 s16, s12, -1
	v_lshl_add_u64 v[26:27], v[24:25], 0, 8
	v_lshl_add_u64 v[22:23], v[22:23], 0, 8
	s_addc_u32 s17, s13, -1
	s_mov_b64 s[18:19], 0
	s_mov_b64 s[26:27], 0
                                        ; implicit-def: $sgpr24_sgpr25
	s_branch .LBB561_293
.LBB561_291:                            ;   in Loop: Header=BB561_293 Depth=1
	global_load_dwordx2 v[28:29], v[22:23], off
	global_load_dwordx2 v[30:31], v[26:27], off
	s_add_u32 s26, s26, 1
	s_addc_u32 s27, s27, 0
	s_andn2_b64 s[24:25], s[24:25], exec
	v_lshl_add_u64 v[26:27], v[26:27], 0, 8
	v_lshl_add_u64 v[22:23], v[22:23], 0, 8
	s_waitcnt vmcnt(0)
	v_cmp_ne_u64_e32 vcc, v[28:29], v[30:31]
	s_and_b64 s[28:29], vcc, exec
	s_or_b64 s[24:25], s[24:25], s[28:29]
.LBB561_292:                            ;   in Loop: Header=BB561_293 Depth=1
	s_and_b64 s[28:29], exec, s[24:25]
	s_or_b64 s[18:19], s[28:29], s[18:19]
	v_mov_b64_e32 v[28:29], s[26:27]
	s_andn2_b64 exec, exec, s[18:19]
	s_cbranch_execz .LBB561_295
.LBB561_293:                            ; =>This Inner Loop Header: Depth=1
	s_or_b64 s[24:25], s[24:25], exec
	s_cmp_eq_u64 s[16:17], s[26:27]
	s_cbranch_scc0 .LBB561_291
; %bb.294:                              ;   in Loop: Header=BB561_293 Depth=1
                                        ; implicit-def: $vgpr26_vgpr27
                                        ; implicit-def: $vgpr22_vgpr23
	s_mov_b64 s[26:27], s[12:13]
	s_branch .LBB561_292
.LBB561_295:
	s_or_b64 exec, exec, s[18:19]
	v_cmp_gt_i64_e32 vcc, s[12:13], v[28:29]
	s_mov_b32 s16, 0
	v_mov_b32_e32 v47, s16
	v_cndmask_b32_e64 v46, 0, 1, vcc
.LBB561_296:
	s_or_b64 exec, exec, s[4:5]
.LBB561_297:
	v_mul_lo_u32 v1, v13, s12
	v_mul_lo_u32 v26, v12, s13
	v_mad_u64_u32 v[22:23], s[4:5], v12, s12, 0
	v_add3_u32 v23, v23, v26, v1
	s_and_b64 vcc, exec, s[2:3]
	v_lshl_add_u64 v[22:23], v[22:23], 3, s[14:15]
	s_cbranch_vccnz .LBB561_306
; %bb.298:
	global_load_dwordx2 v[26:27], v[24:25], off
	global_load_dwordx2 v[28:29], v[22:23], off
	v_mov_b64_e32 v[48:49], 1
	s_waitcnt vmcnt(0)
	v_cmp_eq_u64_e32 vcc, v[26:27], v[28:29]
	s_and_saveexec_b64 s[4:5], vcc
	s_cbranch_execz .LBB561_305
; %bb.299:
	s_add_u32 s16, s12, -1
	v_lshl_add_u64 v[26:27], v[22:23], 0, 8
	v_lshl_add_u64 v[24:25], v[24:25], 0, 8
	s_addc_u32 s17, s13, -1
	s_mov_b64 s[18:19], 0
	s_mov_b64 s[26:27], 0
                                        ; implicit-def: $sgpr24_sgpr25
	s_branch .LBB561_302
.LBB561_300:                            ;   in Loop: Header=BB561_302 Depth=1
	global_load_dwordx2 v[28:29], v[24:25], off
	global_load_dwordx2 v[30:31], v[26:27], off
	s_add_u32 s26, s26, 1
	s_addc_u32 s27, s27, 0
	s_andn2_b64 s[24:25], s[24:25], exec
	v_lshl_add_u64 v[26:27], v[26:27], 0, 8
	v_lshl_add_u64 v[24:25], v[24:25], 0, 8
	s_waitcnt vmcnt(0)
	v_cmp_ne_u64_e32 vcc, v[28:29], v[30:31]
	s_and_b64 s[28:29], vcc, exec
	s_or_b64 s[24:25], s[24:25], s[28:29]
.LBB561_301:                            ;   in Loop: Header=BB561_302 Depth=1
	s_and_b64 s[28:29], exec, s[24:25]
	s_or_b64 s[18:19], s[28:29], s[18:19]
	v_mov_b64_e32 v[28:29], s[26:27]
	s_andn2_b64 exec, exec, s[18:19]
	s_cbranch_execz .LBB561_304
.LBB561_302:                            ; =>This Inner Loop Header: Depth=1
	s_or_b64 s[24:25], s[24:25], exec
	s_cmp_eq_u64 s[16:17], s[26:27]
	s_cbranch_scc0 .LBB561_300
; %bb.303:                              ;   in Loop: Header=BB561_302 Depth=1
                                        ; implicit-def: $vgpr26_vgpr27
                                        ; implicit-def: $vgpr24_vgpr25
	s_mov_b64 s[26:27], s[12:13]
	s_branch .LBB561_301
.LBB561_304:
	s_or_b64 exec, exec, s[18:19]
	v_cmp_gt_i64_e32 vcc, s[12:13], v[28:29]
	s_mov_b32 s16, 0
	v_mov_b32_e32 v49, s16
	v_cndmask_b32_e64 v48, 0, 1, vcc
.LBB561_305:
	s_or_b64 exec, exec, s[4:5]
.LBB561_306:
	v_mul_lo_u32 v1, v11, s12
	v_mul_lo_u32 v26, v10, s13
	v_mad_u64_u32 v[24:25], s[4:5], v10, s12, 0
	v_add3_u32 v25, v25, v26, v1
	v_mov_b64_e32 v[52:53], 0
	s_and_b64 vcc, exec, s[2:3]
	v_lshl_add_u64 v[24:25], v[24:25], 3, s[14:15]
	v_mov_b64_e32 v[50:51], v[52:53]
	s_cbranch_vccnz .LBB561_315
; %bb.307:
	global_load_dwordx2 v[26:27], v[22:23], off
	global_load_dwordx2 v[28:29], v[24:25], off
	v_mov_b64_e32 v[50:51], 1
	s_waitcnt vmcnt(0)
	v_cmp_eq_u64_e32 vcc, v[26:27], v[28:29]
	s_and_saveexec_b64 s[4:5], vcc
	s_cbranch_execz .LBB561_314
; %bb.308:
	s_add_u32 s16, s12, -1
	v_lshl_add_u64 v[26:27], v[24:25], 0, 8
	v_lshl_add_u64 v[22:23], v[22:23], 0, 8
	s_addc_u32 s17, s13, -1
	s_mov_b64 s[18:19], 0
	s_mov_b64 s[26:27], 0
                                        ; implicit-def: $sgpr24_sgpr25
	s_branch .LBB561_311
.LBB561_309:                            ;   in Loop: Header=BB561_311 Depth=1
	global_load_dwordx2 v[28:29], v[22:23], off
	global_load_dwordx2 v[30:31], v[26:27], off
	s_add_u32 s26, s26, 1
	s_addc_u32 s27, s27, 0
	s_andn2_b64 s[24:25], s[24:25], exec
	v_lshl_add_u64 v[26:27], v[26:27], 0, 8
	v_lshl_add_u64 v[22:23], v[22:23], 0, 8
	s_waitcnt vmcnt(0)
	v_cmp_ne_u64_e32 vcc, v[28:29], v[30:31]
	s_and_b64 s[28:29], vcc, exec
	s_or_b64 s[24:25], s[24:25], s[28:29]
.LBB561_310:                            ;   in Loop: Header=BB561_311 Depth=1
	s_and_b64 s[28:29], exec, s[24:25]
	s_or_b64 s[18:19], s[28:29], s[18:19]
	v_mov_b64_e32 v[28:29], s[26:27]
	s_andn2_b64 exec, exec, s[18:19]
	s_cbranch_execz .LBB561_313
.LBB561_311:                            ; =>This Inner Loop Header: Depth=1
	s_or_b64 s[24:25], s[24:25], exec
	s_cmp_eq_u64 s[16:17], s[26:27]
	s_cbranch_scc0 .LBB561_309
; %bb.312:                              ;   in Loop: Header=BB561_311 Depth=1
                                        ; implicit-def: $vgpr26_vgpr27
                                        ; implicit-def: $vgpr22_vgpr23
	s_mov_b64 s[26:27], s[12:13]
	s_branch .LBB561_310
.LBB561_313:
	s_or_b64 exec, exec, s[18:19]
	v_cmp_gt_i64_e32 vcc, s[12:13], v[28:29]
	s_mov_b32 s16, 0
	v_mov_b32_e32 v51, s16
	v_cndmask_b32_e64 v50, 0, 1, vcc
.LBB561_314:
	s_or_b64 exec, exec, s[4:5]
.LBB561_315:
	v_mul_lo_u32 v1, v9, s12
	v_mul_lo_u32 v26, v8, s13
	v_mad_u64_u32 v[22:23], s[4:5], v8, s12, 0
	v_add3_u32 v23, v23, v26, v1
	s_and_b64 vcc, exec, s[2:3]
	v_lshl_add_u64 v[22:23], v[22:23], 3, s[14:15]
	s_cbranch_vccnz .LBB561_324
; %bb.316:
	global_load_dwordx2 v[26:27], v[24:25], off
	global_load_dwordx2 v[28:29], v[22:23], off
	v_mov_b64_e32 v[52:53], 1
	s_waitcnt vmcnt(0)
	v_cmp_eq_u64_e32 vcc, v[26:27], v[28:29]
	s_and_saveexec_b64 s[4:5], vcc
	s_cbranch_execz .LBB561_323
; %bb.317:
	s_add_u32 s16, s12, -1
	v_lshl_add_u64 v[26:27], v[22:23], 0, 8
	v_lshl_add_u64 v[24:25], v[24:25], 0, 8
	s_addc_u32 s17, s13, -1
	s_mov_b64 s[18:19], 0
	s_mov_b64 s[26:27], 0
                                        ; implicit-def: $sgpr24_sgpr25
	s_branch .LBB561_320
.LBB561_318:                            ;   in Loop: Header=BB561_320 Depth=1
	global_load_dwordx2 v[28:29], v[24:25], off
	global_load_dwordx2 v[30:31], v[26:27], off
	s_add_u32 s26, s26, 1
	s_addc_u32 s27, s27, 0
	s_andn2_b64 s[24:25], s[24:25], exec
	v_lshl_add_u64 v[26:27], v[26:27], 0, 8
	v_lshl_add_u64 v[24:25], v[24:25], 0, 8
	s_waitcnt vmcnt(0)
	v_cmp_ne_u64_e32 vcc, v[28:29], v[30:31]
	s_and_b64 s[28:29], vcc, exec
	s_or_b64 s[24:25], s[24:25], s[28:29]
.LBB561_319:                            ;   in Loop: Header=BB561_320 Depth=1
	s_and_b64 s[28:29], exec, s[24:25]
	s_or_b64 s[18:19], s[28:29], s[18:19]
	v_mov_b64_e32 v[28:29], s[26:27]
	s_andn2_b64 exec, exec, s[18:19]
	s_cbranch_execz .LBB561_322
.LBB561_320:                            ; =>This Inner Loop Header: Depth=1
	s_or_b64 s[24:25], s[24:25], exec
	s_cmp_eq_u64 s[16:17], s[26:27]
	s_cbranch_scc0 .LBB561_318
; %bb.321:                              ;   in Loop: Header=BB561_320 Depth=1
                                        ; implicit-def: $vgpr26_vgpr27
                                        ; implicit-def: $vgpr24_vgpr25
	s_mov_b64 s[26:27], s[12:13]
	s_branch .LBB561_319
.LBB561_322:
	s_or_b64 exec, exec, s[18:19]
	v_cmp_gt_i64_e32 vcc, s[12:13], v[28:29]
	s_mov_b32 s16, 0
	v_mov_b32_e32 v53, s16
	v_cndmask_b32_e64 v52, 0, 1, vcc
.LBB561_323:
	s_or_b64 exec, exec, s[4:5]
.LBB561_324:
	v_mul_lo_u32 v1, v7, s12
	v_mul_lo_u32 v26, v6, s13
	v_mad_u64_u32 v[24:25], s[4:5], v6, s12, 0
	v_add3_u32 v25, v25, v26, v1
	v_mov_b64_e32 v[56:57], 0
	s_and_b64 vcc, exec, s[2:3]
	v_lshl_add_u64 v[24:25], v[24:25], 3, s[14:15]
	v_mov_b64_e32 v[54:55], v[56:57]
	s_cbranch_vccnz .LBB561_333
; %bb.325:
	global_load_dwordx2 v[26:27], v[22:23], off
	global_load_dwordx2 v[28:29], v[24:25], off
	v_mov_b64_e32 v[54:55], 1
	s_waitcnt vmcnt(0)
	v_cmp_eq_u64_e32 vcc, v[26:27], v[28:29]
	s_and_saveexec_b64 s[4:5], vcc
	s_cbranch_execz .LBB561_332
; %bb.326:
	s_add_u32 s16, s12, -1
	v_lshl_add_u64 v[26:27], v[24:25], 0, 8
	v_lshl_add_u64 v[22:23], v[22:23], 0, 8
	s_addc_u32 s17, s13, -1
	s_mov_b64 s[18:19], 0
	s_mov_b64 s[26:27], 0
                                        ; implicit-def: $sgpr24_sgpr25
	s_branch .LBB561_329
.LBB561_327:                            ;   in Loop: Header=BB561_329 Depth=1
	global_load_dwordx2 v[28:29], v[22:23], off
	global_load_dwordx2 v[30:31], v[26:27], off
	s_add_u32 s26, s26, 1
	s_addc_u32 s27, s27, 0
	s_andn2_b64 s[24:25], s[24:25], exec
	v_lshl_add_u64 v[26:27], v[26:27], 0, 8
	v_lshl_add_u64 v[22:23], v[22:23], 0, 8
	s_waitcnt vmcnt(0)
	v_cmp_ne_u64_e32 vcc, v[28:29], v[30:31]
	s_and_b64 s[28:29], vcc, exec
	s_or_b64 s[24:25], s[24:25], s[28:29]
.LBB561_328:                            ;   in Loop: Header=BB561_329 Depth=1
	s_and_b64 s[28:29], exec, s[24:25]
	s_or_b64 s[18:19], s[28:29], s[18:19]
	v_mov_b64_e32 v[28:29], s[26:27]
	s_andn2_b64 exec, exec, s[18:19]
	s_cbranch_execz .LBB561_331
.LBB561_329:                            ; =>This Inner Loop Header: Depth=1
	s_or_b64 s[24:25], s[24:25], exec
	s_cmp_eq_u64 s[16:17], s[26:27]
	s_cbranch_scc0 .LBB561_327
; %bb.330:                              ;   in Loop: Header=BB561_329 Depth=1
                                        ; implicit-def: $vgpr26_vgpr27
                                        ; implicit-def: $vgpr22_vgpr23
	s_mov_b64 s[26:27], s[12:13]
	s_branch .LBB561_328
.LBB561_331:
	s_or_b64 exec, exec, s[18:19]
	v_cmp_gt_i64_e32 vcc, s[12:13], v[28:29]
	s_mov_b32 s16, 0
	v_mov_b32_e32 v55, s16
	v_cndmask_b32_e64 v54, 0, 1, vcc
.LBB561_332:
	s_or_b64 exec, exec, s[4:5]
.LBB561_333:
	v_mul_lo_u32 v1, v5, s12
	v_mul_lo_u32 v26, v4, s13
	v_mad_u64_u32 v[22:23], s[4:5], v4, s12, 0
	v_add3_u32 v23, v23, v26, v1
	s_and_b64 vcc, exec, s[2:3]
	v_lshl_add_u64 v[22:23], v[22:23], 3, s[14:15]
	s_cbranch_vccnz .LBB561_342
; %bb.334:
	global_load_dwordx2 v[26:27], v[24:25], off
	global_load_dwordx2 v[28:29], v[22:23], off
	v_mov_b64_e32 v[56:57], 1
	s_waitcnt vmcnt(0)
	v_cmp_eq_u64_e32 vcc, v[26:27], v[28:29]
	s_and_saveexec_b64 s[4:5], vcc
	s_cbranch_execz .LBB561_341
; %bb.335:
	s_add_u32 s16, s12, -1
	v_lshl_add_u64 v[26:27], v[22:23], 0, 8
	v_lshl_add_u64 v[24:25], v[24:25], 0, 8
	s_addc_u32 s17, s13, -1
	s_mov_b64 s[18:19], 0
	s_mov_b64 s[26:27], 0
                                        ; implicit-def: $sgpr24_sgpr25
	s_branch .LBB561_338
.LBB561_336:                            ;   in Loop: Header=BB561_338 Depth=1
	global_load_dwordx2 v[28:29], v[24:25], off
	global_load_dwordx2 v[30:31], v[26:27], off
	s_add_u32 s26, s26, 1
	s_addc_u32 s27, s27, 0
	s_andn2_b64 s[24:25], s[24:25], exec
	v_lshl_add_u64 v[26:27], v[26:27], 0, 8
	v_lshl_add_u64 v[24:25], v[24:25], 0, 8
	s_waitcnt vmcnt(0)
	v_cmp_ne_u64_e32 vcc, v[28:29], v[30:31]
	s_and_b64 s[28:29], vcc, exec
	s_or_b64 s[24:25], s[24:25], s[28:29]
.LBB561_337:                            ;   in Loop: Header=BB561_338 Depth=1
	s_and_b64 s[28:29], exec, s[24:25]
	s_or_b64 s[18:19], s[28:29], s[18:19]
	v_mov_b64_e32 v[28:29], s[26:27]
	s_andn2_b64 exec, exec, s[18:19]
	s_cbranch_execz .LBB561_340
.LBB561_338:                            ; =>This Inner Loop Header: Depth=1
	s_or_b64 s[24:25], s[24:25], exec
	s_cmp_eq_u64 s[16:17], s[26:27]
	s_cbranch_scc0 .LBB561_336
; %bb.339:                              ;   in Loop: Header=BB561_338 Depth=1
                                        ; implicit-def: $vgpr26_vgpr27
                                        ; implicit-def: $vgpr24_vgpr25
	s_mov_b64 s[26:27], s[12:13]
	s_branch .LBB561_337
.LBB561_340:
	s_or_b64 exec, exec, s[18:19]
	v_cmp_gt_i64_e32 vcc, s[12:13], v[28:29]
	s_mov_b32 s16, 0
	v_mov_b32_e32 v57, s16
	v_cndmask_b32_e64 v56, 0, 1, vcc
.LBB561_341:
	s_or_b64 exec, exec, s[4:5]
.LBB561_342:
	s_and_b64 vcc, exec, s[2:3]
	s_cbranch_vccnz .LBB561_349
; %bb.343:
	v_mul_lo_u32 v1, v3, s12
	v_mul_lo_u32 v26, v2, s13
	v_mad_u64_u32 v[24:25], s[4:5], v2, s12, 0
	v_add3_u32 v25, v25, v26, v1
	v_lshl_add_u64 v[24:25], v[24:25], 3, s[14:15]
	global_load_dwordx2 v[26:27], v[22:23], off
	global_load_dwordx2 v[28:29], v[24:25], off
	v_mov_b64_e32 v[58:59], 1
	s_waitcnt vmcnt(0)
	v_cmp_eq_u64_e32 vcc, v[26:27], v[28:29]
	s_and_saveexec_b64 s[4:5], vcc
	s_cbranch_execz .LBB561_351
; %bb.344:
	s_add_u32 s16, s12, -1
	v_lshl_add_u64 v[24:25], v[24:25], 0, 8
	v_lshl_add_u64 v[22:23], v[22:23], 0, 8
	s_addc_u32 s17, s13, -1
	s_mov_b64 s[18:19], 0
	s_mov_b64 s[26:27], 0
                                        ; implicit-def: $sgpr24_sgpr25
	s_branch .LBB561_347
.LBB561_345:                            ;   in Loop: Header=BB561_347 Depth=1
	global_load_dwordx2 v[26:27], v[22:23], off
	global_load_dwordx2 v[28:29], v[24:25], off
	s_add_u32 s26, s26, 1
	s_addc_u32 s27, s27, 0
	s_andn2_b64 s[24:25], s[24:25], exec
	v_lshl_add_u64 v[24:25], v[24:25], 0, 8
	v_lshl_add_u64 v[22:23], v[22:23], 0, 8
	s_waitcnt vmcnt(0)
	v_cmp_ne_u64_e32 vcc, v[26:27], v[28:29]
	s_and_b64 s[28:29], vcc, exec
	s_or_b64 s[24:25], s[24:25], s[28:29]
.LBB561_346:                            ;   in Loop: Header=BB561_347 Depth=1
	s_and_b64 s[28:29], exec, s[24:25]
	s_or_b64 s[18:19], s[28:29], s[18:19]
	v_mov_b64_e32 v[26:27], s[26:27]
	s_andn2_b64 exec, exec, s[18:19]
	s_cbranch_execz .LBB561_350
.LBB561_347:                            ; =>This Inner Loop Header: Depth=1
	s_or_b64 s[24:25], s[24:25], exec
	s_cmp_eq_u64 s[16:17], s[26:27]
	s_cbranch_scc0 .LBB561_345
; %bb.348:                              ;   in Loop: Header=BB561_347 Depth=1
                                        ; implicit-def: $vgpr24_vgpr25
                                        ; implicit-def: $vgpr22_vgpr23
	s_mov_b64 s[26:27], s[12:13]
	s_branch .LBB561_346
.LBB561_349:
	v_mov_b64_e32 v[58:59], 0
	s_branch .LBB561_352
.LBB561_350:
	s_or_b64 exec, exec, s[18:19]
	v_cmp_gt_i64_e32 vcc, s[12:13], v[26:27]
	s_mov_b32 s16, 0
	v_mov_b32_e32 v59, s16
	v_cndmask_b32_e64 v58, 0, 1, vcc
.LBB561_351:
	s_or_b64 exec, exec, s[4:5]
.LBB561_352:
	v_cmp_ne_u32_e32 vcc, 0, v0
	s_waitcnt lgkmcnt(0)
	s_barrier
	s_waitcnt lgkmcnt(0)
                                        ; implicit-def: $sgpr18_sgpr19
	s_and_saveexec_b64 s[4:5], vcc
	s_cbranch_execz .LBB561_364
; %bb.353:
	s_and_b64 vcc, exec, s[2:3]
	s_cbranch_vccnz .LBB561_360
; %bb.354:
	v_add_u32_e32 v22, -8, v40
	ds_read_b64 v[22:23], v22
	v_mul_lo_u32 v1, v3, s12
	v_mul_lo_u32 v26, v2, s13
	v_mad_u64_u32 v[24:25], s[2:3], v2, s12, 0
	v_add3_u32 v25, v25, v26, v1
	s_waitcnt lgkmcnt(0)
	v_mul_lo_u32 v1, v23, s12
	v_mul_lo_u32 v26, v22, s13
	v_mad_u64_u32 v[22:23], s[2:3], v22, s12, 0
	v_add3_u32 v23, v23, v26, v1
	v_lshl_add_u64 v[24:25], v[24:25], 3, s[14:15]
	v_lshl_add_u64 v[22:23], v[22:23], 3, s[14:15]
	global_load_dwordx2 v[26:27], v[24:25], off
	global_load_dwordx2 v[28:29], v[22:23], off
	s_mov_b64 s[16:17], -1
	s_waitcnt vmcnt(0)
	v_cmp_eq_u64_e32 vcc, v[26:27], v[28:29]
	s_and_saveexec_b64 s[2:3], vcc
	s_cbranch_execz .LBB561_362
; %bb.355:
	s_add_u32 s16, s12, -1
	v_lshl_add_u64 v[22:23], v[22:23], 0, 8
	v_lshl_add_u64 v[24:25], v[24:25], 0, 8
	s_addc_u32 s17, s13, -1
	s_mov_b64 s[18:19], 0
	s_mov_b64 s[26:27], 0
                                        ; implicit-def: $sgpr24_sgpr25
	s_branch .LBB561_358
.LBB561_356:                            ;   in Loop: Header=BB561_358 Depth=1
	global_load_dwordx2 v[26:27], v[24:25], off
	global_load_dwordx2 v[28:29], v[22:23], off
	s_add_u32 s26, s26, 1
	s_addc_u32 s27, s27, 0
	s_andn2_b64 s[24:25], s[24:25], exec
	v_lshl_add_u64 v[22:23], v[22:23], 0, 8
	v_lshl_add_u64 v[24:25], v[24:25], 0, 8
	s_waitcnt vmcnt(0)
	v_cmp_ne_u64_e32 vcc, v[26:27], v[28:29]
	s_and_b64 s[28:29], vcc, exec
	s_or_b64 s[24:25], s[24:25], s[28:29]
.LBB561_357:                            ;   in Loop: Header=BB561_358 Depth=1
	s_and_b64 s[28:29], exec, s[24:25]
	s_or_b64 s[18:19], s[28:29], s[18:19]
	v_mov_b64_e32 v[26:27], s[26:27]
	s_andn2_b64 exec, exec, s[18:19]
	s_cbranch_execz .LBB561_361
.LBB561_358:                            ; =>This Inner Loop Header: Depth=1
	s_or_b64 s[24:25], s[24:25], exec
	s_cmp_eq_u64 s[16:17], s[26:27]
	s_cbranch_scc0 .LBB561_356
; %bb.359:                              ;   in Loop: Header=BB561_358 Depth=1
                                        ; implicit-def: $vgpr22_vgpr23
                                        ; implicit-def: $vgpr24_vgpr25
	s_mov_b64 s[26:27], s[12:13]
	s_branch .LBB561_357
.LBB561_360:
	s_mov_b64 s[16:17], 0
	s_branch .LBB561_363
.LBB561_361:
	s_or_b64 exec, exec, s[18:19]
	v_cmp_gt_i64_e32 vcc, s[12:13], v[26:27]
	s_orn2_b64 s[16:17], vcc, exec
.LBB561_362:
	s_or_b64 exec, exec, s[2:3]
.LBB561_363:
	s_and_b64 s[18:19], s[16:17], exec
	s_or_b64 s[22:23], s[22:23], exec
.LBB561_364:
	s_or_b64 exec, exec, s[4:5]
	v_mov_b64_e32 v[60:61], v[44:45]
	v_mov_b64_e32 v[22:23], v[38:39]
	;; [unrolled: 1-line block ×9, first 2 shown]
	s_branch .LBB561_488
.LBB561_365:
	s_waitcnt lgkmcnt(0)
	v_mad_u32_u24 v22, v0, 11, 10
	v_cmp_gt_i64_e64 s[2:3], s[12:13], 0
	v_cmp_gt_u32_e32 vcc, s10, v22
	v_mul_u32_u24_e32 v1, 11, v0
	v_cndmask_b32_e64 v22, 0, 1, s[2:3]
	v_cmp_ne_u32_e64 s[2:3], 1, v22
	ds_write_b64 v40, v[36:37]
	s_and_saveexec_b64 s[4:5], vcc
	s_cbranch_execz .LBB561_376
; %bb.366:
	s_and_b64 vcc, exec, s[2:3]
	s_cbranch_vccnz .LBB561_373
; %bb.367:
	v_mul_lo_u32 v24, v37, s12
	v_mul_lo_u32 v25, v36, s13
	v_mad_u64_u32 v[22:23], s[16:17], v36, s12, 0
	v_add3_u32 v23, v23, v25, v24
	v_mul_lo_u32 v24, v21, s12
	v_mul_lo_u32 v25, v20, s13
	v_mad_u64_u32 v[26:27], s[16:17], v20, s12, 0
	v_add3_u32 v27, v27, v25, v24
	v_lshl_add_u64 v[24:25], v[22:23], 3, s[14:15]
	v_lshl_add_u64 v[22:23], v[26:27], 3, s[14:15]
	global_load_dwordx2 v[26:27], v[24:25], off
	global_load_dwordx2 v[28:29], v[22:23], off
	v_mov_b64_e32 v[36:37], 1
	s_waitcnt vmcnt(0)
	v_cmp_eq_u64_e32 vcc, v[26:27], v[28:29]
	s_and_saveexec_b64 s[16:17], vcc
	s_cbranch_execz .LBB561_375
; %bb.368:
	s_add_u32 s18, s12, -1
	v_lshl_add_u64 v[22:23], v[22:23], 0, 8
	v_lshl_add_u64 v[24:25], v[24:25], 0, 8
	s_addc_u32 s19, s13, -1
	s_mov_b64 s[24:25], 0
	s_mov_b64 s[28:29], 0
                                        ; implicit-def: $sgpr26_sgpr27
	s_branch .LBB561_371
.LBB561_369:                            ;   in Loop: Header=BB561_371 Depth=1
	global_load_dwordx2 v[26:27], v[24:25], off
	global_load_dwordx2 v[28:29], v[22:23], off
	s_add_u32 s28, s28, 1
	s_addc_u32 s29, s29, 0
	s_andn2_b64 s[26:27], s[26:27], exec
	v_lshl_add_u64 v[22:23], v[22:23], 0, 8
	v_lshl_add_u64 v[24:25], v[24:25], 0, 8
	s_waitcnt vmcnt(0)
	v_cmp_ne_u64_e32 vcc, v[26:27], v[28:29]
	s_and_b64 s[30:31], vcc, exec
	s_or_b64 s[26:27], s[26:27], s[30:31]
.LBB561_370:                            ;   in Loop: Header=BB561_371 Depth=1
	s_and_b64 s[30:31], exec, s[26:27]
	s_or_b64 s[24:25], s[30:31], s[24:25]
	v_mov_b64_e32 v[26:27], s[28:29]
	s_andn2_b64 exec, exec, s[24:25]
	s_cbranch_execz .LBB561_374
.LBB561_371:                            ; =>This Inner Loop Header: Depth=1
	s_or_b64 s[26:27], s[26:27], exec
	s_cmp_eq_u64 s[18:19], s[28:29]
	s_cbranch_scc0 .LBB561_369
; %bb.372:                              ;   in Loop: Header=BB561_371 Depth=1
                                        ; implicit-def: $vgpr22_vgpr23
                                        ; implicit-def: $vgpr24_vgpr25
	s_mov_b64 s[28:29], s[12:13]
	s_branch .LBB561_370
.LBB561_373:
	v_mov_b64_e32 v[36:37], 0
	s_branch .LBB561_376
.LBB561_374:
	s_or_b64 exec, exec, s[24:25]
	v_cmp_gt_i64_e32 vcc, s[12:13], v[26:27]
	s_mov_b32 s18, 0
	v_mov_b32_e32 v37, s18
	v_cndmask_b32_e64 v36, 0, 1, vcc
.LBB561_375:
	s_or_b64 exec, exec, s[16:17]
.LBB561_376:
	s_or_b64 exec, exec, s[4:5]
	v_add_u32_e32 v22, 9, v1
	v_cmp_gt_u32_e32 vcc, s10, v22
	s_and_saveexec_b64 s[4:5], vcc
	s_cbranch_execz .LBB561_387
; %bb.377:
	s_and_b64 vcc, exec, s[2:3]
	s_cbranch_vccnz .LBB561_384
; %bb.378:
	v_mul_lo_u32 v22, v21, s12
	v_mul_lo_u32 v23, v20, s13
	v_mad_u64_u32 v[20:21], s[16:17], v20, s12, 0
	v_add3_u32 v21, v21, v23, v22
	v_mul_lo_u32 v22, v19, s12
	v_mul_lo_u32 v23, v18, s13
	v_mad_u64_u32 v[24:25], s[16:17], v18, s12, 0
	v_add3_u32 v25, v25, v23, v22
	v_lshl_add_u64 v[22:23], v[20:21], 3, s[14:15]
	v_lshl_add_u64 v[24:25], v[24:25], 3, s[14:15]
	global_load_dwordx2 v[20:21], v[22:23], off
	global_load_dwordx2 v[26:27], v[24:25], off
	s_waitcnt vmcnt(0)
	v_cmp_eq_u64_e32 vcc, v[20:21], v[26:27]
	v_mov_b64_e32 v[20:21], 1
	s_and_saveexec_b64 s[16:17], vcc
	s_cbranch_execz .LBB561_386
; %bb.379:
	s_add_u32 s18, s12, -1
	v_lshl_add_u64 v[20:21], v[24:25], 0, 8
	v_lshl_add_u64 v[22:23], v[22:23], 0, 8
	s_addc_u32 s19, s13, -1
	s_mov_b64 s[24:25], 0
	s_mov_b64 s[28:29], 0
                                        ; implicit-def: $sgpr26_sgpr27
	s_branch .LBB561_382
.LBB561_380:                            ;   in Loop: Header=BB561_382 Depth=1
	global_load_dwordx2 v[24:25], v[22:23], off
	global_load_dwordx2 v[26:27], v[20:21], off
	s_add_u32 s28, s28, 1
	s_addc_u32 s29, s29, 0
	s_andn2_b64 s[26:27], s[26:27], exec
	v_lshl_add_u64 v[20:21], v[20:21], 0, 8
	v_lshl_add_u64 v[22:23], v[22:23], 0, 8
	s_waitcnt vmcnt(0)
	v_cmp_ne_u64_e32 vcc, v[24:25], v[26:27]
	s_and_b64 s[30:31], vcc, exec
	s_or_b64 s[26:27], s[26:27], s[30:31]
.LBB561_381:                            ;   in Loop: Header=BB561_382 Depth=1
	s_and_b64 s[30:31], exec, s[26:27]
	s_or_b64 s[24:25], s[30:31], s[24:25]
	v_mov_b64_e32 v[24:25], s[28:29]
	s_andn2_b64 exec, exec, s[24:25]
	s_cbranch_execz .LBB561_385
.LBB561_382:                            ; =>This Inner Loop Header: Depth=1
	s_or_b64 s[26:27], s[26:27], exec
	s_cmp_eq_u64 s[18:19], s[28:29]
	s_cbranch_scc0 .LBB561_380
; %bb.383:                              ;   in Loop: Header=BB561_382 Depth=1
                                        ; implicit-def: $vgpr20_vgpr21
                                        ; implicit-def: $vgpr22_vgpr23
	s_mov_b64 s[28:29], s[12:13]
	s_branch .LBB561_381
.LBB561_384:
	v_mov_b64_e32 v[20:21], 0
	s_branch .LBB561_387
.LBB561_385:
	s_or_b64 exec, exec, s[24:25]
	v_cmp_gt_i64_e32 vcc, s[12:13], v[24:25]
	s_mov_b32 s18, 0
	v_mov_b32_e32 v21, s18
	v_cndmask_b32_e64 v20, 0, 1, vcc
.LBB561_386:
	s_or_b64 exec, exec, s[16:17]
.LBB561_387:
	s_or_b64 exec, exec, s[4:5]
	v_add_u32_e32 v22, 8, v1
	v_cmp_gt_u32_e32 vcc, s10, v22
	s_and_saveexec_b64 s[4:5], vcc
	s_cbranch_execz .LBB561_398
; %bb.388:
	s_and_b64 vcc, exec, s[2:3]
	s_cbranch_vccnz .LBB561_395
; %bb.389:
	v_mul_lo_u32 v22, v19, s12
	v_mul_lo_u32 v23, v18, s13
	v_mad_u64_u32 v[18:19], s[16:17], v18, s12, 0
	v_add3_u32 v19, v19, v23, v22
	v_mul_lo_u32 v22, v17, s12
	v_mul_lo_u32 v23, v16, s13
	v_mad_u64_u32 v[24:25], s[16:17], v16, s12, 0
	v_add3_u32 v25, v25, v23, v22
	v_lshl_add_u64 v[22:23], v[18:19], 3, s[14:15]
	v_lshl_add_u64 v[24:25], v[24:25], 3, s[14:15]
	global_load_dwordx2 v[18:19], v[22:23], off
	global_load_dwordx2 v[26:27], v[24:25], off
	s_waitcnt vmcnt(0)
	v_cmp_eq_u64_e32 vcc, v[18:19], v[26:27]
	v_mov_b64_e32 v[18:19], 1
	s_and_saveexec_b64 s[16:17], vcc
	s_cbranch_execz .LBB561_397
; %bb.390:
	s_add_u32 s18, s12, -1
	v_lshl_add_u64 v[18:19], v[24:25], 0, 8
	v_lshl_add_u64 v[22:23], v[22:23], 0, 8
	s_addc_u32 s19, s13, -1
	s_mov_b64 s[24:25], 0
	s_mov_b64 s[28:29], 0
                                        ; implicit-def: $sgpr26_sgpr27
	s_branch .LBB561_393
.LBB561_391:                            ;   in Loop: Header=BB561_393 Depth=1
	global_load_dwordx2 v[24:25], v[22:23], off
	global_load_dwordx2 v[26:27], v[18:19], off
	s_add_u32 s28, s28, 1
	s_addc_u32 s29, s29, 0
	s_andn2_b64 s[26:27], s[26:27], exec
	v_lshl_add_u64 v[18:19], v[18:19], 0, 8
	v_lshl_add_u64 v[22:23], v[22:23], 0, 8
	s_waitcnt vmcnt(0)
	v_cmp_ne_u64_e32 vcc, v[24:25], v[26:27]
	s_and_b64 s[30:31], vcc, exec
	s_or_b64 s[26:27], s[26:27], s[30:31]
.LBB561_392:                            ;   in Loop: Header=BB561_393 Depth=1
	s_and_b64 s[30:31], exec, s[26:27]
	s_or_b64 s[24:25], s[30:31], s[24:25]
	v_mov_b64_e32 v[24:25], s[28:29]
	s_andn2_b64 exec, exec, s[24:25]
	s_cbranch_execz .LBB561_396
.LBB561_393:                            ; =>This Inner Loop Header: Depth=1
	s_or_b64 s[26:27], s[26:27], exec
	s_cmp_eq_u64 s[18:19], s[28:29]
	s_cbranch_scc0 .LBB561_391
; %bb.394:                              ;   in Loop: Header=BB561_393 Depth=1
                                        ; implicit-def: $vgpr18_vgpr19
                                        ; implicit-def: $vgpr22_vgpr23
	s_mov_b64 s[28:29], s[12:13]
	s_branch .LBB561_392
.LBB561_395:
	v_mov_b64_e32 v[18:19], 0
	s_branch .LBB561_398
.LBB561_396:
	s_or_b64 exec, exec, s[24:25]
	v_cmp_gt_i64_e32 vcc, s[12:13], v[24:25]
	s_mov_b32 s18, 0
	v_mov_b32_e32 v19, s18
	v_cndmask_b32_e64 v18, 0, 1, vcc
.LBB561_397:
	s_or_b64 exec, exec, s[16:17]
.LBB561_398:
	s_or_b64 exec, exec, s[4:5]
	v_add_u32_e32 v22, 7, v1
	v_cmp_gt_u32_e32 vcc, s10, v22
	s_and_saveexec_b64 s[4:5], vcc
	s_cbranch_execz .LBB561_409
; %bb.399:
	s_and_b64 vcc, exec, s[2:3]
	s_cbranch_vccnz .LBB561_406
; %bb.400:
	v_mul_lo_u32 v22, v17, s12
	v_mul_lo_u32 v23, v16, s13
	v_mad_u64_u32 v[16:17], s[16:17], v16, s12, 0
	v_add3_u32 v17, v17, v23, v22
	v_mul_lo_u32 v22, v15, s12
	v_mul_lo_u32 v23, v14, s13
	v_mad_u64_u32 v[24:25], s[16:17], v14, s12, 0
	v_add3_u32 v25, v25, v23, v22
	v_lshl_add_u64 v[22:23], v[16:17], 3, s[14:15]
	v_lshl_add_u64 v[24:25], v[24:25], 3, s[14:15]
	global_load_dwordx2 v[16:17], v[22:23], off
	global_load_dwordx2 v[26:27], v[24:25], off
	s_waitcnt vmcnt(0)
	v_cmp_eq_u64_e32 vcc, v[16:17], v[26:27]
	v_mov_b64_e32 v[16:17], 1
	s_and_saveexec_b64 s[16:17], vcc
	s_cbranch_execz .LBB561_408
; %bb.401:
	s_add_u32 s18, s12, -1
	v_lshl_add_u64 v[16:17], v[24:25], 0, 8
	v_lshl_add_u64 v[22:23], v[22:23], 0, 8
	s_addc_u32 s19, s13, -1
	s_mov_b64 s[24:25], 0
	s_mov_b64 s[28:29], 0
                                        ; implicit-def: $sgpr26_sgpr27
	s_branch .LBB561_404
.LBB561_402:                            ;   in Loop: Header=BB561_404 Depth=1
	global_load_dwordx2 v[24:25], v[22:23], off
	global_load_dwordx2 v[26:27], v[16:17], off
	s_add_u32 s28, s28, 1
	s_addc_u32 s29, s29, 0
	s_andn2_b64 s[26:27], s[26:27], exec
	v_lshl_add_u64 v[16:17], v[16:17], 0, 8
	v_lshl_add_u64 v[22:23], v[22:23], 0, 8
	s_waitcnt vmcnt(0)
	v_cmp_ne_u64_e32 vcc, v[24:25], v[26:27]
	s_and_b64 s[30:31], vcc, exec
	s_or_b64 s[26:27], s[26:27], s[30:31]
.LBB561_403:                            ;   in Loop: Header=BB561_404 Depth=1
	s_and_b64 s[30:31], exec, s[26:27]
	s_or_b64 s[24:25], s[30:31], s[24:25]
	v_mov_b64_e32 v[24:25], s[28:29]
	s_andn2_b64 exec, exec, s[24:25]
	s_cbranch_execz .LBB561_407
.LBB561_404:                            ; =>This Inner Loop Header: Depth=1
	s_or_b64 s[26:27], s[26:27], exec
	s_cmp_eq_u64 s[18:19], s[28:29]
	s_cbranch_scc0 .LBB561_402
; %bb.405:                              ;   in Loop: Header=BB561_404 Depth=1
                                        ; implicit-def: $vgpr16_vgpr17
                                        ; implicit-def: $vgpr22_vgpr23
	s_mov_b64 s[28:29], s[12:13]
	s_branch .LBB561_403
.LBB561_406:
	v_mov_b64_e32 v[16:17], 0
	s_branch .LBB561_409
.LBB561_407:
	s_or_b64 exec, exec, s[24:25]
	v_cmp_gt_i64_e32 vcc, s[12:13], v[24:25]
	s_mov_b32 s18, 0
	v_mov_b32_e32 v17, s18
	v_cndmask_b32_e64 v16, 0, 1, vcc
.LBB561_408:
	s_or_b64 exec, exec, s[16:17]
.LBB561_409:
	s_or_b64 exec, exec, s[4:5]
	v_add_u32_e32 v22, 6, v1
	v_cmp_gt_u32_e32 vcc, s10, v22
	s_and_saveexec_b64 s[4:5], vcc
	s_cbranch_execz .LBB561_420
; %bb.410:
	s_and_b64 vcc, exec, s[2:3]
	s_cbranch_vccnz .LBB561_417
; %bb.411:
	v_mul_lo_u32 v22, v15, s12
	v_mul_lo_u32 v23, v14, s13
	v_mad_u64_u32 v[14:15], s[16:17], v14, s12, 0
	v_add3_u32 v15, v15, v23, v22
	v_mul_lo_u32 v22, v13, s12
	v_mul_lo_u32 v23, v12, s13
	v_mad_u64_u32 v[24:25], s[16:17], v12, s12, 0
	v_add3_u32 v25, v25, v23, v22
	v_lshl_add_u64 v[22:23], v[14:15], 3, s[14:15]
	v_lshl_add_u64 v[24:25], v[24:25], 3, s[14:15]
	global_load_dwordx2 v[14:15], v[22:23], off
	global_load_dwordx2 v[26:27], v[24:25], off
	s_waitcnt vmcnt(0)
	v_cmp_eq_u64_e32 vcc, v[14:15], v[26:27]
	v_mov_b64_e32 v[14:15], 1
	s_and_saveexec_b64 s[16:17], vcc
	s_cbranch_execz .LBB561_419
; %bb.412:
	s_add_u32 s18, s12, -1
	v_lshl_add_u64 v[14:15], v[24:25], 0, 8
	v_lshl_add_u64 v[22:23], v[22:23], 0, 8
	s_addc_u32 s19, s13, -1
	s_mov_b64 s[24:25], 0
	s_mov_b64 s[28:29], 0
                                        ; implicit-def: $sgpr26_sgpr27
	s_branch .LBB561_415
.LBB561_413:                            ;   in Loop: Header=BB561_415 Depth=1
	global_load_dwordx2 v[24:25], v[22:23], off
	global_load_dwordx2 v[26:27], v[14:15], off
	s_add_u32 s28, s28, 1
	s_addc_u32 s29, s29, 0
	s_andn2_b64 s[26:27], s[26:27], exec
	v_lshl_add_u64 v[14:15], v[14:15], 0, 8
	v_lshl_add_u64 v[22:23], v[22:23], 0, 8
	s_waitcnt vmcnt(0)
	v_cmp_ne_u64_e32 vcc, v[24:25], v[26:27]
	s_and_b64 s[30:31], vcc, exec
	s_or_b64 s[26:27], s[26:27], s[30:31]
.LBB561_414:                            ;   in Loop: Header=BB561_415 Depth=1
	s_and_b64 s[30:31], exec, s[26:27]
	s_or_b64 s[24:25], s[30:31], s[24:25]
	v_mov_b64_e32 v[24:25], s[28:29]
	s_andn2_b64 exec, exec, s[24:25]
	s_cbranch_execz .LBB561_418
.LBB561_415:                            ; =>This Inner Loop Header: Depth=1
	s_or_b64 s[26:27], s[26:27], exec
	s_cmp_eq_u64 s[18:19], s[28:29]
	s_cbranch_scc0 .LBB561_413
; %bb.416:                              ;   in Loop: Header=BB561_415 Depth=1
                                        ; implicit-def: $vgpr14_vgpr15
                                        ; implicit-def: $vgpr22_vgpr23
	s_mov_b64 s[28:29], s[12:13]
	s_branch .LBB561_414
.LBB561_417:
	v_mov_b64_e32 v[14:15], 0
	s_branch .LBB561_420
.LBB561_418:
	s_or_b64 exec, exec, s[24:25]
	v_cmp_gt_i64_e32 vcc, s[12:13], v[24:25]
	s_mov_b32 s18, 0
	v_mov_b32_e32 v15, s18
	v_cndmask_b32_e64 v14, 0, 1, vcc
.LBB561_419:
	s_or_b64 exec, exec, s[16:17]
.LBB561_420:
	s_or_b64 exec, exec, s[4:5]
	v_add_u32_e32 v22, 5, v1
	v_cmp_gt_u32_e32 vcc, s10, v22
	s_and_saveexec_b64 s[4:5], vcc
	s_cbranch_execz .LBB561_431
; %bb.421:
	s_and_b64 vcc, exec, s[2:3]
	s_cbranch_vccnz .LBB561_428
; %bb.422:
	v_mul_lo_u32 v22, v13, s12
	v_mul_lo_u32 v23, v12, s13
	v_mad_u64_u32 v[12:13], s[16:17], v12, s12, 0
	v_add3_u32 v13, v13, v23, v22
	v_mul_lo_u32 v22, v11, s12
	v_mul_lo_u32 v23, v10, s13
	v_mad_u64_u32 v[24:25], s[16:17], v10, s12, 0
	v_add3_u32 v25, v25, v23, v22
	v_lshl_add_u64 v[22:23], v[12:13], 3, s[14:15]
	v_lshl_add_u64 v[24:25], v[24:25], 3, s[14:15]
	global_load_dwordx2 v[12:13], v[22:23], off
	global_load_dwordx2 v[26:27], v[24:25], off
	s_waitcnt vmcnt(0)
	v_cmp_eq_u64_e32 vcc, v[12:13], v[26:27]
	v_mov_b64_e32 v[12:13], 1
	s_and_saveexec_b64 s[16:17], vcc
	s_cbranch_execz .LBB561_430
; %bb.423:
	s_add_u32 s18, s12, -1
	v_lshl_add_u64 v[12:13], v[24:25], 0, 8
	v_lshl_add_u64 v[22:23], v[22:23], 0, 8
	s_addc_u32 s19, s13, -1
	s_mov_b64 s[24:25], 0
	s_mov_b64 s[28:29], 0
                                        ; implicit-def: $sgpr26_sgpr27
	s_branch .LBB561_426
.LBB561_424:                            ;   in Loop: Header=BB561_426 Depth=1
	global_load_dwordx2 v[24:25], v[22:23], off
	global_load_dwordx2 v[26:27], v[12:13], off
	s_add_u32 s28, s28, 1
	s_addc_u32 s29, s29, 0
	s_andn2_b64 s[26:27], s[26:27], exec
	v_lshl_add_u64 v[12:13], v[12:13], 0, 8
	v_lshl_add_u64 v[22:23], v[22:23], 0, 8
	s_waitcnt vmcnt(0)
	v_cmp_ne_u64_e32 vcc, v[24:25], v[26:27]
	s_and_b64 s[30:31], vcc, exec
	s_or_b64 s[26:27], s[26:27], s[30:31]
.LBB561_425:                            ;   in Loop: Header=BB561_426 Depth=1
	s_and_b64 s[30:31], exec, s[26:27]
	s_or_b64 s[24:25], s[30:31], s[24:25]
	v_mov_b64_e32 v[24:25], s[28:29]
	s_andn2_b64 exec, exec, s[24:25]
	s_cbranch_execz .LBB561_429
.LBB561_426:                            ; =>This Inner Loop Header: Depth=1
	s_or_b64 s[26:27], s[26:27], exec
	s_cmp_eq_u64 s[18:19], s[28:29]
	s_cbranch_scc0 .LBB561_424
; %bb.427:                              ;   in Loop: Header=BB561_426 Depth=1
                                        ; implicit-def: $vgpr12_vgpr13
                                        ; implicit-def: $vgpr22_vgpr23
	s_mov_b64 s[28:29], s[12:13]
	s_branch .LBB561_425
.LBB561_428:
	v_mov_b64_e32 v[12:13], 0
	s_branch .LBB561_431
.LBB561_429:
	s_or_b64 exec, exec, s[24:25]
	v_cmp_gt_i64_e32 vcc, s[12:13], v[24:25]
	s_mov_b32 s18, 0
	v_mov_b32_e32 v13, s18
	v_cndmask_b32_e64 v12, 0, 1, vcc
.LBB561_430:
	s_or_b64 exec, exec, s[16:17]
.LBB561_431:
	s_or_b64 exec, exec, s[4:5]
	v_add_u32_e32 v22, 4, v1
	v_cmp_gt_u32_e32 vcc, s10, v22
	s_and_saveexec_b64 s[4:5], vcc
	s_cbranch_execz .LBB561_442
; %bb.432:
	s_and_b64 vcc, exec, s[2:3]
	s_cbranch_vccnz .LBB561_439
; %bb.433:
	v_mul_lo_u32 v22, v11, s12
	v_mul_lo_u32 v23, v10, s13
	v_mad_u64_u32 v[10:11], s[16:17], v10, s12, 0
	v_add3_u32 v11, v11, v23, v22
	v_mul_lo_u32 v22, v9, s12
	v_mul_lo_u32 v23, v8, s13
	v_mad_u64_u32 v[24:25], s[16:17], v8, s12, 0
	v_add3_u32 v25, v25, v23, v22
	v_lshl_add_u64 v[22:23], v[10:11], 3, s[14:15]
	v_lshl_add_u64 v[24:25], v[24:25], 3, s[14:15]
	global_load_dwordx2 v[10:11], v[22:23], off
	global_load_dwordx2 v[26:27], v[24:25], off
	s_waitcnt vmcnt(0)
	v_cmp_eq_u64_e32 vcc, v[10:11], v[26:27]
	v_mov_b64_e32 v[10:11], 1
	s_and_saveexec_b64 s[16:17], vcc
	s_cbranch_execz .LBB561_441
; %bb.434:
	s_add_u32 s18, s12, -1
	v_lshl_add_u64 v[10:11], v[24:25], 0, 8
	v_lshl_add_u64 v[22:23], v[22:23], 0, 8
	s_addc_u32 s19, s13, -1
	s_mov_b64 s[24:25], 0
	s_mov_b64 s[28:29], 0
                                        ; implicit-def: $sgpr26_sgpr27
	s_branch .LBB561_437
.LBB561_435:                            ;   in Loop: Header=BB561_437 Depth=1
	global_load_dwordx2 v[24:25], v[22:23], off
	global_load_dwordx2 v[26:27], v[10:11], off
	s_add_u32 s28, s28, 1
	s_addc_u32 s29, s29, 0
	s_andn2_b64 s[26:27], s[26:27], exec
	v_lshl_add_u64 v[10:11], v[10:11], 0, 8
	v_lshl_add_u64 v[22:23], v[22:23], 0, 8
	s_waitcnt vmcnt(0)
	v_cmp_ne_u64_e32 vcc, v[24:25], v[26:27]
	s_and_b64 s[30:31], vcc, exec
	s_or_b64 s[26:27], s[26:27], s[30:31]
.LBB561_436:                            ;   in Loop: Header=BB561_437 Depth=1
	s_and_b64 s[30:31], exec, s[26:27]
	s_or_b64 s[24:25], s[30:31], s[24:25]
	v_mov_b64_e32 v[24:25], s[28:29]
	s_andn2_b64 exec, exec, s[24:25]
	s_cbranch_execz .LBB561_440
.LBB561_437:                            ; =>This Inner Loop Header: Depth=1
	s_or_b64 s[26:27], s[26:27], exec
	s_cmp_eq_u64 s[18:19], s[28:29]
	s_cbranch_scc0 .LBB561_435
; %bb.438:                              ;   in Loop: Header=BB561_437 Depth=1
                                        ; implicit-def: $vgpr10_vgpr11
                                        ; implicit-def: $vgpr22_vgpr23
	s_mov_b64 s[28:29], s[12:13]
	s_branch .LBB561_436
.LBB561_439:
	v_mov_b64_e32 v[10:11], 0
	s_branch .LBB561_442
.LBB561_440:
	s_or_b64 exec, exec, s[24:25]
	v_cmp_gt_i64_e32 vcc, s[12:13], v[24:25]
	s_mov_b32 s18, 0
	v_mov_b32_e32 v11, s18
	v_cndmask_b32_e64 v10, 0, 1, vcc
.LBB561_441:
	s_or_b64 exec, exec, s[16:17]
.LBB561_442:
	s_or_b64 exec, exec, s[4:5]
	v_add_u32_e32 v22, 3, v1
	v_cmp_gt_u32_e32 vcc, s10, v22
	s_and_saveexec_b64 s[4:5], vcc
	s_cbranch_execz .LBB561_453
; %bb.443:
	s_and_b64 vcc, exec, s[2:3]
	s_cbranch_vccnz .LBB561_450
; %bb.444:
	v_mul_lo_u32 v22, v9, s12
	v_mul_lo_u32 v23, v8, s13
	v_mad_u64_u32 v[8:9], s[16:17], v8, s12, 0
	v_add3_u32 v9, v9, v23, v22
	v_mul_lo_u32 v22, v7, s12
	v_mul_lo_u32 v23, v6, s13
	v_mad_u64_u32 v[24:25], s[16:17], v6, s12, 0
	v_add3_u32 v25, v25, v23, v22
	v_lshl_add_u64 v[22:23], v[8:9], 3, s[14:15]
	v_lshl_add_u64 v[24:25], v[24:25], 3, s[14:15]
	global_load_dwordx2 v[8:9], v[22:23], off
	global_load_dwordx2 v[26:27], v[24:25], off
	s_waitcnt vmcnt(0)
	v_cmp_eq_u64_e32 vcc, v[8:9], v[26:27]
	v_mov_b64_e32 v[8:9], 1
	s_and_saveexec_b64 s[16:17], vcc
	s_cbranch_execz .LBB561_452
; %bb.445:
	s_add_u32 s18, s12, -1
	v_lshl_add_u64 v[8:9], v[24:25], 0, 8
	v_lshl_add_u64 v[22:23], v[22:23], 0, 8
	s_addc_u32 s19, s13, -1
	s_mov_b64 s[24:25], 0
	s_mov_b64 s[28:29], 0
                                        ; implicit-def: $sgpr26_sgpr27
	s_branch .LBB561_448
.LBB561_446:                            ;   in Loop: Header=BB561_448 Depth=1
	global_load_dwordx2 v[24:25], v[22:23], off
	global_load_dwordx2 v[26:27], v[8:9], off
	s_add_u32 s28, s28, 1
	s_addc_u32 s29, s29, 0
	s_andn2_b64 s[26:27], s[26:27], exec
	v_lshl_add_u64 v[8:9], v[8:9], 0, 8
	v_lshl_add_u64 v[22:23], v[22:23], 0, 8
	s_waitcnt vmcnt(0)
	v_cmp_ne_u64_e32 vcc, v[24:25], v[26:27]
	s_and_b64 s[30:31], vcc, exec
	s_or_b64 s[26:27], s[26:27], s[30:31]
.LBB561_447:                            ;   in Loop: Header=BB561_448 Depth=1
	s_and_b64 s[30:31], exec, s[26:27]
	s_or_b64 s[24:25], s[30:31], s[24:25]
	v_mov_b64_e32 v[24:25], s[28:29]
	s_andn2_b64 exec, exec, s[24:25]
	s_cbranch_execz .LBB561_451
.LBB561_448:                            ; =>This Inner Loop Header: Depth=1
	s_or_b64 s[26:27], s[26:27], exec
	s_cmp_eq_u64 s[18:19], s[28:29]
	s_cbranch_scc0 .LBB561_446
; %bb.449:                              ;   in Loop: Header=BB561_448 Depth=1
                                        ; implicit-def: $vgpr8_vgpr9
                                        ; implicit-def: $vgpr22_vgpr23
	s_mov_b64 s[28:29], s[12:13]
	s_branch .LBB561_447
.LBB561_450:
	v_mov_b64_e32 v[8:9], 0
	s_branch .LBB561_453
.LBB561_451:
	s_or_b64 exec, exec, s[24:25]
	v_cmp_gt_i64_e32 vcc, s[12:13], v[24:25]
	s_mov_b32 s18, 0
	v_mov_b32_e32 v9, s18
	v_cndmask_b32_e64 v8, 0, 1, vcc
.LBB561_452:
	s_or_b64 exec, exec, s[16:17]
.LBB561_453:
	s_or_b64 exec, exec, s[4:5]
	v_add_u32_e32 v22, 2, v1
	v_cmp_gt_u32_e32 vcc, s10, v22
	s_and_saveexec_b64 s[4:5], vcc
	s_cbranch_execz .LBB561_464
; %bb.454:
	s_and_b64 vcc, exec, s[2:3]
	s_cbranch_vccnz .LBB561_461
; %bb.455:
	v_mul_lo_u32 v22, v7, s12
	v_mul_lo_u32 v23, v6, s13
	v_mad_u64_u32 v[6:7], s[16:17], v6, s12, 0
	v_add3_u32 v7, v7, v23, v22
	v_mul_lo_u32 v22, v5, s12
	v_mul_lo_u32 v23, v4, s13
	v_mad_u64_u32 v[24:25], s[16:17], v4, s12, 0
	v_add3_u32 v25, v25, v23, v22
	v_lshl_add_u64 v[22:23], v[6:7], 3, s[14:15]
	v_lshl_add_u64 v[24:25], v[24:25], 3, s[14:15]
	global_load_dwordx2 v[6:7], v[22:23], off
	global_load_dwordx2 v[26:27], v[24:25], off
	s_waitcnt vmcnt(0)
	v_cmp_eq_u64_e32 vcc, v[6:7], v[26:27]
	v_mov_b64_e32 v[6:7], 1
	s_and_saveexec_b64 s[16:17], vcc
	s_cbranch_execz .LBB561_463
; %bb.456:
	s_add_u32 s18, s12, -1
	v_lshl_add_u64 v[6:7], v[24:25], 0, 8
	v_lshl_add_u64 v[22:23], v[22:23], 0, 8
	s_addc_u32 s19, s13, -1
	s_mov_b64 s[24:25], 0
	s_mov_b64 s[28:29], 0
                                        ; implicit-def: $sgpr26_sgpr27
	s_branch .LBB561_459
.LBB561_457:                            ;   in Loop: Header=BB561_459 Depth=1
	global_load_dwordx2 v[24:25], v[22:23], off
	global_load_dwordx2 v[26:27], v[6:7], off
	s_add_u32 s28, s28, 1
	s_addc_u32 s29, s29, 0
	s_andn2_b64 s[26:27], s[26:27], exec
	v_lshl_add_u64 v[6:7], v[6:7], 0, 8
	v_lshl_add_u64 v[22:23], v[22:23], 0, 8
	s_waitcnt vmcnt(0)
	v_cmp_ne_u64_e32 vcc, v[24:25], v[26:27]
	s_and_b64 s[30:31], vcc, exec
	s_or_b64 s[26:27], s[26:27], s[30:31]
.LBB561_458:                            ;   in Loop: Header=BB561_459 Depth=1
	s_and_b64 s[30:31], exec, s[26:27]
	s_or_b64 s[24:25], s[30:31], s[24:25]
	v_mov_b64_e32 v[24:25], s[28:29]
	s_andn2_b64 exec, exec, s[24:25]
	s_cbranch_execz .LBB561_462
.LBB561_459:                            ; =>This Inner Loop Header: Depth=1
	s_or_b64 s[26:27], s[26:27], exec
	s_cmp_eq_u64 s[18:19], s[28:29]
	s_cbranch_scc0 .LBB561_457
; %bb.460:                              ;   in Loop: Header=BB561_459 Depth=1
                                        ; implicit-def: $vgpr6_vgpr7
                                        ; implicit-def: $vgpr22_vgpr23
	s_mov_b64 s[28:29], s[12:13]
	s_branch .LBB561_458
.LBB561_461:
	v_mov_b64_e32 v[6:7], 0
	s_branch .LBB561_464
.LBB561_462:
	s_or_b64 exec, exec, s[24:25]
	v_cmp_gt_i64_e32 vcc, s[12:13], v[24:25]
	s_mov_b32 s18, 0
	v_mov_b32_e32 v7, s18
	v_cndmask_b32_e64 v6, 0, 1, vcc
.LBB561_463:
	s_or_b64 exec, exec, s[16:17]
.LBB561_464:
	s_or_b64 exec, exec, s[4:5]
	v_add_u32_e32 v22, 1, v1
	v_cmp_gt_u32_e32 vcc, s10, v22
	s_and_saveexec_b64 s[4:5], vcc
	s_cbranch_execz .LBB561_475
; %bb.465:
	s_and_b64 vcc, exec, s[2:3]
	s_cbranch_vccnz .LBB561_472
; %bb.466:
	v_mul_lo_u32 v22, v5, s12
	v_mul_lo_u32 v23, v4, s13
	v_mad_u64_u32 v[4:5], s[16:17], v4, s12, 0
	v_add3_u32 v5, v5, v23, v22
	v_mul_lo_u32 v22, v3, s12
	v_mul_lo_u32 v23, v2, s13
	v_mad_u64_u32 v[24:25], s[16:17], v2, s12, 0
	v_add3_u32 v25, v25, v23, v22
	v_lshl_add_u64 v[22:23], v[4:5], 3, s[14:15]
	v_lshl_add_u64 v[24:25], v[24:25], 3, s[14:15]
	global_load_dwordx2 v[4:5], v[22:23], off
	global_load_dwordx2 v[26:27], v[24:25], off
	s_waitcnt vmcnt(0)
	v_cmp_eq_u64_e32 vcc, v[4:5], v[26:27]
	v_mov_b64_e32 v[4:5], 1
	s_and_saveexec_b64 s[16:17], vcc
	s_cbranch_execz .LBB561_474
; %bb.467:
	s_add_u32 s18, s12, -1
	v_lshl_add_u64 v[4:5], v[24:25], 0, 8
	v_lshl_add_u64 v[22:23], v[22:23], 0, 8
	s_addc_u32 s19, s13, -1
	s_mov_b64 s[24:25], 0
	s_mov_b64 s[28:29], 0
                                        ; implicit-def: $sgpr26_sgpr27
	s_branch .LBB561_470
.LBB561_468:                            ;   in Loop: Header=BB561_470 Depth=1
	global_load_dwordx2 v[24:25], v[22:23], off
	global_load_dwordx2 v[26:27], v[4:5], off
	s_add_u32 s28, s28, 1
	s_addc_u32 s29, s29, 0
	s_andn2_b64 s[26:27], s[26:27], exec
	v_lshl_add_u64 v[4:5], v[4:5], 0, 8
	v_lshl_add_u64 v[22:23], v[22:23], 0, 8
	s_waitcnt vmcnt(0)
	v_cmp_ne_u64_e32 vcc, v[24:25], v[26:27]
	s_and_b64 s[30:31], vcc, exec
	s_or_b64 s[26:27], s[26:27], s[30:31]
.LBB561_469:                            ;   in Loop: Header=BB561_470 Depth=1
	s_and_b64 s[30:31], exec, s[26:27]
	s_or_b64 s[24:25], s[30:31], s[24:25]
	v_mov_b64_e32 v[24:25], s[28:29]
	s_andn2_b64 exec, exec, s[24:25]
	s_cbranch_execz .LBB561_473
.LBB561_470:                            ; =>This Inner Loop Header: Depth=1
	s_or_b64 s[26:27], s[26:27], exec
	s_cmp_eq_u64 s[18:19], s[28:29]
	s_cbranch_scc0 .LBB561_468
; %bb.471:                              ;   in Loop: Header=BB561_470 Depth=1
                                        ; implicit-def: $vgpr4_vgpr5
                                        ; implicit-def: $vgpr22_vgpr23
	s_mov_b64 s[28:29], s[12:13]
	s_branch .LBB561_469
.LBB561_472:
	v_mov_b64_e32 v[4:5], 0
	s_branch .LBB561_475
.LBB561_473:
	s_or_b64 exec, exec, s[24:25]
	v_cmp_gt_i64_e32 vcc, s[12:13], v[24:25]
	s_mov_b32 s18, 0
	v_mov_b32_e32 v5, s18
	v_cndmask_b32_e64 v4, 0, 1, vcc
.LBB561_474:
	s_or_b64 exec, exec, s[16:17]
.LBB561_475:
	s_or_b64 exec, exec, s[4:5]
	v_cmp_ne_u32_e32 vcc, 0, v0
	v_cmp_gt_u32_e64 s[4:5], s10, v1
	s_and_b64 s[16:17], vcc, s[4:5]
	s_waitcnt lgkmcnt(0)
	s_barrier
	s_waitcnt lgkmcnt(0)
                                        ; implicit-def: $sgpr18_sgpr19
	s_and_saveexec_b64 s[4:5], s[16:17]
	s_cbranch_execz .LBB561_487
; %bb.476:
	s_and_b64 vcc, exec, s[2:3]
	s_cbranch_vccnz .LBB561_483
; %bb.477:
	v_mul_lo_u32 v1, v3, s12
	v_add_u32_e32 v3, -8, v40
	ds_read_b64 v[22:23], v3
	v_mul_lo_u32 v24, v2, s13
	v_mad_u64_u32 v[2:3], s[2:3], v2, s12, 0
	v_add3_u32 v3, v3, v24, v1
	s_waitcnt lgkmcnt(0)
	v_mul_lo_u32 v1, v23, s12
	v_mul_lo_u32 v23, v22, s13
	v_mad_u64_u32 v[24:25], s[2:3], v22, s12, 0
	v_add3_u32 v25, v25, v23, v1
	v_lshl_add_u64 v[22:23], v[2:3], 3, s[14:15]
	v_lshl_add_u64 v[2:3], v[24:25], 3, s[14:15]
	global_load_dwordx2 v[24:25], v[22:23], off
	global_load_dwordx2 v[26:27], v[2:3], off
	s_mov_b64 s[14:15], -1
	s_waitcnt vmcnt(0)
	v_cmp_eq_u64_e32 vcc, v[24:25], v[26:27]
	s_and_saveexec_b64 s[2:3], vcc
	s_cbranch_execz .LBB561_485
; %bb.478:
	s_add_u32 s14, s12, -1
	v_lshl_add_u64 v[2:3], v[2:3], 0, 8
	v_lshl_add_u64 v[22:23], v[22:23], 0, 8
	s_addc_u32 s15, s13, -1
	s_mov_b64 s[16:17], 0
	s_mov_b64 s[24:25], 0
                                        ; implicit-def: $sgpr18_sgpr19
	s_branch .LBB561_481
.LBB561_479:                            ;   in Loop: Header=BB561_481 Depth=1
	global_load_dwordx2 v[24:25], v[22:23], off
	global_load_dwordx2 v[26:27], v[2:3], off
	s_add_u32 s24, s24, 1
	s_addc_u32 s25, s25, 0
	s_andn2_b64 s[18:19], s[18:19], exec
	v_lshl_add_u64 v[2:3], v[2:3], 0, 8
	v_lshl_add_u64 v[22:23], v[22:23], 0, 8
	s_waitcnt vmcnt(0)
	v_cmp_ne_u64_e32 vcc, v[24:25], v[26:27]
	s_and_b64 s[26:27], vcc, exec
	s_or_b64 s[18:19], s[18:19], s[26:27]
.LBB561_480:                            ;   in Loop: Header=BB561_481 Depth=1
	s_and_b64 s[26:27], exec, s[18:19]
	s_or_b64 s[16:17], s[26:27], s[16:17]
	v_mov_b64_e32 v[24:25], s[24:25]
	s_andn2_b64 exec, exec, s[16:17]
	s_cbranch_execz .LBB561_484
.LBB561_481:                            ; =>This Inner Loop Header: Depth=1
	s_or_b64 s[18:19], s[18:19], exec
	s_cmp_eq_u64 s[14:15], s[24:25]
	s_cbranch_scc0 .LBB561_479
; %bb.482:                              ;   in Loop: Header=BB561_481 Depth=1
                                        ; implicit-def: $vgpr2_vgpr3
                                        ; implicit-def: $vgpr22_vgpr23
	s_mov_b64 s[24:25], s[12:13]
	s_branch .LBB561_480
.LBB561_483:
	s_mov_b64 s[14:15], 0
	s_branch .LBB561_486
.LBB561_484:
	s_or_b64 exec, exec, s[16:17]
	v_cmp_gt_i64_e32 vcc, s[12:13], v[24:25]
	s_orn2_b64 s[14:15], vcc, exec
.LBB561_485:
	s_or_b64 exec, exec, s[2:3]
.LBB561_486:
	s_and_b64 s[18:19], s[14:15], exec
	s_or_b64 s[22:23], s[22:23], exec
.LBB561_487:
	s_or_b64 exec, exec, s[4:5]
	v_mov_b64_e32 v[42:43], v[36:37]
	v_mov_b64_e32 v[44:45], v[20:21]
	v_mov_b64_e32 v[38:39], v[18:19]
	v_mov_b64_e32 v[58:59], v[4:5]
	v_mov_b64_e32 v[56:57], v[6:7]
	v_mov_b64_e32 v[54:55], v[8:9]
	v_mov_b64_e32 v[52:53], v[10:11]
	v_mov_b64_e32 v[50:51], v[12:13]
	v_mov_b64_e32 v[48:49], v[14:15]
	v_mov_b64_e32 v[46:47], v[16:17]
	v_mov_b64_e32 v[60:61], v[20:21]
	v_mov_b64_e32 v[22:23], v[18:19]
	v_mov_b64_e32 v[68:69], v[4:5]
	v_mov_b64_e32 v[62:63], v[6:7]
	v_mov_b64_e32 v[34:35], v[8:9]
	v_mov_b64_e32 v[64:65], v[10:11]
	v_mov_b64_e32 v[30:31], v[12:13]
	v_mov_b64_e32 v[66:67], v[14:15]
	v_mov_b64_e32 v[26:27], v[16:17]
.LBB561_488:
	s_and_saveexec_b64 s[2:3], s[22:23]
	s_cbranch_execz .LBB561_490
; %bb.489:
	s_mov_b32 s4, 0
	v_cndmask_b32_e64 v2, 0, 1, s[18:19]
	v_mov_b32_e32 v3, s4
	v_mov_b64_e32 v[26:27], v[46:47]
	v_mov_b64_e32 v[66:67], v[48:49]
	;; [unrolled: 1-line block ×7, first 2 shown]
	s_waitcnt lgkmcnt(0)
	v_mov_b64_e32 v[22:23], v[38:39]
	v_mov_b64_e32 v[60:61], v[44:45]
.LBB561_490:
	s_or_b64 exec, exec, s[2:3]
	s_add_u32 s4, s8, s6
	s_addc_u32 s5, s9, s7
	s_and_b64 vcc, exec, s[0:1]
	s_waitcnt lgkmcnt(0)
	s_barrier
	s_cbranch_vccz .LBB561_512
; %bb.491:
	s_movk_i32 s2, 0x58
	v_mul_u32_u24_e32 v1, 0x58, v0
	v_mov_b32_e32 v4, v68
	v_mov_b32_e32 v5, v69
	v_mul_i32_i24_e32 v24, 0xffffffb0, v0
	ds_write2_b64 v1, v[2:3], v[4:5] offset1:1
	ds_write2_b64 v1, v[62:63], v[34:35] offset0:2 offset1:3
	ds_write2_b64 v1, v[64:65], v[30:31] offset0:4 offset1:5
	;; [unrolled: 1-line block ×4, first 2 shown]
	ds_write_b64 v1, v[42:43] offset:80
	v_mad_u32_u24 v4, v0, s2, v24
	s_waitcnt lgkmcnt(0)
	s_barrier
	ds_read2st64_b64 v[36:39], v4 offset0:4 offset1:8
	ds_read2st64_b64 v[16:19], v4 offset0:12 offset1:16
	;; [unrolled: 1-line block ×5, first 2 shown]
	s_mov_b32 s21, 0
	s_add_i32 s11, s11, s10
	s_lshl_b64 s[0:1], s[20:21], 3
	s_add_u32 s0, s4, s0
	s_addc_u32 s1, s5, s1
	v_mov_b32_e32 v41, 0
	v_lshl_add_u64 v[20:21], s[0:1], 0, v[40:41]
	v_cmp_gt_u32_e32 vcc, s11, v0
	s_and_saveexec_b64 s[0:1], vcc
	s_cbranch_execz .LBB561_493
; %bb.492:
	v_add_u32_e32 v1, v1, v24
	ds_read_b64 v[24:25], v1
	s_waitcnt lgkmcnt(0)
	global_store_dwordx2 v[20:21], v[24:25], off
.LBB561_493:
	s_or_b64 exec, exec, s[0:1]
	v_or_b32_e32 v1, 0x100, v0
	v_cmp_gt_u32_e32 vcc, s11, v1
	s_and_saveexec_b64 s[0:1], vcc
	s_cbranch_execz .LBB561_495
; %bb.494:
	s_waitcnt lgkmcnt(4)
	global_store_dwordx2 v[20:21], v[36:37], off offset:2048
.LBB561_495:
	s_or_b64 exec, exec, s[0:1]
	v_or_b32_e32 v1, 0x200, v0
	v_cmp_gt_u32_e32 vcc, s11, v1
	s_and_saveexec_b64 s[0:1], vcc
	s_cbranch_execz .LBB561_497
; %bb.496:
	v_add_co_u32_e32 v24, vcc, 0x1000, v20
	s_nop 1
	v_addc_co_u32_e32 v25, vcc, 0, v21, vcc
	s_waitcnt lgkmcnt(4)
	global_store_dwordx2 v[24:25], v[38:39], off
.LBB561_497:
	s_or_b64 exec, exec, s[0:1]
	v_or_b32_e32 v1, 0x300, v0
	v_cmp_gt_u32_e32 vcc, s11, v1
	s_and_saveexec_b64 s[0:1], vcc
	s_cbranch_execz .LBB561_499
; %bb.498:
	v_add_co_u32_e32 v24, vcc, 0x1000, v20
	s_nop 1
	v_addc_co_u32_e32 v25, vcc, 0, v21, vcc
	s_waitcnt lgkmcnt(3)
	global_store_dwordx2 v[24:25], v[16:17], off offset:2048
.LBB561_499:
	s_or_b64 exec, exec, s[0:1]
	v_or_b32_e32 v1, 0x400, v0
	v_cmp_gt_u32_e32 vcc, s11, v1
	s_and_saveexec_b64 s[0:1], vcc
	s_cbranch_execz .LBB561_501
; %bb.500:
	s_waitcnt lgkmcnt(3)
	v_add_co_u32_e32 v16, vcc, 0x2000, v20
	s_nop 1
	v_addc_co_u32_e32 v17, vcc, 0, v21, vcc
	global_store_dwordx2 v[16:17], v[18:19], off
.LBB561_501:
	s_or_b64 exec, exec, s[0:1]
	v_or_b32_e32 v1, 0x500, v0
	v_cmp_gt_u32_e32 vcc, s11, v1
	s_and_saveexec_b64 s[0:1], vcc
	s_cbranch_execz .LBB561_503
; %bb.502:
	s_waitcnt lgkmcnt(3)
	v_add_co_u32_e32 v16, vcc, 0x2000, v20
	s_nop 1
	v_addc_co_u32_e32 v17, vcc, 0, v21, vcc
	s_waitcnt lgkmcnt(2)
	global_store_dwordx2 v[16:17], v[12:13], off offset:2048
.LBB561_503:
	s_or_b64 exec, exec, s[0:1]
	v_or_b32_e32 v1, 0x600, v0
	v_cmp_gt_u32_e32 vcc, s11, v1
	s_and_saveexec_b64 s[0:1], vcc
	s_cbranch_execz .LBB561_505
; %bb.504:
	s_waitcnt lgkmcnt(2)
	v_add_co_u32_e32 v12, vcc, 0x3000, v20
	s_nop 1
	v_addc_co_u32_e32 v13, vcc, 0, v21, vcc
	global_store_dwordx2 v[12:13], v[14:15], off
.LBB561_505:
	s_or_b64 exec, exec, s[0:1]
	v_or_b32_e32 v1, 0x700, v0
	v_cmp_gt_u32_e32 vcc, s11, v1
	s_and_saveexec_b64 s[0:1], vcc
	s_cbranch_execz .LBB561_507
; %bb.506:
	s_waitcnt lgkmcnt(2)
	v_add_co_u32_e32 v12, vcc, 0x3000, v20
	s_nop 1
	v_addc_co_u32_e32 v13, vcc, 0, v21, vcc
	s_waitcnt lgkmcnt(1)
	global_store_dwordx2 v[12:13], v[8:9], off offset:2048
.LBB561_507:
	;; [unrolled: 25-line block ×3, first 2 shown]
	s_or_b64 exec, exec, s[0:1]
	v_or_b32_e32 v1, 0xa00, v0
	v_cmp_gt_u32_e64 s[0:1], s11, v1
	s_branch .LBB561_514
.LBB561_512:
	s_mov_b64 s[0:1], 0
                                        ; implicit-def: $vgpr6_vgpr7
                                        ; implicit-def: $vgpr20_vgpr21
	s_cbranch_execz .LBB561_514
; %bb.513:
	s_mov_b32 s21, 0
	s_lshl_b64 s[2:3], s[20:21], 3
	v_mul_u32_u24_e32 v1, 0x58, v0
	s_add_u32 s2, s4, s2
	s_movk_i32 s4, 0x58
	ds_write2_b64 v1, v[2:3], v[68:69] offset1:1
	ds_write2_b64 v1, v[62:63], v[34:35] offset0:2 offset1:3
	ds_write2_b64 v1, v[64:65], v[30:31] offset0:4 offset1:5
	;; [unrolled: 1-line block ×4, first 2 shown]
	ds_write_b64 v1, v[42:43] offset:80
	v_mul_i32_i24_e32 v1, 0xffffffb0, v0
	s_addc_u32 s3, s5, s3
	s_waitcnt lgkmcnt(6)
	v_mad_u32_u24 v4, v0, s4, v1
	v_mov_b32_e32 v41, 0
	s_waitcnt lgkmcnt(0)
	s_barrier
	ds_read2st64_b64 v[0:3], v4 offset1:4
	ds_read2st64_b64 v[8:11], v4 offset0:8 offset1:12
	ds_read2st64_b64 v[12:15], v4 offset0:16 offset1:20
	;; [unrolled: 1-line block ×4, first 2 shown]
	ds_read_b64 v[6:7], v4 offset:20480
	v_lshl_add_u64 v[20:21], s[2:3], 0, v[40:41]
	s_waitcnt lgkmcnt(5)
	global_store_dwordx2 v40, v[0:1], s[2:3]
	global_store_dwordx2 v40, v[2:3], s[2:3] offset:2048
	s_movk_i32 s2, 0x1000
	v_add_co_u32_e32 v0, vcc, s2, v20
	s_movk_i32 s2, 0x2000
	s_nop 0
	v_addc_co_u32_e32 v1, vcc, 0, v21, vcc
	v_add_co_u32_e32 v2, vcc, s2, v20
	s_or_b64 s[0:1], s[0:1], exec
	s_nop 0
	v_addc_co_u32_e32 v3, vcc, 0, v21, vcc
	s_waitcnt lgkmcnt(4)
	global_store_dwordx2 v[2:3], v[8:9], off offset:-4096
	global_store_dwordx2 v[0:1], v[10:11], off offset:2048
	s_waitcnt lgkmcnt(3)
	global_store_dwordx2 v[2:3], v[12:13], off
	global_store_dwordx2 v[2:3], v[14:15], off offset:2048
	v_add_co_u32_e32 v0, vcc, 0x3000, v20
	s_nop 1
	v_addc_co_u32_e32 v1, vcc, 0, v21, vcc
	s_waitcnt lgkmcnt(2)
	global_store_dwordx2 v[0:1], v[16:17], off
	global_store_dwordx2 v[0:1], v[18:19], off offset:2048
	v_add_co_u32_e32 v0, vcc, 0x4000, v20
	s_nop 1
	v_addc_co_u32_e32 v1, vcc, 0, v21, vcc
	s_waitcnt lgkmcnt(1)
	global_store_dwordx2 v[0:1], v[22:23], off
	global_store_dwordx2 v[0:1], v[24:25], off offset:2048
.LBB561_514:
	s_and_saveexec_b64 s[2:3], s[0:1]
	s_cbranch_execnz .LBB561_516
; %bb.515:
	s_endpgm
.LBB561_516:
	v_add_co_u32_e32 v0, vcc, 0x5000, v20
	s_nop 1
	v_addc_co_u32_e32 v1, vcc, 0, v21, vcc
	s_waitcnt lgkmcnt(0)
	global_store_dwordx2 v[0:1], v[6:7], off
	s_endpgm
	.section	.rodata,"a",@progbits
	.p2align	6, 0x0
	.amdhsa_kernel _ZN7rocprim17ROCPRIM_400000_NS6detail17trampoline_kernelINS0_14default_configENS1_35adjacent_difference_config_selectorILb1ElEEZNS1_24adjacent_difference_implIS3_Lb1ELb0EPlS7_ZN2at6native12_GLOBAL__N_124unique_dim_cuda_templateIlEESt5tupleIJNS8_6TensorESD_SD_EERKSD_lbbbEUlllE1_EE10hipError_tPvRmT2_T3_mT4_P12ihipStream_tbEUlT_E_NS1_11comp_targetILNS1_3genE5ELNS1_11target_archE942ELNS1_3gpuE9ELNS1_3repE0EEENS1_30default_config_static_selectorELNS0_4arch9wavefront6targetE1EEEvT1_
		.amdhsa_group_segment_fixed_size 22528
		.amdhsa_private_segment_fixed_size 0
		.amdhsa_kernarg_size 64
		.amdhsa_user_sgpr_count 2
		.amdhsa_user_sgpr_dispatch_ptr 0
		.amdhsa_user_sgpr_queue_ptr 0
		.amdhsa_user_sgpr_kernarg_segment_ptr 1
		.amdhsa_user_sgpr_dispatch_id 0
		.amdhsa_user_sgpr_kernarg_preload_length 0
		.amdhsa_user_sgpr_kernarg_preload_offset 0
		.amdhsa_user_sgpr_private_segment_size 0
		.amdhsa_uses_dynamic_stack 0
		.amdhsa_enable_private_segment 0
		.amdhsa_system_sgpr_workgroup_id_x 1
		.amdhsa_system_sgpr_workgroup_id_y 0
		.amdhsa_system_sgpr_workgroup_id_z 0
		.amdhsa_system_sgpr_workgroup_info 0
		.amdhsa_system_vgpr_workitem_id 0
		.amdhsa_next_free_vgpr 70
		.amdhsa_next_free_sgpr 38
		.amdhsa_accum_offset 72
		.amdhsa_reserve_vcc 1
		.amdhsa_float_round_mode_32 0
		.amdhsa_float_round_mode_16_64 0
		.amdhsa_float_denorm_mode_32 3
		.amdhsa_float_denorm_mode_16_64 3
		.amdhsa_dx10_clamp 1
		.amdhsa_ieee_mode 1
		.amdhsa_fp16_overflow 0
		.amdhsa_tg_split 0
		.amdhsa_exception_fp_ieee_invalid_op 0
		.amdhsa_exception_fp_denorm_src 0
		.amdhsa_exception_fp_ieee_div_zero 0
		.amdhsa_exception_fp_ieee_overflow 0
		.amdhsa_exception_fp_ieee_underflow 0
		.amdhsa_exception_fp_ieee_inexact 0
		.amdhsa_exception_int_div_zero 0
	.end_amdhsa_kernel
	.section	.text._ZN7rocprim17ROCPRIM_400000_NS6detail17trampoline_kernelINS0_14default_configENS1_35adjacent_difference_config_selectorILb1ElEEZNS1_24adjacent_difference_implIS3_Lb1ELb0EPlS7_ZN2at6native12_GLOBAL__N_124unique_dim_cuda_templateIlEESt5tupleIJNS8_6TensorESD_SD_EERKSD_lbbbEUlllE1_EE10hipError_tPvRmT2_T3_mT4_P12ihipStream_tbEUlT_E_NS1_11comp_targetILNS1_3genE5ELNS1_11target_archE942ELNS1_3gpuE9ELNS1_3repE0EEENS1_30default_config_static_selectorELNS0_4arch9wavefront6targetE1EEEvT1_,"axG",@progbits,_ZN7rocprim17ROCPRIM_400000_NS6detail17trampoline_kernelINS0_14default_configENS1_35adjacent_difference_config_selectorILb1ElEEZNS1_24adjacent_difference_implIS3_Lb1ELb0EPlS7_ZN2at6native12_GLOBAL__N_124unique_dim_cuda_templateIlEESt5tupleIJNS8_6TensorESD_SD_EERKSD_lbbbEUlllE1_EE10hipError_tPvRmT2_T3_mT4_P12ihipStream_tbEUlT_E_NS1_11comp_targetILNS1_3genE5ELNS1_11target_archE942ELNS1_3gpuE9ELNS1_3repE0EEENS1_30default_config_static_selectorELNS0_4arch9wavefront6targetE1EEEvT1_,comdat
.Lfunc_end561:
	.size	_ZN7rocprim17ROCPRIM_400000_NS6detail17trampoline_kernelINS0_14default_configENS1_35adjacent_difference_config_selectorILb1ElEEZNS1_24adjacent_difference_implIS3_Lb1ELb0EPlS7_ZN2at6native12_GLOBAL__N_124unique_dim_cuda_templateIlEESt5tupleIJNS8_6TensorESD_SD_EERKSD_lbbbEUlllE1_EE10hipError_tPvRmT2_T3_mT4_P12ihipStream_tbEUlT_E_NS1_11comp_targetILNS1_3genE5ELNS1_11target_archE942ELNS1_3gpuE9ELNS1_3repE0EEENS1_30default_config_static_selectorELNS0_4arch9wavefront6targetE1EEEvT1_, .Lfunc_end561-_ZN7rocprim17ROCPRIM_400000_NS6detail17trampoline_kernelINS0_14default_configENS1_35adjacent_difference_config_selectorILb1ElEEZNS1_24adjacent_difference_implIS3_Lb1ELb0EPlS7_ZN2at6native12_GLOBAL__N_124unique_dim_cuda_templateIlEESt5tupleIJNS8_6TensorESD_SD_EERKSD_lbbbEUlllE1_EE10hipError_tPvRmT2_T3_mT4_P12ihipStream_tbEUlT_E_NS1_11comp_targetILNS1_3genE5ELNS1_11target_archE942ELNS1_3gpuE9ELNS1_3repE0EEENS1_30default_config_static_selectorELNS0_4arch9wavefront6targetE1EEEvT1_
                                        ; -- End function
	.section	.AMDGPU.csdata,"",@progbits
; Kernel info:
; codeLenInByte = 15780
; NumSgprs: 44
; NumVgprs: 70
; NumAgprs: 0
; TotalNumVgprs: 70
; ScratchSize: 0
; MemoryBound: 1
; FloatMode: 240
; IeeeMode: 1
; LDSByteSize: 22528 bytes/workgroup (compile time only)
; SGPRBlocks: 5
; VGPRBlocks: 8
; NumSGPRsForWavesPerEU: 44
; NumVGPRsForWavesPerEU: 70
; AccumOffset: 72
; Occupancy: 2
; WaveLimiterHint : 1
; COMPUTE_PGM_RSRC2:SCRATCH_EN: 0
; COMPUTE_PGM_RSRC2:USER_SGPR: 2
; COMPUTE_PGM_RSRC2:TRAP_HANDLER: 0
; COMPUTE_PGM_RSRC2:TGID_X_EN: 1
; COMPUTE_PGM_RSRC2:TGID_Y_EN: 0
; COMPUTE_PGM_RSRC2:TGID_Z_EN: 0
; COMPUTE_PGM_RSRC2:TIDIG_COMP_CNT: 0
; COMPUTE_PGM_RSRC3_GFX90A:ACCUM_OFFSET: 17
; COMPUTE_PGM_RSRC3_GFX90A:TG_SPLIT: 0
	.section	.text._ZN7rocprim17ROCPRIM_400000_NS6detail17trampoline_kernelINS0_14default_configENS1_35adjacent_difference_config_selectorILb1ElEEZNS1_24adjacent_difference_implIS3_Lb1ELb0EPlS7_ZN2at6native12_GLOBAL__N_124unique_dim_cuda_templateIlEESt5tupleIJNS8_6TensorESD_SD_EERKSD_lbbbEUlllE1_EE10hipError_tPvRmT2_T3_mT4_P12ihipStream_tbEUlT_E_NS1_11comp_targetILNS1_3genE4ELNS1_11target_archE910ELNS1_3gpuE8ELNS1_3repE0EEENS1_30default_config_static_selectorELNS0_4arch9wavefront6targetE1EEEvT1_,"axG",@progbits,_ZN7rocprim17ROCPRIM_400000_NS6detail17trampoline_kernelINS0_14default_configENS1_35adjacent_difference_config_selectorILb1ElEEZNS1_24adjacent_difference_implIS3_Lb1ELb0EPlS7_ZN2at6native12_GLOBAL__N_124unique_dim_cuda_templateIlEESt5tupleIJNS8_6TensorESD_SD_EERKSD_lbbbEUlllE1_EE10hipError_tPvRmT2_T3_mT4_P12ihipStream_tbEUlT_E_NS1_11comp_targetILNS1_3genE4ELNS1_11target_archE910ELNS1_3gpuE8ELNS1_3repE0EEENS1_30default_config_static_selectorELNS0_4arch9wavefront6targetE1EEEvT1_,comdat
	.globl	_ZN7rocprim17ROCPRIM_400000_NS6detail17trampoline_kernelINS0_14default_configENS1_35adjacent_difference_config_selectorILb1ElEEZNS1_24adjacent_difference_implIS3_Lb1ELb0EPlS7_ZN2at6native12_GLOBAL__N_124unique_dim_cuda_templateIlEESt5tupleIJNS8_6TensorESD_SD_EERKSD_lbbbEUlllE1_EE10hipError_tPvRmT2_T3_mT4_P12ihipStream_tbEUlT_E_NS1_11comp_targetILNS1_3genE4ELNS1_11target_archE910ELNS1_3gpuE8ELNS1_3repE0EEENS1_30default_config_static_selectorELNS0_4arch9wavefront6targetE1EEEvT1_ ; -- Begin function _ZN7rocprim17ROCPRIM_400000_NS6detail17trampoline_kernelINS0_14default_configENS1_35adjacent_difference_config_selectorILb1ElEEZNS1_24adjacent_difference_implIS3_Lb1ELb0EPlS7_ZN2at6native12_GLOBAL__N_124unique_dim_cuda_templateIlEESt5tupleIJNS8_6TensorESD_SD_EERKSD_lbbbEUlllE1_EE10hipError_tPvRmT2_T3_mT4_P12ihipStream_tbEUlT_E_NS1_11comp_targetILNS1_3genE4ELNS1_11target_archE910ELNS1_3gpuE8ELNS1_3repE0EEENS1_30default_config_static_selectorELNS0_4arch9wavefront6targetE1EEEvT1_
	.p2align	8
	.type	_ZN7rocprim17ROCPRIM_400000_NS6detail17trampoline_kernelINS0_14default_configENS1_35adjacent_difference_config_selectorILb1ElEEZNS1_24adjacent_difference_implIS3_Lb1ELb0EPlS7_ZN2at6native12_GLOBAL__N_124unique_dim_cuda_templateIlEESt5tupleIJNS8_6TensorESD_SD_EERKSD_lbbbEUlllE1_EE10hipError_tPvRmT2_T3_mT4_P12ihipStream_tbEUlT_E_NS1_11comp_targetILNS1_3genE4ELNS1_11target_archE910ELNS1_3gpuE8ELNS1_3repE0EEENS1_30default_config_static_selectorELNS0_4arch9wavefront6targetE1EEEvT1_,@function
_ZN7rocprim17ROCPRIM_400000_NS6detail17trampoline_kernelINS0_14default_configENS1_35adjacent_difference_config_selectorILb1ElEEZNS1_24adjacent_difference_implIS3_Lb1ELb0EPlS7_ZN2at6native12_GLOBAL__N_124unique_dim_cuda_templateIlEESt5tupleIJNS8_6TensorESD_SD_EERKSD_lbbbEUlllE1_EE10hipError_tPvRmT2_T3_mT4_P12ihipStream_tbEUlT_E_NS1_11comp_targetILNS1_3genE4ELNS1_11target_archE910ELNS1_3gpuE8ELNS1_3repE0EEENS1_30default_config_static_selectorELNS0_4arch9wavefront6targetE1EEEvT1_: ; @_ZN7rocprim17ROCPRIM_400000_NS6detail17trampoline_kernelINS0_14default_configENS1_35adjacent_difference_config_selectorILb1ElEEZNS1_24adjacent_difference_implIS3_Lb1ELb0EPlS7_ZN2at6native12_GLOBAL__N_124unique_dim_cuda_templateIlEESt5tupleIJNS8_6TensorESD_SD_EERKSD_lbbbEUlllE1_EE10hipError_tPvRmT2_T3_mT4_P12ihipStream_tbEUlT_E_NS1_11comp_targetILNS1_3genE4ELNS1_11target_archE910ELNS1_3gpuE8ELNS1_3repE0EEENS1_30default_config_static_selectorELNS0_4arch9wavefront6targetE1EEEvT1_
; %bb.0:
	.section	.rodata,"a",@progbits
	.p2align	6, 0x0
	.amdhsa_kernel _ZN7rocprim17ROCPRIM_400000_NS6detail17trampoline_kernelINS0_14default_configENS1_35adjacent_difference_config_selectorILb1ElEEZNS1_24adjacent_difference_implIS3_Lb1ELb0EPlS7_ZN2at6native12_GLOBAL__N_124unique_dim_cuda_templateIlEESt5tupleIJNS8_6TensorESD_SD_EERKSD_lbbbEUlllE1_EE10hipError_tPvRmT2_T3_mT4_P12ihipStream_tbEUlT_E_NS1_11comp_targetILNS1_3genE4ELNS1_11target_archE910ELNS1_3gpuE8ELNS1_3repE0EEENS1_30default_config_static_selectorELNS0_4arch9wavefront6targetE1EEEvT1_
		.amdhsa_group_segment_fixed_size 0
		.amdhsa_private_segment_fixed_size 0
		.amdhsa_kernarg_size 64
		.amdhsa_user_sgpr_count 2
		.amdhsa_user_sgpr_dispatch_ptr 0
		.amdhsa_user_sgpr_queue_ptr 0
		.amdhsa_user_sgpr_kernarg_segment_ptr 1
		.amdhsa_user_sgpr_dispatch_id 0
		.amdhsa_user_sgpr_kernarg_preload_length 0
		.amdhsa_user_sgpr_kernarg_preload_offset 0
		.amdhsa_user_sgpr_private_segment_size 0
		.amdhsa_uses_dynamic_stack 0
		.amdhsa_enable_private_segment 0
		.amdhsa_system_sgpr_workgroup_id_x 1
		.amdhsa_system_sgpr_workgroup_id_y 0
		.amdhsa_system_sgpr_workgroup_id_z 0
		.amdhsa_system_sgpr_workgroup_info 0
		.amdhsa_system_vgpr_workitem_id 0
		.amdhsa_next_free_vgpr 1
		.amdhsa_next_free_sgpr 0
		.amdhsa_accum_offset 4
		.amdhsa_reserve_vcc 0
		.amdhsa_float_round_mode_32 0
		.amdhsa_float_round_mode_16_64 0
		.amdhsa_float_denorm_mode_32 3
		.amdhsa_float_denorm_mode_16_64 3
		.amdhsa_dx10_clamp 1
		.amdhsa_ieee_mode 1
		.amdhsa_fp16_overflow 0
		.amdhsa_tg_split 0
		.amdhsa_exception_fp_ieee_invalid_op 0
		.amdhsa_exception_fp_denorm_src 0
		.amdhsa_exception_fp_ieee_div_zero 0
		.amdhsa_exception_fp_ieee_overflow 0
		.amdhsa_exception_fp_ieee_underflow 0
		.amdhsa_exception_fp_ieee_inexact 0
		.amdhsa_exception_int_div_zero 0
	.end_amdhsa_kernel
	.section	.text._ZN7rocprim17ROCPRIM_400000_NS6detail17trampoline_kernelINS0_14default_configENS1_35adjacent_difference_config_selectorILb1ElEEZNS1_24adjacent_difference_implIS3_Lb1ELb0EPlS7_ZN2at6native12_GLOBAL__N_124unique_dim_cuda_templateIlEESt5tupleIJNS8_6TensorESD_SD_EERKSD_lbbbEUlllE1_EE10hipError_tPvRmT2_T3_mT4_P12ihipStream_tbEUlT_E_NS1_11comp_targetILNS1_3genE4ELNS1_11target_archE910ELNS1_3gpuE8ELNS1_3repE0EEENS1_30default_config_static_selectorELNS0_4arch9wavefront6targetE1EEEvT1_,"axG",@progbits,_ZN7rocprim17ROCPRIM_400000_NS6detail17trampoline_kernelINS0_14default_configENS1_35adjacent_difference_config_selectorILb1ElEEZNS1_24adjacent_difference_implIS3_Lb1ELb0EPlS7_ZN2at6native12_GLOBAL__N_124unique_dim_cuda_templateIlEESt5tupleIJNS8_6TensorESD_SD_EERKSD_lbbbEUlllE1_EE10hipError_tPvRmT2_T3_mT4_P12ihipStream_tbEUlT_E_NS1_11comp_targetILNS1_3genE4ELNS1_11target_archE910ELNS1_3gpuE8ELNS1_3repE0EEENS1_30default_config_static_selectorELNS0_4arch9wavefront6targetE1EEEvT1_,comdat
.Lfunc_end562:
	.size	_ZN7rocprim17ROCPRIM_400000_NS6detail17trampoline_kernelINS0_14default_configENS1_35adjacent_difference_config_selectorILb1ElEEZNS1_24adjacent_difference_implIS3_Lb1ELb0EPlS7_ZN2at6native12_GLOBAL__N_124unique_dim_cuda_templateIlEESt5tupleIJNS8_6TensorESD_SD_EERKSD_lbbbEUlllE1_EE10hipError_tPvRmT2_T3_mT4_P12ihipStream_tbEUlT_E_NS1_11comp_targetILNS1_3genE4ELNS1_11target_archE910ELNS1_3gpuE8ELNS1_3repE0EEENS1_30default_config_static_selectorELNS0_4arch9wavefront6targetE1EEEvT1_, .Lfunc_end562-_ZN7rocprim17ROCPRIM_400000_NS6detail17trampoline_kernelINS0_14default_configENS1_35adjacent_difference_config_selectorILb1ElEEZNS1_24adjacent_difference_implIS3_Lb1ELb0EPlS7_ZN2at6native12_GLOBAL__N_124unique_dim_cuda_templateIlEESt5tupleIJNS8_6TensorESD_SD_EERKSD_lbbbEUlllE1_EE10hipError_tPvRmT2_T3_mT4_P12ihipStream_tbEUlT_E_NS1_11comp_targetILNS1_3genE4ELNS1_11target_archE910ELNS1_3gpuE8ELNS1_3repE0EEENS1_30default_config_static_selectorELNS0_4arch9wavefront6targetE1EEEvT1_
                                        ; -- End function
	.section	.AMDGPU.csdata,"",@progbits
; Kernel info:
; codeLenInByte = 0
; NumSgprs: 6
; NumVgprs: 0
; NumAgprs: 0
; TotalNumVgprs: 0
; ScratchSize: 0
; MemoryBound: 0
; FloatMode: 240
; IeeeMode: 1
; LDSByteSize: 0 bytes/workgroup (compile time only)
; SGPRBlocks: 0
; VGPRBlocks: 0
; NumSGPRsForWavesPerEU: 6
; NumVGPRsForWavesPerEU: 1
; AccumOffset: 4
; Occupancy: 8
; WaveLimiterHint : 0
; COMPUTE_PGM_RSRC2:SCRATCH_EN: 0
; COMPUTE_PGM_RSRC2:USER_SGPR: 2
; COMPUTE_PGM_RSRC2:TRAP_HANDLER: 0
; COMPUTE_PGM_RSRC2:TGID_X_EN: 1
; COMPUTE_PGM_RSRC2:TGID_Y_EN: 0
; COMPUTE_PGM_RSRC2:TGID_Z_EN: 0
; COMPUTE_PGM_RSRC2:TIDIG_COMP_CNT: 0
; COMPUTE_PGM_RSRC3_GFX90A:ACCUM_OFFSET: 0
; COMPUTE_PGM_RSRC3_GFX90A:TG_SPLIT: 0
	.section	.text._ZN7rocprim17ROCPRIM_400000_NS6detail17trampoline_kernelINS0_14default_configENS1_35adjacent_difference_config_selectorILb1ElEEZNS1_24adjacent_difference_implIS3_Lb1ELb0EPlS7_ZN2at6native12_GLOBAL__N_124unique_dim_cuda_templateIlEESt5tupleIJNS8_6TensorESD_SD_EERKSD_lbbbEUlllE1_EE10hipError_tPvRmT2_T3_mT4_P12ihipStream_tbEUlT_E_NS1_11comp_targetILNS1_3genE3ELNS1_11target_archE908ELNS1_3gpuE7ELNS1_3repE0EEENS1_30default_config_static_selectorELNS0_4arch9wavefront6targetE1EEEvT1_,"axG",@progbits,_ZN7rocprim17ROCPRIM_400000_NS6detail17trampoline_kernelINS0_14default_configENS1_35adjacent_difference_config_selectorILb1ElEEZNS1_24adjacent_difference_implIS3_Lb1ELb0EPlS7_ZN2at6native12_GLOBAL__N_124unique_dim_cuda_templateIlEESt5tupleIJNS8_6TensorESD_SD_EERKSD_lbbbEUlllE1_EE10hipError_tPvRmT2_T3_mT4_P12ihipStream_tbEUlT_E_NS1_11comp_targetILNS1_3genE3ELNS1_11target_archE908ELNS1_3gpuE7ELNS1_3repE0EEENS1_30default_config_static_selectorELNS0_4arch9wavefront6targetE1EEEvT1_,comdat
	.globl	_ZN7rocprim17ROCPRIM_400000_NS6detail17trampoline_kernelINS0_14default_configENS1_35adjacent_difference_config_selectorILb1ElEEZNS1_24adjacent_difference_implIS3_Lb1ELb0EPlS7_ZN2at6native12_GLOBAL__N_124unique_dim_cuda_templateIlEESt5tupleIJNS8_6TensorESD_SD_EERKSD_lbbbEUlllE1_EE10hipError_tPvRmT2_T3_mT4_P12ihipStream_tbEUlT_E_NS1_11comp_targetILNS1_3genE3ELNS1_11target_archE908ELNS1_3gpuE7ELNS1_3repE0EEENS1_30default_config_static_selectorELNS0_4arch9wavefront6targetE1EEEvT1_ ; -- Begin function _ZN7rocprim17ROCPRIM_400000_NS6detail17trampoline_kernelINS0_14default_configENS1_35adjacent_difference_config_selectorILb1ElEEZNS1_24adjacent_difference_implIS3_Lb1ELb0EPlS7_ZN2at6native12_GLOBAL__N_124unique_dim_cuda_templateIlEESt5tupleIJNS8_6TensorESD_SD_EERKSD_lbbbEUlllE1_EE10hipError_tPvRmT2_T3_mT4_P12ihipStream_tbEUlT_E_NS1_11comp_targetILNS1_3genE3ELNS1_11target_archE908ELNS1_3gpuE7ELNS1_3repE0EEENS1_30default_config_static_selectorELNS0_4arch9wavefront6targetE1EEEvT1_
	.p2align	8
	.type	_ZN7rocprim17ROCPRIM_400000_NS6detail17trampoline_kernelINS0_14default_configENS1_35adjacent_difference_config_selectorILb1ElEEZNS1_24adjacent_difference_implIS3_Lb1ELb0EPlS7_ZN2at6native12_GLOBAL__N_124unique_dim_cuda_templateIlEESt5tupleIJNS8_6TensorESD_SD_EERKSD_lbbbEUlllE1_EE10hipError_tPvRmT2_T3_mT4_P12ihipStream_tbEUlT_E_NS1_11comp_targetILNS1_3genE3ELNS1_11target_archE908ELNS1_3gpuE7ELNS1_3repE0EEENS1_30default_config_static_selectorELNS0_4arch9wavefront6targetE1EEEvT1_,@function
_ZN7rocprim17ROCPRIM_400000_NS6detail17trampoline_kernelINS0_14default_configENS1_35adjacent_difference_config_selectorILb1ElEEZNS1_24adjacent_difference_implIS3_Lb1ELb0EPlS7_ZN2at6native12_GLOBAL__N_124unique_dim_cuda_templateIlEESt5tupleIJNS8_6TensorESD_SD_EERKSD_lbbbEUlllE1_EE10hipError_tPvRmT2_T3_mT4_P12ihipStream_tbEUlT_E_NS1_11comp_targetILNS1_3genE3ELNS1_11target_archE908ELNS1_3gpuE7ELNS1_3repE0EEENS1_30default_config_static_selectorELNS0_4arch9wavefront6targetE1EEEvT1_: ; @_ZN7rocprim17ROCPRIM_400000_NS6detail17trampoline_kernelINS0_14default_configENS1_35adjacent_difference_config_selectorILb1ElEEZNS1_24adjacent_difference_implIS3_Lb1ELb0EPlS7_ZN2at6native12_GLOBAL__N_124unique_dim_cuda_templateIlEESt5tupleIJNS8_6TensorESD_SD_EERKSD_lbbbEUlllE1_EE10hipError_tPvRmT2_T3_mT4_P12ihipStream_tbEUlT_E_NS1_11comp_targetILNS1_3genE3ELNS1_11target_archE908ELNS1_3gpuE7ELNS1_3repE0EEENS1_30default_config_static_selectorELNS0_4arch9wavefront6targetE1EEEvT1_
; %bb.0:
	.section	.rodata,"a",@progbits
	.p2align	6, 0x0
	.amdhsa_kernel _ZN7rocprim17ROCPRIM_400000_NS6detail17trampoline_kernelINS0_14default_configENS1_35adjacent_difference_config_selectorILb1ElEEZNS1_24adjacent_difference_implIS3_Lb1ELb0EPlS7_ZN2at6native12_GLOBAL__N_124unique_dim_cuda_templateIlEESt5tupleIJNS8_6TensorESD_SD_EERKSD_lbbbEUlllE1_EE10hipError_tPvRmT2_T3_mT4_P12ihipStream_tbEUlT_E_NS1_11comp_targetILNS1_3genE3ELNS1_11target_archE908ELNS1_3gpuE7ELNS1_3repE0EEENS1_30default_config_static_selectorELNS0_4arch9wavefront6targetE1EEEvT1_
		.amdhsa_group_segment_fixed_size 0
		.amdhsa_private_segment_fixed_size 0
		.amdhsa_kernarg_size 64
		.amdhsa_user_sgpr_count 2
		.amdhsa_user_sgpr_dispatch_ptr 0
		.amdhsa_user_sgpr_queue_ptr 0
		.amdhsa_user_sgpr_kernarg_segment_ptr 1
		.amdhsa_user_sgpr_dispatch_id 0
		.amdhsa_user_sgpr_kernarg_preload_length 0
		.amdhsa_user_sgpr_kernarg_preload_offset 0
		.amdhsa_user_sgpr_private_segment_size 0
		.amdhsa_uses_dynamic_stack 0
		.amdhsa_enable_private_segment 0
		.amdhsa_system_sgpr_workgroup_id_x 1
		.amdhsa_system_sgpr_workgroup_id_y 0
		.amdhsa_system_sgpr_workgroup_id_z 0
		.amdhsa_system_sgpr_workgroup_info 0
		.amdhsa_system_vgpr_workitem_id 0
		.amdhsa_next_free_vgpr 1
		.amdhsa_next_free_sgpr 0
		.amdhsa_accum_offset 4
		.amdhsa_reserve_vcc 0
		.amdhsa_float_round_mode_32 0
		.amdhsa_float_round_mode_16_64 0
		.amdhsa_float_denorm_mode_32 3
		.amdhsa_float_denorm_mode_16_64 3
		.amdhsa_dx10_clamp 1
		.amdhsa_ieee_mode 1
		.amdhsa_fp16_overflow 0
		.amdhsa_tg_split 0
		.amdhsa_exception_fp_ieee_invalid_op 0
		.amdhsa_exception_fp_denorm_src 0
		.amdhsa_exception_fp_ieee_div_zero 0
		.amdhsa_exception_fp_ieee_overflow 0
		.amdhsa_exception_fp_ieee_underflow 0
		.amdhsa_exception_fp_ieee_inexact 0
		.amdhsa_exception_int_div_zero 0
	.end_amdhsa_kernel
	.section	.text._ZN7rocprim17ROCPRIM_400000_NS6detail17trampoline_kernelINS0_14default_configENS1_35adjacent_difference_config_selectorILb1ElEEZNS1_24adjacent_difference_implIS3_Lb1ELb0EPlS7_ZN2at6native12_GLOBAL__N_124unique_dim_cuda_templateIlEESt5tupleIJNS8_6TensorESD_SD_EERKSD_lbbbEUlllE1_EE10hipError_tPvRmT2_T3_mT4_P12ihipStream_tbEUlT_E_NS1_11comp_targetILNS1_3genE3ELNS1_11target_archE908ELNS1_3gpuE7ELNS1_3repE0EEENS1_30default_config_static_selectorELNS0_4arch9wavefront6targetE1EEEvT1_,"axG",@progbits,_ZN7rocprim17ROCPRIM_400000_NS6detail17trampoline_kernelINS0_14default_configENS1_35adjacent_difference_config_selectorILb1ElEEZNS1_24adjacent_difference_implIS3_Lb1ELb0EPlS7_ZN2at6native12_GLOBAL__N_124unique_dim_cuda_templateIlEESt5tupleIJNS8_6TensorESD_SD_EERKSD_lbbbEUlllE1_EE10hipError_tPvRmT2_T3_mT4_P12ihipStream_tbEUlT_E_NS1_11comp_targetILNS1_3genE3ELNS1_11target_archE908ELNS1_3gpuE7ELNS1_3repE0EEENS1_30default_config_static_selectorELNS0_4arch9wavefront6targetE1EEEvT1_,comdat
.Lfunc_end563:
	.size	_ZN7rocprim17ROCPRIM_400000_NS6detail17trampoline_kernelINS0_14default_configENS1_35adjacent_difference_config_selectorILb1ElEEZNS1_24adjacent_difference_implIS3_Lb1ELb0EPlS7_ZN2at6native12_GLOBAL__N_124unique_dim_cuda_templateIlEESt5tupleIJNS8_6TensorESD_SD_EERKSD_lbbbEUlllE1_EE10hipError_tPvRmT2_T3_mT4_P12ihipStream_tbEUlT_E_NS1_11comp_targetILNS1_3genE3ELNS1_11target_archE908ELNS1_3gpuE7ELNS1_3repE0EEENS1_30default_config_static_selectorELNS0_4arch9wavefront6targetE1EEEvT1_, .Lfunc_end563-_ZN7rocprim17ROCPRIM_400000_NS6detail17trampoline_kernelINS0_14default_configENS1_35adjacent_difference_config_selectorILb1ElEEZNS1_24adjacent_difference_implIS3_Lb1ELb0EPlS7_ZN2at6native12_GLOBAL__N_124unique_dim_cuda_templateIlEESt5tupleIJNS8_6TensorESD_SD_EERKSD_lbbbEUlllE1_EE10hipError_tPvRmT2_T3_mT4_P12ihipStream_tbEUlT_E_NS1_11comp_targetILNS1_3genE3ELNS1_11target_archE908ELNS1_3gpuE7ELNS1_3repE0EEENS1_30default_config_static_selectorELNS0_4arch9wavefront6targetE1EEEvT1_
                                        ; -- End function
	.section	.AMDGPU.csdata,"",@progbits
; Kernel info:
; codeLenInByte = 0
; NumSgprs: 6
; NumVgprs: 0
; NumAgprs: 0
; TotalNumVgprs: 0
; ScratchSize: 0
; MemoryBound: 0
; FloatMode: 240
; IeeeMode: 1
; LDSByteSize: 0 bytes/workgroup (compile time only)
; SGPRBlocks: 0
; VGPRBlocks: 0
; NumSGPRsForWavesPerEU: 6
; NumVGPRsForWavesPerEU: 1
; AccumOffset: 4
; Occupancy: 8
; WaveLimiterHint : 0
; COMPUTE_PGM_RSRC2:SCRATCH_EN: 0
; COMPUTE_PGM_RSRC2:USER_SGPR: 2
; COMPUTE_PGM_RSRC2:TRAP_HANDLER: 0
; COMPUTE_PGM_RSRC2:TGID_X_EN: 1
; COMPUTE_PGM_RSRC2:TGID_Y_EN: 0
; COMPUTE_PGM_RSRC2:TGID_Z_EN: 0
; COMPUTE_PGM_RSRC2:TIDIG_COMP_CNT: 0
; COMPUTE_PGM_RSRC3_GFX90A:ACCUM_OFFSET: 0
; COMPUTE_PGM_RSRC3_GFX90A:TG_SPLIT: 0
	.section	.text._ZN7rocprim17ROCPRIM_400000_NS6detail17trampoline_kernelINS0_14default_configENS1_35adjacent_difference_config_selectorILb1ElEEZNS1_24adjacent_difference_implIS3_Lb1ELb0EPlS7_ZN2at6native12_GLOBAL__N_124unique_dim_cuda_templateIlEESt5tupleIJNS8_6TensorESD_SD_EERKSD_lbbbEUlllE1_EE10hipError_tPvRmT2_T3_mT4_P12ihipStream_tbEUlT_E_NS1_11comp_targetILNS1_3genE2ELNS1_11target_archE906ELNS1_3gpuE6ELNS1_3repE0EEENS1_30default_config_static_selectorELNS0_4arch9wavefront6targetE1EEEvT1_,"axG",@progbits,_ZN7rocprim17ROCPRIM_400000_NS6detail17trampoline_kernelINS0_14default_configENS1_35adjacent_difference_config_selectorILb1ElEEZNS1_24adjacent_difference_implIS3_Lb1ELb0EPlS7_ZN2at6native12_GLOBAL__N_124unique_dim_cuda_templateIlEESt5tupleIJNS8_6TensorESD_SD_EERKSD_lbbbEUlllE1_EE10hipError_tPvRmT2_T3_mT4_P12ihipStream_tbEUlT_E_NS1_11comp_targetILNS1_3genE2ELNS1_11target_archE906ELNS1_3gpuE6ELNS1_3repE0EEENS1_30default_config_static_selectorELNS0_4arch9wavefront6targetE1EEEvT1_,comdat
	.globl	_ZN7rocprim17ROCPRIM_400000_NS6detail17trampoline_kernelINS0_14default_configENS1_35adjacent_difference_config_selectorILb1ElEEZNS1_24adjacent_difference_implIS3_Lb1ELb0EPlS7_ZN2at6native12_GLOBAL__N_124unique_dim_cuda_templateIlEESt5tupleIJNS8_6TensorESD_SD_EERKSD_lbbbEUlllE1_EE10hipError_tPvRmT2_T3_mT4_P12ihipStream_tbEUlT_E_NS1_11comp_targetILNS1_3genE2ELNS1_11target_archE906ELNS1_3gpuE6ELNS1_3repE0EEENS1_30default_config_static_selectorELNS0_4arch9wavefront6targetE1EEEvT1_ ; -- Begin function _ZN7rocprim17ROCPRIM_400000_NS6detail17trampoline_kernelINS0_14default_configENS1_35adjacent_difference_config_selectorILb1ElEEZNS1_24adjacent_difference_implIS3_Lb1ELb0EPlS7_ZN2at6native12_GLOBAL__N_124unique_dim_cuda_templateIlEESt5tupleIJNS8_6TensorESD_SD_EERKSD_lbbbEUlllE1_EE10hipError_tPvRmT2_T3_mT4_P12ihipStream_tbEUlT_E_NS1_11comp_targetILNS1_3genE2ELNS1_11target_archE906ELNS1_3gpuE6ELNS1_3repE0EEENS1_30default_config_static_selectorELNS0_4arch9wavefront6targetE1EEEvT1_
	.p2align	8
	.type	_ZN7rocprim17ROCPRIM_400000_NS6detail17trampoline_kernelINS0_14default_configENS1_35adjacent_difference_config_selectorILb1ElEEZNS1_24adjacent_difference_implIS3_Lb1ELb0EPlS7_ZN2at6native12_GLOBAL__N_124unique_dim_cuda_templateIlEESt5tupleIJNS8_6TensorESD_SD_EERKSD_lbbbEUlllE1_EE10hipError_tPvRmT2_T3_mT4_P12ihipStream_tbEUlT_E_NS1_11comp_targetILNS1_3genE2ELNS1_11target_archE906ELNS1_3gpuE6ELNS1_3repE0EEENS1_30default_config_static_selectorELNS0_4arch9wavefront6targetE1EEEvT1_,@function
_ZN7rocprim17ROCPRIM_400000_NS6detail17trampoline_kernelINS0_14default_configENS1_35adjacent_difference_config_selectorILb1ElEEZNS1_24adjacent_difference_implIS3_Lb1ELb0EPlS7_ZN2at6native12_GLOBAL__N_124unique_dim_cuda_templateIlEESt5tupleIJNS8_6TensorESD_SD_EERKSD_lbbbEUlllE1_EE10hipError_tPvRmT2_T3_mT4_P12ihipStream_tbEUlT_E_NS1_11comp_targetILNS1_3genE2ELNS1_11target_archE906ELNS1_3gpuE6ELNS1_3repE0EEENS1_30default_config_static_selectorELNS0_4arch9wavefront6targetE1EEEvT1_: ; @_ZN7rocprim17ROCPRIM_400000_NS6detail17trampoline_kernelINS0_14default_configENS1_35adjacent_difference_config_selectorILb1ElEEZNS1_24adjacent_difference_implIS3_Lb1ELb0EPlS7_ZN2at6native12_GLOBAL__N_124unique_dim_cuda_templateIlEESt5tupleIJNS8_6TensorESD_SD_EERKSD_lbbbEUlllE1_EE10hipError_tPvRmT2_T3_mT4_P12ihipStream_tbEUlT_E_NS1_11comp_targetILNS1_3genE2ELNS1_11target_archE906ELNS1_3gpuE6ELNS1_3repE0EEENS1_30default_config_static_selectorELNS0_4arch9wavefront6targetE1EEEvT1_
; %bb.0:
	.section	.rodata,"a",@progbits
	.p2align	6, 0x0
	.amdhsa_kernel _ZN7rocprim17ROCPRIM_400000_NS6detail17trampoline_kernelINS0_14default_configENS1_35adjacent_difference_config_selectorILb1ElEEZNS1_24adjacent_difference_implIS3_Lb1ELb0EPlS7_ZN2at6native12_GLOBAL__N_124unique_dim_cuda_templateIlEESt5tupleIJNS8_6TensorESD_SD_EERKSD_lbbbEUlllE1_EE10hipError_tPvRmT2_T3_mT4_P12ihipStream_tbEUlT_E_NS1_11comp_targetILNS1_3genE2ELNS1_11target_archE906ELNS1_3gpuE6ELNS1_3repE0EEENS1_30default_config_static_selectorELNS0_4arch9wavefront6targetE1EEEvT1_
		.amdhsa_group_segment_fixed_size 0
		.amdhsa_private_segment_fixed_size 0
		.amdhsa_kernarg_size 64
		.amdhsa_user_sgpr_count 2
		.amdhsa_user_sgpr_dispatch_ptr 0
		.amdhsa_user_sgpr_queue_ptr 0
		.amdhsa_user_sgpr_kernarg_segment_ptr 1
		.amdhsa_user_sgpr_dispatch_id 0
		.amdhsa_user_sgpr_kernarg_preload_length 0
		.amdhsa_user_sgpr_kernarg_preload_offset 0
		.amdhsa_user_sgpr_private_segment_size 0
		.amdhsa_uses_dynamic_stack 0
		.amdhsa_enable_private_segment 0
		.amdhsa_system_sgpr_workgroup_id_x 1
		.amdhsa_system_sgpr_workgroup_id_y 0
		.amdhsa_system_sgpr_workgroup_id_z 0
		.amdhsa_system_sgpr_workgroup_info 0
		.amdhsa_system_vgpr_workitem_id 0
		.amdhsa_next_free_vgpr 1
		.amdhsa_next_free_sgpr 0
		.amdhsa_accum_offset 4
		.amdhsa_reserve_vcc 0
		.amdhsa_float_round_mode_32 0
		.amdhsa_float_round_mode_16_64 0
		.amdhsa_float_denorm_mode_32 3
		.amdhsa_float_denorm_mode_16_64 3
		.amdhsa_dx10_clamp 1
		.amdhsa_ieee_mode 1
		.amdhsa_fp16_overflow 0
		.amdhsa_tg_split 0
		.amdhsa_exception_fp_ieee_invalid_op 0
		.amdhsa_exception_fp_denorm_src 0
		.amdhsa_exception_fp_ieee_div_zero 0
		.amdhsa_exception_fp_ieee_overflow 0
		.amdhsa_exception_fp_ieee_underflow 0
		.amdhsa_exception_fp_ieee_inexact 0
		.amdhsa_exception_int_div_zero 0
	.end_amdhsa_kernel
	.section	.text._ZN7rocprim17ROCPRIM_400000_NS6detail17trampoline_kernelINS0_14default_configENS1_35adjacent_difference_config_selectorILb1ElEEZNS1_24adjacent_difference_implIS3_Lb1ELb0EPlS7_ZN2at6native12_GLOBAL__N_124unique_dim_cuda_templateIlEESt5tupleIJNS8_6TensorESD_SD_EERKSD_lbbbEUlllE1_EE10hipError_tPvRmT2_T3_mT4_P12ihipStream_tbEUlT_E_NS1_11comp_targetILNS1_3genE2ELNS1_11target_archE906ELNS1_3gpuE6ELNS1_3repE0EEENS1_30default_config_static_selectorELNS0_4arch9wavefront6targetE1EEEvT1_,"axG",@progbits,_ZN7rocprim17ROCPRIM_400000_NS6detail17trampoline_kernelINS0_14default_configENS1_35adjacent_difference_config_selectorILb1ElEEZNS1_24adjacent_difference_implIS3_Lb1ELb0EPlS7_ZN2at6native12_GLOBAL__N_124unique_dim_cuda_templateIlEESt5tupleIJNS8_6TensorESD_SD_EERKSD_lbbbEUlllE1_EE10hipError_tPvRmT2_T3_mT4_P12ihipStream_tbEUlT_E_NS1_11comp_targetILNS1_3genE2ELNS1_11target_archE906ELNS1_3gpuE6ELNS1_3repE0EEENS1_30default_config_static_selectorELNS0_4arch9wavefront6targetE1EEEvT1_,comdat
.Lfunc_end564:
	.size	_ZN7rocprim17ROCPRIM_400000_NS6detail17trampoline_kernelINS0_14default_configENS1_35adjacent_difference_config_selectorILb1ElEEZNS1_24adjacent_difference_implIS3_Lb1ELb0EPlS7_ZN2at6native12_GLOBAL__N_124unique_dim_cuda_templateIlEESt5tupleIJNS8_6TensorESD_SD_EERKSD_lbbbEUlllE1_EE10hipError_tPvRmT2_T3_mT4_P12ihipStream_tbEUlT_E_NS1_11comp_targetILNS1_3genE2ELNS1_11target_archE906ELNS1_3gpuE6ELNS1_3repE0EEENS1_30default_config_static_selectorELNS0_4arch9wavefront6targetE1EEEvT1_, .Lfunc_end564-_ZN7rocprim17ROCPRIM_400000_NS6detail17trampoline_kernelINS0_14default_configENS1_35adjacent_difference_config_selectorILb1ElEEZNS1_24adjacent_difference_implIS3_Lb1ELb0EPlS7_ZN2at6native12_GLOBAL__N_124unique_dim_cuda_templateIlEESt5tupleIJNS8_6TensorESD_SD_EERKSD_lbbbEUlllE1_EE10hipError_tPvRmT2_T3_mT4_P12ihipStream_tbEUlT_E_NS1_11comp_targetILNS1_3genE2ELNS1_11target_archE906ELNS1_3gpuE6ELNS1_3repE0EEENS1_30default_config_static_selectorELNS0_4arch9wavefront6targetE1EEEvT1_
                                        ; -- End function
	.section	.AMDGPU.csdata,"",@progbits
; Kernel info:
; codeLenInByte = 0
; NumSgprs: 6
; NumVgprs: 0
; NumAgprs: 0
; TotalNumVgprs: 0
; ScratchSize: 0
; MemoryBound: 0
; FloatMode: 240
; IeeeMode: 1
; LDSByteSize: 0 bytes/workgroup (compile time only)
; SGPRBlocks: 0
; VGPRBlocks: 0
; NumSGPRsForWavesPerEU: 6
; NumVGPRsForWavesPerEU: 1
; AccumOffset: 4
; Occupancy: 8
; WaveLimiterHint : 0
; COMPUTE_PGM_RSRC2:SCRATCH_EN: 0
; COMPUTE_PGM_RSRC2:USER_SGPR: 2
; COMPUTE_PGM_RSRC2:TRAP_HANDLER: 0
; COMPUTE_PGM_RSRC2:TGID_X_EN: 1
; COMPUTE_PGM_RSRC2:TGID_Y_EN: 0
; COMPUTE_PGM_RSRC2:TGID_Z_EN: 0
; COMPUTE_PGM_RSRC2:TIDIG_COMP_CNT: 0
; COMPUTE_PGM_RSRC3_GFX90A:ACCUM_OFFSET: 0
; COMPUTE_PGM_RSRC3_GFX90A:TG_SPLIT: 0
	.section	.text._ZN7rocprim17ROCPRIM_400000_NS6detail17trampoline_kernelINS0_14default_configENS1_35adjacent_difference_config_selectorILb1ElEEZNS1_24adjacent_difference_implIS3_Lb1ELb0EPlS7_ZN2at6native12_GLOBAL__N_124unique_dim_cuda_templateIlEESt5tupleIJNS8_6TensorESD_SD_EERKSD_lbbbEUlllE1_EE10hipError_tPvRmT2_T3_mT4_P12ihipStream_tbEUlT_E_NS1_11comp_targetILNS1_3genE9ELNS1_11target_archE1100ELNS1_3gpuE3ELNS1_3repE0EEENS1_30default_config_static_selectorELNS0_4arch9wavefront6targetE1EEEvT1_,"axG",@progbits,_ZN7rocprim17ROCPRIM_400000_NS6detail17trampoline_kernelINS0_14default_configENS1_35adjacent_difference_config_selectorILb1ElEEZNS1_24adjacent_difference_implIS3_Lb1ELb0EPlS7_ZN2at6native12_GLOBAL__N_124unique_dim_cuda_templateIlEESt5tupleIJNS8_6TensorESD_SD_EERKSD_lbbbEUlllE1_EE10hipError_tPvRmT2_T3_mT4_P12ihipStream_tbEUlT_E_NS1_11comp_targetILNS1_3genE9ELNS1_11target_archE1100ELNS1_3gpuE3ELNS1_3repE0EEENS1_30default_config_static_selectorELNS0_4arch9wavefront6targetE1EEEvT1_,comdat
	.globl	_ZN7rocprim17ROCPRIM_400000_NS6detail17trampoline_kernelINS0_14default_configENS1_35adjacent_difference_config_selectorILb1ElEEZNS1_24adjacent_difference_implIS3_Lb1ELb0EPlS7_ZN2at6native12_GLOBAL__N_124unique_dim_cuda_templateIlEESt5tupleIJNS8_6TensorESD_SD_EERKSD_lbbbEUlllE1_EE10hipError_tPvRmT2_T3_mT4_P12ihipStream_tbEUlT_E_NS1_11comp_targetILNS1_3genE9ELNS1_11target_archE1100ELNS1_3gpuE3ELNS1_3repE0EEENS1_30default_config_static_selectorELNS0_4arch9wavefront6targetE1EEEvT1_ ; -- Begin function _ZN7rocprim17ROCPRIM_400000_NS6detail17trampoline_kernelINS0_14default_configENS1_35adjacent_difference_config_selectorILb1ElEEZNS1_24adjacent_difference_implIS3_Lb1ELb0EPlS7_ZN2at6native12_GLOBAL__N_124unique_dim_cuda_templateIlEESt5tupleIJNS8_6TensorESD_SD_EERKSD_lbbbEUlllE1_EE10hipError_tPvRmT2_T3_mT4_P12ihipStream_tbEUlT_E_NS1_11comp_targetILNS1_3genE9ELNS1_11target_archE1100ELNS1_3gpuE3ELNS1_3repE0EEENS1_30default_config_static_selectorELNS0_4arch9wavefront6targetE1EEEvT1_
	.p2align	8
	.type	_ZN7rocprim17ROCPRIM_400000_NS6detail17trampoline_kernelINS0_14default_configENS1_35adjacent_difference_config_selectorILb1ElEEZNS1_24adjacent_difference_implIS3_Lb1ELb0EPlS7_ZN2at6native12_GLOBAL__N_124unique_dim_cuda_templateIlEESt5tupleIJNS8_6TensorESD_SD_EERKSD_lbbbEUlllE1_EE10hipError_tPvRmT2_T3_mT4_P12ihipStream_tbEUlT_E_NS1_11comp_targetILNS1_3genE9ELNS1_11target_archE1100ELNS1_3gpuE3ELNS1_3repE0EEENS1_30default_config_static_selectorELNS0_4arch9wavefront6targetE1EEEvT1_,@function
_ZN7rocprim17ROCPRIM_400000_NS6detail17trampoline_kernelINS0_14default_configENS1_35adjacent_difference_config_selectorILb1ElEEZNS1_24adjacent_difference_implIS3_Lb1ELb0EPlS7_ZN2at6native12_GLOBAL__N_124unique_dim_cuda_templateIlEESt5tupleIJNS8_6TensorESD_SD_EERKSD_lbbbEUlllE1_EE10hipError_tPvRmT2_T3_mT4_P12ihipStream_tbEUlT_E_NS1_11comp_targetILNS1_3genE9ELNS1_11target_archE1100ELNS1_3gpuE3ELNS1_3repE0EEENS1_30default_config_static_selectorELNS0_4arch9wavefront6targetE1EEEvT1_: ; @_ZN7rocprim17ROCPRIM_400000_NS6detail17trampoline_kernelINS0_14default_configENS1_35adjacent_difference_config_selectorILb1ElEEZNS1_24adjacent_difference_implIS3_Lb1ELb0EPlS7_ZN2at6native12_GLOBAL__N_124unique_dim_cuda_templateIlEESt5tupleIJNS8_6TensorESD_SD_EERKSD_lbbbEUlllE1_EE10hipError_tPvRmT2_T3_mT4_P12ihipStream_tbEUlT_E_NS1_11comp_targetILNS1_3genE9ELNS1_11target_archE1100ELNS1_3gpuE3ELNS1_3repE0EEENS1_30default_config_static_selectorELNS0_4arch9wavefront6targetE1EEEvT1_
; %bb.0:
	.section	.rodata,"a",@progbits
	.p2align	6, 0x0
	.amdhsa_kernel _ZN7rocprim17ROCPRIM_400000_NS6detail17trampoline_kernelINS0_14default_configENS1_35adjacent_difference_config_selectorILb1ElEEZNS1_24adjacent_difference_implIS3_Lb1ELb0EPlS7_ZN2at6native12_GLOBAL__N_124unique_dim_cuda_templateIlEESt5tupleIJNS8_6TensorESD_SD_EERKSD_lbbbEUlllE1_EE10hipError_tPvRmT2_T3_mT4_P12ihipStream_tbEUlT_E_NS1_11comp_targetILNS1_3genE9ELNS1_11target_archE1100ELNS1_3gpuE3ELNS1_3repE0EEENS1_30default_config_static_selectorELNS0_4arch9wavefront6targetE1EEEvT1_
		.amdhsa_group_segment_fixed_size 0
		.amdhsa_private_segment_fixed_size 0
		.amdhsa_kernarg_size 64
		.amdhsa_user_sgpr_count 2
		.amdhsa_user_sgpr_dispatch_ptr 0
		.amdhsa_user_sgpr_queue_ptr 0
		.amdhsa_user_sgpr_kernarg_segment_ptr 1
		.amdhsa_user_sgpr_dispatch_id 0
		.amdhsa_user_sgpr_kernarg_preload_length 0
		.amdhsa_user_sgpr_kernarg_preload_offset 0
		.amdhsa_user_sgpr_private_segment_size 0
		.amdhsa_uses_dynamic_stack 0
		.amdhsa_enable_private_segment 0
		.amdhsa_system_sgpr_workgroup_id_x 1
		.amdhsa_system_sgpr_workgroup_id_y 0
		.amdhsa_system_sgpr_workgroup_id_z 0
		.amdhsa_system_sgpr_workgroup_info 0
		.amdhsa_system_vgpr_workitem_id 0
		.amdhsa_next_free_vgpr 1
		.amdhsa_next_free_sgpr 0
		.amdhsa_accum_offset 4
		.amdhsa_reserve_vcc 0
		.amdhsa_float_round_mode_32 0
		.amdhsa_float_round_mode_16_64 0
		.amdhsa_float_denorm_mode_32 3
		.amdhsa_float_denorm_mode_16_64 3
		.amdhsa_dx10_clamp 1
		.amdhsa_ieee_mode 1
		.amdhsa_fp16_overflow 0
		.amdhsa_tg_split 0
		.amdhsa_exception_fp_ieee_invalid_op 0
		.amdhsa_exception_fp_denorm_src 0
		.amdhsa_exception_fp_ieee_div_zero 0
		.amdhsa_exception_fp_ieee_overflow 0
		.amdhsa_exception_fp_ieee_underflow 0
		.amdhsa_exception_fp_ieee_inexact 0
		.amdhsa_exception_int_div_zero 0
	.end_amdhsa_kernel
	.section	.text._ZN7rocprim17ROCPRIM_400000_NS6detail17trampoline_kernelINS0_14default_configENS1_35adjacent_difference_config_selectorILb1ElEEZNS1_24adjacent_difference_implIS3_Lb1ELb0EPlS7_ZN2at6native12_GLOBAL__N_124unique_dim_cuda_templateIlEESt5tupleIJNS8_6TensorESD_SD_EERKSD_lbbbEUlllE1_EE10hipError_tPvRmT2_T3_mT4_P12ihipStream_tbEUlT_E_NS1_11comp_targetILNS1_3genE9ELNS1_11target_archE1100ELNS1_3gpuE3ELNS1_3repE0EEENS1_30default_config_static_selectorELNS0_4arch9wavefront6targetE1EEEvT1_,"axG",@progbits,_ZN7rocprim17ROCPRIM_400000_NS6detail17trampoline_kernelINS0_14default_configENS1_35adjacent_difference_config_selectorILb1ElEEZNS1_24adjacent_difference_implIS3_Lb1ELb0EPlS7_ZN2at6native12_GLOBAL__N_124unique_dim_cuda_templateIlEESt5tupleIJNS8_6TensorESD_SD_EERKSD_lbbbEUlllE1_EE10hipError_tPvRmT2_T3_mT4_P12ihipStream_tbEUlT_E_NS1_11comp_targetILNS1_3genE9ELNS1_11target_archE1100ELNS1_3gpuE3ELNS1_3repE0EEENS1_30default_config_static_selectorELNS0_4arch9wavefront6targetE1EEEvT1_,comdat
.Lfunc_end565:
	.size	_ZN7rocprim17ROCPRIM_400000_NS6detail17trampoline_kernelINS0_14default_configENS1_35adjacent_difference_config_selectorILb1ElEEZNS1_24adjacent_difference_implIS3_Lb1ELb0EPlS7_ZN2at6native12_GLOBAL__N_124unique_dim_cuda_templateIlEESt5tupleIJNS8_6TensorESD_SD_EERKSD_lbbbEUlllE1_EE10hipError_tPvRmT2_T3_mT4_P12ihipStream_tbEUlT_E_NS1_11comp_targetILNS1_3genE9ELNS1_11target_archE1100ELNS1_3gpuE3ELNS1_3repE0EEENS1_30default_config_static_selectorELNS0_4arch9wavefront6targetE1EEEvT1_, .Lfunc_end565-_ZN7rocprim17ROCPRIM_400000_NS6detail17trampoline_kernelINS0_14default_configENS1_35adjacent_difference_config_selectorILb1ElEEZNS1_24adjacent_difference_implIS3_Lb1ELb0EPlS7_ZN2at6native12_GLOBAL__N_124unique_dim_cuda_templateIlEESt5tupleIJNS8_6TensorESD_SD_EERKSD_lbbbEUlllE1_EE10hipError_tPvRmT2_T3_mT4_P12ihipStream_tbEUlT_E_NS1_11comp_targetILNS1_3genE9ELNS1_11target_archE1100ELNS1_3gpuE3ELNS1_3repE0EEENS1_30default_config_static_selectorELNS0_4arch9wavefront6targetE1EEEvT1_
                                        ; -- End function
	.section	.AMDGPU.csdata,"",@progbits
; Kernel info:
; codeLenInByte = 0
; NumSgprs: 6
; NumVgprs: 0
; NumAgprs: 0
; TotalNumVgprs: 0
; ScratchSize: 0
; MemoryBound: 0
; FloatMode: 240
; IeeeMode: 1
; LDSByteSize: 0 bytes/workgroup (compile time only)
; SGPRBlocks: 0
; VGPRBlocks: 0
; NumSGPRsForWavesPerEU: 6
; NumVGPRsForWavesPerEU: 1
; AccumOffset: 4
; Occupancy: 8
; WaveLimiterHint : 0
; COMPUTE_PGM_RSRC2:SCRATCH_EN: 0
; COMPUTE_PGM_RSRC2:USER_SGPR: 2
; COMPUTE_PGM_RSRC2:TRAP_HANDLER: 0
; COMPUTE_PGM_RSRC2:TGID_X_EN: 1
; COMPUTE_PGM_RSRC2:TGID_Y_EN: 0
; COMPUTE_PGM_RSRC2:TGID_Z_EN: 0
; COMPUTE_PGM_RSRC2:TIDIG_COMP_CNT: 0
; COMPUTE_PGM_RSRC3_GFX90A:ACCUM_OFFSET: 0
; COMPUTE_PGM_RSRC3_GFX90A:TG_SPLIT: 0
	.section	.text._ZN7rocprim17ROCPRIM_400000_NS6detail17trampoline_kernelINS0_14default_configENS1_35adjacent_difference_config_selectorILb1ElEEZNS1_24adjacent_difference_implIS3_Lb1ELb0EPlS7_ZN2at6native12_GLOBAL__N_124unique_dim_cuda_templateIlEESt5tupleIJNS8_6TensorESD_SD_EERKSD_lbbbEUlllE1_EE10hipError_tPvRmT2_T3_mT4_P12ihipStream_tbEUlT_E_NS1_11comp_targetILNS1_3genE8ELNS1_11target_archE1030ELNS1_3gpuE2ELNS1_3repE0EEENS1_30default_config_static_selectorELNS0_4arch9wavefront6targetE1EEEvT1_,"axG",@progbits,_ZN7rocprim17ROCPRIM_400000_NS6detail17trampoline_kernelINS0_14default_configENS1_35adjacent_difference_config_selectorILb1ElEEZNS1_24adjacent_difference_implIS3_Lb1ELb0EPlS7_ZN2at6native12_GLOBAL__N_124unique_dim_cuda_templateIlEESt5tupleIJNS8_6TensorESD_SD_EERKSD_lbbbEUlllE1_EE10hipError_tPvRmT2_T3_mT4_P12ihipStream_tbEUlT_E_NS1_11comp_targetILNS1_3genE8ELNS1_11target_archE1030ELNS1_3gpuE2ELNS1_3repE0EEENS1_30default_config_static_selectorELNS0_4arch9wavefront6targetE1EEEvT1_,comdat
	.globl	_ZN7rocprim17ROCPRIM_400000_NS6detail17trampoline_kernelINS0_14default_configENS1_35adjacent_difference_config_selectorILb1ElEEZNS1_24adjacent_difference_implIS3_Lb1ELb0EPlS7_ZN2at6native12_GLOBAL__N_124unique_dim_cuda_templateIlEESt5tupleIJNS8_6TensorESD_SD_EERKSD_lbbbEUlllE1_EE10hipError_tPvRmT2_T3_mT4_P12ihipStream_tbEUlT_E_NS1_11comp_targetILNS1_3genE8ELNS1_11target_archE1030ELNS1_3gpuE2ELNS1_3repE0EEENS1_30default_config_static_selectorELNS0_4arch9wavefront6targetE1EEEvT1_ ; -- Begin function _ZN7rocprim17ROCPRIM_400000_NS6detail17trampoline_kernelINS0_14default_configENS1_35adjacent_difference_config_selectorILb1ElEEZNS1_24adjacent_difference_implIS3_Lb1ELb0EPlS7_ZN2at6native12_GLOBAL__N_124unique_dim_cuda_templateIlEESt5tupleIJNS8_6TensorESD_SD_EERKSD_lbbbEUlllE1_EE10hipError_tPvRmT2_T3_mT4_P12ihipStream_tbEUlT_E_NS1_11comp_targetILNS1_3genE8ELNS1_11target_archE1030ELNS1_3gpuE2ELNS1_3repE0EEENS1_30default_config_static_selectorELNS0_4arch9wavefront6targetE1EEEvT1_
	.p2align	8
	.type	_ZN7rocprim17ROCPRIM_400000_NS6detail17trampoline_kernelINS0_14default_configENS1_35adjacent_difference_config_selectorILb1ElEEZNS1_24adjacent_difference_implIS3_Lb1ELb0EPlS7_ZN2at6native12_GLOBAL__N_124unique_dim_cuda_templateIlEESt5tupleIJNS8_6TensorESD_SD_EERKSD_lbbbEUlllE1_EE10hipError_tPvRmT2_T3_mT4_P12ihipStream_tbEUlT_E_NS1_11comp_targetILNS1_3genE8ELNS1_11target_archE1030ELNS1_3gpuE2ELNS1_3repE0EEENS1_30default_config_static_selectorELNS0_4arch9wavefront6targetE1EEEvT1_,@function
_ZN7rocprim17ROCPRIM_400000_NS6detail17trampoline_kernelINS0_14default_configENS1_35adjacent_difference_config_selectorILb1ElEEZNS1_24adjacent_difference_implIS3_Lb1ELb0EPlS7_ZN2at6native12_GLOBAL__N_124unique_dim_cuda_templateIlEESt5tupleIJNS8_6TensorESD_SD_EERKSD_lbbbEUlllE1_EE10hipError_tPvRmT2_T3_mT4_P12ihipStream_tbEUlT_E_NS1_11comp_targetILNS1_3genE8ELNS1_11target_archE1030ELNS1_3gpuE2ELNS1_3repE0EEENS1_30default_config_static_selectorELNS0_4arch9wavefront6targetE1EEEvT1_: ; @_ZN7rocprim17ROCPRIM_400000_NS6detail17trampoline_kernelINS0_14default_configENS1_35adjacent_difference_config_selectorILb1ElEEZNS1_24adjacent_difference_implIS3_Lb1ELb0EPlS7_ZN2at6native12_GLOBAL__N_124unique_dim_cuda_templateIlEESt5tupleIJNS8_6TensorESD_SD_EERKSD_lbbbEUlllE1_EE10hipError_tPvRmT2_T3_mT4_P12ihipStream_tbEUlT_E_NS1_11comp_targetILNS1_3genE8ELNS1_11target_archE1030ELNS1_3gpuE2ELNS1_3repE0EEENS1_30default_config_static_selectorELNS0_4arch9wavefront6targetE1EEEvT1_
; %bb.0:
	.section	.rodata,"a",@progbits
	.p2align	6, 0x0
	.amdhsa_kernel _ZN7rocprim17ROCPRIM_400000_NS6detail17trampoline_kernelINS0_14default_configENS1_35adjacent_difference_config_selectorILb1ElEEZNS1_24adjacent_difference_implIS3_Lb1ELb0EPlS7_ZN2at6native12_GLOBAL__N_124unique_dim_cuda_templateIlEESt5tupleIJNS8_6TensorESD_SD_EERKSD_lbbbEUlllE1_EE10hipError_tPvRmT2_T3_mT4_P12ihipStream_tbEUlT_E_NS1_11comp_targetILNS1_3genE8ELNS1_11target_archE1030ELNS1_3gpuE2ELNS1_3repE0EEENS1_30default_config_static_selectorELNS0_4arch9wavefront6targetE1EEEvT1_
		.amdhsa_group_segment_fixed_size 0
		.amdhsa_private_segment_fixed_size 0
		.amdhsa_kernarg_size 64
		.amdhsa_user_sgpr_count 2
		.amdhsa_user_sgpr_dispatch_ptr 0
		.amdhsa_user_sgpr_queue_ptr 0
		.amdhsa_user_sgpr_kernarg_segment_ptr 1
		.amdhsa_user_sgpr_dispatch_id 0
		.amdhsa_user_sgpr_kernarg_preload_length 0
		.amdhsa_user_sgpr_kernarg_preload_offset 0
		.amdhsa_user_sgpr_private_segment_size 0
		.amdhsa_uses_dynamic_stack 0
		.amdhsa_enable_private_segment 0
		.amdhsa_system_sgpr_workgroup_id_x 1
		.amdhsa_system_sgpr_workgroup_id_y 0
		.amdhsa_system_sgpr_workgroup_id_z 0
		.amdhsa_system_sgpr_workgroup_info 0
		.amdhsa_system_vgpr_workitem_id 0
		.amdhsa_next_free_vgpr 1
		.amdhsa_next_free_sgpr 0
		.amdhsa_accum_offset 4
		.amdhsa_reserve_vcc 0
		.amdhsa_float_round_mode_32 0
		.amdhsa_float_round_mode_16_64 0
		.amdhsa_float_denorm_mode_32 3
		.amdhsa_float_denorm_mode_16_64 3
		.amdhsa_dx10_clamp 1
		.amdhsa_ieee_mode 1
		.amdhsa_fp16_overflow 0
		.amdhsa_tg_split 0
		.amdhsa_exception_fp_ieee_invalid_op 0
		.amdhsa_exception_fp_denorm_src 0
		.amdhsa_exception_fp_ieee_div_zero 0
		.amdhsa_exception_fp_ieee_overflow 0
		.amdhsa_exception_fp_ieee_underflow 0
		.amdhsa_exception_fp_ieee_inexact 0
		.amdhsa_exception_int_div_zero 0
	.end_amdhsa_kernel
	.section	.text._ZN7rocprim17ROCPRIM_400000_NS6detail17trampoline_kernelINS0_14default_configENS1_35adjacent_difference_config_selectorILb1ElEEZNS1_24adjacent_difference_implIS3_Lb1ELb0EPlS7_ZN2at6native12_GLOBAL__N_124unique_dim_cuda_templateIlEESt5tupleIJNS8_6TensorESD_SD_EERKSD_lbbbEUlllE1_EE10hipError_tPvRmT2_T3_mT4_P12ihipStream_tbEUlT_E_NS1_11comp_targetILNS1_3genE8ELNS1_11target_archE1030ELNS1_3gpuE2ELNS1_3repE0EEENS1_30default_config_static_selectorELNS0_4arch9wavefront6targetE1EEEvT1_,"axG",@progbits,_ZN7rocprim17ROCPRIM_400000_NS6detail17trampoline_kernelINS0_14default_configENS1_35adjacent_difference_config_selectorILb1ElEEZNS1_24adjacent_difference_implIS3_Lb1ELb0EPlS7_ZN2at6native12_GLOBAL__N_124unique_dim_cuda_templateIlEESt5tupleIJNS8_6TensorESD_SD_EERKSD_lbbbEUlllE1_EE10hipError_tPvRmT2_T3_mT4_P12ihipStream_tbEUlT_E_NS1_11comp_targetILNS1_3genE8ELNS1_11target_archE1030ELNS1_3gpuE2ELNS1_3repE0EEENS1_30default_config_static_selectorELNS0_4arch9wavefront6targetE1EEEvT1_,comdat
.Lfunc_end566:
	.size	_ZN7rocprim17ROCPRIM_400000_NS6detail17trampoline_kernelINS0_14default_configENS1_35adjacent_difference_config_selectorILb1ElEEZNS1_24adjacent_difference_implIS3_Lb1ELb0EPlS7_ZN2at6native12_GLOBAL__N_124unique_dim_cuda_templateIlEESt5tupleIJNS8_6TensorESD_SD_EERKSD_lbbbEUlllE1_EE10hipError_tPvRmT2_T3_mT4_P12ihipStream_tbEUlT_E_NS1_11comp_targetILNS1_3genE8ELNS1_11target_archE1030ELNS1_3gpuE2ELNS1_3repE0EEENS1_30default_config_static_selectorELNS0_4arch9wavefront6targetE1EEEvT1_, .Lfunc_end566-_ZN7rocprim17ROCPRIM_400000_NS6detail17trampoline_kernelINS0_14default_configENS1_35adjacent_difference_config_selectorILb1ElEEZNS1_24adjacent_difference_implIS3_Lb1ELb0EPlS7_ZN2at6native12_GLOBAL__N_124unique_dim_cuda_templateIlEESt5tupleIJNS8_6TensorESD_SD_EERKSD_lbbbEUlllE1_EE10hipError_tPvRmT2_T3_mT4_P12ihipStream_tbEUlT_E_NS1_11comp_targetILNS1_3genE8ELNS1_11target_archE1030ELNS1_3gpuE2ELNS1_3repE0EEENS1_30default_config_static_selectorELNS0_4arch9wavefront6targetE1EEEvT1_
                                        ; -- End function
	.section	.AMDGPU.csdata,"",@progbits
; Kernel info:
; codeLenInByte = 0
; NumSgprs: 6
; NumVgprs: 0
; NumAgprs: 0
; TotalNumVgprs: 0
; ScratchSize: 0
; MemoryBound: 0
; FloatMode: 240
; IeeeMode: 1
; LDSByteSize: 0 bytes/workgroup (compile time only)
; SGPRBlocks: 0
; VGPRBlocks: 0
; NumSGPRsForWavesPerEU: 6
; NumVGPRsForWavesPerEU: 1
; AccumOffset: 4
; Occupancy: 8
; WaveLimiterHint : 0
; COMPUTE_PGM_RSRC2:SCRATCH_EN: 0
; COMPUTE_PGM_RSRC2:USER_SGPR: 2
; COMPUTE_PGM_RSRC2:TRAP_HANDLER: 0
; COMPUTE_PGM_RSRC2:TGID_X_EN: 1
; COMPUTE_PGM_RSRC2:TGID_Y_EN: 0
; COMPUTE_PGM_RSRC2:TGID_Z_EN: 0
; COMPUTE_PGM_RSRC2:TIDIG_COMP_CNT: 0
; COMPUTE_PGM_RSRC3_GFX90A:ACCUM_OFFSET: 0
; COMPUTE_PGM_RSRC3_GFX90A:TG_SPLIT: 0
	.section	.text._ZN7rocprim17ROCPRIM_400000_NS6detail17trampoline_kernelINS0_14default_configENS1_25partition_config_selectorILNS1_17partition_subalgoE8ElNS0_10empty_typeEbEEZZNS1_14partition_implILS5_8ELb0ES3_jPlPS6_PKS6_NS0_5tupleIJS9_S6_EEENSD_IJSA_SA_EEENS0_18inequality_wrapperIZN2at6native12_GLOBAL__N_124unique_dim_cuda_templateIlEESt5tupleIJNSH_6TensorESM_SM_EERKSM_lbbbEUlllE0_EEPmJS6_EEE10hipError_tPvRmT3_T4_T5_T6_T7_T9_mT8_P12ihipStream_tbDpT10_ENKUlT_T0_E_clISt17integral_constantIbLb0EES1C_EEDaS17_S18_EUlS17_E_NS1_11comp_targetILNS1_3genE0ELNS1_11target_archE4294967295ELNS1_3gpuE0ELNS1_3repE0EEENS1_30default_config_static_selectorELNS0_4arch9wavefront6targetE1EEEvT1_,"axG",@progbits,_ZN7rocprim17ROCPRIM_400000_NS6detail17trampoline_kernelINS0_14default_configENS1_25partition_config_selectorILNS1_17partition_subalgoE8ElNS0_10empty_typeEbEEZZNS1_14partition_implILS5_8ELb0ES3_jPlPS6_PKS6_NS0_5tupleIJS9_S6_EEENSD_IJSA_SA_EEENS0_18inequality_wrapperIZN2at6native12_GLOBAL__N_124unique_dim_cuda_templateIlEESt5tupleIJNSH_6TensorESM_SM_EERKSM_lbbbEUlllE0_EEPmJS6_EEE10hipError_tPvRmT3_T4_T5_T6_T7_T9_mT8_P12ihipStream_tbDpT10_ENKUlT_T0_E_clISt17integral_constantIbLb0EES1C_EEDaS17_S18_EUlS17_E_NS1_11comp_targetILNS1_3genE0ELNS1_11target_archE4294967295ELNS1_3gpuE0ELNS1_3repE0EEENS1_30default_config_static_selectorELNS0_4arch9wavefront6targetE1EEEvT1_,comdat
	.globl	_ZN7rocprim17ROCPRIM_400000_NS6detail17trampoline_kernelINS0_14default_configENS1_25partition_config_selectorILNS1_17partition_subalgoE8ElNS0_10empty_typeEbEEZZNS1_14partition_implILS5_8ELb0ES3_jPlPS6_PKS6_NS0_5tupleIJS9_S6_EEENSD_IJSA_SA_EEENS0_18inequality_wrapperIZN2at6native12_GLOBAL__N_124unique_dim_cuda_templateIlEESt5tupleIJNSH_6TensorESM_SM_EERKSM_lbbbEUlllE0_EEPmJS6_EEE10hipError_tPvRmT3_T4_T5_T6_T7_T9_mT8_P12ihipStream_tbDpT10_ENKUlT_T0_E_clISt17integral_constantIbLb0EES1C_EEDaS17_S18_EUlS17_E_NS1_11comp_targetILNS1_3genE0ELNS1_11target_archE4294967295ELNS1_3gpuE0ELNS1_3repE0EEENS1_30default_config_static_selectorELNS0_4arch9wavefront6targetE1EEEvT1_ ; -- Begin function _ZN7rocprim17ROCPRIM_400000_NS6detail17trampoline_kernelINS0_14default_configENS1_25partition_config_selectorILNS1_17partition_subalgoE8ElNS0_10empty_typeEbEEZZNS1_14partition_implILS5_8ELb0ES3_jPlPS6_PKS6_NS0_5tupleIJS9_S6_EEENSD_IJSA_SA_EEENS0_18inequality_wrapperIZN2at6native12_GLOBAL__N_124unique_dim_cuda_templateIlEESt5tupleIJNSH_6TensorESM_SM_EERKSM_lbbbEUlllE0_EEPmJS6_EEE10hipError_tPvRmT3_T4_T5_T6_T7_T9_mT8_P12ihipStream_tbDpT10_ENKUlT_T0_E_clISt17integral_constantIbLb0EES1C_EEDaS17_S18_EUlS17_E_NS1_11comp_targetILNS1_3genE0ELNS1_11target_archE4294967295ELNS1_3gpuE0ELNS1_3repE0EEENS1_30default_config_static_selectorELNS0_4arch9wavefront6targetE1EEEvT1_
	.p2align	8
	.type	_ZN7rocprim17ROCPRIM_400000_NS6detail17trampoline_kernelINS0_14default_configENS1_25partition_config_selectorILNS1_17partition_subalgoE8ElNS0_10empty_typeEbEEZZNS1_14partition_implILS5_8ELb0ES3_jPlPS6_PKS6_NS0_5tupleIJS9_S6_EEENSD_IJSA_SA_EEENS0_18inequality_wrapperIZN2at6native12_GLOBAL__N_124unique_dim_cuda_templateIlEESt5tupleIJNSH_6TensorESM_SM_EERKSM_lbbbEUlllE0_EEPmJS6_EEE10hipError_tPvRmT3_T4_T5_T6_T7_T9_mT8_P12ihipStream_tbDpT10_ENKUlT_T0_E_clISt17integral_constantIbLb0EES1C_EEDaS17_S18_EUlS17_E_NS1_11comp_targetILNS1_3genE0ELNS1_11target_archE4294967295ELNS1_3gpuE0ELNS1_3repE0EEENS1_30default_config_static_selectorELNS0_4arch9wavefront6targetE1EEEvT1_,@function
_ZN7rocprim17ROCPRIM_400000_NS6detail17trampoline_kernelINS0_14default_configENS1_25partition_config_selectorILNS1_17partition_subalgoE8ElNS0_10empty_typeEbEEZZNS1_14partition_implILS5_8ELb0ES3_jPlPS6_PKS6_NS0_5tupleIJS9_S6_EEENSD_IJSA_SA_EEENS0_18inequality_wrapperIZN2at6native12_GLOBAL__N_124unique_dim_cuda_templateIlEESt5tupleIJNSH_6TensorESM_SM_EERKSM_lbbbEUlllE0_EEPmJS6_EEE10hipError_tPvRmT3_T4_T5_T6_T7_T9_mT8_P12ihipStream_tbDpT10_ENKUlT_T0_E_clISt17integral_constantIbLb0EES1C_EEDaS17_S18_EUlS17_E_NS1_11comp_targetILNS1_3genE0ELNS1_11target_archE4294967295ELNS1_3gpuE0ELNS1_3repE0EEENS1_30default_config_static_selectorELNS0_4arch9wavefront6targetE1EEEvT1_: ; @_ZN7rocprim17ROCPRIM_400000_NS6detail17trampoline_kernelINS0_14default_configENS1_25partition_config_selectorILNS1_17partition_subalgoE8ElNS0_10empty_typeEbEEZZNS1_14partition_implILS5_8ELb0ES3_jPlPS6_PKS6_NS0_5tupleIJS9_S6_EEENSD_IJSA_SA_EEENS0_18inequality_wrapperIZN2at6native12_GLOBAL__N_124unique_dim_cuda_templateIlEESt5tupleIJNSH_6TensorESM_SM_EERKSM_lbbbEUlllE0_EEPmJS6_EEE10hipError_tPvRmT3_T4_T5_T6_T7_T9_mT8_P12ihipStream_tbDpT10_ENKUlT_T0_E_clISt17integral_constantIbLb0EES1C_EEDaS17_S18_EUlS17_E_NS1_11comp_targetILNS1_3genE0ELNS1_11target_archE4294967295ELNS1_3gpuE0ELNS1_3repE0EEENS1_30default_config_static_selectorELNS0_4arch9wavefront6targetE1EEEvT1_
; %bb.0:
	.section	.rodata,"a",@progbits
	.p2align	6, 0x0
	.amdhsa_kernel _ZN7rocprim17ROCPRIM_400000_NS6detail17trampoline_kernelINS0_14default_configENS1_25partition_config_selectorILNS1_17partition_subalgoE8ElNS0_10empty_typeEbEEZZNS1_14partition_implILS5_8ELb0ES3_jPlPS6_PKS6_NS0_5tupleIJS9_S6_EEENSD_IJSA_SA_EEENS0_18inequality_wrapperIZN2at6native12_GLOBAL__N_124unique_dim_cuda_templateIlEESt5tupleIJNSH_6TensorESM_SM_EERKSM_lbbbEUlllE0_EEPmJS6_EEE10hipError_tPvRmT3_T4_T5_T6_T7_T9_mT8_P12ihipStream_tbDpT10_ENKUlT_T0_E_clISt17integral_constantIbLb0EES1C_EEDaS17_S18_EUlS17_E_NS1_11comp_targetILNS1_3genE0ELNS1_11target_archE4294967295ELNS1_3gpuE0ELNS1_3repE0EEENS1_30default_config_static_selectorELNS0_4arch9wavefront6targetE1EEEvT1_
		.amdhsa_group_segment_fixed_size 0
		.amdhsa_private_segment_fixed_size 0
		.amdhsa_kernarg_size 120
		.amdhsa_user_sgpr_count 2
		.amdhsa_user_sgpr_dispatch_ptr 0
		.amdhsa_user_sgpr_queue_ptr 0
		.amdhsa_user_sgpr_kernarg_segment_ptr 1
		.amdhsa_user_sgpr_dispatch_id 0
		.amdhsa_user_sgpr_kernarg_preload_length 0
		.amdhsa_user_sgpr_kernarg_preload_offset 0
		.amdhsa_user_sgpr_private_segment_size 0
		.amdhsa_uses_dynamic_stack 0
		.amdhsa_enable_private_segment 0
		.amdhsa_system_sgpr_workgroup_id_x 1
		.amdhsa_system_sgpr_workgroup_id_y 0
		.amdhsa_system_sgpr_workgroup_id_z 0
		.amdhsa_system_sgpr_workgroup_info 0
		.amdhsa_system_vgpr_workitem_id 0
		.amdhsa_next_free_vgpr 1
		.amdhsa_next_free_sgpr 0
		.amdhsa_accum_offset 4
		.amdhsa_reserve_vcc 0
		.amdhsa_float_round_mode_32 0
		.amdhsa_float_round_mode_16_64 0
		.amdhsa_float_denorm_mode_32 3
		.amdhsa_float_denorm_mode_16_64 3
		.amdhsa_dx10_clamp 1
		.amdhsa_ieee_mode 1
		.amdhsa_fp16_overflow 0
		.amdhsa_tg_split 0
		.amdhsa_exception_fp_ieee_invalid_op 0
		.amdhsa_exception_fp_denorm_src 0
		.amdhsa_exception_fp_ieee_div_zero 0
		.amdhsa_exception_fp_ieee_overflow 0
		.amdhsa_exception_fp_ieee_underflow 0
		.amdhsa_exception_fp_ieee_inexact 0
		.amdhsa_exception_int_div_zero 0
	.end_amdhsa_kernel
	.section	.text._ZN7rocprim17ROCPRIM_400000_NS6detail17trampoline_kernelINS0_14default_configENS1_25partition_config_selectorILNS1_17partition_subalgoE8ElNS0_10empty_typeEbEEZZNS1_14partition_implILS5_8ELb0ES3_jPlPS6_PKS6_NS0_5tupleIJS9_S6_EEENSD_IJSA_SA_EEENS0_18inequality_wrapperIZN2at6native12_GLOBAL__N_124unique_dim_cuda_templateIlEESt5tupleIJNSH_6TensorESM_SM_EERKSM_lbbbEUlllE0_EEPmJS6_EEE10hipError_tPvRmT3_T4_T5_T6_T7_T9_mT8_P12ihipStream_tbDpT10_ENKUlT_T0_E_clISt17integral_constantIbLb0EES1C_EEDaS17_S18_EUlS17_E_NS1_11comp_targetILNS1_3genE0ELNS1_11target_archE4294967295ELNS1_3gpuE0ELNS1_3repE0EEENS1_30default_config_static_selectorELNS0_4arch9wavefront6targetE1EEEvT1_,"axG",@progbits,_ZN7rocprim17ROCPRIM_400000_NS6detail17trampoline_kernelINS0_14default_configENS1_25partition_config_selectorILNS1_17partition_subalgoE8ElNS0_10empty_typeEbEEZZNS1_14partition_implILS5_8ELb0ES3_jPlPS6_PKS6_NS0_5tupleIJS9_S6_EEENSD_IJSA_SA_EEENS0_18inequality_wrapperIZN2at6native12_GLOBAL__N_124unique_dim_cuda_templateIlEESt5tupleIJNSH_6TensorESM_SM_EERKSM_lbbbEUlllE0_EEPmJS6_EEE10hipError_tPvRmT3_T4_T5_T6_T7_T9_mT8_P12ihipStream_tbDpT10_ENKUlT_T0_E_clISt17integral_constantIbLb0EES1C_EEDaS17_S18_EUlS17_E_NS1_11comp_targetILNS1_3genE0ELNS1_11target_archE4294967295ELNS1_3gpuE0ELNS1_3repE0EEENS1_30default_config_static_selectorELNS0_4arch9wavefront6targetE1EEEvT1_,comdat
.Lfunc_end567:
	.size	_ZN7rocprim17ROCPRIM_400000_NS6detail17trampoline_kernelINS0_14default_configENS1_25partition_config_selectorILNS1_17partition_subalgoE8ElNS0_10empty_typeEbEEZZNS1_14partition_implILS5_8ELb0ES3_jPlPS6_PKS6_NS0_5tupleIJS9_S6_EEENSD_IJSA_SA_EEENS0_18inequality_wrapperIZN2at6native12_GLOBAL__N_124unique_dim_cuda_templateIlEESt5tupleIJNSH_6TensorESM_SM_EERKSM_lbbbEUlllE0_EEPmJS6_EEE10hipError_tPvRmT3_T4_T5_T6_T7_T9_mT8_P12ihipStream_tbDpT10_ENKUlT_T0_E_clISt17integral_constantIbLb0EES1C_EEDaS17_S18_EUlS17_E_NS1_11comp_targetILNS1_3genE0ELNS1_11target_archE4294967295ELNS1_3gpuE0ELNS1_3repE0EEENS1_30default_config_static_selectorELNS0_4arch9wavefront6targetE1EEEvT1_, .Lfunc_end567-_ZN7rocprim17ROCPRIM_400000_NS6detail17trampoline_kernelINS0_14default_configENS1_25partition_config_selectorILNS1_17partition_subalgoE8ElNS0_10empty_typeEbEEZZNS1_14partition_implILS5_8ELb0ES3_jPlPS6_PKS6_NS0_5tupleIJS9_S6_EEENSD_IJSA_SA_EEENS0_18inequality_wrapperIZN2at6native12_GLOBAL__N_124unique_dim_cuda_templateIlEESt5tupleIJNSH_6TensorESM_SM_EERKSM_lbbbEUlllE0_EEPmJS6_EEE10hipError_tPvRmT3_T4_T5_T6_T7_T9_mT8_P12ihipStream_tbDpT10_ENKUlT_T0_E_clISt17integral_constantIbLb0EES1C_EEDaS17_S18_EUlS17_E_NS1_11comp_targetILNS1_3genE0ELNS1_11target_archE4294967295ELNS1_3gpuE0ELNS1_3repE0EEENS1_30default_config_static_selectorELNS0_4arch9wavefront6targetE1EEEvT1_
                                        ; -- End function
	.section	.AMDGPU.csdata,"",@progbits
; Kernel info:
; codeLenInByte = 0
; NumSgprs: 6
; NumVgprs: 0
; NumAgprs: 0
; TotalNumVgprs: 0
; ScratchSize: 0
; MemoryBound: 0
; FloatMode: 240
; IeeeMode: 1
; LDSByteSize: 0 bytes/workgroup (compile time only)
; SGPRBlocks: 0
; VGPRBlocks: 0
; NumSGPRsForWavesPerEU: 6
; NumVGPRsForWavesPerEU: 1
; AccumOffset: 4
; Occupancy: 8
; WaveLimiterHint : 0
; COMPUTE_PGM_RSRC2:SCRATCH_EN: 0
; COMPUTE_PGM_RSRC2:USER_SGPR: 2
; COMPUTE_PGM_RSRC2:TRAP_HANDLER: 0
; COMPUTE_PGM_RSRC2:TGID_X_EN: 1
; COMPUTE_PGM_RSRC2:TGID_Y_EN: 0
; COMPUTE_PGM_RSRC2:TGID_Z_EN: 0
; COMPUTE_PGM_RSRC2:TIDIG_COMP_CNT: 0
; COMPUTE_PGM_RSRC3_GFX90A:ACCUM_OFFSET: 0
; COMPUTE_PGM_RSRC3_GFX90A:TG_SPLIT: 0
	.section	.text._ZN7rocprim17ROCPRIM_400000_NS6detail17trampoline_kernelINS0_14default_configENS1_25partition_config_selectorILNS1_17partition_subalgoE8ElNS0_10empty_typeEbEEZZNS1_14partition_implILS5_8ELb0ES3_jPlPS6_PKS6_NS0_5tupleIJS9_S6_EEENSD_IJSA_SA_EEENS0_18inequality_wrapperIZN2at6native12_GLOBAL__N_124unique_dim_cuda_templateIlEESt5tupleIJNSH_6TensorESM_SM_EERKSM_lbbbEUlllE0_EEPmJS6_EEE10hipError_tPvRmT3_T4_T5_T6_T7_T9_mT8_P12ihipStream_tbDpT10_ENKUlT_T0_E_clISt17integral_constantIbLb0EES1C_EEDaS17_S18_EUlS17_E_NS1_11comp_targetILNS1_3genE5ELNS1_11target_archE942ELNS1_3gpuE9ELNS1_3repE0EEENS1_30default_config_static_selectorELNS0_4arch9wavefront6targetE1EEEvT1_,"axG",@progbits,_ZN7rocprim17ROCPRIM_400000_NS6detail17trampoline_kernelINS0_14default_configENS1_25partition_config_selectorILNS1_17partition_subalgoE8ElNS0_10empty_typeEbEEZZNS1_14partition_implILS5_8ELb0ES3_jPlPS6_PKS6_NS0_5tupleIJS9_S6_EEENSD_IJSA_SA_EEENS0_18inequality_wrapperIZN2at6native12_GLOBAL__N_124unique_dim_cuda_templateIlEESt5tupleIJNSH_6TensorESM_SM_EERKSM_lbbbEUlllE0_EEPmJS6_EEE10hipError_tPvRmT3_T4_T5_T6_T7_T9_mT8_P12ihipStream_tbDpT10_ENKUlT_T0_E_clISt17integral_constantIbLb0EES1C_EEDaS17_S18_EUlS17_E_NS1_11comp_targetILNS1_3genE5ELNS1_11target_archE942ELNS1_3gpuE9ELNS1_3repE0EEENS1_30default_config_static_selectorELNS0_4arch9wavefront6targetE1EEEvT1_,comdat
	.globl	_ZN7rocprim17ROCPRIM_400000_NS6detail17trampoline_kernelINS0_14default_configENS1_25partition_config_selectorILNS1_17partition_subalgoE8ElNS0_10empty_typeEbEEZZNS1_14partition_implILS5_8ELb0ES3_jPlPS6_PKS6_NS0_5tupleIJS9_S6_EEENSD_IJSA_SA_EEENS0_18inequality_wrapperIZN2at6native12_GLOBAL__N_124unique_dim_cuda_templateIlEESt5tupleIJNSH_6TensorESM_SM_EERKSM_lbbbEUlllE0_EEPmJS6_EEE10hipError_tPvRmT3_T4_T5_T6_T7_T9_mT8_P12ihipStream_tbDpT10_ENKUlT_T0_E_clISt17integral_constantIbLb0EES1C_EEDaS17_S18_EUlS17_E_NS1_11comp_targetILNS1_3genE5ELNS1_11target_archE942ELNS1_3gpuE9ELNS1_3repE0EEENS1_30default_config_static_selectorELNS0_4arch9wavefront6targetE1EEEvT1_ ; -- Begin function _ZN7rocprim17ROCPRIM_400000_NS6detail17trampoline_kernelINS0_14default_configENS1_25partition_config_selectorILNS1_17partition_subalgoE8ElNS0_10empty_typeEbEEZZNS1_14partition_implILS5_8ELb0ES3_jPlPS6_PKS6_NS0_5tupleIJS9_S6_EEENSD_IJSA_SA_EEENS0_18inequality_wrapperIZN2at6native12_GLOBAL__N_124unique_dim_cuda_templateIlEESt5tupleIJNSH_6TensorESM_SM_EERKSM_lbbbEUlllE0_EEPmJS6_EEE10hipError_tPvRmT3_T4_T5_T6_T7_T9_mT8_P12ihipStream_tbDpT10_ENKUlT_T0_E_clISt17integral_constantIbLb0EES1C_EEDaS17_S18_EUlS17_E_NS1_11comp_targetILNS1_3genE5ELNS1_11target_archE942ELNS1_3gpuE9ELNS1_3repE0EEENS1_30default_config_static_selectorELNS0_4arch9wavefront6targetE1EEEvT1_
	.p2align	8
	.type	_ZN7rocprim17ROCPRIM_400000_NS6detail17trampoline_kernelINS0_14default_configENS1_25partition_config_selectorILNS1_17partition_subalgoE8ElNS0_10empty_typeEbEEZZNS1_14partition_implILS5_8ELb0ES3_jPlPS6_PKS6_NS0_5tupleIJS9_S6_EEENSD_IJSA_SA_EEENS0_18inequality_wrapperIZN2at6native12_GLOBAL__N_124unique_dim_cuda_templateIlEESt5tupleIJNSH_6TensorESM_SM_EERKSM_lbbbEUlllE0_EEPmJS6_EEE10hipError_tPvRmT3_T4_T5_T6_T7_T9_mT8_P12ihipStream_tbDpT10_ENKUlT_T0_E_clISt17integral_constantIbLb0EES1C_EEDaS17_S18_EUlS17_E_NS1_11comp_targetILNS1_3genE5ELNS1_11target_archE942ELNS1_3gpuE9ELNS1_3repE0EEENS1_30default_config_static_selectorELNS0_4arch9wavefront6targetE1EEEvT1_,@function
_ZN7rocprim17ROCPRIM_400000_NS6detail17trampoline_kernelINS0_14default_configENS1_25partition_config_selectorILNS1_17partition_subalgoE8ElNS0_10empty_typeEbEEZZNS1_14partition_implILS5_8ELb0ES3_jPlPS6_PKS6_NS0_5tupleIJS9_S6_EEENSD_IJSA_SA_EEENS0_18inequality_wrapperIZN2at6native12_GLOBAL__N_124unique_dim_cuda_templateIlEESt5tupleIJNSH_6TensorESM_SM_EERKSM_lbbbEUlllE0_EEPmJS6_EEE10hipError_tPvRmT3_T4_T5_T6_T7_T9_mT8_P12ihipStream_tbDpT10_ENKUlT_T0_E_clISt17integral_constantIbLb0EES1C_EEDaS17_S18_EUlS17_E_NS1_11comp_targetILNS1_3genE5ELNS1_11target_archE942ELNS1_3gpuE9ELNS1_3repE0EEENS1_30default_config_static_selectorELNS0_4arch9wavefront6targetE1EEEvT1_: ; @_ZN7rocprim17ROCPRIM_400000_NS6detail17trampoline_kernelINS0_14default_configENS1_25partition_config_selectorILNS1_17partition_subalgoE8ElNS0_10empty_typeEbEEZZNS1_14partition_implILS5_8ELb0ES3_jPlPS6_PKS6_NS0_5tupleIJS9_S6_EEENSD_IJSA_SA_EEENS0_18inequality_wrapperIZN2at6native12_GLOBAL__N_124unique_dim_cuda_templateIlEESt5tupleIJNSH_6TensorESM_SM_EERKSM_lbbbEUlllE0_EEPmJS6_EEE10hipError_tPvRmT3_T4_T5_T6_T7_T9_mT8_P12ihipStream_tbDpT10_ENKUlT_T0_E_clISt17integral_constantIbLb0EES1C_EEDaS17_S18_EUlS17_E_NS1_11comp_targetILNS1_3genE5ELNS1_11target_archE942ELNS1_3gpuE9ELNS1_3repE0EEENS1_30default_config_static_selectorELNS0_4arch9wavefront6targetE1EEEvT1_
; %bb.0:
	s_load_dwordx8 s[20:27], s[0:1], 0x40
	s_load_dwordx4 s[4:7], s[0:1], 0x8
	s_load_dwordx4 s[28:31], s[0:1], 0x60
	s_load_dword s3, s[0:1], 0x70
	s_waitcnt lgkmcnt(0)
	v_mov_b32_e32 v2, s24
	s_lshl_b64 s[8:9], s[6:7], 3
	s_add_u32 s12, s4, s8
	s_mul_i32 s8, s3, 0xe00
	s_addc_u32 s13, s5, s9
	s_add_i32 s10, s3, -1
	s_add_i32 s3, s8, s6
	s_sub_i32 s3, s24, s3
	s_add_u32 s8, s6, s8
	s_addc_u32 s9, s7, 0
	v_mov_b32_e32 v3, s25
	s_cmp_eq_u32 s2, s10
	s_load_dwordx2 s[22:23], s[22:23], 0x0
	v_cmp_ge_u64_e32 vcc, s[8:9], v[2:3]
	s_cselect_b64 s[24:25], -1, 0
	s_mul_i32 s4, s2, 0xe00
	s_mov_b32 s5, 0
	s_and_b64 s[8:9], s[24:25], vcc
	s_xor_b64 s[34:35], s[8:9], -1
	s_lshl_b64 s[4:5], s[4:5], 3
	s_add_u32 s4, s12, s4
	s_mov_b64 s[10:11], -1
	s_addc_u32 s5, s13, s5
	s_and_b64 vcc, exec, s[34:35]
	s_cbranch_vccz .LBB568_2
; %bb.1:
	v_lshlrev_b32_e32 v2, 3, v0
	v_mov_b32_e32 v3, 0
	v_lshl_add_u64 v[4:5], s[4:5], 0, v[2:3]
	v_add_co_u32_e32 v8, vcc, 0x1000, v4
	global_load_dwordx2 v[6:7], v2, s[4:5]
	s_nop 0
	v_addc_co_u32_e32 v9, vcc, 0, v5, vcc
	v_add_co_u32_e32 v10, vcc, 0x2000, v4
	s_mov_b64 s[10:11], 0
	s_nop 0
	v_addc_co_u32_e32 v11, vcc, 0, v5, vcc
	v_add_co_u32_e32 v12, vcc, 0x3000, v4
	s_nop 1
	v_addc_co_u32_e32 v13, vcc, 0, v5, vcc
	v_add_co_u32_e32 v14, vcc, 0x4000, v4
	s_nop 1
	v_addc_co_u32_e32 v15, vcc, 0, v5, vcc
	global_load_dwordx2 v[16:17], v[8:9], off
	global_load_dwordx2 v[18:19], v[10:11], off
	;; [unrolled: 1-line block ×4, first 2 shown]
	v_add_co_u32_e32 v8, vcc, 0x5000, v4
	s_nop 1
	v_addc_co_u32_e32 v9, vcc, 0, v5, vcc
	v_add_co_u32_e32 v4, vcc, 0x6000, v4
	global_load_dwordx2 v[8:9], v[8:9], off
	s_nop 0
	v_addc_co_u32_e32 v5, vcc, 0, v5, vcc
	global_load_dwordx2 v[4:5], v[4:5], off
	s_waitcnt vmcnt(5)
	ds_write2st64_b64 v2, v[6:7], v[16:17] offset1:8
	s_waitcnt vmcnt(3)
	ds_write2st64_b64 v2, v[18:19], v[20:21] offset0:16 offset1:24
	s_waitcnt vmcnt(1)
	ds_write2st64_b64 v2, v[22:23], v[8:9] offset0:32 offset1:40
	s_waitcnt vmcnt(0)
	ds_write_b64 v2, v[4:5] offset:24576
	s_waitcnt lgkmcnt(0)
	s_barrier
.LBB568_2:
	s_andn2_b64 vcc, exec, s[10:11]
	s_addk_i32 s3, 0xe00
	s_cbranch_vccnz .LBB568_18
; %bb.3:
	v_cmp_gt_u32_e32 vcc, s3, v0
                                        ; implicit-def: $vgpr2_vgpr3_vgpr4_vgpr5_vgpr6_vgpr7_vgpr8_vgpr9_vgpr10_vgpr11_vgpr12_vgpr13_vgpr14_vgpr15_vgpr16_vgpr17
	s_and_saveexec_b64 s[10:11], vcc
	s_cbranch_execz .LBB568_5
; %bb.4:
	v_lshlrev_b32_e32 v1, 3, v0
	global_load_dwordx2 v[2:3], v1, s[4:5]
.LBB568_5:
	s_or_b64 exec, exec, s[10:11]
	v_or_b32_e32 v1, 0x200, v0
	v_cmp_gt_u32_e32 vcc, s3, v1
	s_and_saveexec_b64 s[10:11], vcc
	s_cbranch_execz .LBB568_7
; %bb.6:
	v_lshlrev_b32_e32 v1, 3, v1
	global_load_dwordx2 v[4:5], v1, s[4:5]
.LBB568_7:
	s_or_b64 exec, exec, s[10:11]
	v_or_b32_e32 v1, 0x400, v0
	v_cmp_gt_u32_e32 vcc, s3, v1
	;; [unrolled: 9-line block ×6, first 2 shown]
	s_and_saveexec_b64 s[10:11], vcc
	s_cbranch_execz .LBB568_17
; %bb.16:
	v_lshlrev_b32_e32 v1, 3, v1
	global_load_dwordx2 v[14:15], v1, s[4:5]
.LBB568_17:
	s_or_b64 exec, exec, s[10:11]
	v_lshlrev_b32_e32 v1, 3, v0
	s_waitcnt vmcnt(0)
	ds_write2st64_b64 v1, v[2:3], v[4:5] offset1:8
	ds_write2st64_b64 v1, v[6:7], v[8:9] offset0:16 offset1:24
	ds_write2st64_b64 v1, v[10:11], v[12:13] offset0:32 offset1:40
	ds_write_b64 v1, v[14:15] offset:24576
	s_waitcnt lgkmcnt(0)
	s_barrier
.LBB568_18:
	v_mul_u32_u24_e32 v1, 7, v0
	v_lshlrev_b32_e32 v30, 3, v1
	s_waitcnt lgkmcnt(0)
	ds_read2_b64 v[10:13], v30 offset1:1
	ds_read2_b64 v[6:9], v30 offset0:2 offset1:3
	ds_read2_b64 v[2:5], v30 offset0:4 offset1:5
	ds_read_b64 v[14:15], v30 offset:48
	s_cmp_lg_u32 s2, 0
	s_cselect_b64 s[16:17], -1, 0
	s_cmp_lg_u64 s[6:7], 0
	s_cselect_b64 s[6:7], -1, 0
	s_or_b64 s[6:7], s[16:17], s[6:7]
	v_mad_u32_u24 v25, v0, 7, 1
	v_mad_u32_u24 v24, v0, 7, 2
	;; [unrolled: 1-line block ×6, first 2 shown]
	s_mov_b64 s[10:11], 0
	s_and_b64 vcc, exec, s[6:7]
	v_cmp_gt_i64_e64 s[12:13], s[26:27], 0
	s_waitcnt lgkmcnt(0)
	s_barrier
	s_cbranch_vccz .LBB568_27
; %bb.19:
	s_add_u32 s4, s4, -8
	s_addc_u32 s5, s5, -1
	s_load_dwordx2 s[6:7], s[4:5], 0x0
	v_cndmask_b32_e64 v16, 0, 1, s[12:13]
	v_lshlrev_b32_e32 v31, 3, v0
	s_and_b64 vcc, exec, s[34:35]
	v_cmp_ne_u32_e64 s[4:5], 1, v16
	ds_write_b64 v31, v[14:15]
	s_cbranch_vccz .LBB568_29
; %bb.20:
	v_mul_lo_u32 v18, v5, s26
	v_mul_lo_u32 v19, v4, s27
	v_mad_u64_u32 v[16:17], s[12:13], v4, s26, 0
	v_add3_u32 v17, v17, v19, v18
	s_and_b64 vcc, exec, s[4:5]
	v_lshl_add_u64 v[16:17], v[16:17], 3, s[28:29]
	s_cbranch_vccnz .LBB568_32
; %bb.21:
	v_mul_lo_u32 v20, v15, s26
	v_mul_lo_u32 v21, v14, s27
	v_mad_u64_u32 v[18:19], s[10:11], v14, s26, 0
	v_add3_u32 v19, v19, v21, v20
	v_lshl_add_u64 v[18:19], v[18:19], 3, s[28:29]
	global_load_dwordx2 v[20:21], v[16:17], off
	global_load_dwordx2 v[22:23], v[18:19], off
	s_mov_b64 s[10:11], -1
	s_waitcnt vmcnt(0)
	v_cmp_eq_u64_e32 vcc, v[20:21], v[22:23]
	s_and_saveexec_b64 s[12:13], vcc
	s_cbranch_execz .LBB568_31
; %bb.22:
	s_add_u32 s10, s26, -1
	v_lshl_add_u64 v[18:19], v[18:19], 0, 8
	v_lshl_add_u64 v[20:21], v[16:17], 0, 8
	s_addc_u32 s11, s27, -1
	s_mov_b64 s[14:15], 0
	s_mov_b64 s[36:37], 0
                                        ; implicit-def: $sgpr18_sgpr19
	s_branch .LBB568_25
.LBB568_23:                             ;   in Loop: Header=BB568_25 Depth=1
	global_load_dwordx2 v[22:23], v[20:21], off
	global_load_dwordx2 v[32:33], v[18:19], off
	s_add_u32 s36, s36, 1
	s_addc_u32 s37, s37, 0
	s_andn2_b64 s[18:19], s[18:19], exec
	v_lshl_add_u64 v[18:19], v[18:19], 0, 8
	v_lshl_add_u64 v[20:21], v[20:21], 0, 8
	s_waitcnt vmcnt(0)
	v_cmp_ne_u64_e32 vcc, v[22:23], v[32:33]
	s_and_b64 s[38:39], vcc, exec
	s_or_b64 s[18:19], s[18:19], s[38:39]
.LBB568_24:                             ;   in Loop: Header=BB568_25 Depth=1
	s_and_b64 s[38:39], exec, s[18:19]
	s_or_b64 s[14:15], s[38:39], s[14:15]
	v_mov_b64_e32 v[22:23], s[36:37]
	s_andn2_b64 exec, exec, s[14:15]
	s_cbranch_execz .LBB568_30
.LBB568_25:                             ; =>This Inner Loop Header: Depth=1
	s_or_b64 s[18:19], s[18:19], exec
	s_cmp_eq_u64 s[10:11], s[36:37]
	s_cbranch_scc0 .LBB568_23
; %bb.26:                               ;   in Loop: Header=BB568_25 Depth=1
                                        ; implicit-def: $vgpr18_vgpr19
                                        ; implicit-def: $vgpr20_vgpr21
	s_mov_b64 s[36:37], s[26:27]
	s_branch .LBB568_24
.LBB568_27:
                                        ; implicit-def: $sgpr18_sgpr19
                                        ; implicit-def: $vgpr34
                                        ; implicit-def: $vgpr33
                                        ; implicit-def: $vgpr32
                                        ; implicit-def: $vgpr20
	s_branch .LBB568_170
.LBB568_28:
                                        ; implicit-def: $vgpr16_vgpr17
	s_branch .LBB568_318
.LBB568_29:
                                        ; implicit-def: $sgpr18_sgpr19
                                        ; implicit-def: $vgpr34
                                        ; implicit-def: $vgpr33
                                        ; implicit-def: $vgpr32
                                        ; implicit-def: $vgpr20
	s_cbranch_execnz .LBB568_89
	s_branch .LBB568_169
.LBB568_30:
	s_or_b64 exec, exec, s[14:15]
	v_cmp_gt_i64_e32 vcc, s[26:27], v[22:23]
	s_orn2_b64 s[10:11], vcc, exec
.LBB568_31:
	s_or_b64 exec, exec, s[12:13]
.LBB568_32:
	v_mul_lo_u32 v20, v3, s26
	v_mul_lo_u32 v21, v2, s27
	v_mad_u64_u32 v[18:19], s[12:13], v2, s26, 0
	v_add3_u32 v19, v19, v21, v20
	s_mov_b64 s[12:13], 0
	s_and_b64 vcc, exec, s[4:5]
	v_lshl_add_u64 v[18:19], v[18:19], 3, s[28:29]
	s_mov_b64 s[14:15], 0
	s_cbranch_vccnz .LBB568_41
; %bb.33:
	global_load_dwordx2 v[20:21], v[18:19], off
	global_load_dwordx2 v[22:23], v[16:17], off
	s_mov_b64 s[14:15], -1
	s_waitcnt vmcnt(0)
	v_cmp_eq_u64_e32 vcc, v[20:21], v[22:23]
	s_and_saveexec_b64 s[18:19], vcc
	s_cbranch_execz .LBB568_40
; %bb.34:
	s_add_u32 s14, s26, -1
	v_lshl_add_u64 v[16:17], v[16:17], 0, 8
	v_lshl_add_u64 v[20:21], v[18:19], 0, 8
	s_addc_u32 s15, s27, -1
	s_mov_b64 s[36:37], 0
	s_mov_b64 s[40:41], 0
                                        ; implicit-def: $sgpr38_sgpr39
	s_branch .LBB568_37
.LBB568_35:                             ;   in Loop: Header=BB568_37 Depth=1
	global_load_dwordx2 v[22:23], v[20:21], off
	global_load_dwordx2 v[32:33], v[16:17], off
	s_add_u32 s40, s40, 1
	s_addc_u32 s41, s41, 0
	s_andn2_b64 s[38:39], s[38:39], exec
	v_lshl_add_u64 v[16:17], v[16:17], 0, 8
	v_lshl_add_u64 v[20:21], v[20:21], 0, 8
	s_waitcnt vmcnt(0)
	v_cmp_ne_u64_e32 vcc, v[22:23], v[32:33]
	s_and_b64 s[42:43], vcc, exec
	s_or_b64 s[38:39], s[38:39], s[42:43]
.LBB568_36:                             ;   in Loop: Header=BB568_37 Depth=1
	s_and_b64 s[42:43], exec, s[38:39]
	s_or_b64 s[36:37], s[42:43], s[36:37]
	v_mov_b64_e32 v[22:23], s[40:41]
	s_andn2_b64 exec, exec, s[36:37]
	s_cbranch_execz .LBB568_39
.LBB568_37:                             ; =>This Inner Loop Header: Depth=1
	s_or_b64 s[38:39], s[38:39], exec
	s_cmp_eq_u64 s[14:15], s[40:41]
	s_cbranch_scc0 .LBB568_35
; %bb.38:                               ;   in Loop: Header=BB568_37 Depth=1
                                        ; implicit-def: $vgpr16_vgpr17
                                        ; implicit-def: $vgpr20_vgpr21
	s_mov_b64 s[40:41], s[26:27]
	s_branch .LBB568_36
.LBB568_39:
	s_or_b64 exec, exec, s[36:37]
	v_cmp_gt_i64_e32 vcc, s[26:27], v[22:23]
	s_orn2_b64 s[14:15], vcc, exec
.LBB568_40:
	s_or_b64 exec, exec, s[18:19]
.LBB568_41:
	v_mul_lo_u32 v20, v9, s26
	v_mul_lo_u32 v21, v8, s27
	v_mad_u64_u32 v[16:17], s[18:19], v8, s26, 0
	v_add3_u32 v17, v17, v21, v20
	s_and_b64 vcc, exec, s[4:5]
	v_lshl_add_u64 v[16:17], v[16:17], 3, s[28:29]
	s_cbranch_vccnz .LBB568_50
; %bb.42:
	global_load_dwordx2 v[20:21], v[16:17], off
	global_load_dwordx2 v[22:23], v[18:19], off
	s_mov_b64 s[12:13], -1
	s_waitcnt vmcnt(0)
	v_cmp_eq_u64_e32 vcc, v[20:21], v[22:23]
	s_and_saveexec_b64 s[18:19], vcc
	s_cbranch_execz .LBB568_49
; %bb.43:
	s_add_u32 s12, s26, -1
	v_lshl_add_u64 v[18:19], v[18:19], 0, 8
	v_lshl_add_u64 v[20:21], v[16:17], 0, 8
	s_addc_u32 s13, s27, -1
	s_mov_b64 s[36:37], 0
	s_mov_b64 s[40:41], 0
                                        ; implicit-def: $sgpr38_sgpr39
	s_branch .LBB568_46
.LBB568_44:                             ;   in Loop: Header=BB568_46 Depth=1
	global_load_dwordx2 v[22:23], v[20:21], off
	global_load_dwordx2 v[32:33], v[18:19], off
	s_add_u32 s40, s40, 1
	s_addc_u32 s41, s41, 0
	s_andn2_b64 s[38:39], s[38:39], exec
	v_lshl_add_u64 v[18:19], v[18:19], 0, 8
	v_lshl_add_u64 v[20:21], v[20:21], 0, 8
	s_waitcnt vmcnt(0)
	v_cmp_ne_u64_e32 vcc, v[22:23], v[32:33]
	s_and_b64 s[42:43], vcc, exec
	s_or_b64 s[38:39], s[38:39], s[42:43]
.LBB568_45:                             ;   in Loop: Header=BB568_46 Depth=1
	s_and_b64 s[42:43], exec, s[38:39]
	s_or_b64 s[36:37], s[42:43], s[36:37]
	v_mov_b64_e32 v[22:23], s[40:41]
	s_andn2_b64 exec, exec, s[36:37]
	s_cbranch_execz .LBB568_48
.LBB568_46:                             ; =>This Inner Loop Header: Depth=1
	s_or_b64 s[38:39], s[38:39], exec
	s_cmp_eq_u64 s[12:13], s[40:41]
	s_cbranch_scc0 .LBB568_44
; %bb.47:                               ;   in Loop: Header=BB568_46 Depth=1
                                        ; implicit-def: $vgpr18_vgpr19
                                        ; implicit-def: $vgpr20_vgpr21
	s_mov_b64 s[40:41], s[26:27]
	s_branch .LBB568_45
.LBB568_48:
	s_or_b64 exec, exec, s[36:37]
	v_cmp_gt_i64_e32 vcc, s[26:27], v[22:23]
	s_orn2_b64 s[12:13], vcc, exec
.LBB568_49:
	s_or_b64 exec, exec, s[18:19]
.LBB568_50:
	v_mul_lo_u32 v20, v7, s26
	v_mul_lo_u32 v21, v6, s27
	v_mad_u64_u32 v[18:19], s[18:19], v6, s26, 0
	v_add3_u32 v19, v19, v21, v20
	s_mov_b64 s[18:19], 0
	s_and_b64 vcc, exec, s[4:5]
	v_lshl_add_u64 v[20:21], v[18:19], 3, s[28:29]
	s_mov_b64 s[36:37], 0
	s_cbranch_vccnz .LBB568_59
; %bb.51:
	global_load_dwordx2 v[18:19], v[20:21], off
	global_load_dwordx2 v[22:23], v[16:17], off
	s_mov_b64 s[36:37], -1
	s_waitcnt vmcnt(0)
	v_cmp_eq_u64_e32 vcc, v[18:19], v[22:23]
	s_and_saveexec_b64 s[38:39], vcc
	s_cbranch_execz .LBB568_58
; %bb.52:
	s_add_u32 s36, s26, -1
	v_lshl_add_u64 v[16:17], v[16:17], 0, 8
	v_lshl_add_u64 v[18:19], v[20:21], 0, 8
	s_addc_u32 s37, s27, -1
	s_mov_b64 s[40:41], 0
	s_mov_b64 s[44:45], 0
                                        ; implicit-def: $sgpr42_sgpr43
	s_branch .LBB568_55
.LBB568_53:                             ;   in Loop: Header=BB568_55 Depth=1
	global_load_dwordx2 v[22:23], v[18:19], off
	global_load_dwordx2 v[32:33], v[16:17], off
	s_add_u32 s44, s44, 1
	s_addc_u32 s45, s45, 0
	s_andn2_b64 s[42:43], s[42:43], exec
	v_lshl_add_u64 v[16:17], v[16:17], 0, 8
	v_lshl_add_u64 v[18:19], v[18:19], 0, 8
	s_waitcnt vmcnt(0)
	v_cmp_ne_u64_e32 vcc, v[22:23], v[32:33]
	s_and_b64 s[46:47], vcc, exec
	s_or_b64 s[42:43], s[42:43], s[46:47]
.LBB568_54:                             ;   in Loop: Header=BB568_55 Depth=1
	s_and_b64 s[46:47], exec, s[42:43]
	s_or_b64 s[40:41], s[46:47], s[40:41]
	v_mov_b64_e32 v[22:23], s[44:45]
	s_andn2_b64 exec, exec, s[40:41]
	s_cbranch_execz .LBB568_57
.LBB568_55:                             ; =>This Inner Loop Header: Depth=1
	s_or_b64 s[42:43], s[42:43], exec
	s_cmp_eq_u64 s[36:37], s[44:45]
	s_cbranch_scc0 .LBB568_53
; %bb.56:                               ;   in Loop: Header=BB568_55 Depth=1
                                        ; implicit-def: $vgpr16_vgpr17
                                        ; implicit-def: $vgpr18_vgpr19
	s_mov_b64 s[44:45], s[26:27]
	s_branch .LBB568_54
.LBB568_57:
	s_or_b64 exec, exec, s[40:41]
	v_cmp_gt_i64_e32 vcc, s[26:27], v[22:23]
	s_orn2_b64 s[36:37], vcc, exec
.LBB568_58:
	s_or_b64 exec, exec, s[38:39]
.LBB568_59:
	v_mul_lo_u32 v18, v13, s26
	v_mul_lo_u32 v19, v12, s27
	v_mad_u64_u32 v[16:17], s[38:39], v12, s26, 0
	v_add3_u32 v17, v17, v19, v18
	s_and_b64 vcc, exec, s[4:5]
	v_lshl_add_u64 v[18:19], v[16:17], 3, s[28:29]
	s_cbranch_vccnz .LBB568_68
; %bb.60:
	global_load_dwordx2 v[16:17], v[18:19], off
	global_load_dwordx2 v[22:23], v[20:21], off
	s_mov_b64 s[18:19], -1
	s_waitcnt vmcnt(0)
	v_cmp_eq_u64_e32 vcc, v[16:17], v[22:23]
	s_and_saveexec_b64 s[38:39], vcc
	s_cbranch_execz .LBB568_67
; %bb.61:
	s_add_u32 s18, s26, -1
	v_lshl_add_u64 v[16:17], v[20:21], 0, 8
	v_lshl_add_u64 v[20:21], v[18:19], 0, 8
	s_addc_u32 s19, s27, -1
	s_mov_b64 s[40:41], 0
	s_mov_b64 s[44:45], 0
                                        ; implicit-def: $sgpr42_sgpr43
	s_branch .LBB568_64
.LBB568_62:                             ;   in Loop: Header=BB568_64 Depth=1
	global_load_dwordx2 v[22:23], v[20:21], off
	global_load_dwordx2 v[32:33], v[16:17], off
	s_add_u32 s44, s44, 1
	s_addc_u32 s45, s45, 0
	s_andn2_b64 s[42:43], s[42:43], exec
	v_lshl_add_u64 v[16:17], v[16:17], 0, 8
	v_lshl_add_u64 v[20:21], v[20:21], 0, 8
	s_waitcnt vmcnt(0)
	v_cmp_ne_u64_e32 vcc, v[22:23], v[32:33]
	s_and_b64 s[46:47], vcc, exec
	s_or_b64 s[42:43], s[42:43], s[46:47]
.LBB568_63:                             ;   in Loop: Header=BB568_64 Depth=1
	s_and_b64 s[46:47], exec, s[42:43]
	s_or_b64 s[40:41], s[46:47], s[40:41]
	v_mov_b64_e32 v[22:23], s[44:45]
	s_andn2_b64 exec, exec, s[40:41]
	s_cbranch_execz .LBB568_66
.LBB568_64:                             ; =>This Inner Loop Header: Depth=1
	s_or_b64 s[42:43], s[42:43], exec
	s_cmp_eq_u64 s[18:19], s[44:45]
	s_cbranch_scc0 .LBB568_62
; %bb.65:                               ;   in Loop: Header=BB568_64 Depth=1
                                        ; implicit-def: $vgpr16_vgpr17
                                        ; implicit-def: $vgpr20_vgpr21
	s_mov_b64 s[44:45], s[26:27]
	s_branch .LBB568_63
.LBB568_66:
	s_or_b64 exec, exec, s[40:41]
	v_cmp_gt_i64_e32 vcc, s[26:27], v[22:23]
	s_orn2_b64 s[18:19], vcc, exec
.LBB568_67:
	s_or_b64 exec, exec, s[38:39]
.LBB568_68:
	v_mul_lo_u32 v20, v11, s26
	v_mul_lo_u32 v21, v10, s27
	v_mad_u64_u32 v[16:17], s[38:39], v10, s26, 0
	v_add3_u32 v17, v17, v21, v20
	s_mov_b64 s[40:41], 0
	s_and_b64 vcc, exec, s[4:5]
	v_lshl_add_u64 v[16:17], v[16:17], 3, s[28:29]
	s_cbranch_vccnz .LBB568_77
; %bb.69:
	global_load_dwordx2 v[20:21], v[16:17], off
	global_load_dwordx2 v[22:23], v[18:19], off
	s_mov_b64 s[40:41], -1
	s_waitcnt vmcnt(0)
	v_cmp_eq_u64_e32 vcc, v[20:21], v[22:23]
	s_and_saveexec_b64 s[38:39], vcc
	s_cbranch_execz .LBB568_76
; %bb.70:
	s_add_u32 s40, s26, -1
	v_lshl_add_u64 v[18:19], v[18:19], 0, 8
	v_lshl_add_u64 v[20:21], v[16:17], 0, 8
	s_addc_u32 s41, s27, -1
	s_mov_b64 s[42:43], 0
	s_mov_b64 s[46:47], 0
                                        ; implicit-def: $sgpr44_sgpr45
	s_branch .LBB568_73
.LBB568_71:                             ;   in Loop: Header=BB568_73 Depth=1
	global_load_dwordx2 v[22:23], v[20:21], off
	global_load_dwordx2 v[32:33], v[18:19], off
	s_add_u32 s46, s46, 1
	s_addc_u32 s47, s47, 0
	s_andn2_b64 s[44:45], s[44:45], exec
	v_lshl_add_u64 v[18:19], v[18:19], 0, 8
	v_lshl_add_u64 v[20:21], v[20:21], 0, 8
	s_waitcnt vmcnt(0)
	v_cmp_ne_u64_e32 vcc, v[22:23], v[32:33]
	s_and_b64 s[48:49], vcc, exec
	s_or_b64 s[44:45], s[44:45], s[48:49]
.LBB568_72:                             ;   in Loop: Header=BB568_73 Depth=1
	s_and_b64 s[48:49], exec, s[44:45]
	s_or_b64 s[42:43], s[48:49], s[42:43]
	v_mov_b64_e32 v[22:23], s[46:47]
	s_andn2_b64 exec, exec, s[42:43]
	s_cbranch_execz .LBB568_75
.LBB568_73:                             ; =>This Inner Loop Header: Depth=1
	s_or_b64 s[44:45], s[44:45], exec
	s_cmp_eq_u64 s[40:41], s[46:47]
	s_cbranch_scc0 .LBB568_71
; %bb.74:                               ;   in Loop: Header=BB568_73 Depth=1
                                        ; implicit-def: $vgpr18_vgpr19
                                        ; implicit-def: $vgpr20_vgpr21
	s_mov_b64 s[46:47], s[26:27]
	s_branch .LBB568_72
.LBB568_75:
	s_or_b64 exec, exec, s[42:43]
	v_cmp_gt_i64_e32 vcc, s[26:27], v[22:23]
	s_orn2_b64 s[40:41], vcc, exec
.LBB568_76:
	s_or_b64 exec, exec, s[38:39]
.LBB568_77:
	v_cmp_ne_u32_e32 vcc, 0, v0
	s_waitcnt lgkmcnt(0)
	v_mov_b64_e32 v[18:19], s[6:7]
	s_barrier
	s_and_saveexec_b64 s[38:39], vcc
	s_cbranch_execz .LBB568_79
; %bb.78:
	v_add_u32_e32 v18, -8, v31
	ds_read_b64 v[18:19], v18
.LBB568_79:
	s_or_b64 exec, exec, s[38:39]
	v_cndmask_b32_e64 v21, 0, 1, s[36:37]
	v_cndmask_b32_e64 v20, 0, 1, s[18:19]
	;; [unrolled: 1-line block ×3, first 2 shown]
	v_lshlrev_b16_e32 v21, 8, v21
	v_lshlrev_b16_e32 v22, 8, v22
	v_or_b32_sdwa v23, v20, v21 dst_sel:WORD_1 dst_unused:UNUSED_PAD src0_sel:DWORD src1_sel:DWORD
	s_mov_b64 s[36:37], 0
	s_and_b64 vcc, exec, s[4:5]
	s_mov_b64 s[18:19], 0
	s_cbranch_vccnz .LBB568_88
; %bb.80:
	s_waitcnt lgkmcnt(0)
	v_mul_lo_u32 v20, v19, s26
	v_mul_lo_u32 v21, v18, s27
	v_mad_u64_u32 v[18:19], s[18:19], v18, s26, 0
	v_add3_u32 v19, v19, v21, v20
	v_lshl_add_u64 v[18:19], v[18:19], 3, s[28:29]
	global_load_dwordx2 v[20:21], v[18:19], off
	global_load_dwordx2 v[32:33], v[16:17], off
	s_mov_b64 s[18:19], -1
	s_waitcnt vmcnt(0)
	v_cmp_eq_u64_e32 vcc, v[20:21], v[32:33]
	s_and_saveexec_b64 s[38:39], vcc
	s_cbranch_execz .LBB568_87
; %bb.81:
	s_add_u32 s18, s26, -1
	v_lshl_add_u64 v[16:17], v[16:17], 0, 8
	v_lshl_add_u64 v[18:19], v[18:19], 0, 8
	s_addc_u32 s19, s27, -1
	s_mov_b64 s[40:41], 0
	s_mov_b64 s[44:45], 0
                                        ; implicit-def: $sgpr42_sgpr43
	s_branch .LBB568_84
.LBB568_82:                             ;   in Loop: Header=BB568_84 Depth=1
	global_load_dwordx2 v[20:21], v[18:19], off
	global_load_dwordx2 v[32:33], v[16:17], off
	s_add_u32 s44, s44, 1
	s_addc_u32 s45, s45, 0
	s_andn2_b64 s[42:43], s[42:43], exec
	v_lshl_add_u64 v[16:17], v[16:17], 0, 8
	v_lshl_add_u64 v[18:19], v[18:19], 0, 8
	s_waitcnt vmcnt(0)
	v_cmp_ne_u64_e32 vcc, v[20:21], v[32:33]
	s_and_b64 s[46:47], vcc, exec
	s_or_b64 s[42:43], s[42:43], s[46:47]
.LBB568_83:                             ;   in Loop: Header=BB568_84 Depth=1
	s_and_b64 s[46:47], exec, s[42:43]
	s_or_b64 s[40:41], s[46:47], s[40:41]
	v_mov_b64_e32 v[20:21], s[44:45]
	s_andn2_b64 exec, exec, s[40:41]
	s_cbranch_execz .LBB568_86
.LBB568_84:                             ; =>This Inner Loop Header: Depth=1
	s_or_b64 s[42:43], s[42:43], exec
	s_cmp_eq_u64 s[18:19], s[44:45]
	s_cbranch_scc0 .LBB568_82
; %bb.85:                               ;   in Loop: Header=BB568_84 Depth=1
                                        ; implicit-def: $vgpr16_vgpr17
                                        ; implicit-def: $vgpr18_vgpr19
	s_mov_b64 s[44:45], s[26:27]
	s_branch .LBB568_83
.LBB568_86:
	s_or_b64 exec, exec, s[40:41]
	v_cmp_gt_i64_e32 vcc, s[26:27], v[20:21]
	s_orn2_b64 s[18:19], vcc, exec
.LBB568_87:
	s_or_b64 exec, exec, s[38:39]
.LBB568_88:
	v_cndmask_b32_e64 v32, 0, 1, s[12:13]
	v_cndmask_b32_e64 v33, 0, 1, s[14:15]
	;; [unrolled: 1-line block ×3, first 2 shown]
	v_or_b32_e32 v20, v22, v23
	s_and_b64 vcc, exec, s[36:37]
	s_cbranch_vccz .LBB568_169
.LBB568_89:
	v_cmp_gt_u32_e32 vcc, s3, v27
	s_mov_b64 s[12:13], 0
	s_mov_b64 s[10:11], 0
	s_and_saveexec_b64 s[14:15], vcc
	s_cbranch_execz .LBB568_100
; %bb.90:
	s_and_b64 vcc, exec, s[4:5]
	s_mov_b64 s[18:19], 0
	s_cbranch_vccnz .LBB568_99
; %bb.91:
	s_waitcnt lgkmcnt(0)
	v_mul_lo_u32 v18, v5, s26
	v_mul_lo_u32 v19, v4, s27
	v_mad_u64_u32 v[16:17], s[10:11], v4, s26, 0
	v_add3_u32 v17, v17, v19, v18
	v_mul_lo_u32 v18, v15, s26
	v_mul_lo_u32 v19, v14, s27
	v_mad_u64_u32 v[20:21], s[10:11], v14, s26, 0
	v_add3_u32 v21, v21, v19, v18
	v_lshl_add_u64 v[18:19], v[16:17], 3, s[28:29]
	v_lshl_add_u64 v[16:17], v[20:21], 3, s[28:29]
	global_load_dwordx2 v[20:21], v[18:19], off
	global_load_dwordx2 v[22:23], v[16:17], off
	s_mov_b64 s[18:19], -1
	s_waitcnt vmcnt(0)
	v_cmp_eq_u64_e32 vcc, v[20:21], v[22:23]
	s_and_saveexec_b64 s[10:11], vcc
	s_cbranch_execz .LBB568_98
; %bb.92:
	s_add_u32 s18, s26, -1
	v_lshl_add_u64 v[16:17], v[16:17], 0, 8
	v_lshl_add_u64 v[18:19], v[18:19], 0, 8
	s_addc_u32 s19, s27, -1
	s_mov_b64 s[36:37], 0
	s_mov_b64 s[40:41], 0
                                        ; implicit-def: $sgpr38_sgpr39
	s_branch .LBB568_95
.LBB568_93:                             ;   in Loop: Header=BB568_95 Depth=1
	global_load_dwordx2 v[20:21], v[18:19], off
	global_load_dwordx2 v[22:23], v[16:17], off
	s_add_u32 s40, s40, 1
	s_addc_u32 s41, s41, 0
	s_andn2_b64 s[38:39], s[38:39], exec
	v_lshl_add_u64 v[16:17], v[16:17], 0, 8
	v_lshl_add_u64 v[18:19], v[18:19], 0, 8
	s_waitcnt vmcnt(0)
	v_cmp_ne_u64_e32 vcc, v[20:21], v[22:23]
	s_and_b64 s[42:43], vcc, exec
	s_or_b64 s[38:39], s[38:39], s[42:43]
.LBB568_94:                             ;   in Loop: Header=BB568_95 Depth=1
	s_and_b64 s[42:43], exec, s[38:39]
	s_or_b64 s[36:37], s[42:43], s[36:37]
	v_mov_b64_e32 v[20:21], s[40:41]
	s_andn2_b64 exec, exec, s[36:37]
	s_cbranch_execz .LBB568_97
.LBB568_95:                             ; =>This Inner Loop Header: Depth=1
	s_or_b64 s[38:39], s[38:39], exec
	s_cmp_eq_u64 s[18:19], s[40:41]
	s_cbranch_scc0 .LBB568_93
; %bb.96:                               ;   in Loop: Header=BB568_95 Depth=1
                                        ; implicit-def: $vgpr16_vgpr17
                                        ; implicit-def: $vgpr18_vgpr19
	s_mov_b64 s[40:41], s[26:27]
	s_branch .LBB568_94
.LBB568_97:
	s_or_b64 exec, exec, s[36:37]
	v_cmp_gt_i64_e32 vcc, s[26:27], v[20:21]
	s_orn2_b64 s[18:19], vcc, exec
.LBB568_98:
	s_or_b64 exec, exec, s[10:11]
.LBB568_99:
	s_and_b64 s[10:11], s[18:19], exec
.LBB568_100:
	s_or_b64 exec, exec, s[14:15]
	v_cmp_gt_u32_e32 vcc, s3, v29
	s_and_saveexec_b64 s[14:15], vcc
	s_cbranch_execz .LBB568_111
; %bb.101:
	s_and_b64 vcc, exec, s[4:5]
	s_mov_b64 s[18:19], 0
	s_cbranch_vccnz .LBB568_110
; %bb.102:
	s_waitcnt lgkmcnt(0)
	v_mul_lo_u32 v18, v3, s26
	v_mul_lo_u32 v19, v2, s27
	v_mad_u64_u32 v[16:17], s[12:13], v2, s26, 0
	v_add3_u32 v17, v17, v19, v18
	v_mul_lo_u32 v18, v5, s26
	v_mul_lo_u32 v19, v4, s27
	v_mad_u64_u32 v[20:21], s[12:13], v4, s26, 0
	v_add3_u32 v21, v21, v19, v18
	v_lshl_add_u64 v[18:19], v[16:17], 3, s[28:29]
	v_lshl_add_u64 v[16:17], v[20:21], 3, s[28:29]
	global_load_dwordx2 v[20:21], v[18:19], off
	global_load_dwordx2 v[22:23], v[16:17], off
	s_mov_b64 s[18:19], -1
	s_waitcnt vmcnt(0)
	v_cmp_eq_u64_e32 vcc, v[20:21], v[22:23]
	s_and_saveexec_b64 s[12:13], vcc
	s_cbranch_execz .LBB568_109
; %bb.103:
	s_add_u32 s18, s26, -1
	v_lshl_add_u64 v[16:17], v[16:17], 0, 8
	v_lshl_add_u64 v[18:19], v[18:19], 0, 8
	s_addc_u32 s19, s27, -1
	s_mov_b64 s[36:37], 0
	s_mov_b64 s[40:41], 0
                                        ; implicit-def: $sgpr38_sgpr39
	s_branch .LBB568_106
.LBB568_104:                            ;   in Loop: Header=BB568_106 Depth=1
	global_load_dwordx2 v[20:21], v[18:19], off
	global_load_dwordx2 v[22:23], v[16:17], off
	s_add_u32 s40, s40, 1
	s_addc_u32 s41, s41, 0
	s_andn2_b64 s[38:39], s[38:39], exec
	v_lshl_add_u64 v[16:17], v[16:17], 0, 8
	v_lshl_add_u64 v[18:19], v[18:19], 0, 8
	s_waitcnt vmcnt(0)
	v_cmp_ne_u64_e32 vcc, v[20:21], v[22:23]
	s_and_b64 s[42:43], vcc, exec
	s_or_b64 s[38:39], s[38:39], s[42:43]
.LBB568_105:                            ;   in Loop: Header=BB568_106 Depth=1
	s_and_b64 s[42:43], exec, s[38:39]
	s_or_b64 s[36:37], s[42:43], s[36:37]
	v_mov_b64_e32 v[20:21], s[40:41]
	s_andn2_b64 exec, exec, s[36:37]
	s_cbranch_execz .LBB568_108
.LBB568_106:                            ; =>This Inner Loop Header: Depth=1
	s_or_b64 s[38:39], s[38:39], exec
	s_cmp_eq_u64 s[18:19], s[40:41]
	s_cbranch_scc0 .LBB568_104
; %bb.107:                              ;   in Loop: Header=BB568_106 Depth=1
                                        ; implicit-def: $vgpr16_vgpr17
                                        ; implicit-def: $vgpr18_vgpr19
	s_mov_b64 s[40:41], s[26:27]
	s_branch .LBB568_105
.LBB568_108:
	s_or_b64 exec, exec, s[36:37]
	v_cmp_gt_i64_e32 vcc, s[26:27], v[20:21]
	s_orn2_b64 s[18:19], vcc, exec
.LBB568_109:
	s_or_b64 exec, exec, s[12:13]
.LBB568_110:
	s_and_b64 s[12:13], s[18:19], exec
.LBB568_111:
	s_or_b64 exec, exec, s[14:15]
	v_cmp_gt_u32_e32 vcc, s3, v26
	s_mov_b64 s[18:19], 0
	s_mov_b64 s[14:15], 0
	s_and_saveexec_b64 s[36:37], vcc
	s_cbranch_execz .LBB568_122
; %bb.112:
	s_and_b64 vcc, exec, s[4:5]
	s_mov_b64 s[38:39], 0
	s_cbranch_vccnz .LBB568_121
; %bb.113:
	s_waitcnt lgkmcnt(0)
	v_mul_lo_u32 v18, v9, s26
	v_mul_lo_u32 v19, v8, s27
	v_mad_u64_u32 v[16:17], s[14:15], v8, s26, 0
	v_add3_u32 v17, v17, v19, v18
	v_mul_lo_u32 v18, v3, s26
	v_mul_lo_u32 v19, v2, s27
	v_mad_u64_u32 v[20:21], s[14:15], v2, s26, 0
	v_add3_u32 v21, v21, v19, v18
	v_lshl_add_u64 v[18:19], v[16:17], 3, s[28:29]
	v_lshl_add_u64 v[16:17], v[20:21], 3, s[28:29]
	global_load_dwordx2 v[20:21], v[18:19], off
	global_load_dwordx2 v[22:23], v[16:17], off
	s_mov_b64 s[38:39], -1
	s_waitcnt vmcnt(0)
	v_cmp_eq_u64_e32 vcc, v[20:21], v[22:23]
	s_and_saveexec_b64 s[14:15], vcc
	s_cbranch_execz .LBB568_120
; %bb.114:
	s_add_u32 s38, s26, -1
	v_lshl_add_u64 v[16:17], v[16:17], 0, 8
	v_lshl_add_u64 v[18:19], v[18:19], 0, 8
	s_addc_u32 s39, s27, -1
	s_mov_b64 s[40:41], 0
	s_mov_b64 s[44:45], 0
                                        ; implicit-def: $sgpr42_sgpr43
	s_branch .LBB568_117
.LBB568_115:                            ;   in Loop: Header=BB568_117 Depth=1
	global_load_dwordx2 v[20:21], v[18:19], off
	global_load_dwordx2 v[22:23], v[16:17], off
	s_add_u32 s44, s44, 1
	s_addc_u32 s45, s45, 0
	s_andn2_b64 s[42:43], s[42:43], exec
	v_lshl_add_u64 v[16:17], v[16:17], 0, 8
	v_lshl_add_u64 v[18:19], v[18:19], 0, 8
	s_waitcnt vmcnt(0)
	v_cmp_ne_u64_e32 vcc, v[20:21], v[22:23]
	s_and_b64 s[46:47], vcc, exec
	s_or_b64 s[42:43], s[42:43], s[46:47]
.LBB568_116:                            ;   in Loop: Header=BB568_117 Depth=1
	s_and_b64 s[46:47], exec, s[42:43]
	s_or_b64 s[40:41], s[46:47], s[40:41]
	v_mov_b64_e32 v[20:21], s[44:45]
	s_andn2_b64 exec, exec, s[40:41]
	s_cbranch_execz .LBB568_119
.LBB568_117:                            ; =>This Inner Loop Header: Depth=1
	s_or_b64 s[42:43], s[42:43], exec
	s_cmp_eq_u64 s[38:39], s[44:45]
	s_cbranch_scc0 .LBB568_115
; %bb.118:                              ;   in Loop: Header=BB568_117 Depth=1
                                        ; implicit-def: $vgpr16_vgpr17
                                        ; implicit-def: $vgpr18_vgpr19
	s_mov_b64 s[44:45], s[26:27]
	s_branch .LBB568_116
.LBB568_119:
	s_or_b64 exec, exec, s[40:41]
	v_cmp_gt_i64_e32 vcc, s[26:27], v[20:21]
	s_orn2_b64 s[38:39], vcc, exec
.LBB568_120:
	s_or_b64 exec, exec, s[14:15]
.LBB568_121:
	s_and_b64 s[14:15], s[38:39], exec
.LBB568_122:
	s_or_b64 exec, exec, s[36:37]
	v_cmp_gt_u32_e32 vcc, s3, v28
	s_and_saveexec_b64 s[36:37], vcc
	s_cbranch_execz .LBB568_133
; %bb.123:
	s_and_b64 vcc, exec, s[4:5]
	s_mov_b64 s[38:39], 0
	s_cbranch_vccnz .LBB568_132
; %bb.124:
	s_waitcnt lgkmcnt(0)
	v_mul_lo_u32 v18, v7, s26
	v_mul_lo_u32 v19, v6, s27
	v_mad_u64_u32 v[16:17], s[18:19], v6, s26, 0
	v_add3_u32 v17, v17, v19, v18
	v_mul_lo_u32 v18, v9, s26
	v_mul_lo_u32 v19, v8, s27
	v_mad_u64_u32 v[20:21], s[18:19], v8, s26, 0
	v_add3_u32 v21, v21, v19, v18
	v_lshl_add_u64 v[18:19], v[16:17], 3, s[28:29]
	v_lshl_add_u64 v[16:17], v[20:21], 3, s[28:29]
	global_load_dwordx2 v[20:21], v[18:19], off
	global_load_dwordx2 v[22:23], v[16:17], off
	s_mov_b64 s[38:39], -1
	s_waitcnt vmcnt(0)
	v_cmp_eq_u64_e32 vcc, v[20:21], v[22:23]
	s_and_saveexec_b64 s[18:19], vcc
	s_cbranch_execz .LBB568_131
; %bb.125:
	s_add_u32 s38, s26, -1
	v_lshl_add_u64 v[16:17], v[16:17], 0, 8
	v_lshl_add_u64 v[18:19], v[18:19], 0, 8
	s_addc_u32 s39, s27, -1
	s_mov_b64 s[40:41], 0
	s_mov_b64 s[44:45], 0
                                        ; implicit-def: $sgpr42_sgpr43
	s_branch .LBB568_128
.LBB568_126:                            ;   in Loop: Header=BB568_128 Depth=1
	global_load_dwordx2 v[20:21], v[18:19], off
	global_load_dwordx2 v[22:23], v[16:17], off
	s_add_u32 s44, s44, 1
	s_addc_u32 s45, s45, 0
	s_andn2_b64 s[42:43], s[42:43], exec
	v_lshl_add_u64 v[16:17], v[16:17], 0, 8
	v_lshl_add_u64 v[18:19], v[18:19], 0, 8
	s_waitcnt vmcnt(0)
	v_cmp_ne_u64_e32 vcc, v[20:21], v[22:23]
	s_and_b64 s[46:47], vcc, exec
	s_or_b64 s[42:43], s[42:43], s[46:47]
.LBB568_127:                            ;   in Loop: Header=BB568_128 Depth=1
	s_and_b64 s[46:47], exec, s[42:43]
	s_or_b64 s[40:41], s[46:47], s[40:41]
	v_mov_b64_e32 v[20:21], s[44:45]
	s_andn2_b64 exec, exec, s[40:41]
	s_cbranch_execz .LBB568_130
.LBB568_128:                            ; =>This Inner Loop Header: Depth=1
	s_or_b64 s[42:43], s[42:43], exec
	s_cmp_eq_u64 s[38:39], s[44:45]
	s_cbranch_scc0 .LBB568_126
; %bb.129:                              ;   in Loop: Header=BB568_128 Depth=1
                                        ; implicit-def: $vgpr16_vgpr17
                                        ; implicit-def: $vgpr18_vgpr19
	s_mov_b64 s[44:45], s[26:27]
	s_branch .LBB568_127
.LBB568_130:
	s_or_b64 exec, exec, s[40:41]
	v_cmp_gt_i64_e32 vcc, s[26:27], v[20:21]
	s_orn2_b64 s[38:39], vcc, exec
.LBB568_131:
	s_or_b64 exec, exec, s[18:19]
.LBB568_132:
	s_and_b64 s[18:19], s[38:39], exec
.LBB568_133:
	s_or_b64 exec, exec, s[36:37]
	v_cmp_gt_u32_e32 vcc, s3, v24
	s_mov_b64 s[36:37], 0
	s_mov_b64 s[38:39], 0
	s_and_saveexec_b64 s[40:41], vcc
	s_cbranch_execz .LBB568_144
; %bb.134:
	s_and_b64 vcc, exec, s[4:5]
	s_mov_b64 s[42:43], 0
	s_cbranch_vccnz .LBB568_143
; %bb.135:
	s_waitcnt lgkmcnt(0)
	v_mul_lo_u32 v18, v13, s26
	v_mul_lo_u32 v19, v12, s27
	v_mad_u64_u32 v[16:17], s[38:39], v12, s26, 0
	v_add3_u32 v17, v17, v19, v18
	v_mul_lo_u32 v18, v7, s26
	v_mul_lo_u32 v19, v6, s27
	v_mad_u64_u32 v[20:21], s[38:39], v6, s26, 0
	v_add3_u32 v21, v21, v19, v18
	v_lshl_add_u64 v[18:19], v[16:17], 3, s[28:29]
	v_lshl_add_u64 v[16:17], v[20:21], 3, s[28:29]
	global_load_dwordx2 v[20:21], v[18:19], off
	global_load_dwordx2 v[22:23], v[16:17], off
	s_mov_b64 s[42:43], -1
	s_waitcnt vmcnt(0)
	v_cmp_eq_u64_e32 vcc, v[20:21], v[22:23]
	s_and_saveexec_b64 s[38:39], vcc
	s_cbranch_execz .LBB568_142
; %bb.136:
	s_add_u32 s42, s26, -1
	v_lshl_add_u64 v[16:17], v[16:17], 0, 8
	v_lshl_add_u64 v[18:19], v[18:19], 0, 8
	s_addc_u32 s43, s27, -1
	s_mov_b64 s[44:45], 0
	s_mov_b64 s[48:49], 0
                                        ; implicit-def: $sgpr46_sgpr47
	s_branch .LBB568_139
.LBB568_137:                            ;   in Loop: Header=BB568_139 Depth=1
	global_load_dwordx2 v[20:21], v[18:19], off
	global_load_dwordx2 v[22:23], v[16:17], off
	s_add_u32 s48, s48, 1
	s_addc_u32 s49, s49, 0
	s_andn2_b64 s[46:47], s[46:47], exec
	v_lshl_add_u64 v[16:17], v[16:17], 0, 8
	v_lshl_add_u64 v[18:19], v[18:19], 0, 8
	s_waitcnt vmcnt(0)
	v_cmp_ne_u64_e32 vcc, v[20:21], v[22:23]
	s_and_b64 s[50:51], vcc, exec
	s_or_b64 s[46:47], s[46:47], s[50:51]
.LBB568_138:                            ;   in Loop: Header=BB568_139 Depth=1
	s_and_b64 s[50:51], exec, s[46:47]
	s_or_b64 s[44:45], s[50:51], s[44:45]
	v_mov_b64_e32 v[20:21], s[48:49]
	s_andn2_b64 exec, exec, s[44:45]
	s_cbranch_execz .LBB568_141
.LBB568_139:                            ; =>This Inner Loop Header: Depth=1
	s_or_b64 s[46:47], s[46:47], exec
	s_cmp_eq_u64 s[42:43], s[48:49]
	s_cbranch_scc0 .LBB568_137
; %bb.140:                              ;   in Loop: Header=BB568_139 Depth=1
                                        ; implicit-def: $vgpr16_vgpr17
                                        ; implicit-def: $vgpr18_vgpr19
	s_mov_b64 s[48:49], s[26:27]
	s_branch .LBB568_138
.LBB568_141:
	s_or_b64 exec, exec, s[44:45]
	v_cmp_gt_i64_e32 vcc, s[26:27], v[20:21]
	s_orn2_b64 s[42:43], vcc, exec
.LBB568_142:
	s_or_b64 exec, exec, s[38:39]
.LBB568_143:
	s_and_b64 s[38:39], s[42:43], exec
.LBB568_144:
	s_or_b64 exec, exec, s[40:41]
	v_cmp_gt_u32_e32 vcc, s3, v25
	s_and_saveexec_b64 s[40:41], vcc
	s_cbranch_execz .LBB568_155
; %bb.145:
	s_and_b64 vcc, exec, s[4:5]
	s_mov_b64 s[42:43], 0
	s_cbranch_vccnz .LBB568_154
; %bb.146:
	s_waitcnt lgkmcnt(0)
	v_mul_lo_u32 v18, v11, s26
	v_mul_lo_u32 v19, v10, s27
	v_mad_u64_u32 v[16:17], s[36:37], v10, s26, 0
	v_add3_u32 v17, v17, v19, v18
	v_mul_lo_u32 v18, v13, s26
	v_mul_lo_u32 v19, v12, s27
	v_mad_u64_u32 v[20:21], s[36:37], v12, s26, 0
	v_add3_u32 v21, v21, v19, v18
	v_lshl_add_u64 v[18:19], v[16:17], 3, s[28:29]
	v_lshl_add_u64 v[16:17], v[20:21], 3, s[28:29]
	global_load_dwordx2 v[20:21], v[18:19], off
	global_load_dwordx2 v[22:23], v[16:17], off
	s_mov_b64 s[42:43], -1
	s_waitcnt vmcnt(0)
	v_cmp_eq_u64_e32 vcc, v[20:21], v[22:23]
	s_and_saveexec_b64 s[36:37], vcc
	s_cbranch_execz .LBB568_153
; %bb.147:
	s_add_u32 s42, s26, -1
	v_lshl_add_u64 v[16:17], v[16:17], 0, 8
	v_lshl_add_u64 v[18:19], v[18:19], 0, 8
	s_addc_u32 s43, s27, -1
	s_mov_b64 s[44:45], 0
	s_mov_b64 s[48:49], 0
                                        ; implicit-def: $sgpr46_sgpr47
	s_branch .LBB568_150
.LBB568_148:                            ;   in Loop: Header=BB568_150 Depth=1
	global_load_dwordx2 v[20:21], v[18:19], off
	global_load_dwordx2 v[22:23], v[16:17], off
	s_add_u32 s48, s48, 1
	s_addc_u32 s49, s49, 0
	s_andn2_b64 s[46:47], s[46:47], exec
	v_lshl_add_u64 v[16:17], v[16:17], 0, 8
	v_lshl_add_u64 v[18:19], v[18:19], 0, 8
	s_waitcnt vmcnt(0)
	v_cmp_ne_u64_e32 vcc, v[20:21], v[22:23]
	s_and_b64 s[50:51], vcc, exec
	s_or_b64 s[46:47], s[46:47], s[50:51]
.LBB568_149:                            ;   in Loop: Header=BB568_150 Depth=1
	s_and_b64 s[50:51], exec, s[46:47]
	s_or_b64 s[44:45], s[50:51], s[44:45]
	v_mov_b64_e32 v[20:21], s[48:49]
	s_andn2_b64 exec, exec, s[44:45]
	s_cbranch_execz .LBB568_152
.LBB568_150:                            ; =>This Inner Loop Header: Depth=1
	s_or_b64 s[46:47], s[46:47], exec
	s_cmp_eq_u64 s[42:43], s[48:49]
	s_cbranch_scc0 .LBB568_148
; %bb.151:                              ;   in Loop: Header=BB568_150 Depth=1
                                        ; implicit-def: $vgpr16_vgpr17
                                        ; implicit-def: $vgpr18_vgpr19
	s_mov_b64 s[48:49], s[26:27]
	s_branch .LBB568_149
.LBB568_152:
	s_or_b64 exec, exec, s[44:45]
	v_cmp_gt_i64_e32 vcc, s[26:27], v[20:21]
	s_orn2_b64 s[42:43], vcc, exec
.LBB568_153:
	s_or_b64 exec, exec, s[36:37]
.LBB568_154:
	s_and_b64 s[36:37], s[42:43], exec
.LBB568_155:
	s_or_b64 exec, exec, s[40:41]
	v_cmp_ne_u32_e32 vcc, 0, v0
	s_waitcnt lgkmcnt(0)
	v_mov_b64_e32 v[16:17], s[6:7]
	s_barrier
	s_and_saveexec_b64 s[6:7], vcc
	s_cbranch_execz .LBB568_157
; %bb.156:
	v_add_u32_e32 v16, -8, v31
	ds_read_b64 v[16:17], v16
.LBB568_157:
	s_or_b64 exec, exec, s[6:7]
	v_cndmask_b32_e64 v19, 0, 1, s[18:19]
	v_cndmask_b32_e64 v18, 0, 1, s[38:39]
	;; [unrolled: 1-line block ×3, first 2 shown]
	v_lshlrev_b16_e32 v19, 8, v19
	v_cmp_gt_u32_e32 vcc, s3, v1
	v_lshlrev_b16_e32 v22, 8, v20
	v_or_b32_sdwa v23, v18, v19 dst_sel:WORD_1 dst_unused:UNUSED_PAD src0_sel:DWORD src1_sel:DWORD
	s_mov_b64 s[18:19], 0
	s_and_saveexec_b64 s[6:7], vcc
	s_cbranch_execz .LBB568_168
; %bb.158:
	s_and_b64 vcc, exec, s[4:5]
	s_cbranch_vccnz .LBB568_167
; %bb.159:
	s_waitcnt lgkmcnt(0)
	v_mul_lo_u32 v18, v17, s26
	v_mul_lo_u32 v19, v16, s27
	v_mad_u64_u32 v[16:17], s[4:5], v16, s26, 0
	v_add3_u32 v17, v17, v19, v18
	v_mul_lo_u32 v18, v11, s26
	v_mul_lo_u32 v19, v10, s27
	v_mad_u64_u32 v[20:21], s[4:5], v10, s26, 0
	v_add3_u32 v21, v21, v19, v18
	v_lshl_add_u64 v[18:19], v[16:17], 3, s[28:29]
	v_lshl_add_u64 v[16:17], v[20:21], 3, s[28:29]
	global_load_dwordx2 v[20:21], v[18:19], off
	global_load_dwordx2 v[32:33], v[16:17], off
	s_mov_b64 s[18:19], -1
	s_waitcnt vmcnt(0)
	v_cmp_eq_u64_e32 vcc, v[20:21], v[32:33]
	s_and_saveexec_b64 s[4:5], vcc
	s_cbranch_execz .LBB568_166
; %bb.160:
	s_add_u32 s18, s26, -1
	v_lshl_add_u64 v[16:17], v[16:17], 0, 8
	v_lshl_add_u64 v[18:19], v[18:19], 0, 8
	s_addc_u32 s19, s27, -1
	s_mov_b64 s[36:37], 0
	s_mov_b64 s[40:41], 0
                                        ; implicit-def: $sgpr38_sgpr39
	s_branch .LBB568_163
.LBB568_161:                            ;   in Loop: Header=BB568_163 Depth=1
	global_load_dwordx2 v[20:21], v[18:19], off
	global_load_dwordx2 v[32:33], v[16:17], off
	s_add_u32 s40, s40, 1
	s_addc_u32 s41, s41, 0
	s_andn2_b64 s[38:39], s[38:39], exec
	v_lshl_add_u64 v[16:17], v[16:17], 0, 8
	v_lshl_add_u64 v[18:19], v[18:19], 0, 8
	s_waitcnt vmcnt(0)
	v_cmp_ne_u64_e32 vcc, v[20:21], v[32:33]
	s_and_b64 s[42:43], vcc, exec
	s_or_b64 s[38:39], s[38:39], s[42:43]
.LBB568_162:                            ;   in Loop: Header=BB568_163 Depth=1
	s_and_b64 s[42:43], exec, s[38:39]
	s_or_b64 s[36:37], s[42:43], s[36:37]
	v_mov_b64_e32 v[20:21], s[40:41]
	s_andn2_b64 exec, exec, s[36:37]
	s_cbranch_execz .LBB568_165
.LBB568_163:                            ; =>This Inner Loop Header: Depth=1
	s_or_b64 s[38:39], s[38:39], exec
	s_cmp_eq_u64 s[18:19], s[40:41]
	s_cbranch_scc0 .LBB568_161
; %bb.164:                              ;   in Loop: Header=BB568_163 Depth=1
                                        ; implicit-def: $vgpr16_vgpr17
                                        ; implicit-def: $vgpr18_vgpr19
	s_mov_b64 s[40:41], s[26:27]
	s_branch .LBB568_162
.LBB568_165:
	s_or_b64 exec, exec, s[36:37]
	v_cmp_gt_i64_e32 vcc, s[26:27], v[20:21]
	s_orn2_b64 s[18:19], vcc, exec
.LBB568_166:
	s_or_b64 exec, exec, s[4:5]
.LBB568_167:
	s_and_b64 s[18:19], s[18:19], exec
.LBB568_168:
	s_or_b64 exec, exec, s[6:7]
	v_cndmask_b32_e64 v32, 0, 1, s[14:15]
	v_cndmask_b32_e64 v33, 0, 1, s[12:13]
	;; [unrolled: 1-line block ×3, first 2 shown]
	v_or_b32_e32 v20, v22, v23
.LBB568_169:
	s_mov_b64 s[10:11], -1
	s_cbranch_execnz .LBB568_28
.LBB568_170:
	s_movk_i32 s4, 0xffd0
	v_mad_i32_i24 v30, v0, s4, v30
	s_mov_b64 s[12:13], 0
	s_waitcnt lgkmcnt(0)
	v_cmp_gt_i64_e64 s[6:7], s[26:27], 0
	s_and_b64 vcc, exec, s[34:35]
	ds_write_b64 v30, v[14:15]
	s_cbranch_vccz .LBB568_178
; %bb.171:
	v_mul_lo_u32 v18, v5, s26
	v_mul_lo_u32 v19, v4, s27
	v_mad_u64_u32 v[16:17], s[4:5], v4, s26, 0
	v_add3_u32 v17, v17, v19, v18
	v_cndmask_b32_e64 v18, 0, 1, s[6:7]
	v_cmp_ne_u32_e64 s[4:5], 1, v18
	s_andn2_b64 vcc, exec, s[6:7]
	v_lshl_add_u64 v[16:17], v[16:17], 3, s[28:29]
	s_cbranch_vccnz .LBB568_181
; %bb.172:
	v_mul_lo_u32 v20, v15, s26
	v_mul_lo_u32 v21, v14, s27
	v_mad_u64_u32 v[18:19], s[12:13], v14, s26, 0
	v_add3_u32 v19, v19, v21, v20
	v_lshl_add_u64 v[18:19], v[18:19], 3, s[28:29]
	global_load_dwordx2 v[20:21], v[16:17], off
	global_load_dwordx2 v[22:23], v[18:19], off
	s_mov_b64 s[12:13], -1
	s_waitcnt vmcnt(0)
	v_cmp_eq_u64_e32 vcc, v[20:21], v[22:23]
	s_and_saveexec_b64 s[14:15], vcc
	s_cbranch_execz .LBB568_180
; %bb.173:
	s_add_u32 s12, s26, -1
	v_lshl_add_u64 v[18:19], v[18:19], 0, 8
	v_lshl_add_u64 v[20:21], v[16:17], 0, 8
	s_addc_u32 s13, s27, -1
	s_mov_b64 s[18:19], 0
	s_mov_b64 s[38:39], 0
                                        ; implicit-def: $sgpr36_sgpr37
	s_branch .LBB568_176
.LBB568_174:                            ;   in Loop: Header=BB568_176 Depth=1
	global_load_dwordx2 v[22:23], v[20:21], off
	global_load_dwordx2 v[32:33], v[18:19], off
	s_add_u32 s38, s38, 1
	s_addc_u32 s39, s39, 0
	s_andn2_b64 s[36:37], s[36:37], exec
	v_lshl_add_u64 v[18:19], v[18:19], 0, 8
	v_lshl_add_u64 v[20:21], v[20:21], 0, 8
	s_waitcnt vmcnt(0)
	v_cmp_ne_u64_e32 vcc, v[22:23], v[32:33]
	s_and_b64 s[40:41], vcc, exec
	s_or_b64 s[36:37], s[36:37], s[40:41]
.LBB568_175:                            ;   in Loop: Header=BB568_176 Depth=1
	s_and_b64 s[40:41], exec, s[36:37]
	s_or_b64 s[18:19], s[40:41], s[18:19]
	v_mov_b64_e32 v[22:23], s[38:39]
	s_andn2_b64 exec, exec, s[18:19]
	s_cbranch_execz .LBB568_179
.LBB568_176:                            ; =>This Inner Loop Header: Depth=1
	s_or_b64 s[36:37], s[36:37], exec
	s_cmp_eq_u64 s[12:13], s[38:39]
	s_cbranch_scc0 .LBB568_174
; %bb.177:                              ;   in Loop: Header=BB568_176 Depth=1
                                        ; implicit-def: $vgpr18_vgpr19
                                        ; implicit-def: $vgpr20_vgpr21
	s_mov_b64 s[38:39], s[26:27]
	s_branch .LBB568_175
.LBB568_178:
                                        ; implicit-def: $sgpr18_sgpr19
                                        ; implicit-def: $vgpr34
                                        ; implicit-def: $vgpr33
                                        ; implicit-def: $vgpr32
                                        ; implicit-def: $vgpr20
                                        ; implicit-def: $vgpr16_vgpr17
	s_cbranch_execnz .LBB568_238
	s_branch .LBB568_318
.LBB568_179:
	s_or_b64 exec, exec, s[18:19]
	v_cmp_gt_i64_e32 vcc, s[26:27], v[22:23]
	s_orn2_b64 s[12:13], vcc, exec
.LBB568_180:
	s_or_b64 exec, exec, s[14:15]
.LBB568_181:
	v_mul_lo_u32 v20, v3, s26
	v_mul_lo_u32 v21, v2, s27
	v_mad_u64_u32 v[18:19], s[14:15], v2, s26, 0
	v_add3_u32 v19, v19, v21, v20
	s_mov_b64 s[14:15], 0
	s_and_b64 vcc, exec, s[4:5]
	v_lshl_add_u64 v[18:19], v[18:19], 3, s[28:29]
	s_mov_b64 s[18:19], 0
	s_cbranch_vccnz .LBB568_190
; %bb.182:
	global_load_dwordx2 v[20:21], v[18:19], off
	global_load_dwordx2 v[22:23], v[16:17], off
	s_mov_b64 s[18:19], -1
	s_waitcnt vmcnt(0)
	v_cmp_eq_u64_e32 vcc, v[20:21], v[22:23]
	s_and_saveexec_b64 s[36:37], vcc
	s_cbranch_execz .LBB568_189
; %bb.183:
	s_add_u32 s18, s26, -1
	v_lshl_add_u64 v[16:17], v[16:17], 0, 8
	v_lshl_add_u64 v[20:21], v[18:19], 0, 8
	s_addc_u32 s19, s27, -1
	s_mov_b64 s[38:39], 0
	s_mov_b64 s[42:43], 0
                                        ; implicit-def: $sgpr40_sgpr41
	s_branch .LBB568_186
.LBB568_184:                            ;   in Loop: Header=BB568_186 Depth=1
	global_load_dwordx2 v[22:23], v[20:21], off
	global_load_dwordx2 v[32:33], v[16:17], off
	s_add_u32 s42, s42, 1
	s_addc_u32 s43, s43, 0
	s_andn2_b64 s[40:41], s[40:41], exec
	v_lshl_add_u64 v[16:17], v[16:17], 0, 8
	v_lshl_add_u64 v[20:21], v[20:21], 0, 8
	s_waitcnt vmcnt(0)
	v_cmp_ne_u64_e32 vcc, v[22:23], v[32:33]
	s_and_b64 s[44:45], vcc, exec
	s_or_b64 s[40:41], s[40:41], s[44:45]
.LBB568_185:                            ;   in Loop: Header=BB568_186 Depth=1
	s_and_b64 s[44:45], exec, s[40:41]
	s_or_b64 s[38:39], s[44:45], s[38:39]
	v_mov_b64_e32 v[22:23], s[42:43]
	s_andn2_b64 exec, exec, s[38:39]
	s_cbranch_execz .LBB568_188
.LBB568_186:                            ; =>This Inner Loop Header: Depth=1
	s_or_b64 s[40:41], s[40:41], exec
	s_cmp_eq_u64 s[18:19], s[42:43]
	s_cbranch_scc0 .LBB568_184
; %bb.187:                              ;   in Loop: Header=BB568_186 Depth=1
                                        ; implicit-def: $vgpr16_vgpr17
                                        ; implicit-def: $vgpr20_vgpr21
	s_mov_b64 s[42:43], s[26:27]
	s_branch .LBB568_185
.LBB568_188:
	s_or_b64 exec, exec, s[38:39]
	v_cmp_gt_i64_e32 vcc, s[26:27], v[22:23]
	s_orn2_b64 s[18:19], vcc, exec
.LBB568_189:
	s_or_b64 exec, exec, s[36:37]
.LBB568_190:
	v_mul_lo_u32 v20, v9, s26
	v_mul_lo_u32 v21, v8, s27
	v_mad_u64_u32 v[16:17], s[36:37], v8, s26, 0
	v_add3_u32 v17, v17, v21, v20
	s_and_b64 vcc, exec, s[4:5]
	v_lshl_add_u64 v[16:17], v[16:17], 3, s[28:29]
	s_cbranch_vccnz .LBB568_199
; %bb.191:
	global_load_dwordx2 v[20:21], v[16:17], off
	global_load_dwordx2 v[22:23], v[18:19], off
	s_mov_b64 s[14:15], -1
	s_waitcnt vmcnt(0)
	v_cmp_eq_u64_e32 vcc, v[20:21], v[22:23]
	s_and_saveexec_b64 s[36:37], vcc
	s_cbranch_execz .LBB568_198
; %bb.192:
	s_add_u32 s14, s26, -1
	v_lshl_add_u64 v[18:19], v[18:19], 0, 8
	v_lshl_add_u64 v[20:21], v[16:17], 0, 8
	s_addc_u32 s15, s27, -1
	s_mov_b64 s[38:39], 0
	s_mov_b64 s[42:43], 0
                                        ; implicit-def: $sgpr40_sgpr41
	s_branch .LBB568_195
.LBB568_193:                            ;   in Loop: Header=BB568_195 Depth=1
	global_load_dwordx2 v[22:23], v[20:21], off
	global_load_dwordx2 v[32:33], v[18:19], off
	s_add_u32 s42, s42, 1
	s_addc_u32 s43, s43, 0
	s_andn2_b64 s[40:41], s[40:41], exec
	v_lshl_add_u64 v[18:19], v[18:19], 0, 8
	v_lshl_add_u64 v[20:21], v[20:21], 0, 8
	s_waitcnt vmcnt(0)
	v_cmp_ne_u64_e32 vcc, v[22:23], v[32:33]
	s_and_b64 s[44:45], vcc, exec
	s_or_b64 s[40:41], s[40:41], s[44:45]
.LBB568_194:                            ;   in Loop: Header=BB568_195 Depth=1
	s_and_b64 s[44:45], exec, s[40:41]
	s_or_b64 s[38:39], s[44:45], s[38:39]
	v_mov_b64_e32 v[22:23], s[42:43]
	s_andn2_b64 exec, exec, s[38:39]
	s_cbranch_execz .LBB568_197
.LBB568_195:                            ; =>This Inner Loop Header: Depth=1
	s_or_b64 s[40:41], s[40:41], exec
	s_cmp_eq_u64 s[14:15], s[42:43]
	s_cbranch_scc0 .LBB568_193
; %bb.196:                              ;   in Loop: Header=BB568_195 Depth=1
                                        ; implicit-def: $vgpr18_vgpr19
                                        ; implicit-def: $vgpr20_vgpr21
	s_mov_b64 s[42:43], s[26:27]
	s_branch .LBB568_194
.LBB568_197:
	s_or_b64 exec, exec, s[38:39]
	v_cmp_gt_i64_e32 vcc, s[26:27], v[22:23]
	s_orn2_b64 s[14:15], vcc, exec
.LBB568_198:
	s_or_b64 exec, exec, s[36:37]
.LBB568_199:
	v_mul_lo_u32 v20, v7, s26
	v_mul_lo_u32 v21, v6, s27
	v_mad_u64_u32 v[18:19], s[36:37], v6, s26, 0
	v_add3_u32 v19, v19, v21, v20
	s_mov_b64 s[36:37], 0
	s_and_b64 vcc, exec, s[4:5]
	v_lshl_add_u64 v[18:19], v[18:19], 3, s[28:29]
	s_mov_b64 s[38:39], 0
	s_cbranch_vccnz .LBB568_208
; %bb.200:
	global_load_dwordx2 v[20:21], v[18:19], off
	global_load_dwordx2 v[22:23], v[16:17], off
	s_mov_b64 s[38:39], -1
	s_waitcnt vmcnt(0)
	v_cmp_eq_u64_e32 vcc, v[20:21], v[22:23]
	s_and_saveexec_b64 s[40:41], vcc
	s_cbranch_execz .LBB568_207
; %bb.201:
	s_add_u32 s38, s26, -1
	v_lshl_add_u64 v[16:17], v[16:17], 0, 8
	v_lshl_add_u64 v[20:21], v[18:19], 0, 8
	s_addc_u32 s39, s27, -1
	s_mov_b64 s[42:43], 0
	s_mov_b64 s[46:47], 0
                                        ; implicit-def: $sgpr44_sgpr45
	s_branch .LBB568_204
.LBB568_202:                            ;   in Loop: Header=BB568_204 Depth=1
	global_load_dwordx2 v[22:23], v[20:21], off
	global_load_dwordx2 v[32:33], v[16:17], off
	s_add_u32 s46, s46, 1
	s_addc_u32 s47, s47, 0
	s_andn2_b64 s[44:45], s[44:45], exec
	v_lshl_add_u64 v[16:17], v[16:17], 0, 8
	v_lshl_add_u64 v[20:21], v[20:21], 0, 8
	s_waitcnt vmcnt(0)
	v_cmp_ne_u64_e32 vcc, v[22:23], v[32:33]
	s_and_b64 s[48:49], vcc, exec
	s_or_b64 s[44:45], s[44:45], s[48:49]
.LBB568_203:                            ;   in Loop: Header=BB568_204 Depth=1
	s_and_b64 s[48:49], exec, s[44:45]
	s_or_b64 s[42:43], s[48:49], s[42:43]
	v_mov_b64_e32 v[22:23], s[46:47]
	s_andn2_b64 exec, exec, s[42:43]
	s_cbranch_execz .LBB568_206
.LBB568_204:                            ; =>This Inner Loop Header: Depth=1
	s_or_b64 s[44:45], s[44:45], exec
	s_cmp_eq_u64 s[38:39], s[46:47]
	s_cbranch_scc0 .LBB568_202
; %bb.205:                              ;   in Loop: Header=BB568_204 Depth=1
                                        ; implicit-def: $vgpr16_vgpr17
                                        ; implicit-def: $vgpr20_vgpr21
	s_mov_b64 s[46:47], s[26:27]
	s_branch .LBB568_203
.LBB568_206:
	s_or_b64 exec, exec, s[42:43]
	v_cmp_gt_i64_e32 vcc, s[26:27], v[22:23]
	s_orn2_b64 s[38:39], vcc, exec
.LBB568_207:
	s_or_b64 exec, exec, s[40:41]
.LBB568_208:
	v_mul_lo_u32 v20, v13, s26
	v_mul_lo_u32 v21, v12, s27
	v_mad_u64_u32 v[16:17], s[40:41], v12, s26, 0
	v_add3_u32 v17, v17, v21, v20
	s_and_b64 vcc, exec, s[4:5]
	v_lshl_add_u64 v[16:17], v[16:17], 3, s[28:29]
	s_cbranch_vccnz .LBB568_217
; %bb.209:
	global_load_dwordx2 v[20:21], v[16:17], off
	global_load_dwordx2 v[22:23], v[18:19], off
	s_mov_b64 s[36:37], -1
	s_waitcnt vmcnt(0)
	v_cmp_eq_u64_e32 vcc, v[20:21], v[22:23]
	s_and_saveexec_b64 s[40:41], vcc
	s_cbranch_execz .LBB568_216
; %bb.210:
	s_add_u32 s36, s26, -1
	v_lshl_add_u64 v[18:19], v[18:19], 0, 8
	v_lshl_add_u64 v[20:21], v[16:17], 0, 8
	s_addc_u32 s37, s27, -1
	s_mov_b64 s[42:43], 0
	s_mov_b64 s[46:47], 0
                                        ; implicit-def: $sgpr44_sgpr45
	s_branch .LBB568_213
.LBB568_211:                            ;   in Loop: Header=BB568_213 Depth=1
	global_load_dwordx2 v[22:23], v[20:21], off
	global_load_dwordx2 v[32:33], v[18:19], off
	s_add_u32 s46, s46, 1
	s_addc_u32 s47, s47, 0
	s_andn2_b64 s[44:45], s[44:45], exec
	v_lshl_add_u64 v[18:19], v[18:19], 0, 8
	v_lshl_add_u64 v[20:21], v[20:21], 0, 8
	s_waitcnt vmcnt(0)
	v_cmp_ne_u64_e32 vcc, v[22:23], v[32:33]
	s_and_b64 s[48:49], vcc, exec
	s_or_b64 s[44:45], s[44:45], s[48:49]
.LBB568_212:                            ;   in Loop: Header=BB568_213 Depth=1
	s_and_b64 s[48:49], exec, s[44:45]
	s_or_b64 s[42:43], s[48:49], s[42:43]
	v_mov_b64_e32 v[22:23], s[46:47]
	s_andn2_b64 exec, exec, s[42:43]
	s_cbranch_execz .LBB568_215
.LBB568_213:                            ; =>This Inner Loop Header: Depth=1
	s_or_b64 s[44:45], s[44:45], exec
	s_cmp_eq_u64 s[36:37], s[46:47]
	s_cbranch_scc0 .LBB568_211
; %bb.214:                              ;   in Loop: Header=BB568_213 Depth=1
                                        ; implicit-def: $vgpr18_vgpr19
                                        ; implicit-def: $vgpr20_vgpr21
	s_mov_b64 s[46:47], s[26:27]
	s_branch .LBB568_212
.LBB568_215:
	s_or_b64 exec, exec, s[42:43]
	v_cmp_gt_i64_e32 vcc, s[26:27], v[22:23]
	s_orn2_b64 s[36:37], vcc, exec
.LBB568_216:
	s_or_b64 exec, exec, s[40:41]
.LBB568_217:
	v_mul_lo_u32 v20, v11, s26
	v_mul_lo_u32 v21, v10, s27
	v_mad_u64_u32 v[18:19], s[40:41], v10, s26, 0
	v_add3_u32 v19, v19, v21, v20
	s_and_b64 vcc, exec, s[4:5]
	s_mov_b64 s[42:43], 0
	s_cbranch_vccnz .LBB568_226
; %bb.218:
	v_lshl_add_u64 v[20:21], v[18:19], 3, s[28:29]
	global_load_dwordx2 v[22:23], v[20:21], off
	global_load_dwordx2 v[32:33], v[16:17], off
	s_mov_b64 s[42:43], -1
	s_waitcnt vmcnt(0)
	v_cmp_eq_u64_e32 vcc, v[22:23], v[32:33]
	s_and_saveexec_b64 s[40:41], vcc
	s_cbranch_execz .LBB568_225
; %bb.219:
	s_add_u32 s42, s26, -1
	v_lshl_add_u64 v[16:17], v[16:17], 0, 8
	v_lshl_add_u64 v[20:21], v[20:21], 0, 8
	s_addc_u32 s43, s27, -1
	s_mov_b64 s[44:45], 0
	s_mov_b64 s[48:49], 0
                                        ; implicit-def: $sgpr46_sgpr47
	s_branch .LBB568_222
.LBB568_220:                            ;   in Loop: Header=BB568_222 Depth=1
	global_load_dwordx2 v[22:23], v[20:21], off
	global_load_dwordx2 v[32:33], v[16:17], off
	s_add_u32 s48, s48, 1
	s_addc_u32 s49, s49, 0
	s_andn2_b64 s[46:47], s[46:47], exec
	v_lshl_add_u64 v[16:17], v[16:17], 0, 8
	v_lshl_add_u64 v[20:21], v[20:21], 0, 8
	s_waitcnt vmcnt(0)
	v_cmp_ne_u64_e32 vcc, v[22:23], v[32:33]
	s_and_b64 s[50:51], vcc, exec
	s_or_b64 s[46:47], s[46:47], s[50:51]
.LBB568_221:                            ;   in Loop: Header=BB568_222 Depth=1
	s_and_b64 s[50:51], exec, s[46:47]
	s_or_b64 s[44:45], s[50:51], s[44:45]
	v_mov_b64_e32 v[22:23], s[48:49]
	s_andn2_b64 exec, exec, s[44:45]
	s_cbranch_execz .LBB568_224
.LBB568_222:                            ; =>This Inner Loop Header: Depth=1
	s_or_b64 s[46:47], s[46:47], exec
	s_cmp_eq_u64 s[42:43], s[48:49]
	s_cbranch_scc0 .LBB568_220
; %bb.223:                              ;   in Loop: Header=BB568_222 Depth=1
                                        ; implicit-def: $vgpr16_vgpr17
                                        ; implicit-def: $vgpr20_vgpr21
	s_mov_b64 s[48:49], s[26:27]
	s_branch .LBB568_221
.LBB568_224:
	s_or_b64 exec, exec, s[44:45]
	v_cmp_gt_i64_e32 vcc, s[26:27], v[22:23]
	s_orn2_b64 s[42:43], vcc, exec
.LBB568_225:
	s_or_b64 exec, exec, s[40:41]
.LBB568_226:
	v_cndmask_b32_e64 v17, 0, 1, s[38:39]
	v_cndmask_b32_e64 v16, 0, 1, s[36:37]
	;; [unrolled: 1-line block ×3, first 2 shown]
	v_lshlrev_b16_e32 v17, 8, v17
	v_cndmask_b32_e64 v32, 0, 1, s[14:15]
	v_cndmask_b32_e64 v20, 0, 1, s[42:43]
	v_or_b32_sdwa v16, v16, v17 dst_sel:WORD_1 dst_unused:UNUSED_PAD src0_sel:DWORD src1_sel:DWORD
	v_lshlrev_b16_e32 v17, 8, v33
	v_lshlrev_b16_e32 v20, 8, v20
	v_or_b32_e32 v17, v32, v17
	v_or_b32_e32 v20, 1, v20
	v_and_b32_e32 v17, 0xffff, v17
	v_cndmask_b32_e64 v34, 0, 1, s[12:13]
	v_or_b32_sdwa v16, v20, v16 dst_sel:DWORD dst_unused:UNUSED_PAD src0_sel:WORD_0 src1_sel:DWORD
	v_lshl_or_b32 v17, v34, 16, v17
	v_cmp_ne_u32_e32 vcc, 0, v0
	s_waitcnt lgkmcnt(0)
	s_barrier
	s_waitcnt lgkmcnt(0)
                                        ; implicit-def: $sgpr18_sgpr19
                                        ; implicit-def: $vgpr20
	s_and_saveexec_b64 s[12:13], vcc
	s_xor_b64 s[12:13], exec, s[12:13]
	s_cbranch_execz .LBB568_237
; %bb.227:
	s_mov_b32 s33, 0x3020104
	s_and_b64 vcc, exec, s[4:5]
	s_mov_b64 s[14:15], 0
	s_cbranch_vccnz .LBB568_236
; %bb.228:
	v_add_u32_e32 v17, -8, v30
	ds_read_b64 v[20:21], v17
	v_lshl_add_u64 v[18:19], v[18:19], 3, s[28:29]
	s_mov_b64 s[14:15], -1
	s_waitcnt lgkmcnt(0)
	v_mul_lo_u32 v17, v21, s26
	v_mul_lo_u32 v22, v20, s27
	v_mad_u64_u32 v[20:21], s[4:5], v20, s26, 0
	v_add3_u32 v21, v21, v22, v17
	v_lshl_add_u64 v[20:21], v[20:21], 3, s[28:29]
	global_load_dwordx2 v[22:23], v[20:21], off
	global_load_dwordx2 v[36:37], v[18:19], off
	s_waitcnt vmcnt(0)
	v_cmp_eq_u64_e32 vcc, v[22:23], v[36:37]
	s_and_saveexec_b64 s[4:5], vcc
	s_cbranch_execz .LBB568_235
; %bb.229:
	s_add_u32 s14, s26, -1
	v_lshl_add_u64 v[18:19], v[18:19], 0, 8
	v_lshl_add_u64 v[20:21], v[20:21], 0, 8
	s_addc_u32 s15, s27, -1
	s_mov_b64 s[18:19], 0
	s_mov_b64 s[38:39], 0
                                        ; implicit-def: $sgpr36_sgpr37
	s_branch .LBB568_232
.LBB568_230:                            ;   in Loop: Header=BB568_232 Depth=1
	global_load_dwordx2 v[22:23], v[20:21], off
	global_load_dwordx2 v[36:37], v[18:19], off
	s_add_u32 s38, s38, 1
	s_addc_u32 s39, s39, 0
	s_andn2_b64 s[36:37], s[36:37], exec
	v_lshl_add_u64 v[18:19], v[18:19], 0, 8
	v_lshl_add_u64 v[20:21], v[20:21], 0, 8
	s_waitcnt vmcnt(0)
	v_cmp_ne_u64_e32 vcc, v[22:23], v[36:37]
	s_and_b64 s[40:41], vcc, exec
	s_or_b64 s[36:37], s[36:37], s[40:41]
.LBB568_231:                            ;   in Loop: Header=BB568_232 Depth=1
	s_and_b64 s[40:41], exec, s[36:37]
	s_or_b64 s[18:19], s[40:41], s[18:19]
	v_mov_b64_e32 v[22:23], s[38:39]
	s_andn2_b64 exec, exec, s[18:19]
	s_cbranch_execz .LBB568_234
.LBB568_232:                            ; =>This Inner Loop Header: Depth=1
	s_or_b64 s[36:37], s[36:37], exec
	s_cmp_eq_u64 s[14:15], s[38:39]
	s_cbranch_scc0 .LBB568_230
; %bb.233:                              ;   in Loop: Header=BB568_232 Depth=1
                                        ; implicit-def: $vgpr18_vgpr19
                                        ; implicit-def: $vgpr20_vgpr21
	s_mov_b64 s[38:39], s[26:27]
	s_branch .LBB568_231
.LBB568_234:
	s_or_b64 exec, exec, s[18:19]
	v_cmp_gt_i64_e32 vcc, s[26:27], v[22:23]
	s_orn2_b64 s[14:15], vcc, exec
.LBB568_235:
	s_or_b64 exec, exec, s[4:5]
.LBB568_236:
	v_perm_b32 v20, v16, v16, s33
	s_and_b64 s[18:19], s[14:15], exec
	s_or_b64 s[10:11], s[10:11], exec
                                        ; implicit-def: $vgpr16_vgpr17
.LBB568_237:
	s_or_b64 exec, exec, s[12:13]
	s_branch .LBB568_318
.LBB568_238:
	v_cmp_gt_u32_e32 vcc, s3, v27
	s_mov_b64 s[12:13], 0
	s_mov_b64 s[4:5], 0
	s_and_saveexec_b64 s[14:15], vcc
	s_cbranch_execz .LBB568_249
; %bb.239:
	s_andn2_b64 vcc, exec, s[6:7]
	s_mov_b64 s[18:19], 0
	s_cbranch_vccnz .LBB568_248
; %bb.240:
	v_mul_lo_u32 v18, v5, s26
	v_mul_lo_u32 v19, v4, s27
	v_mad_u64_u32 v[16:17], s[4:5], v4, s26, 0
	v_add3_u32 v17, v17, v19, v18
	v_mul_lo_u32 v18, v15, s26
	v_mul_lo_u32 v19, v14, s27
	v_mad_u64_u32 v[20:21], s[4:5], v14, s26, 0
	v_add3_u32 v21, v21, v19, v18
	v_lshl_add_u64 v[18:19], v[16:17], 3, s[28:29]
	v_lshl_add_u64 v[16:17], v[20:21], 3, s[28:29]
	global_load_dwordx2 v[20:21], v[18:19], off
	global_load_dwordx2 v[22:23], v[16:17], off
	s_mov_b64 s[18:19], -1
	s_waitcnt vmcnt(0)
	v_cmp_eq_u64_e32 vcc, v[20:21], v[22:23]
	s_and_saveexec_b64 s[4:5], vcc
	s_cbranch_execz .LBB568_247
; %bb.241:
	s_add_u32 s18, s26, -1
	v_lshl_add_u64 v[16:17], v[16:17], 0, 8
	v_lshl_add_u64 v[18:19], v[18:19], 0, 8
	s_addc_u32 s19, s27, -1
	s_mov_b64 s[36:37], 0
	s_mov_b64 s[40:41], 0
                                        ; implicit-def: $sgpr38_sgpr39
	s_branch .LBB568_244
.LBB568_242:                            ;   in Loop: Header=BB568_244 Depth=1
	global_load_dwordx2 v[20:21], v[18:19], off
	global_load_dwordx2 v[22:23], v[16:17], off
	s_add_u32 s40, s40, 1
	s_addc_u32 s41, s41, 0
	s_andn2_b64 s[38:39], s[38:39], exec
	v_lshl_add_u64 v[16:17], v[16:17], 0, 8
	v_lshl_add_u64 v[18:19], v[18:19], 0, 8
	s_waitcnt vmcnt(0)
	v_cmp_ne_u64_e32 vcc, v[20:21], v[22:23]
	s_and_b64 s[42:43], vcc, exec
	s_or_b64 s[38:39], s[38:39], s[42:43]
.LBB568_243:                            ;   in Loop: Header=BB568_244 Depth=1
	s_and_b64 s[42:43], exec, s[38:39]
	s_or_b64 s[36:37], s[42:43], s[36:37]
	v_mov_b64_e32 v[20:21], s[40:41]
	s_andn2_b64 exec, exec, s[36:37]
	s_cbranch_execz .LBB568_246
.LBB568_244:                            ; =>This Inner Loop Header: Depth=1
	s_or_b64 s[38:39], s[38:39], exec
	s_cmp_eq_u64 s[18:19], s[40:41]
	s_cbranch_scc0 .LBB568_242
; %bb.245:                              ;   in Loop: Header=BB568_244 Depth=1
                                        ; implicit-def: $vgpr16_vgpr17
                                        ; implicit-def: $vgpr18_vgpr19
	s_mov_b64 s[40:41], s[26:27]
	s_branch .LBB568_243
.LBB568_246:
	s_or_b64 exec, exec, s[36:37]
	v_cmp_gt_i64_e32 vcc, s[26:27], v[20:21]
	s_orn2_b64 s[18:19], vcc, exec
.LBB568_247:
	s_or_b64 exec, exec, s[4:5]
.LBB568_248:
	s_and_b64 s[4:5], s[18:19], exec
.LBB568_249:
	s_or_b64 exec, exec, s[14:15]
	v_cmp_gt_u32_e32 vcc, s3, v29
	s_and_saveexec_b64 s[14:15], vcc
	s_cbranch_execz .LBB568_260
; %bb.250:
	s_andn2_b64 vcc, exec, s[6:7]
	s_mov_b64 s[18:19], 0
	s_cbranch_vccnz .LBB568_259
; %bb.251:
	v_mul_lo_u32 v18, v3, s26
	v_mul_lo_u32 v19, v2, s27
	v_mad_u64_u32 v[16:17], s[12:13], v2, s26, 0
	v_add3_u32 v17, v17, v19, v18
	v_mul_lo_u32 v18, v5, s26
	v_mul_lo_u32 v19, v4, s27
	v_mad_u64_u32 v[20:21], s[12:13], v4, s26, 0
	v_add3_u32 v21, v21, v19, v18
	v_lshl_add_u64 v[18:19], v[16:17], 3, s[28:29]
	v_lshl_add_u64 v[16:17], v[20:21], 3, s[28:29]
	global_load_dwordx2 v[20:21], v[18:19], off
	global_load_dwordx2 v[22:23], v[16:17], off
	s_mov_b64 s[18:19], -1
	s_waitcnt vmcnt(0)
	v_cmp_eq_u64_e32 vcc, v[20:21], v[22:23]
	s_and_saveexec_b64 s[12:13], vcc
	s_cbranch_execz .LBB568_258
; %bb.252:
	s_add_u32 s18, s26, -1
	v_lshl_add_u64 v[16:17], v[16:17], 0, 8
	v_lshl_add_u64 v[18:19], v[18:19], 0, 8
	s_addc_u32 s19, s27, -1
	s_mov_b64 s[36:37], 0
	s_mov_b64 s[40:41], 0
                                        ; implicit-def: $sgpr38_sgpr39
	s_branch .LBB568_255
.LBB568_253:                            ;   in Loop: Header=BB568_255 Depth=1
	global_load_dwordx2 v[20:21], v[18:19], off
	global_load_dwordx2 v[22:23], v[16:17], off
	s_add_u32 s40, s40, 1
	s_addc_u32 s41, s41, 0
	s_andn2_b64 s[38:39], s[38:39], exec
	v_lshl_add_u64 v[16:17], v[16:17], 0, 8
	v_lshl_add_u64 v[18:19], v[18:19], 0, 8
	s_waitcnt vmcnt(0)
	v_cmp_ne_u64_e32 vcc, v[20:21], v[22:23]
	s_and_b64 s[42:43], vcc, exec
	s_or_b64 s[38:39], s[38:39], s[42:43]
.LBB568_254:                            ;   in Loop: Header=BB568_255 Depth=1
	s_and_b64 s[42:43], exec, s[38:39]
	s_or_b64 s[36:37], s[42:43], s[36:37]
	v_mov_b64_e32 v[20:21], s[40:41]
	s_andn2_b64 exec, exec, s[36:37]
	s_cbranch_execz .LBB568_257
.LBB568_255:                            ; =>This Inner Loop Header: Depth=1
	s_or_b64 s[38:39], s[38:39], exec
	s_cmp_eq_u64 s[18:19], s[40:41]
	s_cbranch_scc0 .LBB568_253
; %bb.256:                              ;   in Loop: Header=BB568_255 Depth=1
                                        ; implicit-def: $vgpr16_vgpr17
                                        ; implicit-def: $vgpr18_vgpr19
	s_mov_b64 s[40:41], s[26:27]
	s_branch .LBB568_254
.LBB568_257:
	s_or_b64 exec, exec, s[36:37]
	v_cmp_gt_i64_e32 vcc, s[26:27], v[20:21]
	s_orn2_b64 s[18:19], vcc, exec
.LBB568_258:
	s_or_b64 exec, exec, s[12:13]
.LBB568_259:
	s_and_b64 s[12:13], s[18:19], exec
.LBB568_260:
	s_or_b64 exec, exec, s[14:15]
	v_cmp_gt_u32_e32 vcc, s3, v26
	s_mov_b64 s[18:19], 0
	s_mov_b64 s[14:15], 0
	s_and_saveexec_b64 s[36:37], vcc
	s_cbranch_execz .LBB568_271
; %bb.261:
	s_andn2_b64 vcc, exec, s[6:7]
	s_mov_b64 s[38:39], 0
	s_cbranch_vccnz .LBB568_270
; %bb.262:
	v_mul_lo_u32 v18, v9, s26
	v_mul_lo_u32 v19, v8, s27
	v_mad_u64_u32 v[16:17], s[14:15], v8, s26, 0
	v_add3_u32 v17, v17, v19, v18
	v_mul_lo_u32 v18, v3, s26
	v_mul_lo_u32 v19, v2, s27
	v_mad_u64_u32 v[20:21], s[14:15], v2, s26, 0
	v_add3_u32 v21, v21, v19, v18
	v_lshl_add_u64 v[18:19], v[16:17], 3, s[28:29]
	v_lshl_add_u64 v[16:17], v[20:21], 3, s[28:29]
	global_load_dwordx2 v[20:21], v[18:19], off
	global_load_dwordx2 v[22:23], v[16:17], off
	s_mov_b64 s[38:39], -1
	s_waitcnt vmcnt(0)
	v_cmp_eq_u64_e32 vcc, v[20:21], v[22:23]
	s_and_saveexec_b64 s[14:15], vcc
	s_cbranch_execz .LBB568_269
; %bb.263:
	s_add_u32 s38, s26, -1
	v_lshl_add_u64 v[16:17], v[16:17], 0, 8
	v_lshl_add_u64 v[18:19], v[18:19], 0, 8
	s_addc_u32 s39, s27, -1
	s_mov_b64 s[40:41], 0
	s_mov_b64 s[44:45], 0
                                        ; implicit-def: $sgpr42_sgpr43
	s_branch .LBB568_266
.LBB568_264:                            ;   in Loop: Header=BB568_266 Depth=1
	global_load_dwordx2 v[20:21], v[18:19], off
	global_load_dwordx2 v[22:23], v[16:17], off
	s_add_u32 s44, s44, 1
	s_addc_u32 s45, s45, 0
	s_andn2_b64 s[42:43], s[42:43], exec
	v_lshl_add_u64 v[16:17], v[16:17], 0, 8
	v_lshl_add_u64 v[18:19], v[18:19], 0, 8
	s_waitcnt vmcnt(0)
	v_cmp_ne_u64_e32 vcc, v[20:21], v[22:23]
	s_and_b64 s[46:47], vcc, exec
	s_or_b64 s[42:43], s[42:43], s[46:47]
.LBB568_265:                            ;   in Loop: Header=BB568_266 Depth=1
	s_and_b64 s[46:47], exec, s[42:43]
	s_or_b64 s[40:41], s[46:47], s[40:41]
	v_mov_b64_e32 v[20:21], s[44:45]
	s_andn2_b64 exec, exec, s[40:41]
	s_cbranch_execz .LBB568_268
.LBB568_266:                            ; =>This Inner Loop Header: Depth=1
	s_or_b64 s[42:43], s[42:43], exec
	s_cmp_eq_u64 s[38:39], s[44:45]
	s_cbranch_scc0 .LBB568_264
; %bb.267:                              ;   in Loop: Header=BB568_266 Depth=1
                                        ; implicit-def: $vgpr16_vgpr17
                                        ; implicit-def: $vgpr18_vgpr19
	s_mov_b64 s[44:45], s[26:27]
	s_branch .LBB568_265
.LBB568_268:
	s_or_b64 exec, exec, s[40:41]
	v_cmp_gt_i64_e32 vcc, s[26:27], v[20:21]
	s_orn2_b64 s[38:39], vcc, exec
.LBB568_269:
	s_or_b64 exec, exec, s[14:15]
.LBB568_270:
	s_and_b64 s[14:15], s[38:39], exec
.LBB568_271:
	s_or_b64 exec, exec, s[36:37]
	v_cmp_gt_u32_e32 vcc, s3, v28
	s_and_saveexec_b64 s[36:37], vcc
	s_cbranch_execz .LBB568_282
; %bb.272:
	s_andn2_b64 vcc, exec, s[6:7]
	s_mov_b64 s[38:39], 0
	s_cbranch_vccnz .LBB568_281
; %bb.273:
	v_mul_lo_u32 v18, v7, s26
	v_mul_lo_u32 v19, v6, s27
	v_mad_u64_u32 v[16:17], s[18:19], v6, s26, 0
	v_add3_u32 v17, v17, v19, v18
	v_mul_lo_u32 v18, v9, s26
	v_mul_lo_u32 v19, v8, s27
	v_mad_u64_u32 v[20:21], s[18:19], v8, s26, 0
	v_add3_u32 v21, v21, v19, v18
	v_lshl_add_u64 v[18:19], v[16:17], 3, s[28:29]
	v_lshl_add_u64 v[16:17], v[20:21], 3, s[28:29]
	global_load_dwordx2 v[20:21], v[18:19], off
	global_load_dwordx2 v[22:23], v[16:17], off
	s_mov_b64 s[38:39], -1
	s_waitcnt vmcnt(0)
	v_cmp_eq_u64_e32 vcc, v[20:21], v[22:23]
	s_and_saveexec_b64 s[18:19], vcc
	s_cbranch_execz .LBB568_280
; %bb.274:
	s_add_u32 s38, s26, -1
	v_lshl_add_u64 v[16:17], v[16:17], 0, 8
	v_lshl_add_u64 v[18:19], v[18:19], 0, 8
	s_addc_u32 s39, s27, -1
	s_mov_b64 s[40:41], 0
	s_mov_b64 s[44:45], 0
                                        ; implicit-def: $sgpr42_sgpr43
	s_branch .LBB568_277
.LBB568_275:                            ;   in Loop: Header=BB568_277 Depth=1
	global_load_dwordx2 v[20:21], v[18:19], off
	global_load_dwordx2 v[22:23], v[16:17], off
	s_add_u32 s44, s44, 1
	s_addc_u32 s45, s45, 0
	s_andn2_b64 s[42:43], s[42:43], exec
	v_lshl_add_u64 v[16:17], v[16:17], 0, 8
	v_lshl_add_u64 v[18:19], v[18:19], 0, 8
	s_waitcnt vmcnt(0)
	v_cmp_ne_u64_e32 vcc, v[20:21], v[22:23]
	s_and_b64 s[46:47], vcc, exec
	s_or_b64 s[42:43], s[42:43], s[46:47]
.LBB568_276:                            ;   in Loop: Header=BB568_277 Depth=1
	s_and_b64 s[46:47], exec, s[42:43]
	s_or_b64 s[40:41], s[46:47], s[40:41]
	v_mov_b64_e32 v[20:21], s[44:45]
	s_andn2_b64 exec, exec, s[40:41]
	s_cbranch_execz .LBB568_279
.LBB568_277:                            ; =>This Inner Loop Header: Depth=1
	s_or_b64 s[42:43], s[42:43], exec
	s_cmp_eq_u64 s[38:39], s[44:45]
	s_cbranch_scc0 .LBB568_275
; %bb.278:                              ;   in Loop: Header=BB568_277 Depth=1
                                        ; implicit-def: $vgpr16_vgpr17
                                        ; implicit-def: $vgpr18_vgpr19
	s_mov_b64 s[44:45], s[26:27]
	s_branch .LBB568_276
.LBB568_279:
	s_or_b64 exec, exec, s[40:41]
	v_cmp_gt_i64_e32 vcc, s[26:27], v[20:21]
	s_orn2_b64 s[38:39], vcc, exec
.LBB568_280:
	s_or_b64 exec, exec, s[18:19]
.LBB568_281:
	s_and_b64 s[18:19], s[38:39], exec
.LBB568_282:
	s_or_b64 exec, exec, s[36:37]
	v_cmp_gt_u32_e32 vcc, s3, v24
	s_mov_b64 s[36:37], 0
	s_mov_b64 s[38:39], 0
	s_and_saveexec_b64 s[40:41], vcc
	s_cbranch_execz .LBB568_293
; %bb.283:
	s_andn2_b64 vcc, exec, s[6:7]
	s_mov_b64 s[42:43], 0
	s_cbranch_vccnz .LBB568_292
; %bb.284:
	v_mul_lo_u32 v18, v13, s26
	v_mul_lo_u32 v19, v12, s27
	v_mad_u64_u32 v[16:17], s[38:39], v12, s26, 0
	v_add3_u32 v17, v17, v19, v18
	v_mul_lo_u32 v18, v7, s26
	v_mul_lo_u32 v19, v6, s27
	v_mad_u64_u32 v[20:21], s[38:39], v6, s26, 0
	v_add3_u32 v21, v21, v19, v18
	v_lshl_add_u64 v[18:19], v[16:17], 3, s[28:29]
	v_lshl_add_u64 v[16:17], v[20:21], 3, s[28:29]
	global_load_dwordx2 v[20:21], v[18:19], off
	global_load_dwordx2 v[22:23], v[16:17], off
	s_mov_b64 s[42:43], -1
	s_waitcnt vmcnt(0)
	v_cmp_eq_u64_e32 vcc, v[20:21], v[22:23]
	s_and_saveexec_b64 s[38:39], vcc
	s_cbranch_execz .LBB568_291
; %bb.285:
	s_add_u32 s42, s26, -1
	v_lshl_add_u64 v[16:17], v[16:17], 0, 8
	v_lshl_add_u64 v[18:19], v[18:19], 0, 8
	s_addc_u32 s43, s27, -1
	s_mov_b64 s[44:45], 0
	s_mov_b64 s[48:49], 0
                                        ; implicit-def: $sgpr46_sgpr47
	s_branch .LBB568_288
.LBB568_286:                            ;   in Loop: Header=BB568_288 Depth=1
	global_load_dwordx2 v[20:21], v[18:19], off
	global_load_dwordx2 v[22:23], v[16:17], off
	s_add_u32 s48, s48, 1
	s_addc_u32 s49, s49, 0
	s_andn2_b64 s[46:47], s[46:47], exec
	v_lshl_add_u64 v[16:17], v[16:17], 0, 8
	v_lshl_add_u64 v[18:19], v[18:19], 0, 8
	s_waitcnt vmcnt(0)
	v_cmp_ne_u64_e32 vcc, v[20:21], v[22:23]
	s_and_b64 s[50:51], vcc, exec
	s_or_b64 s[46:47], s[46:47], s[50:51]
.LBB568_287:                            ;   in Loop: Header=BB568_288 Depth=1
	s_and_b64 s[50:51], exec, s[46:47]
	s_or_b64 s[44:45], s[50:51], s[44:45]
	v_mov_b64_e32 v[20:21], s[48:49]
	s_andn2_b64 exec, exec, s[44:45]
	s_cbranch_execz .LBB568_290
.LBB568_288:                            ; =>This Inner Loop Header: Depth=1
	s_or_b64 s[46:47], s[46:47], exec
	s_cmp_eq_u64 s[42:43], s[48:49]
	s_cbranch_scc0 .LBB568_286
; %bb.289:                              ;   in Loop: Header=BB568_288 Depth=1
                                        ; implicit-def: $vgpr16_vgpr17
                                        ; implicit-def: $vgpr18_vgpr19
	s_mov_b64 s[48:49], s[26:27]
	s_branch .LBB568_287
.LBB568_290:
	s_or_b64 exec, exec, s[44:45]
	v_cmp_gt_i64_e32 vcc, s[26:27], v[20:21]
	s_orn2_b64 s[42:43], vcc, exec
.LBB568_291:
	s_or_b64 exec, exec, s[38:39]
.LBB568_292:
	s_and_b64 s[38:39], s[42:43], exec
.LBB568_293:
	s_or_b64 exec, exec, s[40:41]
	v_cmp_gt_u32_e32 vcc, s3, v25
	s_and_saveexec_b64 s[40:41], vcc
	s_cbranch_execz .LBB568_304
; %bb.294:
	s_andn2_b64 vcc, exec, s[6:7]
	s_mov_b64 s[42:43], 0
	s_cbranch_vccnz .LBB568_303
; %bb.295:
	v_mul_lo_u32 v18, v11, s26
	v_mul_lo_u32 v19, v10, s27
	v_mad_u64_u32 v[16:17], s[36:37], v10, s26, 0
	v_add3_u32 v17, v17, v19, v18
	v_mul_lo_u32 v18, v13, s26
	v_mul_lo_u32 v19, v12, s27
	v_mad_u64_u32 v[20:21], s[36:37], v12, s26, 0
	v_add3_u32 v21, v21, v19, v18
	v_lshl_add_u64 v[18:19], v[16:17], 3, s[28:29]
	v_lshl_add_u64 v[16:17], v[20:21], 3, s[28:29]
	global_load_dwordx2 v[20:21], v[18:19], off
	global_load_dwordx2 v[22:23], v[16:17], off
	s_mov_b64 s[42:43], -1
	s_waitcnt vmcnt(0)
	v_cmp_eq_u64_e32 vcc, v[20:21], v[22:23]
	s_and_saveexec_b64 s[36:37], vcc
	s_cbranch_execz .LBB568_302
; %bb.296:
	s_add_u32 s42, s26, -1
	v_lshl_add_u64 v[16:17], v[16:17], 0, 8
	v_lshl_add_u64 v[18:19], v[18:19], 0, 8
	s_addc_u32 s43, s27, -1
	s_mov_b64 s[44:45], 0
	s_mov_b64 s[48:49], 0
                                        ; implicit-def: $sgpr46_sgpr47
	s_branch .LBB568_299
.LBB568_297:                            ;   in Loop: Header=BB568_299 Depth=1
	global_load_dwordx2 v[20:21], v[18:19], off
	global_load_dwordx2 v[22:23], v[16:17], off
	s_add_u32 s48, s48, 1
	s_addc_u32 s49, s49, 0
	s_andn2_b64 s[46:47], s[46:47], exec
	v_lshl_add_u64 v[16:17], v[16:17], 0, 8
	v_lshl_add_u64 v[18:19], v[18:19], 0, 8
	s_waitcnt vmcnt(0)
	v_cmp_ne_u64_e32 vcc, v[20:21], v[22:23]
	s_and_b64 s[50:51], vcc, exec
	s_or_b64 s[46:47], s[46:47], s[50:51]
.LBB568_298:                            ;   in Loop: Header=BB568_299 Depth=1
	s_and_b64 s[50:51], exec, s[46:47]
	s_or_b64 s[44:45], s[50:51], s[44:45]
	v_mov_b64_e32 v[20:21], s[48:49]
	s_andn2_b64 exec, exec, s[44:45]
	s_cbranch_execz .LBB568_301
.LBB568_299:                            ; =>This Inner Loop Header: Depth=1
	s_or_b64 s[46:47], s[46:47], exec
	s_cmp_eq_u64 s[42:43], s[48:49]
	s_cbranch_scc0 .LBB568_297
; %bb.300:                              ;   in Loop: Header=BB568_299 Depth=1
                                        ; implicit-def: $vgpr16_vgpr17
                                        ; implicit-def: $vgpr18_vgpr19
	s_mov_b64 s[48:49], s[26:27]
	s_branch .LBB568_298
.LBB568_301:
	s_or_b64 exec, exec, s[44:45]
	v_cmp_gt_i64_e32 vcc, s[26:27], v[20:21]
	s_orn2_b64 s[42:43], vcc, exec
.LBB568_302:
	s_or_b64 exec, exec, s[36:37]
.LBB568_303:
	s_and_b64 s[36:37], s[42:43], exec
.LBB568_304:
	s_or_b64 exec, exec, s[40:41]
	v_cndmask_b32_e64 v17, 0, 1, s[18:19]
	v_cndmask_b32_e64 v16, 0, 1, s[38:39]
	;; [unrolled: 1-line block ×3, first 2 shown]
	v_lshlrev_b16_e32 v17, 8, v17
	v_cndmask_b32_e64 v32, 0, 1, s[14:15]
	v_cndmask_b32_e64 v18, 0, 1, s[36:37]
	v_or_b32_sdwa v16, v16, v17 dst_sel:WORD_1 dst_unused:UNUSED_PAD src0_sel:DWORD src1_sel:DWORD
	v_lshlrev_b16_e32 v17, 8, v33
	v_lshlrev_b16_e32 v18, 8, v18
	v_or_b32_e32 v17, v32, v17
	v_or_b32_e32 v18, 1, v18
	v_and_b32_e32 v17, 0xffff, v17
	v_cndmask_b32_e64 v34, 0, 1, s[4:5]
	v_or_b32_sdwa v16, v18, v16 dst_sel:DWORD dst_unused:UNUSED_PAD src0_sel:WORD_0 src1_sel:DWORD
	v_lshl_or_b32 v17, v34, 16, v17
	v_cmp_ne_u32_e32 vcc, 0, v0
	s_waitcnt lgkmcnt(0)
	s_barrier
	s_waitcnt lgkmcnt(0)
                                        ; implicit-def: $sgpr18_sgpr19
                                        ; implicit-def: $vgpr20
	s_and_saveexec_b64 s[4:5], vcc
	s_cbranch_execz .LBB568_317
; %bb.305:
	v_cmp_gt_u32_e32 vcc, s3, v1
	s_mov_b32 s33, 0x3020104
	s_mov_b64 s[14:15], 0
	s_and_saveexec_b64 s[12:13], vcc
	s_cbranch_execz .LBB568_316
; %bb.306:
	s_andn2_b64 vcc, exec, s[6:7]
	s_cbranch_vccnz .LBB568_315
; %bb.307:
	v_add_u32_e32 v17, -8, v30
	ds_read_b64 v[18:19], v17
	v_mul_lo_u32 v17, v11, s26
	v_mad_u64_u32 v[22:23], s[6:7], v10, s26, 0
	s_mov_b64 s[14:15], -1
	s_waitcnt lgkmcnt(0)
	v_mul_lo_u32 v20, v19, s26
	v_mul_lo_u32 v21, v18, s27
	v_mad_u64_u32 v[18:19], s[6:7], v18, s26, 0
	v_add3_u32 v19, v19, v21, v20
	v_mul_lo_u32 v20, v10, s27
	v_add3_u32 v23, v23, v20, v17
	v_lshl_add_u64 v[20:21], v[18:19], 3, s[28:29]
	v_lshl_add_u64 v[18:19], v[22:23], 3, s[28:29]
	global_load_dwordx2 v[22:23], v[20:21], off
	global_load_dwordx2 v[30:31], v[18:19], off
	s_waitcnt vmcnt(0)
	v_cmp_eq_u64_e32 vcc, v[22:23], v[30:31]
	s_and_saveexec_b64 s[6:7], vcc
	s_cbranch_execz .LBB568_314
; %bb.308:
	s_add_u32 s14, s26, -1
	v_lshl_add_u64 v[18:19], v[18:19], 0, 8
	v_lshl_add_u64 v[20:21], v[20:21], 0, 8
	s_addc_u32 s15, s27, -1
	s_mov_b64 s[18:19], 0
	s_mov_b64 s[36:37], 0
                                        ; implicit-def: $sgpr28_sgpr29
	s_branch .LBB568_311
.LBB568_309:                            ;   in Loop: Header=BB568_311 Depth=1
	global_load_dwordx2 v[22:23], v[20:21], off
	global_load_dwordx2 v[30:31], v[18:19], off
	s_add_u32 s36, s36, 1
	s_addc_u32 s37, s37, 0
	s_andn2_b64 s[28:29], s[28:29], exec
	v_lshl_add_u64 v[18:19], v[18:19], 0, 8
	v_lshl_add_u64 v[20:21], v[20:21], 0, 8
	s_waitcnt vmcnt(0)
	v_cmp_ne_u64_e32 vcc, v[22:23], v[30:31]
	s_and_b64 s[38:39], vcc, exec
	s_or_b64 s[28:29], s[28:29], s[38:39]
.LBB568_310:                            ;   in Loop: Header=BB568_311 Depth=1
	s_and_b64 s[38:39], exec, s[28:29]
	s_or_b64 s[18:19], s[38:39], s[18:19]
	v_mov_b64_e32 v[22:23], s[36:37]
	s_andn2_b64 exec, exec, s[18:19]
	s_cbranch_execz .LBB568_313
.LBB568_311:                            ; =>This Inner Loop Header: Depth=1
	s_or_b64 s[28:29], s[28:29], exec
	s_cmp_eq_u64 s[14:15], s[36:37]
	s_cbranch_scc0 .LBB568_309
; %bb.312:                              ;   in Loop: Header=BB568_311 Depth=1
                                        ; implicit-def: $vgpr18_vgpr19
                                        ; implicit-def: $vgpr20_vgpr21
	s_mov_b64 s[36:37], s[26:27]
	s_branch .LBB568_310
.LBB568_313:
	s_or_b64 exec, exec, s[18:19]
	v_cmp_gt_i64_e32 vcc, s[26:27], v[22:23]
	s_orn2_b64 s[14:15], vcc, exec
.LBB568_314:
	s_or_b64 exec, exec, s[6:7]
.LBB568_315:
	s_and_b64 s[14:15], s[14:15], exec
.LBB568_316:
	s_or_b64 exec, exec, s[12:13]
	v_perm_b32 v20, v16, v16, s33
	s_and_b64 s[18:19], s[14:15], exec
	s_or_b64 s[10:11], s[10:11], exec
                                        ; implicit-def: $vgpr16_vgpr17
.LBB568_317:
	s_or_b64 exec, exec, s[4:5]
.LBB568_318:
	s_and_saveexec_b64 s[4:5], s[10:11]
	s_cbranch_execz .LBB568_320
; %bb.319:
	s_waitcnt lgkmcnt(0)
	v_lshlrev_b16_e32 v17, 8, v33
	v_and_b32_e32 v18, 0xff, v34
	v_or_b32_sdwa v17, v32, v17 dst_sel:DWORD dst_unused:UNUSED_PAD src0_sel:BYTE_0 src1_sel:DWORD
	v_lshlrev_b32_e32 v18, 16, v18
	s_movk_i32 s6, 0xff
	v_or_b32_sdwa v17, v17, v18 dst_sel:DWORD dst_unused:UNUSED_PAD src0_sel:WORD_0 src1_sel:DWORD
	v_lshrrev_b32_e32 v18, 24, v20
	v_lshlrev_b16_e32 v18, 8, v18
	v_and_b32_sdwa v19, v20, s6 dst_sel:DWORD dst_unused:UNUSED_PAD src0_sel:WORD_1 src1_sel:DWORD
	v_or_b32_sdwa v18, v19, v18 dst_sel:WORD_1 dst_unused:UNUSED_PAD src0_sel:DWORD src1_sel:DWORD
	v_mov_b32_e32 v19, 8
	v_cndmask_b32_e64 v16, 0, 1, s[18:19]
	v_lshrrev_b32_sdwa v19, v19, v20 dst_sel:BYTE_1 dst_unused:UNUSED_PAD src0_sel:DWORD src1_sel:DWORD
	s_nop 0
	v_or_b32_e32 v16, v16, v19
	v_or_b32_sdwa v16, v16, v18 dst_sel:DWORD dst_unused:UNUSED_PAD src0_sel:WORD_0 src1_sel:DWORD
.LBB568_320:
	s_or_b64 exec, exec, s[4:5]
	s_andn2_b64 vcc, exec, s[8:9]
	s_cbranch_vccnz .LBB568_322
; %bb.321:
	s_waitcnt lgkmcnt(0)
	v_and_b32_e32 v18, 0xffff0000, v16
	v_cmp_gt_u32_e32 vcc, s3, v1
	s_mov_b32 s4, 0x40c0100
	s_nop 0
	v_cndmask_b32_e32 v1, v18, v16, vcc
	v_and_b32_e32 v1, 0xffff00ff, v1
	v_cmp_gt_u32_e32 vcc, s3, v25
	s_nop 1
	v_cndmask_b32_e32 v1, v1, v16, vcc
	v_lshrrev_b32_e32 v18, 24, v1
	v_perm_b32 v1, v18, v1, s4
	v_cmp_gt_u32_e32 vcc, s3, v24
	v_and_b32_e32 v18, 0xffffff00, v17
	s_nop 0
	v_cndmask_b32_e32 v1, v1, v16, vcc
	v_and_b32_e32 v1, 0xffffff, v1
	v_cmp_gt_u32_e32 vcc, s3, v28
	s_nop 1
	v_cndmask_b32_e32 v1, v1, v16, vcc
	v_cmp_gt_u32_e32 vcc, s3, v26
	s_nop 1
	v_cndmask_b32_e32 v18, v18, v17, vcc
	v_and_b32_e32 v18, 0xffff00ff, v18
	v_cndmask_b32_e32 v1, v1, v16, vcc
	v_cmp_gt_u32_e32 vcc, s3, v29
	s_nop 1
	v_cndmask_b32_e32 v18, v18, v17, vcc
	v_lshrrev_b32_e32 v19, 24, v18
	v_cndmask_b32_e32 v1, v1, v16, vcc
	v_perm_b32 v18, v19, v18, s4
	v_cmp_gt_u32_e32 vcc, s3, v27
	s_mov_b32 s3, 0x3020104
	s_nop 0
	v_cndmask_b32_e32 v1, v1, v16, vcc
	v_cndmask_b32_e32 v16, v18, v17, vcc
	v_mov_b32_e32 v17, 8
	v_lshrrev_b32_sdwa v17, v17, v16 dst_sel:BYTE_1 dst_unused:UNUSED_PAD src0_sel:DWORD src1_sel:DWORD
	s_nop 0
	v_or_b32_sdwa v17, v16, v17 dst_sel:DWORD dst_unused:UNUSED_PAD src0_sel:BYTE_0 src1_sel:DWORD
	v_and_b32_e32 v17, 0xffff, v17
	v_bfe_u32 v16, v16, 16, 8
	v_lshl_or_b32 v17, v16, 16, v17
	v_perm_b32 v16, v1, v1, s3
.LBB568_322:
	s_waitcnt lgkmcnt(0)
	v_and_b32_e32 v1, 0xff, v16
	v_bfe_u32 v29, v16, 8, 8
	v_bfe_u32 v31, v16, 16, 8
	v_alignbit_b32 v18, v17, v16, 24
	v_and_b32_e32 v33, 0xff, v18
	v_and_b32_e32 v35, 0xff, v17
	v_add3_u32 v19, v29, v1, v31
	v_bfe_u32 v36, v17, 8, 8
	v_bfe_u32 v18, v17, 16, 8
	v_add3_u32 v19, v19, v33, v35
	v_add3_u32 v39, v19, v36, v18
	v_mbcnt_lo_u32_b32 v18, -1, 0
	v_mbcnt_hi_u32_b32 v37, -1, v18
	v_and_b32_e32 v18, 15, v37
	v_cmp_eq_u32_e64 s[14:15], 0, v18
	v_cmp_lt_u32_e64 s[12:13], 1, v18
	v_cmp_lt_u32_e64 s[10:11], 3, v18
	;; [unrolled: 1-line block ×3, first 2 shown]
	v_and_b32_e32 v18, 16, v37
	v_cmp_eq_u32_e64 s[6:7], 0, v18
	v_or_b32_e32 v18, 63, v0
	v_cmp_lt_u32_e64 s[18:19], 31, v37
	v_lshrrev_b32_e32 v38, 6, v0
	v_cmp_eq_u32_e64 s[4:5], v18, v0
	s_and_b64 vcc, exec, s[16:17]
	s_barrier
	s_cbranch_vccz .LBB568_349
; %bb.323:
	v_mov_b32_dpp v18, v39 row_shr:1 row_mask:0xf bank_mask:0xf
	v_cndmask_b32_e64 v18, v18, 0, s[14:15]
	v_add_u32_e32 v18, v18, v39
	s_nop 1
	v_mov_b32_dpp v19, v18 row_shr:2 row_mask:0xf bank_mask:0xf
	v_cndmask_b32_e64 v19, 0, v19, s[12:13]
	v_add_u32_e32 v18, v18, v19
	s_nop 1
	;; [unrolled: 4-line block ×4, first 2 shown]
	v_mov_b32_dpp v19, v18 row_bcast:15 row_mask:0xf bank_mask:0xf
	v_cndmask_b32_e64 v19, v19, 0, s[6:7]
	v_add_u32_e32 v18, v18, v19
	s_nop 1
	v_mov_b32_dpp v19, v18 row_bcast:31 row_mask:0xf bank_mask:0xf
	v_cndmask_b32_e64 v19, 0, v19, s[18:19]
	v_add_u32_e32 v18, v18, v19
	s_and_saveexec_b64 s[16:17], s[4:5]
	s_cbranch_execz .LBB568_325
; %bb.324:
	v_lshlrev_b32_e32 v19, 2, v38
	ds_write_b32 v19, v18
.LBB568_325:
	s_or_b64 exec, exec, s[16:17]
	v_cmp_gt_u32_e32 vcc, 8, v0
	s_waitcnt lgkmcnt(0)
	s_barrier
	s_and_saveexec_b64 s[16:17], vcc
	s_cbranch_execz .LBB568_327
; %bb.326:
	v_lshlrev_b32_e32 v19, 2, v0
	ds_read_b32 v20, v19
	v_and_b32_e32 v21, 7, v37
	v_cmp_ne_u32_e32 vcc, 0, v21
	s_waitcnt lgkmcnt(0)
	v_mov_b32_dpp v22, v20 row_shr:1 row_mask:0xf bank_mask:0xf
	v_cndmask_b32_e32 v22, 0, v22, vcc
	v_add_u32_e32 v20, v22, v20
	v_cmp_lt_u32_e32 vcc, 1, v21
	s_nop 0
	v_mov_b32_dpp v22, v20 row_shr:2 row_mask:0xf bank_mask:0xf
	v_cndmask_b32_e32 v22, 0, v22, vcc
	v_add_u32_e32 v20, v20, v22
	v_cmp_lt_u32_e32 vcc, 3, v21
	s_nop 0
	v_mov_b32_dpp v22, v20 row_shr:4 row_mask:0xf bank_mask:0xf
	v_cndmask_b32_e32 v21, 0, v22, vcc
	v_add_u32_e32 v20, v20, v21
	ds_write_b32 v19, v20
.LBB568_327:
	s_or_b64 exec, exec, s[16:17]
	v_cmp_gt_u32_e32 vcc, 64, v0
	v_cmp_lt_u32_e64 s[16:17], 63, v0
	s_waitcnt lgkmcnt(0)
	s_barrier
	s_waitcnt lgkmcnt(0)
                                        ; implicit-def: $vgpr28
	s_and_saveexec_b64 s[26:27], s[16:17]
	s_cbranch_execz .LBB568_329
; %bb.328:
	v_lshl_add_u32 v19, v38, 2, -4
	ds_read_b32 v28, v19
	s_waitcnt lgkmcnt(0)
	v_add_u32_e32 v18, v28, v18
.LBB568_329:
	s_or_b64 exec, exec, s[26:27]
	v_add_u32_e32 v19, -1, v37
	v_and_b32_e32 v20, 64, v37
	v_cmp_lt_i32_e64 s[16:17], v19, v20
	s_nop 1
	v_cndmask_b32_e64 v19, v19, v37, s[16:17]
	v_lshlrev_b32_e32 v19, 2, v19
	ds_bpermute_b32 v30, v19, v18
	v_cmp_eq_u32_e64 s[16:17], 0, v37
	s_and_saveexec_b64 s[26:27], vcc
	s_cbranch_execz .LBB568_348
; %bb.330:
	v_mov_b32_e32 v25, 0
	ds_read_b32 v18, v25 offset:28
	s_and_saveexec_b64 s[28:29], s[16:17]
	s_cbranch_execz .LBB568_332
; %bb.331:
	s_add_i32 s36, s2, 64
	s_mov_b32 s37, 0
	s_lshl_b64 s[36:37], s[36:37], 3
	s_add_u32 s36, s30, s36
	v_mov_b32_e32 v19, 1
	s_addc_u32 s37, s31, s37
	s_waitcnt lgkmcnt(0)
	global_store_dwordx2 v25, v[18:19], s[36:37] sc1
.LBB568_332:
	s_or_b64 exec, exec, s[28:29]
	v_xad_u32 v20, v37, -1, s2
	v_add_u32_e32 v24, 64, v20
	v_lshl_add_u64 v[26:27], v[24:25], 3, s[30:31]
	global_load_dwordx2 v[22:23], v[26:27], off sc1
	s_waitcnt vmcnt(0)
	v_cmp_eq_u16_sdwa s[36:37], v23, v25 src0_sel:BYTE_0 src1_sel:DWORD
	s_and_saveexec_b64 s[28:29], s[36:37]
	s_cbranch_execz .LBB568_336
; %bb.333:
	s_mov_b64 s[36:37], 0
	v_mov_b32_e32 v19, 0
.LBB568_334:                            ; =>This Inner Loop Header: Depth=1
	global_load_dwordx2 v[22:23], v[26:27], off sc1
	s_waitcnt vmcnt(0)
	v_cmp_ne_u16_sdwa s[38:39], v23, v19 src0_sel:BYTE_0 src1_sel:DWORD
	s_or_b64 s[36:37], s[38:39], s[36:37]
	s_andn2_b64 exec, exec, s[36:37]
	s_cbranch_execnz .LBB568_334
; %bb.335:
	s_or_b64 exec, exec, s[36:37]
.LBB568_336:
	s_or_b64 exec, exec, s[28:29]
	v_and_b32_e32 v32, 63, v37
	v_mov_b32_e32 v19, 2
	v_cmp_ne_u32_e32 vcc, 63, v32
	v_cmp_eq_u16_sdwa s[28:29], v23, v19 src0_sel:BYTE_0 src1_sel:DWORD
	v_lshlrev_b64 v[24:25], v37, -1
	v_addc_co_u32_e32 v27, vcc, 0, v37, vcc
	v_and_b32_e32 v21, s29, v25
	v_lshlrev_b32_e32 v34, 2, v27
	v_or_b32_e32 v21, 0x80000000, v21
	ds_bpermute_b32 v27, v34, v22
	v_and_b32_e32 v26, s28, v24
	v_ffbl_b32_e32 v21, v21
	v_add_u32_e32 v21, 32, v21
	v_ffbl_b32_e32 v26, v26
	v_min_u32_e32 v21, v26, v21
	v_cmp_lt_u32_e32 vcc, v32, v21
	v_add_u32_e32 v41, 2, v32
	v_add_u32_e32 v43, 4, v32
	s_waitcnt lgkmcnt(0)
	v_cndmask_b32_e32 v26, 0, v27, vcc
	v_cmp_gt_u32_e32 vcc, 62, v32
	v_add_u32_e32 v22, v26, v22
	v_add_u32_e32 v45, 8, v32
	v_cndmask_b32_e64 v26, 0, 1, vcc
	v_lshlrev_b32_e32 v26, 1, v26
	v_add_lshl_u32 v40, v26, v37, 2
	ds_bpermute_b32 v26, v40, v22
	v_cmp_le_u32_e32 vcc, v41, v21
	v_add_u32_e32 v48, 16, v32
	v_add_u32_e32 v50, 32, v32
	s_waitcnt lgkmcnt(0)
	v_cndmask_b32_e32 v26, 0, v26, vcc
	v_cmp_gt_u32_e32 vcc, 60, v32
	v_add_u32_e32 v22, v22, v26
	s_nop 0
	v_cndmask_b32_e64 v26, 0, 1, vcc
	v_lshlrev_b32_e32 v26, 2, v26
	v_add_lshl_u32 v42, v26, v37, 2
	ds_bpermute_b32 v26, v42, v22
	v_cmp_le_u32_e32 vcc, v43, v21
	s_waitcnt lgkmcnt(0)
	s_nop 0
	v_cndmask_b32_e32 v26, 0, v26, vcc
	v_cmp_gt_u32_e32 vcc, 56, v32
	v_add_u32_e32 v22, v22, v26
	s_nop 0
	v_cndmask_b32_e64 v26, 0, 1, vcc
	v_lshlrev_b32_e32 v26, 3, v26
	v_add_lshl_u32 v44, v26, v37, 2
	ds_bpermute_b32 v26, v44, v22
	v_cmp_le_u32_e32 vcc, v45, v21
	s_waitcnt lgkmcnt(0)
	s_nop 0
	;; [unrolled: 11-line block ×4, first 2 shown]
	v_cndmask_b32_e32 v21, 0, v26, vcc
	v_add_u32_e32 v22, v22, v21
	v_mov_b32_e32 v21, 0
	s_branch .LBB568_338
.LBB568_337:                            ;   in Loop: Header=BB568_338 Depth=1
	s_or_b64 exec, exec, s[28:29]
	v_cmp_eq_u16_sdwa s[28:29], v23, v19 src0_sel:BYTE_0 src1_sel:DWORD
	ds_bpermute_b32 v51, v34, v22
	v_subrev_u32_e32 v20, 64, v20
	v_and_b32_e32 v26, s29, v25
	v_or_b32_e32 v26, 0x80000000, v26
	v_and_b32_e32 v27, s28, v24
	v_ffbl_b32_e32 v26, v26
	v_add_u32_e32 v26, 32, v26
	v_ffbl_b32_e32 v27, v27
	v_min_u32_e32 v26, v27, v26
	v_cmp_lt_u32_e32 vcc, v32, v26
	s_waitcnt lgkmcnt(0)
	s_nop 0
	v_cndmask_b32_e32 v27, 0, v51, vcc
	v_add_u32_e32 v22, v27, v22
	ds_bpermute_b32 v27, v40, v22
	v_cmp_le_u32_e32 vcc, v41, v26
	s_waitcnt lgkmcnt(0)
	s_nop 0
	v_cndmask_b32_e32 v27, 0, v27, vcc
	v_add_u32_e32 v22, v22, v27
	ds_bpermute_b32 v27, v42, v22
	v_cmp_le_u32_e32 vcc, v43, v26
	;; [unrolled: 6-line block ×5, first 2 shown]
	s_waitcnt lgkmcnt(0)
	s_nop 0
	v_cndmask_b32_e32 v26, 0, v27, vcc
	v_add3_u32 v22, v26, v46, v22
.LBB568_338:                            ; =>This Loop Header: Depth=1
                                        ;     Child Loop BB568_341 Depth 2
	v_cmp_ne_u16_sdwa s[28:29], v23, v19 src0_sel:BYTE_0 src1_sel:DWORD
	v_mov_b32_e32 v46, v22
	s_nop 0
	v_cndmask_b32_e64 v23, 0, 1, s[28:29]
	;;#ASMSTART
	;;#ASMEND
	s_nop 0
	v_cmp_ne_u32_e32 vcc, 0, v23
	s_cmp_lg_u64 vcc, exec
	s_cbranch_scc1 .LBB568_343
; %bb.339:                              ;   in Loop: Header=BB568_338 Depth=1
	v_lshl_add_u64 v[26:27], v[20:21], 3, s[30:31]
	global_load_dwordx2 v[22:23], v[26:27], off sc1
	s_waitcnt vmcnt(0)
	v_cmp_eq_u16_sdwa s[36:37], v23, v21 src0_sel:BYTE_0 src1_sel:DWORD
	s_and_saveexec_b64 s[28:29], s[36:37]
	s_cbranch_execz .LBB568_337
; %bb.340:                              ;   in Loop: Header=BB568_338 Depth=1
	s_mov_b64 s[36:37], 0
.LBB568_341:                            ;   Parent Loop BB568_338 Depth=1
                                        ; =>  This Inner Loop Header: Depth=2
	global_load_dwordx2 v[22:23], v[26:27], off sc1
	s_waitcnt vmcnt(0)
	v_cmp_ne_u16_sdwa s[38:39], v23, v21 src0_sel:BYTE_0 src1_sel:DWORD
	s_or_b64 s[36:37], s[38:39], s[36:37]
	s_andn2_b64 exec, exec, s[36:37]
	s_cbranch_execnz .LBB568_341
; %bb.342:                              ;   in Loop: Header=BB568_338 Depth=1
	s_or_b64 exec, exec, s[36:37]
	s_branch .LBB568_337
.LBB568_343:                            ;   in Loop: Header=BB568_338 Depth=1
                                        ; implicit-def: $vgpr22
                                        ; implicit-def: $vgpr23
	s_cbranch_execz .LBB568_338
; %bb.344:
	s_and_saveexec_b64 s[28:29], s[16:17]
	s_cbranch_execz .LBB568_346
; %bb.345:
	s_add_i32 s2, s2, 64
	s_mov_b32 s3, 0
	s_lshl_b64 s[2:3], s[2:3], 3
	s_add_u32 s2, s30, s2
	v_add_u32_e32 v20, v46, v18
	v_mov_b32_e32 v21, 2
	s_addc_u32 s3, s31, s3
	v_mov_b32_e32 v19, 0
	global_store_dwordx2 v19, v[20:21], s[2:3] sc1
	s_movk_i32 s2, 0x7000
	v_add_u32_e64 v19, s2, 0
	ds_write2_b32 v19, v18, v46 offset1:2
.LBB568_346:
	s_or_b64 exec, exec, s[28:29]
	v_cmp_eq_u32_e32 vcc, 0, v0
	s_and_b64 exec, exec, vcc
	s_cbranch_execz .LBB568_348
; %bb.347:
	v_mov_b32_e32 v18, 0
	ds_write_b32 v18, v46 offset:28
.LBB568_348:
	s_or_b64 exec, exec, s[26:27]
	v_mov_b32_e32 v18, 0
	s_waitcnt lgkmcnt(0)
	s_barrier
	ds_read_b32 v18, v18 offset:28
	v_cndmask_b32_e64 v19, v30, v28, s[16:17]
	v_cmp_ne_u32_e32 vcc, 0, v0
	s_movk_i32 s2, 0x7000
	s_waitcnt lgkmcnt(0)
	v_cndmask_b32_e32 v19, 0, v19, vcc
	v_add_u32_e32 v34, v18, v19
	v_add_u32_e32 v32, v34, v1
	v_add_u32_e64 v18, s2, 0
	v_add_u32_e32 v30, v32, v29
	s_barrier
	ds_read2_b32 v[18:19], v18 offset1:2
	v_add_u32_e32 v28, v30, v31
	v_add_u32_e32 v26, v28, v33
	;; [unrolled: 1-line block ×4, first 2 shown]
	s_load_dwordx2 s[2:3], s[0:1], 0x28
	v_lshrrev_b64 v[20:21], 24, v[16:17]
	s_branch .LBB568_359
.LBB568_349:
                                        ; implicit-def: $vgpr22
                                        ; implicit-def: $vgpr24
                                        ; implicit-def: $vgpr26
                                        ; implicit-def: $vgpr28
                                        ; implicit-def: $vgpr30
                                        ; implicit-def: $vgpr32
                                        ; implicit-def: $vgpr34
                                        ; implicit-def: $vgpr19
	s_load_dwordx2 s[2:3], s[0:1], 0x28
	v_lshrrev_b64 v[20:21], 24, v[16:17]
	s_cbranch_execz .LBB568_359
; %bb.350:
	s_waitcnt lgkmcnt(0)
	v_mov_b32_dpp v18, v39 row_shr:1 row_mask:0xf bank_mask:0xf
	v_cndmask_b32_e64 v18, v18, 0, s[14:15]
	v_add_u32_e32 v18, v18, v39
	s_nop 1
	v_mov_b32_dpp v19, v18 row_shr:2 row_mask:0xf bank_mask:0xf
	v_cndmask_b32_e64 v19, 0, v19, s[12:13]
	v_add_u32_e32 v18, v18, v19
	s_nop 1
	;; [unrolled: 4-line block ×4, first 2 shown]
	v_mov_b32_dpp v19, v18 row_bcast:15 row_mask:0xf bank_mask:0xf
	v_cndmask_b32_e64 v19, v19, 0, s[6:7]
	v_add_u32_e32 v18, v18, v19
	s_nop 1
	v_mov_b32_dpp v19, v18 row_bcast:31 row_mask:0xf bank_mask:0xf
	v_cndmask_b32_e64 v19, 0, v19, s[18:19]
	v_add_u32_e32 v18, v18, v19
	s_and_saveexec_b64 s[0:1], s[4:5]
	s_cbranch_execz .LBB568_352
; %bb.351:
	v_lshlrev_b32_e32 v19, 2, v38
	ds_write_b32 v19, v18
.LBB568_352:
	s_or_b64 exec, exec, s[0:1]
	v_cmp_gt_u32_e32 vcc, 8, v0
	s_waitcnt lgkmcnt(0)
	s_barrier
	s_and_saveexec_b64 s[0:1], vcc
	s_cbranch_execz .LBB568_354
; %bb.353:
	v_lshlrev_b32_e32 v19, 2, v0
	ds_read_b32 v21, v19
	v_and_b32_e32 v22, 7, v37
	v_cmp_ne_u32_e32 vcc, 0, v22
	s_waitcnt lgkmcnt(0)
	v_mov_b32_dpp v23, v21 row_shr:1 row_mask:0xf bank_mask:0xf
	v_cndmask_b32_e32 v23, 0, v23, vcc
	v_add_u32_e32 v21, v23, v21
	v_cmp_lt_u32_e32 vcc, 1, v22
	s_nop 0
	v_mov_b32_dpp v23, v21 row_shr:2 row_mask:0xf bank_mask:0xf
	v_cndmask_b32_e32 v23, 0, v23, vcc
	v_add_u32_e32 v21, v21, v23
	v_cmp_lt_u32_e32 vcc, 3, v22
	s_nop 0
	v_mov_b32_dpp v23, v21 row_shr:4 row_mask:0xf bank_mask:0xf
	v_cndmask_b32_e32 v22, 0, v23, vcc
	v_add_u32_e32 v21, v21, v22
	ds_write_b32 v19, v21
.LBB568_354:
	s_or_b64 exec, exec, s[0:1]
	v_cmp_lt_u32_e32 vcc, 63, v0
	v_mov_b32_e32 v19, 0
	v_mov_b32_e32 v21, 0
	s_waitcnt lgkmcnt(0)
	s_barrier
	s_and_saveexec_b64 s[0:1], vcc
	s_cbranch_execz .LBB568_356
; %bb.355:
	v_lshl_add_u32 v21, v38, 2, -4
	ds_read_b32 v21, v21
.LBB568_356:
	s_or_b64 exec, exec, s[0:1]
	v_add_u32_e32 v22, -1, v37
	v_and_b32_e32 v23, 64, v37
	v_cmp_lt_i32_e32 vcc, v22, v23
	s_waitcnt lgkmcnt(0)
	v_add_u32_e32 v18, v21, v18
	v_cndmask_b32_e32 v22, v22, v37, vcc
	v_lshlrev_b32_e32 v22, 2, v22
	ds_bpermute_b32 v22, v22, v18
	ds_read_b32 v18, v19 offset:28
	v_cmp_eq_u32_e32 vcc, 0, v0
	s_and_saveexec_b64 s[0:1], vcc
	s_cbranch_execz .LBB568_358
; %bb.357:
	v_mov_b32_e32 v23, 0
	v_mov_b32_e32 v19, 2
	s_waitcnt lgkmcnt(0)
	global_store_dwordx2 v23, v[18:19], s[30:31] offset:512 sc1
.LBB568_358:
	s_or_b64 exec, exec, s[0:1]
	v_cmp_eq_u32_e64 s[0:1], 0, v37
	v_mov_b32_e32 v19, 0
	s_waitcnt lgkmcnt(0)
	v_cndmask_b32_e64 v21, v22, v21, s[0:1]
	v_cndmask_b32_e64 v34, v21, 0, vcc
	v_add_u32_e32 v32, v34, v1
	v_add_u32_e32 v30, v32, v29
	;; [unrolled: 1-line block ×6, first 2 shown]
	s_barrier
.LBB568_359:
	s_movk_i32 s0, 0x201
	s_waitcnt lgkmcnt(0)
	v_cmp_gt_u32_e32 vcc, s0, v18
	v_lshrrev_b32_e32 v21, 8, v16
	v_lshrrev_b32_e32 v1, 8, v17
	s_mov_b64 s[0:1], -1
	s_cbranch_vccnz .LBB568_363
; %bb.360:
	s_and_b64 vcc, exec, s[0:1]
	s_cbranch_vccnz .LBB568_385
.LBB568_361:
	v_cmp_eq_u32_e32 vcc, 0, v0
	s_and_b64 s[0:1], vcc, s[24:25]
	s_and_saveexec_b64 s[2:3], s[0:1]
	s_cbranch_execnz .LBB568_403
.LBB568_362:
	s_endpgm
.LBB568_363:
	v_add_u32_e32 v23, v19, v18
	v_cmp_lt_u32_e32 vcc, v34, v23
	s_or_b64 s[4:5], s[34:35], vcc
	s_and_saveexec_b64 s[0:1], s[4:5]
	s_cbranch_execz .LBB568_366
; %bb.364:
	v_and_b32_e32 v25, 1, v16
	v_cmp_eq_u32_e32 vcc, 1, v25
	s_and_b64 exec, exec, vcc
	s_cbranch_execz .LBB568_366
; %bb.365:
	s_lshl_b64 s[4:5], s[22:23], 3
	s_add_u32 s4, s2, s4
	s_addc_u32 s5, s3, s5
	v_mov_b32_e32 v35, 0
	v_lshl_add_u64 v[36:37], v[34:35], 3, s[4:5]
	global_store_dwordx2 v[36:37], v[10:11], off
.LBB568_366:
	s_or_b64 exec, exec, s[0:1]
	v_cmp_lt_u32_e32 vcc, v32, v23
	s_or_b64 s[4:5], s[34:35], vcc
	s_and_saveexec_b64 s[0:1], s[4:5]
	s_cbranch_execz .LBB568_369
; %bb.367:
	v_and_b32_e32 v25, 1, v21
	v_cmp_eq_u32_e32 vcc, 1, v25
	s_and_b64 exec, exec, vcc
	s_cbranch_execz .LBB568_369
; %bb.368:
	s_lshl_b64 s[4:5], s[22:23], 3
	s_add_u32 s4, s2, s4
	s_addc_u32 s5, s3, s5
	v_mov_b32_e32 v33, 0
	v_lshl_add_u64 v[36:37], v[32:33], 3, s[4:5]
	global_store_dwordx2 v[36:37], v[12:13], off
.LBB568_369:
	s_or_b64 exec, exec, s[0:1]
	v_cmp_lt_u32_e32 vcc, v30, v23
	s_or_b64 s[4:5], s[34:35], vcc
	s_and_saveexec_b64 s[0:1], s[4:5]
	s_cbranch_execz .LBB568_372
; %bb.370:
	v_mov_b32_e32 v25, 1
	v_and_b32_sdwa v25, v25, v16 dst_sel:DWORD dst_unused:UNUSED_PAD src0_sel:DWORD src1_sel:WORD_1
	v_cmp_eq_u32_e32 vcc, 1, v25
	s_and_b64 exec, exec, vcc
	s_cbranch_execz .LBB568_372
; %bb.371:
	s_lshl_b64 s[4:5], s[22:23], 3
	s_add_u32 s4, s2, s4
	s_addc_u32 s5, s3, s5
	v_mov_b32_e32 v31, 0
	v_lshl_add_u64 v[36:37], v[30:31], 3, s[4:5]
	global_store_dwordx2 v[36:37], v[6:7], off
.LBB568_372:
	s_or_b64 exec, exec, s[0:1]
	v_cmp_lt_u32_e32 vcc, v28, v23
	s_or_b64 s[4:5], s[34:35], vcc
	s_and_saveexec_b64 s[0:1], s[4:5]
	s_cbranch_execz .LBB568_375
; %bb.373:
	v_and_b32_e32 v25, 1, v20
	v_cmp_eq_u32_e32 vcc, 1, v25
	s_and_b64 exec, exec, vcc
	s_cbranch_execz .LBB568_375
; %bb.374:
	s_lshl_b64 s[4:5], s[22:23], 3
	s_add_u32 s4, s2, s4
	s_addc_u32 s5, s3, s5
	v_mov_b32_e32 v29, 0
	v_lshl_add_u64 v[36:37], v[28:29], 3, s[4:5]
	global_store_dwordx2 v[36:37], v[8:9], off
.LBB568_375:
	s_or_b64 exec, exec, s[0:1]
	v_cmp_lt_u32_e32 vcc, v26, v23
	s_or_b64 s[4:5], s[34:35], vcc
	s_and_saveexec_b64 s[0:1], s[4:5]
	s_cbranch_execz .LBB568_378
; %bb.376:
	v_and_b32_e32 v25, 1, v17
	v_cmp_eq_u32_e32 vcc, 1, v25
	s_and_b64 exec, exec, vcc
	s_cbranch_execz .LBB568_378
; %bb.377:
	s_lshl_b64 s[4:5], s[22:23], 3
	s_add_u32 s4, s2, s4
	s_addc_u32 s5, s3, s5
	v_mov_b32_e32 v27, 0
	v_lshl_add_u64 v[36:37], v[26:27], 3, s[4:5]
	global_store_dwordx2 v[36:37], v[2:3], off
.LBB568_378:
	;; [unrolled: 18-line block ×3, first 2 shown]
	s_or_b64 exec, exec, s[0:1]
	v_cmp_lt_u32_e32 vcc, v22, v23
	s_or_b64 s[4:5], s[34:35], vcc
	s_and_saveexec_b64 s[0:1], s[4:5]
	s_cbranch_execz .LBB568_384
; %bb.382:
	v_mov_b32_e32 v23, 1
	v_and_b32_sdwa v23, v23, v17 dst_sel:DWORD dst_unused:UNUSED_PAD src0_sel:DWORD src1_sel:WORD_1
	v_cmp_eq_u32_e32 vcc, 1, v23
	s_and_b64 exec, exec, vcc
	s_cbranch_execz .LBB568_384
; %bb.383:
	s_lshl_b64 s[4:5], s[22:23], 3
	s_add_u32 s4, s2, s4
	s_addc_u32 s5, s3, s5
	v_mov_b32_e32 v23, 0
	v_lshl_add_u64 v[36:37], v[22:23], 3, s[4:5]
	global_store_dwordx2 v[36:37], v[14:15], off
.LBB568_384:
	s_or_b64 exec, exec, s[0:1]
	s_branch .LBB568_361
.LBB568_385:
	v_and_b32_e32 v23, 1, v16
	v_cmp_eq_u32_e32 vcc, 1, v23
	s_and_saveexec_b64 s[0:1], vcc
	s_cbranch_execz .LBB568_387
; %bb.386:
	v_sub_u32_e32 v23, v34, v19
	v_lshlrev_b32_e32 v23, 3, v23
	ds_write_b64 v23, v[10:11]
.LBB568_387:
	s_or_b64 exec, exec, s[0:1]
	v_and_b32_e32 v10, 1, v21
	v_cmp_eq_u32_e32 vcc, 1, v10
	s_and_saveexec_b64 s[0:1], vcc
	s_cbranch_execz .LBB568_389
; %bb.388:
	v_sub_u32_e32 v10, v32, v19
	v_lshlrev_b32_e32 v10, 3, v10
	ds_write_b64 v10, v[12:13]
.LBB568_389:
	s_or_b64 exec, exec, s[0:1]
	v_mov_b32_e32 v10, 1
	v_and_b32_sdwa v10, v10, v16 dst_sel:DWORD dst_unused:UNUSED_PAD src0_sel:DWORD src1_sel:WORD_1
	v_cmp_eq_u32_e32 vcc, 1, v10
	s_and_saveexec_b64 s[0:1], vcc
	s_cbranch_execz .LBB568_391
; %bb.390:
	v_sub_u32_e32 v10, v30, v19
	v_lshlrev_b32_e32 v10, 3, v10
	ds_write_b64 v10, v[6:7]
.LBB568_391:
	s_or_b64 exec, exec, s[0:1]
	v_and_b32_e32 v6, 1, v20
	v_cmp_eq_u32_e32 vcc, 1, v6
	s_and_saveexec_b64 s[0:1], vcc
	s_cbranch_execz .LBB568_393
; %bb.392:
	v_sub_u32_e32 v6, v28, v19
	v_lshlrev_b32_e32 v6, 3, v6
	ds_write_b64 v6, v[8:9]
.LBB568_393:
	s_or_b64 exec, exec, s[0:1]
	v_and_b32_e32 v6, 1, v17
	;; [unrolled: 10-line block ×3, first 2 shown]
	v_cmp_eq_u32_e32 vcc, 1, v1
	s_and_saveexec_b64 s[0:1], vcc
	s_cbranch_execz .LBB568_397
; %bb.396:
	v_sub_u32_e32 v1, v24, v19
	v_lshlrev_b32_e32 v1, 3, v1
	ds_write_b64 v1, v[4:5]
.LBB568_397:
	s_or_b64 exec, exec, s[0:1]
	v_mov_b32_e32 v1, 1
	v_and_b32_sdwa v1, v1, v17 dst_sel:DWORD dst_unused:UNUSED_PAD src0_sel:DWORD src1_sel:WORD_1
	v_cmp_eq_u32_e32 vcc, 1, v1
	s_and_saveexec_b64 s[0:1], vcc
	s_cbranch_execz .LBB568_399
; %bb.398:
	v_sub_u32_e32 v1, v22, v19
	v_lshlrev_b32_e32 v1, 3, v1
	ds_write_b64 v1, v[14:15]
.LBB568_399:
	s_or_b64 exec, exec, s[0:1]
	v_cmp_lt_u32_e32 vcc, v0, v18
	s_waitcnt lgkmcnt(0)
	s_barrier
	s_and_saveexec_b64 s[0:1], vcc
	s_cbranch_execz .LBB568_402
; %bb.400:
	v_mov_b32_e32 v5, 0
	v_mov_b32_e32 v4, v19
	s_lshl_b64 s[4:5], s[22:23], 3
	v_lshlrev_b64 v[6:7], 3, v[4:5]
	v_lshl_add_u64 v[6:7], s[4:5], 0, v[6:7]
	v_lshlrev_b32_e32 v2, 3, v0
	v_mov_b32_e32 v3, v5
	v_lshl_add_u64 v[4:5], s[2:3], 0, v[6:7]
	v_lshl_add_u64 v[4:5], v[4:5], 0, v[2:3]
	s_mov_b64 s[2:3], 0
	s_mov_b64 s[4:5], 0x1000
	v_mov_b32_e32 v1, v0
.LBB568_401:                            ; =>This Inner Loop Header: Depth=1
	ds_read_b64 v[6:7], v2
	v_add_u32_e32 v1, 0x200, v1
	v_cmp_ge_u32_e32 vcc, v1, v18
	v_add_u32_e32 v2, 0x1000, v2
	s_or_b64 s[2:3], vcc, s[2:3]
	s_waitcnt lgkmcnt(0)
	global_store_dwordx2 v[4:5], v[6:7], off
	v_lshl_add_u64 v[4:5], v[4:5], 0, s[4:5]
	s_andn2_b64 exec, exec, s[2:3]
	s_cbranch_execnz .LBB568_401
.LBB568_402:
	s_or_b64 exec, exec, s[0:1]
	v_cmp_eq_u32_e32 vcc, 0, v0
	s_and_b64 s[0:1], vcc, s[24:25]
	s_and_saveexec_b64 s[2:3], s[0:1]
	s_cbranch_execz .LBB568_362
.LBB568_403:
	v_mov_b32_e32 v1, 0
	v_mov_b32_e32 v0, v18
	v_lshl_add_u64 v[2:3], s[22:23], 0, v[0:1]
	v_mov_b32_e32 v0, v19
	v_lshl_add_u64 v[2:3], v[2:3], 0, v[0:1]
	global_store_dwordx2 v1, v[2:3], s[20:21]
	s_endpgm
	.section	.rodata,"a",@progbits
	.p2align	6, 0x0
	.amdhsa_kernel _ZN7rocprim17ROCPRIM_400000_NS6detail17trampoline_kernelINS0_14default_configENS1_25partition_config_selectorILNS1_17partition_subalgoE8ElNS0_10empty_typeEbEEZZNS1_14partition_implILS5_8ELb0ES3_jPlPS6_PKS6_NS0_5tupleIJS9_S6_EEENSD_IJSA_SA_EEENS0_18inequality_wrapperIZN2at6native12_GLOBAL__N_124unique_dim_cuda_templateIlEESt5tupleIJNSH_6TensorESM_SM_EERKSM_lbbbEUlllE0_EEPmJS6_EEE10hipError_tPvRmT3_T4_T5_T6_T7_T9_mT8_P12ihipStream_tbDpT10_ENKUlT_T0_E_clISt17integral_constantIbLb0EES1C_EEDaS17_S18_EUlS17_E_NS1_11comp_targetILNS1_3genE5ELNS1_11target_archE942ELNS1_3gpuE9ELNS1_3repE0EEENS1_30default_config_static_selectorELNS0_4arch9wavefront6targetE1EEEvT1_
		.amdhsa_group_segment_fixed_size 28684
		.amdhsa_private_segment_fixed_size 0
		.amdhsa_kernarg_size 120
		.amdhsa_user_sgpr_count 2
		.amdhsa_user_sgpr_dispatch_ptr 0
		.amdhsa_user_sgpr_queue_ptr 0
		.amdhsa_user_sgpr_kernarg_segment_ptr 1
		.amdhsa_user_sgpr_dispatch_id 0
		.amdhsa_user_sgpr_kernarg_preload_length 0
		.amdhsa_user_sgpr_kernarg_preload_offset 0
		.amdhsa_user_sgpr_private_segment_size 0
		.amdhsa_uses_dynamic_stack 0
		.amdhsa_enable_private_segment 0
		.amdhsa_system_sgpr_workgroup_id_x 1
		.amdhsa_system_sgpr_workgroup_id_y 0
		.amdhsa_system_sgpr_workgroup_id_z 0
		.amdhsa_system_sgpr_workgroup_info 0
		.amdhsa_system_vgpr_workitem_id 0
		.amdhsa_next_free_vgpr 52
		.amdhsa_next_free_sgpr 52
		.amdhsa_accum_offset 52
		.amdhsa_reserve_vcc 1
		.amdhsa_float_round_mode_32 0
		.amdhsa_float_round_mode_16_64 0
		.amdhsa_float_denorm_mode_32 3
		.amdhsa_float_denorm_mode_16_64 3
		.amdhsa_dx10_clamp 1
		.amdhsa_ieee_mode 1
		.amdhsa_fp16_overflow 0
		.amdhsa_tg_split 0
		.amdhsa_exception_fp_ieee_invalid_op 0
		.amdhsa_exception_fp_denorm_src 0
		.amdhsa_exception_fp_ieee_div_zero 0
		.amdhsa_exception_fp_ieee_overflow 0
		.amdhsa_exception_fp_ieee_underflow 0
		.amdhsa_exception_fp_ieee_inexact 0
		.amdhsa_exception_int_div_zero 0
	.end_amdhsa_kernel
	.section	.text._ZN7rocprim17ROCPRIM_400000_NS6detail17trampoline_kernelINS0_14default_configENS1_25partition_config_selectorILNS1_17partition_subalgoE8ElNS0_10empty_typeEbEEZZNS1_14partition_implILS5_8ELb0ES3_jPlPS6_PKS6_NS0_5tupleIJS9_S6_EEENSD_IJSA_SA_EEENS0_18inequality_wrapperIZN2at6native12_GLOBAL__N_124unique_dim_cuda_templateIlEESt5tupleIJNSH_6TensorESM_SM_EERKSM_lbbbEUlllE0_EEPmJS6_EEE10hipError_tPvRmT3_T4_T5_T6_T7_T9_mT8_P12ihipStream_tbDpT10_ENKUlT_T0_E_clISt17integral_constantIbLb0EES1C_EEDaS17_S18_EUlS17_E_NS1_11comp_targetILNS1_3genE5ELNS1_11target_archE942ELNS1_3gpuE9ELNS1_3repE0EEENS1_30default_config_static_selectorELNS0_4arch9wavefront6targetE1EEEvT1_,"axG",@progbits,_ZN7rocprim17ROCPRIM_400000_NS6detail17trampoline_kernelINS0_14default_configENS1_25partition_config_selectorILNS1_17partition_subalgoE8ElNS0_10empty_typeEbEEZZNS1_14partition_implILS5_8ELb0ES3_jPlPS6_PKS6_NS0_5tupleIJS9_S6_EEENSD_IJSA_SA_EEENS0_18inequality_wrapperIZN2at6native12_GLOBAL__N_124unique_dim_cuda_templateIlEESt5tupleIJNSH_6TensorESM_SM_EERKSM_lbbbEUlllE0_EEPmJS6_EEE10hipError_tPvRmT3_T4_T5_T6_T7_T9_mT8_P12ihipStream_tbDpT10_ENKUlT_T0_E_clISt17integral_constantIbLb0EES1C_EEDaS17_S18_EUlS17_E_NS1_11comp_targetILNS1_3genE5ELNS1_11target_archE942ELNS1_3gpuE9ELNS1_3repE0EEENS1_30default_config_static_selectorELNS0_4arch9wavefront6targetE1EEEvT1_,comdat
.Lfunc_end568:
	.size	_ZN7rocprim17ROCPRIM_400000_NS6detail17trampoline_kernelINS0_14default_configENS1_25partition_config_selectorILNS1_17partition_subalgoE8ElNS0_10empty_typeEbEEZZNS1_14partition_implILS5_8ELb0ES3_jPlPS6_PKS6_NS0_5tupleIJS9_S6_EEENSD_IJSA_SA_EEENS0_18inequality_wrapperIZN2at6native12_GLOBAL__N_124unique_dim_cuda_templateIlEESt5tupleIJNSH_6TensorESM_SM_EERKSM_lbbbEUlllE0_EEPmJS6_EEE10hipError_tPvRmT3_T4_T5_T6_T7_T9_mT8_P12ihipStream_tbDpT10_ENKUlT_T0_E_clISt17integral_constantIbLb0EES1C_EEDaS17_S18_EUlS17_E_NS1_11comp_targetILNS1_3genE5ELNS1_11target_archE942ELNS1_3gpuE9ELNS1_3repE0EEENS1_30default_config_static_selectorELNS0_4arch9wavefront6targetE1EEEvT1_, .Lfunc_end568-_ZN7rocprim17ROCPRIM_400000_NS6detail17trampoline_kernelINS0_14default_configENS1_25partition_config_selectorILNS1_17partition_subalgoE8ElNS0_10empty_typeEbEEZZNS1_14partition_implILS5_8ELb0ES3_jPlPS6_PKS6_NS0_5tupleIJS9_S6_EEENSD_IJSA_SA_EEENS0_18inequality_wrapperIZN2at6native12_GLOBAL__N_124unique_dim_cuda_templateIlEESt5tupleIJNSH_6TensorESM_SM_EERKSM_lbbbEUlllE0_EEPmJS6_EEE10hipError_tPvRmT3_T4_T5_T6_T7_T9_mT8_P12ihipStream_tbDpT10_ENKUlT_T0_E_clISt17integral_constantIbLb0EES1C_EEDaS17_S18_EUlS17_E_NS1_11comp_targetILNS1_3genE5ELNS1_11target_archE942ELNS1_3gpuE9ELNS1_3repE0EEENS1_30default_config_static_selectorELNS0_4arch9wavefront6targetE1EEEvT1_
                                        ; -- End function
	.section	.AMDGPU.csdata,"",@progbits
; Kernel info:
; codeLenInByte = 12836
; NumSgprs: 58
; NumVgprs: 52
; NumAgprs: 0
; TotalNumVgprs: 52
; ScratchSize: 0
; MemoryBound: 1
; FloatMode: 240
; IeeeMode: 1
; LDSByteSize: 28684 bytes/workgroup (compile time only)
; SGPRBlocks: 7
; VGPRBlocks: 6
; NumSGPRsForWavesPerEU: 58
; NumVGPRsForWavesPerEU: 52
; AccumOffset: 52
; Occupancy: 4
; WaveLimiterHint : 1
; COMPUTE_PGM_RSRC2:SCRATCH_EN: 0
; COMPUTE_PGM_RSRC2:USER_SGPR: 2
; COMPUTE_PGM_RSRC2:TRAP_HANDLER: 0
; COMPUTE_PGM_RSRC2:TGID_X_EN: 1
; COMPUTE_PGM_RSRC2:TGID_Y_EN: 0
; COMPUTE_PGM_RSRC2:TGID_Z_EN: 0
; COMPUTE_PGM_RSRC2:TIDIG_COMP_CNT: 0
; COMPUTE_PGM_RSRC3_GFX90A:ACCUM_OFFSET: 12
; COMPUTE_PGM_RSRC3_GFX90A:TG_SPLIT: 0
	.section	.text._ZN7rocprim17ROCPRIM_400000_NS6detail17trampoline_kernelINS0_14default_configENS1_25partition_config_selectorILNS1_17partition_subalgoE8ElNS0_10empty_typeEbEEZZNS1_14partition_implILS5_8ELb0ES3_jPlPS6_PKS6_NS0_5tupleIJS9_S6_EEENSD_IJSA_SA_EEENS0_18inequality_wrapperIZN2at6native12_GLOBAL__N_124unique_dim_cuda_templateIlEESt5tupleIJNSH_6TensorESM_SM_EERKSM_lbbbEUlllE0_EEPmJS6_EEE10hipError_tPvRmT3_T4_T5_T6_T7_T9_mT8_P12ihipStream_tbDpT10_ENKUlT_T0_E_clISt17integral_constantIbLb0EES1C_EEDaS17_S18_EUlS17_E_NS1_11comp_targetILNS1_3genE4ELNS1_11target_archE910ELNS1_3gpuE8ELNS1_3repE0EEENS1_30default_config_static_selectorELNS0_4arch9wavefront6targetE1EEEvT1_,"axG",@progbits,_ZN7rocprim17ROCPRIM_400000_NS6detail17trampoline_kernelINS0_14default_configENS1_25partition_config_selectorILNS1_17partition_subalgoE8ElNS0_10empty_typeEbEEZZNS1_14partition_implILS5_8ELb0ES3_jPlPS6_PKS6_NS0_5tupleIJS9_S6_EEENSD_IJSA_SA_EEENS0_18inequality_wrapperIZN2at6native12_GLOBAL__N_124unique_dim_cuda_templateIlEESt5tupleIJNSH_6TensorESM_SM_EERKSM_lbbbEUlllE0_EEPmJS6_EEE10hipError_tPvRmT3_T4_T5_T6_T7_T9_mT8_P12ihipStream_tbDpT10_ENKUlT_T0_E_clISt17integral_constantIbLb0EES1C_EEDaS17_S18_EUlS17_E_NS1_11comp_targetILNS1_3genE4ELNS1_11target_archE910ELNS1_3gpuE8ELNS1_3repE0EEENS1_30default_config_static_selectorELNS0_4arch9wavefront6targetE1EEEvT1_,comdat
	.globl	_ZN7rocprim17ROCPRIM_400000_NS6detail17trampoline_kernelINS0_14default_configENS1_25partition_config_selectorILNS1_17partition_subalgoE8ElNS0_10empty_typeEbEEZZNS1_14partition_implILS5_8ELb0ES3_jPlPS6_PKS6_NS0_5tupleIJS9_S6_EEENSD_IJSA_SA_EEENS0_18inequality_wrapperIZN2at6native12_GLOBAL__N_124unique_dim_cuda_templateIlEESt5tupleIJNSH_6TensorESM_SM_EERKSM_lbbbEUlllE0_EEPmJS6_EEE10hipError_tPvRmT3_T4_T5_T6_T7_T9_mT8_P12ihipStream_tbDpT10_ENKUlT_T0_E_clISt17integral_constantIbLb0EES1C_EEDaS17_S18_EUlS17_E_NS1_11comp_targetILNS1_3genE4ELNS1_11target_archE910ELNS1_3gpuE8ELNS1_3repE0EEENS1_30default_config_static_selectorELNS0_4arch9wavefront6targetE1EEEvT1_ ; -- Begin function _ZN7rocprim17ROCPRIM_400000_NS6detail17trampoline_kernelINS0_14default_configENS1_25partition_config_selectorILNS1_17partition_subalgoE8ElNS0_10empty_typeEbEEZZNS1_14partition_implILS5_8ELb0ES3_jPlPS6_PKS6_NS0_5tupleIJS9_S6_EEENSD_IJSA_SA_EEENS0_18inequality_wrapperIZN2at6native12_GLOBAL__N_124unique_dim_cuda_templateIlEESt5tupleIJNSH_6TensorESM_SM_EERKSM_lbbbEUlllE0_EEPmJS6_EEE10hipError_tPvRmT3_T4_T5_T6_T7_T9_mT8_P12ihipStream_tbDpT10_ENKUlT_T0_E_clISt17integral_constantIbLb0EES1C_EEDaS17_S18_EUlS17_E_NS1_11comp_targetILNS1_3genE4ELNS1_11target_archE910ELNS1_3gpuE8ELNS1_3repE0EEENS1_30default_config_static_selectorELNS0_4arch9wavefront6targetE1EEEvT1_
	.p2align	8
	.type	_ZN7rocprim17ROCPRIM_400000_NS6detail17trampoline_kernelINS0_14default_configENS1_25partition_config_selectorILNS1_17partition_subalgoE8ElNS0_10empty_typeEbEEZZNS1_14partition_implILS5_8ELb0ES3_jPlPS6_PKS6_NS0_5tupleIJS9_S6_EEENSD_IJSA_SA_EEENS0_18inequality_wrapperIZN2at6native12_GLOBAL__N_124unique_dim_cuda_templateIlEESt5tupleIJNSH_6TensorESM_SM_EERKSM_lbbbEUlllE0_EEPmJS6_EEE10hipError_tPvRmT3_T4_T5_T6_T7_T9_mT8_P12ihipStream_tbDpT10_ENKUlT_T0_E_clISt17integral_constantIbLb0EES1C_EEDaS17_S18_EUlS17_E_NS1_11comp_targetILNS1_3genE4ELNS1_11target_archE910ELNS1_3gpuE8ELNS1_3repE0EEENS1_30default_config_static_selectorELNS0_4arch9wavefront6targetE1EEEvT1_,@function
_ZN7rocprim17ROCPRIM_400000_NS6detail17trampoline_kernelINS0_14default_configENS1_25partition_config_selectorILNS1_17partition_subalgoE8ElNS0_10empty_typeEbEEZZNS1_14partition_implILS5_8ELb0ES3_jPlPS6_PKS6_NS0_5tupleIJS9_S6_EEENSD_IJSA_SA_EEENS0_18inequality_wrapperIZN2at6native12_GLOBAL__N_124unique_dim_cuda_templateIlEESt5tupleIJNSH_6TensorESM_SM_EERKSM_lbbbEUlllE0_EEPmJS6_EEE10hipError_tPvRmT3_T4_T5_T6_T7_T9_mT8_P12ihipStream_tbDpT10_ENKUlT_T0_E_clISt17integral_constantIbLb0EES1C_EEDaS17_S18_EUlS17_E_NS1_11comp_targetILNS1_3genE4ELNS1_11target_archE910ELNS1_3gpuE8ELNS1_3repE0EEENS1_30default_config_static_selectorELNS0_4arch9wavefront6targetE1EEEvT1_: ; @_ZN7rocprim17ROCPRIM_400000_NS6detail17trampoline_kernelINS0_14default_configENS1_25partition_config_selectorILNS1_17partition_subalgoE8ElNS0_10empty_typeEbEEZZNS1_14partition_implILS5_8ELb0ES3_jPlPS6_PKS6_NS0_5tupleIJS9_S6_EEENSD_IJSA_SA_EEENS0_18inequality_wrapperIZN2at6native12_GLOBAL__N_124unique_dim_cuda_templateIlEESt5tupleIJNSH_6TensorESM_SM_EERKSM_lbbbEUlllE0_EEPmJS6_EEE10hipError_tPvRmT3_T4_T5_T6_T7_T9_mT8_P12ihipStream_tbDpT10_ENKUlT_T0_E_clISt17integral_constantIbLb0EES1C_EEDaS17_S18_EUlS17_E_NS1_11comp_targetILNS1_3genE4ELNS1_11target_archE910ELNS1_3gpuE8ELNS1_3repE0EEENS1_30default_config_static_selectorELNS0_4arch9wavefront6targetE1EEEvT1_
; %bb.0:
	.section	.rodata,"a",@progbits
	.p2align	6, 0x0
	.amdhsa_kernel _ZN7rocprim17ROCPRIM_400000_NS6detail17trampoline_kernelINS0_14default_configENS1_25partition_config_selectorILNS1_17partition_subalgoE8ElNS0_10empty_typeEbEEZZNS1_14partition_implILS5_8ELb0ES3_jPlPS6_PKS6_NS0_5tupleIJS9_S6_EEENSD_IJSA_SA_EEENS0_18inequality_wrapperIZN2at6native12_GLOBAL__N_124unique_dim_cuda_templateIlEESt5tupleIJNSH_6TensorESM_SM_EERKSM_lbbbEUlllE0_EEPmJS6_EEE10hipError_tPvRmT3_T4_T5_T6_T7_T9_mT8_P12ihipStream_tbDpT10_ENKUlT_T0_E_clISt17integral_constantIbLb0EES1C_EEDaS17_S18_EUlS17_E_NS1_11comp_targetILNS1_3genE4ELNS1_11target_archE910ELNS1_3gpuE8ELNS1_3repE0EEENS1_30default_config_static_selectorELNS0_4arch9wavefront6targetE1EEEvT1_
		.amdhsa_group_segment_fixed_size 0
		.amdhsa_private_segment_fixed_size 0
		.amdhsa_kernarg_size 120
		.amdhsa_user_sgpr_count 2
		.amdhsa_user_sgpr_dispatch_ptr 0
		.amdhsa_user_sgpr_queue_ptr 0
		.amdhsa_user_sgpr_kernarg_segment_ptr 1
		.amdhsa_user_sgpr_dispatch_id 0
		.amdhsa_user_sgpr_kernarg_preload_length 0
		.amdhsa_user_sgpr_kernarg_preload_offset 0
		.amdhsa_user_sgpr_private_segment_size 0
		.amdhsa_uses_dynamic_stack 0
		.amdhsa_enable_private_segment 0
		.amdhsa_system_sgpr_workgroup_id_x 1
		.amdhsa_system_sgpr_workgroup_id_y 0
		.amdhsa_system_sgpr_workgroup_id_z 0
		.amdhsa_system_sgpr_workgroup_info 0
		.amdhsa_system_vgpr_workitem_id 0
		.amdhsa_next_free_vgpr 1
		.amdhsa_next_free_sgpr 0
		.amdhsa_accum_offset 4
		.amdhsa_reserve_vcc 0
		.amdhsa_float_round_mode_32 0
		.amdhsa_float_round_mode_16_64 0
		.amdhsa_float_denorm_mode_32 3
		.amdhsa_float_denorm_mode_16_64 3
		.amdhsa_dx10_clamp 1
		.amdhsa_ieee_mode 1
		.amdhsa_fp16_overflow 0
		.amdhsa_tg_split 0
		.amdhsa_exception_fp_ieee_invalid_op 0
		.amdhsa_exception_fp_denorm_src 0
		.amdhsa_exception_fp_ieee_div_zero 0
		.amdhsa_exception_fp_ieee_overflow 0
		.amdhsa_exception_fp_ieee_underflow 0
		.amdhsa_exception_fp_ieee_inexact 0
		.amdhsa_exception_int_div_zero 0
	.end_amdhsa_kernel
	.section	.text._ZN7rocprim17ROCPRIM_400000_NS6detail17trampoline_kernelINS0_14default_configENS1_25partition_config_selectorILNS1_17partition_subalgoE8ElNS0_10empty_typeEbEEZZNS1_14partition_implILS5_8ELb0ES3_jPlPS6_PKS6_NS0_5tupleIJS9_S6_EEENSD_IJSA_SA_EEENS0_18inequality_wrapperIZN2at6native12_GLOBAL__N_124unique_dim_cuda_templateIlEESt5tupleIJNSH_6TensorESM_SM_EERKSM_lbbbEUlllE0_EEPmJS6_EEE10hipError_tPvRmT3_T4_T5_T6_T7_T9_mT8_P12ihipStream_tbDpT10_ENKUlT_T0_E_clISt17integral_constantIbLb0EES1C_EEDaS17_S18_EUlS17_E_NS1_11comp_targetILNS1_3genE4ELNS1_11target_archE910ELNS1_3gpuE8ELNS1_3repE0EEENS1_30default_config_static_selectorELNS0_4arch9wavefront6targetE1EEEvT1_,"axG",@progbits,_ZN7rocprim17ROCPRIM_400000_NS6detail17trampoline_kernelINS0_14default_configENS1_25partition_config_selectorILNS1_17partition_subalgoE8ElNS0_10empty_typeEbEEZZNS1_14partition_implILS5_8ELb0ES3_jPlPS6_PKS6_NS0_5tupleIJS9_S6_EEENSD_IJSA_SA_EEENS0_18inequality_wrapperIZN2at6native12_GLOBAL__N_124unique_dim_cuda_templateIlEESt5tupleIJNSH_6TensorESM_SM_EERKSM_lbbbEUlllE0_EEPmJS6_EEE10hipError_tPvRmT3_T4_T5_T6_T7_T9_mT8_P12ihipStream_tbDpT10_ENKUlT_T0_E_clISt17integral_constantIbLb0EES1C_EEDaS17_S18_EUlS17_E_NS1_11comp_targetILNS1_3genE4ELNS1_11target_archE910ELNS1_3gpuE8ELNS1_3repE0EEENS1_30default_config_static_selectorELNS0_4arch9wavefront6targetE1EEEvT1_,comdat
.Lfunc_end569:
	.size	_ZN7rocprim17ROCPRIM_400000_NS6detail17trampoline_kernelINS0_14default_configENS1_25partition_config_selectorILNS1_17partition_subalgoE8ElNS0_10empty_typeEbEEZZNS1_14partition_implILS5_8ELb0ES3_jPlPS6_PKS6_NS0_5tupleIJS9_S6_EEENSD_IJSA_SA_EEENS0_18inequality_wrapperIZN2at6native12_GLOBAL__N_124unique_dim_cuda_templateIlEESt5tupleIJNSH_6TensorESM_SM_EERKSM_lbbbEUlllE0_EEPmJS6_EEE10hipError_tPvRmT3_T4_T5_T6_T7_T9_mT8_P12ihipStream_tbDpT10_ENKUlT_T0_E_clISt17integral_constantIbLb0EES1C_EEDaS17_S18_EUlS17_E_NS1_11comp_targetILNS1_3genE4ELNS1_11target_archE910ELNS1_3gpuE8ELNS1_3repE0EEENS1_30default_config_static_selectorELNS0_4arch9wavefront6targetE1EEEvT1_, .Lfunc_end569-_ZN7rocprim17ROCPRIM_400000_NS6detail17trampoline_kernelINS0_14default_configENS1_25partition_config_selectorILNS1_17partition_subalgoE8ElNS0_10empty_typeEbEEZZNS1_14partition_implILS5_8ELb0ES3_jPlPS6_PKS6_NS0_5tupleIJS9_S6_EEENSD_IJSA_SA_EEENS0_18inequality_wrapperIZN2at6native12_GLOBAL__N_124unique_dim_cuda_templateIlEESt5tupleIJNSH_6TensorESM_SM_EERKSM_lbbbEUlllE0_EEPmJS6_EEE10hipError_tPvRmT3_T4_T5_T6_T7_T9_mT8_P12ihipStream_tbDpT10_ENKUlT_T0_E_clISt17integral_constantIbLb0EES1C_EEDaS17_S18_EUlS17_E_NS1_11comp_targetILNS1_3genE4ELNS1_11target_archE910ELNS1_3gpuE8ELNS1_3repE0EEENS1_30default_config_static_selectorELNS0_4arch9wavefront6targetE1EEEvT1_
                                        ; -- End function
	.section	.AMDGPU.csdata,"",@progbits
; Kernel info:
; codeLenInByte = 0
; NumSgprs: 6
; NumVgprs: 0
; NumAgprs: 0
; TotalNumVgprs: 0
; ScratchSize: 0
; MemoryBound: 0
; FloatMode: 240
; IeeeMode: 1
; LDSByteSize: 0 bytes/workgroup (compile time only)
; SGPRBlocks: 0
; VGPRBlocks: 0
; NumSGPRsForWavesPerEU: 6
; NumVGPRsForWavesPerEU: 1
; AccumOffset: 4
; Occupancy: 8
; WaveLimiterHint : 0
; COMPUTE_PGM_RSRC2:SCRATCH_EN: 0
; COMPUTE_PGM_RSRC2:USER_SGPR: 2
; COMPUTE_PGM_RSRC2:TRAP_HANDLER: 0
; COMPUTE_PGM_RSRC2:TGID_X_EN: 1
; COMPUTE_PGM_RSRC2:TGID_Y_EN: 0
; COMPUTE_PGM_RSRC2:TGID_Z_EN: 0
; COMPUTE_PGM_RSRC2:TIDIG_COMP_CNT: 0
; COMPUTE_PGM_RSRC3_GFX90A:ACCUM_OFFSET: 0
; COMPUTE_PGM_RSRC3_GFX90A:TG_SPLIT: 0
	.section	.text._ZN7rocprim17ROCPRIM_400000_NS6detail17trampoline_kernelINS0_14default_configENS1_25partition_config_selectorILNS1_17partition_subalgoE8ElNS0_10empty_typeEbEEZZNS1_14partition_implILS5_8ELb0ES3_jPlPS6_PKS6_NS0_5tupleIJS9_S6_EEENSD_IJSA_SA_EEENS0_18inequality_wrapperIZN2at6native12_GLOBAL__N_124unique_dim_cuda_templateIlEESt5tupleIJNSH_6TensorESM_SM_EERKSM_lbbbEUlllE0_EEPmJS6_EEE10hipError_tPvRmT3_T4_T5_T6_T7_T9_mT8_P12ihipStream_tbDpT10_ENKUlT_T0_E_clISt17integral_constantIbLb0EES1C_EEDaS17_S18_EUlS17_E_NS1_11comp_targetILNS1_3genE3ELNS1_11target_archE908ELNS1_3gpuE7ELNS1_3repE0EEENS1_30default_config_static_selectorELNS0_4arch9wavefront6targetE1EEEvT1_,"axG",@progbits,_ZN7rocprim17ROCPRIM_400000_NS6detail17trampoline_kernelINS0_14default_configENS1_25partition_config_selectorILNS1_17partition_subalgoE8ElNS0_10empty_typeEbEEZZNS1_14partition_implILS5_8ELb0ES3_jPlPS6_PKS6_NS0_5tupleIJS9_S6_EEENSD_IJSA_SA_EEENS0_18inequality_wrapperIZN2at6native12_GLOBAL__N_124unique_dim_cuda_templateIlEESt5tupleIJNSH_6TensorESM_SM_EERKSM_lbbbEUlllE0_EEPmJS6_EEE10hipError_tPvRmT3_T4_T5_T6_T7_T9_mT8_P12ihipStream_tbDpT10_ENKUlT_T0_E_clISt17integral_constantIbLb0EES1C_EEDaS17_S18_EUlS17_E_NS1_11comp_targetILNS1_3genE3ELNS1_11target_archE908ELNS1_3gpuE7ELNS1_3repE0EEENS1_30default_config_static_selectorELNS0_4arch9wavefront6targetE1EEEvT1_,comdat
	.globl	_ZN7rocprim17ROCPRIM_400000_NS6detail17trampoline_kernelINS0_14default_configENS1_25partition_config_selectorILNS1_17partition_subalgoE8ElNS0_10empty_typeEbEEZZNS1_14partition_implILS5_8ELb0ES3_jPlPS6_PKS6_NS0_5tupleIJS9_S6_EEENSD_IJSA_SA_EEENS0_18inequality_wrapperIZN2at6native12_GLOBAL__N_124unique_dim_cuda_templateIlEESt5tupleIJNSH_6TensorESM_SM_EERKSM_lbbbEUlllE0_EEPmJS6_EEE10hipError_tPvRmT3_T4_T5_T6_T7_T9_mT8_P12ihipStream_tbDpT10_ENKUlT_T0_E_clISt17integral_constantIbLb0EES1C_EEDaS17_S18_EUlS17_E_NS1_11comp_targetILNS1_3genE3ELNS1_11target_archE908ELNS1_3gpuE7ELNS1_3repE0EEENS1_30default_config_static_selectorELNS0_4arch9wavefront6targetE1EEEvT1_ ; -- Begin function _ZN7rocprim17ROCPRIM_400000_NS6detail17trampoline_kernelINS0_14default_configENS1_25partition_config_selectorILNS1_17partition_subalgoE8ElNS0_10empty_typeEbEEZZNS1_14partition_implILS5_8ELb0ES3_jPlPS6_PKS6_NS0_5tupleIJS9_S6_EEENSD_IJSA_SA_EEENS0_18inequality_wrapperIZN2at6native12_GLOBAL__N_124unique_dim_cuda_templateIlEESt5tupleIJNSH_6TensorESM_SM_EERKSM_lbbbEUlllE0_EEPmJS6_EEE10hipError_tPvRmT3_T4_T5_T6_T7_T9_mT8_P12ihipStream_tbDpT10_ENKUlT_T0_E_clISt17integral_constantIbLb0EES1C_EEDaS17_S18_EUlS17_E_NS1_11comp_targetILNS1_3genE3ELNS1_11target_archE908ELNS1_3gpuE7ELNS1_3repE0EEENS1_30default_config_static_selectorELNS0_4arch9wavefront6targetE1EEEvT1_
	.p2align	8
	.type	_ZN7rocprim17ROCPRIM_400000_NS6detail17trampoline_kernelINS0_14default_configENS1_25partition_config_selectorILNS1_17partition_subalgoE8ElNS0_10empty_typeEbEEZZNS1_14partition_implILS5_8ELb0ES3_jPlPS6_PKS6_NS0_5tupleIJS9_S6_EEENSD_IJSA_SA_EEENS0_18inequality_wrapperIZN2at6native12_GLOBAL__N_124unique_dim_cuda_templateIlEESt5tupleIJNSH_6TensorESM_SM_EERKSM_lbbbEUlllE0_EEPmJS6_EEE10hipError_tPvRmT3_T4_T5_T6_T7_T9_mT8_P12ihipStream_tbDpT10_ENKUlT_T0_E_clISt17integral_constantIbLb0EES1C_EEDaS17_S18_EUlS17_E_NS1_11comp_targetILNS1_3genE3ELNS1_11target_archE908ELNS1_3gpuE7ELNS1_3repE0EEENS1_30default_config_static_selectorELNS0_4arch9wavefront6targetE1EEEvT1_,@function
_ZN7rocprim17ROCPRIM_400000_NS6detail17trampoline_kernelINS0_14default_configENS1_25partition_config_selectorILNS1_17partition_subalgoE8ElNS0_10empty_typeEbEEZZNS1_14partition_implILS5_8ELb0ES3_jPlPS6_PKS6_NS0_5tupleIJS9_S6_EEENSD_IJSA_SA_EEENS0_18inequality_wrapperIZN2at6native12_GLOBAL__N_124unique_dim_cuda_templateIlEESt5tupleIJNSH_6TensorESM_SM_EERKSM_lbbbEUlllE0_EEPmJS6_EEE10hipError_tPvRmT3_T4_T5_T6_T7_T9_mT8_P12ihipStream_tbDpT10_ENKUlT_T0_E_clISt17integral_constantIbLb0EES1C_EEDaS17_S18_EUlS17_E_NS1_11comp_targetILNS1_3genE3ELNS1_11target_archE908ELNS1_3gpuE7ELNS1_3repE0EEENS1_30default_config_static_selectorELNS0_4arch9wavefront6targetE1EEEvT1_: ; @_ZN7rocprim17ROCPRIM_400000_NS6detail17trampoline_kernelINS0_14default_configENS1_25partition_config_selectorILNS1_17partition_subalgoE8ElNS0_10empty_typeEbEEZZNS1_14partition_implILS5_8ELb0ES3_jPlPS6_PKS6_NS0_5tupleIJS9_S6_EEENSD_IJSA_SA_EEENS0_18inequality_wrapperIZN2at6native12_GLOBAL__N_124unique_dim_cuda_templateIlEESt5tupleIJNSH_6TensorESM_SM_EERKSM_lbbbEUlllE0_EEPmJS6_EEE10hipError_tPvRmT3_T4_T5_T6_T7_T9_mT8_P12ihipStream_tbDpT10_ENKUlT_T0_E_clISt17integral_constantIbLb0EES1C_EEDaS17_S18_EUlS17_E_NS1_11comp_targetILNS1_3genE3ELNS1_11target_archE908ELNS1_3gpuE7ELNS1_3repE0EEENS1_30default_config_static_selectorELNS0_4arch9wavefront6targetE1EEEvT1_
; %bb.0:
	.section	.rodata,"a",@progbits
	.p2align	6, 0x0
	.amdhsa_kernel _ZN7rocprim17ROCPRIM_400000_NS6detail17trampoline_kernelINS0_14default_configENS1_25partition_config_selectorILNS1_17partition_subalgoE8ElNS0_10empty_typeEbEEZZNS1_14partition_implILS5_8ELb0ES3_jPlPS6_PKS6_NS0_5tupleIJS9_S6_EEENSD_IJSA_SA_EEENS0_18inequality_wrapperIZN2at6native12_GLOBAL__N_124unique_dim_cuda_templateIlEESt5tupleIJNSH_6TensorESM_SM_EERKSM_lbbbEUlllE0_EEPmJS6_EEE10hipError_tPvRmT3_T4_T5_T6_T7_T9_mT8_P12ihipStream_tbDpT10_ENKUlT_T0_E_clISt17integral_constantIbLb0EES1C_EEDaS17_S18_EUlS17_E_NS1_11comp_targetILNS1_3genE3ELNS1_11target_archE908ELNS1_3gpuE7ELNS1_3repE0EEENS1_30default_config_static_selectorELNS0_4arch9wavefront6targetE1EEEvT1_
		.amdhsa_group_segment_fixed_size 0
		.amdhsa_private_segment_fixed_size 0
		.amdhsa_kernarg_size 120
		.amdhsa_user_sgpr_count 2
		.amdhsa_user_sgpr_dispatch_ptr 0
		.amdhsa_user_sgpr_queue_ptr 0
		.amdhsa_user_sgpr_kernarg_segment_ptr 1
		.amdhsa_user_sgpr_dispatch_id 0
		.amdhsa_user_sgpr_kernarg_preload_length 0
		.amdhsa_user_sgpr_kernarg_preload_offset 0
		.amdhsa_user_sgpr_private_segment_size 0
		.amdhsa_uses_dynamic_stack 0
		.amdhsa_enable_private_segment 0
		.amdhsa_system_sgpr_workgroup_id_x 1
		.amdhsa_system_sgpr_workgroup_id_y 0
		.amdhsa_system_sgpr_workgroup_id_z 0
		.amdhsa_system_sgpr_workgroup_info 0
		.amdhsa_system_vgpr_workitem_id 0
		.amdhsa_next_free_vgpr 1
		.amdhsa_next_free_sgpr 0
		.amdhsa_accum_offset 4
		.amdhsa_reserve_vcc 0
		.amdhsa_float_round_mode_32 0
		.amdhsa_float_round_mode_16_64 0
		.amdhsa_float_denorm_mode_32 3
		.amdhsa_float_denorm_mode_16_64 3
		.amdhsa_dx10_clamp 1
		.amdhsa_ieee_mode 1
		.amdhsa_fp16_overflow 0
		.amdhsa_tg_split 0
		.amdhsa_exception_fp_ieee_invalid_op 0
		.amdhsa_exception_fp_denorm_src 0
		.amdhsa_exception_fp_ieee_div_zero 0
		.amdhsa_exception_fp_ieee_overflow 0
		.amdhsa_exception_fp_ieee_underflow 0
		.amdhsa_exception_fp_ieee_inexact 0
		.amdhsa_exception_int_div_zero 0
	.end_amdhsa_kernel
	.section	.text._ZN7rocprim17ROCPRIM_400000_NS6detail17trampoline_kernelINS0_14default_configENS1_25partition_config_selectorILNS1_17partition_subalgoE8ElNS0_10empty_typeEbEEZZNS1_14partition_implILS5_8ELb0ES3_jPlPS6_PKS6_NS0_5tupleIJS9_S6_EEENSD_IJSA_SA_EEENS0_18inequality_wrapperIZN2at6native12_GLOBAL__N_124unique_dim_cuda_templateIlEESt5tupleIJNSH_6TensorESM_SM_EERKSM_lbbbEUlllE0_EEPmJS6_EEE10hipError_tPvRmT3_T4_T5_T6_T7_T9_mT8_P12ihipStream_tbDpT10_ENKUlT_T0_E_clISt17integral_constantIbLb0EES1C_EEDaS17_S18_EUlS17_E_NS1_11comp_targetILNS1_3genE3ELNS1_11target_archE908ELNS1_3gpuE7ELNS1_3repE0EEENS1_30default_config_static_selectorELNS0_4arch9wavefront6targetE1EEEvT1_,"axG",@progbits,_ZN7rocprim17ROCPRIM_400000_NS6detail17trampoline_kernelINS0_14default_configENS1_25partition_config_selectorILNS1_17partition_subalgoE8ElNS0_10empty_typeEbEEZZNS1_14partition_implILS5_8ELb0ES3_jPlPS6_PKS6_NS0_5tupleIJS9_S6_EEENSD_IJSA_SA_EEENS0_18inequality_wrapperIZN2at6native12_GLOBAL__N_124unique_dim_cuda_templateIlEESt5tupleIJNSH_6TensorESM_SM_EERKSM_lbbbEUlllE0_EEPmJS6_EEE10hipError_tPvRmT3_T4_T5_T6_T7_T9_mT8_P12ihipStream_tbDpT10_ENKUlT_T0_E_clISt17integral_constantIbLb0EES1C_EEDaS17_S18_EUlS17_E_NS1_11comp_targetILNS1_3genE3ELNS1_11target_archE908ELNS1_3gpuE7ELNS1_3repE0EEENS1_30default_config_static_selectorELNS0_4arch9wavefront6targetE1EEEvT1_,comdat
.Lfunc_end570:
	.size	_ZN7rocprim17ROCPRIM_400000_NS6detail17trampoline_kernelINS0_14default_configENS1_25partition_config_selectorILNS1_17partition_subalgoE8ElNS0_10empty_typeEbEEZZNS1_14partition_implILS5_8ELb0ES3_jPlPS6_PKS6_NS0_5tupleIJS9_S6_EEENSD_IJSA_SA_EEENS0_18inequality_wrapperIZN2at6native12_GLOBAL__N_124unique_dim_cuda_templateIlEESt5tupleIJNSH_6TensorESM_SM_EERKSM_lbbbEUlllE0_EEPmJS6_EEE10hipError_tPvRmT3_T4_T5_T6_T7_T9_mT8_P12ihipStream_tbDpT10_ENKUlT_T0_E_clISt17integral_constantIbLb0EES1C_EEDaS17_S18_EUlS17_E_NS1_11comp_targetILNS1_3genE3ELNS1_11target_archE908ELNS1_3gpuE7ELNS1_3repE0EEENS1_30default_config_static_selectorELNS0_4arch9wavefront6targetE1EEEvT1_, .Lfunc_end570-_ZN7rocprim17ROCPRIM_400000_NS6detail17trampoline_kernelINS0_14default_configENS1_25partition_config_selectorILNS1_17partition_subalgoE8ElNS0_10empty_typeEbEEZZNS1_14partition_implILS5_8ELb0ES3_jPlPS6_PKS6_NS0_5tupleIJS9_S6_EEENSD_IJSA_SA_EEENS0_18inequality_wrapperIZN2at6native12_GLOBAL__N_124unique_dim_cuda_templateIlEESt5tupleIJNSH_6TensorESM_SM_EERKSM_lbbbEUlllE0_EEPmJS6_EEE10hipError_tPvRmT3_T4_T5_T6_T7_T9_mT8_P12ihipStream_tbDpT10_ENKUlT_T0_E_clISt17integral_constantIbLb0EES1C_EEDaS17_S18_EUlS17_E_NS1_11comp_targetILNS1_3genE3ELNS1_11target_archE908ELNS1_3gpuE7ELNS1_3repE0EEENS1_30default_config_static_selectorELNS0_4arch9wavefront6targetE1EEEvT1_
                                        ; -- End function
	.section	.AMDGPU.csdata,"",@progbits
; Kernel info:
; codeLenInByte = 0
; NumSgprs: 6
; NumVgprs: 0
; NumAgprs: 0
; TotalNumVgprs: 0
; ScratchSize: 0
; MemoryBound: 0
; FloatMode: 240
; IeeeMode: 1
; LDSByteSize: 0 bytes/workgroup (compile time only)
; SGPRBlocks: 0
; VGPRBlocks: 0
; NumSGPRsForWavesPerEU: 6
; NumVGPRsForWavesPerEU: 1
; AccumOffset: 4
; Occupancy: 8
; WaveLimiterHint : 0
; COMPUTE_PGM_RSRC2:SCRATCH_EN: 0
; COMPUTE_PGM_RSRC2:USER_SGPR: 2
; COMPUTE_PGM_RSRC2:TRAP_HANDLER: 0
; COMPUTE_PGM_RSRC2:TGID_X_EN: 1
; COMPUTE_PGM_RSRC2:TGID_Y_EN: 0
; COMPUTE_PGM_RSRC2:TGID_Z_EN: 0
; COMPUTE_PGM_RSRC2:TIDIG_COMP_CNT: 0
; COMPUTE_PGM_RSRC3_GFX90A:ACCUM_OFFSET: 0
; COMPUTE_PGM_RSRC3_GFX90A:TG_SPLIT: 0
	.section	.text._ZN7rocprim17ROCPRIM_400000_NS6detail17trampoline_kernelINS0_14default_configENS1_25partition_config_selectorILNS1_17partition_subalgoE8ElNS0_10empty_typeEbEEZZNS1_14partition_implILS5_8ELb0ES3_jPlPS6_PKS6_NS0_5tupleIJS9_S6_EEENSD_IJSA_SA_EEENS0_18inequality_wrapperIZN2at6native12_GLOBAL__N_124unique_dim_cuda_templateIlEESt5tupleIJNSH_6TensorESM_SM_EERKSM_lbbbEUlllE0_EEPmJS6_EEE10hipError_tPvRmT3_T4_T5_T6_T7_T9_mT8_P12ihipStream_tbDpT10_ENKUlT_T0_E_clISt17integral_constantIbLb0EES1C_EEDaS17_S18_EUlS17_E_NS1_11comp_targetILNS1_3genE2ELNS1_11target_archE906ELNS1_3gpuE6ELNS1_3repE0EEENS1_30default_config_static_selectorELNS0_4arch9wavefront6targetE1EEEvT1_,"axG",@progbits,_ZN7rocprim17ROCPRIM_400000_NS6detail17trampoline_kernelINS0_14default_configENS1_25partition_config_selectorILNS1_17partition_subalgoE8ElNS0_10empty_typeEbEEZZNS1_14partition_implILS5_8ELb0ES3_jPlPS6_PKS6_NS0_5tupleIJS9_S6_EEENSD_IJSA_SA_EEENS0_18inequality_wrapperIZN2at6native12_GLOBAL__N_124unique_dim_cuda_templateIlEESt5tupleIJNSH_6TensorESM_SM_EERKSM_lbbbEUlllE0_EEPmJS6_EEE10hipError_tPvRmT3_T4_T5_T6_T7_T9_mT8_P12ihipStream_tbDpT10_ENKUlT_T0_E_clISt17integral_constantIbLb0EES1C_EEDaS17_S18_EUlS17_E_NS1_11comp_targetILNS1_3genE2ELNS1_11target_archE906ELNS1_3gpuE6ELNS1_3repE0EEENS1_30default_config_static_selectorELNS0_4arch9wavefront6targetE1EEEvT1_,comdat
	.globl	_ZN7rocprim17ROCPRIM_400000_NS6detail17trampoline_kernelINS0_14default_configENS1_25partition_config_selectorILNS1_17partition_subalgoE8ElNS0_10empty_typeEbEEZZNS1_14partition_implILS5_8ELb0ES3_jPlPS6_PKS6_NS0_5tupleIJS9_S6_EEENSD_IJSA_SA_EEENS0_18inequality_wrapperIZN2at6native12_GLOBAL__N_124unique_dim_cuda_templateIlEESt5tupleIJNSH_6TensorESM_SM_EERKSM_lbbbEUlllE0_EEPmJS6_EEE10hipError_tPvRmT3_T4_T5_T6_T7_T9_mT8_P12ihipStream_tbDpT10_ENKUlT_T0_E_clISt17integral_constantIbLb0EES1C_EEDaS17_S18_EUlS17_E_NS1_11comp_targetILNS1_3genE2ELNS1_11target_archE906ELNS1_3gpuE6ELNS1_3repE0EEENS1_30default_config_static_selectorELNS0_4arch9wavefront6targetE1EEEvT1_ ; -- Begin function _ZN7rocprim17ROCPRIM_400000_NS6detail17trampoline_kernelINS0_14default_configENS1_25partition_config_selectorILNS1_17partition_subalgoE8ElNS0_10empty_typeEbEEZZNS1_14partition_implILS5_8ELb0ES3_jPlPS6_PKS6_NS0_5tupleIJS9_S6_EEENSD_IJSA_SA_EEENS0_18inequality_wrapperIZN2at6native12_GLOBAL__N_124unique_dim_cuda_templateIlEESt5tupleIJNSH_6TensorESM_SM_EERKSM_lbbbEUlllE0_EEPmJS6_EEE10hipError_tPvRmT3_T4_T5_T6_T7_T9_mT8_P12ihipStream_tbDpT10_ENKUlT_T0_E_clISt17integral_constantIbLb0EES1C_EEDaS17_S18_EUlS17_E_NS1_11comp_targetILNS1_3genE2ELNS1_11target_archE906ELNS1_3gpuE6ELNS1_3repE0EEENS1_30default_config_static_selectorELNS0_4arch9wavefront6targetE1EEEvT1_
	.p2align	8
	.type	_ZN7rocprim17ROCPRIM_400000_NS6detail17trampoline_kernelINS0_14default_configENS1_25partition_config_selectorILNS1_17partition_subalgoE8ElNS0_10empty_typeEbEEZZNS1_14partition_implILS5_8ELb0ES3_jPlPS6_PKS6_NS0_5tupleIJS9_S6_EEENSD_IJSA_SA_EEENS0_18inequality_wrapperIZN2at6native12_GLOBAL__N_124unique_dim_cuda_templateIlEESt5tupleIJNSH_6TensorESM_SM_EERKSM_lbbbEUlllE0_EEPmJS6_EEE10hipError_tPvRmT3_T4_T5_T6_T7_T9_mT8_P12ihipStream_tbDpT10_ENKUlT_T0_E_clISt17integral_constantIbLb0EES1C_EEDaS17_S18_EUlS17_E_NS1_11comp_targetILNS1_3genE2ELNS1_11target_archE906ELNS1_3gpuE6ELNS1_3repE0EEENS1_30default_config_static_selectorELNS0_4arch9wavefront6targetE1EEEvT1_,@function
_ZN7rocprim17ROCPRIM_400000_NS6detail17trampoline_kernelINS0_14default_configENS1_25partition_config_selectorILNS1_17partition_subalgoE8ElNS0_10empty_typeEbEEZZNS1_14partition_implILS5_8ELb0ES3_jPlPS6_PKS6_NS0_5tupleIJS9_S6_EEENSD_IJSA_SA_EEENS0_18inequality_wrapperIZN2at6native12_GLOBAL__N_124unique_dim_cuda_templateIlEESt5tupleIJNSH_6TensorESM_SM_EERKSM_lbbbEUlllE0_EEPmJS6_EEE10hipError_tPvRmT3_T4_T5_T6_T7_T9_mT8_P12ihipStream_tbDpT10_ENKUlT_T0_E_clISt17integral_constantIbLb0EES1C_EEDaS17_S18_EUlS17_E_NS1_11comp_targetILNS1_3genE2ELNS1_11target_archE906ELNS1_3gpuE6ELNS1_3repE0EEENS1_30default_config_static_selectorELNS0_4arch9wavefront6targetE1EEEvT1_: ; @_ZN7rocprim17ROCPRIM_400000_NS6detail17trampoline_kernelINS0_14default_configENS1_25partition_config_selectorILNS1_17partition_subalgoE8ElNS0_10empty_typeEbEEZZNS1_14partition_implILS5_8ELb0ES3_jPlPS6_PKS6_NS0_5tupleIJS9_S6_EEENSD_IJSA_SA_EEENS0_18inequality_wrapperIZN2at6native12_GLOBAL__N_124unique_dim_cuda_templateIlEESt5tupleIJNSH_6TensorESM_SM_EERKSM_lbbbEUlllE0_EEPmJS6_EEE10hipError_tPvRmT3_T4_T5_T6_T7_T9_mT8_P12ihipStream_tbDpT10_ENKUlT_T0_E_clISt17integral_constantIbLb0EES1C_EEDaS17_S18_EUlS17_E_NS1_11comp_targetILNS1_3genE2ELNS1_11target_archE906ELNS1_3gpuE6ELNS1_3repE0EEENS1_30default_config_static_selectorELNS0_4arch9wavefront6targetE1EEEvT1_
; %bb.0:
	.section	.rodata,"a",@progbits
	.p2align	6, 0x0
	.amdhsa_kernel _ZN7rocprim17ROCPRIM_400000_NS6detail17trampoline_kernelINS0_14default_configENS1_25partition_config_selectorILNS1_17partition_subalgoE8ElNS0_10empty_typeEbEEZZNS1_14partition_implILS5_8ELb0ES3_jPlPS6_PKS6_NS0_5tupleIJS9_S6_EEENSD_IJSA_SA_EEENS0_18inequality_wrapperIZN2at6native12_GLOBAL__N_124unique_dim_cuda_templateIlEESt5tupleIJNSH_6TensorESM_SM_EERKSM_lbbbEUlllE0_EEPmJS6_EEE10hipError_tPvRmT3_T4_T5_T6_T7_T9_mT8_P12ihipStream_tbDpT10_ENKUlT_T0_E_clISt17integral_constantIbLb0EES1C_EEDaS17_S18_EUlS17_E_NS1_11comp_targetILNS1_3genE2ELNS1_11target_archE906ELNS1_3gpuE6ELNS1_3repE0EEENS1_30default_config_static_selectorELNS0_4arch9wavefront6targetE1EEEvT1_
		.amdhsa_group_segment_fixed_size 0
		.amdhsa_private_segment_fixed_size 0
		.amdhsa_kernarg_size 120
		.amdhsa_user_sgpr_count 2
		.amdhsa_user_sgpr_dispatch_ptr 0
		.amdhsa_user_sgpr_queue_ptr 0
		.amdhsa_user_sgpr_kernarg_segment_ptr 1
		.amdhsa_user_sgpr_dispatch_id 0
		.amdhsa_user_sgpr_kernarg_preload_length 0
		.amdhsa_user_sgpr_kernarg_preload_offset 0
		.amdhsa_user_sgpr_private_segment_size 0
		.amdhsa_uses_dynamic_stack 0
		.amdhsa_enable_private_segment 0
		.amdhsa_system_sgpr_workgroup_id_x 1
		.amdhsa_system_sgpr_workgroup_id_y 0
		.amdhsa_system_sgpr_workgroup_id_z 0
		.amdhsa_system_sgpr_workgroup_info 0
		.amdhsa_system_vgpr_workitem_id 0
		.amdhsa_next_free_vgpr 1
		.amdhsa_next_free_sgpr 0
		.amdhsa_accum_offset 4
		.amdhsa_reserve_vcc 0
		.amdhsa_float_round_mode_32 0
		.amdhsa_float_round_mode_16_64 0
		.amdhsa_float_denorm_mode_32 3
		.amdhsa_float_denorm_mode_16_64 3
		.amdhsa_dx10_clamp 1
		.amdhsa_ieee_mode 1
		.amdhsa_fp16_overflow 0
		.amdhsa_tg_split 0
		.amdhsa_exception_fp_ieee_invalid_op 0
		.amdhsa_exception_fp_denorm_src 0
		.amdhsa_exception_fp_ieee_div_zero 0
		.amdhsa_exception_fp_ieee_overflow 0
		.amdhsa_exception_fp_ieee_underflow 0
		.amdhsa_exception_fp_ieee_inexact 0
		.amdhsa_exception_int_div_zero 0
	.end_amdhsa_kernel
	.section	.text._ZN7rocprim17ROCPRIM_400000_NS6detail17trampoline_kernelINS0_14default_configENS1_25partition_config_selectorILNS1_17partition_subalgoE8ElNS0_10empty_typeEbEEZZNS1_14partition_implILS5_8ELb0ES3_jPlPS6_PKS6_NS0_5tupleIJS9_S6_EEENSD_IJSA_SA_EEENS0_18inequality_wrapperIZN2at6native12_GLOBAL__N_124unique_dim_cuda_templateIlEESt5tupleIJNSH_6TensorESM_SM_EERKSM_lbbbEUlllE0_EEPmJS6_EEE10hipError_tPvRmT3_T4_T5_T6_T7_T9_mT8_P12ihipStream_tbDpT10_ENKUlT_T0_E_clISt17integral_constantIbLb0EES1C_EEDaS17_S18_EUlS17_E_NS1_11comp_targetILNS1_3genE2ELNS1_11target_archE906ELNS1_3gpuE6ELNS1_3repE0EEENS1_30default_config_static_selectorELNS0_4arch9wavefront6targetE1EEEvT1_,"axG",@progbits,_ZN7rocprim17ROCPRIM_400000_NS6detail17trampoline_kernelINS0_14default_configENS1_25partition_config_selectorILNS1_17partition_subalgoE8ElNS0_10empty_typeEbEEZZNS1_14partition_implILS5_8ELb0ES3_jPlPS6_PKS6_NS0_5tupleIJS9_S6_EEENSD_IJSA_SA_EEENS0_18inequality_wrapperIZN2at6native12_GLOBAL__N_124unique_dim_cuda_templateIlEESt5tupleIJNSH_6TensorESM_SM_EERKSM_lbbbEUlllE0_EEPmJS6_EEE10hipError_tPvRmT3_T4_T5_T6_T7_T9_mT8_P12ihipStream_tbDpT10_ENKUlT_T0_E_clISt17integral_constantIbLb0EES1C_EEDaS17_S18_EUlS17_E_NS1_11comp_targetILNS1_3genE2ELNS1_11target_archE906ELNS1_3gpuE6ELNS1_3repE0EEENS1_30default_config_static_selectorELNS0_4arch9wavefront6targetE1EEEvT1_,comdat
.Lfunc_end571:
	.size	_ZN7rocprim17ROCPRIM_400000_NS6detail17trampoline_kernelINS0_14default_configENS1_25partition_config_selectorILNS1_17partition_subalgoE8ElNS0_10empty_typeEbEEZZNS1_14partition_implILS5_8ELb0ES3_jPlPS6_PKS6_NS0_5tupleIJS9_S6_EEENSD_IJSA_SA_EEENS0_18inequality_wrapperIZN2at6native12_GLOBAL__N_124unique_dim_cuda_templateIlEESt5tupleIJNSH_6TensorESM_SM_EERKSM_lbbbEUlllE0_EEPmJS6_EEE10hipError_tPvRmT3_T4_T5_T6_T7_T9_mT8_P12ihipStream_tbDpT10_ENKUlT_T0_E_clISt17integral_constantIbLb0EES1C_EEDaS17_S18_EUlS17_E_NS1_11comp_targetILNS1_3genE2ELNS1_11target_archE906ELNS1_3gpuE6ELNS1_3repE0EEENS1_30default_config_static_selectorELNS0_4arch9wavefront6targetE1EEEvT1_, .Lfunc_end571-_ZN7rocprim17ROCPRIM_400000_NS6detail17trampoline_kernelINS0_14default_configENS1_25partition_config_selectorILNS1_17partition_subalgoE8ElNS0_10empty_typeEbEEZZNS1_14partition_implILS5_8ELb0ES3_jPlPS6_PKS6_NS0_5tupleIJS9_S6_EEENSD_IJSA_SA_EEENS0_18inequality_wrapperIZN2at6native12_GLOBAL__N_124unique_dim_cuda_templateIlEESt5tupleIJNSH_6TensorESM_SM_EERKSM_lbbbEUlllE0_EEPmJS6_EEE10hipError_tPvRmT3_T4_T5_T6_T7_T9_mT8_P12ihipStream_tbDpT10_ENKUlT_T0_E_clISt17integral_constantIbLb0EES1C_EEDaS17_S18_EUlS17_E_NS1_11comp_targetILNS1_3genE2ELNS1_11target_archE906ELNS1_3gpuE6ELNS1_3repE0EEENS1_30default_config_static_selectorELNS0_4arch9wavefront6targetE1EEEvT1_
                                        ; -- End function
	.section	.AMDGPU.csdata,"",@progbits
; Kernel info:
; codeLenInByte = 0
; NumSgprs: 6
; NumVgprs: 0
; NumAgprs: 0
; TotalNumVgprs: 0
; ScratchSize: 0
; MemoryBound: 0
; FloatMode: 240
; IeeeMode: 1
; LDSByteSize: 0 bytes/workgroup (compile time only)
; SGPRBlocks: 0
; VGPRBlocks: 0
; NumSGPRsForWavesPerEU: 6
; NumVGPRsForWavesPerEU: 1
; AccumOffset: 4
; Occupancy: 8
; WaveLimiterHint : 0
; COMPUTE_PGM_RSRC2:SCRATCH_EN: 0
; COMPUTE_PGM_RSRC2:USER_SGPR: 2
; COMPUTE_PGM_RSRC2:TRAP_HANDLER: 0
; COMPUTE_PGM_RSRC2:TGID_X_EN: 1
; COMPUTE_PGM_RSRC2:TGID_Y_EN: 0
; COMPUTE_PGM_RSRC2:TGID_Z_EN: 0
; COMPUTE_PGM_RSRC2:TIDIG_COMP_CNT: 0
; COMPUTE_PGM_RSRC3_GFX90A:ACCUM_OFFSET: 0
; COMPUTE_PGM_RSRC3_GFX90A:TG_SPLIT: 0
	.section	.text._ZN7rocprim17ROCPRIM_400000_NS6detail17trampoline_kernelINS0_14default_configENS1_25partition_config_selectorILNS1_17partition_subalgoE8ElNS0_10empty_typeEbEEZZNS1_14partition_implILS5_8ELb0ES3_jPlPS6_PKS6_NS0_5tupleIJS9_S6_EEENSD_IJSA_SA_EEENS0_18inequality_wrapperIZN2at6native12_GLOBAL__N_124unique_dim_cuda_templateIlEESt5tupleIJNSH_6TensorESM_SM_EERKSM_lbbbEUlllE0_EEPmJS6_EEE10hipError_tPvRmT3_T4_T5_T6_T7_T9_mT8_P12ihipStream_tbDpT10_ENKUlT_T0_E_clISt17integral_constantIbLb0EES1C_EEDaS17_S18_EUlS17_E_NS1_11comp_targetILNS1_3genE10ELNS1_11target_archE1200ELNS1_3gpuE4ELNS1_3repE0EEENS1_30default_config_static_selectorELNS0_4arch9wavefront6targetE1EEEvT1_,"axG",@progbits,_ZN7rocprim17ROCPRIM_400000_NS6detail17trampoline_kernelINS0_14default_configENS1_25partition_config_selectorILNS1_17partition_subalgoE8ElNS0_10empty_typeEbEEZZNS1_14partition_implILS5_8ELb0ES3_jPlPS6_PKS6_NS0_5tupleIJS9_S6_EEENSD_IJSA_SA_EEENS0_18inequality_wrapperIZN2at6native12_GLOBAL__N_124unique_dim_cuda_templateIlEESt5tupleIJNSH_6TensorESM_SM_EERKSM_lbbbEUlllE0_EEPmJS6_EEE10hipError_tPvRmT3_T4_T5_T6_T7_T9_mT8_P12ihipStream_tbDpT10_ENKUlT_T0_E_clISt17integral_constantIbLb0EES1C_EEDaS17_S18_EUlS17_E_NS1_11comp_targetILNS1_3genE10ELNS1_11target_archE1200ELNS1_3gpuE4ELNS1_3repE0EEENS1_30default_config_static_selectorELNS0_4arch9wavefront6targetE1EEEvT1_,comdat
	.globl	_ZN7rocprim17ROCPRIM_400000_NS6detail17trampoline_kernelINS0_14default_configENS1_25partition_config_selectorILNS1_17partition_subalgoE8ElNS0_10empty_typeEbEEZZNS1_14partition_implILS5_8ELb0ES3_jPlPS6_PKS6_NS0_5tupleIJS9_S6_EEENSD_IJSA_SA_EEENS0_18inequality_wrapperIZN2at6native12_GLOBAL__N_124unique_dim_cuda_templateIlEESt5tupleIJNSH_6TensorESM_SM_EERKSM_lbbbEUlllE0_EEPmJS6_EEE10hipError_tPvRmT3_T4_T5_T6_T7_T9_mT8_P12ihipStream_tbDpT10_ENKUlT_T0_E_clISt17integral_constantIbLb0EES1C_EEDaS17_S18_EUlS17_E_NS1_11comp_targetILNS1_3genE10ELNS1_11target_archE1200ELNS1_3gpuE4ELNS1_3repE0EEENS1_30default_config_static_selectorELNS0_4arch9wavefront6targetE1EEEvT1_ ; -- Begin function _ZN7rocprim17ROCPRIM_400000_NS6detail17trampoline_kernelINS0_14default_configENS1_25partition_config_selectorILNS1_17partition_subalgoE8ElNS0_10empty_typeEbEEZZNS1_14partition_implILS5_8ELb0ES3_jPlPS6_PKS6_NS0_5tupleIJS9_S6_EEENSD_IJSA_SA_EEENS0_18inequality_wrapperIZN2at6native12_GLOBAL__N_124unique_dim_cuda_templateIlEESt5tupleIJNSH_6TensorESM_SM_EERKSM_lbbbEUlllE0_EEPmJS6_EEE10hipError_tPvRmT3_T4_T5_T6_T7_T9_mT8_P12ihipStream_tbDpT10_ENKUlT_T0_E_clISt17integral_constantIbLb0EES1C_EEDaS17_S18_EUlS17_E_NS1_11comp_targetILNS1_3genE10ELNS1_11target_archE1200ELNS1_3gpuE4ELNS1_3repE0EEENS1_30default_config_static_selectorELNS0_4arch9wavefront6targetE1EEEvT1_
	.p2align	8
	.type	_ZN7rocprim17ROCPRIM_400000_NS6detail17trampoline_kernelINS0_14default_configENS1_25partition_config_selectorILNS1_17partition_subalgoE8ElNS0_10empty_typeEbEEZZNS1_14partition_implILS5_8ELb0ES3_jPlPS6_PKS6_NS0_5tupleIJS9_S6_EEENSD_IJSA_SA_EEENS0_18inequality_wrapperIZN2at6native12_GLOBAL__N_124unique_dim_cuda_templateIlEESt5tupleIJNSH_6TensorESM_SM_EERKSM_lbbbEUlllE0_EEPmJS6_EEE10hipError_tPvRmT3_T4_T5_T6_T7_T9_mT8_P12ihipStream_tbDpT10_ENKUlT_T0_E_clISt17integral_constantIbLb0EES1C_EEDaS17_S18_EUlS17_E_NS1_11comp_targetILNS1_3genE10ELNS1_11target_archE1200ELNS1_3gpuE4ELNS1_3repE0EEENS1_30default_config_static_selectorELNS0_4arch9wavefront6targetE1EEEvT1_,@function
_ZN7rocprim17ROCPRIM_400000_NS6detail17trampoline_kernelINS0_14default_configENS1_25partition_config_selectorILNS1_17partition_subalgoE8ElNS0_10empty_typeEbEEZZNS1_14partition_implILS5_8ELb0ES3_jPlPS6_PKS6_NS0_5tupleIJS9_S6_EEENSD_IJSA_SA_EEENS0_18inequality_wrapperIZN2at6native12_GLOBAL__N_124unique_dim_cuda_templateIlEESt5tupleIJNSH_6TensorESM_SM_EERKSM_lbbbEUlllE0_EEPmJS6_EEE10hipError_tPvRmT3_T4_T5_T6_T7_T9_mT8_P12ihipStream_tbDpT10_ENKUlT_T0_E_clISt17integral_constantIbLb0EES1C_EEDaS17_S18_EUlS17_E_NS1_11comp_targetILNS1_3genE10ELNS1_11target_archE1200ELNS1_3gpuE4ELNS1_3repE0EEENS1_30default_config_static_selectorELNS0_4arch9wavefront6targetE1EEEvT1_: ; @_ZN7rocprim17ROCPRIM_400000_NS6detail17trampoline_kernelINS0_14default_configENS1_25partition_config_selectorILNS1_17partition_subalgoE8ElNS0_10empty_typeEbEEZZNS1_14partition_implILS5_8ELb0ES3_jPlPS6_PKS6_NS0_5tupleIJS9_S6_EEENSD_IJSA_SA_EEENS0_18inequality_wrapperIZN2at6native12_GLOBAL__N_124unique_dim_cuda_templateIlEESt5tupleIJNSH_6TensorESM_SM_EERKSM_lbbbEUlllE0_EEPmJS6_EEE10hipError_tPvRmT3_T4_T5_T6_T7_T9_mT8_P12ihipStream_tbDpT10_ENKUlT_T0_E_clISt17integral_constantIbLb0EES1C_EEDaS17_S18_EUlS17_E_NS1_11comp_targetILNS1_3genE10ELNS1_11target_archE1200ELNS1_3gpuE4ELNS1_3repE0EEENS1_30default_config_static_selectorELNS0_4arch9wavefront6targetE1EEEvT1_
; %bb.0:
	.section	.rodata,"a",@progbits
	.p2align	6, 0x0
	.amdhsa_kernel _ZN7rocprim17ROCPRIM_400000_NS6detail17trampoline_kernelINS0_14default_configENS1_25partition_config_selectorILNS1_17partition_subalgoE8ElNS0_10empty_typeEbEEZZNS1_14partition_implILS5_8ELb0ES3_jPlPS6_PKS6_NS0_5tupleIJS9_S6_EEENSD_IJSA_SA_EEENS0_18inequality_wrapperIZN2at6native12_GLOBAL__N_124unique_dim_cuda_templateIlEESt5tupleIJNSH_6TensorESM_SM_EERKSM_lbbbEUlllE0_EEPmJS6_EEE10hipError_tPvRmT3_T4_T5_T6_T7_T9_mT8_P12ihipStream_tbDpT10_ENKUlT_T0_E_clISt17integral_constantIbLb0EES1C_EEDaS17_S18_EUlS17_E_NS1_11comp_targetILNS1_3genE10ELNS1_11target_archE1200ELNS1_3gpuE4ELNS1_3repE0EEENS1_30default_config_static_selectorELNS0_4arch9wavefront6targetE1EEEvT1_
		.amdhsa_group_segment_fixed_size 0
		.amdhsa_private_segment_fixed_size 0
		.amdhsa_kernarg_size 120
		.amdhsa_user_sgpr_count 2
		.amdhsa_user_sgpr_dispatch_ptr 0
		.amdhsa_user_sgpr_queue_ptr 0
		.amdhsa_user_sgpr_kernarg_segment_ptr 1
		.amdhsa_user_sgpr_dispatch_id 0
		.amdhsa_user_sgpr_kernarg_preload_length 0
		.amdhsa_user_sgpr_kernarg_preload_offset 0
		.amdhsa_user_sgpr_private_segment_size 0
		.amdhsa_uses_dynamic_stack 0
		.amdhsa_enable_private_segment 0
		.amdhsa_system_sgpr_workgroup_id_x 1
		.amdhsa_system_sgpr_workgroup_id_y 0
		.amdhsa_system_sgpr_workgroup_id_z 0
		.amdhsa_system_sgpr_workgroup_info 0
		.amdhsa_system_vgpr_workitem_id 0
		.amdhsa_next_free_vgpr 1
		.amdhsa_next_free_sgpr 0
		.amdhsa_accum_offset 4
		.amdhsa_reserve_vcc 0
		.amdhsa_float_round_mode_32 0
		.amdhsa_float_round_mode_16_64 0
		.amdhsa_float_denorm_mode_32 3
		.amdhsa_float_denorm_mode_16_64 3
		.amdhsa_dx10_clamp 1
		.amdhsa_ieee_mode 1
		.amdhsa_fp16_overflow 0
		.amdhsa_tg_split 0
		.amdhsa_exception_fp_ieee_invalid_op 0
		.amdhsa_exception_fp_denorm_src 0
		.amdhsa_exception_fp_ieee_div_zero 0
		.amdhsa_exception_fp_ieee_overflow 0
		.amdhsa_exception_fp_ieee_underflow 0
		.amdhsa_exception_fp_ieee_inexact 0
		.amdhsa_exception_int_div_zero 0
	.end_amdhsa_kernel
	.section	.text._ZN7rocprim17ROCPRIM_400000_NS6detail17trampoline_kernelINS0_14default_configENS1_25partition_config_selectorILNS1_17partition_subalgoE8ElNS0_10empty_typeEbEEZZNS1_14partition_implILS5_8ELb0ES3_jPlPS6_PKS6_NS0_5tupleIJS9_S6_EEENSD_IJSA_SA_EEENS0_18inequality_wrapperIZN2at6native12_GLOBAL__N_124unique_dim_cuda_templateIlEESt5tupleIJNSH_6TensorESM_SM_EERKSM_lbbbEUlllE0_EEPmJS6_EEE10hipError_tPvRmT3_T4_T5_T6_T7_T9_mT8_P12ihipStream_tbDpT10_ENKUlT_T0_E_clISt17integral_constantIbLb0EES1C_EEDaS17_S18_EUlS17_E_NS1_11comp_targetILNS1_3genE10ELNS1_11target_archE1200ELNS1_3gpuE4ELNS1_3repE0EEENS1_30default_config_static_selectorELNS0_4arch9wavefront6targetE1EEEvT1_,"axG",@progbits,_ZN7rocprim17ROCPRIM_400000_NS6detail17trampoline_kernelINS0_14default_configENS1_25partition_config_selectorILNS1_17partition_subalgoE8ElNS0_10empty_typeEbEEZZNS1_14partition_implILS5_8ELb0ES3_jPlPS6_PKS6_NS0_5tupleIJS9_S6_EEENSD_IJSA_SA_EEENS0_18inequality_wrapperIZN2at6native12_GLOBAL__N_124unique_dim_cuda_templateIlEESt5tupleIJNSH_6TensorESM_SM_EERKSM_lbbbEUlllE0_EEPmJS6_EEE10hipError_tPvRmT3_T4_T5_T6_T7_T9_mT8_P12ihipStream_tbDpT10_ENKUlT_T0_E_clISt17integral_constantIbLb0EES1C_EEDaS17_S18_EUlS17_E_NS1_11comp_targetILNS1_3genE10ELNS1_11target_archE1200ELNS1_3gpuE4ELNS1_3repE0EEENS1_30default_config_static_selectorELNS0_4arch9wavefront6targetE1EEEvT1_,comdat
.Lfunc_end572:
	.size	_ZN7rocprim17ROCPRIM_400000_NS6detail17trampoline_kernelINS0_14default_configENS1_25partition_config_selectorILNS1_17partition_subalgoE8ElNS0_10empty_typeEbEEZZNS1_14partition_implILS5_8ELb0ES3_jPlPS6_PKS6_NS0_5tupleIJS9_S6_EEENSD_IJSA_SA_EEENS0_18inequality_wrapperIZN2at6native12_GLOBAL__N_124unique_dim_cuda_templateIlEESt5tupleIJNSH_6TensorESM_SM_EERKSM_lbbbEUlllE0_EEPmJS6_EEE10hipError_tPvRmT3_T4_T5_T6_T7_T9_mT8_P12ihipStream_tbDpT10_ENKUlT_T0_E_clISt17integral_constantIbLb0EES1C_EEDaS17_S18_EUlS17_E_NS1_11comp_targetILNS1_3genE10ELNS1_11target_archE1200ELNS1_3gpuE4ELNS1_3repE0EEENS1_30default_config_static_selectorELNS0_4arch9wavefront6targetE1EEEvT1_, .Lfunc_end572-_ZN7rocprim17ROCPRIM_400000_NS6detail17trampoline_kernelINS0_14default_configENS1_25partition_config_selectorILNS1_17partition_subalgoE8ElNS0_10empty_typeEbEEZZNS1_14partition_implILS5_8ELb0ES3_jPlPS6_PKS6_NS0_5tupleIJS9_S6_EEENSD_IJSA_SA_EEENS0_18inequality_wrapperIZN2at6native12_GLOBAL__N_124unique_dim_cuda_templateIlEESt5tupleIJNSH_6TensorESM_SM_EERKSM_lbbbEUlllE0_EEPmJS6_EEE10hipError_tPvRmT3_T4_T5_T6_T7_T9_mT8_P12ihipStream_tbDpT10_ENKUlT_T0_E_clISt17integral_constantIbLb0EES1C_EEDaS17_S18_EUlS17_E_NS1_11comp_targetILNS1_3genE10ELNS1_11target_archE1200ELNS1_3gpuE4ELNS1_3repE0EEENS1_30default_config_static_selectorELNS0_4arch9wavefront6targetE1EEEvT1_
                                        ; -- End function
	.section	.AMDGPU.csdata,"",@progbits
; Kernel info:
; codeLenInByte = 0
; NumSgprs: 6
; NumVgprs: 0
; NumAgprs: 0
; TotalNumVgprs: 0
; ScratchSize: 0
; MemoryBound: 0
; FloatMode: 240
; IeeeMode: 1
; LDSByteSize: 0 bytes/workgroup (compile time only)
; SGPRBlocks: 0
; VGPRBlocks: 0
; NumSGPRsForWavesPerEU: 6
; NumVGPRsForWavesPerEU: 1
; AccumOffset: 4
; Occupancy: 8
; WaveLimiterHint : 0
; COMPUTE_PGM_RSRC2:SCRATCH_EN: 0
; COMPUTE_PGM_RSRC2:USER_SGPR: 2
; COMPUTE_PGM_RSRC2:TRAP_HANDLER: 0
; COMPUTE_PGM_RSRC2:TGID_X_EN: 1
; COMPUTE_PGM_RSRC2:TGID_Y_EN: 0
; COMPUTE_PGM_RSRC2:TGID_Z_EN: 0
; COMPUTE_PGM_RSRC2:TIDIG_COMP_CNT: 0
; COMPUTE_PGM_RSRC3_GFX90A:ACCUM_OFFSET: 0
; COMPUTE_PGM_RSRC3_GFX90A:TG_SPLIT: 0
	.section	.text._ZN7rocprim17ROCPRIM_400000_NS6detail17trampoline_kernelINS0_14default_configENS1_25partition_config_selectorILNS1_17partition_subalgoE8ElNS0_10empty_typeEbEEZZNS1_14partition_implILS5_8ELb0ES3_jPlPS6_PKS6_NS0_5tupleIJS9_S6_EEENSD_IJSA_SA_EEENS0_18inequality_wrapperIZN2at6native12_GLOBAL__N_124unique_dim_cuda_templateIlEESt5tupleIJNSH_6TensorESM_SM_EERKSM_lbbbEUlllE0_EEPmJS6_EEE10hipError_tPvRmT3_T4_T5_T6_T7_T9_mT8_P12ihipStream_tbDpT10_ENKUlT_T0_E_clISt17integral_constantIbLb0EES1C_EEDaS17_S18_EUlS17_E_NS1_11comp_targetILNS1_3genE9ELNS1_11target_archE1100ELNS1_3gpuE3ELNS1_3repE0EEENS1_30default_config_static_selectorELNS0_4arch9wavefront6targetE1EEEvT1_,"axG",@progbits,_ZN7rocprim17ROCPRIM_400000_NS6detail17trampoline_kernelINS0_14default_configENS1_25partition_config_selectorILNS1_17partition_subalgoE8ElNS0_10empty_typeEbEEZZNS1_14partition_implILS5_8ELb0ES3_jPlPS6_PKS6_NS0_5tupleIJS9_S6_EEENSD_IJSA_SA_EEENS0_18inequality_wrapperIZN2at6native12_GLOBAL__N_124unique_dim_cuda_templateIlEESt5tupleIJNSH_6TensorESM_SM_EERKSM_lbbbEUlllE0_EEPmJS6_EEE10hipError_tPvRmT3_T4_T5_T6_T7_T9_mT8_P12ihipStream_tbDpT10_ENKUlT_T0_E_clISt17integral_constantIbLb0EES1C_EEDaS17_S18_EUlS17_E_NS1_11comp_targetILNS1_3genE9ELNS1_11target_archE1100ELNS1_3gpuE3ELNS1_3repE0EEENS1_30default_config_static_selectorELNS0_4arch9wavefront6targetE1EEEvT1_,comdat
	.globl	_ZN7rocprim17ROCPRIM_400000_NS6detail17trampoline_kernelINS0_14default_configENS1_25partition_config_selectorILNS1_17partition_subalgoE8ElNS0_10empty_typeEbEEZZNS1_14partition_implILS5_8ELb0ES3_jPlPS6_PKS6_NS0_5tupleIJS9_S6_EEENSD_IJSA_SA_EEENS0_18inequality_wrapperIZN2at6native12_GLOBAL__N_124unique_dim_cuda_templateIlEESt5tupleIJNSH_6TensorESM_SM_EERKSM_lbbbEUlllE0_EEPmJS6_EEE10hipError_tPvRmT3_T4_T5_T6_T7_T9_mT8_P12ihipStream_tbDpT10_ENKUlT_T0_E_clISt17integral_constantIbLb0EES1C_EEDaS17_S18_EUlS17_E_NS1_11comp_targetILNS1_3genE9ELNS1_11target_archE1100ELNS1_3gpuE3ELNS1_3repE0EEENS1_30default_config_static_selectorELNS0_4arch9wavefront6targetE1EEEvT1_ ; -- Begin function _ZN7rocprim17ROCPRIM_400000_NS6detail17trampoline_kernelINS0_14default_configENS1_25partition_config_selectorILNS1_17partition_subalgoE8ElNS0_10empty_typeEbEEZZNS1_14partition_implILS5_8ELb0ES3_jPlPS6_PKS6_NS0_5tupleIJS9_S6_EEENSD_IJSA_SA_EEENS0_18inequality_wrapperIZN2at6native12_GLOBAL__N_124unique_dim_cuda_templateIlEESt5tupleIJNSH_6TensorESM_SM_EERKSM_lbbbEUlllE0_EEPmJS6_EEE10hipError_tPvRmT3_T4_T5_T6_T7_T9_mT8_P12ihipStream_tbDpT10_ENKUlT_T0_E_clISt17integral_constantIbLb0EES1C_EEDaS17_S18_EUlS17_E_NS1_11comp_targetILNS1_3genE9ELNS1_11target_archE1100ELNS1_3gpuE3ELNS1_3repE0EEENS1_30default_config_static_selectorELNS0_4arch9wavefront6targetE1EEEvT1_
	.p2align	8
	.type	_ZN7rocprim17ROCPRIM_400000_NS6detail17trampoline_kernelINS0_14default_configENS1_25partition_config_selectorILNS1_17partition_subalgoE8ElNS0_10empty_typeEbEEZZNS1_14partition_implILS5_8ELb0ES3_jPlPS6_PKS6_NS0_5tupleIJS9_S6_EEENSD_IJSA_SA_EEENS0_18inequality_wrapperIZN2at6native12_GLOBAL__N_124unique_dim_cuda_templateIlEESt5tupleIJNSH_6TensorESM_SM_EERKSM_lbbbEUlllE0_EEPmJS6_EEE10hipError_tPvRmT3_T4_T5_T6_T7_T9_mT8_P12ihipStream_tbDpT10_ENKUlT_T0_E_clISt17integral_constantIbLb0EES1C_EEDaS17_S18_EUlS17_E_NS1_11comp_targetILNS1_3genE9ELNS1_11target_archE1100ELNS1_3gpuE3ELNS1_3repE0EEENS1_30default_config_static_selectorELNS0_4arch9wavefront6targetE1EEEvT1_,@function
_ZN7rocprim17ROCPRIM_400000_NS6detail17trampoline_kernelINS0_14default_configENS1_25partition_config_selectorILNS1_17partition_subalgoE8ElNS0_10empty_typeEbEEZZNS1_14partition_implILS5_8ELb0ES3_jPlPS6_PKS6_NS0_5tupleIJS9_S6_EEENSD_IJSA_SA_EEENS0_18inequality_wrapperIZN2at6native12_GLOBAL__N_124unique_dim_cuda_templateIlEESt5tupleIJNSH_6TensorESM_SM_EERKSM_lbbbEUlllE0_EEPmJS6_EEE10hipError_tPvRmT3_T4_T5_T6_T7_T9_mT8_P12ihipStream_tbDpT10_ENKUlT_T0_E_clISt17integral_constantIbLb0EES1C_EEDaS17_S18_EUlS17_E_NS1_11comp_targetILNS1_3genE9ELNS1_11target_archE1100ELNS1_3gpuE3ELNS1_3repE0EEENS1_30default_config_static_selectorELNS0_4arch9wavefront6targetE1EEEvT1_: ; @_ZN7rocprim17ROCPRIM_400000_NS6detail17trampoline_kernelINS0_14default_configENS1_25partition_config_selectorILNS1_17partition_subalgoE8ElNS0_10empty_typeEbEEZZNS1_14partition_implILS5_8ELb0ES3_jPlPS6_PKS6_NS0_5tupleIJS9_S6_EEENSD_IJSA_SA_EEENS0_18inequality_wrapperIZN2at6native12_GLOBAL__N_124unique_dim_cuda_templateIlEESt5tupleIJNSH_6TensorESM_SM_EERKSM_lbbbEUlllE0_EEPmJS6_EEE10hipError_tPvRmT3_T4_T5_T6_T7_T9_mT8_P12ihipStream_tbDpT10_ENKUlT_T0_E_clISt17integral_constantIbLb0EES1C_EEDaS17_S18_EUlS17_E_NS1_11comp_targetILNS1_3genE9ELNS1_11target_archE1100ELNS1_3gpuE3ELNS1_3repE0EEENS1_30default_config_static_selectorELNS0_4arch9wavefront6targetE1EEEvT1_
; %bb.0:
	.section	.rodata,"a",@progbits
	.p2align	6, 0x0
	.amdhsa_kernel _ZN7rocprim17ROCPRIM_400000_NS6detail17trampoline_kernelINS0_14default_configENS1_25partition_config_selectorILNS1_17partition_subalgoE8ElNS0_10empty_typeEbEEZZNS1_14partition_implILS5_8ELb0ES3_jPlPS6_PKS6_NS0_5tupleIJS9_S6_EEENSD_IJSA_SA_EEENS0_18inequality_wrapperIZN2at6native12_GLOBAL__N_124unique_dim_cuda_templateIlEESt5tupleIJNSH_6TensorESM_SM_EERKSM_lbbbEUlllE0_EEPmJS6_EEE10hipError_tPvRmT3_T4_T5_T6_T7_T9_mT8_P12ihipStream_tbDpT10_ENKUlT_T0_E_clISt17integral_constantIbLb0EES1C_EEDaS17_S18_EUlS17_E_NS1_11comp_targetILNS1_3genE9ELNS1_11target_archE1100ELNS1_3gpuE3ELNS1_3repE0EEENS1_30default_config_static_selectorELNS0_4arch9wavefront6targetE1EEEvT1_
		.amdhsa_group_segment_fixed_size 0
		.amdhsa_private_segment_fixed_size 0
		.amdhsa_kernarg_size 120
		.amdhsa_user_sgpr_count 2
		.amdhsa_user_sgpr_dispatch_ptr 0
		.amdhsa_user_sgpr_queue_ptr 0
		.amdhsa_user_sgpr_kernarg_segment_ptr 1
		.amdhsa_user_sgpr_dispatch_id 0
		.amdhsa_user_sgpr_kernarg_preload_length 0
		.amdhsa_user_sgpr_kernarg_preload_offset 0
		.amdhsa_user_sgpr_private_segment_size 0
		.amdhsa_uses_dynamic_stack 0
		.amdhsa_enable_private_segment 0
		.amdhsa_system_sgpr_workgroup_id_x 1
		.amdhsa_system_sgpr_workgroup_id_y 0
		.amdhsa_system_sgpr_workgroup_id_z 0
		.amdhsa_system_sgpr_workgroup_info 0
		.amdhsa_system_vgpr_workitem_id 0
		.amdhsa_next_free_vgpr 1
		.amdhsa_next_free_sgpr 0
		.amdhsa_accum_offset 4
		.amdhsa_reserve_vcc 0
		.amdhsa_float_round_mode_32 0
		.amdhsa_float_round_mode_16_64 0
		.amdhsa_float_denorm_mode_32 3
		.amdhsa_float_denorm_mode_16_64 3
		.amdhsa_dx10_clamp 1
		.amdhsa_ieee_mode 1
		.amdhsa_fp16_overflow 0
		.amdhsa_tg_split 0
		.amdhsa_exception_fp_ieee_invalid_op 0
		.amdhsa_exception_fp_denorm_src 0
		.amdhsa_exception_fp_ieee_div_zero 0
		.amdhsa_exception_fp_ieee_overflow 0
		.amdhsa_exception_fp_ieee_underflow 0
		.amdhsa_exception_fp_ieee_inexact 0
		.amdhsa_exception_int_div_zero 0
	.end_amdhsa_kernel
	.section	.text._ZN7rocprim17ROCPRIM_400000_NS6detail17trampoline_kernelINS0_14default_configENS1_25partition_config_selectorILNS1_17partition_subalgoE8ElNS0_10empty_typeEbEEZZNS1_14partition_implILS5_8ELb0ES3_jPlPS6_PKS6_NS0_5tupleIJS9_S6_EEENSD_IJSA_SA_EEENS0_18inequality_wrapperIZN2at6native12_GLOBAL__N_124unique_dim_cuda_templateIlEESt5tupleIJNSH_6TensorESM_SM_EERKSM_lbbbEUlllE0_EEPmJS6_EEE10hipError_tPvRmT3_T4_T5_T6_T7_T9_mT8_P12ihipStream_tbDpT10_ENKUlT_T0_E_clISt17integral_constantIbLb0EES1C_EEDaS17_S18_EUlS17_E_NS1_11comp_targetILNS1_3genE9ELNS1_11target_archE1100ELNS1_3gpuE3ELNS1_3repE0EEENS1_30default_config_static_selectorELNS0_4arch9wavefront6targetE1EEEvT1_,"axG",@progbits,_ZN7rocprim17ROCPRIM_400000_NS6detail17trampoline_kernelINS0_14default_configENS1_25partition_config_selectorILNS1_17partition_subalgoE8ElNS0_10empty_typeEbEEZZNS1_14partition_implILS5_8ELb0ES3_jPlPS6_PKS6_NS0_5tupleIJS9_S6_EEENSD_IJSA_SA_EEENS0_18inequality_wrapperIZN2at6native12_GLOBAL__N_124unique_dim_cuda_templateIlEESt5tupleIJNSH_6TensorESM_SM_EERKSM_lbbbEUlllE0_EEPmJS6_EEE10hipError_tPvRmT3_T4_T5_T6_T7_T9_mT8_P12ihipStream_tbDpT10_ENKUlT_T0_E_clISt17integral_constantIbLb0EES1C_EEDaS17_S18_EUlS17_E_NS1_11comp_targetILNS1_3genE9ELNS1_11target_archE1100ELNS1_3gpuE3ELNS1_3repE0EEENS1_30default_config_static_selectorELNS0_4arch9wavefront6targetE1EEEvT1_,comdat
.Lfunc_end573:
	.size	_ZN7rocprim17ROCPRIM_400000_NS6detail17trampoline_kernelINS0_14default_configENS1_25partition_config_selectorILNS1_17partition_subalgoE8ElNS0_10empty_typeEbEEZZNS1_14partition_implILS5_8ELb0ES3_jPlPS6_PKS6_NS0_5tupleIJS9_S6_EEENSD_IJSA_SA_EEENS0_18inequality_wrapperIZN2at6native12_GLOBAL__N_124unique_dim_cuda_templateIlEESt5tupleIJNSH_6TensorESM_SM_EERKSM_lbbbEUlllE0_EEPmJS6_EEE10hipError_tPvRmT3_T4_T5_T6_T7_T9_mT8_P12ihipStream_tbDpT10_ENKUlT_T0_E_clISt17integral_constantIbLb0EES1C_EEDaS17_S18_EUlS17_E_NS1_11comp_targetILNS1_3genE9ELNS1_11target_archE1100ELNS1_3gpuE3ELNS1_3repE0EEENS1_30default_config_static_selectorELNS0_4arch9wavefront6targetE1EEEvT1_, .Lfunc_end573-_ZN7rocprim17ROCPRIM_400000_NS6detail17trampoline_kernelINS0_14default_configENS1_25partition_config_selectorILNS1_17partition_subalgoE8ElNS0_10empty_typeEbEEZZNS1_14partition_implILS5_8ELb0ES3_jPlPS6_PKS6_NS0_5tupleIJS9_S6_EEENSD_IJSA_SA_EEENS0_18inequality_wrapperIZN2at6native12_GLOBAL__N_124unique_dim_cuda_templateIlEESt5tupleIJNSH_6TensorESM_SM_EERKSM_lbbbEUlllE0_EEPmJS6_EEE10hipError_tPvRmT3_T4_T5_T6_T7_T9_mT8_P12ihipStream_tbDpT10_ENKUlT_T0_E_clISt17integral_constantIbLb0EES1C_EEDaS17_S18_EUlS17_E_NS1_11comp_targetILNS1_3genE9ELNS1_11target_archE1100ELNS1_3gpuE3ELNS1_3repE0EEENS1_30default_config_static_selectorELNS0_4arch9wavefront6targetE1EEEvT1_
                                        ; -- End function
	.section	.AMDGPU.csdata,"",@progbits
; Kernel info:
; codeLenInByte = 0
; NumSgprs: 6
; NumVgprs: 0
; NumAgprs: 0
; TotalNumVgprs: 0
; ScratchSize: 0
; MemoryBound: 0
; FloatMode: 240
; IeeeMode: 1
; LDSByteSize: 0 bytes/workgroup (compile time only)
; SGPRBlocks: 0
; VGPRBlocks: 0
; NumSGPRsForWavesPerEU: 6
; NumVGPRsForWavesPerEU: 1
; AccumOffset: 4
; Occupancy: 8
; WaveLimiterHint : 0
; COMPUTE_PGM_RSRC2:SCRATCH_EN: 0
; COMPUTE_PGM_RSRC2:USER_SGPR: 2
; COMPUTE_PGM_RSRC2:TRAP_HANDLER: 0
; COMPUTE_PGM_RSRC2:TGID_X_EN: 1
; COMPUTE_PGM_RSRC2:TGID_Y_EN: 0
; COMPUTE_PGM_RSRC2:TGID_Z_EN: 0
; COMPUTE_PGM_RSRC2:TIDIG_COMP_CNT: 0
; COMPUTE_PGM_RSRC3_GFX90A:ACCUM_OFFSET: 0
; COMPUTE_PGM_RSRC3_GFX90A:TG_SPLIT: 0
	.section	.text._ZN7rocprim17ROCPRIM_400000_NS6detail17trampoline_kernelINS0_14default_configENS1_25partition_config_selectorILNS1_17partition_subalgoE8ElNS0_10empty_typeEbEEZZNS1_14partition_implILS5_8ELb0ES3_jPlPS6_PKS6_NS0_5tupleIJS9_S6_EEENSD_IJSA_SA_EEENS0_18inequality_wrapperIZN2at6native12_GLOBAL__N_124unique_dim_cuda_templateIlEESt5tupleIJNSH_6TensorESM_SM_EERKSM_lbbbEUlllE0_EEPmJS6_EEE10hipError_tPvRmT3_T4_T5_T6_T7_T9_mT8_P12ihipStream_tbDpT10_ENKUlT_T0_E_clISt17integral_constantIbLb0EES1C_EEDaS17_S18_EUlS17_E_NS1_11comp_targetILNS1_3genE8ELNS1_11target_archE1030ELNS1_3gpuE2ELNS1_3repE0EEENS1_30default_config_static_selectorELNS0_4arch9wavefront6targetE1EEEvT1_,"axG",@progbits,_ZN7rocprim17ROCPRIM_400000_NS6detail17trampoline_kernelINS0_14default_configENS1_25partition_config_selectorILNS1_17partition_subalgoE8ElNS0_10empty_typeEbEEZZNS1_14partition_implILS5_8ELb0ES3_jPlPS6_PKS6_NS0_5tupleIJS9_S6_EEENSD_IJSA_SA_EEENS0_18inequality_wrapperIZN2at6native12_GLOBAL__N_124unique_dim_cuda_templateIlEESt5tupleIJNSH_6TensorESM_SM_EERKSM_lbbbEUlllE0_EEPmJS6_EEE10hipError_tPvRmT3_T4_T5_T6_T7_T9_mT8_P12ihipStream_tbDpT10_ENKUlT_T0_E_clISt17integral_constantIbLb0EES1C_EEDaS17_S18_EUlS17_E_NS1_11comp_targetILNS1_3genE8ELNS1_11target_archE1030ELNS1_3gpuE2ELNS1_3repE0EEENS1_30default_config_static_selectorELNS0_4arch9wavefront6targetE1EEEvT1_,comdat
	.globl	_ZN7rocprim17ROCPRIM_400000_NS6detail17trampoline_kernelINS0_14default_configENS1_25partition_config_selectorILNS1_17partition_subalgoE8ElNS0_10empty_typeEbEEZZNS1_14partition_implILS5_8ELb0ES3_jPlPS6_PKS6_NS0_5tupleIJS9_S6_EEENSD_IJSA_SA_EEENS0_18inequality_wrapperIZN2at6native12_GLOBAL__N_124unique_dim_cuda_templateIlEESt5tupleIJNSH_6TensorESM_SM_EERKSM_lbbbEUlllE0_EEPmJS6_EEE10hipError_tPvRmT3_T4_T5_T6_T7_T9_mT8_P12ihipStream_tbDpT10_ENKUlT_T0_E_clISt17integral_constantIbLb0EES1C_EEDaS17_S18_EUlS17_E_NS1_11comp_targetILNS1_3genE8ELNS1_11target_archE1030ELNS1_3gpuE2ELNS1_3repE0EEENS1_30default_config_static_selectorELNS0_4arch9wavefront6targetE1EEEvT1_ ; -- Begin function _ZN7rocprim17ROCPRIM_400000_NS6detail17trampoline_kernelINS0_14default_configENS1_25partition_config_selectorILNS1_17partition_subalgoE8ElNS0_10empty_typeEbEEZZNS1_14partition_implILS5_8ELb0ES3_jPlPS6_PKS6_NS0_5tupleIJS9_S6_EEENSD_IJSA_SA_EEENS0_18inequality_wrapperIZN2at6native12_GLOBAL__N_124unique_dim_cuda_templateIlEESt5tupleIJNSH_6TensorESM_SM_EERKSM_lbbbEUlllE0_EEPmJS6_EEE10hipError_tPvRmT3_T4_T5_T6_T7_T9_mT8_P12ihipStream_tbDpT10_ENKUlT_T0_E_clISt17integral_constantIbLb0EES1C_EEDaS17_S18_EUlS17_E_NS1_11comp_targetILNS1_3genE8ELNS1_11target_archE1030ELNS1_3gpuE2ELNS1_3repE0EEENS1_30default_config_static_selectorELNS0_4arch9wavefront6targetE1EEEvT1_
	.p2align	8
	.type	_ZN7rocprim17ROCPRIM_400000_NS6detail17trampoline_kernelINS0_14default_configENS1_25partition_config_selectorILNS1_17partition_subalgoE8ElNS0_10empty_typeEbEEZZNS1_14partition_implILS5_8ELb0ES3_jPlPS6_PKS6_NS0_5tupleIJS9_S6_EEENSD_IJSA_SA_EEENS0_18inequality_wrapperIZN2at6native12_GLOBAL__N_124unique_dim_cuda_templateIlEESt5tupleIJNSH_6TensorESM_SM_EERKSM_lbbbEUlllE0_EEPmJS6_EEE10hipError_tPvRmT3_T4_T5_T6_T7_T9_mT8_P12ihipStream_tbDpT10_ENKUlT_T0_E_clISt17integral_constantIbLb0EES1C_EEDaS17_S18_EUlS17_E_NS1_11comp_targetILNS1_3genE8ELNS1_11target_archE1030ELNS1_3gpuE2ELNS1_3repE0EEENS1_30default_config_static_selectorELNS0_4arch9wavefront6targetE1EEEvT1_,@function
_ZN7rocprim17ROCPRIM_400000_NS6detail17trampoline_kernelINS0_14default_configENS1_25partition_config_selectorILNS1_17partition_subalgoE8ElNS0_10empty_typeEbEEZZNS1_14partition_implILS5_8ELb0ES3_jPlPS6_PKS6_NS0_5tupleIJS9_S6_EEENSD_IJSA_SA_EEENS0_18inequality_wrapperIZN2at6native12_GLOBAL__N_124unique_dim_cuda_templateIlEESt5tupleIJNSH_6TensorESM_SM_EERKSM_lbbbEUlllE0_EEPmJS6_EEE10hipError_tPvRmT3_T4_T5_T6_T7_T9_mT8_P12ihipStream_tbDpT10_ENKUlT_T0_E_clISt17integral_constantIbLb0EES1C_EEDaS17_S18_EUlS17_E_NS1_11comp_targetILNS1_3genE8ELNS1_11target_archE1030ELNS1_3gpuE2ELNS1_3repE0EEENS1_30default_config_static_selectorELNS0_4arch9wavefront6targetE1EEEvT1_: ; @_ZN7rocprim17ROCPRIM_400000_NS6detail17trampoline_kernelINS0_14default_configENS1_25partition_config_selectorILNS1_17partition_subalgoE8ElNS0_10empty_typeEbEEZZNS1_14partition_implILS5_8ELb0ES3_jPlPS6_PKS6_NS0_5tupleIJS9_S6_EEENSD_IJSA_SA_EEENS0_18inequality_wrapperIZN2at6native12_GLOBAL__N_124unique_dim_cuda_templateIlEESt5tupleIJNSH_6TensorESM_SM_EERKSM_lbbbEUlllE0_EEPmJS6_EEE10hipError_tPvRmT3_T4_T5_T6_T7_T9_mT8_P12ihipStream_tbDpT10_ENKUlT_T0_E_clISt17integral_constantIbLb0EES1C_EEDaS17_S18_EUlS17_E_NS1_11comp_targetILNS1_3genE8ELNS1_11target_archE1030ELNS1_3gpuE2ELNS1_3repE0EEENS1_30default_config_static_selectorELNS0_4arch9wavefront6targetE1EEEvT1_
; %bb.0:
	.section	.rodata,"a",@progbits
	.p2align	6, 0x0
	.amdhsa_kernel _ZN7rocprim17ROCPRIM_400000_NS6detail17trampoline_kernelINS0_14default_configENS1_25partition_config_selectorILNS1_17partition_subalgoE8ElNS0_10empty_typeEbEEZZNS1_14partition_implILS5_8ELb0ES3_jPlPS6_PKS6_NS0_5tupleIJS9_S6_EEENSD_IJSA_SA_EEENS0_18inequality_wrapperIZN2at6native12_GLOBAL__N_124unique_dim_cuda_templateIlEESt5tupleIJNSH_6TensorESM_SM_EERKSM_lbbbEUlllE0_EEPmJS6_EEE10hipError_tPvRmT3_T4_T5_T6_T7_T9_mT8_P12ihipStream_tbDpT10_ENKUlT_T0_E_clISt17integral_constantIbLb0EES1C_EEDaS17_S18_EUlS17_E_NS1_11comp_targetILNS1_3genE8ELNS1_11target_archE1030ELNS1_3gpuE2ELNS1_3repE0EEENS1_30default_config_static_selectorELNS0_4arch9wavefront6targetE1EEEvT1_
		.amdhsa_group_segment_fixed_size 0
		.amdhsa_private_segment_fixed_size 0
		.amdhsa_kernarg_size 120
		.amdhsa_user_sgpr_count 2
		.amdhsa_user_sgpr_dispatch_ptr 0
		.amdhsa_user_sgpr_queue_ptr 0
		.amdhsa_user_sgpr_kernarg_segment_ptr 1
		.amdhsa_user_sgpr_dispatch_id 0
		.amdhsa_user_sgpr_kernarg_preload_length 0
		.amdhsa_user_sgpr_kernarg_preload_offset 0
		.amdhsa_user_sgpr_private_segment_size 0
		.amdhsa_uses_dynamic_stack 0
		.amdhsa_enable_private_segment 0
		.amdhsa_system_sgpr_workgroup_id_x 1
		.amdhsa_system_sgpr_workgroup_id_y 0
		.amdhsa_system_sgpr_workgroup_id_z 0
		.amdhsa_system_sgpr_workgroup_info 0
		.amdhsa_system_vgpr_workitem_id 0
		.amdhsa_next_free_vgpr 1
		.amdhsa_next_free_sgpr 0
		.amdhsa_accum_offset 4
		.amdhsa_reserve_vcc 0
		.amdhsa_float_round_mode_32 0
		.amdhsa_float_round_mode_16_64 0
		.amdhsa_float_denorm_mode_32 3
		.amdhsa_float_denorm_mode_16_64 3
		.amdhsa_dx10_clamp 1
		.amdhsa_ieee_mode 1
		.amdhsa_fp16_overflow 0
		.amdhsa_tg_split 0
		.amdhsa_exception_fp_ieee_invalid_op 0
		.amdhsa_exception_fp_denorm_src 0
		.amdhsa_exception_fp_ieee_div_zero 0
		.amdhsa_exception_fp_ieee_overflow 0
		.amdhsa_exception_fp_ieee_underflow 0
		.amdhsa_exception_fp_ieee_inexact 0
		.amdhsa_exception_int_div_zero 0
	.end_amdhsa_kernel
	.section	.text._ZN7rocprim17ROCPRIM_400000_NS6detail17trampoline_kernelINS0_14default_configENS1_25partition_config_selectorILNS1_17partition_subalgoE8ElNS0_10empty_typeEbEEZZNS1_14partition_implILS5_8ELb0ES3_jPlPS6_PKS6_NS0_5tupleIJS9_S6_EEENSD_IJSA_SA_EEENS0_18inequality_wrapperIZN2at6native12_GLOBAL__N_124unique_dim_cuda_templateIlEESt5tupleIJNSH_6TensorESM_SM_EERKSM_lbbbEUlllE0_EEPmJS6_EEE10hipError_tPvRmT3_T4_T5_T6_T7_T9_mT8_P12ihipStream_tbDpT10_ENKUlT_T0_E_clISt17integral_constantIbLb0EES1C_EEDaS17_S18_EUlS17_E_NS1_11comp_targetILNS1_3genE8ELNS1_11target_archE1030ELNS1_3gpuE2ELNS1_3repE0EEENS1_30default_config_static_selectorELNS0_4arch9wavefront6targetE1EEEvT1_,"axG",@progbits,_ZN7rocprim17ROCPRIM_400000_NS6detail17trampoline_kernelINS0_14default_configENS1_25partition_config_selectorILNS1_17partition_subalgoE8ElNS0_10empty_typeEbEEZZNS1_14partition_implILS5_8ELb0ES3_jPlPS6_PKS6_NS0_5tupleIJS9_S6_EEENSD_IJSA_SA_EEENS0_18inequality_wrapperIZN2at6native12_GLOBAL__N_124unique_dim_cuda_templateIlEESt5tupleIJNSH_6TensorESM_SM_EERKSM_lbbbEUlllE0_EEPmJS6_EEE10hipError_tPvRmT3_T4_T5_T6_T7_T9_mT8_P12ihipStream_tbDpT10_ENKUlT_T0_E_clISt17integral_constantIbLb0EES1C_EEDaS17_S18_EUlS17_E_NS1_11comp_targetILNS1_3genE8ELNS1_11target_archE1030ELNS1_3gpuE2ELNS1_3repE0EEENS1_30default_config_static_selectorELNS0_4arch9wavefront6targetE1EEEvT1_,comdat
.Lfunc_end574:
	.size	_ZN7rocprim17ROCPRIM_400000_NS6detail17trampoline_kernelINS0_14default_configENS1_25partition_config_selectorILNS1_17partition_subalgoE8ElNS0_10empty_typeEbEEZZNS1_14partition_implILS5_8ELb0ES3_jPlPS6_PKS6_NS0_5tupleIJS9_S6_EEENSD_IJSA_SA_EEENS0_18inequality_wrapperIZN2at6native12_GLOBAL__N_124unique_dim_cuda_templateIlEESt5tupleIJNSH_6TensorESM_SM_EERKSM_lbbbEUlllE0_EEPmJS6_EEE10hipError_tPvRmT3_T4_T5_T6_T7_T9_mT8_P12ihipStream_tbDpT10_ENKUlT_T0_E_clISt17integral_constantIbLb0EES1C_EEDaS17_S18_EUlS17_E_NS1_11comp_targetILNS1_3genE8ELNS1_11target_archE1030ELNS1_3gpuE2ELNS1_3repE0EEENS1_30default_config_static_selectorELNS0_4arch9wavefront6targetE1EEEvT1_, .Lfunc_end574-_ZN7rocprim17ROCPRIM_400000_NS6detail17trampoline_kernelINS0_14default_configENS1_25partition_config_selectorILNS1_17partition_subalgoE8ElNS0_10empty_typeEbEEZZNS1_14partition_implILS5_8ELb0ES3_jPlPS6_PKS6_NS0_5tupleIJS9_S6_EEENSD_IJSA_SA_EEENS0_18inequality_wrapperIZN2at6native12_GLOBAL__N_124unique_dim_cuda_templateIlEESt5tupleIJNSH_6TensorESM_SM_EERKSM_lbbbEUlllE0_EEPmJS6_EEE10hipError_tPvRmT3_T4_T5_T6_T7_T9_mT8_P12ihipStream_tbDpT10_ENKUlT_T0_E_clISt17integral_constantIbLb0EES1C_EEDaS17_S18_EUlS17_E_NS1_11comp_targetILNS1_3genE8ELNS1_11target_archE1030ELNS1_3gpuE2ELNS1_3repE0EEENS1_30default_config_static_selectorELNS0_4arch9wavefront6targetE1EEEvT1_
                                        ; -- End function
	.section	.AMDGPU.csdata,"",@progbits
; Kernel info:
; codeLenInByte = 0
; NumSgprs: 6
; NumVgprs: 0
; NumAgprs: 0
; TotalNumVgprs: 0
; ScratchSize: 0
; MemoryBound: 0
; FloatMode: 240
; IeeeMode: 1
; LDSByteSize: 0 bytes/workgroup (compile time only)
; SGPRBlocks: 0
; VGPRBlocks: 0
; NumSGPRsForWavesPerEU: 6
; NumVGPRsForWavesPerEU: 1
; AccumOffset: 4
; Occupancy: 8
; WaveLimiterHint : 0
; COMPUTE_PGM_RSRC2:SCRATCH_EN: 0
; COMPUTE_PGM_RSRC2:USER_SGPR: 2
; COMPUTE_PGM_RSRC2:TRAP_HANDLER: 0
; COMPUTE_PGM_RSRC2:TGID_X_EN: 1
; COMPUTE_PGM_RSRC2:TGID_Y_EN: 0
; COMPUTE_PGM_RSRC2:TGID_Z_EN: 0
; COMPUTE_PGM_RSRC2:TIDIG_COMP_CNT: 0
; COMPUTE_PGM_RSRC3_GFX90A:ACCUM_OFFSET: 0
; COMPUTE_PGM_RSRC3_GFX90A:TG_SPLIT: 0
	.section	.text._ZN7rocprim17ROCPRIM_400000_NS6detail17trampoline_kernelINS0_14default_configENS1_25partition_config_selectorILNS1_17partition_subalgoE8ElNS0_10empty_typeEbEEZZNS1_14partition_implILS5_8ELb0ES3_jPlPS6_PKS6_NS0_5tupleIJS9_S6_EEENSD_IJSA_SA_EEENS0_18inequality_wrapperIZN2at6native12_GLOBAL__N_124unique_dim_cuda_templateIlEESt5tupleIJNSH_6TensorESM_SM_EERKSM_lbbbEUlllE0_EEPmJS6_EEE10hipError_tPvRmT3_T4_T5_T6_T7_T9_mT8_P12ihipStream_tbDpT10_ENKUlT_T0_E_clISt17integral_constantIbLb1EES1C_EEDaS17_S18_EUlS17_E_NS1_11comp_targetILNS1_3genE0ELNS1_11target_archE4294967295ELNS1_3gpuE0ELNS1_3repE0EEENS1_30default_config_static_selectorELNS0_4arch9wavefront6targetE1EEEvT1_,"axG",@progbits,_ZN7rocprim17ROCPRIM_400000_NS6detail17trampoline_kernelINS0_14default_configENS1_25partition_config_selectorILNS1_17partition_subalgoE8ElNS0_10empty_typeEbEEZZNS1_14partition_implILS5_8ELb0ES3_jPlPS6_PKS6_NS0_5tupleIJS9_S6_EEENSD_IJSA_SA_EEENS0_18inequality_wrapperIZN2at6native12_GLOBAL__N_124unique_dim_cuda_templateIlEESt5tupleIJNSH_6TensorESM_SM_EERKSM_lbbbEUlllE0_EEPmJS6_EEE10hipError_tPvRmT3_T4_T5_T6_T7_T9_mT8_P12ihipStream_tbDpT10_ENKUlT_T0_E_clISt17integral_constantIbLb1EES1C_EEDaS17_S18_EUlS17_E_NS1_11comp_targetILNS1_3genE0ELNS1_11target_archE4294967295ELNS1_3gpuE0ELNS1_3repE0EEENS1_30default_config_static_selectorELNS0_4arch9wavefront6targetE1EEEvT1_,comdat
	.globl	_ZN7rocprim17ROCPRIM_400000_NS6detail17trampoline_kernelINS0_14default_configENS1_25partition_config_selectorILNS1_17partition_subalgoE8ElNS0_10empty_typeEbEEZZNS1_14partition_implILS5_8ELb0ES3_jPlPS6_PKS6_NS0_5tupleIJS9_S6_EEENSD_IJSA_SA_EEENS0_18inequality_wrapperIZN2at6native12_GLOBAL__N_124unique_dim_cuda_templateIlEESt5tupleIJNSH_6TensorESM_SM_EERKSM_lbbbEUlllE0_EEPmJS6_EEE10hipError_tPvRmT3_T4_T5_T6_T7_T9_mT8_P12ihipStream_tbDpT10_ENKUlT_T0_E_clISt17integral_constantIbLb1EES1C_EEDaS17_S18_EUlS17_E_NS1_11comp_targetILNS1_3genE0ELNS1_11target_archE4294967295ELNS1_3gpuE0ELNS1_3repE0EEENS1_30default_config_static_selectorELNS0_4arch9wavefront6targetE1EEEvT1_ ; -- Begin function _ZN7rocprim17ROCPRIM_400000_NS6detail17trampoline_kernelINS0_14default_configENS1_25partition_config_selectorILNS1_17partition_subalgoE8ElNS0_10empty_typeEbEEZZNS1_14partition_implILS5_8ELb0ES3_jPlPS6_PKS6_NS0_5tupleIJS9_S6_EEENSD_IJSA_SA_EEENS0_18inequality_wrapperIZN2at6native12_GLOBAL__N_124unique_dim_cuda_templateIlEESt5tupleIJNSH_6TensorESM_SM_EERKSM_lbbbEUlllE0_EEPmJS6_EEE10hipError_tPvRmT3_T4_T5_T6_T7_T9_mT8_P12ihipStream_tbDpT10_ENKUlT_T0_E_clISt17integral_constantIbLb1EES1C_EEDaS17_S18_EUlS17_E_NS1_11comp_targetILNS1_3genE0ELNS1_11target_archE4294967295ELNS1_3gpuE0ELNS1_3repE0EEENS1_30default_config_static_selectorELNS0_4arch9wavefront6targetE1EEEvT1_
	.p2align	8
	.type	_ZN7rocprim17ROCPRIM_400000_NS6detail17trampoline_kernelINS0_14default_configENS1_25partition_config_selectorILNS1_17partition_subalgoE8ElNS0_10empty_typeEbEEZZNS1_14partition_implILS5_8ELb0ES3_jPlPS6_PKS6_NS0_5tupleIJS9_S6_EEENSD_IJSA_SA_EEENS0_18inequality_wrapperIZN2at6native12_GLOBAL__N_124unique_dim_cuda_templateIlEESt5tupleIJNSH_6TensorESM_SM_EERKSM_lbbbEUlllE0_EEPmJS6_EEE10hipError_tPvRmT3_T4_T5_T6_T7_T9_mT8_P12ihipStream_tbDpT10_ENKUlT_T0_E_clISt17integral_constantIbLb1EES1C_EEDaS17_S18_EUlS17_E_NS1_11comp_targetILNS1_3genE0ELNS1_11target_archE4294967295ELNS1_3gpuE0ELNS1_3repE0EEENS1_30default_config_static_selectorELNS0_4arch9wavefront6targetE1EEEvT1_,@function
_ZN7rocprim17ROCPRIM_400000_NS6detail17trampoline_kernelINS0_14default_configENS1_25partition_config_selectorILNS1_17partition_subalgoE8ElNS0_10empty_typeEbEEZZNS1_14partition_implILS5_8ELb0ES3_jPlPS6_PKS6_NS0_5tupleIJS9_S6_EEENSD_IJSA_SA_EEENS0_18inequality_wrapperIZN2at6native12_GLOBAL__N_124unique_dim_cuda_templateIlEESt5tupleIJNSH_6TensorESM_SM_EERKSM_lbbbEUlllE0_EEPmJS6_EEE10hipError_tPvRmT3_T4_T5_T6_T7_T9_mT8_P12ihipStream_tbDpT10_ENKUlT_T0_E_clISt17integral_constantIbLb1EES1C_EEDaS17_S18_EUlS17_E_NS1_11comp_targetILNS1_3genE0ELNS1_11target_archE4294967295ELNS1_3gpuE0ELNS1_3repE0EEENS1_30default_config_static_selectorELNS0_4arch9wavefront6targetE1EEEvT1_: ; @_ZN7rocprim17ROCPRIM_400000_NS6detail17trampoline_kernelINS0_14default_configENS1_25partition_config_selectorILNS1_17partition_subalgoE8ElNS0_10empty_typeEbEEZZNS1_14partition_implILS5_8ELb0ES3_jPlPS6_PKS6_NS0_5tupleIJS9_S6_EEENSD_IJSA_SA_EEENS0_18inequality_wrapperIZN2at6native12_GLOBAL__N_124unique_dim_cuda_templateIlEESt5tupleIJNSH_6TensorESM_SM_EERKSM_lbbbEUlllE0_EEPmJS6_EEE10hipError_tPvRmT3_T4_T5_T6_T7_T9_mT8_P12ihipStream_tbDpT10_ENKUlT_T0_E_clISt17integral_constantIbLb1EES1C_EEDaS17_S18_EUlS17_E_NS1_11comp_targetILNS1_3genE0ELNS1_11target_archE4294967295ELNS1_3gpuE0ELNS1_3repE0EEENS1_30default_config_static_selectorELNS0_4arch9wavefront6targetE1EEEvT1_
; %bb.0:
	.section	.rodata,"a",@progbits
	.p2align	6, 0x0
	.amdhsa_kernel _ZN7rocprim17ROCPRIM_400000_NS6detail17trampoline_kernelINS0_14default_configENS1_25partition_config_selectorILNS1_17partition_subalgoE8ElNS0_10empty_typeEbEEZZNS1_14partition_implILS5_8ELb0ES3_jPlPS6_PKS6_NS0_5tupleIJS9_S6_EEENSD_IJSA_SA_EEENS0_18inequality_wrapperIZN2at6native12_GLOBAL__N_124unique_dim_cuda_templateIlEESt5tupleIJNSH_6TensorESM_SM_EERKSM_lbbbEUlllE0_EEPmJS6_EEE10hipError_tPvRmT3_T4_T5_T6_T7_T9_mT8_P12ihipStream_tbDpT10_ENKUlT_T0_E_clISt17integral_constantIbLb1EES1C_EEDaS17_S18_EUlS17_E_NS1_11comp_targetILNS1_3genE0ELNS1_11target_archE4294967295ELNS1_3gpuE0ELNS1_3repE0EEENS1_30default_config_static_selectorELNS0_4arch9wavefront6targetE1EEEvT1_
		.amdhsa_group_segment_fixed_size 0
		.amdhsa_private_segment_fixed_size 0
		.amdhsa_kernarg_size 136
		.amdhsa_user_sgpr_count 2
		.amdhsa_user_sgpr_dispatch_ptr 0
		.amdhsa_user_sgpr_queue_ptr 0
		.amdhsa_user_sgpr_kernarg_segment_ptr 1
		.amdhsa_user_sgpr_dispatch_id 0
		.amdhsa_user_sgpr_kernarg_preload_length 0
		.amdhsa_user_sgpr_kernarg_preload_offset 0
		.amdhsa_user_sgpr_private_segment_size 0
		.amdhsa_uses_dynamic_stack 0
		.amdhsa_enable_private_segment 0
		.amdhsa_system_sgpr_workgroup_id_x 1
		.amdhsa_system_sgpr_workgroup_id_y 0
		.amdhsa_system_sgpr_workgroup_id_z 0
		.amdhsa_system_sgpr_workgroup_info 0
		.amdhsa_system_vgpr_workitem_id 0
		.amdhsa_next_free_vgpr 1
		.amdhsa_next_free_sgpr 0
		.amdhsa_accum_offset 4
		.amdhsa_reserve_vcc 0
		.amdhsa_float_round_mode_32 0
		.amdhsa_float_round_mode_16_64 0
		.amdhsa_float_denorm_mode_32 3
		.amdhsa_float_denorm_mode_16_64 3
		.amdhsa_dx10_clamp 1
		.amdhsa_ieee_mode 1
		.amdhsa_fp16_overflow 0
		.amdhsa_tg_split 0
		.amdhsa_exception_fp_ieee_invalid_op 0
		.amdhsa_exception_fp_denorm_src 0
		.amdhsa_exception_fp_ieee_div_zero 0
		.amdhsa_exception_fp_ieee_overflow 0
		.amdhsa_exception_fp_ieee_underflow 0
		.amdhsa_exception_fp_ieee_inexact 0
		.amdhsa_exception_int_div_zero 0
	.end_amdhsa_kernel
	.section	.text._ZN7rocprim17ROCPRIM_400000_NS6detail17trampoline_kernelINS0_14default_configENS1_25partition_config_selectorILNS1_17partition_subalgoE8ElNS0_10empty_typeEbEEZZNS1_14partition_implILS5_8ELb0ES3_jPlPS6_PKS6_NS0_5tupleIJS9_S6_EEENSD_IJSA_SA_EEENS0_18inequality_wrapperIZN2at6native12_GLOBAL__N_124unique_dim_cuda_templateIlEESt5tupleIJNSH_6TensorESM_SM_EERKSM_lbbbEUlllE0_EEPmJS6_EEE10hipError_tPvRmT3_T4_T5_T6_T7_T9_mT8_P12ihipStream_tbDpT10_ENKUlT_T0_E_clISt17integral_constantIbLb1EES1C_EEDaS17_S18_EUlS17_E_NS1_11comp_targetILNS1_3genE0ELNS1_11target_archE4294967295ELNS1_3gpuE0ELNS1_3repE0EEENS1_30default_config_static_selectorELNS0_4arch9wavefront6targetE1EEEvT1_,"axG",@progbits,_ZN7rocprim17ROCPRIM_400000_NS6detail17trampoline_kernelINS0_14default_configENS1_25partition_config_selectorILNS1_17partition_subalgoE8ElNS0_10empty_typeEbEEZZNS1_14partition_implILS5_8ELb0ES3_jPlPS6_PKS6_NS0_5tupleIJS9_S6_EEENSD_IJSA_SA_EEENS0_18inequality_wrapperIZN2at6native12_GLOBAL__N_124unique_dim_cuda_templateIlEESt5tupleIJNSH_6TensorESM_SM_EERKSM_lbbbEUlllE0_EEPmJS6_EEE10hipError_tPvRmT3_T4_T5_T6_T7_T9_mT8_P12ihipStream_tbDpT10_ENKUlT_T0_E_clISt17integral_constantIbLb1EES1C_EEDaS17_S18_EUlS17_E_NS1_11comp_targetILNS1_3genE0ELNS1_11target_archE4294967295ELNS1_3gpuE0ELNS1_3repE0EEENS1_30default_config_static_selectorELNS0_4arch9wavefront6targetE1EEEvT1_,comdat
.Lfunc_end575:
	.size	_ZN7rocprim17ROCPRIM_400000_NS6detail17trampoline_kernelINS0_14default_configENS1_25partition_config_selectorILNS1_17partition_subalgoE8ElNS0_10empty_typeEbEEZZNS1_14partition_implILS5_8ELb0ES3_jPlPS6_PKS6_NS0_5tupleIJS9_S6_EEENSD_IJSA_SA_EEENS0_18inequality_wrapperIZN2at6native12_GLOBAL__N_124unique_dim_cuda_templateIlEESt5tupleIJNSH_6TensorESM_SM_EERKSM_lbbbEUlllE0_EEPmJS6_EEE10hipError_tPvRmT3_T4_T5_T6_T7_T9_mT8_P12ihipStream_tbDpT10_ENKUlT_T0_E_clISt17integral_constantIbLb1EES1C_EEDaS17_S18_EUlS17_E_NS1_11comp_targetILNS1_3genE0ELNS1_11target_archE4294967295ELNS1_3gpuE0ELNS1_3repE0EEENS1_30default_config_static_selectorELNS0_4arch9wavefront6targetE1EEEvT1_, .Lfunc_end575-_ZN7rocprim17ROCPRIM_400000_NS6detail17trampoline_kernelINS0_14default_configENS1_25partition_config_selectorILNS1_17partition_subalgoE8ElNS0_10empty_typeEbEEZZNS1_14partition_implILS5_8ELb0ES3_jPlPS6_PKS6_NS0_5tupleIJS9_S6_EEENSD_IJSA_SA_EEENS0_18inequality_wrapperIZN2at6native12_GLOBAL__N_124unique_dim_cuda_templateIlEESt5tupleIJNSH_6TensorESM_SM_EERKSM_lbbbEUlllE0_EEPmJS6_EEE10hipError_tPvRmT3_T4_T5_T6_T7_T9_mT8_P12ihipStream_tbDpT10_ENKUlT_T0_E_clISt17integral_constantIbLb1EES1C_EEDaS17_S18_EUlS17_E_NS1_11comp_targetILNS1_3genE0ELNS1_11target_archE4294967295ELNS1_3gpuE0ELNS1_3repE0EEENS1_30default_config_static_selectorELNS0_4arch9wavefront6targetE1EEEvT1_
                                        ; -- End function
	.section	.AMDGPU.csdata,"",@progbits
; Kernel info:
; codeLenInByte = 0
; NumSgprs: 6
; NumVgprs: 0
; NumAgprs: 0
; TotalNumVgprs: 0
; ScratchSize: 0
; MemoryBound: 0
; FloatMode: 240
; IeeeMode: 1
; LDSByteSize: 0 bytes/workgroup (compile time only)
; SGPRBlocks: 0
; VGPRBlocks: 0
; NumSGPRsForWavesPerEU: 6
; NumVGPRsForWavesPerEU: 1
; AccumOffset: 4
; Occupancy: 8
; WaveLimiterHint : 0
; COMPUTE_PGM_RSRC2:SCRATCH_EN: 0
; COMPUTE_PGM_RSRC2:USER_SGPR: 2
; COMPUTE_PGM_RSRC2:TRAP_HANDLER: 0
; COMPUTE_PGM_RSRC2:TGID_X_EN: 1
; COMPUTE_PGM_RSRC2:TGID_Y_EN: 0
; COMPUTE_PGM_RSRC2:TGID_Z_EN: 0
; COMPUTE_PGM_RSRC2:TIDIG_COMP_CNT: 0
; COMPUTE_PGM_RSRC3_GFX90A:ACCUM_OFFSET: 0
; COMPUTE_PGM_RSRC3_GFX90A:TG_SPLIT: 0
	.section	.text._ZN7rocprim17ROCPRIM_400000_NS6detail17trampoline_kernelINS0_14default_configENS1_25partition_config_selectorILNS1_17partition_subalgoE8ElNS0_10empty_typeEbEEZZNS1_14partition_implILS5_8ELb0ES3_jPlPS6_PKS6_NS0_5tupleIJS9_S6_EEENSD_IJSA_SA_EEENS0_18inequality_wrapperIZN2at6native12_GLOBAL__N_124unique_dim_cuda_templateIlEESt5tupleIJNSH_6TensorESM_SM_EERKSM_lbbbEUlllE0_EEPmJS6_EEE10hipError_tPvRmT3_T4_T5_T6_T7_T9_mT8_P12ihipStream_tbDpT10_ENKUlT_T0_E_clISt17integral_constantIbLb1EES1C_EEDaS17_S18_EUlS17_E_NS1_11comp_targetILNS1_3genE5ELNS1_11target_archE942ELNS1_3gpuE9ELNS1_3repE0EEENS1_30default_config_static_selectorELNS0_4arch9wavefront6targetE1EEEvT1_,"axG",@progbits,_ZN7rocprim17ROCPRIM_400000_NS6detail17trampoline_kernelINS0_14default_configENS1_25partition_config_selectorILNS1_17partition_subalgoE8ElNS0_10empty_typeEbEEZZNS1_14partition_implILS5_8ELb0ES3_jPlPS6_PKS6_NS0_5tupleIJS9_S6_EEENSD_IJSA_SA_EEENS0_18inequality_wrapperIZN2at6native12_GLOBAL__N_124unique_dim_cuda_templateIlEESt5tupleIJNSH_6TensorESM_SM_EERKSM_lbbbEUlllE0_EEPmJS6_EEE10hipError_tPvRmT3_T4_T5_T6_T7_T9_mT8_P12ihipStream_tbDpT10_ENKUlT_T0_E_clISt17integral_constantIbLb1EES1C_EEDaS17_S18_EUlS17_E_NS1_11comp_targetILNS1_3genE5ELNS1_11target_archE942ELNS1_3gpuE9ELNS1_3repE0EEENS1_30default_config_static_selectorELNS0_4arch9wavefront6targetE1EEEvT1_,comdat
	.globl	_ZN7rocprim17ROCPRIM_400000_NS6detail17trampoline_kernelINS0_14default_configENS1_25partition_config_selectorILNS1_17partition_subalgoE8ElNS0_10empty_typeEbEEZZNS1_14partition_implILS5_8ELb0ES3_jPlPS6_PKS6_NS0_5tupleIJS9_S6_EEENSD_IJSA_SA_EEENS0_18inequality_wrapperIZN2at6native12_GLOBAL__N_124unique_dim_cuda_templateIlEESt5tupleIJNSH_6TensorESM_SM_EERKSM_lbbbEUlllE0_EEPmJS6_EEE10hipError_tPvRmT3_T4_T5_T6_T7_T9_mT8_P12ihipStream_tbDpT10_ENKUlT_T0_E_clISt17integral_constantIbLb1EES1C_EEDaS17_S18_EUlS17_E_NS1_11comp_targetILNS1_3genE5ELNS1_11target_archE942ELNS1_3gpuE9ELNS1_3repE0EEENS1_30default_config_static_selectorELNS0_4arch9wavefront6targetE1EEEvT1_ ; -- Begin function _ZN7rocprim17ROCPRIM_400000_NS6detail17trampoline_kernelINS0_14default_configENS1_25partition_config_selectorILNS1_17partition_subalgoE8ElNS0_10empty_typeEbEEZZNS1_14partition_implILS5_8ELb0ES3_jPlPS6_PKS6_NS0_5tupleIJS9_S6_EEENSD_IJSA_SA_EEENS0_18inequality_wrapperIZN2at6native12_GLOBAL__N_124unique_dim_cuda_templateIlEESt5tupleIJNSH_6TensorESM_SM_EERKSM_lbbbEUlllE0_EEPmJS6_EEE10hipError_tPvRmT3_T4_T5_T6_T7_T9_mT8_P12ihipStream_tbDpT10_ENKUlT_T0_E_clISt17integral_constantIbLb1EES1C_EEDaS17_S18_EUlS17_E_NS1_11comp_targetILNS1_3genE5ELNS1_11target_archE942ELNS1_3gpuE9ELNS1_3repE0EEENS1_30default_config_static_selectorELNS0_4arch9wavefront6targetE1EEEvT1_
	.p2align	8
	.type	_ZN7rocprim17ROCPRIM_400000_NS6detail17trampoline_kernelINS0_14default_configENS1_25partition_config_selectorILNS1_17partition_subalgoE8ElNS0_10empty_typeEbEEZZNS1_14partition_implILS5_8ELb0ES3_jPlPS6_PKS6_NS0_5tupleIJS9_S6_EEENSD_IJSA_SA_EEENS0_18inequality_wrapperIZN2at6native12_GLOBAL__N_124unique_dim_cuda_templateIlEESt5tupleIJNSH_6TensorESM_SM_EERKSM_lbbbEUlllE0_EEPmJS6_EEE10hipError_tPvRmT3_T4_T5_T6_T7_T9_mT8_P12ihipStream_tbDpT10_ENKUlT_T0_E_clISt17integral_constantIbLb1EES1C_EEDaS17_S18_EUlS17_E_NS1_11comp_targetILNS1_3genE5ELNS1_11target_archE942ELNS1_3gpuE9ELNS1_3repE0EEENS1_30default_config_static_selectorELNS0_4arch9wavefront6targetE1EEEvT1_,@function
_ZN7rocprim17ROCPRIM_400000_NS6detail17trampoline_kernelINS0_14default_configENS1_25partition_config_selectorILNS1_17partition_subalgoE8ElNS0_10empty_typeEbEEZZNS1_14partition_implILS5_8ELb0ES3_jPlPS6_PKS6_NS0_5tupleIJS9_S6_EEENSD_IJSA_SA_EEENS0_18inequality_wrapperIZN2at6native12_GLOBAL__N_124unique_dim_cuda_templateIlEESt5tupleIJNSH_6TensorESM_SM_EERKSM_lbbbEUlllE0_EEPmJS6_EEE10hipError_tPvRmT3_T4_T5_T6_T7_T9_mT8_P12ihipStream_tbDpT10_ENKUlT_T0_E_clISt17integral_constantIbLb1EES1C_EEDaS17_S18_EUlS17_E_NS1_11comp_targetILNS1_3genE5ELNS1_11target_archE942ELNS1_3gpuE9ELNS1_3repE0EEENS1_30default_config_static_selectorELNS0_4arch9wavefront6targetE1EEEvT1_: ; @_ZN7rocprim17ROCPRIM_400000_NS6detail17trampoline_kernelINS0_14default_configENS1_25partition_config_selectorILNS1_17partition_subalgoE8ElNS0_10empty_typeEbEEZZNS1_14partition_implILS5_8ELb0ES3_jPlPS6_PKS6_NS0_5tupleIJS9_S6_EEENSD_IJSA_SA_EEENS0_18inequality_wrapperIZN2at6native12_GLOBAL__N_124unique_dim_cuda_templateIlEESt5tupleIJNSH_6TensorESM_SM_EERKSM_lbbbEUlllE0_EEPmJS6_EEE10hipError_tPvRmT3_T4_T5_T6_T7_T9_mT8_P12ihipStream_tbDpT10_ENKUlT_T0_E_clISt17integral_constantIbLb1EES1C_EEDaS17_S18_EUlS17_E_NS1_11comp_targetILNS1_3genE5ELNS1_11target_archE942ELNS1_3gpuE9ELNS1_3repE0EEENS1_30default_config_static_selectorELNS0_4arch9wavefront6targetE1EEEvT1_
; %bb.0:
	s_load_dwordx2 s[34:35], s[0:1], 0x28
	s_load_dwordx8 s[20:27], s[0:1], 0x40
	s_load_dwordx4 s[28:31], s[0:1], 0x60
	v_cmp_ne_u32_e64 s[2:3], 0, v0
	v_cmp_eq_u32_e64 s[18:19], 0, v0
	s_and_saveexec_b64 s[4:5], s[18:19]
	s_cbranch_execz .LBB576_4
; %bb.1:
	s_mov_b64 s[8:9], exec
	v_mbcnt_lo_u32_b32 v1, s8, 0
	v_mbcnt_hi_u32_b32 v1, s9, v1
	v_cmp_eq_u32_e32 vcc, 0, v1
                                        ; implicit-def: $vgpr2
	s_and_saveexec_b64 s[6:7], vcc
	s_cbranch_execz .LBB576_3
; %bb.2:
	s_load_dwordx2 s[10:11], s[0:1], 0x78
	s_bcnt1_i32_b64 s8, s[8:9]
	v_mov_b32_e32 v2, 0
	v_mov_b32_e32 v3, s8
	s_waitcnt lgkmcnt(0)
	global_atomic_add v2, v2, v3, s[10:11] sc0
.LBB576_3:
	s_or_b64 exec, exec, s[6:7]
	s_waitcnt vmcnt(0)
	v_readfirstlane_b32 s6, v2
	v_mov_b32_e32 v2, 0
	s_nop 0
	v_add_u32_e32 v1, s6, v1
	ds_write_b32 v2, v1
.LBB576_4:
	s_or_b64 exec, exec, s[4:5]
	v_mov_b32_e32 v3, 0
	s_load_dwordx4 s[4:7], s[0:1], 0x8
	s_load_dword s10, s[0:1], 0x70
	s_waitcnt lgkmcnt(0)
	s_barrier
	ds_read_b32 v1, v3
	s_waitcnt lgkmcnt(0)
	s_barrier
	global_load_dwordx2 v[4:5], v3, s[22:23]
	s_lshl_b64 s[0:1], s[6:7], 3
	s_mul_i32 s12, s10, 0xe00
	s_add_u32 s0, s4, s0
	s_addc_u32 s1, s5, s1
	s_add_i32 s4, s12, s6
	s_add_i32 s10, s10, -1
	s_sub_i32 s52, s24, s4
	s_add_u32 s4, s6, s12
	s_movk_i32 s11, 0xe00
	s_addc_u32 s5, s7, 0
	v_readfirstlane_b32 s33, v1
	v_mov_b32_e32 v6, s24
	v_mov_b32_e32 v7, s25
	v_mul_lo_u32 v2, v1, s11
	s_cmp_eq_u32 s33, s10
	v_cmp_ge_u64_e32 vcc, s[4:5], v[6:7]
	v_lshlrev_b64 v[6:7], 3, v[2:3]
	s_cselect_b64 s[24:25], -1, 0
	v_lshl_add_u64 v[18:19], s[0:1], 0, v[6:7]
	s_and_b64 s[0:1], vcc, s[24:25]
	s_xor_b64 s[36:37], s[0:1], -1
	s_mov_b64 s[8:9], -1
	s_and_b64 vcc, exec, s[36:37]
	s_waitcnt vmcnt(0)
	v_readfirstlane_b32 s22, v4
	v_readfirstlane_b32 s23, v5
	s_cbranch_vccz .LBB576_6
; %bb.5:
	v_lshlrev_b32_e32 v2, 3, v0
	v_lshl_add_u64 v[4:5], v[18:19], 0, v[2:3]
	v_add_co_u32_e32 v8, vcc, 0x1000, v4
	v_readfirstlane_b32 s4, v18
	s_nop 0
	v_addc_co_u32_e32 v9, vcc, 0, v5, vcc
	v_add_co_u32_e32 v10, vcc, 0x2000, v4
	v_readfirstlane_b32 s5, v19
	s_nop 0
	v_addc_co_u32_e32 v11, vcc, 0, v5, vcc
	v_add_co_u32_e32 v12, vcc, 0x3000, v4
	s_mov_b64 s[8:9], 0
	s_nop 0
	v_addc_co_u32_e32 v13, vcc, 0, v5, vcc
	v_add_co_u32_e32 v14, vcc, 0x4000, v4
	global_load_dwordx2 v[6:7], v2, s[4:5]
	s_nop 0
	v_addc_co_u32_e32 v15, vcc, 0, v5, vcc
	global_load_dwordx2 v[16:17], v[8:9], off
	global_load_dwordx2 v[20:21], v[10:11], off
	;; [unrolled: 1-line block ×4, first 2 shown]
	v_add_co_u32_e32 v8, vcc, 0x5000, v4
	s_nop 1
	v_addc_co_u32_e32 v9, vcc, 0, v5, vcc
	v_add_co_u32_e32 v4, vcc, 0x6000, v4
	global_load_dwordx2 v[8:9], v[8:9], off
	s_nop 0
	v_addc_co_u32_e32 v5, vcc, 0, v5, vcc
	global_load_dwordx2 v[4:5], v[4:5], off
	s_waitcnt vmcnt(5)
	ds_write2st64_b64 v2, v[6:7], v[16:17] offset1:8
	s_waitcnt vmcnt(3)
	ds_write2st64_b64 v2, v[20:21], v[22:23] offset0:16 offset1:24
	s_waitcnt vmcnt(1)
	ds_write2st64_b64 v2, v[24:25], v[8:9] offset0:32 offset1:40
	s_waitcnt vmcnt(0)
	ds_write_b64 v2, v[4:5] offset:24576
	s_waitcnt lgkmcnt(0)
	s_barrier
.LBB576_6:
	s_andn2_b64 vcc, exec, s[8:9]
	s_addk_i32 s52, 0xe00
	s_cbranch_vccnz .LBB576_22
; %bb.7:
	v_cmp_gt_u32_e32 vcc, s52, v0
                                        ; implicit-def: $vgpr2_vgpr3_vgpr4_vgpr5_vgpr6_vgpr7_vgpr8_vgpr9_vgpr10_vgpr11_vgpr12_vgpr13_vgpr14_vgpr15_vgpr16_vgpr17
	s_and_saveexec_b64 s[4:5], vcc
	s_cbranch_execz .LBB576_9
; %bb.8:
	v_lshlrev_b32_e32 v1, 3, v0
	v_readfirstlane_b32 s8, v18
	v_readfirstlane_b32 s9, v19
	s_nop 4
	global_load_dwordx2 v[2:3], v1, s[8:9]
.LBB576_9:
	s_or_b64 exec, exec, s[4:5]
	v_or_b32_e32 v1, 0x200, v0
	v_cmp_gt_u32_e32 vcc, s52, v1
	s_and_saveexec_b64 s[4:5], vcc
	s_cbranch_execz .LBB576_11
; %bb.10:
	v_lshlrev_b32_e32 v1, 3, v1
	v_readfirstlane_b32 s8, v18
	v_readfirstlane_b32 s9, v19
	s_nop 4
	global_load_dwordx2 v[4:5], v1, s[8:9]
.LBB576_11:
	s_or_b64 exec, exec, s[4:5]
	v_or_b32_e32 v1, 0x400, v0
	v_cmp_gt_u32_e32 vcc, s52, v1
	;; [unrolled: 12-line block ×6, first 2 shown]
	s_and_saveexec_b64 s[4:5], vcc
	s_cbranch_execz .LBB576_21
; %bb.20:
	v_lshlrev_b32_e32 v1, 3, v1
	v_readfirstlane_b32 s8, v18
	v_readfirstlane_b32 s9, v19
	s_nop 4
	global_load_dwordx2 v[14:15], v1, s[8:9]
.LBB576_21:
	s_or_b64 exec, exec, s[4:5]
	v_lshlrev_b32_e32 v1, 3, v0
	s_waitcnt vmcnt(0)
	ds_write2st64_b64 v1, v[2:3], v[4:5] offset1:8
	ds_write2st64_b64 v1, v[6:7], v[8:9] offset0:16 offset1:24
	ds_write2st64_b64 v1, v[10:11], v[12:13] offset0:32 offset1:40
	ds_write_b64 v1, v[14:15] offset:24576
	s_waitcnt lgkmcnt(0)
	s_barrier
.LBB576_22:
	v_mul_u32_u24_e32 v1, 7, v0
	v_lshlrev_b32_e32 v32, 3, v1
	ds_read2_b64 v[10:13], v32 offset1:1
	ds_read2_b64 v[6:9], v32 offset0:2 offset1:3
	ds_read2_b64 v[2:5], v32 offset0:4 offset1:5
	ds_read_b64 v[14:15], v32 offset:48
	s_cmp_lg_u32 s33, 0
	s_cselect_b64 s[16:17], -1, 0
	s_cmp_lg_u64 s[6:7], 0
	s_cselect_b64 s[4:5], -1, 0
	s_or_b64 s[4:5], s[4:5], s[16:17]
	v_mad_u32_u24 v27, v0, 7, 1
	v_mad_u32_u24 v26, v0, 7, 2
	;; [unrolled: 1-line block ×6, first 2 shown]
	s_mov_b64 s[8:9], 0
	s_and_b64 vcc, exec, s[4:5]
	v_cmp_gt_i64_e64 s[4:5], s[26:27], 0
	s_waitcnt lgkmcnt(0)
	s_barrier
	s_cbranch_vccz .LBB576_31
; %bb.23:
	global_load_dwordx2 v[16:17], v[18:19], off offset:-8
	v_cndmask_b32_e64 v18, 0, 1, s[4:5]
	v_lshlrev_b32_e32 v33, 3, v0
	s_mov_b64 s[6:7], 0
	s_and_b64 vcc, exec, s[36:37]
	v_cmp_ne_u32_e64 s[4:5], 1, v18
	ds_write_b64 v33, v[14:15]
	s_cbranch_vccz .LBB576_33
; %bb.24:
	v_mul_lo_u32 v20, v5, s26
	v_mul_lo_u32 v21, v4, s27
	v_mad_u64_u32 v[18:19], s[8:9], v4, s26, 0
	v_add3_u32 v19, v19, v21, v20
	s_and_b64 vcc, exec, s[4:5]
	v_lshl_add_u64 v[18:19], v[18:19], 3, s[28:29]
	s_cbranch_vccnz .LBB576_36
; %bb.25:
	v_mul_lo_u32 v22, v15, s26
	v_mul_lo_u32 v23, v14, s27
	v_mad_u64_u32 v[20:21], s[6:7], v14, s26, 0
	v_add3_u32 v21, v21, v23, v22
	v_lshl_add_u64 v[20:21], v[20:21], 3, s[28:29]
	global_load_dwordx2 v[22:23], v[18:19], off
	global_load_dwordx2 v[24:25], v[20:21], off
	s_mov_b64 s[6:7], -1
	s_waitcnt vmcnt(0)
	v_cmp_eq_u64_e32 vcc, v[22:23], v[24:25]
	s_and_saveexec_b64 s[8:9], vcc
	s_cbranch_execz .LBB576_35
; %bb.26:
	s_add_u32 s6, s26, -1
	v_lshl_add_u64 v[20:21], v[20:21], 0, 8
	v_lshl_add_u64 v[22:23], v[18:19], 0, 8
	s_addc_u32 s7, s27, -1
	s_mov_b64 s[10:11], 0
	s_mov_b64 s[14:15], 0
                                        ; implicit-def: $sgpr12_sgpr13
	s_branch .LBB576_29
.LBB576_27:                             ;   in Loop: Header=BB576_29 Depth=1
	global_load_dwordx2 v[24:25], v[22:23], off
	global_load_dwordx2 v[34:35], v[20:21], off
	s_add_u32 s14, s14, 1
	s_addc_u32 s15, s15, 0
	s_andn2_b64 s[12:13], s[12:13], exec
	v_lshl_add_u64 v[20:21], v[20:21], 0, 8
	v_lshl_add_u64 v[22:23], v[22:23], 0, 8
	s_waitcnt vmcnt(0)
	v_cmp_ne_u64_e32 vcc, v[24:25], v[34:35]
	s_and_b64 s[38:39], vcc, exec
	s_or_b64 s[12:13], s[12:13], s[38:39]
.LBB576_28:                             ;   in Loop: Header=BB576_29 Depth=1
	s_and_b64 s[38:39], exec, s[12:13]
	s_or_b64 s[10:11], s[38:39], s[10:11]
	v_mov_b64_e32 v[24:25], s[14:15]
	s_andn2_b64 exec, exec, s[10:11]
	s_cbranch_execz .LBB576_34
.LBB576_29:                             ; =>This Inner Loop Header: Depth=1
	s_or_b64 s[12:13], s[12:13], exec
	s_cmp_eq_u64 s[6:7], s[14:15]
	s_cbranch_scc0 .LBB576_27
; %bb.30:                               ;   in Loop: Header=BB576_29 Depth=1
                                        ; implicit-def: $vgpr20_vgpr21
                                        ; implicit-def: $vgpr22_vgpr23
	s_mov_b64 s[14:15], s[26:27]
	s_branch .LBB576_28
.LBB576_31:
                                        ; implicit-def: $sgpr12_sgpr13
                                        ; implicit-def: $vgpr35
                                        ; implicit-def: $vgpr34
                                        ; implicit-def: $vgpr25
                                        ; implicit-def: $vgpr20
	s_branch .LBB576_174
.LBB576_32:
                                        ; implicit-def: $vgpr16_vgpr17
	s_branch .LBB576_322
.LBB576_33:
                                        ; implicit-def: $sgpr12_sgpr13
                                        ; implicit-def: $vgpr35
                                        ; implicit-def: $vgpr34
                                        ; implicit-def: $vgpr25
                                        ; implicit-def: $vgpr20
	s_cbranch_execnz .LBB576_93
	s_branch .LBB576_173
.LBB576_34:
	s_or_b64 exec, exec, s[10:11]
	v_cmp_gt_i64_e32 vcc, s[26:27], v[24:25]
	s_orn2_b64 s[6:7], vcc, exec
.LBB576_35:
	s_or_b64 exec, exec, s[8:9]
.LBB576_36:
	v_mul_lo_u32 v22, v3, s26
	v_mul_lo_u32 v23, v2, s27
	v_mad_u64_u32 v[20:21], s[8:9], v2, s26, 0
	v_add3_u32 v21, v21, v23, v22
	s_mov_b64 s[8:9], 0
	s_and_b64 vcc, exec, s[4:5]
	v_lshl_add_u64 v[20:21], v[20:21], 3, s[28:29]
	s_mov_b64 s[10:11], 0
	s_cbranch_vccnz .LBB576_45
; %bb.37:
	global_load_dwordx2 v[22:23], v[20:21], off
	global_load_dwordx2 v[24:25], v[18:19], off
	s_mov_b64 s[10:11], -1
	s_waitcnt vmcnt(0)
	v_cmp_eq_u64_e32 vcc, v[22:23], v[24:25]
	s_and_saveexec_b64 s[12:13], vcc
	s_cbranch_execz .LBB576_44
; %bb.38:
	s_add_u32 s10, s26, -1
	v_lshl_add_u64 v[18:19], v[18:19], 0, 8
	v_lshl_add_u64 v[22:23], v[20:21], 0, 8
	s_addc_u32 s11, s27, -1
	s_mov_b64 s[14:15], 0
	s_mov_b64 s[40:41], 0
                                        ; implicit-def: $sgpr38_sgpr39
	s_branch .LBB576_41
.LBB576_39:                             ;   in Loop: Header=BB576_41 Depth=1
	global_load_dwordx2 v[24:25], v[22:23], off
	global_load_dwordx2 v[34:35], v[18:19], off
	s_add_u32 s40, s40, 1
	s_addc_u32 s41, s41, 0
	s_andn2_b64 s[38:39], s[38:39], exec
	v_lshl_add_u64 v[18:19], v[18:19], 0, 8
	v_lshl_add_u64 v[22:23], v[22:23], 0, 8
	s_waitcnt vmcnt(0)
	v_cmp_ne_u64_e32 vcc, v[24:25], v[34:35]
	s_and_b64 s[42:43], vcc, exec
	s_or_b64 s[38:39], s[38:39], s[42:43]
.LBB576_40:                             ;   in Loop: Header=BB576_41 Depth=1
	s_and_b64 s[42:43], exec, s[38:39]
	s_or_b64 s[14:15], s[42:43], s[14:15]
	v_mov_b64_e32 v[24:25], s[40:41]
	s_andn2_b64 exec, exec, s[14:15]
	s_cbranch_execz .LBB576_43
.LBB576_41:                             ; =>This Inner Loop Header: Depth=1
	s_or_b64 s[38:39], s[38:39], exec
	s_cmp_eq_u64 s[10:11], s[40:41]
	s_cbranch_scc0 .LBB576_39
; %bb.42:                               ;   in Loop: Header=BB576_41 Depth=1
                                        ; implicit-def: $vgpr18_vgpr19
                                        ; implicit-def: $vgpr22_vgpr23
	s_mov_b64 s[40:41], s[26:27]
	s_branch .LBB576_40
.LBB576_43:
	s_or_b64 exec, exec, s[14:15]
	v_cmp_gt_i64_e32 vcc, s[26:27], v[24:25]
	s_orn2_b64 s[10:11], vcc, exec
.LBB576_44:
	s_or_b64 exec, exec, s[12:13]
.LBB576_45:
	v_mul_lo_u32 v22, v9, s26
	v_mul_lo_u32 v23, v8, s27
	v_mad_u64_u32 v[18:19], s[12:13], v8, s26, 0
	v_add3_u32 v19, v19, v23, v22
	s_and_b64 vcc, exec, s[4:5]
	v_lshl_add_u64 v[18:19], v[18:19], 3, s[28:29]
	s_cbranch_vccnz .LBB576_54
; %bb.46:
	global_load_dwordx2 v[22:23], v[18:19], off
	global_load_dwordx2 v[24:25], v[20:21], off
	s_mov_b64 s[8:9], -1
	s_waitcnt vmcnt(0)
	v_cmp_eq_u64_e32 vcc, v[22:23], v[24:25]
	s_and_saveexec_b64 s[12:13], vcc
	s_cbranch_execz .LBB576_53
; %bb.47:
	s_add_u32 s8, s26, -1
	v_lshl_add_u64 v[20:21], v[20:21], 0, 8
	v_lshl_add_u64 v[22:23], v[18:19], 0, 8
	s_addc_u32 s9, s27, -1
	s_mov_b64 s[14:15], 0
	s_mov_b64 s[40:41], 0
                                        ; implicit-def: $sgpr38_sgpr39
	s_branch .LBB576_50
.LBB576_48:                             ;   in Loop: Header=BB576_50 Depth=1
	global_load_dwordx2 v[24:25], v[22:23], off
	global_load_dwordx2 v[34:35], v[20:21], off
	s_add_u32 s40, s40, 1
	s_addc_u32 s41, s41, 0
	s_andn2_b64 s[38:39], s[38:39], exec
	v_lshl_add_u64 v[20:21], v[20:21], 0, 8
	v_lshl_add_u64 v[22:23], v[22:23], 0, 8
	s_waitcnt vmcnt(0)
	v_cmp_ne_u64_e32 vcc, v[24:25], v[34:35]
	s_and_b64 s[42:43], vcc, exec
	s_or_b64 s[38:39], s[38:39], s[42:43]
.LBB576_49:                             ;   in Loop: Header=BB576_50 Depth=1
	s_and_b64 s[42:43], exec, s[38:39]
	s_or_b64 s[14:15], s[42:43], s[14:15]
	v_mov_b64_e32 v[24:25], s[40:41]
	s_andn2_b64 exec, exec, s[14:15]
	s_cbranch_execz .LBB576_52
.LBB576_50:                             ; =>This Inner Loop Header: Depth=1
	s_or_b64 s[38:39], s[38:39], exec
	s_cmp_eq_u64 s[8:9], s[40:41]
	s_cbranch_scc0 .LBB576_48
; %bb.51:                               ;   in Loop: Header=BB576_50 Depth=1
                                        ; implicit-def: $vgpr20_vgpr21
                                        ; implicit-def: $vgpr22_vgpr23
	s_mov_b64 s[40:41], s[26:27]
	s_branch .LBB576_49
.LBB576_52:
	s_or_b64 exec, exec, s[14:15]
	v_cmp_gt_i64_e32 vcc, s[26:27], v[24:25]
	s_orn2_b64 s[8:9], vcc, exec
.LBB576_53:
	s_or_b64 exec, exec, s[12:13]
.LBB576_54:
	v_mul_lo_u32 v22, v7, s26
	v_mul_lo_u32 v23, v6, s27
	v_mad_u64_u32 v[20:21], s[12:13], v6, s26, 0
	v_add3_u32 v21, v21, v23, v22
	s_mov_b64 s[12:13], 0
	s_and_b64 vcc, exec, s[4:5]
	v_lshl_add_u64 v[22:23], v[20:21], 3, s[28:29]
	s_mov_b64 s[14:15], 0
	s_cbranch_vccnz .LBB576_63
; %bb.55:
	global_load_dwordx2 v[20:21], v[22:23], off
	global_load_dwordx2 v[24:25], v[18:19], off
	s_mov_b64 s[14:15], -1
	s_waitcnt vmcnt(0)
	v_cmp_eq_u64_e32 vcc, v[20:21], v[24:25]
	s_and_saveexec_b64 s[38:39], vcc
	s_cbranch_execz .LBB576_62
; %bb.56:
	s_add_u32 s14, s26, -1
	v_lshl_add_u64 v[18:19], v[18:19], 0, 8
	v_lshl_add_u64 v[20:21], v[22:23], 0, 8
	s_addc_u32 s15, s27, -1
	s_mov_b64 s[40:41], 0
	s_mov_b64 s[44:45], 0
                                        ; implicit-def: $sgpr42_sgpr43
	s_branch .LBB576_59
.LBB576_57:                             ;   in Loop: Header=BB576_59 Depth=1
	global_load_dwordx2 v[24:25], v[20:21], off
	global_load_dwordx2 v[34:35], v[18:19], off
	s_add_u32 s44, s44, 1
	s_addc_u32 s45, s45, 0
	s_andn2_b64 s[42:43], s[42:43], exec
	v_lshl_add_u64 v[18:19], v[18:19], 0, 8
	v_lshl_add_u64 v[20:21], v[20:21], 0, 8
	s_waitcnt vmcnt(0)
	v_cmp_ne_u64_e32 vcc, v[24:25], v[34:35]
	s_and_b64 s[46:47], vcc, exec
	s_or_b64 s[42:43], s[42:43], s[46:47]
.LBB576_58:                             ;   in Loop: Header=BB576_59 Depth=1
	s_and_b64 s[46:47], exec, s[42:43]
	s_or_b64 s[40:41], s[46:47], s[40:41]
	v_mov_b64_e32 v[24:25], s[44:45]
	s_andn2_b64 exec, exec, s[40:41]
	s_cbranch_execz .LBB576_61
.LBB576_59:                             ; =>This Inner Loop Header: Depth=1
	s_or_b64 s[42:43], s[42:43], exec
	s_cmp_eq_u64 s[14:15], s[44:45]
	s_cbranch_scc0 .LBB576_57
; %bb.60:                               ;   in Loop: Header=BB576_59 Depth=1
                                        ; implicit-def: $vgpr18_vgpr19
                                        ; implicit-def: $vgpr20_vgpr21
	s_mov_b64 s[44:45], s[26:27]
	s_branch .LBB576_58
.LBB576_61:
	s_or_b64 exec, exec, s[40:41]
	v_cmp_gt_i64_e32 vcc, s[26:27], v[24:25]
	s_orn2_b64 s[14:15], vcc, exec
.LBB576_62:
	s_or_b64 exec, exec, s[38:39]
.LBB576_63:
	v_mul_lo_u32 v20, v13, s26
	v_mul_lo_u32 v21, v12, s27
	v_mad_u64_u32 v[18:19], s[38:39], v12, s26, 0
	v_add3_u32 v19, v19, v21, v20
	s_and_b64 vcc, exec, s[4:5]
	v_lshl_add_u64 v[20:21], v[18:19], 3, s[28:29]
	s_cbranch_vccnz .LBB576_72
; %bb.64:
	global_load_dwordx2 v[18:19], v[20:21], off
	global_load_dwordx2 v[24:25], v[22:23], off
	s_mov_b64 s[12:13], -1
	s_waitcnt vmcnt(0)
	v_cmp_eq_u64_e32 vcc, v[18:19], v[24:25]
	s_and_saveexec_b64 s[38:39], vcc
	s_cbranch_execz .LBB576_71
; %bb.65:
	s_add_u32 s12, s26, -1
	v_lshl_add_u64 v[18:19], v[22:23], 0, 8
	v_lshl_add_u64 v[22:23], v[20:21], 0, 8
	s_addc_u32 s13, s27, -1
	s_mov_b64 s[40:41], 0
	s_mov_b64 s[44:45], 0
                                        ; implicit-def: $sgpr42_sgpr43
	s_branch .LBB576_68
.LBB576_66:                             ;   in Loop: Header=BB576_68 Depth=1
	global_load_dwordx2 v[24:25], v[22:23], off
	global_load_dwordx2 v[34:35], v[18:19], off
	s_add_u32 s44, s44, 1
	s_addc_u32 s45, s45, 0
	s_andn2_b64 s[42:43], s[42:43], exec
	v_lshl_add_u64 v[18:19], v[18:19], 0, 8
	v_lshl_add_u64 v[22:23], v[22:23], 0, 8
	s_waitcnt vmcnt(0)
	v_cmp_ne_u64_e32 vcc, v[24:25], v[34:35]
	s_and_b64 s[46:47], vcc, exec
	s_or_b64 s[42:43], s[42:43], s[46:47]
.LBB576_67:                             ;   in Loop: Header=BB576_68 Depth=1
	s_and_b64 s[46:47], exec, s[42:43]
	s_or_b64 s[40:41], s[46:47], s[40:41]
	v_mov_b64_e32 v[24:25], s[44:45]
	s_andn2_b64 exec, exec, s[40:41]
	s_cbranch_execz .LBB576_70
.LBB576_68:                             ; =>This Inner Loop Header: Depth=1
	s_or_b64 s[42:43], s[42:43], exec
	s_cmp_eq_u64 s[12:13], s[44:45]
	s_cbranch_scc0 .LBB576_66
; %bb.69:                               ;   in Loop: Header=BB576_68 Depth=1
                                        ; implicit-def: $vgpr18_vgpr19
                                        ; implicit-def: $vgpr22_vgpr23
	s_mov_b64 s[44:45], s[26:27]
	s_branch .LBB576_67
.LBB576_70:
	s_or_b64 exec, exec, s[40:41]
	v_cmp_gt_i64_e32 vcc, s[26:27], v[24:25]
	s_orn2_b64 s[12:13], vcc, exec
.LBB576_71:
	s_or_b64 exec, exec, s[38:39]
.LBB576_72:
	v_mul_lo_u32 v22, v11, s26
	v_mul_lo_u32 v23, v10, s27
	v_mad_u64_u32 v[18:19], s[38:39], v10, s26, 0
	v_add3_u32 v19, v19, v23, v22
	s_mov_b64 s[40:41], 0
	s_and_b64 vcc, exec, s[4:5]
	v_lshl_add_u64 v[18:19], v[18:19], 3, s[28:29]
	s_cbranch_vccnz .LBB576_81
; %bb.73:
	global_load_dwordx2 v[22:23], v[18:19], off
	global_load_dwordx2 v[24:25], v[20:21], off
	s_mov_b64 s[40:41], -1
	s_waitcnt vmcnt(0)
	v_cmp_eq_u64_e32 vcc, v[22:23], v[24:25]
	s_and_saveexec_b64 s[38:39], vcc
	s_cbranch_execz .LBB576_80
; %bb.74:
	s_add_u32 s40, s26, -1
	v_lshl_add_u64 v[20:21], v[20:21], 0, 8
	v_lshl_add_u64 v[22:23], v[18:19], 0, 8
	s_addc_u32 s41, s27, -1
	s_mov_b64 s[42:43], 0
	s_mov_b64 s[46:47], 0
                                        ; implicit-def: $sgpr44_sgpr45
	s_branch .LBB576_77
.LBB576_75:                             ;   in Loop: Header=BB576_77 Depth=1
	global_load_dwordx2 v[24:25], v[22:23], off
	global_load_dwordx2 v[34:35], v[20:21], off
	s_add_u32 s46, s46, 1
	s_addc_u32 s47, s47, 0
	s_andn2_b64 s[44:45], s[44:45], exec
	v_lshl_add_u64 v[20:21], v[20:21], 0, 8
	v_lshl_add_u64 v[22:23], v[22:23], 0, 8
	s_waitcnt vmcnt(0)
	v_cmp_ne_u64_e32 vcc, v[24:25], v[34:35]
	s_and_b64 s[48:49], vcc, exec
	s_or_b64 s[44:45], s[44:45], s[48:49]
.LBB576_76:                             ;   in Loop: Header=BB576_77 Depth=1
	s_and_b64 s[48:49], exec, s[44:45]
	s_or_b64 s[42:43], s[48:49], s[42:43]
	v_mov_b64_e32 v[24:25], s[46:47]
	s_andn2_b64 exec, exec, s[42:43]
	s_cbranch_execz .LBB576_79
.LBB576_77:                             ; =>This Inner Loop Header: Depth=1
	s_or_b64 s[44:45], s[44:45], exec
	s_cmp_eq_u64 s[40:41], s[46:47]
	s_cbranch_scc0 .LBB576_75
; %bb.78:                               ;   in Loop: Header=BB576_77 Depth=1
                                        ; implicit-def: $vgpr20_vgpr21
                                        ; implicit-def: $vgpr22_vgpr23
	s_mov_b64 s[46:47], s[26:27]
	s_branch .LBB576_76
.LBB576_79:
	s_or_b64 exec, exec, s[42:43]
	v_cmp_gt_i64_e32 vcc, s[26:27], v[24:25]
	s_orn2_b64 s[40:41], vcc, exec
.LBB576_80:
	s_or_b64 exec, exec, s[38:39]
.LBB576_81:
	s_waitcnt vmcnt(0)
	v_mov_b64_e32 v[20:21], v[16:17]
	s_waitcnt lgkmcnt(0)
	s_barrier
	s_and_saveexec_b64 s[38:39], s[2:3]
	s_cbranch_execz .LBB576_83
; %bb.82:
	v_add_u32_e32 v20, -8, v33
	ds_read_b64 v[20:21], v20
.LBB576_83:
	s_or_b64 exec, exec, s[38:39]
	v_cndmask_b32_e64 v23, 0, 1, s[14:15]
	v_cndmask_b32_e64 v22, 0, 1, s[12:13]
	;; [unrolled: 1-line block ×3, first 2 shown]
	v_lshlrev_b16_e32 v23, 8, v23
	v_lshlrev_b16_e32 v24, 8, v24
	v_or_b32_sdwa v36, v22, v23 dst_sel:WORD_1 dst_unused:UNUSED_PAD src0_sel:DWORD src1_sel:DWORD
	s_mov_b64 s[14:15], 0
	s_and_b64 vcc, exec, s[4:5]
	s_mov_b64 s[12:13], 0
	s_cbranch_vccnz .LBB576_92
; %bb.84:
	s_waitcnt lgkmcnt(0)
	v_mul_lo_u32 v22, v21, s26
	v_mul_lo_u32 v23, v20, s27
	v_mad_u64_u32 v[20:21], s[12:13], v20, s26, 0
	v_add3_u32 v21, v21, v23, v22
	v_lshl_add_u64 v[20:21], v[20:21], 3, s[28:29]
	global_load_dwordx2 v[22:23], v[20:21], off
	global_load_dwordx2 v[34:35], v[18:19], off
	s_mov_b64 s[12:13], -1
	s_waitcnt vmcnt(0)
	v_cmp_eq_u64_e32 vcc, v[22:23], v[34:35]
	s_and_saveexec_b64 s[38:39], vcc
	s_cbranch_execz .LBB576_91
; %bb.85:
	s_add_u32 s12, s26, -1
	v_lshl_add_u64 v[18:19], v[18:19], 0, 8
	v_lshl_add_u64 v[20:21], v[20:21], 0, 8
	s_addc_u32 s13, s27, -1
	s_mov_b64 s[40:41], 0
	s_mov_b64 s[44:45], 0
                                        ; implicit-def: $sgpr42_sgpr43
	s_branch .LBB576_88
.LBB576_86:                             ;   in Loop: Header=BB576_88 Depth=1
	global_load_dwordx2 v[22:23], v[20:21], off
	global_load_dwordx2 v[34:35], v[18:19], off
	s_add_u32 s44, s44, 1
	s_addc_u32 s45, s45, 0
	s_andn2_b64 s[42:43], s[42:43], exec
	v_lshl_add_u64 v[18:19], v[18:19], 0, 8
	v_lshl_add_u64 v[20:21], v[20:21], 0, 8
	s_waitcnt vmcnt(0)
	v_cmp_ne_u64_e32 vcc, v[22:23], v[34:35]
	s_and_b64 s[46:47], vcc, exec
	s_or_b64 s[42:43], s[42:43], s[46:47]
.LBB576_87:                             ;   in Loop: Header=BB576_88 Depth=1
	s_and_b64 s[46:47], exec, s[42:43]
	s_or_b64 s[40:41], s[46:47], s[40:41]
	v_mov_b64_e32 v[22:23], s[44:45]
	s_andn2_b64 exec, exec, s[40:41]
	s_cbranch_execz .LBB576_90
.LBB576_88:                             ; =>This Inner Loop Header: Depth=1
	s_or_b64 s[42:43], s[42:43], exec
	s_cmp_eq_u64 s[12:13], s[44:45]
	s_cbranch_scc0 .LBB576_86
; %bb.89:                               ;   in Loop: Header=BB576_88 Depth=1
                                        ; implicit-def: $vgpr18_vgpr19
                                        ; implicit-def: $vgpr20_vgpr21
	s_mov_b64 s[44:45], s[26:27]
	s_branch .LBB576_87
.LBB576_90:
	s_or_b64 exec, exec, s[40:41]
	v_cmp_gt_i64_e32 vcc, s[26:27], v[22:23]
	s_orn2_b64 s[12:13], vcc, exec
.LBB576_91:
	s_or_b64 exec, exec, s[38:39]
.LBB576_92:
	v_cndmask_b32_e64 v25, 0, 1, s[8:9]
	v_cndmask_b32_e64 v34, 0, 1, s[10:11]
	;; [unrolled: 1-line block ×3, first 2 shown]
	s_waitcnt lgkmcnt(0)
	v_or_b32_e32 v20, v24, v36
	s_and_b64 vcc, exec, s[14:15]
	s_cbranch_vccz .LBB576_173
.LBB576_93:
	v_cmp_gt_u32_e32 vcc, s52, v29
	s_mov_b64 s[8:9], 0
	s_mov_b64 s[6:7], 0
	s_and_saveexec_b64 s[10:11], vcc
	s_cbranch_execz .LBB576_104
; %bb.94:
	s_and_b64 vcc, exec, s[4:5]
	s_mov_b64 s[12:13], 0
	s_cbranch_vccnz .LBB576_103
; %bb.95:
	v_mul_lo_u32 v20, v5, s26
	v_mul_lo_u32 v21, v4, s27
	v_mad_u64_u32 v[18:19], s[6:7], v4, s26, 0
	v_add3_u32 v19, v19, v21, v20
	v_mul_lo_u32 v20, v15, s26
	v_mul_lo_u32 v21, v14, s27
	v_mad_u64_u32 v[22:23], s[6:7], v14, s26, 0
	v_add3_u32 v23, v23, v21, v20
	v_lshl_add_u64 v[20:21], v[18:19], 3, s[28:29]
	v_lshl_add_u64 v[18:19], v[22:23], 3, s[28:29]
	global_load_dwordx2 v[22:23], v[20:21], off
	global_load_dwordx2 v[24:25], v[18:19], off
	s_mov_b64 s[12:13], -1
	s_waitcnt vmcnt(0)
	v_cmp_eq_u64_e32 vcc, v[22:23], v[24:25]
	s_and_saveexec_b64 s[6:7], vcc
	s_cbranch_execz .LBB576_102
; %bb.96:
	s_add_u32 s12, s26, -1
	v_lshl_add_u64 v[18:19], v[18:19], 0, 8
	v_lshl_add_u64 v[20:21], v[20:21], 0, 8
	s_addc_u32 s13, s27, -1
	s_mov_b64 s[14:15], 0
	s_mov_b64 s[40:41], 0
                                        ; implicit-def: $sgpr38_sgpr39
	s_branch .LBB576_99
.LBB576_97:                             ;   in Loop: Header=BB576_99 Depth=1
	global_load_dwordx2 v[22:23], v[20:21], off
	global_load_dwordx2 v[24:25], v[18:19], off
	s_add_u32 s40, s40, 1
	s_addc_u32 s41, s41, 0
	s_andn2_b64 s[38:39], s[38:39], exec
	v_lshl_add_u64 v[18:19], v[18:19], 0, 8
	v_lshl_add_u64 v[20:21], v[20:21], 0, 8
	s_waitcnt vmcnt(0)
	v_cmp_ne_u64_e32 vcc, v[22:23], v[24:25]
	s_and_b64 s[42:43], vcc, exec
	s_or_b64 s[38:39], s[38:39], s[42:43]
.LBB576_98:                             ;   in Loop: Header=BB576_99 Depth=1
	s_and_b64 s[42:43], exec, s[38:39]
	s_or_b64 s[14:15], s[42:43], s[14:15]
	v_mov_b64_e32 v[22:23], s[40:41]
	s_andn2_b64 exec, exec, s[14:15]
	s_cbranch_execz .LBB576_101
.LBB576_99:                             ; =>This Inner Loop Header: Depth=1
	s_or_b64 s[38:39], s[38:39], exec
	s_cmp_eq_u64 s[12:13], s[40:41]
	s_cbranch_scc0 .LBB576_97
; %bb.100:                              ;   in Loop: Header=BB576_99 Depth=1
                                        ; implicit-def: $vgpr18_vgpr19
                                        ; implicit-def: $vgpr20_vgpr21
	s_mov_b64 s[40:41], s[26:27]
	s_branch .LBB576_98
.LBB576_101:
	s_or_b64 exec, exec, s[14:15]
	v_cmp_gt_i64_e32 vcc, s[26:27], v[22:23]
	s_orn2_b64 s[12:13], vcc, exec
.LBB576_102:
	s_or_b64 exec, exec, s[6:7]
.LBB576_103:
	s_and_b64 s[6:7], s[12:13], exec
.LBB576_104:
	s_or_b64 exec, exec, s[10:11]
	v_cmp_gt_u32_e32 vcc, s52, v31
	s_and_saveexec_b64 s[10:11], vcc
	s_cbranch_execz .LBB576_115
; %bb.105:
	s_and_b64 vcc, exec, s[4:5]
	s_mov_b64 s[12:13], 0
	s_cbranch_vccnz .LBB576_114
; %bb.106:
	v_mul_lo_u32 v20, v3, s26
	v_mul_lo_u32 v21, v2, s27
	v_mad_u64_u32 v[18:19], s[8:9], v2, s26, 0
	v_add3_u32 v19, v19, v21, v20
	v_mul_lo_u32 v20, v5, s26
	v_mul_lo_u32 v21, v4, s27
	v_mad_u64_u32 v[22:23], s[8:9], v4, s26, 0
	v_add3_u32 v23, v23, v21, v20
	v_lshl_add_u64 v[20:21], v[18:19], 3, s[28:29]
	v_lshl_add_u64 v[18:19], v[22:23], 3, s[28:29]
	global_load_dwordx2 v[22:23], v[20:21], off
	global_load_dwordx2 v[24:25], v[18:19], off
	s_mov_b64 s[12:13], -1
	s_waitcnt vmcnt(0)
	v_cmp_eq_u64_e32 vcc, v[22:23], v[24:25]
	s_and_saveexec_b64 s[8:9], vcc
	s_cbranch_execz .LBB576_113
; %bb.107:
	s_add_u32 s12, s26, -1
	v_lshl_add_u64 v[18:19], v[18:19], 0, 8
	v_lshl_add_u64 v[20:21], v[20:21], 0, 8
	s_addc_u32 s13, s27, -1
	s_mov_b64 s[14:15], 0
	s_mov_b64 s[40:41], 0
                                        ; implicit-def: $sgpr38_sgpr39
	s_branch .LBB576_110
.LBB576_108:                            ;   in Loop: Header=BB576_110 Depth=1
	global_load_dwordx2 v[22:23], v[20:21], off
	global_load_dwordx2 v[24:25], v[18:19], off
	s_add_u32 s40, s40, 1
	s_addc_u32 s41, s41, 0
	s_andn2_b64 s[38:39], s[38:39], exec
	v_lshl_add_u64 v[18:19], v[18:19], 0, 8
	v_lshl_add_u64 v[20:21], v[20:21], 0, 8
	s_waitcnt vmcnt(0)
	v_cmp_ne_u64_e32 vcc, v[22:23], v[24:25]
	s_and_b64 s[42:43], vcc, exec
	s_or_b64 s[38:39], s[38:39], s[42:43]
.LBB576_109:                            ;   in Loop: Header=BB576_110 Depth=1
	s_and_b64 s[42:43], exec, s[38:39]
	s_or_b64 s[14:15], s[42:43], s[14:15]
	v_mov_b64_e32 v[22:23], s[40:41]
	s_andn2_b64 exec, exec, s[14:15]
	s_cbranch_execz .LBB576_112
.LBB576_110:                            ; =>This Inner Loop Header: Depth=1
	s_or_b64 s[38:39], s[38:39], exec
	s_cmp_eq_u64 s[12:13], s[40:41]
	s_cbranch_scc0 .LBB576_108
; %bb.111:                              ;   in Loop: Header=BB576_110 Depth=1
                                        ; implicit-def: $vgpr18_vgpr19
                                        ; implicit-def: $vgpr20_vgpr21
	s_mov_b64 s[40:41], s[26:27]
	s_branch .LBB576_109
.LBB576_112:
	s_or_b64 exec, exec, s[14:15]
	v_cmp_gt_i64_e32 vcc, s[26:27], v[22:23]
	s_orn2_b64 s[12:13], vcc, exec
.LBB576_113:
	s_or_b64 exec, exec, s[8:9]
.LBB576_114:
	s_and_b64 s[8:9], s[12:13], exec
.LBB576_115:
	s_or_b64 exec, exec, s[10:11]
	v_cmp_gt_u32_e32 vcc, s52, v28
	s_mov_b64 s[12:13], 0
	s_mov_b64 s[10:11], 0
	s_and_saveexec_b64 s[14:15], vcc
	s_cbranch_execz .LBB576_126
; %bb.116:
	s_and_b64 vcc, exec, s[4:5]
	s_mov_b64 s[38:39], 0
	s_cbranch_vccnz .LBB576_125
; %bb.117:
	v_mul_lo_u32 v20, v9, s26
	v_mul_lo_u32 v21, v8, s27
	v_mad_u64_u32 v[18:19], s[10:11], v8, s26, 0
	v_add3_u32 v19, v19, v21, v20
	v_mul_lo_u32 v20, v3, s26
	v_mul_lo_u32 v21, v2, s27
	v_mad_u64_u32 v[22:23], s[10:11], v2, s26, 0
	v_add3_u32 v23, v23, v21, v20
	v_lshl_add_u64 v[20:21], v[18:19], 3, s[28:29]
	v_lshl_add_u64 v[18:19], v[22:23], 3, s[28:29]
	global_load_dwordx2 v[22:23], v[20:21], off
	global_load_dwordx2 v[24:25], v[18:19], off
	s_mov_b64 s[38:39], -1
	s_waitcnt vmcnt(0)
	v_cmp_eq_u64_e32 vcc, v[22:23], v[24:25]
	s_and_saveexec_b64 s[10:11], vcc
	s_cbranch_execz .LBB576_124
; %bb.118:
	s_add_u32 s38, s26, -1
	v_lshl_add_u64 v[18:19], v[18:19], 0, 8
	v_lshl_add_u64 v[20:21], v[20:21], 0, 8
	s_addc_u32 s39, s27, -1
	s_mov_b64 s[40:41], 0
	s_mov_b64 s[44:45], 0
                                        ; implicit-def: $sgpr42_sgpr43
	s_branch .LBB576_121
.LBB576_119:                            ;   in Loop: Header=BB576_121 Depth=1
	global_load_dwordx2 v[22:23], v[20:21], off
	global_load_dwordx2 v[24:25], v[18:19], off
	s_add_u32 s44, s44, 1
	s_addc_u32 s45, s45, 0
	s_andn2_b64 s[42:43], s[42:43], exec
	v_lshl_add_u64 v[18:19], v[18:19], 0, 8
	v_lshl_add_u64 v[20:21], v[20:21], 0, 8
	s_waitcnt vmcnt(0)
	v_cmp_ne_u64_e32 vcc, v[22:23], v[24:25]
	s_and_b64 s[46:47], vcc, exec
	s_or_b64 s[42:43], s[42:43], s[46:47]
.LBB576_120:                            ;   in Loop: Header=BB576_121 Depth=1
	s_and_b64 s[46:47], exec, s[42:43]
	s_or_b64 s[40:41], s[46:47], s[40:41]
	v_mov_b64_e32 v[22:23], s[44:45]
	s_andn2_b64 exec, exec, s[40:41]
	s_cbranch_execz .LBB576_123
.LBB576_121:                            ; =>This Inner Loop Header: Depth=1
	s_or_b64 s[42:43], s[42:43], exec
	s_cmp_eq_u64 s[38:39], s[44:45]
	s_cbranch_scc0 .LBB576_119
; %bb.122:                              ;   in Loop: Header=BB576_121 Depth=1
                                        ; implicit-def: $vgpr18_vgpr19
                                        ; implicit-def: $vgpr20_vgpr21
	s_mov_b64 s[44:45], s[26:27]
	s_branch .LBB576_120
.LBB576_123:
	s_or_b64 exec, exec, s[40:41]
	v_cmp_gt_i64_e32 vcc, s[26:27], v[22:23]
	s_orn2_b64 s[38:39], vcc, exec
.LBB576_124:
	s_or_b64 exec, exec, s[10:11]
.LBB576_125:
	s_and_b64 s[10:11], s[38:39], exec
.LBB576_126:
	s_or_b64 exec, exec, s[14:15]
	v_cmp_gt_u32_e32 vcc, s52, v30
	s_and_saveexec_b64 s[14:15], vcc
	s_cbranch_execz .LBB576_137
; %bb.127:
	s_and_b64 vcc, exec, s[4:5]
	s_mov_b64 s[38:39], 0
	s_cbranch_vccnz .LBB576_136
; %bb.128:
	v_mul_lo_u32 v20, v7, s26
	v_mul_lo_u32 v21, v6, s27
	v_mad_u64_u32 v[18:19], s[12:13], v6, s26, 0
	v_add3_u32 v19, v19, v21, v20
	v_mul_lo_u32 v20, v9, s26
	v_mul_lo_u32 v21, v8, s27
	v_mad_u64_u32 v[22:23], s[12:13], v8, s26, 0
	v_add3_u32 v23, v23, v21, v20
	v_lshl_add_u64 v[20:21], v[18:19], 3, s[28:29]
	v_lshl_add_u64 v[18:19], v[22:23], 3, s[28:29]
	global_load_dwordx2 v[22:23], v[20:21], off
	global_load_dwordx2 v[24:25], v[18:19], off
	s_mov_b64 s[38:39], -1
	s_waitcnt vmcnt(0)
	v_cmp_eq_u64_e32 vcc, v[22:23], v[24:25]
	s_and_saveexec_b64 s[12:13], vcc
	s_cbranch_execz .LBB576_135
; %bb.129:
	s_add_u32 s38, s26, -1
	v_lshl_add_u64 v[18:19], v[18:19], 0, 8
	v_lshl_add_u64 v[20:21], v[20:21], 0, 8
	s_addc_u32 s39, s27, -1
	s_mov_b64 s[40:41], 0
	s_mov_b64 s[44:45], 0
                                        ; implicit-def: $sgpr42_sgpr43
	s_branch .LBB576_132
.LBB576_130:                            ;   in Loop: Header=BB576_132 Depth=1
	global_load_dwordx2 v[22:23], v[20:21], off
	global_load_dwordx2 v[24:25], v[18:19], off
	s_add_u32 s44, s44, 1
	s_addc_u32 s45, s45, 0
	s_andn2_b64 s[42:43], s[42:43], exec
	v_lshl_add_u64 v[18:19], v[18:19], 0, 8
	v_lshl_add_u64 v[20:21], v[20:21], 0, 8
	s_waitcnt vmcnt(0)
	v_cmp_ne_u64_e32 vcc, v[22:23], v[24:25]
	s_and_b64 s[46:47], vcc, exec
	s_or_b64 s[42:43], s[42:43], s[46:47]
.LBB576_131:                            ;   in Loop: Header=BB576_132 Depth=1
	s_and_b64 s[46:47], exec, s[42:43]
	s_or_b64 s[40:41], s[46:47], s[40:41]
	v_mov_b64_e32 v[22:23], s[44:45]
	s_andn2_b64 exec, exec, s[40:41]
	s_cbranch_execz .LBB576_134
.LBB576_132:                            ; =>This Inner Loop Header: Depth=1
	s_or_b64 s[42:43], s[42:43], exec
	s_cmp_eq_u64 s[38:39], s[44:45]
	s_cbranch_scc0 .LBB576_130
; %bb.133:                              ;   in Loop: Header=BB576_132 Depth=1
                                        ; implicit-def: $vgpr18_vgpr19
                                        ; implicit-def: $vgpr20_vgpr21
	s_mov_b64 s[44:45], s[26:27]
	s_branch .LBB576_131
.LBB576_134:
	s_or_b64 exec, exec, s[40:41]
	v_cmp_gt_i64_e32 vcc, s[26:27], v[22:23]
	s_orn2_b64 s[38:39], vcc, exec
.LBB576_135:
	s_or_b64 exec, exec, s[12:13]
.LBB576_136:
	s_and_b64 s[12:13], s[38:39], exec
.LBB576_137:
	s_or_b64 exec, exec, s[14:15]
	v_cmp_gt_u32_e32 vcc, s52, v26
	s_mov_b64 s[14:15], 0
	s_mov_b64 s[38:39], 0
	s_and_saveexec_b64 s[40:41], vcc
	s_cbranch_execz .LBB576_148
; %bb.138:
	s_and_b64 vcc, exec, s[4:5]
	s_mov_b64 s[42:43], 0
	s_cbranch_vccnz .LBB576_147
; %bb.139:
	v_mul_lo_u32 v20, v13, s26
	v_mul_lo_u32 v21, v12, s27
	v_mad_u64_u32 v[18:19], s[38:39], v12, s26, 0
	v_add3_u32 v19, v19, v21, v20
	v_mul_lo_u32 v20, v7, s26
	v_mul_lo_u32 v21, v6, s27
	v_mad_u64_u32 v[22:23], s[38:39], v6, s26, 0
	v_add3_u32 v23, v23, v21, v20
	v_lshl_add_u64 v[20:21], v[18:19], 3, s[28:29]
	v_lshl_add_u64 v[18:19], v[22:23], 3, s[28:29]
	global_load_dwordx2 v[22:23], v[20:21], off
	global_load_dwordx2 v[24:25], v[18:19], off
	s_mov_b64 s[42:43], -1
	s_waitcnt vmcnt(0)
	v_cmp_eq_u64_e32 vcc, v[22:23], v[24:25]
	s_and_saveexec_b64 s[38:39], vcc
	s_cbranch_execz .LBB576_146
; %bb.140:
	s_add_u32 s42, s26, -1
	v_lshl_add_u64 v[18:19], v[18:19], 0, 8
	v_lshl_add_u64 v[20:21], v[20:21], 0, 8
	s_addc_u32 s43, s27, -1
	s_mov_b64 s[44:45], 0
	s_mov_b64 s[48:49], 0
                                        ; implicit-def: $sgpr46_sgpr47
	s_branch .LBB576_143
.LBB576_141:                            ;   in Loop: Header=BB576_143 Depth=1
	global_load_dwordx2 v[22:23], v[20:21], off
	global_load_dwordx2 v[24:25], v[18:19], off
	s_add_u32 s48, s48, 1
	s_addc_u32 s49, s49, 0
	s_andn2_b64 s[46:47], s[46:47], exec
	v_lshl_add_u64 v[18:19], v[18:19], 0, 8
	v_lshl_add_u64 v[20:21], v[20:21], 0, 8
	s_waitcnt vmcnt(0)
	v_cmp_ne_u64_e32 vcc, v[22:23], v[24:25]
	s_and_b64 s[50:51], vcc, exec
	s_or_b64 s[46:47], s[46:47], s[50:51]
.LBB576_142:                            ;   in Loop: Header=BB576_143 Depth=1
	s_and_b64 s[50:51], exec, s[46:47]
	s_or_b64 s[44:45], s[50:51], s[44:45]
	v_mov_b64_e32 v[22:23], s[48:49]
	s_andn2_b64 exec, exec, s[44:45]
	s_cbranch_execz .LBB576_145
.LBB576_143:                            ; =>This Inner Loop Header: Depth=1
	s_or_b64 s[46:47], s[46:47], exec
	s_cmp_eq_u64 s[42:43], s[48:49]
	s_cbranch_scc0 .LBB576_141
; %bb.144:                              ;   in Loop: Header=BB576_143 Depth=1
                                        ; implicit-def: $vgpr18_vgpr19
                                        ; implicit-def: $vgpr20_vgpr21
	s_mov_b64 s[48:49], s[26:27]
	s_branch .LBB576_142
.LBB576_145:
	s_or_b64 exec, exec, s[44:45]
	v_cmp_gt_i64_e32 vcc, s[26:27], v[22:23]
	s_orn2_b64 s[42:43], vcc, exec
.LBB576_146:
	s_or_b64 exec, exec, s[38:39]
.LBB576_147:
	s_and_b64 s[38:39], s[42:43], exec
.LBB576_148:
	s_or_b64 exec, exec, s[40:41]
	v_cmp_gt_u32_e32 vcc, s52, v27
	s_and_saveexec_b64 s[40:41], vcc
	s_cbranch_execz .LBB576_159
; %bb.149:
	s_and_b64 vcc, exec, s[4:5]
	s_mov_b64 s[42:43], 0
	s_cbranch_vccnz .LBB576_158
; %bb.150:
	v_mul_lo_u32 v20, v11, s26
	v_mul_lo_u32 v21, v10, s27
	v_mad_u64_u32 v[18:19], s[14:15], v10, s26, 0
	v_add3_u32 v19, v19, v21, v20
	v_mul_lo_u32 v20, v13, s26
	v_mul_lo_u32 v21, v12, s27
	v_mad_u64_u32 v[22:23], s[14:15], v12, s26, 0
	v_add3_u32 v23, v23, v21, v20
	v_lshl_add_u64 v[20:21], v[18:19], 3, s[28:29]
	v_lshl_add_u64 v[18:19], v[22:23], 3, s[28:29]
	global_load_dwordx2 v[22:23], v[20:21], off
	global_load_dwordx2 v[24:25], v[18:19], off
	s_mov_b64 s[42:43], -1
	s_waitcnt vmcnt(0)
	v_cmp_eq_u64_e32 vcc, v[22:23], v[24:25]
	s_and_saveexec_b64 s[14:15], vcc
	s_cbranch_execz .LBB576_157
; %bb.151:
	s_add_u32 s42, s26, -1
	v_lshl_add_u64 v[18:19], v[18:19], 0, 8
	v_lshl_add_u64 v[20:21], v[20:21], 0, 8
	s_addc_u32 s43, s27, -1
	s_mov_b64 s[44:45], 0
	s_mov_b64 s[48:49], 0
                                        ; implicit-def: $sgpr46_sgpr47
	s_branch .LBB576_154
.LBB576_152:                            ;   in Loop: Header=BB576_154 Depth=1
	global_load_dwordx2 v[22:23], v[20:21], off
	global_load_dwordx2 v[24:25], v[18:19], off
	s_add_u32 s48, s48, 1
	s_addc_u32 s49, s49, 0
	s_andn2_b64 s[46:47], s[46:47], exec
	v_lshl_add_u64 v[18:19], v[18:19], 0, 8
	v_lshl_add_u64 v[20:21], v[20:21], 0, 8
	s_waitcnt vmcnt(0)
	v_cmp_ne_u64_e32 vcc, v[22:23], v[24:25]
	s_and_b64 s[50:51], vcc, exec
	s_or_b64 s[46:47], s[46:47], s[50:51]
.LBB576_153:                            ;   in Loop: Header=BB576_154 Depth=1
	s_and_b64 s[50:51], exec, s[46:47]
	s_or_b64 s[44:45], s[50:51], s[44:45]
	v_mov_b64_e32 v[22:23], s[48:49]
	s_andn2_b64 exec, exec, s[44:45]
	s_cbranch_execz .LBB576_156
.LBB576_154:                            ; =>This Inner Loop Header: Depth=1
	s_or_b64 s[46:47], s[46:47], exec
	s_cmp_eq_u64 s[42:43], s[48:49]
	s_cbranch_scc0 .LBB576_152
; %bb.155:                              ;   in Loop: Header=BB576_154 Depth=1
                                        ; implicit-def: $vgpr18_vgpr19
                                        ; implicit-def: $vgpr20_vgpr21
	s_mov_b64 s[48:49], s[26:27]
	s_branch .LBB576_153
.LBB576_156:
	s_or_b64 exec, exec, s[44:45]
	v_cmp_gt_i64_e32 vcc, s[26:27], v[22:23]
	s_orn2_b64 s[42:43], vcc, exec
.LBB576_157:
	s_or_b64 exec, exec, s[14:15]
.LBB576_158:
	s_and_b64 s[14:15], s[42:43], exec
.LBB576_159:
	s_or_b64 exec, exec, s[40:41]
	s_waitcnt lgkmcnt(0)
	s_barrier
	s_and_saveexec_b64 s[40:41], s[2:3]
	s_cbranch_execz .LBB576_161
; %bb.160:
	s_waitcnt vmcnt(0)
	v_add_u32_e32 v16, -8, v33
	ds_read_b64 v[16:17], v16
.LBB576_161:
	s_or_b64 exec, exec, s[40:41]
	v_cndmask_b32_e64 v19, 0, 1, s[12:13]
	v_cndmask_b32_e64 v18, 0, 1, s[38:39]
	;; [unrolled: 1-line block ×3, first 2 shown]
	v_lshlrev_b16_e32 v19, 8, v19
	v_cmp_gt_u32_e32 vcc, s52, v1
	v_lshlrev_b16_e32 v22, 8, v20
	v_or_b32_sdwa v23, v18, v19 dst_sel:WORD_1 dst_unused:UNUSED_PAD src0_sel:DWORD src1_sel:DWORD
	s_mov_b64 s[12:13], 0
	s_and_saveexec_b64 s[14:15], vcc
	s_cbranch_execz .LBB576_172
; %bb.162:
	s_and_b64 vcc, exec, s[4:5]
	s_cbranch_vccnz .LBB576_171
; %bb.163:
	s_waitcnt vmcnt(0) lgkmcnt(0)
	v_mul_lo_u32 v18, v17, s26
	v_mul_lo_u32 v19, v16, s27
	v_mad_u64_u32 v[16:17], s[4:5], v16, s26, 0
	v_add3_u32 v17, v17, v19, v18
	v_mul_lo_u32 v18, v11, s26
	v_mul_lo_u32 v19, v10, s27
	v_mad_u64_u32 v[20:21], s[4:5], v10, s26, 0
	v_add3_u32 v21, v21, v19, v18
	v_lshl_add_u64 v[18:19], v[16:17], 3, s[28:29]
	v_lshl_add_u64 v[16:17], v[20:21], 3, s[28:29]
	global_load_dwordx2 v[20:21], v[18:19], off
	global_load_dwordx2 v[24:25], v[16:17], off
	s_mov_b64 s[12:13], -1
	s_waitcnt vmcnt(0)
	v_cmp_eq_u64_e32 vcc, v[20:21], v[24:25]
	s_and_saveexec_b64 s[4:5], vcc
	s_cbranch_execz .LBB576_170
; %bb.164:
	s_add_u32 s12, s26, -1
	v_lshl_add_u64 v[16:17], v[16:17], 0, 8
	v_lshl_add_u64 v[18:19], v[18:19], 0, 8
	s_addc_u32 s13, s27, -1
	s_mov_b64 s[38:39], 0
	s_mov_b64 s[42:43], 0
                                        ; implicit-def: $sgpr40_sgpr41
	s_branch .LBB576_167
.LBB576_165:                            ;   in Loop: Header=BB576_167 Depth=1
	global_load_dwordx2 v[20:21], v[18:19], off
	global_load_dwordx2 v[24:25], v[16:17], off
	s_add_u32 s42, s42, 1
	s_addc_u32 s43, s43, 0
	s_andn2_b64 s[40:41], s[40:41], exec
	v_lshl_add_u64 v[16:17], v[16:17], 0, 8
	v_lshl_add_u64 v[18:19], v[18:19], 0, 8
	s_waitcnt vmcnt(0)
	v_cmp_ne_u64_e32 vcc, v[20:21], v[24:25]
	s_and_b64 s[44:45], vcc, exec
	s_or_b64 s[40:41], s[40:41], s[44:45]
.LBB576_166:                            ;   in Loop: Header=BB576_167 Depth=1
	s_and_b64 s[44:45], exec, s[40:41]
	s_or_b64 s[38:39], s[44:45], s[38:39]
	v_mov_b64_e32 v[20:21], s[42:43]
	s_andn2_b64 exec, exec, s[38:39]
	s_cbranch_execz .LBB576_169
.LBB576_167:                            ; =>This Inner Loop Header: Depth=1
	s_or_b64 s[40:41], s[40:41], exec
	s_cmp_eq_u64 s[12:13], s[42:43]
	s_cbranch_scc0 .LBB576_165
; %bb.168:                              ;   in Loop: Header=BB576_167 Depth=1
                                        ; implicit-def: $vgpr16_vgpr17
                                        ; implicit-def: $vgpr18_vgpr19
	s_mov_b64 s[42:43], s[26:27]
	s_branch .LBB576_166
.LBB576_169:
	s_or_b64 exec, exec, s[38:39]
	v_cmp_gt_i64_e32 vcc, s[26:27], v[20:21]
	s_orn2_b64 s[12:13], vcc, exec
.LBB576_170:
	s_or_b64 exec, exec, s[4:5]
.LBB576_171:
	s_and_b64 s[12:13], s[12:13], exec
.LBB576_172:
	s_or_b64 exec, exec, s[14:15]
	v_cndmask_b32_e64 v25, 0, 1, s[10:11]
	v_cndmask_b32_e64 v34, 0, 1, s[8:9]
	;; [unrolled: 1-line block ×3, first 2 shown]
	v_or_b32_e32 v20, v22, v23
.LBB576_173:
	s_mov_b64 s[8:9], -1
	s_cbranch_execnz .LBB576_32
.LBB576_174:
	s_movk_i32 s4, 0xffd0
	v_mad_i32_i24 v24, v0, s4, v32
	s_mov_b64 s[10:11], 0
	v_cmp_gt_i64_e64 s[6:7], s[26:27], 0
	s_and_b64 vcc, exec, s[36:37]
	ds_write_b64 v24, v[14:15]
	s_cbranch_vccz .LBB576_182
; %bb.175:
	v_mul_lo_u32 v18, v5, s26
	v_mul_lo_u32 v19, v4, s27
	s_waitcnt vmcnt(0) lgkmcnt(1)
	v_mad_u64_u32 v[16:17], s[4:5], v4, s26, 0
	v_add3_u32 v17, v17, v19, v18
	v_cndmask_b32_e64 v18, 0, 1, s[6:7]
	v_cmp_ne_u32_e64 s[4:5], 1, v18
	s_andn2_b64 vcc, exec, s[6:7]
	v_lshl_add_u64 v[16:17], v[16:17], 3, s[28:29]
	s_cbranch_vccnz .LBB576_185
; %bb.176:
	v_mul_lo_u32 v20, v15, s26
	v_mul_lo_u32 v21, v14, s27
	v_mad_u64_u32 v[18:19], s[10:11], v14, s26, 0
	v_add3_u32 v19, v19, v21, v20
	v_lshl_add_u64 v[18:19], v[18:19], 3, s[28:29]
	global_load_dwordx2 v[20:21], v[16:17], off
	global_load_dwordx2 v[22:23], v[18:19], off
	s_mov_b64 s[10:11], -1
	s_waitcnt vmcnt(0)
	v_cmp_eq_u64_e32 vcc, v[20:21], v[22:23]
	s_and_saveexec_b64 s[12:13], vcc
	s_cbranch_execz .LBB576_184
; %bb.177:
	s_add_u32 s10, s26, -1
	v_lshl_add_u64 v[18:19], v[18:19], 0, 8
	v_lshl_add_u64 v[20:21], v[16:17], 0, 8
	s_addc_u32 s11, s27, -1
	s_mov_b64 s[14:15], 0
	s_mov_b64 s[40:41], 0
                                        ; implicit-def: $sgpr38_sgpr39
	s_branch .LBB576_180
.LBB576_178:                            ;   in Loop: Header=BB576_180 Depth=1
	global_load_dwordx2 v[22:23], v[20:21], off
	global_load_dwordx2 v[32:33], v[18:19], off
	s_add_u32 s40, s40, 1
	s_addc_u32 s41, s41, 0
	s_andn2_b64 s[38:39], s[38:39], exec
	v_lshl_add_u64 v[18:19], v[18:19], 0, 8
	v_lshl_add_u64 v[20:21], v[20:21], 0, 8
	s_waitcnt vmcnt(0)
	v_cmp_ne_u64_e32 vcc, v[22:23], v[32:33]
	s_and_b64 s[42:43], vcc, exec
	s_or_b64 s[38:39], s[38:39], s[42:43]
.LBB576_179:                            ;   in Loop: Header=BB576_180 Depth=1
	s_and_b64 s[42:43], exec, s[38:39]
	s_or_b64 s[14:15], s[42:43], s[14:15]
	v_mov_b64_e32 v[22:23], s[40:41]
	s_andn2_b64 exec, exec, s[14:15]
	s_cbranch_execz .LBB576_183
.LBB576_180:                            ; =>This Inner Loop Header: Depth=1
	s_or_b64 s[38:39], s[38:39], exec
	s_cmp_eq_u64 s[10:11], s[40:41]
	s_cbranch_scc0 .LBB576_178
; %bb.181:                              ;   in Loop: Header=BB576_180 Depth=1
                                        ; implicit-def: $vgpr18_vgpr19
                                        ; implicit-def: $vgpr20_vgpr21
	s_mov_b64 s[40:41], s[26:27]
	s_branch .LBB576_179
.LBB576_182:
                                        ; implicit-def: $sgpr12_sgpr13
                                        ; implicit-def: $vgpr35
                                        ; implicit-def: $vgpr34
                                        ; implicit-def: $vgpr25
                                        ; implicit-def: $vgpr20
                                        ; implicit-def: $vgpr16_vgpr17
	s_cbranch_execnz .LBB576_242
	s_branch .LBB576_322
.LBB576_183:
	s_or_b64 exec, exec, s[14:15]
	v_cmp_gt_i64_e32 vcc, s[26:27], v[22:23]
	s_orn2_b64 s[10:11], vcc, exec
.LBB576_184:
	s_or_b64 exec, exec, s[12:13]
.LBB576_185:
	v_mul_lo_u32 v20, v3, s26
	v_mul_lo_u32 v21, v2, s27
	v_mad_u64_u32 v[18:19], s[12:13], v2, s26, 0
	v_add3_u32 v19, v19, v21, v20
	s_mov_b64 s[12:13], 0
	s_and_b64 vcc, exec, s[4:5]
	v_lshl_add_u64 v[18:19], v[18:19], 3, s[28:29]
	s_mov_b64 s[14:15], 0
	s_cbranch_vccnz .LBB576_194
; %bb.186:
	global_load_dwordx2 v[20:21], v[18:19], off
	global_load_dwordx2 v[22:23], v[16:17], off
	s_mov_b64 s[14:15], -1
	s_waitcnt vmcnt(0)
	v_cmp_eq_u64_e32 vcc, v[20:21], v[22:23]
	s_and_saveexec_b64 s[38:39], vcc
	s_cbranch_execz .LBB576_193
; %bb.187:
	s_add_u32 s14, s26, -1
	v_lshl_add_u64 v[16:17], v[16:17], 0, 8
	v_lshl_add_u64 v[20:21], v[18:19], 0, 8
	s_addc_u32 s15, s27, -1
	s_mov_b64 s[40:41], 0
	s_mov_b64 s[44:45], 0
                                        ; implicit-def: $sgpr42_sgpr43
	s_branch .LBB576_190
.LBB576_188:                            ;   in Loop: Header=BB576_190 Depth=1
	global_load_dwordx2 v[22:23], v[20:21], off
	global_load_dwordx2 v[32:33], v[16:17], off
	s_add_u32 s44, s44, 1
	s_addc_u32 s45, s45, 0
	s_andn2_b64 s[42:43], s[42:43], exec
	v_lshl_add_u64 v[16:17], v[16:17], 0, 8
	v_lshl_add_u64 v[20:21], v[20:21], 0, 8
	s_waitcnt vmcnt(0)
	v_cmp_ne_u64_e32 vcc, v[22:23], v[32:33]
	s_and_b64 s[46:47], vcc, exec
	s_or_b64 s[42:43], s[42:43], s[46:47]
.LBB576_189:                            ;   in Loop: Header=BB576_190 Depth=1
	s_and_b64 s[46:47], exec, s[42:43]
	s_or_b64 s[40:41], s[46:47], s[40:41]
	v_mov_b64_e32 v[22:23], s[44:45]
	s_andn2_b64 exec, exec, s[40:41]
	s_cbranch_execz .LBB576_192
.LBB576_190:                            ; =>This Inner Loop Header: Depth=1
	s_or_b64 s[42:43], s[42:43], exec
	s_cmp_eq_u64 s[14:15], s[44:45]
	s_cbranch_scc0 .LBB576_188
; %bb.191:                              ;   in Loop: Header=BB576_190 Depth=1
                                        ; implicit-def: $vgpr16_vgpr17
                                        ; implicit-def: $vgpr20_vgpr21
	s_mov_b64 s[44:45], s[26:27]
	s_branch .LBB576_189
.LBB576_192:
	s_or_b64 exec, exec, s[40:41]
	v_cmp_gt_i64_e32 vcc, s[26:27], v[22:23]
	s_orn2_b64 s[14:15], vcc, exec
.LBB576_193:
	s_or_b64 exec, exec, s[38:39]
.LBB576_194:
	v_mul_lo_u32 v20, v9, s26
	v_mul_lo_u32 v21, v8, s27
	v_mad_u64_u32 v[16:17], s[38:39], v8, s26, 0
	v_add3_u32 v17, v17, v21, v20
	s_and_b64 vcc, exec, s[4:5]
	v_lshl_add_u64 v[16:17], v[16:17], 3, s[28:29]
	s_cbranch_vccnz .LBB576_203
; %bb.195:
	global_load_dwordx2 v[20:21], v[16:17], off
	global_load_dwordx2 v[22:23], v[18:19], off
	s_mov_b64 s[12:13], -1
	s_waitcnt vmcnt(0)
	v_cmp_eq_u64_e32 vcc, v[20:21], v[22:23]
	s_and_saveexec_b64 s[38:39], vcc
	s_cbranch_execz .LBB576_202
; %bb.196:
	s_add_u32 s12, s26, -1
	v_lshl_add_u64 v[18:19], v[18:19], 0, 8
	v_lshl_add_u64 v[20:21], v[16:17], 0, 8
	s_addc_u32 s13, s27, -1
	s_mov_b64 s[40:41], 0
	s_mov_b64 s[44:45], 0
                                        ; implicit-def: $sgpr42_sgpr43
	s_branch .LBB576_199
.LBB576_197:                            ;   in Loop: Header=BB576_199 Depth=1
	global_load_dwordx2 v[22:23], v[20:21], off
	global_load_dwordx2 v[32:33], v[18:19], off
	s_add_u32 s44, s44, 1
	s_addc_u32 s45, s45, 0
	s_andn2_b64 s[42:43], s[42:43], exec
	v_lshl_add_u64 v[18:19], v[18:19], 0, 8
	v_lshl_add_u64 v[20:21], v[20:21], 0, 8
	s_waitcnt vmcnt(0)
	v_cmp_ne_u64_e32 vcc, v[22:23], v[32:33]
	s_and_b64 s[46:47], vcc, exec
	s_or_b64 s[42:43], s[42:43], s[46:47]
.LBB576_198:                            ;   in Loop: Header=BB576_199 Depth=1
	s_and_b64 s[46:47], exec, s[42:43]
	s_or_b64 s[40:41], s[46:47], s[40:41]
	v_mov_b64_e32 v[22:23], s[44:45]
	s_andn2_b64 exec, exec, s[40:41]
	s_cbranch_execz .LBB576_201
.LBB576_199:                            ; =>This Inner Loop Header: Depth=1
	s_or_b64 s[42:43], s[42:43], exec
	s_cmp_eq_u64 s[12:13], s[44:45]
	s_cbranch_scc0 .LBB576_197
; %bb.200:                              ;   in Loop: Header=BB576_199 Depth=1
                                        ; implicit-def: $vgpr18_vgpr19
                                        ; implicit-def: $vgpr20_vgpr21
	s_mov_b64 s[44:45], s[26:27]
	s_branch .LBB576_198
.LBB576_201:
	s_or_b64 exec, exec, s[40:41]
	v_cmp_gt_i64_e32 vcc, s[26:27], v[22:23]
	s_orn2_b64 s[12:13], vcc, exec
.LBB576_202:
	s_or_b64 exec, exec, s[38:39]
.LBB576_203:
	v_mul_lo_u32 v20, v7, s26
	v_mul_lo_u32 v21, v6, s27
	v_mad_u64_u32 v[18:19], s[38:39], v6, s26, 0
	v_add3_u32 v19, v19, v21, v20
	s_mov_b64 s[38:39], 0
	s_and_b64 vcc, exec, s[4:5]
	v_lshl_add_u64 v[18:19], v[18:19], 3, s[28:29]
	s_mov_b64 s[40:41], 0
	s_cbranch_vccnz .LBB576_212
; %bb.204:
	global_load_dwordx2 v[20:21], v[18:19], off
	global_load_dwordx2 v[22:23], v[16:17], off
	s_mov_b64 s[40:41], -1
	s_waitcnt vmcnt(0)
	v_cmp_eq_u64_e32 vcc, v[20:21], v[22:23]
	s_and_saveexec_b64 s[42:43], vcc
	s_cbranch_execz .LBB576_211
; %bb.205:
	s_add_u32 s40, s26, -1
	v_lshl_add_u64 v[16:17], v[16:17], 0, 8
	v_lshl_add_u64 v[20:21], v[18:19], 0, 8
	s_addc_u32 s41, s27, -1
	s_mov_b64 s[44:45], 0
	s_mov_b64 s[48:49], 0
                                        ; implicit-def: $sgpr46_sgpr47
	s_branch .LBB576_208
.LBB576_206:                            ;   in Loop: Header=BB576_208 Depth=1
	global_load_dwordx2 v[22:23], v[20:21], off
	global_load_dwordx2 v[32:33], v[16:17], off
	s_add_u32 s48, s48, 1
	s_addc_u32 s49, s49, 0
	s_andn2_b64 s[46:47], s[46:47], exec
	v_lshl_add_u64 v[16:17], v[16:17], 0, 8
	v_lshl_add_u64 v[20:21], v[20:21], 0, 8
	s_waitcnt vmcnt(0)
	v_cmp_ne_u64_e32 vcc, v[22:23], v[32:33]
	s_and_b64 s[50:51], vcc, exec
	s_or_b64 s[46:47], s[46:47], s[50:51]
.LBB576_207:                            ;   in Loop: Header=BB576_208 Depth=1
	s_and_b64 s[50:51], exec, s[46:47]
	s_or_b64 s[44:45], s[50:51], s[44:45]
	v_mov_b64_e32 v[22:23], s[48:49]
	s_andn2_b64 exec, exec, s[44:45]
	s_cbranch_execz .LBB576_210
.LBB576_208:                            ; =>This Inner Loop Header: Depth=1
	s_or_b64 s[46:47], s[46:47], exec
	s_cmp_eq_u64 s[40:41], s[48:49]
	s_cbranch_scc0 .LBB576_206
; %bb.209:                              ;   in Loop: Header=BB576_208 Depth=1
                                        ; implicit-def: $vgpr16_vgpr17
                                        ; implicit-def: $vgpr20_vgpr21
	s_mov_b64 s[48:49], s[26:27]
	s_branch .LBB576_207
.LBB576_210:
	s_or_b64 exec, exec, s[44:45]
	v_cmp_gt_i64_e32 vcc, s[26:27], v[22:23]
	s_orn2_b64 s[40:41], vcc, exec
.LBB576_211:
	s_or_b64 exec, exec, s[42:43]
.LBB576_212:
	v_mul_lo_u32 v20, v13, s26
	v_mul_lo_u32 v21, v12, s27
	v_mad_u64_u32 v[16:17], s[42:43], v12, s26, 0
	v_add3_u32 v17, v17, v21, v20
	s_and_b64 vcc, exec, s[4:5]
	v_lshl_add_u64 v[16:17], v[16:17], 3, s[28:29]
	s_cbranch_vccnz .LBB576_221
; %bb.213:
	global_load_dwordx2 v[20:21], v[16:17], off
	global_load_dwordx2 v[22:23], v[18:19], off
	s_mov_b64 s[38:39], -1
	s_waitcnt vmcnt(0)
	v_cmp_eq_u64_e32 vcc, v[20:21], v[22:23]
	s_and_saveexec_b64 s[42:43], vcc
	s_cbranch_execz .LBB576_220
; %bb.214:
	s_add_u32 s38, s26, -1
	v_lshl_add_u64 v[18:19], v[18:19], 0, 8
	v_lshl_add_u64 v[20:21], v[16:17], 0, 8
	s_addc_u32 s39, s27, -1
	s_mov_b64 s[44:45], 0
	s_mov_b64 s[48:49], 0
                                        ; implicit-def: $sgpr46_sgpr47
	s_branch .LBB576_217
.LBB576_215:                            ;   in Loop: Header=BB576_217 Depth=1
	global_load_dwordx2 v[22:23], v[20:21], off
	global_load_dwordx2 v[32:33], v[18:19], off
	s_add_u32 s48, s48, 1
	s_addc_u32 s49, s49, 0
	s_andn2_b64 s[46:47], s[46:47], exec
	v_lshl_add_u64 v[18:19], v[18:19], 0, 8
	v_lshl_add_u64 v[20:21], v[20:21], 0, 8
	s_waitcnt vmcnt(0)
	v_cmp_ne_u64_e32 vcc, v[22:23], v[32:33]
	s_and_b64 s[50:51], vcc, exec
	s_or_b64 s[46:47], s[46:47], s[50:51]
.LBB576_216:                            ;   in Loop: Header=BB576_217 Depth=1
	s_and_b64 s[50:51], exec, s[46:47]
	s_or_b64 s[44:45], s[50:51], s[44:45]
	v_mov_b64_e32 v[22:23], s[48:49]
	s_andn2_b64 exec, exec, s[44:45]
	s_cbranch_execz .LBB576_219
.LBB576_217:                            ; =>This Inner Loop Header: Depth=1
	s_or_b64 s[46:47], s[46:47], exec
	s_cmp_eq_u64 s[38:39], s[48:49]
	s_cbranch_scc0 .LBB576_215
; %bb.218:                              ;   in Loop: Header=BB576_217 Depth=1
                                        ; implicit-def: $vgpr18_vgpr19
                                        ; implicit-def: $vgpr20_vgpr21
	s_mov_b64 s[48:49], s[26:27]
	s_branch .LBB576_216
.LBB576_219:
	s_or_b64 exec, exec, s[44:45]
	v_cmp_gt_i64_e32 vcc, s[26:27], v[22:23]
	s_orn2_b64 s[38:39], vcc, exec
.LBB576_220:
	s_or_b64 exec, exec, s[42:43]
.LBB576_221:
	v_mul_lo_u32 v20, v11, s26
	v_mul_lo_u32 v21, v10, s27
	v_mad_u64_u32 v[18:19], s[42:43], v10, s26, 0
	v_add3_u32 v19, v19, v21, v20
	s_and_b64 vcc, exec, s[4:5]
	s_mov_b64 s[44:45], 0
	s_cbranch_vccnz .LBB576_230
; %bb.222:
	v_lshl_add_u64 v[20:21], v[18:19], 3, s[28:29]
	global_load_dwordx2 v[22:23], v[20:21], off
	global_load_dwordx2 v[32:33], v[16:17], off
	s_mov_b64 s[44:45], -1
	s_waitcnt vmcnt(0)
	v_cmp_eq_u64_e32 vcc, v[22:23], v[32:33]
	s_and_saveexec_b64 s[42:43], vcc
	s_cbranch_execz .LBB576_229
; %bb.223:
	s_add_u32 s44, s26, -1
	v_lshl_add_u64 v[16:17], v[16:17], 0, 8
	v_lshl_add_u64 v[20:21], v[20:21], 0, 8
	s_addc_u32 s45, s27, -1
	s_mov_b64 s[46:47], 0
	s_mov_b64 s[50:51], 0
                                        ; implicit-def: $sgpr48_sgpr49
	s_branch .LBB576_226
.LBB576_224:                            ;   in Loop: Header=BB576_226 Depth=1
	global_load_dwordx2 v[22:23], v[20:21], off
	global_load_dwordx2 v[32:33], v[16:17], off
	s_add_u32 s50, s50, 1
	s_addc_u32 s51, s51, 0
	s_andn2_b64 s[48:49], s[48:49], exec
	v_lshl_add_u64 v[16:17], v[16:17], 0, 8
	v_lshl_add_u64 v[20:21], v[20:21], 0, 8
	s_waitcnt vmcnt(0)
	v_cmp_ne_u64_e32 vcc, v[22:23], v[32:33]
	s_and_b64 s[54:55], vcc, exec
	s_or_b64 s[48:49], s[48:49], s[54:55]
.LBB576_225:                            ;   in Loop: Header=BB576_226 Depth=1
	s_and_b64 s[54:55], exec, s[48:49]
	s_or_b64 s[46:47], s[54:55], s[46:47]
	v_mov_b64_e32 v[22:23], s[50:51]
	s_andn2_b64 exec, exec, s[46:47]
	s_cbranch_execz .LBB576_228
.LBB576_226:                            ; =>This Inner Loop Header: Depth=1
	s_or_b64 s[48:49], s[48:49], exec
	s_cmp_eq_u64 s[44:45], s[50:51]
	s_cbranch_scc0 .LBB576_224
; %bb.227:                              ;   in Loop: Header=BB576_226 Depth=1
                                        ; implicit-def: $vgpr16_vgpr17
                                        ; implicit-def: $vgpr20_vgpr21
	s_mov_b64 s[50:51], s[26:27]
	s_branch .LBB576_225
.LBB576_228:
	s_or_b64 exec, exec, s[46:47]
	v_cmp_gt_i64_e32 vcc, s[26:27], v[22:23]
	s_orn2_b64 s[44:45], vcc, exec
.LBB576_229:
	s_or_b64 exec, exec, s[42:43]
.LBB576_230:
	v_cndmask_b32_e64 v17, 0, 1, s[40:41]
	v_cndmask_b32_e64 v16, 0, 1, s[38:39]
	;; [unrolled: 1-line block ×3, first 2 shown]
	v_lshlrev_b16_e32 v17, 8, v17
	v_cndmask_b32_e64 v25, 0, 1, s[12:13]
	v_cndmask_b32_e64 v20, 0, 1, s[44:45]
	v_or_b32_sdwa v16, v16, v17 dst_sel:WORD_1 dst_unused:UNUSED_PAD src0_sel:DWORD src1_sel:DWORD
	v_lshlrev_b16_e32 v17, 8, v34
	v_lshlrev_b16_e32 v20, 8, v20
	v_or_b32_e32 v17, v25, v17
	v_or_b32_e32 v20, 1, v20
	v_and_b32_e32 v17, 0xffff, v17
	v_cndmask_b32_e64 v35, 0, 1, s[10:11]
	v_or_b32_sdwa v16, v20, v16 dst_sel:DWORD dst_unused:UNUSED_PAD src0_sel:WORD_0 src1_sel:DWORD
	v_lshl_or_b32 v17, v35, 16, v17
	s_waitcnt lgkmcnt(0)
	s_barrier
	s_waitcnt lgkmcnt(0)
                                        ; implicit-def: $sgpr12_sgpr13
                                        ; implicit-def: $vgpr20
	s_and_saveexec_b64 s[10:11], s[2:3]
	s_xor_b64 s[10:11], exec, s[10:11]
	s_cbranch_execz .LBB576_241
; %bb.231:
	s_mov_b32 s42, 0x3020104
	s_and_b64 vcc, exec, s[4:5]
	s_mov_b64 s[12:13], 0
	s_cbranch_vccnz .LBB576_240
; %bb.232:
	v_add_u32_e32 v17, -8, v24
	ds_read_b64 v[20:21], v17
	v_lshl_add_u64 v[18:19], v[18:19], 3, s[28:29]
	s_mov_b64 s[12:13], -1
	s_waitcnt lgkmcnt(0)
	v_mul_lo_u32 v17, v21, s26
	v_mul_lo_u32 v22, v20, s27
	v_mad_u64_u32 v[20:21], s[4:5], v20, s26, 0
	v_add3_u32 v21, v21, v22, v17
	v_lshl_add_u64 v[20:21], v[20:21], 3, s[28:29]
	global_load_dwordx2 v[22:23], v[20:21], off
	global_load_dwordx2 v[32:33], v[18:19], off
	s_waitcnt vmcnt(0)
	v_cmp_eq_u64_e32 vcc, v[22:23], v[32:33]
	s_and_saveexec_b64 s[4:5], vcc
	s_cbranch_execz .LBB576_239
; %bb.233:
	s_add_u32 s12, s26, -1
	v_lshl_add_u64 v[18:19], v[18:19], 0, 8
	v_lshl_add_u64 v[20:21], v[20:21], 0, 8
	s_addc_u32 s13, s27, -1
	s_mov_b64 s[14:15], 0
	s_mov_b64 s[40:41], 0
                                        ; implicit-def: $sgpr38_sgpr39
	s_branch .LBB576_236
.LBB576_234:                            ;   in Loop: Header=BB576_236 Depth=1
	global_load_dwordx2 v[22:23], v[20:21], off
	global_load_dwordx2 v[32:33], v[18:19], off
	s_add_u32 s40, s40, 1
	s_addc_u32 s41, s41, 0
	s_andn2_b64 s[38:39], s[38:39], exec
	v_lshl_add_u64 v[18:19], v[18:19], 0, 8
	v_lshl_add_u64 v[20:21], v[20:21], 0, 8
	s_waitcnt vmcnt(0)
	v_cmp_ne_u64_e32 vcc, v[22:23], v[32:33]
	s_and_b64 s[44:45], vcc, exec
	s_or_b64 s[38:39], s[38:39], s[44:45]
.LBB576_235:                            ;   in Loop: Header=BB576_236 Depth=1
	s_and_b64 s[44:45], exec, s[38:39]
	s_or_b64 s[14:15], s[44:45], s[14:15]
	v_mov_b64_e32 v[22:23], s[40:41]
	s_andn2_b64 exec, exec, s[14:15]
	s_cbranch_execz .LBB576_238
.LBB576_236:                            ; =>This Inner Loop Header: Depth=1
	s_or_b64 s[38:39], s[38:39], exec
	s_cmp_eq_u64 s[12:13], s[40:41]
	s_cbranch_scc0 .LBB576_234
; %bb.237:                              ;   in Loop: Header=BB576_236 Depth=1
                                        ; implicit-def: $vgpr18_vgpr19
                                        ; implicit-def: $vgpr20_vgpr21
	s_mov_b64 s[40:41], s[26:27]
	s_branch .LBB576_235
.LBB576_238:
	s_or_b64 exec, exec, s[14:15]
	v_cmp_gt_i64_e32 vcc, s[26:27], v[22:23]
	s_orn2_b64 s[12:13], vcc, exec
.LBB576_239:
	s_or_b64 exec, exec, s[4:5]
.LBB576_240:
	v_perm_b32 v20, v16, v16, s42
	s_and_b64 s[12:13], s[12:13], exec
	s_or_b64 s[8:9], s[8:9], exec
                                        ; implicit-def: $vgpr16_vgpr17
.LBB576_241:
	s_or_b64 exec, exec, s[10:11]
	s_branch .LBB576_322
.LBB576_242:
	v_cmp_gt_u32_e32 vcc, s52, v29
	s_mov_b64 s[10:11], 0
	s_mov_b64 s[4:5], 0
	s_and_saveexec_b64 s[12:13], vcc
	s_cbranch_execz .LBB576_253
; %bb.243:
	s_andn2_b64 vcc, exec, s[6:7]
	s_mov_b64 s[14:15], 0
	s_cbranch_vccnz .LBB576_252
; %bb.244:
	v_mul_lo_u32 v18, v5, s26
	v_mul_lo_u32 v19, v4, s27
	s_waitcnt vmcnt(0) lgkmcnt(1)
	v_mad_u64_u32 v[16:17], s[4:5], v4, s26, 0
	v_add3_u32 v17, v17, v19, v18
	v_mul_lo_u32 v18, v15, s26
	v_mul_lo_u32 v19, v14, s27
	v_mad_u64_u32 v[20:21], s[4:5], v14, s26, 0
	v_add3_u32 v21, v21, v19, v18
	v_lshl_add_u64 v[18:19], v[16:17], 3, s[28:29]
	v_lshl_add_u64 v[16:17], v[20:21], 3, s[28:29]
	global_load_dwordx2 v[20:21], v[18:19], off
	global_load_dwordx2 v[22:23], v[16:17], off
	s_mov_b64 s[14:15], -1
	s_waitcnt vmcnt(0)
	v_cmp_eq_u64_e32 vcc, v[20:21], v[22:23]
	s_and_saveexec_b64 s[4:5], vcc
	s_cbranch_execz .LBB576_251
; %bb.245:
	s_add_u32 s14, s26, -1
	v_lshl_add_u64 v[16:17], v[16:17], 0, 8
	v_lshl_add_u64 v[18:19], v[18:19], 0, 8
	s_addc_u32 s15, s27, -1
	s_mov_b64 s[38:39], 0
	s_mov_b64 s[42:43], 0
                                        ; implicit-def: $sgpr40_sgpr41
	s_branch .LBB576_248
.LBB576_246:                            ;   in Loop: Header=BB576_248 Depth=1
	global_load_dwordx2 v[20:21], v[18:19], off
	global_load_dwordx2 v[22:23], v[16:17], off
	s_add_u32 s42, s42, 1
	s_addc_u32 s43, s43, 0
	s_andn2_b64 s[40:41], s[40:41], exec
	v_lshl_add_u64 v[16:17], v[16:17], 0, 8
	v_lshl_add_u64 v[18:19], v[18:19], 0, 8
	s_waitcnt vmcnt(0)
	v_cmp_ne_u64_e32 vcc, v[20:21], v[22:23]
	s_and_b64 s[44:45], vcc, exec
	s_or_b64 s[40:41], s[40:41], s[44:45]
.LBB576_247:                            ;   in Loop: Header=BB576_248 Depth=1
	s_and_b64 s[44:45], exec, s[40:41]
	s_or_b64 s[38:39], s[44:45], s[38:39]
	v_mov_b64_e32 v[20:21], s[42:43]
	s_andn2_b64 exec, exec, s[38:39]
	s_cbranch_execz .LBB576_250
.LBB576_248:                            ; =>This Inner Loop Header: Depth=1
	s_or_b64 s[40:41], s[40:41], exec
	s_cmp_eq_u64 s[14:15], s[42:43]
	s_cbranch_scc0 .LBB576_246
; %bb.249:                              ;   in Loop: Header=BB576_248 Depth=1
                                        ; implicit-def: $vgpr16_vgpr17
                                        ; implicit-def: $vgpr18_vgpr19
	s_mov_b64 s[42:43], s[26:27]
	s_branch .LBB576_247
.LBB576_250:
	s_or_b64 exec, exec, s[38:39]
	v_cmp_gt_i64_e32 vcc, s[26:27], v[20:21]
	s_orn2_b64 s[14:15], vcc, exec
.LBB576_251:
	s_or_b64 exec, exec, s[4:5]
.LBB576_252:
	s_and_b64 s[4:5], s[14:15], exec
.LBB576_253:
	s_or_b64 exec, exec, s[12:13]
	v_cmp_gt_u32_e32 vcc, s52, v31
	s_and_saveexec_b64 s[12:13], vcc
	s_cbranch_execz .LBB576_264
; %bb.254:
	s_andn2_b64 vcc, exec, s[6:7]
	s_mov_b64 s[14:15], 0
	s_cbranch_vccnz .LBB576_263
; %bb.255:
	v_mul_lo_u32 v18, v3, s26
	v_mul_lo_u32 v19, v2, s27
	s_waitcnt vmcnt(0) lgkmcnt(1)
	v_mad_u64_u32 v[16:17], s[10:11], v2, s26, 0
	v_add3_u32 v17, v17, v19, v18
	v_mul_lo_u32 v18, v5, s26
	v_mul_lo_u32 v19, v4, s27
	v_mad_u64_u32 v[20:21], s[10:11], v4, s26, 0
	v_add3_u32 v21, v21, v19, v18
	v_lshl_add_u64 v[18:19], v[16:17], 3, s[28:29]
	v_lshl_add_u64 v[16:17], v[20:21], 3, s[28:29]
	global_load_dwordx2 v[20:21], v[18:19], off
	global_load_dwordx2 v[22:23], v[16:17], off
	s_mov_b64 s[14:15], -1
	s_waitcnt vmcnt(0)
	v_cmp_eq_u64_e32 vcc, v[20:21], v[22:23]
	s_and_saveexec_b64 s[10:11], vcc
	s_cbranch_execz .LBB576_262
; %bb.256:
	s_add_u32 s14, s26, -1
	v_lshl_add_u64 v[16:17], v[16:17], 0, 8
	v_lshl_add_u64 v[18:19], v[18:19], 0, 8
	s_addc_u32 s15, s27, -1
	s_mov_b64 s[38:39], 0
	s_mov_b64 s[42:43], 0
                                        ; implicit-def: $sgpr40_sgpr41
	s_branch .LBB576_259
.LBB576_257:                            ;   in Loop: Header=BB576_259 Depth=1
	global_load_dwordx2 v[20:21], v[18:19], off
	global_load_dwordx2 v[22:23], v[16:17], off
	s_add_u32 s42, s42, 1
	s_addc_u32 s43, s43, 0
	s_andn2_b64 s[40:41], s[40:41], exec
	v_lshl_add_u64 v[16:17], v[16:17], 0, 8
	v_lshl_add_u64 v[18:19], v[18:19], 0, 8
	s_waitcnt vmcnt(0)
	v_cmp_ne_u64_e32 vcc, v[20:21], v[22:23]
	s_and_b64 s[44:45], vcc, exec
	s_or_b64 s[40:41], s[40:41], s[44:45]
.LBB576_258:                            ;   in Loop: Header=BB576_259 Depth=1
	s_and_b64 s[44:45], exec, s[40:41]
	s_or_b64 s[38:39], s[44:45], s[38:39]
	v_mov_b64_e32 v[20:21], s[42:43]
	s_andn2_b64 exec, exec, s[38:39]
	s_cbranch_execz .LBB576_261
.LBB576_259:                            ; =>This Inner Loop Header: Depth=1
	s_or_b64 s[40:41], s[40:41], exec
	s_cmp_eq_u64 s[14:15], s[42:43]
	s_cbranch_scc0 .LBB576_257
; %bb.260:                              ;   in Loop: Header=BB576_259 Depth=1
                                        ; implicit-def: $vgpr16_vgpr17
                                        ; implicit-def: $vgpr18_vgpr19
	s_mov_b64 s[42:43], s[26:27]
	s_branch .LBB576_258
.LBB576_261:
	s_or_b64 exec, exec, s[38:39]
	v_cmp_gt_i64_e32 vcc, s[26:27], v[20:21]
	s_orn2_b64 s[14:15], vcc, exec
.LBB576_262:
	s_or_b64 exec, exec, s[10:11]
.LBB576_263:
	s_and_b64 s[10:11], s[14:15], exec
.LBB576_264:
	s_or_b64 exec, exec, s[12:13]
	v_cmp_gt_u32_e32 vcc, s52, v28
	s_mov_b64 s[14:15], 0
	s_mov_b64 s[12:13], 0
	s_and_saveexec_b64 s[38:39], vcc
	s_cbranch_execz .LBB576_275
; %bb.265:
	s_andn2_b64 vcc, exec, s[6:7]
	s_mov_b64 s[40:41], 0
	s_cbranch_vccnz .LBB576_274
; %bb.266:
	v_mul_lo_u32 v18, v9, s26
	v_mul_lo_u32 v19, v8, s27
	s_waitcnt vmcnt(0) lgkmcnt(1)
	v_mad_u64_u32 v[16:17], s[12:13], v8, s26, 0
	v_add3_u32 v17, v17, v19, v18
	v_mul_lo_u32 v18, v3, s26
	v_mul_lo_u32 v19, v2, s27
	v_mad_u64_u32 v[20:21], s[12:13], v2, s26, 0
	v_add3_u32 v21, v21, v19, v18
	v_lshl_add_u64 v[18:19], v[16:17], 3, s[28:29]
	v_lshl_add_u64 v[16:17], v[20:21], 3, s[28:29]
	global_load_dwordx2 v[20:21], v[18:19], off
	global_load_dwordx2 v[22:23], v[16:17], off
	s_mov_b64 s[40:41], -1
	s_waitcnt vmcnt(0)
	v_cmp_eq_u64_e32 vcc, v[20:21], v[22:23]
	s_and_saveexec_b64 s[12:13], vcc
	s_cbranch_execz .LBB576_273
; %bb.267:
	s_add_u32 s40, s26, -1
	v_lshl_add_u64 v[16:17], v[16:17], 0, 8
	v_lshl_add_u64 v[18:19], v[18:19], 0, 8
	s_addc_u32 s41, s27, -1
	s_mov_b64 s[42:43], 0
	s_mov_b64 s[46:47], 0
                                        ; implicit-def: $sgpr44_sgpr45
	s_branch .LBB576_270
.LBB576_268:                            ;   in Loop: Header=BB576_270 Depth=1
	global_load_dwordx2 v[20:21], v[18:19], off
	global_load_dwordx2 v[22:23], v[16:17], off
	s_add_u32 s46, s46, 1
	s_addc_u32 s47, s47, 0
	s_andn2_b64 s[44:45], s[44:45], exec
	v_lshl_add_u64 v[16:17], v[16:17], 0, 8
	v_lshl_add_u64 v[18:19], v[18:19], 0, 8
	s_waitcnt vmcnt(0)
	v_cmp_ne_u64_e32 vcc, v[20:21], v[22:23]
	s_and_b64 s[48:49], vcc, exec
	s_or_b64 s[44:45], s[44:45], s[48:49]
.LBB576_269:                            ;   in Loop: Header=BB576_270 Depth=1
	s_and_b64 s[48:49], exec, s[44:45]
	s_or_b64 s[42:43], s[48:49], s[42:43]
	v_mov_b64_e32 v[20:21], s[46:47]
	s_andn2_b64 exec, exec, s[42:43]
	s_cbranch_execz .LBB576_272
.LBB576_270:                            ; =>This Inner Loop Header: Depth=1
	s_or_b64 s[44:45], s[44:45], exec
	s_cmp_eq_u64 s[40:41], s[46:47]
	s_cbranch_scc0 .LBB576_268
; %bb.271:                              ;   in Loop: Header=BB576_270 Depth=1
                                        ; implicit-def: $vgpr16_vgpr17
                                        ; implicit-def: $vgpr18_vgpr19
	s_mov_b64 s[46:47], s[26:27]
	s_branch .LBB576_269
.LBB576_272:
	s_or_b64 exec, exec, s[42:43]
	v_cmp_gt_i64_e32 vcc, s[26:27], v[20:21]
	s_orn2_b64 s[40:41], vcc, exec
.LBB576_273:
	s_or_b64 exec, exec, s[12:13]
.LBB576_274:
	s_and_b64 s[12:13], s[40:41], exec
.LBB576_275:
	s_or_b64 exec, exec, s[38:39]
	v_cmp_gt_u32_e32 vcc, s52, v30
	s_and_saveexec_b64 s[38:39], vcc
	s_cbranch_execz .LBB576_286
; %bb.276:
	s_andn2_b64 vcc, exec, s[6:7]
	s_mov_b64 s[40:41], 0
	s_cbranch_vccnz .LBB576_285
; %bb.277:
	v_mul_lo_u32 v18, v7, s26
	v_mul_lo_u32 v19, v6, s27
	s_waitcnt vmcnt(0) lgkmcnt(1)
	v_mad_u64_u32 v[16:17], s[14:15], v6, s26, 0
	v_add3_u32 v17, v17, v19, v18
	v_mul_lo_u32 v18, v9, s26
	v_mul_lo_u32 v19, v8, s27
	v_mad_u64_u32 v[20:21], s[14:15], v8, s26, 0
	v_add3_u32 v21, v21, v19, v18
	v_lshl_add_u64 v[18:19], v[16:17], 3, s[28:29]
	v_lshl_add_u64 v[16:17], v[20:21], 3, s[28:29]
	global_load_dwordx2 v[20:21], v[18:19], off
	global_load_dwordx2 v[22:23], v[16:17], off
	s_mov_b64 s[40:41], -1
	s_waitcnt vmcnt(0)
	v_cmp_eq_u64_e32 vcc, v[20:21], v[22:23]
	s_and_saveexec_b64 s[14:15], vcc
	s_cbranch_execz .LBB576_284
; %bb.278:
	s_add_u32 s40, s26, -1
	v_lshl_add_u64 v[16:17], v[16:17], 0, 8
	v_lshl_add_u64 v[18:19], v[18:19], 0, 8
	s_addc_u32 s41, s27, -1
	s_mov_b64 s[42:43], 0
	s_mov_b64 s[46:47], 0
                                        ; implicit-def: $sgpr44_sgpr45
	s_branch .LBB576_281
.LBB576_279:                            ;   in Loop: Header=BB576_281 Depth=1
	global_load_dwordx2 v[20:21], v[18:19], off
	global_load_dwordx2 v[22:23], v[16:17], off
	s_add_u32 s46, s46, 1
	s_addc_u32 s47, s47, 0
	s_andn2_b64 s[44:45], s[44:45], exec
	v_lshl_add_u64 v[16:17], v[16:17], 0, 8
	v_lshl_add_u64 v[18:19], v[18:19], 0, 8
	s_waitcnt vmcnt(0)
	v_cmp_ne_u64_e32 vcc, v[20:21], v[22:23]
	s_and_b64 s[48:49], vcc, exec
	s_or_b64 s[44:45], s[44:45], s[48:49]
.LBB576_280:                            ;   in Loop: Header=BB576_281 Depth=1
	s_and_b64 s[48:49], exec, s[44:45]
	s_or_b64 s[42:43], s[48:49], s[42:43]
	v_mov_b64_e32 v[20:21], s[46:47]
	s_andn2_b64 exec, exec, s[42:43]
	s_cbranch_execz .LBB576_283
.LBB576_281:                            ; =>This Inner Loop Header: Depth=1
	s_or_b64 s[44:45], s[44:45], exec
	s_cmp_eq_u64 s[40:41], s[46:47]
	s_cbranch_scc0 .LBB576_279
; %bb.282:                              ;   in Loop: Header=BB576_281 Depth=1
                                        ; implicit-def: $vgpr16_vgpr17
                                        ; implicit-def: $vgpr18_vgpr19
	s_mov_b64 s[46:47], s[26:27]
	s_branch .LBB576_280
.LBB576_283:
	s_or_b64 exec, exec, s[42:43]
	v_cmp_gt_i64_e32 vcc, s[26:27], v[20:21]
	s_orn2_b64 s[40:41], vcc, exec
.LBB576_284:
	s_or_b64 exec, exec, s[14:15]
.LBB576_285:
	s_and_b64 s[14:15], s[40:41], exec
.LBB576_286:
	s_or_b64 exec, exec, s[38:39]
	v_cmp_gt_u32_e32 vcc, s52, v26
	s_mov_b64 s[38:39], 0
	s_mov_b64 s[40:41], 0
	s_and_saveexec_b64 s[42:43], vcc
	s_cbranch_execz .LBB576_297
; %bb.287:
	s_andn2_b64 vcc, exec, s[6:7]
	s_mov_b64 s[44:45], 0
	s_cbranch_vccnz .LBB576_296
; %bb.288:
	v_mul_lo_u32 v18, v13, s26
	v_mul_lo_u32 v19, v12, s27
	s_waitcnt vmcnt(0) lgkmcnt(1)
	v_mad_u64_u32 v[16:17], s[40:41], v12, s26, 0
	v_add3_u32 v17, v17, v19, v18
	v_mul_lo_u32 v18, v7, s26
	v_mul_lo_u32 v19, v6, s27
	v_mad_u64_u32 v[20:21], s[40:41], v6, s26, 0
	v_add3_u32 v21, v21, v19, v18
	v_lshl_add_u64 v[18:19], v[16:17], 3, s[28:29]
	v_lshl_add_u64 v[16:17], v[20:21], 3, s[28:29]
	global_load_dwordx2 v[20:21], v[18:19], off
	global_load_dwordx2 v[22:23], v[16:17], off
	s_mov_b64 s[44:45], -1
	s_waitcnt vmcnt(0)
	v_cmp_eq_u64_e32 vcc, v[20:21], v[22:23]
	s_and_saveexec_b64 s[40:41], vcc
	s_cbranch_execz .LBB576_295
; %bb.289:
	s_add_u32 s44, s26, -1
	v_lshl_add_u64 v[16:17], v[16:17], 0, 8
	v_lshl_add_u64 v[18:19], v[18:19], 0, 8
	s_addc_u32 s45, s27, -1
	s_mov_b64 s[46:47], 0
	s_mov_b64 s[50:51], 0
                                        ; implicit-def: $sgpr48_sgpr49
	s_branch .LBB576_292
.LBB576_290:                            ;   in Loop: Header=BB576_292 Depth=1
	global_load_dwordx2 v[20:21], v[18:19], off
	global_load_dwordx2 v[22:23], v[16:17], off
	s_add_u32 s50, s50, 1
	s_addc_u32 s51, s51, 0
	s_andn2_b64 s[48:49], s[48:49], exec
	v_lshl_add_u64 v[16:17], v[16:17], 0, 8
	v_lshl_add_u64 v[18:19], v[18:19], 0, 8
	s_waitcnt vmcnt(0)
	v_cmp_ne_u64_e32 vcc, v[20:21], v[22:23]
	s_and_b64 s[54:55], vcc, exec
	s_or_b64 s[48:49], s[48:49], s[54:55]
.LBB576_291:                            ;   in Loop: Header=BB576_292 Depth=1
	s_and_b64 s[54:55], exec, s[48:49]
	s_or_b64 s[46:47], s[54:55], s[46:47]
	v_mov_b64_e32 v[20:21], s[50:51]
	s_andn2_b64 exec, exec, s[46:47]
	s_cbranch_execz .LBB576_294
.LBB576_292:                            ; =>This Inner Loop Header: Depth=1
	s_or_b64 s[48:49], s[48:49], exec
	s_cmp_eq_u64 s[44:45], s[50:51]
	s_cbranch_scc0 .LBB576_290
; %bb.293:                              ;   in Loop: Header=BB576_292 Depth=1
                                        ; implicit-def: $vgpr16_vgpr17
                                        ; implicit-def: $vgpr18_vgpr19
	s_mov_b64 s[50:51], s[26:27]
	s_branch .LBB576_291
.LBB576_294:
	s_or_b64 exec, exec, s[46:47]
	v_cmp_gt_i64_e32 vcc, s[26:27], v[20:21]
	s_orn2_b64 s[44:45], vcc, exec
.LBB576_295:
	s_or_b64 exec, exec, s[40:41]
.LBB576_296:
	s_and_b64 s[40:41], s[44:45], exec
.LBB576_297:
	s_or_b64 exec, exec, s[42:43]
	v_cmp_gt_u32_e32 vcc, s52, v27
	s_and_saveexec_b64 s[42:43], vcc
	s_cbranch_execz .LBB576_308
; %bb.298:
	s_andn2_b64 vcc, exec, s[6:7]
	s_mov_b64 s[44:45], 0
	s_cbranch_vccnz .LBB576_307
; %bb.299:
	v_mul_lo_u32 v18, v11, s26
	v_mul_lo_u32 v19, v10, s27
	s_waitcnt vmcnt(0) lgkmcnt(1)
	v_mad_u64_u32 v[16:17], s[38:39], v10, s26, 0
	v_add3_u32 v17, v17, v19, v18
	v_mul_lo_u32 v18, v13, s26
	v_mul_lo_u32 v19, v12, s27
	v_mad_u64_u32 v[20:21], s[38:39], v12, s26, 0
	v_add3_u32 v21, v21, v19, v18
	v_lshl_add_u64 v[18:19], v[16:17], 3, s[28:29]
	v_lshl_add_u64 v[16:17], v[20:21], 3, s[28:29]
	global_load_dwordx2 v[20:21], v[18:19], off
	global_load_dwordx2 v[22:23], v[16:17], off
	s_mov_b64 s[44:45], -1
	s_waitcnt vmcnt(0)
	v_cmp_eq_u64_e32 vcc, v[20:21], v[22:23]
	s_and_saveexec_b64 s[38:39], vcc
	s_cbranch_execz .LBB576_306
; %bb.300:
	s_add_u32 s44, s26, -1
	v_lshl_add_u64 v[16:17], v[16:17], 0, 8
	v_lshl_add_u64 v[18:19], v[18:19], 0, 8
	s_addc_u32 s45, s27, -1
	s_mov_b64 s[46:47], 0
	s_mov_b64 s[50:51], 0
                                        ; implicit-def: $sgpr48_sgpr49
	s_branch .LBB576_303
.LBB576_301:                            ;   in Loop: Header=BB576_303 Depth=1
	global_load_dwordx2 v[20:21], v[18:19], off
	global_load_dwordx2 v[22:23], v[16:17], off
	s_add_u32 s50, s50, 1
	s_addc_u32 s51, s51, 0
	s_andn2_b64 s[48:49], s[48:49], exec
	v_lshl_add_u64 v[16:17], v[16:17], 0, 8
	v_lshl_add_u64 v[18:19], v[18:19], 0, 8
	s_waitcnt vmcnt(0)
	v_cmp_ne_u64_e32 vcc, v[20:21], v[22:23]
	s_and_b64 s[54:55], vcc, exec
	s_or_b64 s[48:49], s[48:49], s[54:55]
.LBB576_302:                            ;   in Loop: Header=BB576_303 Depth=1
	s_and_b64 s[54:55], exec, s[48:49]
	s_or_b64 s[46:47], s[54:55], s[46:47]
	v_mov_b64_e32 v[20:21], s[50:51]
	s_andn2_b64 exec, exec, s[46:47]
	s_cbranch_execz .LBB576_305
.LBB576_303:                            ; =>This Inner Loop Header: Depth=1
	s_or_b64 s[48:49], s[48:49], exec
	s_cmp_eq_u64 s[44:45], s[50:51]
	s_cbranch_scc0 .LBB576_301
; %bb.304:                              ;   in Loop: Header=BB576_303 Depth=1
                                        ; implicit-def: $vgpr16_vgpr17
                                        ; implicit-def: $vgpr18_vgpr19
	s_mov_b64 s[50:51], s[26:27]
	s_branch .LBB576_302
.LBB576_305:
	s_or_b64 exec, exec, s[46:47]
	v_cmp_gt_i64_e32 vcc, s[26:27], v[20:21]
	s_orn2_b64 s[44:45], vcc, exec
.LBB576_306:
	s_or_b64 exec, exec, s[38:39]
.LBB576_307:
	s_and_b64 s[38:39], s[44:45], exec
.LBB576_308:
	s_or_b64 exec, exec, s[42:43]
	s_waitcnt vmcnt(0) lgkmcnt(1)
	v_cndmask_b32_e64 v17, 0, 1, s[14:15]
	v_cndmask_b32_e64 v16, 0, 1, s[40:41]
	;; [unrolled: 1-line block ×3, first 2 shown]
	v_lshlrev_b16_e32 v17, 8, v17
	v_cndmask_b32_e64 v25, 0, 1, s[12:13]
	v_cndmask_b32_e64 v18, 0, 1, s[38:39]
	v_or_b32_sdwa v16, v16, v17 dst_sel:WORD_1 dst_unused:UNUSED_PAD src0_sel:DWORD src1_sel:DWORD
	v_lshlrev_b16_e32 v17, 8, v34
	v_lshlrev_b16_e32 v18, 8, v18
	v_or_b32_e32 v17, v25, v17
	v_or_b32_e32 v18, 1, v18
	v_and_b32_e32 v17, 0xffff, v17
	v_cndmask_b32_e64 v35, 0, 1, s[4:5]
	v_or_b32_sdwa v16, v18, v16 dst_sel:DWORD dst_unused:UNUSED_PAD src0_sel:WORD_0 src1_sel:DWORD
	v_lshl_or_b32 v17, v35, 16, v17
	s_waitcnt lgkmcnt(0)
	s_barrier
	s_waitcnt lgkmcnt(0)
                                        ; implicit-def: $sgpr12_sgpr13
                                        ; implicit-def: $vgpr20
	s_and_saveexec_b64 s[4:5], s[2:3]
	s_cbranch_execz .LBB576_321
; %bb.309:
	v_cmp_gt_u32_e32 vcc, s52, v1
	s_mov_b32 s38, 0x3020104
	s_mov_b64 s[10:11], 0
	s_and_saveexec_b64 s[2:3], vcc
	s_cbranch_execz .LBB576_320
; %bb.310:
	s_andn2_b64 vcc, exec, s[6:7]
	s_cbranch_vccnz .LBB576_319
; %bb.311:
	v_add_u32_e32 v17, -8, v24
	ds_read_b64 v[18:19], v17
	v_mul_lo_u32 v17, v11, s26
	v_mad_u64_u32 v[22:23], s[6:7], v10, s26, 0
	s_mov_b64 s[10:11], -1
	s_waitcnt lgkmcnt(0)
	v_mul_lo_u32 v20, v19, s26
	v_mul_lo_u32 v21, v18, s27
	v_mad_u64_u32 v[18:19], s[6:7], v18, s26, 0
	v_add3_u32 v19, v19, v21, v20
	v_mul_lo_u32 v20, v10, s27
	v_add3_u32 v23, v23, v20, v17
	v_lshl_add_u64 v[20:21], v[18:19], 3, s[28:29]
	v_lshl_add_u64 v[18:19], v[22:23], 3, s[28:29]
	global_load_dwordx2 v[22:23], v[20:21], off
	global_load_dwordx2 v[32:33], v[18:19], off
	s_waitcnt vmcnt(0)
	v_cmp_eq_u64_e32 vcc, v[22:23], v[32:33]
	s_and_saveexec_b64 s[6:7], vcc
	s_cbranch_execz .LBB576_318
; %bb.312:
	s_add_u32 s10, s26, -1
	v_lshl_add_u64 v[18:19], v[18:19], 0, 8
	v_lshl_add_u64 v[20:21], v[20:21], 0, 8
	s_addc_u32 s11, s27, -1
	s_mov_b64 s[12:13], 0
	s_mov_b64 s[28:29], 0
                                        ; implicit-def: $sgpr14_sgpr15
	s_branch .LBB576_315
.LBB576_313:                            ;   in Loop: Header=BB576_315 Depth=1
	global_load_dwordx2 v[22:23], v[20:21], off
	global_load_dwordx2 v[32:33], v[18:19], off
	s_add_u32 s28, s28, 1
	s_addc_u32 s29, s29, 0
	s_andn2_b64 s[14:15], s[14:15], exec
	v_lshl_add_u64 v[18:19], v[18:19], 0, 8
	v_lshl_add_u64 v[20:21], v[20:21], 0, 8
	s_waitcnt vmcnt(0)
	v_cmp_ne_u64_e32 vcc, v[22:23], v[32:33]
	s_and_b64 s[40:41], vcc, exec
	s_or_b64 s[14:15], s[14:15], s[40:41]
.LBB576_314:                            ;   in Loop: Header=BB576_315 Depth=1
	s_and_b64 s[40:41], exec, s[14:15]
	s_or_b64 s[12:13], s[40:41], s[12:13]
	v_mov_b64_e32 v[22:23], s[28:29]
	s_andn2_b64 exec, exec, s[12:13]
	s_cbranch_execz .LBB576_317
.LBB576_315:                            ; =>This Inner Loop Header: Depth=1
	s_or_b64 s[14:15], s[14:15], exec
	s_cmp_eq_u64 s[10:11], s[28:29]
	s_cbranch_scc0 .LBB576_313
; %bb.316:                              ;   in Loop: Header=BB576_315 Depth=1
                                        ; implicit-def: $vgpr18_vgpr19
                                        ; implicit-def: $vgpr20_vgpr21
	s_mov_b64 s[28:29], s[26:27]
	s_branch .LBB576_314
.LBB576_317:
	s_or_b64 exec, exec, s[12:13]
	v_cmp_gt_i64_e32 vcc, s[26:27], v[22:23]
	s_orn2_b64 s[10:11], vcc, exec
.LBB576_318:
	s_or_b64 exec, exec, s[6:7]
.LBB576_319:
	s_and_b64 s[10:11], s[10:11], exec
.LBB576_320:
	s_or_b64 exec, exec, s[2:3]
	v_perm_b32 v20, v16, v16, s38
	s_and_b64 s[12:13], s[10:11], exec
	s_or_b64 s[8:9], s[8:9], exec
                                        ; implicit-def: $vgpr16_vgpr17
.LBB576_321:
	s_or_b64 exec, exec, s[4:5]
.LBB576_322:
	s_and_saveexec_b64 s[2:3], s[8:9]
	s_cbranch_execz .LBB576_324
; %bb.323:
	s_waitcnt vmcnt(0) lgkmcnt(0)
	v_lshlrev_b16_e32 v17, 8, v34
	v_and_b32_e32 v18, 0xff, v35
	v_or_b32_sdwa v17, v25, v17 dst_sel:DWORD dst_unused:UNUSED_PAD src0_sel:BYTE_0 src1_sel:DWORD
	v_lshlrev_b32_e32 v18, 16, v18
	s_movk_i32 s4, 0xff
	v_or_b32_sdwa v17, v17, v18 dst_sel:DWORD dst_unused:UNUSED_PAD src0_sel:WORD_0 src1_sel:DWORD
	v_lshrrev_b32_e32 v18, 24, v20
	v_lshlrev_b16_e32 v18, 8, v18
	v_and_b32_sdwa v19, v20, s4 dst_sel:DWORD dst_unused:UNUSED_PAD src0_sel:WORD_1 src1_sel:DWORD
	v_or_b32_sdwa v18, v19, v18 dst_sel:WORD_1 dst_unused:UNUSED_PAD src0_sel:DWORD src1_sel:DWORD
	v_mov_b32_e32 v19, 8
	v_cndmask_b32_e64 v16, 0, 1, s[12:13]
	v_lshrrev_b32_sdwa v19, v19, v20 dst_sel:BYTE_1 dst_unused:UNUSED_PAD src0_sel:DWORD src1_sel:DWORD
	s_nop 0
	v_or_b32_e32 v16, v16, v19
	v_or_b32_sdwa v16, v16, v18 dst_sel:DWORD dst_unused:UNUSED_PAD src0_sel:WORD_0 src1_sel:DWORD
.LBB576_324:
	s_or_b64 exec, exec, s[2:3]
	s_andn2_b64 vcc, exec, s[0:1]
	s_cbranch_vccnz .LBB576_326
; %bb.325:
	s_waitcnt vmcnt(0) lgkmcnt(0)
	v_and_b32_e32 v18, 0xffff0000, v16
	v_cmp_gt_u32_e32 vcc, s52, v1
	s_mov_b32 s0, 0x40c0100
	s_nop 0
	v_cndmask_b32_e32 v1, v18, v16, vcc
	v_and_b32_e32 v1, 0xffff00ff, v1
	v_cmp_gt_u32_e32 vcc, s52, v27
	s_nop 1
	v_cndmask_b32_e32 v1, v1, v16, vcc
	v_lshrrev_b32_e32 v18, 24, v1
	v_perm_b32 v1, v18, v1, s0
	v_cmp_gt_u32_e32 vcc, s52, v26
	v_and_b32_e32 v18, 0xffffff00, v17
	s_nop 0
	v_cndmask_b32_e32 v1, v1, v16, vcc
	v_and_b32_e32 v1, 0xffffff, v1
	v_cmp_gt_u32_e32 vcc, s52, v30
	s_nop 1
	v_cndmask_b32_e32 v1, v1, v16, vcc
	v_cmp_gt_u32_e32 vcc, s52, v28
	s_nop 1
	v_cndmask_b32_e32 v18, v18, v17, vcc
	v_and_b32_e32 v18, 0xffff00ff, v18
	v_cndmask_b32_e32 v1, v1, v16, vcc
	v_cmp_gt_u32_e32 vcc, s52, v31
	s_nop 1
	v_cndmask_b32_e32 v18, v18, v17, vcc
	v_lshrrev_b32_e32 v19, 24, v18
	v_cndmask_b32_e32 v1, v1, v16, vcc
	v_perm_b32 v18, v19, v18, s0
	v_cmp_gt_u32_e32 vcc, s52, v29
	s_mov_b32 s0, 0x3020104
	s_nop 0
	v_cndmask_b32_e32 v1, v1, v16, vcc
	v_cndmask_b32_e32 v16, v18, v17, vcc
	v_mov_b32_e32 v17, 8
	v_lshrrev_b32_sdwa v17, v17, v16 dst_sel:BYTE_1 dst_unused:UNUSED_PAD src0_sel:DWORD src1_sel:DWORD
	s_nop 0
	v_or_b32_sdwa v17, v16, v17 dst_sel:DWORD dst_unused:UNUSED_PAD src0_sel:BYTE_0 src1_sel:DWORD
	v_and_b32_e32 v17, 0xffff, v17
	v_bfe_u32 v16, v16, 16, 8
	v_lshl_or_b32 v17, v16, 16, v17
	v_perm_b32 v16, v1, v1, s0
.LBB576_326:
	s_waitcnt vmcnt(0) lgkmcnt(0)
	v_and_b32_e32 v1, 0xff, v16
	v_bfe_u32 v29, v16, 8, 8
	v_bfe_u32 v31, v16, 16, 8
	v_alignbit_b32 v18, v17, v16, 24
	v_and_b32_e32 v33, 0xff, v18
	v_and_b32_e32 v35, 0xff, v17
	v_add3_u32 v19, v29, v1, v31
	v_bfe_u32 v36, v17, 8, 8
	v_bfe_u32 v18, v17, 16, 8
	v_add3_u32 v19, v19, v33, v35
	v_add3_u32 v39, v19, v36, v18
	v_mbcnt_lo_u32_b32 v18, -1, 0
	v_mbcnt_hi_u32_b32 v37, -1, v18
	v_and_b32_e32 v18, 15, v37
	v_cmp_eq_u32_e64 s[14:15], 0, v18
	v_cmp_lt_u32_e64 s[12:13], 1, v18
	v_cmp_lt_u32_e64 s[10:11], 3, v18
	;; [unrolled: 1-line block ×3, first 2 shown]
	v_and_b32_e32 v18, 16, v37
	v_cmp_eq_u32_e64 s[6:7], 0, v18
	v_or_b32_e32 v18, 63, v0
	v_cmp_lt_u32_e64 s[2:3], 31, v37
	v_lshrrev_b32_e32 v38, 6, v0
	v_cmp_eq_u32_e64 s[4:5], v18, v0
	s_and_b64 vcc, exec, s[16:17]
	s_barrier
	s_cbranch_vccz .LBB576_357
; %bb.327:
	v_mov_b32_dpp v18, v39 row_shr:1 row_mask:0xf bank_mask:0xf
	v_cndmask_b32_e64 v18, v18, 0, s[14:15]
	v_add_u32_e32 v18, v18, v39
	s_nop 1
	v_mov_b32_dpp v19, v18 row_shr:2 row_mask:0xf bank_mask:0xf
	v_cndmask_b32_e64 v19, 0, v19, s[12:13]
	v_add_u32_e32 v18, v18, v19
	s_nop 1
	;; [unrolled: 4-line block ×4, first 2 shown]
	v_mov_b32_dpp v19, v18 row_bcast:15 row_mask:0xf bank_mask:0xf
	v_cndmask_b32_e64 v19, v19, 0, s[6:7]
	v_add_u32_e32 v18, v18, v19
	s_nop 1
	v_mov_b32_dpp v19, v18 row_bcast:31 row_mask:0xf bank_mask:0xf
	v_cndmask_b32_e64 v19, 0, v19, s[2:3]
	v_add_u32_e32 v18, v18, v19
	s_and_saveexec_b64 s[0:1], s[4:5]
	s_cbranch_execz .LBB576_329
; %bb.328:
	v_lshlrev_b32_e32 v19, 2, v38
	ds_write_b32 v19, v18
.LBB576_329:
	s_or_b64 exec, exec, s[0:1]
	v_cmp_gt_u32_e32 vcc, 8, v0
	s_waitcnt lgkmcnt(0)
	s_barrier
	s_and_saveexec_b64 s[0:1], vcc
	s_cbranch_execz .LBB576_331
; %bb.330:
	v_lshlrev_b32_e32 v19, 2, v0
	ds_read_b32 v20, v19
	v_and_b32_e32 v21, 7, v37
	v_cmp_ne_u32_e32 vcc, 0, v21
	s_waitcnt lgkmcnt(0)
	v_mov_b32_dpp v22, v20 row_shr:1 row_mask:0xf bank_mask:0xf
	v_cndmask_b32_e32 v22, 0, v22, vcc
	v_add_u32_e32 v20, v22, v20
	v_cmp_lt_u32_e32 vcc, 1, v21
	s_nop 0
	v_mov_b32_dpp v22, v20 row_shr:2 row_mask:0xf bank_mask:0xf
	v_cndmask_b32_e32 v22, 0, v22, vcc
	v_add_u32_e32 v20, v20, v22
	v_cmp_lt_u32_e32 vcc, 3, v21
	s_nop 0
	v_mov_b32_dpp v22, v20 row_shr:4 row_mask:0xf bank_mask:0xf
	v_cndmask_b32_e32 v21, 0, v22, vcc
	v_add_u32_e32 v20, v20, v21
	ds_write_b32 v19, v20
.LBB576_331:
	s_or_b64 exec, exec, s[0:1]
	v_cmp_gt_u32_e32 vcc, 64, v0
	v_cmp_lt_u32_e64 s[0:1], 63, v0
	s_waitcnt lgkmcnt(0)
	s_barrier
	s_waitcnt lgkmcnt(0)
                                        ; implicit-def: $vgpr28
	s_and_saveexec_b64 s[16:17], s[0:1]
	s_cbranch_execz .LBB576_333
; %bb.332:
	v_lshl_add_u32 v19, v38, 2, -4
	ds_read_b32 v28, v19
	s_waitcnt lgkmcnt(0)
	v_add_u32_e32 v18, v28, v18
.LBB576_333:
	s_or_b64 exec, exec, s[16:17]
	v_add_u32_e32 v19, -1, v37
	v_and_b32_e32 v20, 64, v37
	v_cmp_lt_i32_e64 s[0:1], v19, v20
	v_cmp_eq_u32_e64 s[16:17], 0, v37
	s_nop 0
	v_cndmask_b32_e64 v19, v19, v37, s[0:1]
	v_lshlrev_b32_e32 v19, 2, v19
	ds_bpermute_b32 v30, v19, v18
	s_and_saveexec_b64 s[0:1], vcc
	s_cbranch_execz .LBB576_356
; %bb.334:
	v_mov_b32_e32 v27, 0
	ds_read_b32 v18, v27 offset:28
	s_and_saveexec_b64 s[26:27], s[16:17]
	s_cbranch_execz .LBB576_336
; %bb.335:
	s_add_i32 s28, s33, 64
	s_mov_b32 s29, 0
	s_lshl_b64 s[28:29], s[28:29], 3
	s_add_u32 s28, s30, s28
	v_mov_b32_e32 v19, 1
	s_addc_u32 s29, s31, s29
	s_waitcnt lgkmcnt(0)
	global_store_dwordx2 v27, v[18:19], s[28:29] sc1
.LBB576_336:
	s_or_b64 exec, exec, s[26:27]
	v_xad_u32 v20, v37, -1, s33
	v_add_u32_e32 v26, 64, v20
	v_lshl_add_u64 v[22:23], v[26:27], 3, s[30:31]
	global_load_dwordx2 v[24:25], v[22:23], off sc1
	s_waitcnt vmcnt(0)
	v_cmp_eq_u16_sdwa s[28:29], v25, v27 src0_sel:BYTE_0 src1_sel:DWORD
	s_and_saveexec_b64 s[26:27], s[28:29]
	s_cbranch_execz .LBB576_342
; %bb.337:
	s_mov_b32 s38, 1
	s_mov_b64 s[28:29], 0
	v_mov_b32_e32 v19, 0
.LBB576_338:                            ; =>This Loop Header: Depth=1
                                        ;     Child Loop BB576_339 Depth 2
	s_max_u32 s39, s38, 1
.LBB576_339:                            ;   Parent Loop BB576_338 Depth=1
                                        ; =>  This Inner Loop Header: Depth=2
	s_add_i32 s39, s39, -1
	s_cmp_eq_u32 s39, 0
	s_sleep 1
	s_cbranch_scc0 .LBB576_339
; %bb.340:                              ;   in Loop: Header=BB576_338 Depth=1
	global_load_dwordx2 v[24:25], v[22:23], off sc1
	s_cmp_lt_u32 s38, 32
	s_cselect_b64 s[40:41], -1, 0
	s_cmp_lg_u64 s[40:41], 0
	s_addc_u32 s38, s38, 0
	s_waitcnt vmcnt(0)
	v_cmp_ne_u16_sdwa s[40:41], v25, v19 src0_sel:BYTE_0 src1_sel:DWORD
	s_or_b64 s[28:29], s[40:41], s[28:29]
	s_andn2_b64 exec, exec, s[28:29]
	s_cbranch_execnz .LBB576_338
; %bb.341:
	s_or_b64 exec, exec, s[28:29]
.LBB576_342:
	s_or_b64 exec, exec, s[26:27]
	v_and_b32_e32 v32, 63, v37
	v_mov_b32_e32 v19, 2
	v_cmp_ne_u32_e32 vcc, 63, v32
	v_cmp_eq_u16_sdwa s[26:27], v25, v19 src0_sel:BYTE_0 src1_sel:DWORD
	v_lshlrev_b64 v[22:23], v37, -1
	v_addc_co_u32_e32 v27, vcc, 0, v37, vcc
	v_and_b32_e32 v21, s27, v23
	v_lshlrev_b32_e32 v34, 2, v27
	v_or_b32_e32 v21, 0x80000000, v21
	ds_bpermute_b32 v27, v34, v24
	v_and_b32_e32 v26, s26, v22
	v_ffbl_b32_e32 v21, v21
	v_add_u32_e32 v21, 32, v21
	v_ffbl_b32_e32 v26, v26
	v_min_u32_e32 v21, v26, v21
	v_cmp_lt_u32_e32 vcc, v32, v21
	v_add_u32_e32 v41, 2, v32
	v_add_u32_e32 v43, 4, v32
	s_waitcnt lgkmcnt(0)
	v_cndmask_b32_e32 v26, 0, v27, vcc
	v_cmp_gt_u32_e32 vcc, 62, v32
	v_add_u32_e32 v24, v26, v24
	v_add_u32_e32 v45, 8, v32
	v_cndmask_b32_e64 v26, 0, 1, vcc
	v_lshlrev_b32_e32 v26, 1, v26
	v_add_lshl_u32 v40, v26, v37, 2
	ds_bpermute_b32 v26, v40, v24
	v_cmp_le_u32_e32 vcc, v41, v21
	v_add_u32_e32 v48, 16, v32
	v_add_u32_e32 v50, 32, v32
	s_waitcnt lgkmcnt(0)
	v_cndmask_b32_e32 v26, 0, v26, vcc
	v_cmp_gt_u32_e32 vcc, 60, v32
	v_add_u32_e32 v24, v24, v26
	s_nop 0
	v_cndmask_b32_e64 v26, 0, 1, vcc
	v_lshlrev_b32_e32 v26, 2, v26
	v_add_lshl_u32 v42, v26, v37, 2
	ds_bpermute_b32 v26, v42, v24
	v_cmp_le_u32_e32 vcc, v43, v21
	s_waitcnt lgkmcnt(0)
	s_nop 0
	v_cndmask_b32_e32 v26, 0, v26, vcc
	v_cmp_gt_u32_e32 vcc, 56, v32
	v_add_u32_e32 v24, v24, v26
	s_nop 0
	v_cndmask_b32_e64 v26, 0, 1, vcc
	v_lshlrev_b32_e32 v26, 3, v26
	v_add_lshl_u32 v44, v26, v37, 2
	ds_bpermute_b32 v26, v44, v24
	v_cmp_le_u32_e32 vcc, v45, v21
	s_waitcnt lgkmcnt(0)
	s_nop 0
	;; [unrolled: 11-line block ×4, first 2 shown]
	v_cndmask_b32_e32 v21, 0, v26, vcc
	v_add_u32_e32 v24, v24, v21
	v_mov_b32_e32 v21, 0
	s_branch .LBB576_344
.LBB576_343:                            ;   in Loop: Header=BB576_344 Depth=1
	s_or_b64 exec, exec, s[26:27]
	v_cmp_eq_u16_sdwa s[26:27], v25, v19 src0_sel:BYTE_0 src1_sel:DWORD
	ds_bpermute_b32 v51, v34, v24
	v_subrev_u32_e32 v20, 64, v20
	v_and_b32_e32 v26, s27, v23
	v_or_b32_e32 v26, 0x80000000, v26
	v_and_b32_e32 v27, s26, v22
	v_ffbl_b32_e32 v26, v26
	v_add_u32_e32 v26, 32, v26
	v_ffbl_b32_e32 v27, v27
	v_min_u32_e32 v26, v27, v26
	v_cmp_lt_u32_e32 vcc, v32, v26
	s_waitcnt lgkmcnt(0)
	s_nop 0
	v_cndmask_b32_e32 v27, 0, v51, vcc
	v_add_u32_e32 v24, v27, v24
	ds_bpermute_b32 v27, v40, v24
	v_cmp_le_u32_e32 vcc, v41, v26
	s_waitcnt lgkmcnt(0)
	s_nop 0
	v_cndmask_b32_e32 v27, 0, v27, vcc
	v_add_u32_e32 v24, v24, v27
	ds_bpermute_b32 v27, v42, v24
	v_cmp_le_u32_e32 vcc, v43, v26
	;; [unrolled: 6-line block ×5, first 2 shown]
	s_waitcnt lgkmcnt(0)
	s_nop 0
	v_cndmask_b32_e32 v26, 0, v27, vcc
	v_add3_u32 v24, v26, v46, v24
.LBB576_344:                            ; =>This Loop Header: Depth=1
                                        ;     Child Loop BB576_347 Depth 2
                                        ;       Child Loop BB576_348 Depth 3
	v_cmp_ne_u16_sdwa s[26:27], v25, v19 src0_sel:BYTE_0 src1_sel:DWORD
	v_mov_b32_e32 v46, v24
	s_nop 0
	v_cndmask_b32_e64 v25, 0, 1, s[26:27]
	;;#ASMSTART
	;;#ASMEND
	s_nop 0
	v_cmp_ne_u32_e32 vcc, 0, v25
	s_cmp_lg_u64 vcc, exec
	s_cbranch_scc1 .LBB576_351
; %bb.345:                              ;   in Loop: Header=BB576_344 Depth=1
	v_lshl_add_u64 v[26:27], v[20:21], 3, s[30:31]
	global_load_dwordx2 v[24:25], v[26:27], off sc1
	s_waitcnt vmcnt(0)
	v_cmp_eq_u16_sdwa s[28:29], v25, v21 src0_sel:BYTE_0 src1_sel:DWORD
	s_and_saveexec_b64 s[26:27], s[28:29]
	s_cbranch_execz .LBB576_343
; %bb.346:                              ;   in Loop: Header=BB576_344 Depth=1
	s_mov_b32 s38, 1
	s_mov_b64 s[28:29], 0
.LBB576_347:                            ;   Parent Loop BB576_344 Depth=1
                                        ; =>  This Loop Header: Depth=2
                                        ;       Child Loop BB576_348 Depth 3
	s_max_u32 s39, s38, 1
.LBB576_348:                            ;   Parent Loop BB576_344 Depth=1
                                        ;     Parent Loop BB576_347 Depth=2
                                        ; =>    This Inner Loop Header: Depth=3
	s_add_i32 s39, s39, -1
	s_cmp_eq_u32 s39, 0
	s_sleep 1
	s_cbranch_scc0 .LBB576_348
; %bb.349:                              ;   in Loop: Header=BB576_347 Depth=2
	global_load_dwordx2 v[24:25], v[26:27], off sc1
	s_cmp_lt_u32 s38, 32
	s_cselect_b64 s[40:41], -1, 0
	s_cmp_lg_u64 s[40:41], 0
	s_addc_u32 s38, s38, 0
	s_waitcnt vmcnt(0)
	v_cmp_ne_u16_sdwa s[40:41], v25, v21 src0_sel:BYTE_0 src1_sel:DWORD
	s_or_b64 s[28:29], s[40:41], s[28:29]
	s_andn2_b64 exec, exec, s[28:29]
	s_cbranch_execnz .LBB576_347
; %bb.350:                              ;   in Loop: Header=BB576_344 Depth=1
	s_or_b64 exec, exec, s[28:29]
	s_branch .LBB576_343
.LBB576_351:                            ;   in Loop: Header=BB576_344 Depth=1
                                        ; implicit-def: $vgpr24
                                        ; implicit-def: $vgpr25
	s_cbranch_execz .LBB576_344
; %bb.352:
	s_and_saveexec_b64 s[26:27], s[16:17]
	s_cbranch_execz .LBB576_354
; %bb.353:
	s_add_i32 s28, s33, 64
	s_mov_b32 s29, 0
	s_lshl_b64 s[28:29], s[28:29], 3
	s_add_u32 s28, s30, s28
	v_add_u32_e32 v20, v46, v18
	v_mov_b32_e32 v21, 2
	s_addc_u32 s29, s31, s29
	v_mov_b32_e32 v19, 0
	global_store_dwordx2 v19, v[20:21], s[28:29] sc1
	s_movk_i32 s28, 0x7000
	v_add_u32_e64 v19, s28, 0
	ds_write2_b32 v19, v18, v46 offset1:2
.LBB576_354:
	s_or_b64 exec, exec, s[26:27]
	s_and_b64 exec, exec, s[18:19]
	s_cbranch_execz .LBB576_356
; %bb.355:
	v_mov_b32_e32 v18, 0
	ds_write_b32 v18, v46 offset:28
.LBB576_356:
	s_or_b64 exec, exec, s[0:1]
	v_mov_b32_e32 v18, 0
	s_waitcnt lgkmcnt(0)
	s_barrier
	ds_read_b32 v18, v18 offset:28
	v_cndmask_b32_e64 v19, v30, v28, s[16:17]
	v_cndmask_b32_e64 v19, v19, 0, s[18:19]
	s_movk_i32 s0, 0x7000
	s_waitcnt lgkmcnt(0)
	v_add_u32_e32 v34, v18, v19
	v_add_u32_e32 v32, v34, v1
	v_add_u32_e64 v18, s0, 0
	v_add_u32_e32 v30, v32, v29
	s_barrier
	ds_read2_b32 v[18:19], v18 offset1:2
	v_add_u32_e32 v28, v30, v31
	v_add_u32_e32 v26, v28, v33
	;; [unrolled: 1-line block ×4, first 2 shown]
	v_lshrrev_b64 v[20:21], 24, v[16:17]
	s_branch .LBB576_367
.LBB576_357:
                                        ; implicit-def: $vgpr22
                                        ; implicit-def: $vgpr24
                                        ; implicit-def: $vgpr26
                                        ; implicit-def: $vgpr28
                                        ; implicit-def: $vgpr30
                                        ; implicit-def: $vgpr32
                                        ; implicit-def: $vgpr34
                                        ; implicit-def: $vgpr19
	v_lshrrev_b64 v[20:21], 24, v[16:17]
	s_cbranch_execz .LBB576_367
; %bb.358:
	s_waitcnt lgkmcnt(0)
	v_mov_b32_dpp v18, v39 row_shr:1 row_mask:0xf bank_mask:0xf
	v_cndmask_b32_e64 v18, v18, 0, s[14:15]
	v_add_u32_e32 v18, v18, v39
	s_nop 1
	v_mov_b32_dpp v19, v18 row_shr:2 row_mask:0xf bank_mask:0xf
	v_cndmask_b32_e64 v19, 0, v19, s[12:13]
	v_add_u32_e32 v18, v18, v19
	s_nop 1
	;; [unrolled: 4-line block ×4, first 2 shown]
	v_mov_b32_dpp v19, v18 row_bcast:15 row_mask:0xf bank_mask:0xf
	v_cndmask_b32_e64 v19, v19, 0, s[6:7]
	v_add_u32_e32 v18, v18, v19
	s_nop 1
	v_mov_b32_dpp v19, v18 row_bcast:31 row_mask:0xf bank_mask:0xf
	v_cndmask_b32_e64 v19, 0, v19, s[2:3]
	v_add_u32_e32 v18, v18, v19
	s_and_saveexec_b64 s[0:1], s[4:5]
	s_cbranch_execz .LBB576_360
; %bb.359:
	v_lshlrev_b32_e32 v19, 2, v38
	ds_write_b32 v19, v18
.LBB576_360:
	s_or_b64 exec, exec, s[0:1]
	v_cmp_gt_u32_e32 vcc, 8, v0
	s_waitcnt lgkmcnt(0)
	s_barrier
	s_and_saveexec_b64 s[0:1], vcc
	s_cbranch_execz .LBB576_362
; %bb.361:
	v_lshlrev_b32_e32 v19, 2, v0
	ds_read_b32 v21, v19
	v_and_b32_e32 v22, 7, v37
	v_cmp_ne_u32_e32 vcc, 0, v22
	s_waitcnt lgkmcnt(0)
	v_mov_b32_dpp v23, v21 row_shr:1 row_mask:0xf bank_mask:0xf
	v_cndmask_b32_e32 v23, 0, v23, vcc
	v_add_u32_e32 v21, v23, v21
	v_cmp_lt_u32_e32 vcc, 1, v22
	s_nop 0
	v_mov_b32_dpp v23, v21 row_shr:2 row_mask:0xf bank_mask:0xf
	v_cndmask_b32_e32 v23, 0, v23, vcc
	v_add_u32_e32 v21, v21, v23
	v_cmp_lt_u32_e32 vcc, 3, v22
	s_nop 0
	v_mov_b32_dpp v23, v21 row_shr:4 row_mask:0xf bank_mask:0xf
	v_cndmask_b32_e32 v22, 0, v23, vcc
	v_add_u32_e32 v21, v21, v22
	ds_write_b32 v19, v21
.LBB576_362:
	s_or_b64 exec, exec, s[0:1]
	v_cmp_lt_u32_e32 vcc, 63, v0
	v_mov_b32_e32 v19, 0
	v_mov_b32_e32 v21, 0
	s_waitcnt lgkmcnt(0)
	s_barrier
	s_and_saveexec_b64 s[0:1], vcc
	s_cbranch_execz .LBB576_364
; %bb.363:
	v_lshl_add_u32 v21, v38, 2, -4
	ds_read_b32 v21, v21
.LBB576_364:
	s_or_b64 exec, exec, s[0:1]
	v_add_u32_e32 v22, -1, v37
	v_and_b32_e32 v23, 64, v37
	v_cmp_lt_i32_e32 vcc, v22, v23
	s_waitcnt lgkmcnt(0)
	v_add_u32_e32 v18, v21, v18
	v_cndmask_b32_e32 v22, v22, v37, vcc
	v_lshlrev_b32_e32 v22, 2, v22
	ds_bpermute_b32 v22, v22, v18
	ds_read_b32 v18, v19 offset:28
	s_and_saveexec_b64 s[0:1], s[18:19]
	s_cbranch_execz .LBB576_366
; %bb.365:
	v_mov_b32_e32 v23, 0
	v_mov_b32_e32 v19, 2
	s_waitcnt lgkmcnt(0)
	global_store_dwordx2 v23, v[18:19], s[30:31] offset:512 sc1
.LBB576_366:
	s_or_b64 exec, exec, s[0:1]
	v_cmp_eq_u32_e32 vcc, 0, v37
	v_mov_b32_e32 v19, 0
	s_waitcnt lgkmcnt(0)
	v_cndmask_b32_e32 v21, v22, v21, vcc
	v_cndmask_b32_e64 v34, v21, 0, s[18:19]
	v_add_u32_e32 v32, v34, v1
	v_add_u32_e32 v30, v32, v29
	;; [unrolled: 1-line block ×6, first 2 shown]
	s_barrier
.LBB576_367:
	s_movk_i32 s0, 0x201
	s_waitcnt lgkmcnt(0)
	v_cmp_gt_u32_e32 vcc, s0, v18
	v_lshrrev_b32_e32 v21, 8, v16
	v_lshrrev_b32_e32 v1, 8, v17
	s_mov_b64 s[0:1], -1
	s_cbranch_vccnz .LBB576_371
; %bb.368:
	s_and_b64 vcc, exec, s[0:1]
	s_cbranch_vccnz .LBB576_393
.LBB576_369:
	s_and_b64 s[0:1], s[18:19], s[24:25]
	s_and_saveexec_b64 s[2:3], s[0:1]
	s_cbranch_execnz .LBB576_411
.LBB576_370:
	s_endpgm
.LBB576_371:
	v_add_u32_e32 v23, v19, v18
	v_cmp_lt_u32_e32 vcc, v34, v23
	s_or_b64 s[2:3], s[36:37], vcc
	s_and_saveexec_b64 s[0:1], s[2:3]
	s_cbranch_execz .LBB576_374
; %bb.372:
	v_and_b32_e32 v25, 1, v16
	v_cmp_eq_u32_e32 vcc, 1, v25
	s_and_b64 exec, exec, vcc
	s_cbranch_execz .LBB576_374
; %bb.373:
	s_lshl_b64 s[2:3], s[22:23], 3
	s_add_u32 s2, s34, s2
	s_addc_u32 s3, s35, s3
	v_mov_b32_e32 v35, 0
	v_lshl_add_u64 v[36:37], v[34:35], 3, s[2:3]
	global_store_dwordx2 v[36:37], v[10:11], off
.LBB576_374:
	s_or_b64 exec, exec, s[0:1]
	v_cmp_lt_u32_e32 vcc, v32, v23
	s_or_b64 s[2:3], s[36:37], vcc
	s_and_saveexec_b64 s[0:1], s[2:3]
	s_cbranch_execz .LBB576_377
; %bb.375:
	v_and_b32_e32 v25, 1, v21
	v_cmp_eq_u32_e32 vcc, 1, v25
	s_and_b64 exec, exec, vcc
	s_cbranch_execz .LBB576_377
; %bb.376:
	s_lshl_b64 s[2:3], s[22:23], 3
	s_add_u32 s2, s34, s2
	s_addc_u32 s3, s35, s3
	v_mov_b32_e32 v33, 0
	v_lshl_add_u64 v[36:37], v[32:33], 3, s[2:3]
	global_store_dwordx2 v[36:37], v[12:13], off
.LBB576_377:
	s_or_b64 exec, exec, s[0:1]
	v_cmp_lt_u32_e32 vcc, v30, v23
	s_or_b64 s[2:3], s[36:37], vcc
	s_and_saveexec_b64 s[0:1], s[2:3]
	s_cbranch_execz .LBB576_380
; %bb.378:
	v_mov_b32_e32 v25, 1
	v_and_b32_sdwa v25, v25, v16 dst_sel:DWORD dst_unused:UNUSED_PAD src0_sel:DWORD src1_sel:WORD_1
	v_cmp_eq_u32_e32 vcc, 1, v25
	s_and_b64 exec, exec, vcc
	s_cbranch_execz .LBB576_380
; %bb.379:
	s_lshl_b64 s[2:3], s[22:23], 3
	s_add_u32 s2, s34, s2
	s_addc_u32 s3, s35, s3
	v_mov_b32_e32 v31, 0
	v_lshl_add_u64 v[36:37], v[30:31], 3, s[2:3]
	global_store_dwordx2 v[36:37], v[6:7], off
.LBB576_380:
	s_or_b64 exec, exec, s[0:1]
	v_cmp_lt_u32_e32 vcc, v28, v23
	s_or_b64 s[2:3], s[36:37], vcc
	s_and_saveexec_b64 s[0:1], s[2:3]
	s_cbranch_execz .LBB576_383
; %bb.381:
	v_and_b32_e32 v25, 1, v20
	v_cmp_eq_u32_e32 vcc, 1, v25
	s_and_b64 exec, exec, vcc
	s_cbranch_execz .LBB576_383
; %bb.382:
	s_lshl_b64 s[2:3], s[22:23], 3
	s_add_u32 s2, s34, s2
	s_addc_u32 s3, s35, s3
	v_mov_b32_e32 v29, 0
	v_lshl_add_u64 v[36:37], v[28:29], 3, s[2:3]
	global_store_dwordx2 v[36:37], v[8:9], off
.LBB576_383:
	s_or_b64 exec, exec, s[0:1]
	v_cmp_lt_u32_e32 vcc, v26, v23
	s_or_b64 s[2:3], s[36:37], vcc
	s_and_saveexec_b64 s[0:1], s[2:3]
	s_cbranch_execz .LBB576_386
; %bb.384:
	v_and_b32_e32 v25, 1, v17
	v_cmp_eq_u32_e32 vcc, 1, v25
	s_and_b64 exec, exec, vcc
	s_cbranch_execz .LBB576_386
; %bb.385:
	s_lshl_b64 s[2:3], s[22:23], 3
	s_add_u32 s2, s34, s2
	s_addc_u32 s3, s35, s3
	v_mov_b32_e32 v27, 0
	v_lshl_add_u64 v[36:37], v[26:27], 3, s[2:3]
	global_store_dwordx2 v[36:37], v[2:3], off
.LBB576_386:
	;; [unrolled: 18-line block ×3, first 2 shown]
	s_or_b64 exec, exec, s[0:1]
	v_cmp_lt_u32_e32 vcc, v22, v23
	s_or_b64 s[2:3], s[36:37], vcc
	s_and_saveexec_b64 s[0:1], s[2:3]
	s_cbranch_execz .LBB576_392
; %bb.390:
	v_mov_b32_e32 v23, 1
	v_and_b32_sdwa v23, v23, v17 dst_sel:DWORD dst_unused:UNUSED_PAD src0_sel:DWORD src1_sel:WORD_1
	v_cmp_eq_u32_e32 vcc, 1, v23
	s_and_b64 exec, exec, vcc
	s_cbranch_execz .LBB576_392
; %bb.391:
	s_lshl_b64 s[2:3], s[22:23], 3
	s_add_u32 s2, s34, s2
	s_addc_u32 s3, s35, s3
	v_mov_b32_e32 v23, 0
	v_lshl_add_u64 v[36:37], v[22:23], 3, s[2:3]
	global_store_dwordx2 v[36:37], v[14:15], off
.LBB576_392:
	s_or_b64 exec, exec, s[0:1]
	s_branch .LBB576_369
.LBB576_393:
	v_and_b32_e32 v23, 1, v16
	v_cmp_eq_u32_e32 vcc, 1, v23
	s_and_saveexec_b64 s[0:1], vcc
	s_cbranch_execz .LBB576_395
; %bb.394:
	v_sub_u32_e32 v23, v34, v19
	v_lshlrev_b32_e32 v23, 3, v23
	ds_write_b64 v23, v[10:11]
.LBB576_395:
	s_or_b64 exec, exec, s[0:1]
	v_and_b32_e32 v10, 1, v21
	v_cmp_eq_u32_e32 vcc, 1, v10
	s_and_saveexec_b64 s[0:1], vcc
	s_cbranch_execz .LBB576_397
; %bb.396:
	v_sub_u32_e32 v10, v32, v19
	v_lshlrev_b32_e32 v10, 3, v10
	ds_write_b64 v10, v[12:13]
.LBB576_397:
	s_or_b64 exec, exec, s[0:1]
	v_mov_b32_e32 v10, 1
	v_and_b32_sdwa v10, v10, v16 dst_sel:DWORD dst_unused:UNUSED_PAD src0_sel:DWORD src1_sel:WORD_1
	v_cmp_eq_u32_e32 vcc, 1, v10
	s_and_saveexec_b64 s[0:1], vcc
	s_cbranch_execz .LBB576_399
; %bb.398:
	v_sub_u32_e32 v10, v30, v19
	v_lshlrev_b32_e32 v10, 3, v10
	ds_write_b64 v10, v[6:7]
.LBB576_399:
	s_or_b64 exec, exec, s[0:1]
	v_and_b32_e32 v6, 1, v20
	v_cmp_eq_u32_e32 vcc, 1, v6
	s_and_saveexec_b64 s[0:1], vcc
	s_cbranch_execz .LBB576_401
; %bb.400:
	v_sub_u32_e32 v6, v28, v19
	v_lshlrev_b32_e32 v6, 3, v6
	ds_write_b64 v6, v[8:9]
.LBB576_401:
	s_or_b64 exec, exec, s[0:1]
	v_and_b32_e32 v6, 1, v17
	;; [unrolled: 10-line block ×3, first 2 shown]
	v_cmp_eq_u32_e32 vcc, 1, v1
	s_and_saveexec_b64 s[0:1], vcc
	s_cbranch_execz .LBB576_405
; %bb.404:
	v_sub_u32_e32 v1, v24, v19
	v_lshlrev_b32_e32 v1, 3, v1
	ds_write_b64 v1, v[4:5]
.LBB576_405:
	s_or_b64 exec, exec, s[0:1]
	v_mov_b32_e32 v1, 1
	v_and_b32_sdwa v1, v1, v17 dst_sel:DWORD dst_unused:UNUSED_PAD src0_sel:DWORD src1_sel:WORD_1
	v_cmp_eq_u32_e32 vcc, 1, v1
	s_and_saveexec_b64 s[0:1], vcc
	s_cbranch_execz .LBB576_407
; %bb.406:
	v_sub_u32_e32 v1, v22, v19
	v_lshlrev_b32_e32 v1, 3, v1
	ds_write_b64 v1, v[14:15]
.LBB576_407:
	s_or_b64 exec, exec, s[0:1]
	v_cmp_lt_u32_e32 vcc, v0, v18
	s_waitcnt lgkmcnt(0)
	s_barrier
	s_and_saveexec_b64 s[0:1], vcc
	s_cbranch_execz .LBB576_410
; %bb.408:
	v_mov_b32_e32 v5, 0
	v_mov_b32_e32 v4, v19
	s_lshl_b64 s[2:3], s[22:23], 3
	v_lshlrev_b64 v[6:7], 3, v[4:5]
	v_lshl_add_u64 v[6:7], s[2:3], 0, v[6:7]
	v_lshlrev_b32_e32 v2, 3, v0
	v_mov_b32_e32 v3, v5
	v_lshl_add_u64 v[4:5], s[34:35], 0, v[6:7]
	v_lshl_add_u64 v[4:5], v[4:5], 0, v[2:3]
	s_mov_b64 s[2:3], 0
	s_mov_b64 s[4:5], 0x1000
.LBB576_409:                            ; =>This Inner Loop Header: Depth=1
	ds_read_b64 v[6:7], v2
	v_add_u32_e32 v0, 0x200, v0
	v_cmp_ge_u32_e32 vcc, v0, v18
	v_add_u32_e32 v2, 0x1000, v2
	s_or_b64 s[2:3], vcc, s[2:3]
	s_waitcnt lgkmcnt(0)
	global_store_dwordx2 v[4:5], v[6:7], off
	v_lshl_add_u64 v[4:5], v[4:5], 0, s[4:5]
	s_andn2_b64 exec, exec, s[2:3]
	s_cbranch_execnz .LBB576_409
.LBB576_410:
	s_or_b64 exec, exec, s[0:1]
	s_and_b64 s[0:1], s[18:19], s[24:25]
	s_and_saveexec_b64 s[2:3], s[0:1]
	s_cbranch_execz .LBB576_370
.LBB576_411:
	v_mov_b32_e32 v1, 0
	v_mov_b32_e32 v0, v18
	v_lshl_add_u64 v[2:3], s[22:23], 0, v[0:1]
	v_mov_b32_e32 v0, v19
	v_lshl_add_u64 v[2:3], v[2:3], 0, v[0:1]
	global_store_dwordx2 v1, v[2:3], s[20:21]
	s_endpgm
	.section	.rodata,"a",@progbits
	.p2align	6, 0x0
	.amdhsa_kernel _ZN7rocprim17ROCPRIM_400000_NS6detail17trampoline_kernelINS0_14default_configENS1_25partition_config_selectorILNS1_17partition_subalgoE8ElNS0_10empty_typeEbEEZZNS1_14partition_implILS5_8ELb0ES3_jPlPS6_PKS6_NS0_5tupleIJS9_S6_EEENSD_IJSA_SA_EEENS0_18inequality_wrapperIZN2at6native12_GLOBAL__N_124unique_dim_cuda_templateIlEESt5tupleIJNSH_6TensorESM_SM_EERKSM_lbbbEUlllE0_EEPmJS6_EEE10hipError_tPvRmT3_T4_T5_T6_T7_T9_mT8_P12ihipStream_tbDpT10_ENKUlT_T0_E_clISt17integral_constantIbLb1EES1C_EEDaS17_S18_EUlS17_E_NS1_11comp_targetILNS1_3genE5ELNS1_11target_archE942ELNS1_3gpuE9ELNS1_3repE0EEENS1_30default_config_static_selectorELNS0_4arch9wavefront6targetE1EEEvT1_
		.amdhsa_group_segment_fixed_size 28684
		.amdhsa_private_segment_fixed_size 0
		.amdhsa_kernarg_size 136
		.amdhsa_user_sgpr_count 2
		.amdhsa_user_sgpr_dispatch_ptr 0
		.amdhsa_user_sgpr_queue_ptr 0
		.amdhsa_user_sgpr_kernarg_segment_ptr 1
		.amdhsa_user_sgpr_dispatch_id 0
		.amdhsa_user_sgpr_kernarg_preload_length 0
		.amdhsa_user_sgpr_kernarg_preload_offset 0
		.amdhsa_user_sgpr_private_segment_size 0
		.amdhsa_uses_dynamic_stack 0
		.amdhsa_enable_private_segment 0
		.amdhsa_system_sgpr_workgroup_id_x 1
		.amdhsa_system_sgpr_workgroup_id_y 0
		.amdhsa_system_sgpr_workgroup_id_z 0
		.amdhsa_system_sgpr_workgroup_info 0
		.amdhsa_system_vgpr_workitem_id 0
		.amdhsa_next_free_vgpr 52
		.amdhsa_next_free_sgpr 56
		.amdhsa_accum_offset 52
		.amdhsa_reserve_vcc 1
		.amdhsa_float_round_mode_32 0
		.amdhsa_float_round_mode_16_64 0
		.amdhsa_float_denorm_mode_32 3
		.amdhsa_float_denorm_mode_16_64 3
		.amdhsa_dx10_clamp 1
		.amdhsa_ieee_mode 1
		.amdhsa_fp16_overflow 0
		.amdhsa_tg_split 0
		.amdhsa_exception_fp_ieee_invalid_op 0
		.amdhsa_exception_fp_denorm_src 0
		.amdhsa_exception_fp_ieee_div_zero 0
		.amdhsa_exception_fp_ieee_overflow 0
		.amdhsa_exception_fp_ieee_underflow 0
		.amdhsa_exception_fp_ieee_inexact 0
		.amdhsa_exception_int_div_zero 0
	.end_amdhsa_kernel
	.section	.text._ZN7rocprim17ROCPRIM_400000_NS6detail17trampoline_kernelINS0_14default_configENS1_25partition_config_selectorILNS1_17partition_subalgoE8ElNS0_10empty_typeEbEEZZNS1_14partition_implILS5_8ELb0ES3_jPlPS6_PKS6_NS0_5tupleIJS9_S6_EEENSD_IJSA_SA_EEENS0_18inequality_wrapperIZN2at6native12_GLOBAL__N_124unique_dim_cuda_templateIlEESt5tupleIJNSH_6TensorESM_SM_EERKSM_lbbbEUlllE0_EEPmJS6_EEE10hipError_tPvRmT3_T4_T5_T6_T7_T9_mT8_P12ihipStream_tbDpT10_ENKUlT_T0_E_clISt17integral_constantIbLb1EES1C_EEDaS17_S18_EUlS17_E_NS1_11comp_targetILNS1_3genE5ELNS1_11target_archE942ELNS1_3gpuE9ELNS1_3repE0EEENS1_30default_config_static_selectorELNS0_4arch9wavefront6targetE1EEEvT1_,"axG",@progbits,_ZN7rocprim17ROCPRIM_400000_NS6detail17trampoline_kernelINS0_14default_configENS1_25partition_config_selectorILNS1_17partition_subalgoE8ElNS0_10empty_typeEbEEZZNS1_14partition_implILS5_8ELb0ES3_jPlPS6_PKS6_NS0_5tupleIJS9_S6_EEENSD_IJSA_SA_EEENS0_18inequality_wrapperIZN2at6native12_GLOBAL__N_124unique_dim_cuda_templateIlEESt5tupleIJNSH_6TensorESM_SM_EERKSM_lbbbEUlllE0_EEPmJS6_EEE10hipError_tPvRmT3_T4_T5_T6_T7_T9_mT8_P12ihipStream_tbDpT10_ENKUlT_T0_E_clISt17integral_constantIbLb1EES1C_EEDaS17_S18_EUlS17_E_NS1_11comp_targetILNS1_3genE5ELNS1_11target_archE942ELNS1_3gpuE9ELNS1_3repE0EEENS1_30default_config_static_selectorELNS0_4arch9wavefront6targetE1EEEvT1_,comdat
.Lfunc_end576:
	.size	_ZN7rocprim17ROCPRIM_400000_NS6detail17trampoline_kernelINS0_14default_configENS1_25partition_config_selectorILNS1_17partition_subalgoE8ElNS0_10empty_typeEbEEZZNS1_14partition_implILS5_8ELb0ES3_jPlPS6_PKS6_NS0_5tupleIJS9_S6_EEENSD_IJSA_SA_EEENS0_18inequality_wrapperIZN2at6native12_GLOBAL__N_124unique_dim_cuda_templateIlEESt5tupleIJNSH_6TensorESM_SM_EERKSM_lbbbEUlllE0_EEPmJS6_EEE10hipError_tPvRmT3_T4_T5_T6_T7_T9_mT8_P12ihipStream_tbDpT10_ENKUlT_T0_E_clISt17integral_constantIbLb1EES1C_EEDaS17_S18_EUlS17_E_NS1_11comp_targetILNS1_3genE5ELNS1_11target_archE942ELNS1_3gpuE9ELNS1_3repE0EEENS1_30default_config_static_selectorELNS0_4arch9wavefront6targetE1EEEvT1_, .Lfunc_end576-_ZN7rocprim17ROCPRIM_400000_NS6detail17trampoline_kernelINS0_14default_configENS1_25partition_config_selectorILNS1_17partition_subalgoE8ElNS0_10empty_typeEbEEZZNS1_14partition_implILS5_8ELb0ES3_jPlPS6_PKS6_NS0_5tupleIJS9_S6_EEENSD_IJSA_SA_EEENS0_18inequality_wrapperIZN2at6native12_GLOBAL__N_124unique_dim_cuda_templateIlEESt5tupleIJNSH_6TensorESM_SM_EERKSM_lbbbEUlllE0_EEPmJS6_EEE10hipError_tPvRmT3_T4_T5_T6_T7_T9_mT8_P12ihipStream_tbDpT10_ENKUlT_T0_E_clISt17integral_constantIbLb1EES1C_EEDaS17_S18_EUlS17_E_NS1_11comp_targetILNS1_3genE5ELNS1_11target_archE942ELNS1_3gpuE9ELNS1_3repE0EEENS1_30default_config_static_selectorELNS0_4arch9wavefront6targetE1EEEvT1_
                                        ; -- End function
	.section	.AMDGPU.csdata,"",@progbits
; Kernel info:
; codeLenInByte = 13124
; NumSgprs: 62
; NumVgprs: 52
; NumAgprs: 0
; TotalNumVgprs: 52
; ScratchSize: 0
; MemoryBound: 1
; FloatMode: 240
; IeeeMode: 1
; LDSByteSize: 28684 bytes/workgroup (compile time only)
; SGPRBlocks: 7
; VGPRBlocks: 6
; NumSGPRsForWavesPerEU: 62
; NumVGPRsForWavesPerEU: 52
; AccumOffset: 52
; Occupancy: 4
; WaveLimiterHint : 1
; COMPUTE_PGM_RSRC2:SCRATCH_EN: 0
; COMPUTE_PGM_RSRC2:USER_SGPR: 2
; COMPUTE_PGM_RSRC2:TRAP_HANDLER: 0
; COMPUTE_PGM_RSRC2:TGID_X_EN: 1
; COMPUTE_PGM_RSRC2:TGID_Y_EN: 0
; COMPUTE_PGM_RSRC2:TGID_Z_EN: 0
; COMPUTE_PGM_RSRC2:TIDIG_COMP_CNT: 0
; COMPUTE_PGM_RSRC3_GFX90A:ACCUM_OFFSET: 12
; COMPUTE_PGM_RSRC3_GFX90A:TG_SPLIT: 0
	.section	.text._ZN7rocprim17ROCPRIM_400000_NS6detail17trampoline_kernelINS0_14default_configENS1_25partition_config_selectorILNS1_17partition_subalgoE8ElNS0_10empty_typeEbEEZZNS1_14partition_implILS5_8ELb0ES3_jPlPS6_PKS6_NS0_5tupleIJS9_S6_EEENSD_IJSA_SA_EEENS0_18inequality_wrapperIZN2at6native12_GLOBAL__N_124unique_dim_cuda_templateIlEESt5tupleIJNSH_6TensorESM_SM_EERKSM_lbbbEUlllE0_EEPmJS6_EEE10hipError_tPvRmT3_T4_T5_T6_T7_T9_mT8_P12ihipStream_tbDpT10_ENKUlT_T0_E_clISt17integral_constantIbLb1EES1C_EEDaS17_S18_EUlS17_E_NS1_11comp_targetILNS1_3genE4ELNS1_11target_archE910ELNS1_3gpuE8ELNS1_3repE0EEENS1_30default_config_static_selectorELNS0_4arch9wavefront6targetE1EEEvT1_,"axG",@progbits,_ZN7rocprim17ROCPRIM_400000_NS6detail17trampoline_kernelINS0_14default_configENS1_25partition_config_selectorILNS1_17partition_subalgoE8ElNS0_10empty_typeEbEEZZNS1_14partition_implILS5_8ELb0ES3_jPlPS6_PKS6_NS0_5tupleIJS9_S6_EEENSD_IJSA_SA_EEENS0_18inequality_wrapperIZN2at6native12_GLOBAL__N_124unique_dim_cuda_templateIlEESt5tupleIJNSH_6TensorESM_SM_EERKSM_lbbbEUlllE0_EEPmJS6_EEE10hipError_tPvRmT3_T4_T5_T6_T7_T9_mT8_P12ihipStream_tbDpT10_ENKUlT_T0_E_clISt17integral_constantIbLb1EES1C_EEDaS17_S18_EUlS17_E_NS1_11comp_targetILNS1_3genE4ELNS1_11target_archE910ELNS1_3gpuE8ELNS1_3repE0EEENS1_30default_config_static_selectorELNS0_4arch9wavefront6targetE1EEEvT1_,comdat
	.globl	_ZN7rocprim17ROCPRIM_400000_NS6detail17trampoline_kernelINS0_14default_configENS1_25partition_config_selectorILNS1_17partition_subalgoE8ElNS0_10empty_typeEbEEZZNS1_14partition_implILS5_8ELb0ES3_jPlPS6_PKS6_NS0_5tupleIJS9_S6_EEENSD_IJSA_SA_EEENS0_18inequality_wrapperIZN2at6native12_GLOBAL__N_124unique_dim_cuda_templateIlEESt5tupleIJNSH_6TensorESM_SM_EERKSM_lbbbEUlllE0_EEPmJS6_EEE10hipError_tPvRmT3_T4_T5_T6_T7_T9_mT8_P12ihipStream_tbDpT10_ENKUlT_T0_E_clISt17integral_constantIbLb1EES1C_EEDaS17_S18_EUlS17_E_NS1_11comp_targetILNS1_3genE4ELNS1_11target_archE910ELNS1_3gpuE8ELNS1_3repE0EEENS1_30default_config_static_selectorELNS0_4arch9wavefront6targetE1EEEvT1_ ; -- Begin function _ZN7rocprim17ROCPRIM_400000_NS6detail17trampoline_kernelINS0_14default_configENS1_25partition_config_selectorILNS1_17partition_subalgoE8ElNS0_10empty_typeEbEEZZNS1_14partition_implILS5_8ELb0ES3_jPlPS6_PKS6_NS0_5tupleIJS9_S6_EEENSD_IJSA_SA_EEENS0_18inequality_wrapperIZN2at6native12_GLOBAL__N_124unique_dim_cuda_templateIlEESt5tupleIJNSH_6TensorESM_SM_EERKSM_lbbbEUlllE0_EEPmJS6_EEE10hipError_tPvRmT3_T4_T5_T6_T7_T9_mT8_P12ihipStream_tbDpT10_ENKUlT_T0_E_clISt17integral_constantIbLb1EES1C_EEDaS17_S18_EUlS17_E_NS1_11comp_targetILNS1_3genE4ELNS1_11target_archE910ELNS1_3gpuE8ELNS1_3repE0EEENS1_30default_config_static_selectorELNS0_4arch9wavefront6targetE1EEEvT1_
	.p2align	8
	.type	_ZN7rocprim17ROCPRIM_400000_NS6detail17trampoline_kernelINS0_14default_configENS1_25partition_config_selectorILNS1_17partition_subalgoE8ElNS0_10empty_typeEbEEZZNS1_14partition_implILS5_8ELb0ES3_jPlPS6_PKS6_NS0_5tupleIJS9_S6_EEENSD_IJSA_SA_EEENS0_18inequality_wrapperIZN2at6native12_GLOBAL__N_124unique_dim_cuda_templateIlEESt5tupleIJNSH_6TensorESM_SM_EERKSM_lbbbEUlllE0_EEPmJS6_EEE10hipError_tPvRmT3_T4_T5_T6_T7_T9_mT8_P12ihipStream_tbDpT10_ENKUlT_T0_E_clISt17integral_constantIbLb1EES1C_EEDaS17_S18_EUlS17_E_NS1_11comp_targetILNS1_3genE4ELNS1_11target_archE910ELNS1_3gpuE8ELNS1_3repE0EEENS1_30default_config_static_selectorELNS0_4arch9wavefront6targetE1EEEvT1_,@function
_ZN7rocprim17ROCPRIM_400000_NS6detail17trampoline_kernelINS0_14default_configENS1_25partition_config_selectorILNS1_17partition_subalgoE8ElNS0_10empty_typeEbEEZZNS1_14partition_implILS5_8ELb0ES3_jPlPS6_PKS6_NS0_5tupleIJS9_S6_EEENSD_IJSA_SA_EEENS0_18inequality_wrapperIZN2at6native12_GLOBAL__N_124unique_dim_cuda_templateIlEESt5tupleIJNSH_6TensorESM_SM_EERKSM_lbbbEUlllE0_EEPmJS6_EEE10hipError_tPvRmT3_T4_T5_T6_T7_T9_mT8_P12ihipStream_tbDpT10_ENKUlT_T0_E_clISt17integral_constantIbLb1EES1C_EEDaS17_S18_EUlS17_E_NS1_11comp_targetILNS1_3genE4ELNS1_11target_archE910ELNS1_3gpuE8ELNS1_3repE0EEENS1_30default_config_static_selectorELNS0_4arch9wavefront6targetE1EEEvT1_: ; @_ZN7rocprim17ROCPRIM_400000_NS6detail17trampoline_kernelINS0_14default_configENS1_25partition_config_selectorILNS1_17partition_subalgoE8ElNS0_10empty_typeEbEEZZNS1_14partition_implILS5_8ELb0ES3_jPlPS6_PKS6_NS0_5tupleIJS9_S6_EEENSD_IJSA_SA_EEENS0_18inequality_wrapperIZN2at6native12_GLOBAL__N_124unique_dim_cuda_templateIlEESt5tupleIJNSH_6TensorESM_SM_EERKSM_lbbbEUlllE0_EEPmJS6_EEE10hipError_tPvRmT3_T4_T5_T6_T7_T9_mT8_P12ihipStream_tbDpT10_ENKUlT_T0_E_clISt17integral_constantIbLb1EES1C_EEDaS17_S18_EUlS17_E_NS1_11comp_targetILNS1_3genE4ELNS1_11target_archE910ELNS1_3gpuE8ELNS1_3repE0EEENS1_30default_config_static_selectorELNS0_4arch9wavefront6targetE1EEEvT1_
; %bb.0:
	.section	.rodata,"a",@progbits
	.p2align	6, 0x0
	.amdhsa_kernel _ZN7rocprim17ROCPRIM_400000_NS6detail17trampoline_kernelINS0_14default_configENS1_25partition_config_selectorILNS1_17partition_subalgoE8ElNS0_10empty_typeEbEEZZNS1_14partition_implILS5_8ELb0ES3_jPlPS6_PKS6_NS0_5tupleIJS9_S6_EEENSD_IJSA_SA_EEENS0_18inequality_wrapperIZN2at6native12_GLOBAL__N_124unique_dim_cuda_templateIlEESt5tupleIJNSH_6TensorESM_SM_EERKSM_lbbbEUlllE0_EEPmJS6_EEE10hipError_tPvRmT3_T4_T5_T6_T7_T9_mT8_P12ihipStream_tbDpT10_ENKUlT_T0_E_clISt17integral_constantIbLb1EES1C_EEDaS17_S18_EUlS17_E_NS1_11comp_targetILNS1_3genE4ELNS1_11target_archE910ELNS1_3gpuE8ELNS1_3repE0EEENS1_30default_config_static_selectorELNS0_4arch9wavefront6targetE1EEEvT1_
		.amdhsa_group_segment_fixed_size 0
		.amdhsa_private_segment_fixed_size 0
		.amdhsa_kernarg_size 136
		.amdhsa_user_sgpr_count 2
		.amdhsa_user_sgpr_dispatch_ptr 0
		.amdhsa_user_sgpr_queue_ptr 0
		.amdhsa_user_sgpr_kernarg_segment_ptr 1
		.amdhsa_user_sgpr_dispatch_id 0
		.amdhsa_user_sgpr_kernarg_preload_length 0
		.amdhsa_user_sgpr_kernarg_preload_offset 0
		.amdhsa_user_sgpr_private_segment_size 0
		.amdhsa_uses_dynamic_stack 0
		.amdhsa_enable_private_segment 0
		.amdhsa_system_sgpr_workgroup_id_x 1
		.amdhsa_system_sgpr_workgroup_id_y 0
		.amdhsa_system_sgpr_workgroup_id_z 0
		.amdhsa_system_sgpr_workgroup_info 0
		.amdhsa_system_vgpr_workitem_id 0
		.amdhsa_next_free_vgpr 1
		.amdhsa_next_free_sgpr 0
		.amdhsa_accum_offset 4
		.amdhsa_reserve_vcc 0
		.amdhsa_float_round_mode_32 0
		.amdhsa_float_round_mode_16_64 0
		.amdhsa_float_denorm_mode_32 3
		.amdhsa_float_denorm_mode_16_64 3
		.amdhsa_dx10_clamp 1
		.amdhsa_ieee_mode 1
		.amdhsa_fp16_overflow 0
		.amdhsa_tg_split 0
		.amdhsa_exception_fp_ieee_invalid_op 0
		.amdhsa_exception_fp_denorm_src 0
		.amdhsa_exception_fp_ieee_div_zero 0
		.amdhsa_exception_fp_ieee_overflow 0
		.amdhsa_exception_fp_ieee_underflow 0
		.amdhsa_exception_fp_ieee_inexact 0
		.amdhsa_exception_int_div_zero 0
	.end_amdhsa_kernel
	.section	.text._ZN7rocprim17ROCPRIM_400000_NS6detail17trampoline_kernelINS0_14default_configENS1_25partition_config_selectorILNS1_17partition_subalgoE8ElNS0_10empty_typeEbEEZZNS1_14partition_implILS5_8ELb0ES3_jPlPS6_PKS6_NS0_5tupleIJS9_S6_EEENSD_IJSA_SA_EEENS0_18inequality_wrapperIZN2at6native12_GLOBAL__N_124unique_dim_cuda_templateIlEESt5tupleIJNSH_6TensorESM_SM_EERKSM_lbbbEUlllE0_EEPmJS6_EEE10hipError_tPvRmT3_T4_T5_T6_T7_T9_mT8_P12ihipStream_tbDpT10_ENKUlT_T0_E_clISt17integral_constantIbLb1EES1C_EEDaS17_S18_EUlS17_E_NS1_11comp_targetILNS1_3genE4ELNS1_11target_archE910ELNS1_3gpuE8ELNS1_3repE0EEENS1_30default_config_static_selectorELNS0_4arch9wavefront6targetE1EEEvT1_,"axG",@progbits,_ZN7rocprim17ROCPRIM_400000_NS6detail17trampoline_kernelINS0_14default_configENS1_25partition_config_selectorILNS1_17partition_subalgoE8ElNS0_10empty_typeEbEEZZNS1_14partition_implILS5_8ELb0ES3_jPlPS6_PKS6_NS0_5tupleIJS9_S6_EEENSD_IJSA_SA_EEENS0_18inequality_wrapperIZN2at6native12_GLOBAL__N_124unique_dim_cuda_templateIlEESt5tupleIJNSH_6TensorESM_SM_EERKSM_lbbbEUlllE0_EEPmJS6_EEE10hipError_tPvRmT3_T4_T5_T6_T7_T9_mT8_P12ihipStream_tbDpT10_ENKUlT_T0_E_clISt17integral_constantIbLb1EES1C_EEDaS17_S18_EUlS17_E_NS1_11comp_targetILNS1_3genE4ELNS1_11target_archE910ELNS1_3gpuE8ELNS1_3repE0EEENS1_30default_config_static_selectorELNS0_4arch9wavefront6targetE1EEEvT1_,comdat
.Lfunc_end577:
	.size	_ZN7rocprim17ROCPRIM_400000_NS6detail17trampoline_kernelINS0_14default_configENS1_25partition_config_selectorILNS1_17partition_subalgoE8ElNS0_10empty_typeEbEEZZNS1_14partition_implILS5_8ELb0ES3_jPlPS6_PKS6_NS0_5tupleIJS9_S6_EEENSD_IJSA_SA_EEENS0_18inequality_wrapperIZN2at6native12_GLOBAL__N_124unique_dim_cuda_templateIlEESt5tupleIJNSH_6TensorESM_SM_EERKSM_lbbbEUlllE0_EEPmJS6_EEE10hipError_tPvRmT3_T4_T5_T6_T7_T9_mT8_P12ihipStream_tbDpT10_ENKUlT_T0_E_clISt17integral_constantIbLb1EES1C_EEDaS17_S18_EUlS17_E_NS1_11comp_targetILNS1_3genE4ELNS1_11target_archE910ELNS1_3gpuE8ELNS1_3repE0EEENS1_30default_config_static_selectorELNS0_4arch9wavefront6targetE1EEEvT1_, .Lfunc_end577-_ZN7rocprim17ROCPRIM_400000_NS6detail17trampoline_kernelINS0_14default_configENS1_25partition_config_selectorILNS1_17partition_subalgoE8ElNS0_10empty_typeEbEEZZNS1_14partition_implILS5_8ELb0ES3_jPlPS6_PKS6_NS0_5tupleIJS9_S6_EEENSD_IJSA_SA_EEENS0_18inequality_wrapperIZN2at6native12_GLOBAL__N_124unique_dim_cuda_templateIlEESt5tupleIJNSH_6TensorESM_SM_EERKSM_lbbbEUlllE0_EEPmJS6_EEE10hipError_tPvRmT3_T4_T5_T6_T7_T9_mT8_P12ihipStream_tbDpT10_ENKUlT_T0_E_clISt17integral_constantIbLb1EES1C_EEDaS17_S18_EUlS17_E_NS1_11comp_targetILNS1_3genE4ELNS1_11target_archE910ELNS1_3gpuE8ELNS1_3repE0EEENS1_30default_config_static_selectorELNS0_4arch9wavefront6targetE1EEEvT1_
                                        ; -- End function
	.section	.AMDGPU.csdata,"",@progbits
; Kernel info:
; codeLenInByte = 0
; NumSgprs: 6
; NumVgprs: 0
; NumAgprs: 0
; TotalNumVgprs: 0
; ScratchSize: 0
; MemoryBound: 0
; FloatMode: 240
; IeeeMode: 1
; LDSByteSize: 0 bytes/workgroup (compile time only)
; SGPRBlocks: 0
; VGPRBlocks: 0
; NumSGPRsForWavesPerEU: 6
; NumVGPRsForWavesPerEU: 1
; AccumOffset: 4
; Occupancy: 8
; WaveLimiterHint : 0
; COMPUTE_PGM_RSRC2:SCRATCH_EN: 0
; COMPUTE_PGM_RSRC2:USER_SGPR: 2
; COMPUTE_PGM_RSRC2:TRAP_HANDLER: 0
; COMPUTE_PGM_RSRC2:TGID_X_EN: 1
; COMPUTE_PGM_RSRC2:TGID_Y_EN: 0
; COMPUTE_PGM_RSRC2:TGID_Z_EN: 0
; COMPUTE_PGM_RSRC2:TIDIG_COMP_CNT: 0
; COMPUTE_PGM_RSRC3_GFX90A:ACCUM_OFFSET: 0
; COMPUTE_PGM_RSRC3_GFX90A:TG_SPLIT: 0
	.section	.text._ZN7rocprim17ROCPRIM_400000_NS6detail17trampoline_kernelINS0_14default_configENS1_25partition_config_selectorILNS1_17partition_subalgoE8ElNS0_10empty_typeEbEEZZNS1_14partition_implILS5_8ELb0ES3_jPlPS6_PKS6_NS0_5tupleIJS9_S6_EEENSD_IJSA_SA_EEENS0_18inequality_wrapperIZN2at6native12_GLOBAL__N_124unique_dim_cuda_templateIlEESt5tupleIJNSH_6TensorESM_SM_EERKSM_lbbbEUlllE0_EEPmJS6_EEE10hipError_tPvRmT3_T4_T5_T6_T7_T9_mT8_P12ihipStream_tbDpT10_ENKUlT_T0_E_clISt17integral_constantIbLb1EES1C_EEDaS17_S18_EUlS17_E_NS1_11comp_targetILNS1_3genE3ELNS1_11target_archE908ELNS1_3gpuE7ELNS1_3repE0EEENS1_30default_config_static_selectorELNS0_4arch9wavefront6targetE1EEEvT1_,"axG",@progbits,_ZN7rocprim17ROCPRIM_400000_NS6detail17trampoline_kernelINS0_14default_configENS1_25partition_config_selectorILNS1_17partition_subalgoE8ElNS0_10empty_typeEbEEZZNS1_14partition_implILS5_8ELb0ES3_jPlPS6_PKS6_NS0_5tupleIJS9_S6_EEENSD_IJSA_SA_EEENS0_18inequality_wrapperIZN2at6native12_GLOBAL__N_124unique_dim_cuda_templateIlEESt5tupleIJNSH_6TensorESM_SM_EERKSM_lbbbEUlllE0_EEPmJS6_EEE10hipError_tPvRmT3_T4_T5_T6_T7_T9_mT8_P12ihipStream_tbDpT10_ENKUlT_T0_E_clISt17integral_constantIbLb1EES1C_EEDaS17_S18_EUlS17_E_NS1_11comp_targetILNS1_3genE3ELNS1_11target_archE908ELNS1_3gpuE7ELNS1_3repE0EEENS1_30default_config_static_selectorELNS0_4arch9wavefront6targetE1EEEvT1_,comdat
	.globl	_ZN7rocprim17ROCPRIM_400000_NS6detail17trampoline_kernelINS0_14default_configENS1_25partition_config_selectorILNS1_17partition_subalgoE8ElNS0_10empty_typeEbEEZZNS1_14partition_implILS5_8ELb0ES3_jPlPS6_PKS6_NS0_5tupleIJS9_S6_EEENSD_IJSA_SA_EEENS0_18inequality_wrapperIZN2at6native12_GLOBAL__N_124unique_dim_cuda_templateIlEESt5tupleIJNSH_6TensorESM_SM_EERKSM_lbbbEUlllE0_EEPmJS6_EEE10hipError_tPvRmT3_T4_T5_T6_T7_T9_mT8_P12ihipStream_tbDpT10_ENKUlT_T0_E_clISt17integral_constantIbLb1EES1C_EEDaS17_S18_EUlS17_E_NS1_11comp_targetILNS1_3genE3ELNS1_11target_archE908ELNS1_3gpuE7ELNS1_3repE0EEENS1_30default_config_static_selectorELNS0_4arch9wavefront6targetE1EEEvT1_ ; -- Begin function _ZN7rocprim17ROCPRIM_400000_NS6detail17trampoline_kernelINS0_14default_configENS1_25partition_config_selectorILNS1_17partition_subalgoE8ElNS0_10empty_typeEbEEZZNS1_14partition_implILS5_8ELb0ES3_jPlPS6_PKS6_NS0_5tupleIJS9_S6_EEENSD_IJSA_SA_EEENS0_18inequality_wrapperIZN2at6native12_GLOBAL__N_124unique_dim_cuda_templateIlEESt5tupleIJNSH_6TensorESM_SM_EERKSM_lbbbEUlllE0_EEPmJS6_EEE10hipError_tPvRmT3_T4_T5_T6_T7_T9_mT8_P12ihipStream_tbDpT10_ENKUlT_T0_E_clISt17integral_constantIbLb1EES1C_EEDaS17_S18_EUlS17_E_NS1_11comp_targetILNS1_3genE3ELNS1_11target_archE908ELNS1_3gpuE7ELNS1_3repE0EEENS1_30default_config_static_selectorELNS0_4arch9wavefront6targetE1EEEvT1_
	.p2align	8
	.type	_ZN7rocprim17ROCPRIM_400000_NS6detail17trampoline_kernelINS0_14default_configENS1_25partition_config_selectorILNS1_17partition_subalgoE8ElNS0_10empty_typeEbEEZZNS1_14partition_implILS5_8ELb0ES3_jPlPS6_PKS6_NS0_5tupleIJS9_S6_EEENSD_IJSA_SA_EEENS0_18inequality_wrapperIZN2at6native12_GLOBAL__N_124unique_dim_cuda_templateIlEESt5tupleIJNSH_6TensorESM_SM_EERKSM_lbbbEUlllE0_EEPmJS6_EEE10hipError_tPvRmT3_T4_T5_T6_T7_T9_mT8_P12ihipStream_tbDpT10_ENKUlT_T0_E_clISt17integral_constantIbLb1EES1C_EEDaS17_S18_EUlS17_E_NS1_11comp_targetILNS1_3genE3ELNS1_11target_archE908ELNS1_3gpuE7ELNS1_3repE0EEENS1_30default_config_static_selectorELNS0_4arch9wavefront6targetE1EEEvT1_,@function
_ZN7rocprim17ROCPRIM_400000_NS6detail17trampoline_kernelINS0_14default_configENS1_25partition_config_selectorILNS1_17partition_subalgoE8ElNS0_10empty_typeEbEEZZNS1_14partition_implILS5_8ELb0ES3_jPlPS6_PKS6_NS0_5tupleIJS9_S6_EEENSD_IJSA_SA_EEENS0_18inequality_wrapperIZN2at6native12_GLOBAL__N_124unique_dim_cuda_templateIlEESt5tupleIJNSH_6TensorESM_SM_EERKSM_lbbbEUlllE0_EEPmJS6_EEE10hipError_tPvRmT3_T4_T5_T6_T7_T9_mT8_P12ihipStream_tbDpT10_ENKUlT_T0_E_clISt17integral_constantIbLb1EES1C_EEDaS17_S18_EUlS17_E_NS1_11comp_targetILNS1_3genE3ELNS1_11target_archE908ELNS1_3gpuE7ELNS1_3repE0EEENS1_30default_config_static_selectorELNS0_4arch9wavefront6targetE1EEEvT1_: ; @_ZN7rocprim17ROCPRIM_400000_NS6detail17trampoline_kernelINS0_14default_configENS1_25partition_config_selectorILNS1_17partition_subalgoE8ElNS0_10empty_typeEbEEZZNS1_14partition_implILS5_8ELb0ES3_jPlPS6_PKS6_NS0_5tupleIJS9_S6_EEENSD_IJSA_SA_EEENS0_18inequality_wrapperIZN2at6native12_GLOBAL__N_124unique_dim_cuda_templateIlEESt5tupleIJNSH_6TensorESM_SM_EERKSM_lbbbEUlllE0_EEPmJS6_EEE10hipError_tPvRmT3_T4_T5_T6_T7_T9_mT8_P12ihipStream_tbDpT10_ENKUlT_T0_E_clISt17integral_constantIbLb1EES1C_EEDaS17_S18_EUlS17_E_NS1_11comp_targetILNS1_3genE3ELNS1_11target_archE908ELNS1_3gpuE7ELNS1_3repE0EEENS1_30default_config_static_selectorELNS0_4arch9wavefront6targetE1EEEvT1_
; %bb.0:
	.section	.rodata,"a",@progbits
	.p2align	6, 0x0
	.amdhsa_kernel _ZN7rocprim17ROCPRIM_400000_NS6detail17trampoline_kernelINS0_14default_configENS1_25partition_config_selectorILNS1_17partition_subalgoE8ElNS0_10empty_typeEbEEZZNS1_14partition_implILS5_8ELb0ES3_jPlPS6_PKS6_NS0_5tupleIJS9_S6_EEENSD_IJSA_SA_EEENS0_18inequality_wrapperIZN2at6native12_GLOBAL__N_124unique_dim_cuda_templateIlEESt5tupleIJNSH_6TensorESM_SM_EERKSM_lbbbEUlllE0_EEPmJS6_EEE10hipError_tPvRmT3_T4_T5_T6_T7_T9_mT8_P12ihipStream_tbDpT10_ENKUlT_T0_E_clISt17integral_constantIbLb1EES1C_EEDaS17_S18_EUlS17_E_NS1_11comp_targetILNS1_3genE3ELNS1_11target_archE908ELNS1_3gpuE7ELNS1_3repE0EEENS1_30default_config_static_selectorELNS0_4arch9wavefront6targetE1EEEvT1_
		.amdhsa_group_segment_fixed_size 0
		.amdhsa_private_segment_fixed_size 0
		.amdhsa_kernarg_size 136
		.amdhsa_user_sgpr_count 2
		.amdhsa_user_sgpr_dispatch_ptr 0
		.amdhsa_user_sgpr_queue_ptr 0
		.amdhsa_user_sgpr_kernarg_segment_ptr 1
		.amdhsa_user_sgpr_dispatch_id 0
		.amdhsa_user_sgpr_kernarg_preload_length 0
		.amdhsa_user_sgpr_kernarg_preload_offset 0
		.amdhsa_user_sgpr_private_segment_size 0
		.amdhsa_uses_dynamic_stack 0
		.amdhsa_enable_private_segment 0
		.amdhsa_system_sgpr_workgroup_id_x 1
		.amdhsa_system_sgpr_workgroup_id_y 0
		.amdhsa_system_sgpr_workgroup_id_z 0
		.amdhsa_system_sgpr_workgroup_info 0
		.amdhsa_system_vgpr_workitem_id 0
		.amdhsa_next_free_vgpr 1
		.amdhsa_next_free_sgpr 0
		.amdhsa_accum_offset 4
		.amdhsa_reserve_vcc 0
		.amdhsa_float_round_mode_32 0
		.amdhsa_float_round_mode_16_64 0
		.amdhsa_float_denorm_mode_32 3
		.amdhsa_float_denorm_mode_16_64 3
		.amdhsa_dx10_clamp 1
		.amdhsa_ieee_mode 1
		.amdhsa_fp16_overflow 0
		.amdhsa_tg_split 0
		.amdhsa_exception_fp_ieee_invalid_op 0
		.amdhsa_exception_fp_denorm_src 0
		.amdhsa_exception_fp_ieee_div_zero 0
		.amdhsa_exception_fp_ieee_overflow 0
		.amdhsa_exception_fp_ieee_underflow 0
		.amdhsa_exception_fp_ieee_inexact 0
		.amdhsa_exception_int_div_zero 0
	.end_amdhsa_kernel
	.section	.text._ZN7rocprim17ROCPRIM_400000_NS6detail17trampoline_kernelINS0_14default_configENS1_25partition_config_selectorILNS1_17partition_subalgoE8ElNS0_10empty_typeEbEEZZNS1_14partition_implILS5_8ELb0ES3_jPlPS6_PKS6_NS0_5tupleIJS9_S6_EEENSD_IJSA_SA_EEENS0_18inequality_wrapperIZN2at6native12_GLOBAL__N_124unique_dim_cuda_templateIlEESt5tupleIJNSH_6TensorESM_SM_EERKSM_lbbbEUlllE0_EEPmJS6_EEE10hipError_tPvRmT3_T4_T5_T6_T7_T9_mT8_P12ihipStream_tbDpT10_ENKUlT_T0_E_clISt17integral_constantIbLb1EES1C_EEDaS17_S18_EUlS17_E_NS1_11comp_targetILNS1_3genE3ELNS1_11target_archE908ELNS1_3gpuE7ELNS1_3repE0EEENS1_30default_config_static_selectorELNS0_4arch9wavefront6targetE1EEEvT1_,"axG",@progbits,_ZN7rocprim17ROCPRIM_400000_NS6detail17trampoline_kernelINS0_14default_configENS1_25partition_config_selectorILNS1_17partition_subalgoE8ElNS0_10empty_typeEbEEZZNS1_14partition_implILS5_8ELb0ES3_jPlPS6_PKS6_NS0_5tupleIJS9_S6_EEENSD_IJSA_SA_EEENS0_18inequality_wrapperIZN2at6native12_GLOBAL__N_124unique_dim_cuda_templateIlEESt5tupleIJNSH_6TensorESM_SM_EERKSM_lbbbEUlllE0_EEPmJS6_EEE10hipError_tPvRmT3_T4_T5_T6_T7_T9_mT8_P12ihipStream_tbDpT10_ENKUlT_T0_E_clISt17integral_constantIbLb1EES1C_EEDaS17_S18_EUlS17_E_NS1_11comp_targetILNS1_3genE3ELNS1_11target_archE908ELNS1_3gpuE7ELNS1_3repE0EEENS1_30default_config_static_selectorELNS0_4arch9wavefront6targetE1EEEvT1_,comdat
.Lfunc_end578:
	.size	_ZN7rocprim17ROCPRIM_400000_NS6detail17trampoline_kernelINS0_14default_configENS1_25partition_config_selectorILNS1_17partition_subalgoE8ElNS0_10empty_typeEbEEZZNS1_14partition_implILS5_8ELb0ES3_jPlPS6_PKS6_NS0_5tupleIJS9_S6_EEENSD_IJSA_SA_EEENS0_18inequality_wrapperIZN2at6native12_GLOBAL__N_124unique_dim_cuda_templateIlEESt5tupleIJNSH_6TensorESM_SM_EERKSM_lbbbEUlllE0_EEPmJS6_EEE10hipError_tPvRmT3_T4_T5_T6_T7_T9_mT8_P12ihipStream_tbDpT10_ENKUlT_T0_E_clISt17integral_constantIbLb1EES1C_EEDaS17_S18_EUlS17_E_NS1_11comp_targetILNS1_3genE3ELNS1_11target_archE908ELNS1_3gpuE7ELNS1_3repE0EEENS1_30default_config_static_selectorELNS0_4arch9wavefront6targetE1EEEvT1_, .Lfunc_end578-_ZN7rocprim17ROCPRIM_400000_NS6detail17trampoline_kernelINS0_14default_configENS1_25partition_config_selectorILNS1_17partition_subalgoE8ElNS0_10empty_typeEbEEZZNS1_14partition_implILS5_8ELb0ES3_jPlPS6_PKS6_NS0_5tupleIJS9_S6_EEENSD_IJSA_SA_EEENS0_18inequality_wrapperIZN2at6native12_GLOBAL__N_124unique_dim_cuda_templateIlEESt5tupleIJNSH_6TensorESM_SM_EERKSM_lbbbEUlllE0_EEPmJS6_EEE10hipError_tPvRmT3_T4_T5_T6_T7_T9_mT8_P12ihipStream_tbDpT10_ENKUlT_T0_E_clISt17integral_constantIbLb1EES1C_EEDaS17_S18_EUlS17_E_NS1_11comp_targetILNS1_3genE3ELNS1_11target_archE908ELNS1_3gpuE7ELNS1_3repE0EEENS1_30default_config_static_selectorELNS0_4arch9wavefront6targetE1EEEvT1_
                                        ; -- End function
	.section	.AMDGPU.csdata,"",@progbits
; Kernel info:
; codeLenInByte = 0
; NumSgprs: 6
; NumVgprs: 0
; NumAgprs: 0
; TotalNumVgprs: 0
; ScratchSize: 0
; MemoryBound: 0
; FloatMode: 240
; IeeeMode: 1
; LDSByteSize: 0 bytes/workgroup (compile time only)
; SGPRBlocks: 0
; VGPRBlocks: 0
; NumSGPRsForWavesPerEU: 6
; NumVGPRsForWavesPerEU: 1
; AccumOffset: 4
; Occupancy: 8
; WaveLimiterHint : 0
; COMPUTE_PGM_RSRC2:SCRATCH_EN: 0
; COMPUTE_PGM_RSRC2:USER_SGPR: 2
; COMPUTE_PGM_RSRC2:TRAP_HANDLER: 0
; COMPUTE_PGM_RSRC2:TGID_X_EN: 1
; COMPUTE_PGM_RSRC2:TGID_Y_EN: 0
; COMPUTE_PGM_RSRC2:TGID_Z_EN: 0
; COMPUTE_PGM_RSRC2:TIDIG_COMP_CNT: 0
; COMPUTE_PGM_RSRC3_GFX90A:ACCUM_OFFSET: 0
; COMPUTE_PGM_RSRC3_GFX90A:TG_SPLIT: 0
	.section	.text._ZN7rocprim17ROCPRIM_400000_NS6detail17trampoline_kernelINS0_14default_configENS1_25partition_config_selectorILNS1_17partition_subalgoE8ElNS0_10empty_typeEbEEZZNS1_14partition_implILS5_8ELb0ES3_jPlPS6_PKS6_NS0_5tupleIJS9_S6_EEENSD_IJSA_SA_EEENS0_18inequality_wrapperIZN2at6native12_GLOBAL__N_124unique_dim_cuda_templateIlEESt5tupleIJNSH_6TensorESM_SM_EERKSM_lbbbEUlllE0_EEPmJS6_EEE10hipError_tPvRmT3_T4_T5_T6_T7_T9_mT8_P12ihipStream_tbDpT10_ENKUlT_T0_E_clISt17integral_constantIbLb1EES1C_EEDaS17_S18_EUlS17_E_NS1_11comp_targetILNS1_3genE2ELNS1_11target_archE906ELNS1_3gpuE6ELNS1_3repE0EEENS1_30default_config_static_selectorELNS0_4arch9wavefront6targetE1EEEvT1_,"axG",@progbits,_ZN7rocprim17ROCPRIM_400000_NS6detail17trampoline_kernelINS0_14default_configENS1_25partition_config_selectorILNS1_17partition_subalgoE8ElNS0_10empty_typeEbEEZZNS1_14partition_implILS5_8ELb0ES3_jPlPS6_PKS6_NS0_5tupleIJS9_S6_EEENSD_IJSA_SA_EEENS0_18inequality_wrapperIZN2at6native12_GLOBAL__N_124unique_dim_cuda_templateIlEESt5tupleIJNSH_6TensorESM_SM_EERKSM_lbbbEUlllE0_EEPmJS6_EEE10hipError_tPvRmT3_T4_T5_T6_T7_T9_mT8_P12ihipStream_tbDpT10_ENKUlT_T0_E_clISt17integral_constantIbLb1EES1C_EEDaS17_S18_EUlS17_E_NS1_11comp_targetILNS1_3genE2ELNS1_11target_archE906ELNS1_3gpuE6ELNS1_3repE0EEENS1_30default_config_static_selectorELNS0_4arch9wavefront6targetE1EEEvT1_,comdat
	.globl	_ZN7rocprim17ROCPRIM_400000_NS6detail17trampoline_kernelINS0_14default_configENS1_25partition_config_selectorILNS1_17partition_subalgoE8ElNS0_10empty_typeEbEEZZNS1_14partition_implILS5_8ELb0ES3_jPlPS6_PKS6_NS0_5tupleIJS9_S6_EEENSD_IJSA_SA_EEENS0_18inequality_wrapperIZN2at6native12_GLOBAL__N_124unique_dim_cuda_templateIlEESt5tupleIJNSH_6TensorESM_SM_EERKSM_lbbbEUlllE0_EEPmJS6_EEE10hipError_tPvRmT3_T4_T5_T6_T7_T9_mT8_P12ihipStream_tbDpT10_ENKUlT_T0_E_clISt17integral_constantIbLb1EES1C_EEDaS17_S18_EUlS17_E_NS1_11comp_targetILNS1_3genE2ELNS1_11target_archE906ELNS1_3gpuE6ELNS1_3repE0EEENS1_30default_config_static_selectorELNS0_4arch9wavefront6targetE1EEEvT1_ ; -- Begin function _ZN7rocprim17ROCPRIM_400000_NS6detail17trampoline_kernelINS0_14default_configENS1_25partition_config_selectorILNS1_17partition_subalgoE8ElNS0_10empty_typeEbEEZZNS1_14partition_implILS5_8ELb0ES3_jPlPS6_PKS6_NS0_5tupleIJS9_S6_EEENSD_IJSA_SA_EEENS0_18inequality_wrapperIZN2at6native12_GLOBAL__N_124unique_dim_cuda_templateIlEESt5tupleIJNSH_6TensorESM_SM_EERKSM_lbbbEUlllE0_EEPmJS6_EEE10hipError_tPvRmT3_T4_T5_T6_T7_T9_mT8_P12ihipStream_tbDpT10_ENKUlT_T0_E_clISt17integral_constantIbLb1EES1C_EEDaS17_S18_EUlS17_E_NS1_11comp_targetILNS1_3genE2ELNS1_11target_archE906ELNS1_3gpuE6ELNS1_3repE0EEENS1_30default_config_static_selectorELNS0_4arch9wavefront6targetE1EEEvT1_
	.p2align	8
	.type	_ZN7rocprim17ROCPRIM_400000_NS6detail17trampoline_kernelINS0_14default_configENS1_25partition_config_selectorILNS1_17partition_subalgoE8ElNS0_10empty_typeEbEEZZNS1_14partition_implILS5_8ELb0ES3_jPlPS6_PKS6_NS0_5tupleIJS9_S6_EEENSD_IJSA_SA_EEENS0_18inequality_wrapperIZN2at6native12_GLOBAL__N_124unique_dim_cuda_templateIlEESt5tupleIJNSH_6TensorESM_SM_EERKSM_lbbbEUlllE0_EEPmJS6_EEE10hipError_tPvRmT3_T4_T5_T6_T7_T9_mT8_P12ihipStream_tbDpT10_ENKUlT_T0_E_clISt17integral_constantIbLb1EES1C_EEDaS17_S18_EUlS17_E_NS1_11comp_targetILNS1_3genE2ELNS1_11target_archE906ELNS1_3gpuE6ELNS1_3repE0EEENS1_30default_config_static_selectorELNS0_4arch9wavefront6targetE1EEEvT1_,@function
_ZN7rocprim17ROCPRIM_400000_NS6detail17trampoline_kernelINS0_14default_configENS1_25partition_config_selectorILNS1_17partition_subalgoE8ElNS0_10empty_typeEbEEZZNS1_14partition_implILS5_8ELb0ES3_jPlPS6_PKS6_NS0_5tupleIJS9_S6_EEENSD_IJSA_SA_EEENS0_18inequality_wrapperIZN2at6native12_GLOBAL__N_124unique_dim_cuda_templateIlEESt5tupleIJNSH_6TensorESM_SM_EERKSM_lbbbEUlllE0_EEPmJS6_EEE10hipError_tPvRmT3_T4_T5_T6_T7_T9_mT8_P12ihipStream_tbDpT10_ENKUlT_T0_E_clISt17integral_constantIbLb1EES1C_EEDaS17_S18_EUlS17_E_NS1_11comp_targetILNS1_3genE2ELNS1_11target_archE906ELNS1_3gpuE6ELNS1_3repE0EEENS1_30default_config_static_selectorELNS0_4arch9wavefront6targetE1EEEvT1_: ; @_ZN7rocprim17ROCPRIM_400000_NS6detail17trampoline_kernelINS0_14default_configENS1_25partition_config_selectorILNS1_17partition_subalgoE8ElNS0_10empty_typeEbEEZZNS1_14partition_implILS5_8ELb0ES3_jPlPS6_PKS6_NS0_5tupleIJS9_S6_EEENSD_IJSA_SA_EEENS0_18inequality_wrapperIZN2at6native12_GLOBAL__N_124unique_dim_cuda_templateIlEESt5tupleIJNSH_6TensorESM_SM_EERKSM_lbbbEUlllE0_EEPmJS6_EEE10hipError_tPvRmT3_T4_T5_T6_T7_T9_mT8_P12ihipStream_tbDpT10_ENKUlT_T0_E_clISt17integral_constantIbLb1EES1C_EEDaS17_S18_EUlS17_E_NS1_11comp_targetILNS1_3genE2ELNS1_11target_archE906ELNS1_3gpuE6ELNS1_3repE0EEENS1_30default_config_static_selectorELNS0_4arch9wavefront6targetE1EEEvT1_
; %bb.0:
	.section	.rodata,"a",@progbits
	.p2align	6, 0x0
	.amdhsa_kernel _ZN7rocprim17ROCPRIM_400000_NS6detail17trampoline_kernelINS0_14default_configENS1_25partition_config_selectorILNS1_17partition_subalgoE8ElNS0_10empty_typeEbEEZZNS1_14partition_implILS5_8ELb0ES3_jPlPS6_PKS6_NS0_5tupleIJS9_S6_EEENSD_IJSA_SA_EEENS0_18inequality_wrapperIZN2at6native12_GLOBAL__N_124unique_dim_cuda_templateIlEESt5tupleIJNSH_6TensorESM_SM_EERKSM_lbbbEUlllE0_EEPmJS6_EEE10hipError_tPvRmT3_T4_T5_T6_T7_T9_mT8_P12ihipStream_tbDpT10_ENKUlT_T0_E_clISt17integral_constantIbLb1EES1C_EEDaS17_S18_EUlS17_E_NS1_11comp_targetILNS1_3genE2ELNS1_11target_archE906ELNS1_3gpuE6ELNS1_3repE0EEENS1_30default_config_static_selectorELNS0_4arch9wavefront6targetE1EEEvT1_
		.amdhsa_group_segment_fixed_size 0
		.amdhsa_private_segment_fixed_size 0
		.amdhsa_kernarg_size 136
		.amdhsa_user_sgpr_count 2
		.amdhsa_user_sgpr_dispatch_ptr 0
		.amdhsa_user_sgpr_queue_ptr 0
		.amdhsa_user_sgpr_kernarg_segment_ptr 1
		.amdhsa_user_sgpr_dispatch_id 0
		.amdhsa_user_sgpr_kernarg_preload_length 0
		.amdhsa_user_sgpr_kernarg_preload_offset 0
		.amdhsa_user_sgpr_private_segment_size 0
		.amdhsa_uses_dynamic_stack 0
		.amdhsa_enable_private_segment 0
		.amdhsa_system_sgpr_workgroup_id_x 1
		.amdhsa_system_sgpr_workgroup_id_y 0
		.amdhsa_system_sgpr_workgroup_id_z 0
		.amdhsa_system_sgpr_workgroup_info 0
		.amdhsa_system_vgpr_workitem_id 0
		.amdhsa_next_free_vgpr 1
		.amdhsa_next_free_sgpr 0
		.amdhsa_accum_offset 4
		.amdhsa_reserve_vcc 0
		.amdhsa_float_round_mode_32 0
		.amdhsa_float_round_mode_16_64 0
		.amdhsa_float_denorm_mode_32 3
		.amdhsa_float_denorm_mode_16_64 3
		.amdhsa_dx10_clamp 1
		.amdhsa_ieee_mode 1
		.amdhsa_fp16_overflow 0
		.amdhsa_tg_split 0
		.amdhsa_exception_fp_ieee_invalid_op 0
		.amdhsa_exception_fp_denorm_src 0
		.amdhsa_exception_fp_ieee_div_zero 0
		.amdhsa_exception_fp_ieee_overflow 0
		.amdhsa_exception_fp_ieee_underflow 0
		.amdhsa_exception_fp_ieee_inexact 0
		.amdhsa_exception_int_div_zero 0
	.end_amdhsa_kernel
	.section	.text._ZN7rocprim17ROCPRIM_400000_NS6detail17trampoline_kernelINS0_14default_configENS1_25partition_config_selectorILNS1_17partition_subalgoE8ElNS0_10empty_typeEbEEZZNS1_14partition_implILS5_8ELb0ES3_jPlPS6_PKS6_NS0_5tupleIJS9_S6_EEENSD_IJSA_SA_EEENS0_18inequality_wrapperIZN2at6native12_GLOBAL__N_124unique_dim_cuda_templateIlEESt5tupleIJNSH_6TensorESM_SM_EERKSM_lbbbEUlllE0_EEPmJS6_EEE10hipError_tPvRmT3_T4_T5_T6_T7_T9_mT8_P12ihipStream_tbDpT10_ENKUlT_T0_E_clISt17integral_constantIbLb1EES1C_EEDaS17_S18_EUlS17_E_NS1_11comp_targetILNS1_3genE2ELNS1_11target_archE906ELNS1_3gpuE6ELNS1_3repE0EEENS1_30default_config_static_selectorELNS0_4arch9wavefront6targetE1EEEvT1_,"axG",@progbits,_ZN7rocprim17ROCPRIM_400000_NS6detail17trampoline_kernelINS0_14default_configENS1_25partition_config_selectorILNS1_17partition_subalgoE8ElNS0_10empty_typeEbEEZZNS1_14partition_implILS5_8ELb0ES3_jPlPS6_PKS6_NS0_5tupleIJS9_S6_EEENSD_IJSA_SA_EEENS0_18inequality_wrapperIZN2at6native12_GLOBAL__N_124unique_dim_cuda_templateIlEESt5tupleIJNSH_6TensorESM_SM_EERKSM_lbbbEUlllE0_EEPmJS6_EEE10hipError_tPvRmT3_T4_T5_T6_T7_T9_mT8_P12ihipStream_tbDpT10_ENKUlT_T0_E_clISt17integral_constantIbLb1EES1C_EEDaS17_S18_EUlS17_E_NS1_11comp_targetILNS1_3genE2ELNS1_11target_archE906ELNS1_3gpuE6ELNS1_3repE0EEENS1_30default_config_static_selectorELNS0_4arch9wavefront6targetE1EEEvT1_,comdat
.Lfunc_end579:
	.size	_ZN7rocprim17ROCPRIM_400000_NS6detail17trampoline_kernelINS0_14default_configENS1_25partition_config_selectorILNS1_17partition_subalgoE8ElNS0_10empty_typeEbEEZZNS1_14partition_implILS5_8ELb0ES3_jPlPS6_PKS6_NS0_5tupleIJS9_S6_EEENSD_IJSA_SA_EEENS0_18inequality_wrapperIZN2at6native12_GLOBAL__N_124unique_dim_cuda_templateIlEESt5tupleIJNSH_6TensorESM_SM_EERKSM_lbbbEUlllE0_EEPmJS6_EEE10hipError_tPvRmT3_T4_T5_T6_T7_T9_mT8_P12ihipStream_tbDpT10_ENKUlT_T0_E_clISt17integral_constantIbLb1EES1C_EEDaS17_S18_EUlS17_E_NS1_11comp_targetILNS1_3genE2ELNS1_11target_archE906ELNS1_3gpuE6ELNS1_3repE0EEENS1_30default_config_static_selectorELNS0_4arch9wavefront6targetE1EEEvT1_, .Lfunc_end579-_ZN7rocprim17ROCPRIM_400000_NS6detail17trampoline_kernelINS0_14default_configENS1_25partition_config_selectorILNS1_17partition_subalgoE8ElNS0_10empty_typeEbEEZZNS1_14partition_implILS5_8ELb0ES3_jPlPS6_PKS6_NS0_5tupleIJS9_S6_EEENSD_IJSA_SA_EEENS0_18inequality_wrapperIZN2at6native12_GLOBAL__N_124unique_dim_cuda_templateIlEESt5tupleIJNSH_6TensorESM_SM_EERKSM_lbbbEUlllE0_EEPmJS6_EEE10hipError_tPvRmT3_T4_T5_T6_T7_T9_mT8_P12ihipStream_tbDpT10_ENKUlT_T0_E_clISt17integral_constantIbLb1EES1C_EEDaS17_S18_EUlS17_E_NS1_11comp_targetILNS1_3genE2ELNS1_11target_archE906ELNS1_3gpuE6ELNS1_3repE0EEENS1_30default_config_static_selectorELNS0_4arch9wavefront6targetE1EEEvT1_
                                        ; -- End function
	.section	.AMDGPU.csdata,"",@progbits
; Kernel info:
; codeLenInByte = 0
; NumSgprs: 6
; NumVgprs: 0
; NumAgprs: 0
; TotalNumVgprs: 0
; ScratchSize: 0
; MemoryBound: 0
; FloatMode: 240
; IeeeMode: 1
; LDSByteSize: 0 bytes/workgroup (compile time only)
; SGPRBlocks: 0
; VGPRBlocks: 0
; NumSGPRsForWavesPerEU: 6
; NumVGPRsForWavesPerEU: 1
; AccumOffset: 4
; Occupancy: 8
; WaveLimiterHint : 0
; COMPUTE_PGM_RSRC2:SCRATCH_EN: 0
; COMPUTE_PGM_RSRC2:USER_SGPR: 2
; COMPUTE_PGM_RSRC2:TRAP_HANDLER: 0
; COMPUTE_PGM_RSRC2:TGID_X_EN: 1
; COMPUTE_PGM_RSRC2:TGID_Y_EN: 0
; COMPUTE_PGM_RSRC2:TGID_Z_EN: 0
; COMPUTE_PGM_RSRC2:TIDIG_COMP_CNT: 0
; COMPUTE_PGM_RSRC3_GFX90A:ACCUM_OFFSET: 0
; COMPUTE_PGM_RSRC3_GFX90A:TG_SPLIT: 0
	.section	.text._ZN7rocprim17ROCPRIM_400000_NS6detail17trampoline_kernelINS0_14default_configENS1_25partition_config_selectorILNS1_17partition_subalgoE8ElNS0_10empty_typeEbEEZZNS1_14partition_implILS5_8ELb0ES3_jPlPS6_PKS6_NS0_5tupleIJS9_S6_EEENSD_IJSA_SA_EEENS0_18inequality_wrapperIZN2at6native12_GLOBAL__N_124unique_dim_cuda_templateIlEESt5tupleIJNSH_6TensorESM_SM_EERKSM_lbbbEUlllE0_EEPmJS6_EEE10hipError_tPvRmT3_T4_T5_T6_T7_T9_mT8_P12ihipStream_tbDpT10_ENKUlT_T0_E_clISt17integral_constantIbLb1EES1C_EEDaS17_S18_EUlS17_E_NS1_11comp_targetILNS1_3genE10ELNS1_11target_archE1200ELNS1_3gpuE4ELNS1_3repE0EEENS1_30default_config_static_selectorELNS0_4arch9wavefront6targetE1EEEvT1_,"axG",@progbits,_ZN7rocprim17ROCPRIM_400000_NS6detail17trampoline_kernelINS0_14default_configENS1_25partition_config_selectorILNS1_17partition_subalgoE8ElNS0_10empty_typeEbEEZZNS1_14partition_implILS5_8ELb0ES3_jPlPS6_PKS6_NS0_5tupleIJS9_S6_EEENSD_IJSA_SA_EEENS0_18inequality_wrapperIZN2at6native12_GLOBAL__N_124unique_dim_cuda_templateIlEESt5tupleIJNSH_6TensorESM_SM_EERKSM_lbbbEUlllE0_EEPmJS6_EEE10hipError_tPvRmT3_T4_T5_T6_T7_T9_mT8_P12ihipStream_tbDpT10_ENKUlT_T0_E_clISt17integral_constantIbLb1EES1C_EEDaS17_S18_EUlS17_E_NS1_11comp_targetILNS1_3genE10ELNS1_11target_archE1200ELNS1_3gpuE4ELNS1_3repE0EEENS1_30default_config_static_selectorELNS0_4arch9wavefront6targetE1EEEvT1_,comdat
	.globl	_ZN7rocprim17ROCPRIM_400000_NS6detail17trampoline_kernelINS0_14default_configENS1_25partition_config_selectorILNS1_17partition_subalgoE8ElNS0_10empty_typeEbEEZZNS1_14partition_implILS5_8ELb0ES3_jPlPS6_PKS6_NS0_5tupleIJS9_S6_EEENSD_IJSA_SA_EEENS0_18inequality_wrapperIZN2at6native12_GLOBAL__N_124unique_dim_cuda_templateIlEESt5tupleIJNSH_6TensorESM_SM_EERKSM_lbbbEUlllE0_EEPmJS6_EEE10hipError_tPvRmT3_T4_T5_T6_T7_T9_mT8_P12ihipStream_tbDpT10_ENKUlT_T0_E_clISt17integral_constantIbLb1EES1C_EEDaS17_S18_EUlS17_E_NS1_11comp_targetILNS1_3genE10ELNS1_11target_archE1200ELNS1_3gpuE4ELNS1_3repE0EEENS1_30default_config_static_selectorELNS0_4arch9wavefront6targetE1EEEvT1_ ; -- Begin function _ZN7rocprim17ROCPRIM_400000_NS6detail17trampoline_kernelINS0_14default_configENS1_25partition_config_selectorILNS1_17partition_subalgoE8ElNS0_10empty_typeEbEEZZNS1_14partition_implILS5_8ELb0ES3_jPlPS6_PKS6_NS0_5tupleIJS9_S6_EEENSD_IJSA_SA_EEENS0_18inequality_wrapperIZN2at6native12_GLOBAL__N_124unique_dim_cuda_templateIlEESt5tupleIJNSH_6TensorESM_SM_EERKSM_lbbbEUlllE0_EEPmJS6_EEE10hipError_tPvRmT3_T4_T5_T6_T7_T9_mT8_P12ihipStream_tbDpT10_ENKUlT_T0_E_clISt17integral_constantIbLb1EES1C_EEDaS17_S18_EUlS17_E_NS1_11comp_targetILNS1_3genE10ELNS1_11target_archE1200ELNS1_3gpuE4ELNS1_3repE0EEENS1_30default_config_static_selectorELNS0_4arch9wavefront6targetE1EEEvT1_
	.p2align	8
	.type	_ZN7rocprim17ROCPRIM_400000_NS6detail17trampoline_kernelINS0_14default_configENS1_25partition_config_selectorILNS1_17partition_subalgoE8ElNS0_10empty_typeEbEEZZNS1_14partition_implILS5_8ELb0ES3_jPlPS6_PKS6_NS0_5tupleIJS9_S6_EEENSD_IJSA_SA_EEENS0_18inequality_wrapperIZN2at6native12_GLOBAL__N_124unique_dim_cuda_templateIlEESt5tupleIJNSH_6TensorESM_SM_EERKSM_lbbbEUlllE0_EEPmJS6_EEE10hipError_tPvRmT3_T4_T5_T6_T7_T9_mT8_P12ihipStream_tbDpT10_ENKUlT_T0_E_clISt17integral_constantIbLb1EES1C_EEDaS17_S18_EUlS17_E_NS1_11comp_targetILNS1_3genE10ELNS1_11target_archE1200ELNS1_3gpuE4ELNS1_3repE0EEENS1_30default_config_static_selectorELNS0_4arch9wavefront6targetE1EEEvT1_,@function
_ZN7rocprim17ROCPRIM_400000_NS6detail17trampoline_kernelINS0_14default_configENS1_25partition_config_selectorILNS1_17partition_subalgoE8ElNS0_10empty_typeEbEEZZNS1_14partition_implILS5_8ELb0ES3_jPlPS6_PKS6_NS0_5tupleIJS9_S6_EEENSD_IJSA_SA_EEENS0_18inequality_wrapperIZN2at6native12_GLOBAL__N_124unique_dim_cuda_templateIlEESt5tupleIJNSH_6TensorESM_SM_EERKSM_lbbbEUlllE0_EEPmJS6_EEE10hipError_tPvRmT3_T4_T5_T6_T7_T9_mT8_P12ihipStream_tbDpT10_ENKUlT_T0_E_clISt17integral_constantIbLb1EES1C_EEDaS17_S18_EUlS17_E_NS1_11comp_targetILNS1_3genE10ELNS1_11target_archE1200ELNS1_3gpuE4ELNS1_3repE0EEENS1_30default_config_static_selectorELNS0_4arch9wavefront6targetE1EEEvT1_: ; @_ZN7rocprim17ROCPRIM_400000_NS6detail17trampoline_kernelINS0_14default_configENS1_25partition_config_selectorILNS1_17partition_subalgoE8ElNS0_10empty_typeEbEEZZNS1_14partition_implILS5_8ELb0ES3_jPlPS6_PKS6_NS0_5tupleIJS9_S6_EEENSD_IJSA_SA_EEENS0_18inequality_wrapperIZN2at6native12_GLOBAL__N_124unique_dim_cuda_templateIlEESt5tupleIJNSH_6TensorESM_SM_EERKSM_lbbbEUlllE0_EEPmJS6_EEE10hipError_tPvRmT3_T4_T5_T6_T7_T9_mT8_P12ihipStream_tbDpT10_ENKUlT_T0_E_clISt17integral_constantIbLb1EES1C_EEDaS17_S18_EUlS17_E_NS1_11comp_targetILNS1_3genE10ELNS1_11target_archE1200ELNS1_3gpuE4ELNS1_3repE0EEENS1_30default_config_static_selectorELNS0_4arch9wavefront6targetE1EEEvT1_
; %bb.0:
	.section	.rodata,"a",@progbits
	.p2align	6, 0x0
	.amdhsa_kernel _ZN7rocprim17ROCPRIM_400000_NS6detail17trampoline_kernelINS0_14default_configENS1_25partition_config_selectorILNS1_17partition_subalgoE8ElNS0_10empty_typeEbEEZZNS1_14partition_implILS5_8ELb0ES3_jPlPS6_PKS6_NS0_5tupleIJS9_S6_EEENSD_IJSA_SA_EEENS0_18inequality_wrapperIZN2at6native12_GLOBAL__N_124unique_dim_cuda_templateIlEESt5tupleIJNSH_6TensorESM_SM_EERKSM_lbbbEUlllE0_EEPmJS6_EEE10hipError_tPvRmT3_T4_T5_T6_T7_T9_mT8_P12ihipStream_tbDpT10_ENKUlT_T0_E_clISt17integral_constantIbLb1EES1C_EEDaS17_S18_EUlS17_E_NS1_11comp_targetILNS1_3genE10ELNS1_11target_archE1200ELNS1_3gpuE4ELNS1_3repE0EEENS1_30default_config_static_selectorELNS0_4arch9wavefront6targetE1EEEvT1_
		.amdhsa_group_segment_fixed_size 0
		.amdhsa_private_segment_fixed_size 0
		.amdhsa_kernarg_size 136
		.amdhsa_user_sgpr_count 2
		.amdhsa_user_sgpr_dispatch_ptr 0
		.amdhsa_user_sgpr_queue_ptr 0
		.amdhsa_user_sgpr_kernarg_segment_ptr 1
		.amdhsa_user_sgpr_dispatch_id 0
		.amdhsa_user_sgpr_kernarg_preload_length 0
		.amdhsa_user_sgpr_kernarg_preload_offset 0
		.amdhsa_user_sgpr_private_segment_size 0
		.amdhsa_uses_dynamic_stack 0
		.amdhsa_enable_private_segment 0
		.amdhsa_system_sgpr_workgroup_id_x 1
		.amdhsa_system_sgpr_workgroup_id_y 0
		.amdhsa_system_sgpr_workgroup_id_z 0
		.amdhsa_system_sgpr_workgroup_info 0
		.amdhsa_system_vgpr_workitem_id 0
		.amdhsa_next_free_vgpr 1
		.amdhsa_next_free_sgpr 0
		.amdhsa_accum_offset 4
		.amdhsa_reserve_vcc 0
		.amdhsa_float_round_mode_32 0
		.amdhsa_float_round_mode_16_64 0
		.amdhsa_float_denorm_mode_32 3
		.amdhsa_float_denorm_mode_16_64 3
		.amdhsa_dx10_clamp 1
		.amdhsa_ieee_mode 1
		.amdhsa_fp16_overflow 0
		.amdhsa_tg_split 0
		.amdhsa_exception_fp_ieee_invalid_op 0
		.amdhsa_exception_fp_denorm_src 0
		.amdhsa_exception_fp_ieee_div_zero 0
		.amdhsa_exception_fp_ieee_overflow 0
		.amdhsa_exception_fp_ieee_underflow 0
		.amdhsa_exception_fp_ieee_inexact 0
		.amdhsa_exception_int_div_zero 0
	.end_amdhsa_kernel
	.section	.text._ZN7rocprim17ROCPRIM_400000_NS6detail17trampoline_kernelINS0_14default_configENS1_25partition_config_selectorILNS1_17partition_subalgoE8ElNS0_10empty_typeEbEEZZNS1_14partition_implILS5_8ELb0ES3_jPlPS6_PKS6_NS0_5tupleIJS9_S6_EEENSD_IJSA_SA_EEENS0_18inequality_wrapperIZN2at6native12_GLOBAL__N_124unique_dim_cuda_templateIlEESt5tupleIJNSH_6TensorESM_SM_EERKSM_lbbbEUlllE0_EEPmJS6_EEE10hipError_tPvRmT3_T4_T5_T6_T7_T9_mT8_P12ihipStream_tbDpT10_ENKUlT_T0_E_clISt17integral_constantIbLb1EES1C_EEDaS17_S18_EUlS17_E_NS1_11comp_targetILNS1_3genE10ELNS1_11target_archE1200ELNS1_3gpuE4ELNS1_3repE0EEENS1_30default_config_static_selectorELNS0_4arch9wavefront6targetE1EEEvT1_,"axG",@progbits,_ZN7rocprim17ROCPRIM_400000_NS6detail17trampoline_kernelINS0_14default_configENS1_25partition_config_selectorILNS1_17partition_subalgoE8ElNS0_10empty_typeEbEEZZNS1_14partition_implILS5_8ELb0ES3_jPlPS6_PKS6_NS0_5tupleIJS9_S6_EEENSD_IJSA_SA_EEENS0_18inequality_wrapperIZN2at6native12_GLOBAL__N_124unique_dim_cuda_templateIlEESt5tupleIJNSH_6TensorESM_SM_EERKSM_lbbbEUlllE0_EEPmJS6_EEE10hipError_tPvRmT3_T4_T5_T6_T7_T9_mT8_P12ihipStream_tbDpT10_ENKUlT_T0_E_clISt17integral_constantIbLb1EES1C_EEDaS17_S18_EUlS17_E_NS1_11comp_targetILNS1_3genE10ELNS1_11target_archE1200ELNS1_3gpuE4ELNS1_3repE0EEENS1_30default_config_static_selectorELNS0_4arch9wavefront6targetE1EEEvT1_,comdat
.Lfunc_end580:
	.size	_ZN7rocprim17ROCPRIM_400000_NS6detail17trampoline_kernelINS0_14default_configENS1_25partition_config_selectorILNS1_17partition_subalgoE8ElNS0_10empty_typeEbEEZZNS1_14partition_implILS5_8ELb0ES3_jPlPS6_PKS6_NS0_5tupleIJS9_S6_EEENSD_IJSA_SA_EEENS0_18inequality_wrapperIZN2at6native12_GLOBAL__N_124unique_dim_cuda_templateIlEESt5tupleIJNSH_6TensorESM_SM_EERKSM_lbbbEUlllE0_EEPmJS6_EEE10hipError_tPvRmT3_T4_T5_T6_T7_T9_mT8_P12ihipStream_tbDpT10_ENKUlT_T0_E_clISt17integral_constantIbLb1EES1C_EEDaS17_S18_EUlS17_E_NS1_11comp_targetILNS1_3genE10ELNS1_11target_archE1200ELNS1_3gpuE4ELNS1_3repE0EEENS1_30default_config_static_selectorELNS0_4arch9wavefront6targetE1EEEvT1_, .Lfunc_end580-_ZN7rocprim17ROCPRIM_400000_NS6detail17trampoline_kernelINS0_14default_configENS1_25partition_config_selectorILNS1_17partition_subalgoE8ElNS0_10empty_typeEbEEZZNS1_14partition_implILS5_8ELb0ES3_jPlPS6_PKS6_NS0_5tupleIJS9_S6_EEENSD_IJSA_SA_EEENS0_18inequality_wrapperIZN2at6native12_GLOBAL__N_124unique_dim_cuda_templateIlEESt5tupleIJNSH_6TensorESM_SM_EERKSM_lbbbEUlllE0_EEPmJS6_EEE10hipError_tPvRmT3_T4_T5_T6_T7_T9_mT8_P12ihipStream_tbDpT10_ENKUlT_T0_E_clISt17integral_constantIbLb1EES1C_EEDaS17_S18_EUlS17_E_NS1_11comp_targetILNS1_3genE10ELNS1_11target_archE1200ELNS1_3gpuE4ELNS1_3repE0EEENS1_30default_config_static_selectorELNS0_4arch9wavefront6targetE1EEEvT1_
                                        ; -- End function
	.section	.AMDGPU.csdata,"",@progbits
; Kernel info:
; codeLenInByte = 0
; NumSgprs: 6
; NumVgprs: 0
; NumAgprs: 0
; TotalNumVgprs: 0
; ScratchSize: 0
; MemoryBound: 0
; FloatMode: 240
; IeeeMode: 1
; LDSByteSize: 0 bytes/workgroup (compile time only)
; SGPRBlocks: 0
; VGPRBlocks: 0
; NumSGPRsForWavesPerEU: 6
; NumVGPRsForWavesPerEU: 1
; AccumOffset: 4
; Occupancy: 8
; WaveLimiterHint : 0
; COMPUTE_PGM_RSRC2:SCRATCH_EN: 0
; COMPUTE_PGM_RSRC2:USER_SGPR: 2
; COMPUTE_PGM_RSRC2:TRAP_HANDLER: 0
; COMPUTE_PGM_RSRC2:TGID_X_EN: 1
; COMPUTE_PGM_RSRC2:TGID_Y_EN: 0
; COMPUTE_PGM_RSRC2:TGID_Z_EN: 0
; COMPUTE_PGM_RSRC2:TIDIG_COMP_CNT: 0
; COMPUTE_PGM_RSRC3_GFX90A:ACCUM_OFFSET: 0
; COMPUTE_PGM_RSRC3_GFX90A:TG_SPLIT: 0
	.section	.text._ZN7rocprim17ROCPRIM_400000_NS6detail17trampoline_kernelINS0_14default_configENS1_25partition_config_selectorILNS1_17partition_subalgoE8ElNS0_10empty_typeEbEEZZNS1_14partition_implILS5_8ELb0ES3_jPlPS6_PKS6_NS0_5tupleIJS9_S6_EEENSD_IJSA_SA_EEENS0_18inequality_wrapperIZN2at6native12_GLOBAL__N_124unique_dim_cuda_templateIlEESt5tupleIJNSH_6TensorESM_SM_EERKSM_lbbbEUlllE0_EEPmJS6_EEE10hipError_tPvRmT3_T4_T5_T6_T7_T9_mT8_P12ihipStream_tbDpT10_ENKUlT_T0_E_clISt17integral_constantIbLb1EES1C_EEDaS17_S18_EUlS17_E_NS1_11comp_targetILNS1_3genE9ELNS1_11target_archE1100ELNS1_3gpuE3ELNS1_3repE0EEENS1_30default_config_static_selectorELNS0_4arch9wavefront6targetE1EEEvT1_,"axG",@progbits,_ZN7rocprim17ROCPRIM_400000_NS6detail17trampoline_kernelINS0_14default_configENS1_25partition_config_selectorILNS1_17partition_subalgoE8ElNS0_10empty_typeEbEEZZNS1_14partition_implILS5_8ELb0ES3_jPlPS6_PKS6_NS0_5tupleIJS9_S6_EEENSD_IJSA_SA_EEENS0_18inequality_wrapperIZN2at6native12_GLOBAL__N_124unique_dim_cuda_templateIlEESt5tupleIJNSH_6TensorESM_SM_EERKSM_lbbbEUlllE0_EEPmJS6_EEE10hipError_tPvRmT3_T4_T5_T6_T7_T9_mT8_P12ihipStream_tbDpT10_ENKUlT_T0_E_clISt17integral_constantIbLb1EES1C_EEDaS17_S18_EUlS17_E_NS1_11comp_targetILNS1_3genE9ELNS1_11target_archE1100ELNS1_3gpuE3ELNS1_3repE0EEENS1_30default_config_static_selectorELNS0_4arch9wavefront6targetE1EEEvT1_,comdat
	.globl	_ZN7rocprim17ROCPRIM_400000_NS6detail17trampoline_kernelINS0_14default_configENS1_25partition_config_selectorILNS1_17partition_subalgoE8ElNS0_10empty_typeEbEEZZNS1_14partition_implILS5_8ELb0ES3_jPlPS6_PKS6_NS0_5tupleIJS9_S6_EEENSD_IJSA_SA_EEENS0_18inequality_wrapperIZN2at6native12_GLOBAL__N_124unique_dim_cuda_templateIlEESt5tupleIJNSH_6TensorESM_SM_EERKSM_lbbbEUlllE0_EEPmJS6_EEE10hipError_tPvRmT3_T4_T5_T6_T7_T9_mT8_P12ihipStream_tbDpT10_ENKUlT_T0_E_clISt17integral_constantIbLb1EES1C_EEDaS17_S18_EUlS17_E_NS1_11comp_targetILNS1_3genE9ELNS1_11target_archE1100ELNS1_3gpuE3ELNS1_3repE0EEENS1_30default_config_static_selectorELNS0_4arch9wavefront6targetE1EEEvT1_ ; -- Begin function _ZN7rocprim17ROCPRIM_400000_NS6detail17trampoline_kernelINS0_14default_configENS1_25partition_config_selectorILNS1_17partition_subalgoE8ElNS0_10empty_typeEbEEZZNS1_14partition_implILS5_8ELb0ES3_jPlPS6_PKS6_NS0_5tupleIJS9_S6_EEENSD_IJSA_SA_EEENS0_18inequality_wrapperIZN2at6native12_GLOBAL__N_124unique_dim_cuda_templateIlEESt5tupleIJNSH_6TensorESM_SM_EERKSM_lbbbEUlllE0_EEPmJS6_EEE10hipError_tPvRmT3_T4_T5_T6_T7_T9_mT8_P12ihipStream_tbDpT10_ENKUlT_T0_E_clISt17integral_constantIbLb1EES1C_EEDaS17_S18_EUlS17_E_NS1_11comp_targetILNS1_3genE9ELNS1_11target_archE1100ELNS1_3gpuE3ELNS1_3repE0EEENS1_30default_config_static_selectorELNS0_4arch9wavefront6targetE1EEEvT1_
	.p2align	8
	.type	_ZN7rocprim17ROCPRIM_400000_NS6detail17trampoline_kernelINS0_14default_configENS1_25partition_config_selectorILNS1_17partition_subalgoE8ElNS0_10empty_typeEbEEZZNS1_14partition_implILS5_8ELb0ES3_jPlPS6_PKS6_NS0_5tupleIJS9_S6_EEENSD_IJSA_SA_EEENS0_18inequality_wrapperIZN2at6native12_GLOBAL__N_124unique_dim_cuda_templateIlEESt5tupleIJNSH_6TensorESM_SM_EERKSM_lbbbEUlllE0_EEPmJS6_EEE10hipError_tPvRmT3_T4_T5_T6_T7_T9_mT8_P12ihipStream_tbDpT10_ENKUlT_T0_E_clISt17integral_constantIbLb1EES1C_EEDaS17_S18_EUlS17_E_NS1_11comp_targetILNS1_3genE9ELNS1_11target_archE1100ELNS1_3gpuE3ELNS1_3repE0EEENS1_30default_config_static_selectorELNS0_4arch9wavefront6targetE1EEEvT1_,@function
_ZN7rocprim17ROCPRIM_400000_NS6detail17trampoline_kernelINS0_14default_configENS1_25partition_config_selectorILNS1_17partition_subalgoE8ElNS0_10empty_typeEbEEZZNS1_14partition_implILS5_8ELb0ES3_jPlPS6_PKS6_NS0_5tupleIJS9_S6_EEENSD_IJSA_SA_EEENS0_18inequality_wrapperIZN2at6native12_GLOBAL__N_124unique_dim_cuda_templateIlEESt5tupleIJNSH_6TensorESM_SM_EERKSM_lbbbEUlllE0_EEPmJS6_EEE10hipError_tPvRmT3_T4_T5_T6_T7_T9_mT8_P12ihipStream_tbDpT10_ENKUlT_T0_E_clISt17integral_constantIbLb1EES1C_EEDaS17_S18_EUlS17_E_NS1_11comp_targetILNS1_3genE9ELNS1_11target_archE1100ELNS1_3gpuE3ELNS1_3repE0EEENS1_30default_config_static_selectorELNS0_4arch9wavefront6targetE1EEEvT1_: ; @_ZN7rocprim17ROCPRIM_400000_NS6detail17trampoline_kernelINS0_14default_configENS1_25partition_config_selectorILNS1_17partition_subalgoE8ElNS0_10empty_typeEbEEZZNS1_14partition_implILS5_8ELb0ES3_jPlPS6_PKS6_NS0_5tupleIJS9_S6_EEENSD_IJSA_SA_EEENS0_18inequality_wrapperIZN2at6native12_GLOBAL__N_124unique_dim_cuda_templateIlEESt5tupleIJNSH_6TensorESM_SM_EERKSM_lbbbEUlllE0_EEPmJS6_EEE10hipError_tPvRmT3_T4_T5_T6_T7_T9_mT8_P12ihipStream_tbDpT10_ENKUlT_T0_E_clISt17integral_constantIbLb1EES1C_EEDaS17_S18_EUlS17_E_NS1_11comp_targetILNS1_3genE9ELNS1_11target_archE1100ELNS1_3gpuE3ELNS1_3repE0EEENS1_30default_config_static_selectorELNS0_4arch9wavefront6targetE1EEEvT1_
; %bb.0:
	.section	.rodata,"a",@progbits
	.p2align	6, 0x0
	.amdhsa_kernel _ZN7rocprim17ROCPRIM_400000_NS6detail17trampoline_kernelINS0_14default_configENS1_25partition_config_selectorILNS1_17partition_subalgoE8ElNS0_10empty_typeEbEEZZNS1_14partition_implILS5_8ELb0ES3_jPlPS6_PKS6_NS0_5tupleIJS9_S6_EEENSD_IJSA_SA_EEENS0_18inequality_wrapperIZN2at6native12_GLOBAL__N_124unique_dim_cuda_templateIlEESt5tupleIJNSH_6TensorESM_SM_EERKSM_lbbbEUlllE0_EEPmJS6_EEE10hipError_tPvRmT3_T4_T5_T6_T7_T9_mT8_P12ihipStream_tbDpT10_ENKUlT_T0_E_clISt17integral_constantIbLb1EES1C_EEDaS17_S18_EUlS17_E_NS1_11comp_targetILNS1_3genE9ELNS1_11target_archE1100ELNS1_3gpuE3ELNS1_3repE0EEENS1_30default_config_static_selectorELNS0_4arch9wavefront6targetE1EEEvT1_
		.amdhsa_group_segment_fixed_size 0
		.amdhsa_private_segment_fixed_size 0
		.amdhsa_kernarg_size 136
		.amdhsa_user_sgpr_count 2
		.amdhsa_user_sgpr_dispatch_ptr 0
		.amdhsa_user_sgpr_queue_ptr 0
		.amdhsa_user_sgpr_kernarg_segment_ptr 1
		.amdhsa_user_sgpr_dispatch_id 0
		.amdhsa_user_sgpr_kernarg_preload_length 0
		.amdhsa_user_sgpr_kernarg_preload_offset 0
		.amdhsa_user_sgpr_private_segment_size 0
		.amdhsa_uses_dynamic_stack 0
		.amdhsa_enable_private_segment 0
		.amdhsa_system_sgpr_workgroup_id_x 1
		.amdhsa_system_sgpr_workgroup_id_y 0
		.amdhsa_system_sgpr_workgroup_id_z 0
		.amdhsa_system_sgpr_workgroup_info 0
		.amdhsa_system_vgpr_workitem_id 0
		.amdhsa_next_free_vgpr 1
		.amdhsa_next_free_sgpr 0
		.amdhsa_accum_offset 4
		.amdhsa_reserve_vcc 0
		.amdhsa_float_round_mode_32 0
		.amdhsa_float_round_mode_16_64 0
		.amdhsa_float_denorm_mode_32 3
		.amdhsa_float_denorm_mode_16_64 3
		.amdhsa_dx10_clamp 1
		.amdhsa_ieee_mode 1
		.amdhsa_fp16_overflow 0
		.amdhsa_tg_split 0
		.amdhsa_exception_fp_ieee_invalid_op 0
		.amdhsa_exception_fp_denorm_src 0
		.amdhsa_exception_fp_ieee_div_zero 0
		.amdhsa_exception_fp_ieee_overflow 0
		.amdhsa_exception_fp_ieee_underflow 0
		.amdhsa_exception_fp_ieee_inexact 0
		.amdhsa_exception_int_div_zero 0
	.end_amdhsa_kernel
	.section	.text._ZN7rocprim17ROCPRIM_400000_NS6detail17trampoline_kernelINS0_14default_configENS1_25partition_config_selectorILNS1_17partition_subalgoE8ElNS0_10empty_typeEbEEZZNS1_14partition_implILS5_8ELb0ES3_jPlPS6_PKS6_NS0_5tupleIJS9_S6_EEENSD_IJSA_SA_EEENS0_18inequality_wrapperIZN2at6native12_GLOBAL__N_124unique_dim_cuda_templateIlEESt5tupleIJNSH_6TensorESM_SM_EERKSM_lbbbEUlllE0_EEPmJS6_EEE10hipError_tPvRmT3_T4_T5_T6_T7_T9_mT8_P12ihipStream_tbDpT10_ENKUlT_T0_E_clISt17integral_constantIbLb1EES1C_EEDaS17_S18_EUlS17_E_NS1_11comp_targetILNS1_3genE9ELNS1_11target_archE1100ELNS1_3gpuE3ELNS1_3repE0EEENS1_30default_config_static_selectorELNS0_4arch9wavefront6targetE1EEEvT1_,"axG",@progbits,_ZN7rocprim17ROCPRIM_400000_NS6detail17trampoline_kernelINS0_14default_configENS1_25partition_config_selectorILNS1_17partition_subalgoE8ElNS0_10empty_typeEbEEZZNS1_14partition_implILS5_8ELb0ES3_jPlPS6_PKS6_NS0_5tupleIJS9_S6_EEENSD_IJSA_SA_EEENS0_18inequality_wrapperIZN2at6native12_GLOBAL__N_124unique_dim_cuda_templateIlEESt5tupleIJNSH_6TensorESM_SM_EERKSM_lbbbEUlllE0_EEPmJS6_EEE10hipError_tPvRmT3_T4_T5_T6_T7_T9_mT8_P12ihipStream_tbDpT10_ENKUlT_T0_E_clISt17integral_constantIbLb1EES1C_EEDaS17_S18_EUlS17_E_NS1_11comp_targetILNS1_3genE9ELNS1_11target_archE1100ELNS1_3gpuE3ELNS1_3repE0EEENS1_30default_config_static_selectorELNS0_4arch9wavefront6targetE1EEEvT1_,comdat
.Lfunc_end581:
	.size	_ZN7rocprim17ROCPRIM_400000_NS6detail17trampoline_kernelINS0_14default_configENS1_25partition_config_selectorILNS1_17partition_subalgoE8ElNS0_10empty_typeEbEEZZNS1_14partition_implILS5_8ELb0ES3_jPlPS6_PKS6_NS0_5tupleIJS9_S6_EEENSD_IJSA_SA_EEENS0_18inequality_wrapperIZN2at6native12_GLOBAL__N_124unique_dim_cuda_templateIlEESt5tupleIJNSH_6TensorESM_SM_EERKSM_lbbbEUlllE0_EEPmJS6_EEE10hipError_tPvRmT3_T4_T5_T6_T7_T9_mT8_P12ihipStream_tbDpT10_ENKUlT_T0_E_clISt17integral_constantIbLb1EES1C_EEDaS17_S18_EUlS17_E_NS1_11comp_targetILNS1_3genE9ELNS1_11target_archE1100ELNS1_3gpuE3ELNS1_3repE0EEENS1_30default_config_static_selectorELNS0_4arch9wavefront6targetE1EEEvT1_, .Lfunc_end581-_ZN7rocprim17ROCPRIM_400000_NS6detail17trampoline_kernelINS0_14default_configENS1_25partition_config_selectorILNS1_17partition_subalgoE8ElNS0_10empty_typeEbEEZZNS1_14partition_implILS5_8ELb0ES3_jPlPS6_PKS6_NS0_5tupleIJS9_S6_EEENSD_IJSA_SA_EEENS0_18inequality_wrapperIZN2at6native12_GLOBAL__N_124unique_dim_cuda_templateIlEESt5tupleIJNSH_6TensorESM_SM_EERKSM_lbbbEUlllE0_EEPmJS6_EEE10hipError_tPvRmT3_T4_T5_T6_T7_T9_mT8_P12ihipStream_tbDpT10_ENKUlT_T0_E_clISt17integral_constantIbLb1EES1C_EEDaS17_S18_EUlS17_E_NS1_11comp_targetILNS1_3genE9ELNS1_11target_archE1100ELNS1_3gpuE3ELNS1_3repE0EEENS1_30default_config_static_selectorELNS0_4arch9wavefront6targetE1EEEvT1_
                                        ; -- End function
	.section	.AMDGPU.csdata,"",@progbits
; Kernel info:
; codeLenInByte = 0
; NumSgprs: 6
; NumVgprs: 0
; NumAgprs: 0
; TotalNumVgprs: 0
; ScratchSize: 0
; MemoryBound: 0
; FloatMode: 240
; IeeeMode: 1
; LDSByteSize: 0 bytes/workgroup (compile time only)
; SGPRBlocks: 0
; VGPRBlocks: 0
; NumSGPRsForWavesPerEU: 6
; NumVGPRsForWavesPerEU: 1
; AccumOffset: 4
; Occupancy: 8
; WaveLimiterHint : 0
; COMPUTE_PGM_RSRC2:SCRATCH_EN: 0
; COMPUTE_PGM_RSRC2:USER_SGPR: 2
; COMPUTE_PGM_RSRC2:TRAP_HANDLER: 0
; COMPUTE_PGM_RSRC2:TGID_X_EN: 1
; COMPUTE_PGM_RSRC2:TGID_Y_EN: 0
; COMPUTE_PGM_RSRC2:TGID_Z_EN: 0
; COMPUTE_PGM_RSRC2:TIDIG_COMP_CNT: 0
; COMPUTE_PGM_RSRC3_GFX90A:ACCUM_OFFSET: 0
; COMPUTE_PGM_RSRC3_GFX90A:TG_SPLIT: 0
	.section	.text._ZN7rocprim17ROCPRIM_400000_NS6detail17trampoline_kernelINS0_14default_configENS1_25partition_config_selectorILNS1_17partition_subalgoE8ElNS0_10empty_typeEbEEZZNS1_14partition_implILS5_8ELb0ES3_jPlPS6_PKS6_NS0_5tupleIJS9_S6_EEENSD_IJSA_SA_EEENS0_18inequality_wrapperIZN2at6native12_GLOBAL__N_124unique_dim_cuda_templateIlEESt5tupleIJNSH_6TensorESM_SM_EERKSM_lbbbEUlllE0_EEPmJS6_EEE10hipError_tPvRmT3_T4_T5_T6_T7_T9_mT8_P12ihipStream_tbDpT10_ENKUlT_T0_E_clISt17integral_constantIbLb1EES1C_EEDaS17_S18_EUlS17_E_NS1_11comp_targetILNS1_3genE8ELNS1_11target_archE1030ELNS1_3gpuE2ELNS1_3repE0EEENS1_30default_config_static_selectorELNS0_4arch9wavefront6targetE1EEEvT1_,"axG",@progbits,_ZN7rocprim17ROCPRIM_400000_NS6detail17trampoline_kernelINS0_14default_configENS1_25partition_config_selectorILNS1_17partition_subalgoE8ElNS0_10empty_typeEbEEZZNS1_14partition_implILS5_8ELb0ES3_jPlPS6_PKS6_NS0_5tupleIJS9_S6_EEENSD_IJSA_SA_EEENS0_18inequality_wrapperIZN2at6native12_GLOBAL__N_124unique_dim_cuda_templateIlEESt5tupleIJNSH_6TensorESM_SM_EERKSM_lbbbEUlllE0_EEPmJS6_EEE10hipError_tPvRmT3_T4_T5_T6_T7_T9_mT8_P12ihipStream_tbDpT10_ENKUlT_T0_E_clISt17integral_constantIbLb1EES1C_EEDaS17_S18_EUlS17_E_NS1_11comp_targetILNS1_3genE8ELNS1_11target_archE1030ELNS1_3gpuE2ELNS1_3repE0EEENS1_30default_config_static_selectorELNS0_4arch9wavefront6targetE1EEEvT1_,comdat
	.globl	_ZN7rocprim17ROCPRIM_400000_NS6detail17trampoline_kernelINS0_14default_configENS1_25partition_config_selectorILNS1_17partition_subalgoE8ElNS0_10empty_typeEbEEZZNS1_14partition_implILS5_8ELb0ES3_jPlPS6_PKS6_NS0_5tupleIJS9_S6_EEENSD_IJSA_SA_EEENS0_18inequality_wrapperIZN2at6native12_GLOBAL__N_124unique_dim_cuda_templateIlEESt5tupleIJNSH_6TensorESM_SM_EERKSM_lbbbEUlllE0_EEPmJS6_EEE10hipError_tPvRmT3_T4_T5_T6_T7_T9_mT8_P12ihipStream_tbDpT10_ENKUlT_T0_E_clISt17integral_constantIbLb1EES1C_EEDaS17_S18_EUlS17_E_NS1_11comp_targetILNS1_3genE8ELNS1_11target_archE1030ELNS1_3gpuE2ELNS1_3repE0EEENS1_30default_config_static_selectorELNS0_4arch9wavefront6targetE1EEEvT1_ ; -- Begin function _ZN7rocprim17ROCPRIM_400000_NS6detail17trampoline_kernelINS0_14default_configENS1_25partition_config_selectorILNS1_17partition_subalgoE8ElNS0_10empty_typeEbEEZZNS1_14partition_implILS5_8ELb0ES3_jPlPS6_PKS6_NS0_5tupleIJS9_S6_EEENSD_IJSA_SA_EEENS0_18inequality_wrapperIZN2at6native12_GLOBAL__N_124unique_dim_cuda_templateIlEESt5tupleIJNSH_6TensorESM_SM_EERKSM_lbbbEUlllE0_EEPmJS6_EEE10hipError_tPvRmT3_T4_T5_T6_T7_T9_mT8_P12ihipStream_tbDpT10_ENKUlT_T0_E_clISt17integral_constantIbLb1EES1C_EEDaS17_S18_EUlS17_E_NS1_11comp_targetILNS1_3genE8ELNS1_11target_archE1030ELNS1_3gpuE2ELNS1_3repE0EEENS1_30default_config_static_selectorELNS0_4arch9wavefront6targetE1EEEvT1_
	.p2align	8
	.type	_ZN7rocprim17ROCPRIM_400000_NS6detail17trampoline_kernelINS0_14default_configENS1_25partition_config_selectorILNS1_17partition_subalgoE8ElNS0_10empty_typeEbEEZZNS1_14partition_implILS5_8ELb0ES3_jPlPS6_PKS6_NS0_5tupleIJS9_S6_EEENSD_IJSA_SA_EEENS0_18inequality_wrapperIZN2at6native12_GLOBAL__N_124unique_dim_cuda_templateIlEESt5tupleIJNSH_6TensorESM_SM_EERKSM_lbbbEUlllE0_EEPmJS6_EEE10hipError_tPvRmT3_T4_T5_T6_T7_T9_mT8_P12ihipStream_tbDpT10_ENKUlT_T0_E_clISt17integral_constantIbLb1EES1C_EEDaS17_S18_EUlS17_E_NS1_11comp_targetILNS1_3genE8ELNS1_11target_archE1030ELNS1_3gpuE2ELNS1_3repE0EEENS1_30default_config_static_selectorELNS0_4arch9wavefront6targetE1EEEvT1_,@function
_ZN7rocprim17ROCPRIM_400000_NS6detail17trampoline_kernelINS0_14default_configENS1_25partition_config_selectorILNS1_17partition_subalgoE8ElNS0_10empty_typeEbEEZZNS1_14partition_implILS5_8ELb0ES3_jPlPS6_PKS6_NS0_5tupleIJS9_S6_EEENSD_IJSA_SA_EEENS0_18inequality_wrapperIZN2at6native12_GLOBAL__N_124unique_dim_cuda_templateIlEESt5tupleIJNSH_6TensorESM_SM_EERKSM_lbbbEUlllE0_EEPmJS6_EEE10hipError_tPvRmT3_T4_T5_T6_T7_T9_mT8_P12ihipStream_tbDpT10_ENKUlT_T0_E_clISt17integral_constantIbLb1EES1C_EEDaS17_S18_EUlS17_E_NS1_11comp_targetILNS1_3genE8ELNS1_11target_archE1030ELNS1_3gpuE2ELNS1_3repE0EEENS1_30default_config_static_selectorELNS0_4arch9wavefront6targetE1EEEvT1_: ; @_ZN7rocprim17ROCPRIM_400000_NS6detail17trampoline_kernelINS0_14default_configENS1_25partition_config_selectorILNS1_17partition_subalgoE8ElNS0_10empty_typeEbEEZZNS1_14partition_implILS5_8ELb0ES3_jPlPS6_PKS6_NS0_5tupleIJS9_S6_EEENSD_IJSA_SA_EEENS0_18inequality_wrapperIZN2at6native12_GLOBAL__N_124unique_dim_cuda_templateIlEESt5tupleIJNSH_6TensorESM_SM_EERKSM_lbbbEUlllE0_EEPmJS6_EEE10hipError_tPvRmT3_T4_T5_T6_T7_T9_mT8_P12ihipStream_tbDpT10_ENKUlT_T0_E_clISt17integral_constantIbLb1EES1C_EEDaS17_S18_EUlS17_E_NS1_11comp_targetILNS1_3genE8ELNS1_11target_archE1030ELNS1_3gpuE2ELNS1_3repE0EEENS1_30default_config_static_selectorELNS0_4arch9wavefront6targetE1EEEvT1_
; %bb.0:
	.section	.rodata,"a",@progbits
	.p2align	6, 0x0
	.amdhsa_kernel _ZN7rocprim17ROCPRIM_400000_NS6detail17trampoline_kernelINS0_14default_configENS1_25partition_config_selectorILNS1_17partition_subalgoE8ElNS0_10empty_typeEbEEZZNS1_14partition_implILS5_8ELb0ES3_jPlPS6_PKS6_NS0_5tupleIJS9_S6_EEENSD_IJSA_SA_EEENS0_18inequality_wrapperIZN2at6native12_GLOBAL__N_124unique_dim_cuda_templateIlEESt5tupleIJNSH_6TensorESM_SM_EERKSM_lbbbEUlllE0_EEPmJS6_EEE10hipError_tPvRmT3_T4_T5_T6_T7_T9_mT8_P12ihipStream_tbDpT10_ENKUlT_T0_E_clISt17integral_constantIbLb1EES1C_EEDaS17_S18_EUlS17_E_NS1_11comp_targetILNS1_3genE8ELNS1_11target_archE1030ELNS1_3gpuE2ELNS1_3repE0EEENS1_30default_config_static_selectorELNS0_4arch9wavefront6targetE1EEEvT1_
		.amdhsa_group_segment_fixed_size 0
		.amdhsa_private_segment_fixed_size 0
		.amdhsa_kernarg_size 136
		.amdhsa_user_sgpr_count 2
		.amdhsa_user_sgpr_dispatch_ptr 0
		.amdhsa_user_sgpr_queue_ptr 0
		.amdhsa_user_sgpr_kernarg_segment_ptr 1
		.amdhsa_user_sgpr_dispatch_id 0
		.amdhsa_user_sgpr_kernarg_preload_length 0
		.amdhsa_user_sgpr_kernarg_preload_offset 0
		.amdhsa_user_sgpr_private_segment_size 0
		.amdhsa_uses_dynamic_stack 0
		.amdhsa_enable_private_segment 0
		.amdhsa_system_sgpr_workgroup_id_x 1
		.amdhsa_system_sgpr_workgroup_id_y 0
		.amdhsa_system_sgpr_workgroup_id_z 0
		.amdhsa_system_sgpr_workgroup_info 0
		.amdhsa_system_vgpr_workitem_id 0
		.amdhsa_next_free_vgpr 1
		.amdhsa_next_free_sgpr 0
		.amdhsa_accum_offset 4
		.amdhsa_reserve_vcc 0
		.amdhsa_float_round_mode_32 0
		.amdhsa_float_round_mode_16_64 0
		.amdhsa_float_denorm_mode_32 3
		.amdhsa_float_denorm_mode_16_64 3
		.amdhsa_dx10_clamp 1
		.amdhsa_ieee_mode 1
		.amdhsa_fp16_overflow 0
		.amdhsa_tg_split 0
		.amdhsa_exception_fp_ieee_invalid_op 0
		.amdhsa_exception_fp_denorm_src 0
		.amdhsa_exception_fp_ieee_div_zero 0
		.amdhsa_exception_fp_ieee_overflow 0
		.amdhsa_exception_fp_ieee_underflow 0
		.amdhsa_exception_fp_ieee_inexact 0
		.amdhsa_exception_int_div_zero 0
	.end_amdhsa_kernel
	.section	.text._ZN7rocprim17ROCPRIM_400000_NS6detail17trampoline_kernelINS0_14default_configENS1_25partition_config_selectorILNS1_17partition_subalgoE8ElNS0_10empty_typeEbEEZZNS1_14partition_implILS5_8ELb0ES3_jPlPS6_PKS6_NS0_5tupleIJS9_S6_EEENSD_IJSA_SA_EEENS0_18inequality_wrapperIZN2at6native12_GLOBAL__N_124unique_dim_cuda_templateIlEESt5tupleIJNSH_6TensorESM_SM_EERKSM_lbbbEUlllE0_EEPmJS6_EEE10hipError_tPvRmT3_T4_T5_T6_T7_T9_mT8_P12ihipStream_tbDpT10_ENKUlT_T0_E_clISt17integral_constantIbLb1EES1C_EEDaS17_S18_EUlS17_E_NS1_11comp_targetILNS1_3genE8ELNS1_11target_archE1030ELNS1_3gpuE2ELNS1_3repE0EEENS1_30default_config_static_selectorELNS0_4arch9wavefront6targetE1EEEvT1_,"axG",@progbits,_ZN7rocprim17ROCPRIM_400000_NS6detail17trampoline_kernelINS0_14default_configENS1_25partition_config_selectorILNS1_17partition_subalgoE8ElNS0_10empty_typeEbEEZZNS1_14partition_implILS5_8ELb0ES3_jPlPS6_PKS6_NS0_5tupleIJS9_S6_EEENSD_IJSA_SA_EEENS0_18inequality_wrapperIZN2at6native12_GLOBAL__N_124unique_dim_cuda_templateIlEESt5tupleIJNSH_6TensorESM_SM_EERKSM_lbbbEUlllE0_EEPmJS6_EEE10hipError_tPvRmT3_T4_T5_T6_T7_T9_mT8_P12ihipStream_tbDpT10_ENKUlT_T0_E_clISt17integral_constantIbLb1EES1C_EEDaS17_S18_EUlS17_E_NS1_11comp_targetILNS1_3genE8ELNS1_11target_archE1030ELNS1_3gpuE2ELNS1_3repE0EEENS1_30default_config_static_selectorELNS0_4arch9wavefront6targetE1EEEvT1_,comdat
.Lfunc_end582:
	.size	_ZN7rocprim17ROCPRIM_400000_NS6detail17trampoline_kernelINS0_14default_configENS1_25partition_config_selectorILNS1_17partition_subalgoE8ElNS0_10empty_typeEbEEZZNS1_14partition_implILS5_8ELb0ES3_jPlPS6_PKS6_NS0_5tupleIJS9_S6_EEENSD_IJSA_SA_EEENS0_18inequality_wrapperIZN2at6native12_GLOBAL__N_124unique_dim_cuda_templateIlEESt5tupleIJNSH_6TensorESM_SM_EERKSM_lbbbEUlllE0_EEPmJS6_EEE10hipError_tPvRmT3_T4_T5_T6_T7_T9_mT8_P12ihipStream_tbDpT10_ENKUlT_T0_E_clISt17integral_constantIbLb1EES1C_EEDaS17_S18_EUlS17_E_NS1_11comp_targetILNS1_3genE8ELNS1_11target_archE1030ELNS1_3gpuE2ELNS1_3repE0EEENS1_30default_config_static_selectorELNS0_4arch9wavefront6targetE1EEEvT1_, .Lfunc_end582-_ZN7rocprim17ROCPRIM_400000_NS6detail17trampoline_kernelINS0_14default_configENS1_25partition_config_selectorILNS1_17partition_subalgoE8ElNS0_10empty_typeEbEEZZNS1_14partition_implILS5_8ELb0ES3_jPlPS6_PKS6_NS0_5tupleIJS9_S6_EEENSD_IJSA_SA_EEENS0_18inequality_wrapperIZN2at6native12_GLOBAL__N_124unique_dim_cuda_templateIlEESt5tupleIJNSH_6TensorESM_SM_EERKSM_lbbbEUlllE0_EEPmJS6_EEE10hipError_tPvRmT3_T4_T5_T6_T7_T9_mT8_P12ihipStream_tbDpT10_ENKUlT_T0_E_clISt17integral_constantIbLb1EES1C_EEDaS17_S18_EUlS17_E_NS1_11comp_targetILNS1_3genE8ELNS1_11target_archE1030ELNS1_3gpuE2ELNS1_3repE0EEENS1_30default_config_static_selectorELNS0_4arch9wavefront6targetE1EEEvT1_
                                        ; -- End function
	.section	.AMDGPU.csdata,"",@progbits
; Kernel info:
; codeLenInByte = 0
; NumSgprs: 6
; NumVgprs: 0
; NumAgprs: 0
; TotalNumVgprs: 0
; ScratchSize: 0
; MemoryBound: 0
; FloatMode: 240
; IeeeMode: 1
; LDSByteSize: 0 bytes/workgroup (compile time only)
; SGPRBlocks: 0
; VGPRBlocks: 0
; NumSGPRsForWavesPerEU: 6
; NumVGPRsForWavesPerEU: 1
; AccumOffset: 4
; Occupancy: 8
; WaveLimiterHint : 0
; COMPUTE_PGM_RSRC2:SCRATCH_EN: 0
; COMPUTE_PGM_RSRC2:USER_SGPR: 2
; COMPUTE_PGM_RSRC2:TRAP_HANDLER: 0
; COMPUTE_PGM_RSRC2:TGID_X_EN: 1
; COMPUTE_PGM_RSRC2:TGID_Y_EN: 0
; COMPUTE_PGM_RSRC2:TGID_Z_EN: 0
; COMPUTE_PGM_RSRC2:TIDIG_COMP_CNT: 0
; COMPUTE_PGM_RSRC3_GFX90A:ACCUM_OFFSET: 0
; COMPUTE_PGM_RSRC3_GFX90A:TG_SPLIT: 0
	.section	.text._ZN7rocprim17ROCPRIM_400000_NS6detail17trampoline_kernelINS0_14default_configENS1_25partition_config_selectorILNS1_17partition_subalgoE8ElNS0_10empty_typeEbEEZZNS1_14partition_implILS5_8ELb0ES3_jPlPS6_PKS6_NS0_5tupleIJS9_S6_EEENSD_IJSA_SA_EEENS0_18inequality_wrapperIZN2at6native12_GLOBAL__N_124unique_dim_cuda_templateIlEESt5tupleIJNSH_6TensorESM_SM_EERKSM_lbbbEUlllE0_EEPmJS6_EEE10hipError_tPvRmT3_T4_T5_T6_T7_T9_mT8_P12ihipStream_tbDpT10_ENKUlT_T0_E_clISt17integral_constantIbLb1EES1B_IbLb0EEEEDaS17_S18_EUlS17_E_NS1_11comp_targetILNS1_3genE0ELNS1_11target_archE4294967295ELNS1_3gpuE0ELNS1_3repE0EEENS1_30default_config_static_selectorELNS0_4arch9wavefront6targetE1EEEvT1_,"axG",@progbits,_ZN7rocprim17ROCPRIM_400000_NS6detail17trampoline_kernelINS0_14default_configENS1_25partition_config_selectorILNS1_17partition_subalgoE8ElNS0_10empty_typeEbEEZZNS1_14partition_implILS5_8ELb0ES3_jPlPS6_PKS6_NS0_5tupleIJS9_S6_EEENSD_IJSA_SA_EEENS0_18inequality_wrapperIZN2at6native12_GLOBAL__N_124unique_dim_cuda_templateIlEESt5tupleIJNSH_6TensorESM_SM_EERKSM_lbbbEUlllE0_EEPmJS6_EEE10hipError_tPvRmT3_T4_T5_T6_T7_T9_mT8_P12ihipStream_tbDpT10_ENKUlT_T0_E_clISt17integral_constantIbLb1EES1B_IbLb0EEEEDaS17_S18_EUlS17_E_NS1_11comp_targetILNS1_3genE0ELNS1_11target_archE4294967295ELNS1_3gpuE0ELNS1_3repE0EEENS1_30default_config_static_selectorELNS0_4arch9wavefront6targetE1EEEvT1_,comdat
	.globl	_ZN7rocprim17ROCPRIM_400000_NS6detail17trampoline_kernelINS0_14default_configENS1_25partition_config_selectorILNS1_17partition_subalgoE8ElNS0_10empty_typeEbEEZZNS1_14partition_implILS5_8ELb0ES3_jPlPS6_PKS6_NS0_5tupleIJS9_S6_EEENSD_IJSA_SA_EEENS0_18inequality_wrapperIZN2at6native12_GLOBAL__N_124unique_dim_cuda_templateIlEESt5tupleIJNSH_6TensorESM_SM_EERKSM_lbbbEUlllE0_EEPmJS6_EEE10hipError_tPvRmT3_T4_T5_T6_T7_T9_mT8_P12ihipStream_tbDpT10_ENKUlT_T0_E_clISt17integral_constantIbLb1EES1B_IbLb0EEEEDaS17_S18_EUlS17_E_NS1_11comp_targetILNS1_3genE0ELNS1_11target_archE4294967295ELNS1_3gpuE0ELNS1_3repE0EEENS1_30default_config_static_selectorELNS0_4arch9wavefront6targetE1EEEvT1_ ; -- Begin function _ZN7rocprim17ROCPRIM_400000_NS6detail17trampoline_kernelINS0_14default_configENS1_25partition_config_selectorILNS1_17partition_subalgoE8ElNS0_10empty_typeEbEEZZNS1_14partition_implILS5_8ELb0ES3_jPlPS6_PKS6_NS0_5tupleIJS9_S6_EEENSD_IJSA_SA_EEENS0_18inequality_wrapperIZN2at6native12_GLOBAL__N_124unique_dim_cuda_templateIlEESt5tupleIJNSH_6TensorESM_SM_EERKSM_lbbbEUlllE0_EEPmJS6_EEE10hipError_tPvRmT3_T4_T5_T6_T7_T9_mT8_P12ihipStream_tbDpT10_ENKUlT_T0_E_clISt17integral_constantIbLb1EES1B_IbLb0EEEEDaS17_S18_EUlS17_E_NS1_11comp_targetILNS1_3genE0ELNS1_11target_archE4294967295ELNS1_3gpuE0ELNS1_3repE0EEENS1_30default_config_static_selectorELNS0_4arch9wavefront6targetE1EEEvT1_
	.p2align	8
	.type	_ZN7rocprim17ROCPRIM_400000_NS6detail17trampoline_kernelINS0_14default_configENS1_25partition_config_selectorILNS1_17partition_subalgoE8ElNS0_10empty_typeEbEEZZNS1_14partition_implILS5_8ELb0ES3_jPlPS6_PKS6_NS0_5tupleIJS9_S6_EEENSD_IJSA_SA_EEENS0_18inequality_wrapperIZN2at6native12_GLOBAL__N_124unique_dim_cuda_templateIlEESt5tupleIJNSH_6TensorESM_SM_EERKSM_lbbbEUlllE0_EEPmJS6_EEE10hipError_tPvRmT3_T4_T5_T6_T7_T9_mT8_P12ihipStream_tbDpT10_ENKUlT_T0_E_clISt17integral_constantIbLb1EES1B_IbLb0EEEEDaS17_S18_EUlS17_E_NS1_11comp_targetILNS1_3genE0ELNS1_11target_archE4294967295ELNS1_3gpuE0ELNS1_3repE0EEENS1_30default_config_static_selectorELNS0_4arch9wavefront6targetE1EEEvT1_,@function
_ZN7rocprim17ROCPRIM_400000_NS6detail17trampoline_kernelINS0_14default_configENS1_25partition_config_selectorILNS1_17partition_subalgoE8ElNS0_10empty_typeEbEEZZNS1_14partition_implILS5_8ELb0ES3_jPlPS6_PKS6_NS0_5tupleIJS9_S6_EEENSD_IJSA_SA_EEENS0_18inequality_wrapperIZN2at6native12_GLOBAL__N_124unique_dim_cuda_templateIlEESt5tupleIJNSH_6TensorESM_SM_EERKSM_lbbbEUlllE0_EEPmJS6_EEE10hipError_tPvRmT3_T4_T5_T6_T7_T9_mT8_P12ihipStream_tbDpT10_ENKUlT_T0_E_clISt17integral_constantIbLb1EES1B_IbLb0EEEEDaS17_S18_EUlS17_E_NS1_11comp_targetILNS1_3genE0ELNS1_11target_archE4294967295ELNS1_3gpuE0ELNS1_3repE0EEENS1_30default_config_static_selectorELNS0_4arch9wavefront6targetE1EEEvT1_: ; @_ZN7rocprim17ROCPRIM_400000_NS6detail17trampoline_kernelINS0_14default_configENS1_25partition_config_selectorILNS1_17partition_subalgoE8ElNS0_10empty_typeEbEEZZNS1_14partition_implILS5_8ELb0ES3_jPlPS6_PKS6_NS0_5tupleIJS9_S6_EEENSD_IJSA_SA_EEENS0_18inequality_wrapperIZN2at6native12_GLOBAL__N_124unique_dim_cuda_templateIlEESt5tupleIJNSH_6TensorESM_SM_EERKSM_lbbbEUlllE0_EEPmJS6_EEE10hipError_tPvRmT3_T4_T5_T6_T7_T9_mT8_P12ihipStream_tbDpT10_ENKUlT_T0_E_clISt17integral_constantIbLb1EES1B_IbLb0EEEEDaS17_S18_EUlS17_E_NS1_11comp_targetILNS1_3genE0ELNS1_11target_archE4294967295ELNS1_3gpuE0ELNS1_3repE0EEENS1_30default_config_static_selectorELNS0_4arch9wavefront6targetE1EEEvT1_
; %bb.0:
	.section	.rodata,"a",@progbits
	.p2align	6, 0x0
	.amdhsa_kernel _ZN7rocprim17ROCPRIM_400000_NS6detail17trampoline_kernelINS0_14default_configENS1_25partition_config_selectorILNS1_17partition_subalgoE8ElNS0_10empty_typeEbEEZZNS1_14partition_implILS5_8ELb0ES3_jPlPS6_PKS6_NS0_5tupleIJS9_S6_EEENSD_IJSA_SA_EEENS0_18inequality_wrapperIZN2at6native12_GLOBAL__N_124unique_dim_cuda_templateIlEESt5tupleIJNSH_6TensorESM_SM_EERKSM_lbbbEUlllE0_EEPmJS6_EEE10hipError_tPvRmT3_T4_T5_T6_T7_T9_mT8_P12ihipStream_tbDpT10_ENKUlT_T0_E_clISt17integral_constantIbLb1EES1B_IbLb0EEEEDaS17_S18_EUlS17_E_NS1_11comp_targetILNS1_3genE0ELNS1_11target_archE4294967295ELNS1_3gpuE0ELNS1_3repE0EEENS1_30default_config_static_selectorELNS0_4arch9wavefront6targetE1EEEvT1_
		.amdhsa_group_segment_fixed_size 0
		.amdhsa_private_segment_fixed_size 0
		.amdhsa_kernarg_size 120
		.amdhsa_user_sgpr_count 2
		.amdhsa_user_sgpr_dispatch_ptr 0
		.amdhsa_user_sgpr_queue_ptr 0
		.amdhsa_user_sgpr_kernarg_segment_ptr 1
		.amdhsa_user_sgpr_dispatch_id 0
		.amdhsa_user_sgpr_kernarg_preload_length 0
		.amdhsa_user_sgpr_kernarg_preload_offset 0
		.amdhsa_user_sgpr_private_segment_size 0
		.amdhsa_uses_dynamic_stack 0
		.amdhsa_enable_private_segment 0
		.amdhsa_system_sgpr_workgroup_id_x 1
		.amdhsa_system_sgpr_workgroup_id_y 0
		.amdhsa_system_sgpr_workgroup_id_z 0
		.amdhsa_system_sgpr_workgroup_info 0
		.amdhsa_system_vgpr_workitem_id 0
		.amdhsa_next_free_vgpr 1
		.amdhsa_next_free_sgpr 0
		.amdhsa_accum_offset 4
		.amdhsa_reserve_vcc 0
		.amdhsa_float_round_mode_32 0
		.amdhsa_float_round_mode_16_64 0
		.amdhsa_float_denorm_mode_32 3
		.amdhsa_float_denorm_mode_16_64 3
		.amdhsa_dx10_clamp 1
		.amdhsa_ieee_mode 1
		.amdhsa_fp16_overflow 0
		.amdhsa_tg_split 0
		.amdhsa_exception_fp_ieee_invalid_op 0
		.amdhsa_exception_fp_denorm_src 0
		.amdhsa_exception_fp_ieee_div_zero 0
		.amdhsa_exception_fp_ieee_overflow 0
		.amdhsa_exception_fp_ieee_underflow 0
		.amdhsa_exception_fp_ieee_inexact 0
		.amdhsa_exception_int_div_zero 0
	.end_amdhsa_kernel
	.section	.text._ZN7rocprim17ROCPRIM_400000_NS6detail17trampoline_kernelINS0_14default_configENS1_25partition_config_selectorILNS1_17partition_subalgoE8ElNS0_10empty_typeEbEEZZNS1_14partition_implILS5_8ELb0ES3_jPlPS6_PKS6_NS0_5tupleIJS9_S6_EEENSD_IJSA_SA_EEENS0_18inequality_wrapperIZN2at6native12_GLOBAL__N_124unique_dim_cuda_templateIlEESt5tupleIJNSH_6TensorESM_SM_EERKSM_lbbbEUlllE0_EEPmJS6_EEE10hipError_tPvRmT3_T4_T5_T6_T7_T9_mT8_P12ihipStream_tbDpT10_ENKUlT_T0_E_clISt17integral_constantIbLb1EES1B_IbLb0EEEEDaS17_S18_EUlS17_E_NS1_11comp_targetILNS1_3genE0ELNS1_11target_archE4294967295ELNS1_3gpuE0ELNS1_3repE0EEENS1_30default_config_static_selectorELNS0_4arch9wavefront6targetE1EEEvT1_,"axG",@progbits,_ZN7rocprim17ROCPRIM_400000_NS6detail17trampoline_kernelINS0_14default_configENS1_25partition_config_selectorILNS1_17partition_subalgoE8ElNS0_10empty_typeEbEEZZNS1_14partition_implILS5_8ELb0ES3_jPlPS6_PKS6_NS0_5tupleIJS9_S6_EEENSD_IJSA_SA_EEENS0_18inequality_wrapperIZN2at6native12_GLOBAL__N_124unique_dim_cuda_templateIlEESt5tupleIJNSH_6TensorESM_SM_EERKSM_lbbbEUlllE0_EEPmJS6_EEE10hipError_tPvRmT3_T4_T5_T6_T7_T9_mT8_P12ihipStream_tbDpT10_ENKUlT_T0_E_clISt17integral_constantIbLb1EES1B_IbLb0EEEEDaS17_S18_EUlS17_E_NS1_11comp_targetILNS1_3genE0ELNS1_11target_archE4294967295ELNS1_3gpuE0ELNS1_3repE0EEENS1_30default_config_static_selectorELNS0_4arch9wavefront6targetE1EEEvT1_,comdat
.Lfunc_end583:
	.size	_ZN7rocprim17ROCPRIM_400000_NS6detail17trampoline_kernelINS0_14default_configENS1_25partition_config_selectorILNS1_17partition_subalgoE8ElNS0_10empty_typeEbEEZZNS1_14partition_implILS5_8ELb0ES3_jPlPS6_PKS6_NS0_5tupleIJS9_S6_EEENSD_IJSA_SA_EEENS0_18inequality_wrapperIZN2at6native12_GLOBAL__N_124unique_dim_cuda_templateIlEESt5tupleIJNSH_6TensorESM_SM_EERKSM_lbbbEUlllE0_EEPmJS6_EEE10hipError_tPvRmT3_T4_T5_T6_T7_T9_mT8_P12ihipStream_tbDpT10_ENKUlT_T0_E_clISt17integral_constantIbLb1EES1B_IbLb0EEEEDaS17_S18_EUlS17_E_NS1_11comp_targetILNS1_3genE0ELNS1_11target_archE4294967295ELNS1_3gpuE0ELNS1_3repE0EEENS1_30default_config_static_selectorELNS0_4arch9wavefront6targetE1EEEvT1_, .Lfunc_end583-_ZN7rocprim17ROCPRIM_400000_NS6detail17trampoline_kernelINS0_14default_configENS1_25partition_config_selectorILNS1_17partition_subalgoE8ElNS0_10empty_typeEbEEZZNS1_14partition_implILS5_8ELb0ES3_jPlPS6_PKS6_NS0_5tupleIJS9_S6_EEENSD_IJSA_SA_EEENS0_18inequality_wrapperIZN2at6native12_GLOBAL__N_124unique_dim_cuda_templateIlEESt5tupleIJNSH_6TensorESM_SM_EERKSM_lbbbEUlllE0_EEPmJS6_EEE10hipError_tPvRmT3_T4_T5_T6_T7_T9_mT8_P12ihipStream_tbDpT10_ENKUlT_T0_E_clISt17integral_constantIbLb1EES1B_IbLb0EEEEDaS17_S18_EUlS17_E_NS1_11comp_targetILNS1_3genE0ELNS1_11target_archE4294967295ELNS1_3gpuE0ELNS1_3repE0EEENS1_30default_config_static_selectorELNS0_4arch9wavefront6targetE1EEEvT1_
                                        ; -- End function
	.section	.AMDGPU.csdata,"",@progbits
; Kernel info:
; codeLenInByte = 0
; NumSgprs: 6
; NumVgprs: 0
; NumAgprs: 0
; TotalNumVgprs: 0
; ScratchSize: 0
; MemoryBound: 0
; FloatMode: 240
; IeeeMode: 1
; LDSByteSize: 0 bytes/workgroup (compile time only)
; SGPRBlocks: 0
; VGPRBlocks: 0
; NumSGPRsForWavesPerEU: 6
; NumVGPRsForWavesPerEU: 1
; AccumOffset: 4
; Occupancy: 8
; WaveLimiterHint : 0
; COMPUTE_PGM_RSRC2:SCRATCH_EN: 0
; COMPUTE_PGM_RSRC2:USER_SGPR: 2
; COMPUTE_PGM_RSRC2:TRAP_HANDLER: 0
; COMPUTE_PGM_RSRC2:TGID_X_EN: 1
; COMPUTE_PGM_RSRC2:TGID_Y_EN: 0
; COMPUTE_PGM_RSRC2:TGID_Z_EN: 0
; COMPUTE_PGM_RSRC2:TIDIG_COMP_CNT: 0
; COMPUTE_PGM_RSRC3_GFX90A:ACCUM_OFFSET: 0
; COMPUTE_PGM_RSRC3_GFX90A:TG_SPLIT: 0
	.section	.text._ZN7rocprim17ROCPRIM_400000_NS6detail17trampoline_kernelINS0_14default_configENS1_25partition_config_selectorILNS1_17partition_subalgoE8ElNS0_10empty_typeEbEEZZNS1_14partition_implILS5_8ELb0ES3_jPlPS6_PKS6_NS0_5tupleIJS9_S6_EEENSD_IJSA_SA_EEENS0_18inequality_wrapperIZN2at6native12_GLOBAL__N_124unique_dim_cuda_templateIlEESt5tupleIJNSH_6TensorESM_SM_EERKSM_lbbbEUlllE0_EEPmJS6_EEE10hipError_tPvRmT3_T4_T5_T6_T7_T9_mT8_P12ihipStream_tbDpT10_ENKUlT_T0_E_clISt17integral_constantIbLb1EES1B_IbLb0EEEEDaS17_S18_EUlS17_E_NS1_11comp_targetILNS1_3genE5ELNS1_11target_archE942ELNS1_3gpuE9ELNS1_3repE0EEENS1_30default_config_static_selectorELNS0_4arch9wavefront6targetE1EEEvT1_,"axG",@progbits,_ZN7rocprim17ROCPRIM_400000_NS6detail17trampoline_kernelINS0_14default_configENS1_25partition_config_selectorILNS1_17partition_subalgoE8ElNS0_10empty_typeEbEEZZNS1_14partition_implILS5_8ELb0ES3_jPlPS6_PKS6_NS0_5tupleIJS9_S6_EEENSD_IJSA_SA_EEENS0_18inequality_wrapperIZN2at6native12_GLOBAL__N_124unique_dim_cuda_templateIlEESt5tupleIJNSH_6TensorESM_SM_EERKSM_lbbbEUlllE0_EEPmJS6_EEE10hipError_tPvRmT3_T4_T5_T6_T7_T9_mT8_P12ihipStream_tbDpT10_ENKUlT_T0_E_clISt17integral_constantIbLb1EES1B_IbLb0EEEEDaS17_S18_EUlS17_E_NS1_11comp_targetILNS1_3genE5ELNS1_11target_archE942ELNS1_3gpuE9ELNS1_3repE0EEENS1_30default_config_static_selectorELNS0_4arch9wavefront6targetE1EEEvT1_,comdat
	.globl	_ZN7rocprim17ROCPRIM_400000_NS6detail17trampoline_kernelINS0_14default_configENS1_25partition_config_selectorILNS1_17partition_subalgoE8ElNS0_10empty_typeEbEEZZNS1_14partition_implILS5_8ELb0ES3_jPlPS6_PKS6_NS0_5tupleIJS9_S6_EEENSD_IJSA_SA_EEENS0_18inequality_wrapperIZN2at6native12_GLOBAL__N_124unique_dim_cuda_templateIlEESt5tupleIJNSH_6TensorESM_SM_EERKSM_lbbbEUlllE0_EEPmJS6_EEE10hipError_tPvRmT3_T4_T5_T6_T7_T9_mT8_P12ihipStream_tbDpT10_ENKUlT_T0_E_clISt17integral_constantIbLb1EES1B_IbLb0EEEEDaS17_S18_EUlS17_E_NS1_11comp_targetILNS1_3genE5ELNS1_11target_archE942ELNS1_3gpuE9ELNS1_3repE0EEENS1_30default_config_static_selectorELNS0_4arch9wavefront6targetE1EEEvT1_ ; -- Begin function _ZN7rocprim17ROCPRIM_400000_NS6detail17trampoline_kernelINS0_14default_configENS1_25partition_config_selectorILNS1_17partition_subalgoE8ElNS0_10empty_typeEbEEZZNS1_14partition_implILS5_8ELb0ES3_jPlPS6_PKS6_NS0_5tupleIJS9_S6_EEENSD_IJSA_SA_EEENS0_18inequality_wrapperIZN2at6native12_GLOBAL__N_124unique_dim_cuda_templateIlEESt5tupleIJNSH_6TensorESM_SM_EERKSM_lbbbEUlllE0_EEPmJS6_EEE10hipError_tPvRmT3_T4_T5_T6_T7_T9_mT8_P12ihipStream_tbDpT10_ENKUlT_T0_E_clISt17integral_constantIbLb1EES1B_IbLb0EEEEDaS17_S18_EUlS17_E_NS1_11comp_targetILNS1_3genE5ELNS1_11target_archE942ELNS1_3gpuE9ELNS1_3repE0EEENS1_30default_config_static_selectorELNS0_4arch9wavefront6targetE1EEEvT1_
	.p2align	8
	.type	_ZN7rocprim17ROCPRIM_400000_NS6detail17trampoline_kernelINS0_14default_configENS1_25partition_config_selectorILNS1_17partition_subalgoE8ElNS0_10empty_typeEbEEZZNS1_14partition_implILS5_8ELb0ES3_jPlPS6_PKS6_NS0_5tupleIJS9_S6_EEENSD_IJSA_SA_EEENS0_18inequality_wrapperIZN2at6native12_GLOBAL__N_124unique_dim_cuda_templateIlEESt5tupleIJNSH_6TensorESM_SM_EERKSM_lbbbEUlllE0_EEPmJS6_EEE10hipError_tPvRmT3_T4_T5_T6_T7_T9_mT8_P12ihipStream_tbDpT10_ENKUlT_T0_E_clISt17integral_constantIbLb1EES1B_IbLb0EEEEDaS17_S18_EUlS17_E_NS1_11comp_targetILNS1_3genE5ELNS1_11target_archE942ELNS1_3gpuE9ELNS1_3repE0EEENS1_30default_config_static_selectorELNS0_4arch9wavefront6targetE1EEEvT1_,@function
_ZN7rocprim17ROCPRIM_400000_NS6detail17trampoline_kernelINS0_14default_configENS1_25partition_config_selectorILNS1_17partition_subalgoE8ElNS0_10empty_typeEbEEZZNS1_14partition_implILS5_8ELb0ES3_jPlPS6_PKS6_NS0_5tupleIJS9_S6_EEENSD_IJSA_SA_EEENS0_18inequality_wrapperIZN2at6native12_GLOBAL__N_124unique_dim_cuda_templateIlEESt5tupleIJNSH_6TensorESM_SM_EERKSM_lbbbEUlllE0_EEPmJS6_EEE10hipError_tPvRmT3_T4_T5_T6_T7_T9_mT8_P12ihipStream_tbDpT10_ENKUlT_T0_E_clISt17integral_constantIbLb1EES1B_IbLb0EEEEDaS17_S18_EUlS17_E_NS1_11comp_targetILNS1_3genE5ELNS1_11target_archE942ELNS1_3gpuE9ELNS1_3repE0EEENS1_30default_config_static_selectorELNS0_4arch9wavefront6targetE1EEEvT1_: ; @_ZN7rocprim17ROCPRIM_400000_NS6detail17trampoline_kernelINS0_14default_configENS1_25partition_config_selectorILNS1_17partition_subalgoE8ElNS0_10empty_typeEbEEZZNS1_14partition_implILS5_8ELb0ES3_jPlPS6_PKS6_NS0_5tupleIJS9_S6_EEENSD_IJSA_SA_EEENS0_18inequality_wrapperIZN2at6native12_GLOBAL__N_124unique_dim_cuda_templateIlEESt5tupleIJNSH_6TensorESM_SM_EERKSM_lbbbEUlllE0_EEPmJS6_EEE10hipError_tPvRmT3_T4_T5_T6_T7_T9_mT8_P12ihipStream_tbDpT10_ENKUlT_T0_E_clISt17integral_constantIbLb1EES1B_IbLb0EEEEDaS17_S18_EUlS17_E_NS1_11comp_targetILNS1_3genE5ELNS1_11target_archE942ELNS1_3gpuE9ELNS1_3repE0EEENS1_30default_config_static_selectorELNS0_4arch9wavefront6targetE1EEEvT1_
; %bb.0:
	s_load_dwordx8 s[20:27], s[0:1], 0x40
	s_load_dwordx4 s[4:7], s[0:1], 0x8
	s_load_dwordx4 s[28:31], s[0:1], 0x60
	s_load_dword s3, s[0:1], 0x70
	s_waitcnt lgkmcnt(0)
	v_mov_b32_e32 v2, s24
	s_lshl_b64 s[8:9], s[6:7], 3
	s_add_u32 s12, s4, s8
	s_mul_i32 s8, s3, 0xe00
	s_addc_u32 s13, s5, s9
	s_add_i32 s10, s3, -1
	s_add_i32 s3, s8, s6
	s_sub_i32 s3, s24, s3
	s_add_u32 s8, s6, s8
	s_addc_u32 s9, s7, 0
	v_mov_b32_e32 v3, s25
	s_cmp_eq_u32 s2, s10
	s_load_dwordx2 s[22:23], s[22:23], 0x0
	v_cmp_ge_u64_e32 vcc, s[8:9], v[2:3]
	s_cselect_b64 s[24:25], -1, 0
	s_mul_i32 s4, s2, 0xe00
	s_mov_b32 s5, 0
	s_and_b64 s[8:9], s[24:25], vcc
	s_xor_b64 s[34:35], s[8:9], -1
	s_lshl_b64 s[4:5], s[4:5], 3
	s_add_u32 s4, s12, s4
	s_mov_b64 s[10:11], -1
	s_addc_u32 s5, s13, s5
	s_and_b64 vcc, exec, s[34:35]
	s_cbranch_vccz .LBB584_2
; %bb.1:
	v_lshlrev_b32_e32 v2, 3, v0
	v_mov_b32_e32 v3, 0
	v_lshl_add_u64 v[4:5], s[4:5], 0, v[2:3]
	v_add_co_u32_e32 v8, vcc, 0x1000, v4
	global_load_dwordx2 v[6:7], v2, s[4:5]
	s_nop 0
	v_addc_co_u32_e32 v9, vcc, 0, v5, vcc
	v_add_co_u32_e32 v10, vcc, 0x2000, v4
	s_mov_b64 s[10:11], 0
	s_nop 0
	v_addc_co_u32_e32 v11, vcc, 0, v5, vcc
	v_add_co_u32_e32 v12, vcc, 0x3000, v4
	s_nop 1
	v_addc_co_u32_e32 v13, vcc, 0, v5, vcc
	v_add_co_u32_e32 v14, vcc, 0x4000, v4
	s_nop 1
	v_addc_co_u32_e32 v15, vcc, 0, v5, vcc
	global_load_dwordx2 v[16:17], v[8:9], off
	global_load_dwordx2 v[18:19], v[10:11], off
	global_load_dwordx2 v[20:21], v[12:13], off
	global_load_dwordx2 v[22:23], v[14:15], off
	v_add_co_u32_e32 v8, vcc, 0x5000, v4
	s_nop 1
	v_addc_co_u32_e32 v9, vcc, 0, v5, vcc
	v_add_co_u32_e32 v4, vcc, 0x6000, v4
	global_load_dwordx2 v[8:9], v[8:9], off
	s_nop 0
	v_addc_co_u32_e32 v5, vcc, 0, v5, vcc
	global_load_dwordx2 v[4:5], v[4:5], off
	s_waitcnt vmcnt(5)
	ds_write2st64_b64 v2, v[6:7], v[16:17] offset1:8
	s_waitcnt vmcnt(3)
	ds_write2st64_b64 v2, v[18:19], v[20:21] offset0:16 offset1:24
	s_waitcnt vmcnt(1)
	ds_write2st64_b64 v2, v[22:23], v[8:9] offset0:32 offset1:40
	s_waitcnt vmcnt(0)
	ds_write_b64 v2, v[4:5] offset:24576
	s_waitcnt lgkmcnt(0)
	s_barrier
.LBB584_2:
	s_andn2_b64 vcc, exec, s[10:11]
	s_addk_i32 s3, 0xe00
	s_cbranch_vccnz .LBB584_18
; %bb.3:
	v_cmp_gt_u32_e32 vcc, s3, v0
                                        ; implicit-def: $vgpr2_vgpr3_vgpr4_vgpr5_vgpr6_vgpr7_vgpr8_vgpr9_vgpr10_vgpr11_vgpr12_vgpr13_vgpr14_vgpr15_vgpr16_vgpr17
	s_and_saveexec_b64 s[10:11], vcc
	s_cbranch_execz .LBB584_5
; %bb.4:
	v_lshlrev_b32_e32 v1, 3, v0
	global_load_dwordx2 v[2:3], v1, s[4:5]
.LBB584_5:
	s_or_b64 exec, exec, s[10:11]
	v_or_b32_e32 v1, 0x200, v0
	v_cmp_gt_u32_e32 vcc, s3, v1
	s_and_saveexec_b64 s[10:11], vcc
	s_cbranch_execz .LBB584_7
; %bb.6:
	v_lshlrev_b32_e32 v1, 3, v1
	global_load_dwordx2 v[4:5], v1, s[4:5]
.LBB584_7:
	s_or_b64 exec, exec, s[10:11]
	v_or_b32_e32 v1, 0x400, v0
	v_cmp_gt_u32_e32 vcc, s3, v1
	;; [unrolled: 9-line block ×6, first 2 shown]
	s_and_saveexec_b64 s[10:11], vcc
	s_cbranch_execz .LBB584_17
; %bb.16:
	v_lshlrev_b32_e32 v1, 3, v1
	global_load_dwordx2 v[14:15], v1, s[4:5]
.LBB584_17:
	s_or_b64 exec, exec, s[10:11]
	v_lshlrev_b32_e32 v1, 3, v0
	s_waitcnt vmcnt(0)
	ds_write2st64_b64 v1, v[2:3], v[4:5] offset1:8
	ds_write2st64_b64 v1, v[6:7], v[8:9] offset0:16 offset1:24
	ds_write2st64_b64 v1, v[10:11], v[12:13] offset0:32 offset1:40
	ds_write_b64 v1, v[14:15] offset:24576
	s_waitcnt lgkmcnt(0)
	s_barrier
.LBB584_18:
	v_mul_u32_u24_e32 v1, 7, v0
	v_lshlrev_b32_e32 v30, 3, v1
	s_waitcnt lgkmcnt(0)
	ds_read2_b64 v[10:13], v30 offset1:1
	ds_read2_b64 v[6:9], v30 offset0:2 offset1:3
	ds_read2_b64 v[2:5], v30 offset0:4 offset1:5
	ds_read_b64 v[14:15], v30 offset:48
	s_cmp_lg_u32 s2, 0
	s_cselect_b64 s[16:17], -1, 0
	s_cmp_lg_u64 s[6:7], 0
	s_cselect_b64 s[6:7], -1, 0
	s_or_b64 s[6:7], s[16:17], s[6:7]
	v_mad_u32_u24 v25, v0, 7, 1
	v_mad_u32_u24 v24, v0, 7, 2
	;; [unrolled: 1-line block ×6, first 2 shown]
	s_mov_b64 s[10:11], 0
	s_and_b64 vcc, exec, s[6:7]
	v_cmp_gt_i64_e64 s[12:13], s[26:27], 0
	s_waitcnt lgkmcnt(0)
	s_barrier
	s_cbranch_vccz .LBB584_27
; %bb.19:
	s_add_u32 s4, s4, -8
	s_addc_u32 s5, s5, -1
	s_load_dwordx2 s[6:7], s[4:5], 0x0
	v_cndmask_b32_e64 v16, 0, 1, s[12:13]
	v_lshlrev_b32_e32 v31, 3, v0
	s_and_b64 vcc, exec, s[34:35]
	v_cmp_ne_u32_e64 s[4:5], 1, v16
	ds_write_b64 v31, v[14:15]
	s_cbranch_vccz .LBB584_29
; %bb.20:
	v_mul_lo_u32 v18, v5, s26
	v_mul_lo_u32 v19, v4, s27
	v_mad_u64_u32 v[16:17], s[12:13], v4, s26, 0
	v_add3_u32 v17, v17, v19, v18
	s_and_b64 vcc, exec, s[4:5]
	v_lshl_add_u64 v[16:17], v[16:17], 3, s[28:29]
	s_cbranch_vccnz .LBB584_32
; %bb.21:
	v_mul_lo_u32 v20, v15, s26
	v_mul_lo_u32 v21, v14, s27
	v_mad_u64_u32 v[18:19], s[10:11], v14, s26, 0
	v_add3_u32 v19, v19, v21, v20
	v_lshl_add_u64 v[18:19], v[18:19], 3, s[28:29]
	global_load_dwordx2 v[20:21], v[16:17], off
	global_load_dwordx2 v[22:23], v[18:19], off
	s_mov_b64 s[10:11], -1
	s_waitcnt vmcnt(0)
	v_cmp_eq_u64_e32 vcc, v[20:21], v[22:23]
	s_and_saveexec_b64 s[12:13], vcc
	s_cbranch_execz .LBB584_31
; %bb.22:
	s_add_u32 s10, s26, -1
	v_lshl_add_u64 v[18:19], v[18:19], 0, 8
	v_lshl_add_u64 v[20:21], v[16:17], 0, 8
	s_addc_u32 s11, s27, -1
	s_mov_b64 s[14:15], 0
	s_mov_b64 s[36:37], 0
                                        ; implicit-def: $sgpr18_sgpr19
	s_branch .LBB584_25
.LBB584_23:                             ;   in Loop: Header=BB584_25 Depth=1
	global_load_dwordx2 v[22:23], v[20:21], off
	global_load_dwordx2 v[32:33], v[18:19], off
	s_add_u32 s36, s36, 1
	s_addc_u32 s37, s37, 0
	s_andn2_b64 s[18:19], s[18:19], exec
	v_lshl_add_u64 v[18:19], v[18:19], 0, 8
	v_lshl_add_u64 v[20:21], v[20:21], 0, 8
	s_waitcnt vmcnt(0)
	v_cmp_ne_u64_e32 vcc, v[22:23], v[32:33]
	s_and_b64 s[38:39], vcc, exec
	s_or_b64 s[18:19], s[18:19], s[38:39]
.LBB584_24:                             ;   in Loop: Header=BB584_25 Depth=1
	s_and_b64 s[38:39], exec, s[18:19]
	s_or_b64 s[14:15], s[38:39], s[14:15]
	v_mov_b64_e32 v[22:23], s[36:37]
	s_andn2_b64 exec, exec, s[14:15]
	s_cbranch_execz .LBB584_30
.LBB584_25:                             ; =>This Inner Loop Header: Depth=1
	s_or_b64 s[18:19], s[18:19], exec
	s_cmp_eq_u64 s[10:11], s[36:37]
	s_cbranch_scc0 .LBB584_23
; %bb.26:                               ;   in Loop: Header=BB584_25 Depth=1
                                        ; implicit-def: $vgpr18_vgpr19
                                        ; implicit-def: $vgpr20_vgpr21
	s_mov_b64 s[36:37], s[26:27]
	s_branch .LBB584_24
.LBB584_27:
                                        ; implicit-def: $sgpr18_sgpr19
                                        ; implicit-def: $vgpr34
                                        ; implicit-def: $vgpr33
                                        ; implicit-def: $vgpr32
                                        ; implicit-def: $vgpr20
	s_branch .LBB584_170
.LBB584_28:
                                        ; implicit-def: $vgpr16_vgpr17
	s_branch .LBB584_318
.LBB584_29:
                                        ; implicit-def: $sgpr18_sgpr19
                                        ; implicit-def: $vgpr34
                                        ; implicit-def: $vgpr33
                                        ; implicit-def: $vgpr32
                                        ; implicit-def: $vgpr20
	s_cbranch_execnz .LBB584_89
	s_branch .LBB584_169
.LBB584_30:
	s_or_b64 exec, exec, s[14:15]
	v_cmp_gt_i64_e32 vcc, s[26:27], v[22:23]
	s_orn2_b64 s[10:11], vcc, exec
.LBB584_31:
	s_or_b64 exec, exec, s[12:13]
.LBB584_32:
	v_mul_lo_u32 v20, v3, s26
	v_mul_lo_u32 v21, v2, s27
	v_mad_u64_u32 v[18:19], s[12:13], v2, s26, 0
	v_add3_u32 v19, v19, v21, v20
	s_mov_b64 s[12:13], 0
	s_and_b64 vcc, exec, s[4:5]
	v_lshl_add_u64 v[18:19], v[18:19], 3, s[28:29]
	s_mov_b64 s[14:15], 0
	s_cbranch_vccnz .LBB584_41
; %bb.33:
	global_load_dwordx2 v[20:21], v[18:19], off
	global_load_dwordx2 v[22:23], v[16:17], off
	s_mov_b64 s[14:15], -1
	s_waitcnt vmcnt(0)
	v_cmp_eq_u64_e32 vcc, v[20:21], v[22:23]
	s_and_saveexec_b64 s[18:19], vcc
	s_cbranch_execz .LBB584_40
; %bb.34:
	s_add_u32 s14, s26, -1
	v_lshl_add_u64 v[16:17], v[16:17], 0, 8
	v_lshl_add_u64 v[20:21], v[18:19], 0, 8
	s_addc_u32 s15, s27, -1
	s_mov_b64 s[36:37], 0
	s_mov_b64 s[40:41], 0
                                        ; implicit-def: $sgpr38_sgpr39
	s_branch .LBB584_37
.LBB584_35:                             ;   in Loop: Header=BB584_37 Depth=1
	global_load_dwordx2 v[22:23], v[20:21], off
	global_load_dwordx2 v[32:33], v[16:17], off
	s_add_u32 s40, s40, 1
	s_addc_u32 s41, s41, 0
	s_andn2_b64 s[38:39], s[38:39], exec
	v_lshl_add_u64 v[16:17], v[16:17], 0, 8
	v_lshl_add_u64 v[20:21], v[20:21], 0, 8
	s_waitcnt vmcnt(0)
	v_cmp_ne_u64_e32 vcc, v[22:23], v[32:33]
	s_and_b64 s[42:43], vcc, exec
	s_or_b64 s[38:39], s[38:39], s[42:43]
.LBB584_36:                             ;   in Loop: Header=BB584_37 Depth=1
	s_and_b64 s[42:43], exec, s[38:39]
	s_or_b64 s[36:37], s[42:43], s[36:37]
	v_mov_b64_e32 v[22:23], s[40:41]
	s_andn2_b64 exec, exec, s[36:37]
	s_cbranch_execz .LBB584_39
.LBB584_37:                             ; =>This Inner Loop Header: Depth=1
	s_or_b64 s[38:39], s[38:39], exec
	s_cmp_eq_u64 s[14:15], s[40:41]
	s_cbranch_scc0 .LBB584_35
; %bb.38:                               ;   in Loop: Header=BB584_37 Depth=1
                                        ; implicit-def: $vgpr16_vgpr17
                                        ; implicit-def: $vgpr20_vgpr21
	s_mov_b64 s[40:41], s[26:27]
	s_branch .LBB584_36
.LBB584_39:
	s_or_b64 exec, exec, s[36:37]
	v_cmp_gt_i64_e32 vcc, s[26:27], v[22:23]
	s_orn2_b64 s[14:15], vcc, exec
.LBB584_40:
	s_or_b64 exec, exec, s[18:19]
.LBB584_41:
	v_mul_lo_u32 v20, v9, s26
	v_mul_lo_u32 v21, v8, s27
	v_mad_u64_u32 v[16:17], s[18:19], v8, s26, 0
	v_add3_u32 v17, v17, v21, v20
	s_and_b64 vcc, exec, s[4:5]
	v_lshl_add_u64 v[16:17], v[16:17], 3, s[28:29]
	s_cbranch_vccnz .LBB584_50
; %bb.42:
	global_load_dwordx2 v[20:21], v[16:17], off
	global_load_dwordx2 v[22:23], v[18:19], off
	s_mov_b64 s[12:13], -1
	s_waitcnt vmcnt(0)
	v_cmp_eq_u64_e32 vcc, v[20:21], v[22:23]
	s_and_saveexec_b64 s[18:19], vcc
	s_cbranch_execz .LBB584_49
; %bb.43:
	s_add_u32 s12, s26, -1
	v_lshl_add_u64 v[18:19], v[18:19], 0, 8
	v_lshl_add_u64 v[20:21], v[16:17], 0, 8
	s_addc_u32 s13, s27, -1
	s_mov_b64 s[36:37], 0
	s_mov_b64 s[40:41], 0
                                        ; implicit-def: $sgpr38_sgpr39
	s_branch .LBB584_46
.LBB584_44:                             ;   in Loop: Header=BB584_46 Depth=1
	global_load_dwordx2 v[22:23], v[20:21], off
	global_load_dwordx2 v[32:33], v[18:19], off
	s_add_u32 s40, s40, 1
	s_addc_u32 s41, s41, 0
	s_andn2_b64 s[38:39], s[38:39], exec
	v_lshl_add_u64 v[18:19], v[18:19], 0, 8
	v_lshl_add_u64 v[20:21], v[20:21], 0, 8
	s_waitcnt vmcnt(0)
	v_cmp_ne_u64_e32 vcc, v[22:23], v[32:33]
	s_and_b64 s[42:43], vcc, exec
	s_or_b64 s[38:39], s[38:39], s[42:43]
.LBB584_45:                             ;   in Loop: Header=BB584_46 Depth=1
	s_and_b64 s[42:43], exec, s[38:39]
	s_or_b64 s[36:37], s[42:43], s[36:37]
	v_mov_b64_e32 v[22:23], s[40:41]
	s_andn2_b64 exec, exec, s[36:37]
	s_cbranch_execz .LBB584_48
.LBB584_46:                             ; =>This Inner Loop Header: Depth=1
	s_or_b64 s[38:39], s[38:39], exec
	s_cmp_eq_u64 s[12:13], s[40:41]
	s_cbranch_scc0 .LBB584_44
; %bb.47:                               ;   in Loop: Header=BB584_46 Depth=1
                                        ; implicit-def: $vgpr18_vgpr19
                                        ; implicit-def: $vgpr20_vgpr21
	s_mov_b64 s[40:41], s[26:27]
	s_branch .LBB584_45
.LBB584_48:
	s_or_b64 exec, exec, s[36:37]
	v_cmp_gt_i64_e32 vcc, s[26:27], v[22:23]
	s_orn2_b64 s[12:13], vcc, exec
.LBB584_49:
	s_or_b64 exec, exec, s[18:19]
.LBB584_50:
	v_mul_lo_u32 v20, v7, s26
	v_mul_lo_u32 v21, v6, s27
	v_mad_u64_u32 v[18:19], s[18:19], v6, s26, 0
	v_add3_u32 v19, v19, v21, v20
	s_mov_b64 s[18:19], 0
	s_and_b64 vcc, exec, s[4:5]
	v_lshl_add_u64 v[20:21], v[18:19], 3, s[28:29]
	s_mov_b64 s[36:37], 0
	s_cbranch_vccnz .LBB584_59
; %bb.51:
	global_load_dwordx2 v[18:19], v[20:21], off
	global_load_dwordx2 v[22:23], v[16:17], off
	s_mov_b64 s[36:37], -1
	s_waitcnt vmcnt(0)
	v_cmp_eq_u64_e32 vcc, v[18:19], v[22:23]
	s_and_saveexec_b64 s[38:39], vcc
	s_cbranch_execz .LBB584_58
; %bb.52:
	s_add_u32 s36, s26, -1
	v_lshl_add_u64 v[16:17], v[16:17], 0, 8
	v_lshl_add_u64 v[18:19], v[20:21], 0, 8
	s_addc_u32 s37, s27, -1
	s_mov_b64 s[40:41], 0
	s_mov_b64 s[44:45], 0
                                        ; implicit-def: $sgpr42_sgpr43
	s_branch .LBB584_55
.LBB584_53:                             ;   in Loop: Header=BB584_55 Depth=1
	global_load_dwordx2 v[22:23], v[18:19], off
	global_load_dwordx2 v[32:33], v[16:17], off
	s_add_u32 s44, s44, 1
	s_addc_u32 s45, s45, 0
	s_andn2_b64 s[42:43], s[42:43], exec
	v_lshl_add_u64 v[16:17], v[16:17], 0, 8
	v_lshl_add_u64 v[18:19], v[18:19], 0, 8
	s_waitcnt vmcnt(0)
	v_cmp_ne_u64_e32 vcc, v[22:23], v[32:33]
	s_and_b64 s[46:47], vcc, exec
	s_or_b64 s[42:43], s[42:43], s[46:47]
.LBB584_54:                             ;   in Loop: Header=BB584_55 Depth=1
	s_and_b64 s[46:47], exec, s[42:43]
	s_or_b64 s[40:41], s[46:47], s[40:41]
	v_mov_b64_e32 v[22:23], s[44:45]
	s_andn2_b64 exec, exec, s[40:41]
	s_cbranch_execz .LBB584_57
.LBB584_55:                             ; =>This Inner Loop Header: Depth=1
	s_or_b64 s[42:43], s[42:43], exec
	s_cmp_eq_u64 s[36:37], s[44:45]
	s_cbranch_scc0 .LBB584_53
; %bb.56:                               ;   in Loop: Header=BB584_55 Depth=1
                                        ; implicit-def: $vgpr16_vgpr17
                                        ; implicit-def: $vgpr18_vgpr19
	s_mov_b64 s[44:45], s[26:27]
	s_branch .LBB584_54
.LBB584_57:
	s_or_b64 exec, exec, s[40:41]
	v_cmp_gt_i64_e32 vcc, s[26:27], v[22:23]
	s_orn2_b64 s[36:37], vcc, exec
.LBB584_58:
	s_or_b64 exec, exec, s[38:39]
.LBB584_59:
	v_mul_lo_u32 v18, v13, s26
	v_mul_lo_u32 v19, v12, s27
	v_mad_u64_u32 v[16:17], s[38:39], v12, s26, 0
	v_add3_u32 v17, v17, v19, v18
	s_and_b64 vcc, exec, s[4:5]
	v_lshl_add_u64 v[18:19], v[16:17], 3, s[28:29]
	s_cbranch_vccnz .LBB584_68
; %bb.60:
	global_load_dwordx2 v[16:17], v[18:19], off
	global_load_dwordx2 v[22:23], v[20:21], off
	s_mov_b64 s[18:19], -1
	s_waitcnt vmcnt(0)
	v_cmp_eq_u64_e32 vcc, v[16:17], v[22:23]
	s_and_saveexec_b64 s[38:39], vcc
	s_cbranch_execz .LBB584_67
; %bb.61:
	s_add_u32 s18, s26, -1
	v_lshl_add_u64 v[16:17], v[20:21], 0, 8
	v_lshl_add_u64 v[20:21], v[18:19], 0, 8
	s_addc_u32 s19, s27, -1
	s_mov_b64 s[40:41], 0
	s_mov_b64 s[44:45], 0
                                        ; implicit-def: $sgpr42_sgpr43
	s_branch .LBB584_64
.LBB584_62:                             ;   in Loop: Header=BB584_64 Depth=1
	global_load_dwordx2 v[22:23], v[20:21], off
	global_load_dwordx2 v[32:33], v[16:17], off
	s_add_u32 s44, s44, 1
	s_addc_u32 s45, s45, 0
	s_andn2_b64 s[42:43], s[42:43], exec
	v_lshl_add_u64 v[16:17], v[16:17], 0, 8
	v_lshl_add_u64 v[20:21], v[20:21], 0, 8
	s_waitcnt vmcnt(0)
	v_cmp_ne_u64_e32 vcc, v[22:23], v[32:33]
	s_and_b64 s[46:47], vcc, exec
	s_or_b64 s[42:43], s[42:43], s[46:47]
.LBB584_63:                             ;   in Loop: Header=BB584_64 Depth=1
	s_and_b64 s[46:47], exec, s[42:43]
	s_or_b64 s[40:41], s[46:47], s[40:41]
	v_mov_b64_e32 v[22:23], s[44:45]
	s_andn2_b64 exec, exec, s[40:41]
	s_cbranch_execz .LBB584_66
.LBB584_64:                             ; =>This Inner Loop Header: Depth=1
	s_or_b64 s[42:43], s[42:43], exec
	s_cmp_eq_u64 s[18:19], s[44:45]
	s_cbranch_scc0 .LBB584_62
; %bb.65:                               ;   in Loop: Header=BB584_64 Depth=1
                                        ; implicit-def: $vgpr16_vgpr17
                                        ; implicit-def: $vgpr20_vgpr21
	s_mov_b64 s[44:45], s[26:27]
	s_branch .LBB584_63
.LBB584_66:
	s_or_b64 exec, exec, s[40:41]
	v_cmp_gt_i64_e32 vcc, s[26:27], v[22:23]
	s_orn2_b64 s[18:19], vcc, exec
.LBB584_67:
	s_or_b64 exec, exec, s[38:39]
.LBB584_68:
	v_mul_lo_u32 v20, v11, s26
	v_mul_lo_u32 v21, v10, s27
	v_mad_u64_u32 v[16:17], s[38:39], v10, s26, 0
	v_add3_u32 v17, v17, v21, v20
	s_mov_b64 s[40:41], 0
	s_and_b64 vcc, exec, s[4:5]
	v_lshl_add_u64 v[16:17], v[16:17], 3, s[28:29]
	s_cbranch_vccnz .LBB584_77
; %bb.69:
	global_load_dwordx2 v[20:21], v[16:17], off
	global_load_dwordx2 v[22:23], v[18:19], off
	s_mov_b64 s[40:41], -1
	s_waitcnt vmcnt(0)
	v_cmp_eq_u64_e32 vcc, v[20:21], v[22:23]
	s_and_saveexec_b64 s[38:39], vcc
	s_cbranch_execz .LBB584_76
; %bb.70:
	s_add_u32 s40, s26, -1
	v_lshl_add_u64 v[18:19], v[18:19], 0, 8
	v_lshl_add_u64 v[20:21], v[16:17], 0, 8
	s_addc_u32 s41, s27, -1
	s_mov_b64 s[42:43], 0
	s_mov_b64 s[46:47], 0
                                        ; implicit-def: $sgpr44_sgpr45
	s_branch .LBB584_73
.LBB584_71:                             ;   in Loop: Header=BB584_73 Depth=1
	global_load_dwordx2 v[22:23], v[20:21], off
	global_load_dwordx2 v[32:33], v[18:19], off
	s_add_u32 s46, s46, 1
	s_addc_u32 s47, s47, 0
	s_andn2_b64 s[44:45], s[44:45], exec
	v_lshl_add_u64 v[18:19], v[18:19], 0, 8
	v_lshl_add_u64 v[20:21], v[20:21], 0, 8
	s_waitcnt vmcnt(0)
	v_cmp_ne_u64_e32 vcc, v[22:23], v[32:33]
	s_and_b64 s[48:49], vcc, exec
	s_or_b64 s[44:45], s[44:45], s[48:49]
.LBB584_72:                             ;   in Loop: Header=BB584_73 Depth=1
	s_and_b64 s[48:49], exec, s[44:45]
	s_or_b64 s[42:43], s[48:49], s[42:43]
	v_mov_b64_e32 v[22:23], s[46:47]
	s_andn2_b64 exec, exec, s[42:43]
	s_cbranch_execz .LBB584_75
.LBB584_73:                             ; =>This Inner Loop Header: Depth=1
	s_or_b64 s[44:45], s[44:45], exec
	s_cmp_eq_u64 s[40:41], s[46:47]
	s_cbranch_scc0 .LBB584_71
; %bb.74:                               ;   in Loop: Header=BB584_73 Depth=1
                                        ; implicit-def: $vgpr18_vgpr19
                                        ; implicit-def: $vgpr20_vgpr21
	s_mov_b64 s[46:47], s[26:27]
	s_branch .LBB584_72
.LBB584_75:
	s_or_b64 exec, exec, s[42:43]
	v_cmp_gt_i64_e32 vcc, s[26:27], v[22:23]
	s_orn2_b64 s[40:41], vcc, exec
.LBB584_76:
	s_or_b64 exec, exec, s[38:39]
.LBB584_77:
	v_cmp_ne_u32_e32 vcc, 0, v0
	s_waitcnt lgkmcnt(0)
	v_mov_b64_e32 v[18:19], s[6:7]
	s_barrier
	s_and_saveexec_b64 s[38:39], vcc
	s_cbranch_execz .LBB584_79
; %bb.78:
	v_add_u32_e32 v18, -8, v31
	ds_read_b64 v[18:19], v18
.LBB584_79:
	s_or_b64 exec, exec, s[38:39]
	v_cndmask_b32_e64 v21, 0, 1, s[36:37]
	v_cndmask_b32_e64 v20, 0, 1, s[18:19]
	;; [unrolled: 1-line block ×3, first 2 shown]
	v_lshlrev_b16_e32 v21, 8, v21
	v_lshlrev_b16_e32 v22, 8, v22
	v_or_b32_sdwa v23, v20, v21 dst_sel:WORD_1 dst_unused:UNUSED_PAD src0_sel:DWORD src1_sel:DWORD
	s_mov_b64 s[36:37], 0
	s_and_b64 vcc, exec, s[4:5]
	s_mov_b64 s[18:19], 0
	s_cbranch_vccnz .LBB584_88
; %bb.80:
	s_waitcnt lgkmcnt(0)
	v_mul_lo_u32 v20, v19, s26
	v_mul_lo_u32 v21, v18, s27
	v_mad_u64_u32 v[18:19], s[18:19], v18, s26, 0
	v_add3_u32 v19, v19, v21, v20
	v_lshl_add_u64 v[18:19], v[18:19], 3, s[28:29]
	global_load_dwordx2 v[20:21], v[18:19], off
	global_load_dwordx2 v[32:33], v[16:17], off
	s_mov_b64 s[18:19], -1
	s_waitcnt vmcnt(0)
	v_cmp_eq_u64_e32 vcc, v[20:21], v[32:33]
	s_and_saveexec_b64 s[38:39], vcc
	s_cbranch_execz .LBB584_87
; %bb.81:
	s_add_u32 s18, s26, -1
	v_lshl_add_u64 v[16:17], v[16:17], 0, 8
	v_lshl_add_u64 v[18:19], v[18:19], 0, 8
	s_addc_u32 s19, s27, -1
	s_mov_b64 s[40:41], 0
	s_mov_b64 s[44:45], 0
                                        ; implicit-def: $sgpr42_sgpr43
	s_branch .LBB584_84
.LBB584_82:                             ;   in Loop: Header=BB584_84 Depth=1
	global_load_dwordx2 v[20:21], v[18:19], off
	global_load_dwordx2 v[32:33], v[16:17], off
	s_add_u32 s44, s44, 1
	s_addc_u32 s45, s45, 0
	s_andn2_b64 s[42:43], s[42:43], exec
	v_lshl_add_u64 v[16:17], v[16:17], 0, 8
	v_lshl_add_u64 v[18:19], v[18:19], 0, 8
	s_waitcnt vmcnt(0)
	v_cmp_ne_u64_e32 vcc, v[20:21], v[32:33]
	s_and_b64 s[46:47], vcc, exec
	s_or_b64 s[42:43], s[42:43], s[46:47]
.LBB584_83:                             ;   in Loop: Header=BB584_84 Depth=1
	s_and_b64 s[46:47], exec, s[42:43]
	s_or_b64 s[40:41], s[46:47], s[40:41]
	v_mov_b64_e32 v[20:21], s[44:45]
	s_andn2_b64 exec, exec, s[40:41]
	s_cbranch_execz .LBB584_86
.LBB584_84:                             ; =>This Inner Loop Header: Depth=1
	s_or_b64 s[42:43], s[42:43], exec
	s_cmp_eq_u64 s[18:19], s[44:45]
	s_cbranch_scc0 .LBB584_82
; %bb.85:                               ;   in Loop: Header=BB584_84 Depth=1
                                        ; implicit-def: $vgpr16_vgpr17
                                        ; implicit-def: $vgpr18_vgpr19
	s_mov_b64 s[44:45], s[26:27]
	s_branch .LBB584_83
.LBB584_86:
	s_or_b64 exec, exec, s[40:41]
	v_cmp_gt_i64_e32 vcc, s[26:27], v[20:21]
	s_orn2_b64 s[18:19], vcc, exec
.LBB584_87:
	s_or_b64 exec, exec, s[38:39]
.LBB584_88:
	v_cndmask_b32_e64 v32, 0, 1, s[12:13]
	v_cndmask_b32_e64 v33, 0, 1, s[14:15]
	;; [unrolled: 1-line block ×3, first 2 shown]
	v_or_b32_e32 v20, v22, v23
	s_and_b64 vcc, exec, s[36:37]
	s_cbranch_vccz .LBB584_169
.LBB584_89:
	v_cmp_gt_u32_e32 vcc, s3, v27
	s_mov_b64 s[12:13], 0
	s_mov_b64 s[10:11], 0
	s_and_saveexec_b64 s[14:15], vcc
	s_cbranch_execz .LBB584_100
; %bb.90:
	s_and_b64 vcc, exec, s[4:5]
	s_mov_b64 s[18:19], 0
	s_cbranch_vccnz .LBB584_99
; %bb.91:
	s_waitcnt lgkmcnt(0)
	v_mul_lo_u32 v18, v5, s26
	v_mul_lo_u32 v19, v4, s27
	v_mad_u64_u32 v[16:17], s[10:11], v4, s26, 0
	v_add3_u32 v17, v17, v19, v18
	v_mul_lo_u32 v18, v15, s26
	v_mul_lo_u32 v19, v14, s27
	v_mad_u64_u32 v[20:21], s[10:11], v14, s26, 0
	v_add3_u32 v21, v21, v19, v18
	v_lshl_add_u64 v[18:19], v[16:17], 3, s[28:29]
	v_lshl_add_u64 v[16:17], v[20:21], 3, s[28:29]
	global_load_dwordx2 v[20:21], v[18:19], off
	global_load_dwordx2 v[22:23], v[16:17], off
	s_mov_b64 s[18:19], -1
	s_waitcnt vmcnt(0)
	v_cmp_eq_u64_e32 vcc, v[20:21], v[22:23]
	s_and_saveexec_b64 s[10:11], vcc
	s_cbranch_execz .LBB584_98
; %bb.92:
	s_add_u32 s18, s26, -1
	v_lshl_add_u64 v[16:17], v[16:17], 0, 8
	v_lshl_add_u64 v[18:19], v[18:19], 0, 8
	s_addc_u32 s19, s27, -1
	s_mov_b64 s[36:37], 0
	s_mov_b64 s[40:41], 0
                                        ; implicit-def: $sgpr38_sgpr39
	s_branch .LBB584_95
.LBB584_93:                             ;   in Loop: Header=BB584_95 Depth=1
	global_load_dwordx2 v[20:21], v[18:19], off
	global_load_dwordx2 v[22:23], v[16:17], off
	s_add_u32 s40, s40, 1
	s_addc_u32 s41, s41, 0
	s_andn2_b64 s[38:39], s[38:39], exec
	v_lshl_add_u64 v[16:17], v[16:17], 0, 8
	v_lshl_add_u64 v[18:19], v[18:19], 0, 8
	s_waitcnt vmcnt(0)
	v_cmp_ne_u64_e32 vcc, v[20:21], v[22:23]
	s_and_b64 s[42:43], vcc, exec
	s_or_b64 s[38:39], s[38:39], s[42:43]
.LBB584_94:                             ;   in Loop: Header=BB584_95 Depth=1
	s_and_b64 s[42:43], exec, s[38:39]
	s_or_b64 s[36:37], s[42:43], s[36:37]
	v_mov_b64_e32 v[20:21], s[40:41]
	s_andn2_b64 exec, exec, s[36:37]
	s_cbranch_execz .LBB584_97
.LBB584_95:                             ; =>This Inner Loop Header: Depth=1
	s_or_b64 s[38:39], s[38:39], exec
	s_cmp_eq_u64 s[18:19], s[40:41]
	s_cbranch_scc0 .LBB584_93
; %bb.96:                               ;   in Loop: Header=BB584_95 Depth=1
                                        ; implicit-def: $vgpr16_vgpr17
                                        ; implicit-def: $vgpr18_vgpr19
	s_mov_b64 s[40:41], s[26:27]
	s_branch .LBB584_94
.LBB584_97:
	s_or_b64 exec, exec, s[36:37]
	v_cmp_gt_i64_e32 vcc, s[26:27], v[20:21]
	s_orn2_b64 s[18:19], vcc, exec
.LBB584_98:
	s_or_b64 exec, exec, s[10:11]
.LBB584_99:
	s_and_b64 s[10:11], s[18:19], exec
.LBB584_100:
	s_or_b64 exec, exec, s[14:15]
	v_cmp_gt_u32_e32 vcc, s3, v29
	s_and_saveexec_b64 s[14:15], vcc
	s_cbranch_execz .LBB584_111
; %bb.101:
	s_and_b64 vcc, exec, s[4:5]
	s_mov_b64 s[18:19], 0
	s_cbranch_vccnz .LBB584_110
; %bb.102:
	s_waitcnt lgkmcnt(0)
	v_mul_lo_u32 v18, v3, s26
	v_mul_lo_u32 v19, v2, s27
	v_mad_u64_u32 v[16:17], s[12:13], v2, s26, 0
	v_add3_u32 v17, v17, v19, v18
	v_mul_lo_u32 v18, v5, s26
	v_mul_lo_u32 v19, v4, s27
	v_mad_u64_u32 v[20:21], s[12:13], v4, s26, 0
	v_add3_u32 v21, v21, v19, v18
	v_lshl_add_u64 v[18:19], v[16:17], 3, s[28:29]
	v_lshl_add_u64 v[16:17], v[20:21], 3, s[28:29]
	global_load_dwordx2 v[20:21], v[18:19], off
	global_load_dwordx2 v[22:23], v[16:17], off
	s_mov_b64 s[18:19], -1
	s_waitcnt vmcnt(0)
	v_cmp_eq_u64_e32 vcc, v[20:21], v[22:23]
	s_and_saveexec_b64 s[12:13], vcc
	s_cbranch_execz .LBB584_109
; %bb.103:
	s_add_u32 s18, s26, -1
	v_lshl_add_u64 v[16:17], v[16:17], 0, 8
	v_lshl_add_u64 v[18:19], v[18:19], 0, 8
	s_addc_u32 s19, s27, -1
	s_mov_b64 s[36:37], 0
	s_mov_b64 s[40:41], 0
                                        ; implicit-def: $sgpr38_sgpr39
	s_branch .LBB584_106
.LBB584_104:                            ;   in Loop: Header=BB584_106 Depth=1
	global_load_dwordx2 v[20:21], v[18:19], off
	global_load_dwordx2 v[22:23], v[16:17], off
	s_add_u32 s40, s40, 1
	s_addc_u32 s41, s41, 0
	s_andn2_b64 s[38:39], s[38:39], exec
	v_lshl_add_u64 v[16:17], v[16:17], 0, 8
	v_lshl_add_u64 v[18:19], v[18:19], 0, 8
	s_waitcnt vmcnt(0)
	v_cmp_ne_u64_e32 vcc, v[20:21], v[22:23]
	s_and_b64 s[42:43], vcc, exec
	s_or_b64 s[38:39], s[38:39], s[42:43]
.LBB584_105:                            ;   in Loop: Header=BB584_106 Depth=1
	s_and_b64 s[42:43], exec, s[38:39]
	s_or_b64 s[36:37], s[42:43], s[36:37]
	v_mov_b64_e32 v[20:21], s[40:41]
	s_andn2_b64 exec, exec, s[36:37]
	s_cbranch_execz .LBB584_108
.LBB584_106:                            ; =>This Inner Loop Header: Depth=1
	s_or_b64 s[38:39], s[38:39], exec
	s_cmp_eq_u64 s[18:19], s[40:41]
	s_cbranch_scc0 .LBB584_104
; %bb.107:                              ;   in Loop: Header=BB584_106 Depth=1
                                        ; implicit-def: $vgpr16_vgpr17
                                        ; implicit-def: $vgpr18_vgpr19
	s_mov_b64 s[40:41], s[26:27]
	s_branch .LBB584_105
.LBB584_108:
	s_or_b64 exec, exec, s[36:37]
	v_cmp_gt_i64_e32 vcc, s[26:27], v[20:21]
	s_orn2_b64 s[18:19], vcc, exec
.LBB584_109:
	s_or_b64 exec, exec, s[12:13]
.LBB584_110:
	s_and_b64 s[12:13], s[18:19], exec
.LBB584_111:
	s_or_b64 exec, exec, s[14:15]
	v_cmp_gt_u32_e32 vcc, s3, v26
	s_mov_b64 s[18:19], 0
	s_mov_b64 s[14:15], 0
	s_and_saveexec_b64 s[36:37], vcc
	s_cbranch_execz .LBB584_122
; %bb.112:
	s_and_b64 vcc, exec, s[4:5]
	s_mov_b64 s[38:39], 0
	s_cbranch_vccnz .LBB584_121
; %bb.113:
	s_waitcnt lgkmcnt(0)
	v_mul_lo_u32 v18, v9, s26
	v_mul_lo_u32 v19, v8, s27
	v_mad_u64_u32 v[16:17], s[14:15], v8, s26, 0
	v_add3_u32 v17, v17, v19, v18
	v_mul_lo_u32 v18, v3, s26
	v_mul_lo_u32 v19, v2, s27
	v_mad_u64_u32 v[20:21], s[14:15], v2, s26, 0
	v_add3_u32 v21, v21, v19, v18
	v_lshl_add_u64 v[18:19], v[16:17], 3, s[28:29]
	v_lshl_add_u64 v[16:17], v[20:21], 3, s[28:29]
	global_load_dwordx2 v[20:21], v[18:19], off
	global_load_dwordx2 v[22:23], v[16:17], off
	s_mov_b64 s[38:39], -1
	s_waitcnt vmcnt(0)
	v_cmp_eq_u64_e32 vcc, v[20:21], v[22:23]
	s_and_saveexec_b64 s[14:15], vcc
	s_cbranch_execz .LBB584_120
; %bb.114:
	s_add_u32 s38, s26, -1
	v_lshl_add_u64 v[16:17], v[16:17], 0, 8
	v_lshl_add_u64 v[18:19], v[18:19], 0, 8
	s_addc_u32 s39, s27, -1
	s_mov_b64 s[40:41], 0
	s_mov_b64 s[44:45], 0
                                        ; implicit-def: $sgpr42_sgpr43
	s_branch .LBB584_117
.LBB584_115:                            ;   in Loop: Header=BB584_117 Depth=1
	global_load_dwordx2 v[20:21], v[18:19], off
	global_load_dwordx2 v[22:23], v[16:17], off
	s_add_u32 s44, s44, 1
	s_addc_u32 s45, s45, 0
	s_andn2_b64 s[42:43], s[42:43], exec
	v_lshl_add_u64 v[16:17], v[16:17], 0, 8
	v_lshl_add_u64 v[18:19], v[18:19], 0, 8
	s_waitcnt vmcnt(0)
	v_cmp_ne_u64_e32 vcc, v[20:21], v[22:23]
	s_and_b64 s[46:47], vcc, exec
	s_or_b64 s[42:43], s[42:43], s[46:47]
.LBB584_116:                            ;   in Loop: Header=BB584_117 Depth=1
	s_and_b64 s[46:47], exec, s[42:43]
	s_or_b64 s[40:41], s[46:47], s[40:41]
	v_mov_b64_e32 v[20:21], s[44:45]
	s_andn2_b64 exec, exec, s[40:41]
	s_cbranch_execz .LBB584_119
.LBB584_117:                            ; =>This Inner Loop Header: Depth=1
	s_or_b64 s[42:43], s[42:43], exec
	s_cmp_eq_u64 s[38:39], s[44:45]
	s_cbranch_scc0 .LBB584_115
; %bb.118:                              ;   in Loop: Header=BB584_117 Depth=1
                                        ; implicit-def: $vgpr16_vgpr17
                                        ; implicit-def: $vgpr18_vgpr19
	s_mov_b64 s[44:45], s[26:27]
	s_branch .LBB584_116
.LBB584_119:
	s_or_b64 exec, exec, s[40:41]
	v_cmp_gt_i64_e32 vcc, s[26:27], v[20:21]
	s_orn2_b64 s[38:39], vcc, exec
.LBB584_120:
	s_or_b64 exec, exec, s[14:15]
.LBB584_121:
	s_and_b64 s[14:15], s[38:39], exec
.LBB584_122:
	s_or_b64 exec, exec, s[36:37]
	v_cmp_gt_u32_e32 vcc, s3, v28
	s_and_saveexec_b64 s[36:37], vcc
	s_cbranch_execz .LBB584_133
; %bb.123:
	s_and_b64 vcc, exec, s[4:5]
	s_mov_b64 s[38:39], 0
	s_cbranch_vccnz .LBB584_132
; %bb.124:
	s_waitcnt lgkmcnt(0)
	v_mul_lo_u32 v18, v7, s26
	v_mul_lo_u32 v19, v6, s27
	v_mad_u64_u32 v[16:17], s[18:19], v6, s26, 0
	v_add3_u32 v17, v17, v19, v18
	v_mul_lo_u32 v18, v9, s26
	v_mul_lo_u32 v19, v8, s27
	v_mad_u64_u32 v[20:21], s[18:19], v8, s26, 0
	v_add3_u32 v21, v21, v19, v18
	v_lshl_add_u64 v[18:19], v[16:17], 3, s[28:29]
	v_lshl_add_u64 v[16:17], v[20:21], 3, s[28:29]
	global_load_dwordx2 v[20:21], v[18:19], off
	global_load_dwordx2 v[22:23], v[16:17], off
	s_mov_b64 s[38:39], -1
	s_waitcnt vmcnt(0)
	v_cmp_eq_u64_e32 vcc, v[20:21], v[22:23]
	s_and_saveexec_b64 s[18:19], vcc
	s_cbranch_execz .LBB584_131
; %bb.125:
	s_add_u32 s38, s26, -1
	v_lshl_add_u64 v[16:17], v[16:17], 0, 8
	v_lshl_add_u64 v[18:19], v[18:19], 0, 8
	s_addc_u32 s39, s27, -1
	s_mov_b64 s[40:41], 0
	s_mov_b64 s[44:45], 0
                                        ; implicit-def: $sgpr42_sgpr43
	s_branch .LBB584_128
.LBB584_126:                            ;   in Loop: Header=BB584_128 Depth=1
	global_load_dwordx2 v[20:21], v[18:19], off
	global_load_dwordx2 v[22:23], v[16:17], off
	s_add_u32 s44, s44, 1
	s_addc_u32 s45, s45, 0
	s_andn2_b64 s[42:43], s[42:43], exec
	v_lshl_add_u64 v[16:17], v[16:17], 0, 8
	v_lshl_add_u64 v[18:19], v[18:19], 0, 8
	s_waitcnt vmcnt(0)
	v_cmp_ne_u64_e32 vcc, v[20:21], v[22:23]
	s_and_b64 s[46:47], vcc, exec
	s_or_b64 s[42:43], s[42:43], s[46:47]
.LBB584_127:                            ;   in Loop: Header=BB584_128 Depth=1
	s_and_b64 s[46:47], exec, s[42:43]
	s_or_b64 s[40:41], s[46:47], s[40:41]
	v_mov_b64_e32 v[20:21], s[44:45]
	s_andn2_b64 exec, exec, s[40:41]
	s_cbranch_execz .LBB584_130
.LBB584_128:                            ; =>This Inner Loop Header: Depth=1
	s_or_b64 s[42:43], s[42:43], exec
	s_cmp_eq_u64 s[38:39], s[44:45]
	s_cbranch_scc0 .LBB584_126
; %bb.129:                              ;   in Loop: Header=BB584_128 Depth=1
                                        ; implicit-def: $vgpr16_vgpr17
                                        ; implicit-def: $vgpr18_vgpr19
	s_mov_b64 s[44:45], s[26:27]
	s_branch .LBB584_127
.LBB584_130:
	s_or_b64 exec, exec, s[40:41]
	v_cmp_gt_i64_e32 vcc, s[26:27], v[20:21]
	s_orn2_b64 s[38:39], vcc, exec
.LBB584_131:
	s_or_b64 exec, exec, s[18:19]
.LBB584_132:
	s_and_b64 s[18:19], s[38:39], exec
.LBB584_133:
	s_or_b64 exec, exec, s[36:37]
	v_cmp_gt_u32_e32 vcc, s3, v24
	s_mov_b64 s[36:37], 0
	s_mov_b64 s[38:39], 0
	s_and_saveexec_b64 s[40:41], vcc
	s_cbranch_execz .LBB584_144
; %bb.134:
	s_and_b64 vcc, exec, s[4:5]
	s_mov_b64 s[42:43], 0
	s_cbranch_vccnz .LBB584_143
; %bb.135:
	s_waitcnt lgkmcnt(0)
	v_mul_lo_u32 v18, v13, s26
	v_mul_lo_u32 v19, v12, s27
	v_mad_u64_u32 v[16:17], s[38:39], v12, s26, 0
	v_add3_u32 v17, v17, v19, v18
	v_mul_lo_u32 v18, v7, s26
	v_mul_lo_u32 v19, v6, s27
	v_mad_u64_u32 v[20:21], s[38:39], v6, s26, 0
	v_add3_u32 v21, v21, v19, v18
	v_lshl_add_u64 v[18:19], v[16:17], 3, s[28:29]
	v_lshl_add_u64 v[16:17], v[20:21], 3, s[28:29]
	global_load_dwordx2 v[20:21], v[18:19], off
	global_load_dwordx2 v[22:23], v[16:17], off
	s_mov_b64 s[42:43], -1
	s_waitcnt vmcnt(0)
	v_cmp_eq_u64_e32 vcc, v[20:21], v[22:23]
	s_and_saveexec_b64 s[38:39], vcc
	s_cbranch_execz .LBB584_142
; %bb.136:
	s_add_u32 s42, s26, -1
	v_lshl_add_u64 v[16:17], v[16:17], 0, 8
	v_lshl_add_u64 v[18:19], v[18:19], 0, 8
	s_addc_u32 s43, s27, -1
	s_mov_b64 s[44:45], 0
	s_mov_b64 s[48:49], 0
                                        ; implicit-def: $sgpr46_sgpr47
	s_branch .LBB584_139
.LBB584_137:                            ;   in Loop: Header=BB584_139 Depth=1
	global_load_dwordx2 v[20:21], v[18:19], off
	global_load_dwordx2 v[22:23], v[16:17], off
	s_add_u32 s48, s48, 1
	s_addc_u32 s49, s49, 0
	s_andn2_b64 s[46:47], s[46:47], exec
	v_lshl_add_u64 v[16:17], v[16:17], 0, 8
	v_lshl_add_u64 v[18:19], v[18:19], 0, 8
	s_waitcnt vmcnt(0)
	v_cmp_ne_u64_e32 vcc, v[20:21], v[22:23]
	s_and_b64 s[50:51], vcc, exec
	s_or_b64 s[46:47], s[46:47], s[50:51]
.LBB584_138:                            ;   in Loop: Header=BB584_139 Depth=1
	s_and_b64 s[50:51], exec, s[46:47]
	s_or_b64 s[44:45], s[50:51], s[44:45]
	v_mov_b64_e32 v[20:21], s[48:49]
	s_andn2_b64 exec, exec, s[44:45]
	s_cbranch_execz .LBB584_141
.LBB584_139:                            ; =>This Inner Loop Header: Depth=1
	s_or_b64 s[46:47], s[46:47], exec
	s_cmp_eq_u64 s[42:43], s[48:49]
	s_cbranch_scc0 .LBB584_137
; %bb.140:                              ;   in Loop: Header=BB584_139 Depth=1
                                        ; implicit-def: $vgpr16_vgpr17
                                        ; implicit-def: $vgpr18_vgpr19
	s_mov_b64 s[48:49], s[26:27]
	s_branch .LBB584_138
.LBB584_141:
	s_or_b64 exec, exec, s[44:45]
	v_cmp_gt_i64_e32 vcc, s[26:27], v[20:21]
	s_orn2_b64 s[42:43], vcc, exec
.LBB584_142:
	s_or_b64 exec, exec, s[38:39]
.LBB584_143:
	s_and_b64 s[38:39], s[42:43], exec
.LBB584_144:
	s_or_b64 exec, exec, s[40:41]
	v_cmp_gt_u32_e32 vcc, s3, v25
	s_and_saveexec_b64 s[40:41], vcc
	s_cbranch_execz .LBB584_155
; %bb.145:
	s_and_b64 vcc, exec, s[4:5]
	s_mov_b64 s[42:43], 0
	s_cbranch_vccnz .LBB584_154
; %bb.146:
	s_waitcnt lgkmcnt(0)
	v_mul_lo_u32 v18, v11, s26
	v_mul_lo_u32 v19, v10, s27
	v_mad_u64_u32 v[16:17], s[36:37], v10, s26, 0
	v_add3_u32 v17, v17, v19, v18
	v_mul_lo_u32 v18, v13, s26
	v_mul_lo_u32 v19, v12, s27
	v_mad_u64_u32 v[20:21], s[36:37], v12, s26, 0
	v_add3_u32 v21, v21, v19, v18
	v_lshl_add_u64 v[18:19], v[16:17], 3, s[28:29]
	v_lshl_add_u64 v[16:17], v[20:21], 3, s[28:29]
	global_load_dwordx2 v[20:21], v[18:19], off
	global_load_dwordx2 v[22:23], v[16:17], off
	s_mov_b64 s[42:43], -1
	s_waitcnt vmcnt(0)
	v_cmp_eq_u64_e32 vcc, v[20:21], v[22:23]
	s_and_saveexec_b64 s[36:37], vcc
	s_cbranch_execz .LBB584_153
; %bb.147:
	s_add_u32 s42, s26, -1
	v_lshl_add_u64 v[16:17], v[16:17], 0, 8
	v_lshl_add_u64 v[18:19], v[18:19], 0, 8
	s_addc_u32 s43, s27, -1
	s_mov_b64 s[44:45], 0
	s_mov_b64 s[48:49], 0
                                        ; implicit-def: $sgpr46_sgpr47
	s_branch .LBB584_150
.LBB584_148:                            ;   in Loop: Header=BB584_150 Depth=1
	global_load_dwordx2 v[20:21], v[18:19], off
	global_load_dwordx2 v[22:23], v[16:17], off
	s_add_u32 s48, s48, 1
	s_addc_u32 s49, s49, 0
	s_andn2_b64 s[46:47], s[46:47], exec
	v_lshl_add_u64 v[16:17], v[16:17], 0, 8
	v_lshl_add_u64 v[18:19], v[18:19], 0, 8
	s_waitcnt vmcnt(0)
	v_cmp_ne_u64_e32 vcc, v[20:21], v[22:23]
	s_and_b64 s[50:51], vcc, exec
	s_or_b64 s[46:47], s[46:47], s[50:51]
.LBB584_149:                            ;   in Loop: Header=BB584_150 Depth=1
	s_and_b64 s[50:51], exec, s[46:47]
	s_or_b64 s[44:45], s[50:51], s[44:45]
	v_mov_b64_e32 v[20:21], s[48:49]
	s_andn2_b64 exec, exec, s[44:45]
	s_cbranch_execz .LBB584_152
.LBB584_150:                            ; =>This Inner Loop Header: Depth=1
	s_or_b64 s[46:47], s[46:47], exec
	s_cmp_eq_u64 s[42:43], s[48:49]
	s_cbranch_scc0 .LBB584_148
; %bb.151:                              ;   in Loop: Header=BB584_150 Depth=1
                                        ; implicit-def: $vgpr16_vgpr17
                                        ; implicit-def: $vgpr18_vgpr19
	s_mov_b64 s[48:49], s[26:27]
	s_branch .LBB584_149
.LBB584_152:
	s_or_b64 exec, exec, s[44:45]
	v_cmp_gt_i64_e32 vcc, s[26:27], v[20:21]
	s_orn2_b64 s[42:43], vcc, exec
.LBB584_153:
	s_or_b64 exec, exec, s[36:37]
.LBB584_154:
	s_and_b64 s[36:37], s[42:43], exec
.LBB584_155:
	s_or_b64 exec, exec, s[40:41]
	v_cmp_ne_u32_e32 vcc, 0, v0
	s_waitcnt lgkmcnt(0)
	v_mov_b64_e32 v[16:17], s[6:7]
	s_barrier
	s_and_saveexec_b64 s[6:7], vcc
	s_cbranch_execz .LBB584_157
; %bb.156:
	v_add_u32_e32 v16, -8, v31
	ds_read_b64 v[16:17], v16
.LBB584_157:
	s_or_b64 exec, exec, s[6:7]
	v_cndmask_b32_e64 v19, 0, 1, s[18:19]
	v_cndmask_b32_e64 v18, 0, 1, s[38:39]
	;; [unrolled: 1-line block ×3, first 2 shown]
	v_lshlrev_b16_e32 v19, 8, v19
	v_cmp_gt_u32_e32 vcc, s3, v1
	v_lshlrev_b16_e32 v22, 8, v20
	v_or_b32_sdwa v23, v18, v19 dst_sel:WORD_1 dst_unused:UNUSED_PAD src0_sel:DWORD src1_sel:DWORD
	s_mov_b64 s[18:19], 0
	s_and_saveexec_b64 s[6:7], vcc
	s_cbranch_execz .LBB584_168
; %bb.158:
	s_and_b64 vcc, exec, s[4:5]
	s_cbranch_vccnz .LBB584_167
; %bb.159:
	s_waitcnt lgkmcnt(0)
	v_mul_lo_u32 v18, v17, s26
	v_mul_lo_u32 v19, v16, s27
	v_mad_u64_u32 v[16:17], s[4:5], v16, s26, 0
	v_add3_u32 v17, v17, v19, v18
	v_mul_lo_u32 v18, v11, s26
	v_mul_lo_u32 v19, v10, s27
	v_mad_u64_u32 v[20:21], s[4:5], v10, s26, 0
	v_add3_u32 v21, v21, v19, v18
	v_lshl_add_u64 v[18:19], v[16:17], 3, s[28:29]
	v_lshl_add_u64 v[16:17], v[20:21], 3, s[28:29]
	global_load_dwordx2 v[20:21], v[18:19], off
	global_load_dwordx2 v[32:33], v[16:17], off
	s_mov_b64 s[18:19], -1
	s_waitcnt vmcnt(0)
	v_cmp_eq_u64_e32 vcc, v[20:21], v[32:33]
	s_and_saveexec_b64 s[4:5], vcc
	s_cbranch_execz .LBB584_166
; %bb.160:
	s_add_u32 s18, s26, -1
	v_lshl_add_u64 v[16:17], v[16:17], 0, 8
	v_lshl_add_u64 v[18:19], v[18:19], 0, 8
	s_addc_u32 s19, s27, -1
	s_mov_b64 s[36:37], 0
	s_mov_b64 s[40:41], 0
                                        ; implicit-def: $sgpr38_sgpr39
	s_branch .LBB584_163
.LBB584_161:                            ;   in Loop: Header=BB584_163 Depth=1
	global_load_dwordx2 v[20:21], v[18:19], off
	global_load_dwordx2 v[32:33], v[16:17], off
	s_add_u32 s40, s40, 1
	s_addc_u32 s41, s41, 0
	s_andn2_b64 s[38:39], s[38:39], exec
	v_lshl_add_u64 v[16:17], v[16:17], 0, 8
	v_lshl_add_u64 v[18:19], v[18:19], 0, 8
	s_waitcnt vmcnt(0)
	v_cmp_ne_u64_e32 vcc, v[20:21], v[32:33]
	s_and_b64 s[42:43], vcc, exec
	s_or_b64 s[38:39], s[38:39], s[42:43]
.LBB584_162:                            ;   in Loop: Header=BB584_163 Depth=1
	s_and_b64 s[42:43], exec, s[38:39]
	s_or_b64 s[36:37], s[42:43], s[36:37]
	v_mov_b64_e32 v[20:21], s[40:41]
	s_andn2_b64 exec, exec, s[36:37]
	s_cbranch_execz .LBB584_165
.LBB584_163:                            ; =>This Inner Loop Header: Depth=1
	s_or_b64 s[38:39], s[38:39], exec
	s_cmp_eq_u64 s[18:19], s[40:41]
	s_cbranch_scc0 .LBB584_161
; %bb.164:                              ;   in Loop: Header=BB584_163 Depth=1
                                        ; implicit-def: $vgpr16_vgpr17
                                        ; implicit-def: $vgpr18_vgpr19
	s_mov_b64 s[40:41], s[26:27]
	s_branch .LBB584_162
.LBB584_165:
	s_or_b64 exec, exec, s[36:37]
	v_cmp_gt_i64_e32 vcc, s[26:27], v[20:21]
	s_orn2_b64 s[18:19], vcc, exec
.LBB584_166:
	s_or_b64 exec, exec, s[4:5]
.LBB584_167:
	s_and_b64 s[18:19], s[18:19], exec
.LBB584_168:
	s_or_b64 exec, exec, s[6:7]
	v_cndmask_b32_e64 v32, 0, 1, s[14:15]
	v_cndmask_b32_e64 v33, 0, 1, s[12:13]
	;; [unrolled: 1-line block ×3, first 2 shown]
	v_or_b32_e32 v20, v22, v23
.LBB584_169:
	s_mov_b64 s[10:11], -1
	s_cbranch_execnz .LBB584_28
.LBB584_170:
	s_movk_i32 s4, 0xffd0
	v_mad_i32_i24 v30, v0, s4, v30
	s_mov_b64 s[12:13], 0
	s_waitcnt lgkmcnt(0)
	v_cmp_gt_i64_e64 s[6:7], s[26:27], 0
	s_and_b64 vcc, exec, s[34:35]
	ds_write_b64 v30, v[14:15]
	s_cbranch_vccz .LBB584_178
; %bb.171:
	v_mul_lo_u32 v18, v5, s26
	v_mul_lo_u32 v19, v4, s27
	v_mad_u64_u32 v[16:17], s[4:5], v4, s26, 0
	v_add3_u32 v17, v17, v19, v18
	v_cndmask_b32_e64 v18, 0, 1, s[6:7]
	v_cmp_ne_u32_e64 s[4:5], 1, v18
	s_andn2_b64 vcc, exec, s[6:7]
	v_lshl_add_u64 v[16:17], v[16:17], 3, s[28:29]
	s_cbranch_vccnz .LBB584_181
; %bb.172:
	v_mul_lo_u32 v20, v15, s26
	v_mul_lo_u32 v21, v14, s27
	v_mad_u64_u32 v[18:19], s[12:13], v14, s26, 0
	v_add3_u32 v19, v19, v21, v20
	v_lshl_add_u64 v[18:19], v[18:19], 3, s[28:29]
	global_load_dwordx2 v[20:21], v[16:17], off
	global_load_dwordx2 v[22:23], v[18:19], off
	s_mov_b64 s[12:13], -1
	s_waitcnt vmcnt(0)
	v_cmp_eq_u64_e32 vcc, v[20:21], v[22:23]
	s_and_saveexec_b64 s[14:15], vcc
	s_cbranch_execz .LBB584_180
; %bb.173:
	s_add_u32 s12, s26, -1
	v_lshl_add_u64 v[18:19], v[18:19], 0, 8
	v_lshl_add_u64 v[20:21], v[16:17], 0, 8
	s_addc_u32 s13, s27, -1
	s_mov_b64 s[18:19], 0
	s_mov_b64 s[38:39], 0
                                        ; implicit-def: $sgpr36_sgpr37
	s_branch .LBB584_176
.LBB584_174:                            ;   in Loop: Header=BB584_176 Depth=1
	global_load_dwordx2 v[22:23], v[20:21], off
	global_load_dwordx2 v[32:33], v[18:19], off
	s_add_u32 s38, s38, 1
	s_addc_u32 s39, s39, 0
	s_andn2_b64 s[36:37], s[36:37], exec
	v_lshl_add_u64 v[18:19], v[18:19], 0, 8
	v_lshl_add_u64 v[20:21], v[20:21], 0, 8
	s_waitcnt vmcnt(0)
	v_cmp_ne_u64_e32 vcc, v[22:23], v[32:33]
	s_and_b64 s[40:41], vcc, exec
	s_or_b64 s[36:37], s[36:37], s[40:41]
.LBB584_175:                            ;   in Loop: Header=BB584_176 Depth=1
	s_and_b64 s[40:41], exec, s[36:37]
	s_or_b64 s[18:19], s[40:41], s[18:19]
	v_mov_b64_e32 v[22:23], s[38:39]
	s_andn2_b64 exec, exec, s[18:19]
	s_cbranch_execz .LBB584_179
.LBB584_176:                            ; =>This Inner Loop Header: Depth=1
	s_or_b64 s[36:37], s[36:37], exec
	s_cmp_eq_u64 s[12:13], s[38:39]
	s_cbranch_scc0 .LBB584_174
; %bb.177:                              ;   in Loop: Header=BB584_176 Depth=1
                                        ; implicit-def: $vgpr18_vgpr19
                                        ; implicit-def: $vgpr20_vgpr21
	s_mov_b64 s[38:39], s[26:27]
	s_branch .LBB584_175
.LBB584_178:
                                        ; implicit-def: $sgpr18_sgpr19
                                        ; implicit-def: $vgpr34
                                        ; implicit-def: $vgpr33
                                        ; implicit-def: $vgpr32
                                        ; implicit-def: $vgpr20
                                        ; implicit-def: $vgpr16_vgpr17
	s_cbranch_execnz .LBB584_238
	s_branch .LBB584_318
.LBB584_179:
	s_or_b64 exec, exec, s[18:19]
	v_cmp_gt_i64_e32 vcc, s[26:27], v[22:23]
	s_orn2_b64 s[12:13], vcc, exec
.LBB584_180:
	s_or_b64 exec, exec, s[14:15]
.LBB584_181:
	v_mul_lo_u32 v20, v3, s26
	v_mul_lo_u32 v21, v2, s27
	v_mad_u64_u32 v[18:19], s[14:15], v2, s26, 0
	v_add3_u32 v19, v19, v21, v20
	s_mov_b64 s[14:15], 0
	s_and_b64 vcc, exec, s[4:5]
	v_lshl_add_u64 v[18:19], v[18:19], 3, s[28:29]
	s_mov_b64 s[18:19], 0
	s_cbranch_vccnz .LBB584_190
; %bb.182:
	global_load_dwordx2 v[20:21], v[18:19], off
	global_load_dwordx2 v[22:23], v[16:17], off
	s_mov_b64 s[18:19], -1
	s_waitcnt vmcnt(0)
	v_cmp_eq_u64_e32 vcc, v[20:21], v[22:23]
	s_and_saveexec_b64 s[36:37], vcc
	s_cbranch_execz .LBB584_189
; %bb.183:
	s_add_u32 s18, s26, -1
	v_lshl_add_u64 v[16:17], v[16:17], 0, 8
	v_lshl_add_u64 v[20:21], v[18:19], 0, 8
	s_addc_u32 s19, s27, -1
	s_mov_b64 s[38:39], 0
	s_mov_b64 s[42:43], 0
                                        ; implicit-def: $sgpr40_sgpr41
	s_branch .LBB584_186
.LBB584_184:                            ;   in Loop: Header=BB584_186 Depth=1
	global_load_dwordx2 v[22:23], v[20:21], off
	global_load_dwordx2 v[32:33], v[16:17], off
	s_add_u32 s42, s42, 1
	s_addc_u32 s43, s43, 0
	s_andn2_b64 s[40:41], s[40:41], exec
	v_lshl_add_u64 v[16:17], v[16:17], 0, 8
	v_lshl_add_u64 v[20:21], v[20:21], 0, 8
	s_waitcnt vmcnt(0)
	v_cmp_ne_u64_e32 vcc, v[22:23], v[32:33]
	s_and_b64 s[44:45], vcc, exec
	s_or_b64 s[40:41], s[40:41], s[44:45]
.LBB584_185:                            ;   in Loop: Header=BB584_186 Depth=1
	s_and_b64 s[44:45], exec, s[40:41]
	s_or_b64 s[38:39], s[44:45], s[38:39]
	v_mov_b64_e32 v[22:23], s[42:43]
	s_andn2_b64 exec, exec, s[38:39]
	s_cbranch_execz .LBB584_188
.LBB584_186:                            ; =>This Inner Loop Header: Depth=1
	s_or_b64 s[40:41], s[40:41], exec
	s_cmp_eq_u64 s[18:19], s[42:43]
	s_cbranch_scc0 .LBB584_184
; %bb.187:                              ;   in Loop: Header=BB584_186 Depth=1
                                        ; implicit-def: $vgpr16_vgpr17
                                        ; implicit-def: $vgpr20_vgpr21
	s_mov_b64 s[42:43], s[26:27]
	s_branch .LBB584_185
.LBB584_188:
	s_or_b64 exec, exec, s[38:39]
	v_cmp_gt_i64_e32 vcc, s[26:27], v[22:23]
	s_orn2_b64 s[18:19], vcc, exec
.LBB584_189:
	s_or_b64 exec, exec, s[36:37]
.LBB584_190:
	v_mul_lo_u32 v20, v9, s26
	v_mul_lo_u32 v21, v8, s27
	v_mad_u64_u32 v[16:17], s[36:37], v8, s26, 0
	v_add3_u32 v17, v17, v21, v20
	s_and_b64 vcc, exec, s[4:5]
	v_lshl_add_u64 v[16:17], v[16:17], 3, s[28:29]
	s_cbranch_vccnz .LBB584_199
; %bb.191:
	global_load_dwordx2 v[20:21], v[16:17], off
	global_load_dwordx2 v[22:23], v[18:19], off
	s_mov_b64 s[14:15], -1
	s_waitcnt vmcnt(0)
	v_cmp_eq_u64_e32 vcc, v[20:21], v[22:23]
	s_and_saveexec_b64 s[36:37], vcc
	s_cbranch_execz .LBB584_198
; %bb.192:
	s_add_u32 s14, s26, -1
	v_lshl_add_u64 v[18:19], v[18:19], 0, 8
	v_lshl_add_u64 v[20:21], v[16:17], 0, 8
	s_addc_u32 s15, s27, -1
	s_mov_b64 s[38:39], 0
	s_mov_b64 s[42:43], 0
                                        ; implicit-def: $sgpr40_sgpr41
	s_branch .LBB584_195
.LBB584_193:                            ;   in Loop: Header=BB584_195 Depth=1
	global_load_dwordx2 v[22:23], v[20:21], off
	global_load_dwordx2 v[32:33], v[18:19], off
	s_add_u32 s42, s42, 1
	s_addc_u32 s43, s43, 0
	s_andn2_b64 s[40:41], s[40:41], exec
	v_lshl_add_u64 v[18:19], v[18:19], 0, 8
	v_lshl_add_u64 v[20:21], v[20:21], 0, 8
	s_waitcnt vmcnt(0)
	v_cmp_ne_u64_e32 vcc, v[22:23], v[32:33]
	s_and_b64 s[44:45], vcc, exec
	s_or_b64 s[40:41], s[40:41], s[44:45]
.LBB584_194:                            ;   in Loop: Header=BB584_195 Depth=1
	s_and_b64 s[44:45], exec, s[40:41]
	s_or_b64 s[38:39], s[44:45], s[38:39]
	v_mov_b64_e32 v[22:23], s[42:43]
	s_andn2_b64 exec, exec, s[38:39]
	s_cbranch_execz .LBB584_197
.LBB584_195:                            ; =>This Inner Loop Header: Depth=1
	s_or_b64 s[40:41], s[40:41], exec
	s_cmp_eq_u64 s[14:15], s[42:43]
	s_cbranch_scc0 .LBB584_193
; %bb.196:                              ;   in Loop: Header=BB584_195 Depth=1
                                        ; implicit-def: $vgpr18_vgpr19
                                        ; implicit-def: $vgpr20_vgpr21
	s_mov_b64 s[42:43], s[26:27]
	s_branch .LBB584_194
.LBB584_197:
	s_or_b64 exec, exec, s[38:39]
	v_cmp_gt_i64_e32 vcc, s[26:27], v[22:23]
	s_orn2_b64 s[14:15], vcc, exec
.LBB584_198:
	s_or_b64 exec, exec, s[36:37]
.LBB584_199:
	v_mul_lo_u32 v20, v7, s26
	v_mul_lo_u32 v21, v6, s27
	v_mad_u64_u32 v[18:19], s[36:37], v6, s26, 0
	v_add3_u32 v19, v19, v21, v20
	s_mov_b64 s[36:37], 0
	s_and_b64 vcc, exec, s[4:5]
	v_lshl_add_u64 v[18:19], v[18:19], 3, s[28:29]
	s_mov_b64 s[38:39], 0
	s_cbranch_vccnz .LBB584_208
; %bb.200:
	global_load_dwordx2 v[20:21], v[18:19], off
	global_load_dwordx2 v[22:23], v[16:17], off
	s_mov_b64 s[38:39], -1
	s_waitcnt vmcnt(0)
	v_cmp_eq_u64_e32 vcc, v[20:21], v[22:23]
	s_and_saveexec_b64 s[40:41], vcc
	s_cbranch_execz .LBB584_207
; %bb.201:
	s_add_u32 s38, s26, -1
	v_lshl_add_u64 v[16:17], v[16:17], 0, 8
	v_lshl_add_u64 v[20:21], v[18:19], 0, 8
	s_addc_u32 s39, s27, -1
	s_mov_b64 s[42:43], 0
	s_mov_b64 s[46:47], 0
                                        ; implicit-def: $sgpr44_sgpr45
	s_branch .LBB584_204
.LBB584_202:                            ;   in Loop: Header=BB584_204 Depth=1
	global_load_dwordx2 v[22:23], v[20:21], off
	global_load_dwordx2 v[32:33], v[16:17], off
	s_add_u32 s46, s46, 1
	s_addc_u32 s47, s47, 0
	s_andn2_b64 s[44:45], s[44:45], exec
	v_lshl_add_u64 v[16:17], v[16:17], 0, 8
	v_lshl_add_u64 v[20:21], v[20:21], 0, 8
	s_waitcnt vmcnt(0)
	v_cmp_ne_u64_e32 vcc, v[22:23], v[32:33]
	s_and_b64 s[48:49], vcc, exec
	s_or_b64 s[44:45], s[44:45], s[48:49]
.LBB584_203:                            ;   in Loop: Header=BB584_204 Depth=1
	s_and_b64 s[48:49], exec, s[44:45]
	s_or_b64 s[42:43], s[48:49], s[42:43]
	v_mov_b64_e32 v[22:23], s[46:47]
	s_andn2_b64 exec, exec, s[42:43]
	s_cbranch_execz .LBB584_206
.LBB584_204:                            ; =>This Inner Loop Header: Depth=1
	s_or_b64 s[44:45], s[44:45], exec
	s_cmp_eq_u64 s[38:39], s[46:47]
	s_cbranch_scc0 .LBB584_202
; %bb.205:                              ;   in Loop: Header=BB584_204 Depth=1
                                        ; implicit-def: $vgpr16_vgpr17
                                        ; implicit-def: $vgpr20_vgpr21
	s_mov_b64 s[46:47], s[26:27]
	s_branch .LBB584_203
.LBB584_206:
	s_or_b64 exec, exec, s[42:43]
	v_cmp_gt_i64_e32 vcc, s[26:27], v[22:23]
	s_orn2_b64 s[38:39], vcc, exec
.LBB584_207:
	s_or_b64 exec, exec, s[40:41]
.LBB584_208:
	v_mul_lo_u32 v20, v13, s26
	v_mul_lo_u32 v21, v12, s27
	v_mad_u64_u32 v[16:17], s[40:41], v12, s26, 0
	v_add3_u32 v17, v17, v21, v20
	s_and_b64 vcc, exec, s[4:5]
	v_lshl_add_u64 v[16:17], v[16:17], 3, s[28:29]
	s_cbranch_vccnz .LBB584_217
; %bb.209:
	global_load_dwordx2 v[20:21], v[16:17], off
	global_load_dwordx2 v[22:23], v[18:19], off
	s_mov_b64 s[36:37], -1
	s_waitcnt vmcnt(0)
	v_cmp_eq_u64_e32 vcc, v[20:21], v[22:23]
	s_and_saveexec_b64 s[40:41], vcc
	s_cbranch_execz .LBB584_216
; %bb.210:
	s_add_u32 s36, s26, -1
	v_lshl_add_u64 v[18:19], v[18:19], 0, 8
	v_lshl_add_u64 v[20:21], v[16:17], 0, 8
	s_addc_u32 s37, s27, -1
	s_mov_b64 s[42:43], 0
	s_mov_b64 s[46:47], 0
                                        ; implicit-def: $sgpr44_sgpr45
	s_branch .LBB584_213
.LBB584_211:                            ;   in Loop: Header=BB584_213 Depth=1
	global_load_dwordx2 v[22:23], v[20:21], off
	global_load_dwordx2 v[32:33], v[18:19], off
	s_add_u32 s46, s46, 1
	s_addc_u32 s47, s47, 0
	s_andn2_b64 s[44:45], s[44:45], exec
	v_lshl_add_u64 v[18:19], v[18:19], 0, 8
	v_lshl_add_u64 v[20:21], v[20:21], 0, 8
	s_waitcnt vmcnt(0)
	v_cmp_ne_u64_e32 vcc, v[22:23], v[32:33]
	s_and_b64 s[48:49], vcc, exec
	s_or_b64 s[44:45], s[44:45], s[48:49]
.LBB584_212:                            ;   in Loop: Header=BB584_213 Depth=1
	s_and_b64 s[48:49], exec, s[44:45]
	s_or_b64 s[42:43], s[48:49], s[42:43]
	v_mov_b64_e32 v[22:23], s[46:47]
	s_andn2_b64 exec, exec, s[42:43]
	s_cbranch_execz .LBB584_215
.LBB584_213:                            ; =>This Inner Loop Header: Depth=1
	s_or_b64 s[44:45], s[44:45], exec
	s_cmp_eq_u64 s[36:37], s[46:47]
	s_cbranch_scc0 .LBB584_211
; %bb.214:                              ;   in Loop: Header=BB584_213 Depth=1
                                        ; implicit-def: $vgpr18_vgpr19
                                        ; implicit-def: $vgpr20_vgpr21
	s_mov_b64 s[46:47], s[26:27]
	s_branch .LBB584_212
.LBB584_215:
	s_or_b64 exec, exec, s[42:43]
	v_cmp_gt_i64_e32 vcc, s[26:27], v[22:23]
	s_orn2_b64 s[36:37], vcc, exec
.LBB584_216:
	s_or_b64 exec, exec, s[40:41]
.LBB584_217:
	v_mul_lo_u32 v20, v11, s26
	v_mul_lo_u32 v21, v10, s27
	v_mad_u64_u32 v[18:19], s[40:41], v10, s26, 0
	v_add3_u32 v19, v19, v21, v20
	s_and_b64 vcc, exec, s[4:5]
	s_mov_b64 s[42:43], 0
	s_cbranch_vccnz .LBB584_226
; %bb.218:
	v_lshl_add_u64 v[20:21], v[18:19], 3, s[28:29]
	global_load_dwordx2 v[22:23], v[20:21], off
	global_load_dwordx2 v[32:33], v[16:17], off
	s_mov_b64 s[42:43], -1
	s_waitcnt vmcnt(0)
	v_cmp_eq_u64_e32 vcc, v[22:23], v[32:33]
	s_and_saveexec_b64 s[40:41], vcc
	s_cbranch_execz .LBB584_225
; %bb.219:
	s_add_u32 s42, s26, -1
	v_lshl_add_u64 v[16:17], v[16:17], 0, 8
	v_lshl_add_u64 v[20:21], v[20:21], 0, 8
	s_addc_u32 s43, s27, -1
	s_mov_b64 s[44:45], 0
	s_mov_b64 s[48:49], 0
                                        ; implicit-def: $sgpr46_sgpr47
	s_branch .LBB584_222
.LBB584_220:                            ;   in Loop: Header=BB584_222 Depth=1
	global_load_dwordx2 v[22:23], v[20:21], off
	global_load_dwordx2 v[32:33], v[16:17], off
	s_add_u32 s48, s48, 1
	s_addc_u32 s49, s49, 0
	s_andn2_b64 s[46:47], s[46:47], exec
	v_lshl_add_u64 v[16:17], v[16:17], 0, 8
	v_lshl_add_u64 v[20:21], v[20:21], 0, 8
	s_waitcnt vmcnt(0)
	v_cmp_ne_u64_e32 vcc, v[22:23], v[32:33]
	s_and_b64 s[50:51], vcc, exec
	s_or_b64 s[46:47], s[46:47], s[50:51]
.LBB584_221:                            ;   in Loop: Header=BB584_222 Depth=1
	s_and_b64 s[50:51], exec, s[46:47]
	s_or_b64 s[44:45], s[50:51], s[44:45]
	v_mov_b64_e32 v[22:23], s[48:49]
	s_andn2_b64 exec, exec, s[44:45]
	s_cbranch_execz .LBB584_224
.LBB584_222:                            ; =>This Inner Loop Header: Depth=1
	s_or_b64 s[46:47], s[46:47], exec
	s_cmp_eq_u64 s[42:43], s[48:49]
	s_cbranch_scc0 .LBB584_220
; %bb.223:                              ;   in Loop: Header=BB584_222 Depth=1
                                        ; implicit-def: $vgpr16_vgpr17
                                        ; implicit-def: $vgpr20_vgpr21
	s_mov_b64 s[48:49], s[26:27]
	s_branch .LBB584_221
.LBB584_224:
	s_or_b64 exec, exec, s[44:45]
	v_cmp_gt_i64_e32 vcc, s[26:27], v[22:23]
	s_orn2_b64 s[42:43], vcc, exec
.LBB584_225:
	s_or_b64 exec, exec, s[40:41]
.LBB584_226:
	v_cndmask_b32_e64 v17, 0, 1, s[38:39]
	v_cndmask_b32_e64 v16, 0, 1, s[36:37]
	;; [unrolled: 1-line block ×3, first 2 shown]
	v_lshlrev_b16_e32 v17, 8, v17
	v_cndmask_b32_e64 v32, 0, 1, s[14:15]
	v_cndmask_b32_e64 v20, 0, 1, s[42:43]
	v_or_b32_sdwa v16, v16, v17 dst_sel:WORD_1 dst_unused:UNUSED_PAD src0_sel:DWORD src1_sel:DWORD
	v_lshlrev_b16_e32 v17, 8, v33
	v_lshlrev_b16_e32 v20, 8, v20
	v_or_b32_e32 v17, v32, v17
	v_or_b32_e32 v20, 1, v20
	v_and_b32_e32 v17, 0xffff, v17
	v_cndmask_b32_e64 v34, 0, 1, s[12:13]
	v_or_b32_sdwa v16, v20, v16 dst_sel:DWORD dst_unused:UNUSED_PAD src0_sel:WORD_0 src1_sel:DWORD
	v_lshl_or_b32 v17, v34, 16, v17
	v_cmp_ne_u32_e32 vcc, 0, v0
	s_waitcnt lgkmcnt(0)
	s_barrier
	s_waitcnt lgkmcnt(0)
                                        ; implicit-def: $sgpr18_sgpr19
                                        ; implicit-def: $vgpr20
	s_and_saveexec_b64 s[12:13], vcc
	s_xor_b64 s[12:13], exec, s[12:13]
	s_cbranch_execz .LBB584_237
; %bb.227:
	s_mov_b32 s33, 0x3020104
	s_and_b64 vcc, exec, s[4:5]
	s_mov_b64 s[14:15], 0
	s_cbranch_vccnz .LBB584_236
; %bb.228:
	v_add_u32_e32 v17, -8, v30
	ds_read_b64 v[20:21], v17
	v_lshl_add_u64 v[18:19], v[18:19], 3, s[28:29]
	s_mov_b64 s[14:15], -1
	s_waitcnt lgkmcnt(0)
	v_mul_lo_u32 v17, v21, s26
	v_mul_lo_u32 v22, v20, s27
	v_mad_u64_u32 v[20:21], s[4:5], v20, s26, 0
	v_add3_u32 v21, v21, v22, v17
	v_lshl_add_u64 v[20:21], v[20:21], 3, s[28:29]
	global_load_dwordx2 v[22:23], v[20:21], off
	global_load_dwordx2 v[36:37], v[18:19], off
	s_waitcnt vmcnt(0)
	v_cmp_eq_u64_e32 vcc, v[22:23], v[36:37]
	s_and_saveexec_b64 s[4:5], vcc
	s_cbranch_execz .LBB584_235
; %bb.229:
	s_add_u32 s14, s26, -1
	v_lshl_add_u64 v[18:19], v[18:19], 0, 8
	v_lshl_add_u64 v[20:21], v[20:21], 0, 8
	s_addc_u32 s15, s27, -1
	s_mov_b64 s[18:19], 0
	s_mov_b64 s[38:39], 0
                                        ; implicit-def: $sgpr36_sgpr37
	s_branch .LBB584_232
.LBB584_230:                            ;   in Loop: Header=BB584_232 Depth=1
	global_load_dwordx2 v[22:23], v[20:21], off
	global_load_dwordx2 v[36:37], v[18:19], off
	s_add_u32 s38, s38, 1
	s_addc_u32 s39, s39, 0
	s_andn2_b64 s[36:37], s[36:37], exec
	v_lshl_add_u64 v[18:19], v[18:19], 0, 8
	v_lshl_add_u64 v[20:21], v[20:21], 0, 8
	s_waitcnt vmcnt(0)
	v_cmp_ne_u64_e32 vcc, v[22:23], v[36:37]
	s_and_b64 s[40:41], vcc, exec
	s_or_b64 s[36:37], s[36:37], s[40:41]
.LBB584_231:                            ;   in Loop: Header=BB584_232 Depth=1
	s_and_b64 s[40:41], exec, s[36:37]
	s_or_b64 s[18:19], s[40:41], s[18:19]
	v_mov_b64_e32 v[22:23], s[38:39]
	s_andn2_b64 exec, exec, s[18:19]
	s_cbranch_execz .LBB584_234
.LBB584_232:                            ; =>This Inner Loop Header: Depth=1
	s_or_b64 s[36:37], s[36:37], exec
	s_cmp_eq_u64 s[14:15], s[38:39]
	s_cbranch_scc0 .LBB584_230
; %bb.233:                              ;   in Loop: Header=BB584_232 Depth=1
                                        ; implicit-def: $vgpr18_vgpr19
                                        ; implicit-def: $vgpr20_vgpr21
	s_mov_b64 s[38:39], s[26:27]
	s_branch .LBB584_231
.LBB584_234:
	s_or_b64 exec, exec, s[18:19]
	v_cmp_gt_i64_e32 vcc, s[26:27], v[22:23]
	s_orn2_b64 s[14:15], vcc, exec
.LBB584_235:
	s_or_b64 exec, exec, s[4:5]
.LBB584_236:
	v_perm_b32 v20, v16, v16, s33
	s_and_b64 s[18:19], s[14:15], exec
	s_or_b64 s[10:11], s[10:11], exec
                                        ; implicit-def: $vgpr16_vgpr17
.LBB584_237:
	s_or_b64 exec, exec, s[12:13]
	s_branch .LBB584_318
.LBB584_238:
	v_cmp_gt_u32_e32 vcc, s3, v27
	s_mov_b64 s[12:13], 0
	s_mov_b64 s[4:5], 0
	s_and_saveexec_b64 s[14:15], vcc
	s_cbranch_execz .LBB584_249
; %bb.239:
	s_andn2_b64 vcc, exec, s[6:7]
	s_mov_b64 s[18:19], 0
	s_cbranch_vccnz .LBB584_248
; %bb.240:
	v_mul_lo_u32 v18, v5, s26
	v_mul_lo_u32 v19, v4, s27
	v_mad_u64_u32 v[16:17], s[4:5], v4, s26, 0
	v_add3_u32 v17, v17, v19, v18
	v_mul_lo_u32 v18, v15, s26
	v_mul_lo_u32 v19, v14, s27
	v_mad_u64_u32 v[20:21], s[4:5], v14, s26, 0
	v_add3_u32 v21, v21, v19, v18
	v_lshl_add_u64 v[18:19], v[16:17], 3, s[28:29]
	v_lshl_add_u64 v[16:17], v[20:21], 3, s[28:29]
	global_load_dwordx2 v[20:21], v[18:19], off
	global_load_dwordx2 v[22:23], v[16:17], off
	s_mov_b64 s[18:19], -1
	s_waitcnt vmcnt(0)
	v_cmp_eq_u64_e32 vcc, v[20:21], v[22:23]
	s_and_saveexec_b64 s[4:5], vcc
	s_cbranch_execz .LBB584_247
; %bb.241:
	s_add_u32 s18, s26, -1
	v_lshl_add_u64 v[16:17], v[16:17], 0, 8
	v_lshl_add_u64 v[18:19], v[18:19], 0, 8
	s_addc_u32 s19, s27, -1
	s_mov_b64 s[36:37], 0
	s_mov_b64 s[40:41], 0
                                        ; implicit-def: $sgpr38_sgpr39
	s_branch .LBB584_244
.LBB584_242:                            ;   in Loop: Header=BB584_244 Depth=1
	global_load_dwordx2 v[20:21], v[18:19], off
	global_load_dwordx2 v[22:23], v[16:17], off
	s_add_u32 s40, s40, 1
	s_addc_u32 s41, s41, 0
	s_andn2_b64 s[38:39], s[38:39], exec
	v_lshl_add_u64 v[16:17], v[16:17], 0, 8
	v_lshl_add_u64 v[18:19], v[18:19], 0, 8
	s_waitcnt vmcnt(0)
	v_cmp_ne_u64_e32 vcc, v[20:21], v[22:23]
	s_and_b64 s[42:43], vcc, exec
	s_or_b64 s[38:39], s[38:39], s[42:43]
.LBB584_243:                            ;   in Loop: Header=BB584_244 Depth=1
	s_and_b64 s[42:43], exec, s[38:39]
	s_or_b64 s[36:37], s[42:43], s[36:37]
	v_mov_b64_e32 v[20:21], s[40:41]
	s_andn2_b64 exec, exec, s[36:37]
	s_cbranch_execz .LBB584_246
.LBB584_244:                            ; =>This Inner Loop Header: Depth=1
	s_or_b64 s[38:39], s[38:39], exec
	s_cmp_eq_u64 s[18:19], s[40:41]
	s_cbranch_scc0 .LBB584_242
; %bb.245:                              ;   in Loop: Header=BB584_244 Depth=1
                                        ; implicit-def: $vgpr16_vgpr17
                                        ; implicit-def: $vgpr18_vgpr19
	s_mov_b64 s[40:41], s[26:27]
	s_branch .LBB584_243
.LBB584_246:
	s_or_b64 exec, exec, s[36:37]
	v_cmp_gt_i64_e32 vcc, s[26:27], v[20:21]
	s_orn2_b64 s[18:19], vcc, exec
.LBB584_247:
	s_or_b64 exec, exec, s[4:5]
.LBB584_248:
	s_and_b64 s[4:5], s[18:19], exec
.LBB584_249:
	s_or_b64 exec, exec, s[14:15]
	v_cmp_gt_u32_e32 vcc, s3, v29
	s_and_saveexec_b64 s[14:15], vcc
	s_cbranch_execz .LBB584_260
; %bb.250:
	s_andn2_b64 vcc, exec, s[6:7]
	s_mov_b64 s[18:19], 0
	s_cbranch_vccnz .LBB584_259
; %bb.251:
	v_mul_lo_u32 v18, v3, s26
	v_mul_lo_u32 v19, v2, s27
	v_mad_u64_u32 v[16:17], s[12:13], v2, s26, 0
	v_add3_u32 v17, v17, v19, v18
	v_mul_lo_u32 v18, v5, s26
	v_mul_lo_u32 v19, v4, s27
	v_mad_u64_u32 v[20:21], s[12:13], v4, s26, 0
	v_add3_u32 v21, v21, v19, v18
	v_lshl_add_u64 v[18:19], v[16:17], 3, s[28:29]
	v_lshl_add_u64 v[16:17], v[20:21], 3, s[28:29]
	global_load_dwordx2 v[20:21], v[18:19], off
	global_load_dwordx2 v[22:23], v[16:17], off
	s_mov_b64 s[18:19], -1
	s_waitcnt vmcnt(0)
	v_cmp_eq_u64_e32 vcc, v[20:21], v[22:23]
	s_and_saveexec_b64 s[12:13], vcc
	s_cbranch_execz .LBB584_258
; %bb.252:
	s_add_u32 s18, s26, -1
	v_lshl_add_u64 v[16:17], v[16:17], 0, 8
	v_lshl_add_u64 v[18:19], v[18:19], 0, 8
	s_addc_u32 s19, s27, -1
	s_mov_b64 s[36:37], 0
	s_mov_b64 s[40:41], 0
                                        ; implicit-def: $sgpr38_sgpr39
	s_branch .LBB584_255
.LBB584_253:                            ;   in Loop: Header=BB584_255 Depth=1
	global_load_dwordx2 v[20:21], v[18:19], off
	global_load_dwordx2 v[22:23], v[16:17], off
	s_add_u32 s40, s40, 1
	s_addc_u32 s41, s41, 0
	s_andn2_b64 s[38:39], s[38:39], exec
	v_lshl_add_u64 v[16:17], v[16:17], 0, 8
	v_lshl_add_u64 v[18:19], v[18:19], 0, 8
	s_waitcnt vmcnt(0)
	v_cmp_ne_u64_e32 vcc, v[20:21], v[22:23]
	s_and_b64 s[42:43], vcc, exec
	s_or_b64 s[38:39], s[38:39], s[42:43]
.LBB584_254:                            ;   in Loop: Header=BB584_255 Depth=1
	s_and_b64 s[42:43], exec, s[38:39]
	s_or_b64 s[36:37], s[42:43], s[36:37]
	v_mov_b64_e32 v[20:21], s[40:41]
	s_andn2_b64 exec, exec, s[36:37]
	s_cbranch_execz .LBB584_257
.LBB584_255:                            ; =>This Inner Loop Header: Depth=1
	s_or_b64 s[38:39], s[38:39], exec
	s_cmp_eq_u64 s[18:19], s[40:41]
	s_cbranch_scc0 .LBB584_253
; %bb.256:                              ;   in Loop: Header=BB584_255 Depth=1
                                        ; implicit-def: $vgpr16_vgpr17
                                        ; implicit-def: $vgpr18_vgpr19
	s_mov_b64 s[40:41], s[26:27]
	s_branch .LBB584_254
.LBB584_257:
	s_or_b64 exec, exec, s[36:37]
	v_cmp_gt_i64_e32 vcc, s[26:27], v[20:21]
	s_orn2_b64 s[18:19], vcc, exec
.LBB584_258:
	s_or_b64 exec, exec, s[12:13]
.LBB584_259:
	s_and_b64 s[12:13], s[18:19], exec
.LBB584_260:
	s_or_b64 exec, exec, s[14:15]
	v_cmp_gt_u32_e32 vcc, s3, v26
	s_mov_b64 s[18:19], 0
	s_mov_b64 s[14:15], 0
	s_and_saveexec_b64 s[36:37], vcc
	s_cbranch_execz .LBB584_271
; %bb.261:
	s_andn2_b64 vcc, exec, s[6:7]
	s_mov_b64 s[38:39], 0
	s_cbranch_vccnz .LBB584_270
; %bb.262:
	v_mul_lo_u32 v18, v9, s26
	v_mul_lo_u32 v19, v8, s27
	v_mad_u64_u32 v[16:17], s[14:15], v8, s26, 0
	v_add3_u32 v17, v17, v19, v18
	v_mul_lo_u32 v18, v3, s26
	v_mul_lo_u32 v19, v2, s27
	v_mad_u64_u32 v[20:21], s[14:15], v2, s26, 0
	v_add3_u32 v21, v21, v19, v18
	v_lshl_add_u64 v[18:19], v[16:17], 3, s[28:29]
	v_lshl_add_u64 v[16:17], v[20:21], 3, s[28:29]
	global_load_dwordx2 v[20:21], v[18:19], off
	global_load_dwordx2 v[22:23], v[16:17], off
	s_mov_b64 s[38:39], -1
	s_waitcnt vmcnt(0)
	v_cmp_eq_u64_e32 vcc, v[20:21], v[22:23]
	s_and_saveexec_b64 s[14:15], vcc
	s_cbranch_execz .LBB584_269
; %bb.263:
	s_add_u32 s38, s26, -1
	v_lshl_add_u64 v[16:17], v[16:17], 0, 8
	v_lshl_add_u64 v[18:19], v[18:19], 0, 8
	s_addc_u32 s39, s27, -1
	s_mov_b64 s[40:41], 0
	s_mov_b64 s[44:45], 0
                                        ; implicit-def: $sgpr42_sgpr43
	s_branch .LBB584_266
.LBB584_264:                            ;   in Loop: Header=BB584_266 Depth=1
	global_load_dwordx2 v[20:21], v[18:19], off
	global_load_dwordx2 v[22:23], v[16:17], off
	s_add_u32 s44, s44, 1
	s_addc_u32 s45, s45, 0
	s_andn2_b64 s[42:43], s[42:43], exec
	v_lshl_add_u64 v[16:17], v[16:17], 0, 8
	v_lshl_add_u64 v[18:19], v[18:19], 0, 8
	s_waitcnt vmcnt(0)
	v_cmp_ne_u64_e32 vcc, v[20:21], v[22:23]
	s_and_b64 s[46:47], vcc, exec
	s_or_b64 s[42:43], s[42:43], s[46:47]
.LBB584_265:                            ;   in Loop: Header=BB584_266 Depth=1
	s_and_b64 s[46:47], exec, s[42:43]
	s_or_b64 s[40:41], s[46:47], s[40:41]
	v_mov_b64_e32 v[20:21], s[44:45]
	s_andn2_b64 exec, exec, s[40:41]
	s_cbranch_execz .LBB584_268
.LBB584_266:                            ; =>This Inner Loop Header: Depth=1
	s_or_b64 s[42:43], s[42:43], exec
	s_cmp_eq_u64 s[38:39], s[44:45]
	s_cbranch_scc0 .LBB584_264
; %bb.267:                              ;   in Loop: Header=BB584_266 Depth=1
                                        ; implicit-def: $vgpr16_vgpr17
                                        ; implicit-def: $vgpr18_vgpr19
	s_mov_b64 s[44:45], s[26:27]
	s_branch .LBB584_265
.LBB584_268:
	s_or_b64 exec, exec, s[40:41]
	v_cmp_gt_i64_e32 vcc, s[26:27], v[20:21]
	s_orn2_b64 s[38:39], vcc, exec
.LBB584_269:
	s_or_b64 exec, exec, s[14:15]
.LBB584_270:
	s_and_b64 s[14:15], s[38:39], exec
.LBB584_271:
	s_or_b64 exec, exec, s[36:37]
	v_cmp_gt_u32_e32 vcc, s3, v28
	s_and_saveexec_b64 s[36:37], vcc
	s_cbranch_execz .LBB584_282
; %bb.272:
	s_andn2_b64 vcc, exec, s[6:7]
	s_mov_b64 s[38:39], 0
	s_cbranch_vccnz .LBB584_281
; %bb.273:
	v_mul_lo_u32 v18, v7, s26
	v_mul_lo_u32 v19, v6, s27
	v_mad_u64_u32 v[16:17], s[18:19], v6, s26, 0
	v_add3_u32 v17, v17, v19, v18
	v_mul_lo_u32 v18, v9, s26
	v_mul_lo_u32 v19, v8, s27
	v_mad_u64_u32 v[20:21], s[18:19], v8, s26, 0
	v_add3_u32 v21, v21, v19, v18
	v_lshl_add_u64 v[18:19], v[16:17], 3, s[28:29]
	v_lshl_add_u64 v[16:17], v[20:21], 3, s[28:29]
	global_load_dwordx2 v[20:21], v[18:19], off
	global_load_dwordx2 v[22:23], v[16:17], off
	s_mov_b64 s[38:39], -1
	s_waitcnt vmcnt(0)
	v_cmp_eq_u64_e32 vcc, v[20:21], v[22:23]
	s_and_saveexec_b64 s[18:19], vcc
	s_cbranch_execz .LBB584_280
; %bb.274:
	s_add_u32 s38, s26, -1
	v_lshl_add_u64 v[16:17], v[16:17], 0, 8
	v_lshl_add_u64 v[18:19], v[18:19], 0, 8
	s_addc_u32 s39, s27, -1
	s_mov_b64 s[40:41], 0
	s_mov_b64 s[44:45], 0
                                        ; implicit-def: $sgpr42_sgpr43
	s_branch .LBB584_277
.LBB584_275:                            ;   in Loop: Header=BB584_277 Depth=1
	global_load_dwordx2 v[20:21], v[18:19], off
	global_load_dwordx2 v[22:23], v[16:17], off
	s_add_u32 s44, s44, 1
	s_addc_u32 s45, s45, 0
	s_andn2_b64 s[42:43], s[42:43], exec
	v_lshl_add_u64 v[16:17], v[16:17], 0, 8
	v_lshl_add_u64 v[18:19], v[18:19], 0, 8
	s_waitcnt vmcnt(0)
	v_cmp_ne_u64_e32 vcc, v[20:21], v[22:23]
	s_and_b64 s[46:47], vcc, exec
	s_or_b64 s[42:43], s[42:43], s[46:47]
.LBB584_276:                            ;   in Loop: Header=BB584_277 Depth=1
	s_and_b64 s[46:47], exec, s[42:43]
	s_or_b64 s[40:41], s[46:47], s[40:41]
	v_mov_b64_e32 v[20:21], s[44:45]
	s_andn2_b64 exec, exec, s[40:41]
	s_cbranch_execz .LBB584_279
.LBB584_277:                            ; =>This Inner Loop Header: Depth=1
	s_or_b64 s[42:43], s[42:43], exec
	s_cmp_eq_u64 s[38:39], s[44:45]
	s_cbranch_scc0 .LBB584_275
; %bb.278:                              ;   in Loop: Header=BB584_277 Depth=1
                                        ; implicit-def: $vgpr16_vgpr17
                                        ; implicit-def: $vgpr18_vgpr19
	s_mov_b64 s[44:45], s[26:27]
	s_branch .LBB584_276
.LBB584_279:
	s_or_b64 exec, exec, s[40:41]
	v_cmp_gt_i64_e32 vcc, s[26:27], v[20:21]
	s_orn2_b64 s[38:39], vcc, exec
.LBB584_280:
	s_or_b64 exec, exec, s[18:19]
.LBB584_281:
	s_and_b64 s[18:19], s[38:39], exec
.LBB584_282:
	s_or_b64 exec, exec, s[36:37]
	v_cmp_gt_u32_e32 vcc, s3, v24
	s_mov_b64 s[36:37], 0
	s_mov_b64 s[38:39], 0
	s_and_saveexec_b64 s[40:41], vcc
	s_cbranch_execz .LBB584_293
; %bb.283:
	s_andn2_b64 vcc, exec, s[6:7]
	s_mov_b64 s[42:43], 0
	s_cbranch_vccnz .LBB584_292
; %bb.284:
	v_mul_lo_u32 v18, v13, s26
	v_mul_lo_u32 v19, v12, s27
	v_mad_u64_u32 v[16:17], s[38:39], v12, s26, 0
	v_add3_u32 v17, v17, v19, v18
	v_mul_lo_u32 v18, v7, s26
	v_mul_lo_u32 v19, v6, s27
	v_mad_u64_u32 v[20:21], s[38:39], v6, s26, 0
	v_add3_u32 v21, v21, v19, v18
	v_lshl_add_u64 v[18:19], v[16:17], 3, s[28:29]
	v_lshl_add_u64 v[16:17], v[20:21], 3, s[28:29]
	global_load_dwordx2 v[20:21], v[18:19], off
	global_load_dwordx2 v[22:23], v[16:17], off
	s_mov_b64 s[42:43], -1
	s_waitcnt vmcnt(0)
	v_cmp_eq_u64_e32 vcc, v[20:21], v[22:23]
	s_and_saveexec_b64 s[38:39], vcc
	s_cbranch_execz .LBB584_291
; %bb.285:
	s_add_u32 s42, s26, -1
	v_lshl_add_u64 v[16:17], v[16:17], 0, 8
	v_lshl_add_u64 v[18:19], v[18:19], 0, 8
	s_addc_u32 s43, s27, -1
	s_mov_b64 s[44:45], 0
	s_mov_b64 s[48:49], 0
                                        ; implicit-def: $sgpr46_sgpr47
	s_branch .LBB584_288
.LBB584_286:                            ;   in Loop: Header=BB584_288 Depth=1
	global_load_dwordx2 v[20:21], v[18:19], off
	global_load_dwordx2 v[22:23], v[16:17], off
	s_add_u32 s48, s48, 1
	s_addc_u32 s49, s49, 0
	s_andn2_b64 s[46:47], s[46:47], exec
	v_lshl_add_u64 v[16:17], v[16:17], 0, 8
	v_lshl_add_u64 v[18:19], v[18:19], 0, 8
	s_waitcnt vmcnt(0)
	v_cmp_ne_u64_e32 vcc, v[20:21], v[22:23]
	s_and_b64 s[50:51], vcc, exec
	s_or_b64 s[46:47], s[46:47], s[50:51]
.LBB584_287:                            ;   in Loop: Header=BB584_288 Depth=1
	s_and_b64 s[50:51], exec, s[46:47]
	s_or_b64 s[44:45], s[50:51], s[44:45]
	v_mov_b64_e32 v[20:21], s[48:49]
	s_andn2_b64 exec, exec, s[44:45]
	s_cbranch_execz .LBB584_290
.LBB584_288:                            ; =>This Inner Loop Header: Depth=1
	s_or_b64 s[46:47], s[46:47], exec
	s_cmp_eq_u64 s[42:43], s[48:49]
	s_cbranch_scc0 .LBB584_286
; %bb.289:                              ;   in Loop: Header=BB584_288 Depth=1
                                        ; implicit-def: $vgpr16_vgpr17
                                        ; implicit-def: $vgpr18_vgpr19
	s_mov_b64 s[48:49], s[26:27]
	s_branch .LBB584_287
.LBB584_290:
	s_or_b64 exec, exec, s[44:45]
	v_cmp_gt_i64_e32 vcc, s[26:27], v[20:21]
	s_orn2_b64 s[42:43], vcc, exec
.LBB584_291:
	s_or_b64 exec, exec, s[38:39]
.LBB584_292:
	s_and_b64 s[38:39], s[42:43], exec
.LBB584_293:
	s_or_b64 exec, exec, s[40:41]
	v_cmp_gt_u32_e32 vcc, s3, v25
	s_and_saveexec_b64 s[40:41], vcc
	s_cbranch_execz .LBB584_304
; %bb.294:
	s_andn2_b64 vcc, exec, s[6:7]
	s_mov_b64 s[42:43], 0
	s_cbranch_vccnz .LBB584_303
; %bb.295:
	v_mul_lo_u32 v18, v11, s26
	v_mul_lo_u32 v19, v10, s27
	v_mad_u64_u32 v[16:17], s[36:37], v10, s26, 0
	v_add3_u32 v17, v17, v19, v18
	v_mul_lo_u32 v18, v13, s26
	v_mul_lo_u32 v19, v12, s27
	v_mad_u64_u32 v[20:21], s[36:37], v12, s26, 0
	v_add3_u32 v21, v21, v19, v18
	v_lshl_add_u64 v[18:19], v[16:17], 3, s[28:29]
	v_lshl_add_u64 v[16:17], v[20:21], 3, s[28:29]
	global_load_dwordx2 v[20:21], v[18:19], off
	global_load_dwordx2 v[22:23], v[16:17], off
	s_mov_b64 s[42:43], -1
	s_waitcnt vmcnt(0)
	v_cmp_eq_u64_e32 vcc, v[20:21], v[22:23]
	s_and_saveexec_b64 s[36:37], vcc
	s_cbranch_execz .LBB584_302
; %bb.296:
	s_add_u32 s42, s26, -1
	v_lshl_add_u64 v[16:17], v[16:17], 0, 8
	v_lshl_add_u64 v[18:19], v[18:19], 0, 8
	s_addc_u32 s43, s27, -1
	s_mov_b64 s[44:45], 0
	s_mov_b64 s[48:49], 0
                                        ; implicit-def: $sgpr46_sgpr47
	s_branch .LBB584_299
.LBB584_297:                            ;   in Loop: Header=BB584_299 Depth=1
	global_load_dwordx2 v[20:21], v[18:19], off
	global_load_dwordx2 v[22:23], v[16:17], off
	s_add_u32 s48, s48, 1
	s_addc_u32 s49, s49, 0
	s_andn2_b64 s[46:47], s[46:47], exec
	v_lshl_add_u64 v[16:17], v[16:17], 0, 8
	v_lshl_add_u64 v[18:19], v[18:19], 0, 8
	s_waitcnt vmcnt(0)
	v_cmp_ne_u64_e32 vcc, v[20:21], v[22:23]
	s_and_b64 s[50:51], vcc, exec
	s_or_b64 s[46:47], s[46:47], s[50:51]
.LBB584_298:                            ;   in Loop: Header=BB584_299 Depth=1
	s_and_b64 s[50:51], exec, s[46:47]
	s_or_b64 s[44:45], s[50:51], s[44:45]
	v_mov_b64_e32 v[20:21], s[48:49]
	s_andn2_b64 exec, exec, s[44:45]
	s_cbranch_execz .LBB584_301
.LBB584_299:                            ; =>This Inner Loop Header: Depth=1
	s_or_b64 s[46:47], s[46:47], exec
	s_cmp_eq_u64 s[42:43], s[48:49]
	s_cbranch_scc0 .LBB584_297
; %bb.300:                              ;   in Loop: Header=BB584_299 Depth=1
                                        ; implicit-def: $vgpr16_vgpr17
                                        ; implicit-def: $vgpr18_vgpr19
	s_mov_b64 s[48:49], s[26:27]
	s_branch .LBB584_298
.LBB584_301:
	s_or_b64 exec, exec, s[44:45]
	v_cmp_gt_i64_e32 vcc, s[26:27], v[20:21]
	s_orn2_b64 s[42:43], vcc, exec
.LBB584_302:
	s_or_b64 exec, exec, s[36:37]
.LBB584_303:
	s_and_b64 s[36:37], s[42:43], exec
.LBB584_304:
	s_or_b64 exec, exec, s[40:41]
	v_cndmask_b32_e64 v17, 0, 1, s[18:19]
	v_cndmask_b32_e64 v16, 0, 1, s[38:39]
	;; [unrolled: 1-line block ×3, first 2 shown]
	v_lshlrev_b16_e32 v17, 8, v17
	v_cndmask_b32_e64 v32, 0, 1, s[14:15]
	v_cndmask_b32_e64 v18, 0, 1, s[36:37]
	v_or_b32_sdwa v16, v16, v17 dst_sel:WORD_1 dst_unused:UNUSED_PAD src0_sel:DWORD src1_sel:DWORD
	v_lshlrev_b16_e32 v17, 8, v33
	v_lshlrev_b16_e32 v18, 8, v18
	v_or_b32_e32 v17, v32, v17
	v_or_b32_e32 v18, 1, v18
	v_and_b32_e32 v17, 0xffff, v17
	v_cndmask_b32_e64 v34, 0, 1, s[4:5]
	v_or_b32_sdwa v16, v18, v16 dst_sel:DWORD dst_unused:UNUSED_PAD src0_sel:WORD_0 src1_sel:DWORD
	v_lshl_or_b32 v17, v34, 16, v17
	v_cmp_ne_u32_e32 vcc, 0, v0
	s_waitcnt lgkmcnt(0)
	s_barrier
	s_waitcnt lgkmcnt(0)
                                        ; implicit-def: $sgpr18_sgpr19
                                        ; implicit-def: $vgpr20
	s_and_saveexec_b64 s[4:5], vcc
	s_cbranch_execz .LBB584_317
; %bb.305:
	v_cmp_gt_u32_e32 vcc, s3, v1
	s_mov_b32 s33, 0x3020104
	s_mov_b64 s[14:15], 0
	s_and_saveexec_b64 s[12:13], vcc
	s_cbranch_execz .LBB584_316
; %bb.306:
	s_andn2_b64 vcc, exec, s[6:7]
	s_cbranch_vccnz .LBB584_315
; %bb.307:
	v_add_u32_e32 v17, -8, v30
	ds_read_b64 v[18:19], v17
	v_mul_lo_u32 v17, v11, s26
	v_mad_u64_u32 v[22:23], s[6:7], v10, s26, 0
	s_mov_b64 s[14:15], -1
	s_waitcnt lgkmcnt(0)
	v_mul_lo_u32 v20, v19, s26
	v_mul_lo_u32 v21, v18, s27
	v_mad_u64_u32 v[18:19], s[6:7], v18, s26, 0
	v_add3_u32 v19, v19, v21, v20
	v_mul_lo_u32 v20, v10, s27
	v_add3_u32 v23, v23, v20, v17
	v_lshl_add_u64 v[20:21], v[18:19], 3, s[28:29]
	v_lshl_add_u64 v[18:19], v[22:23], 3, s[28:29]
	global_load_dwordx2 v[22:23], v[20:21], off
	global_load_dwordx2 v[30:31], v[18:19], off
	s_waitcnt vmcnt(0)
	v_cmp_eq_u64_e32 vcc, v[22:23], v[30:31]
	s_and_saveexec_b64 s[6:7], vcc
	s_cbranch_execz .LBB584_314
; %bb.308:
	s_add_u32 s14, s26, -1
	v_lshl_add_u64 v[18:19], v[18:19], 0, 8
	v_lshl_add_u64 v[20:21], v[20:21], 0, 8
	s_addc_u32 s15, s27, -1
	s_mov_b64 s[18:19], 0
	s_mov_b64 s[36:37], 0
                                        ; implicit-def: $sgpr28_sgpr29
	s_branch .LBB584_311
.LBB584_309:                            ;   in Loop: Header=BB584_311 Depth=1
	global_load_dwordx2 v[22:23], v[20:21], off
	global_load_dwordx2 v[30:31], v[18:19], off
	s_add_u32 s36, s36, 1
	s_addc_u32 s37, s37, 0
	s_andn2_b64 s[28:29], s[28:29], exec
	v_lshl_add_u64 v[18:19], v[18:19], 0, 8
	v_lshl_add_u64 v[20:21], v[20:21], 0, 8
	s_waitcnt vmcnt(0)
	v_cmp_ne_u64_e32 vcc, v[22:23], v[30:31]
	s_and_b64 s[38:39], vcc, exec
	s_or_b64 s[28:29], s[28:29], s[38:39]
.LBB584_310:                            ;   in Loop: Header=BB584_311 Depth=1
	s_and_b64 s[38:39], exec, s[28:29]
	s_or_b64 s[18:19], s[38:39], s[18:19]
	v_mov_b64_e32 v[22:23], s[36:37]
	s_andn2_b64 exec, exec, s[18:19]
	s_cbranch_execz .LBB584_313
.LBB584_311:                            ; =>This Inner Loop Header: Depth=1
	s_or_b64 s[28:29], s[28:29], exec
	s_cmp_eq_u64 s[14:15], s[36:37]
	s_cbranch_scc0 .LBB584_309
; %bb.312:                              ;   in Loop: Header=BB584_311 Depth=1
                                        ; implicit-def: $vgpr18_vgpr19
                                        ; implicit-def: $vgpr20_vgpr21
	s_mov_b64 s[36:37], s[26:27]
	s_branch .LBB584_310
.LBB584_313:
	s_or_b64 exec, exec, s[18:19]
	v_cmp_gt_i64_e32 vcc, s[26:27], v[22:23]
	s_orn2_b64 s[14:15], vcc, exec
.LBB584_314:
	s_or_b64 exec, exec, s[6:7]
.LBB584_315:
	s_and_b64 s[14:15], s[14:15], exec
.LBB584_316:
	s_or_b64 exec, exec, s[12:13]
	v_perm_b32 v20, v16, v16, s33
	s_and_b64 s[18:19], s[14:15], exec
	s_or_b64 s[10:11], s[10:11], exec
                                        ; implicit-def: $vgpr16_vgpr17
.LBB584_317:
	s_or_b64 exec, exec, s[4:5]
.LBB584_318:
	s_and_saveexec_b64 s[4:5], s[10:11]
	s_cbranch_execz .LBB584_320
; %bb.319:
	s_waitcnt lgkmcnt(0)
	v_lshlrev_b16_e32 v17, 8, v33
	v_and_b32_e32 v18, 0xff, v34
	v_or_b32_sdwa v17, v32, v17 dst_sel:DWORD dst_unused:UNUSED_PAD src0_sel:BYTE_0 src1_sel:DWORD
	v_lshlrev_b32_e32 v18, 16, v18
	s_movk_i32 s6, 0xff
	v_or_b32_sdwa v17, v17, v18 dst_sel:DWORD dst_unused:UNUSED_PAD src0_sel:WORD_0 src1_sel:DWORD
	v_lshrrev_b32_e32 v18, 24, v20
	v_lshlrev_b16_e32 v18, 8, v18
	v_and_b32_sdwa v19, v20, s6 dst_sel:DWORD dst_unused:UNUSED_PAD src0_sel:WORD_1 src1_sel:DWORD
	v_or_b32_sdwa v18, v19, v18 dst_sel:WORD_1 dst_unused:UNUSED_PAD src0_sel:DWORD src1_sel:DWORD
	v_mov_b32_e32 v19, 8
	v_cndmask_b32_e64 v16, 0, 1, s[18:19]
	v_lshrrev_b32_sdwa v19, v19, v20 dst_sel:BYTE_1 dst_unused:UNUSED_PAD src0_sel:DWORD src1_sel:DWORD
	s_nop 0
	v_or_b32_e32 v16, v16, v19
	v_or_b32_sdwa v16, v16, v18 dst_sel:DWORD dst_unused:UNUSED_PAD src0_sel:WORD_0 src1_sel:DWORD
.LBB584_320:
	s_or_b64 exec, exec, s[4:5]
	s_andn2_b64 vcc, exec, s[8:9]
	s_cbranch_vccnz .LBB584_322
; %bb.321:
	s_waitcnt lgkmcnt(0)
	v_and_b32_e32 v18, 0xffff0000, v16
	v_cmp_gt_u32_e32 vcc, s3, v1
	s_mov_b32 s4, 0x40c0100
	s_nop 0
	v_cndmask_b32_e32 v1, v18, v16, vcc
	v_and_b32_e32 v1, 0xffff00ff, v1
	v_cmp_gt_u32_e32 vcc, s3, v25
	s_nop 1
	v_cndmask_b32_e32 v1, v1, v16, vcc
	v_lshrrev_b32_e32 v18, 24, v1
	v_perm_b32 v1, v18, v1, s4
	v_cmp_gt_u32_e32 vcc, s3, v24
	v_and_b32_e32 v18, 0xffffff00, v17
	s_nop 0
	v_cndmask_b32_e32 v1, v1, v16, vcc
	v_and_b32_e32 v1, 0xffffff, v1
	v_cmp_gt_u32_e32 vcc, s3, v28
	s_nop 1
	v_cndmask_b32_e32 v1, v1, v16, vcc
	v_cmp_gt_u32_e32 vcc, s3, v26
	s_nop 1
	v_cndmask_b32_e32 v18, v18, v17, vcc
	v_and_b32_e32 v18, 0xffff00ff, v18
	v_cndmask_b32_e32 v1, v1, v16, vcc
	v_cmp_gt_u32_e32 vcc, s3, v29
	s_nop 1
	v_cndmask_b32_e32 v18, v18, v17, vcc
	v_lshrrev_b32_e32 v19, 24, v18
	v_cndmask_b32_e32 v1, v1, v16, vcc
	v_perm_b32 v18, v19, v18, s4
	v_cmp_gt_u32_e32 vcc, s3, v27
	s_mov_b32 s3, 0x3020104
	s_nop 0
	v_cndmask_b32_e32 v1, v1, v16, vcc
	v_cndmask_b32_e32 v16, v18, v17, vcc
	v_mov_b32_e32 v17, 8
	v_lshrrev_b32_sdwa v17, v17, v16 dst_sel:BYTE_1 dst_unused:UNUSED_PAD src0_sel:DWORD src1_sel:DWORD
	s_nop 0
	v_or_b32_sdwa v17, v16, v17 dst_sel:DWORD dst_unused:UNUSED_PAD src0_sel:BYTE_0 src1_sel:DWORD
	v_and_b32_e32 v17, 0xffff, v17
	v_bfe_u32 v16, v16, 16, 8
	v_lshl_or_b32 v17, v16, 16, v17
	v_perm_b32 v16, v1, v1, s3
.LBB584_322:
	s_waitcnt lgkmcnt(0)
	v_and_b32_e32 v1, 0xff, v16
	v_bfe_u32 v29, v16, 8, 8
	v_bfe_u32 v31, v16, 16, 8
	v_alignbit_b32 v18, v17, v16, 24
	v_and_b32_e32 v33, 0xff, v18
	v_and_b32_e32 v35, 0xff, v17
	v_add3_u32 v19, v29, v1, v31
	v_bfe_u32 v36, v17, 8, 8
	v_bfe_u32 v18, v17, 16, 8
	v_add3_u32 v19, v19, v33, v35
	v_add3_u32 v39, v19, v36, v18
	v_mbcnt_lo_u32_b32 v18, -1, 0
	v_mbcnt_hi_u32_b32 v37, -1, v18
	v_and_b32_e32 v18, 15, v37
	v_cmp_eq_u32_e64 s[14:15], 0, v18
	v_cmp_lt_u32_e64 s[12:13], 1, v18
	v_cmp_lt_u32_e64 s[10:11], 3, v18
	;; [unrolled: 1-line block ×3, first 2 shown]
	v_and_b32_e32 v18, 16, v37
	v_cmp_eq_u32_e64 s[6:7], 0, v18
	v_or_b32_e32 v18, 63, v0
	v_cmp_lt_u32_e64 s[18:19], 31, v37
	v_lshrrev_b32_e32 v38, 6, v0
	v_cmp_eq_u32_e64 s[4:5], v18, v0
	s_and_b64 vcc, exec, s[16:17]
	s_barrier
	s_cbranch_vccz .LBB584_353
; %bb.323:
	v_mov_b32_dpp v18, v39 row_shr:1 row_mask:0xf bank_mask:0xf
	v_cndmask_b32_e64 v18, v18, 0, s[14:15]
	v_add_u32_e32 v18, v18, v39
	s_nop 1
	v_mov_b32_dpp v19, v18 row_shr:2 row_mask:0xf bank_mask:0xf
	v_cndmask_b32_e64 v19, 0, v19, s[12:13]
	v_add_u32_e32 v18, v18, v19
	s_nop 1
	;; [unrolled: 4-line block ×4, first 2 shown]
	v_mov_b32_dpp v19, v18 row_bcast:15 row_mask:0xf bank_mask:0xf
	v_cndmask_b32_e64 v19, v19, 0, s[6:7]
	v_add_u32_e32 v18, v18, v19
	s_nop 1
	v_mov_b32_dpp v19, v18 row_bcast:31 row_mask:0xf bank_mask:0xf
	v_cndmask_b32_e64 v19, 0, v19, s[18:19]
	v_add_u32_e32 v18, v18, v19
	s_and_saveexec_b64 s[16:17], s[4:5]
	s_cbranch_execz .LBB584_325
; %bb.324:
	v_lshlrev_b32_e32 v19, 2, v38
	ds_write_b32 v19, v18
.LBB584_325:
	s_or_b64 exec, exec, s[16:17]
	v_cmp_gt_u32_e32 vcc, 8, v0
	s_waitcnt lgkmcnt(0)
	s_barrier
	s_and_saveexec_b64 s[16:17], vcc
	s_cbranch_execz .LBB584_327
; %bb.326:
	v_lshlrev_b32_e32 v19, 2, v0
	ds_read_b32 v20, v19
	v_and_b32_e32 v21, 7, v37
	v_cmp_ne_u32_e32 vcc, 0, v21
	s_waitcnt lgkmcnt(0)
	v_mov_b32_dpp v22, v20 row_shr:1 row_mask:0xf bank_mask:0xf
	v_cndmask_b32_e32 v22, 0, v22, vcc
	v_add_u32_e32 v20, v22, v20
	v_cmp_lt_u32_e32 vcc, 1, v21
	s_nop 0
	v_mov_b32_dpp v22, v20 row_shr:2 row_mask:0xf bank_mask:0xf
	v_cndmask_b32_e32 v22, 0, v22, vcc
	v_add_u32_e32 v20, v20, v22
	v_cmp_lt_u32_e32 vcc, 3, v21
	s_nop 0
	v_mov_b32_dpp v22, v20 row_shr:4 row_mask:0xf bank_mask:0xf
	v_cndmask_b32_e32 v21, 0, v22, vcc
	v_add_u32_e32 v20, v20, v21
	ds_write_b32 v19, v20
.LBB584_327:
	s_or_b64 exec, exec, s[16:17]
	v_cmp_gt_u32_e32 vcc, 64, v0
	v_cmp_lt_u32_e64 s[16:17], 63, v0
	s_waitcnt lgkmcnt(0)
	s_barrier
	s_waitcnt lgkmcnt(0)
                                        ; implicit-def: $vgpr28
	s_and_saveexec_b64 s[26:27], s[16:17]
	s_cbranch_execz .LBB584_329
; %bb.328:
	v_lshl_add_u32 v19, v38, 2, -4
	ds_read_b32 v28, v19
	s_waitcnt lgkmcnt(0)
	v_add_u32_e32 v18, v28, v18
.LBB584_329:
	s_or_b64 exec, exec, s[26:27]
	v_add_u32_e32 v19, -1, v37
	v_and_b32_e32 v20, 64, v37
	v_cmp_lt_i32_e64 s[16:17], v19, v20
	s_nop 1
	v_cndmask_b32_e64 v19, v19, v37, s[16:17]
	v_lshlrev_b32_e32 v19, 2, v19
	ds_bpermute_b32 v30, v19, v18
	v_cmp_eq_u32_e64 s[16:17], 0, v37
	s_and_saveexec_b64 s[26:27], vcc
	s_cbranch_execz .LBB584_352
; %bb.330:
	v_mov_b32_e32 v27, 0
	ds_read_b32 v18, v27 offset:28
	s_and_saveexec_b64 s[28:29], s[16:17]
	s_cbranch_execz .LBB584_332
; %bb.331:
	s_add_i32 s36, s2, 64
	s_mov_b32 s37, 0
	s_lshl_b64 s[36:37], s[36:37], 3
	s_add_u32 s36, s30, s36
	v_mov_b32_e32 v19, 1
	s_addc_u32 s37, s31, s37
	s_waitcnt lgkmcnt(0)
	global_store_dwordx2 v27, v[18:19], s[36:37] sc1
.LBB584_332:
	s_or_b64 exec, exec, s[28:29]
	v_xad_u32 v20, v37, -1, s2
	v_add_u32_e32 v26, 64, v20
	v_lshl_add_u64 v[22:23], v[26:27], 3, s[30:31]
	global_load_dwordx2 v[24:25], v[22:23], off sc1
	s_waitcnt vmcnt(0)
	v_cmp_eq_u16_sdwa s[36:37], v25, v27 src0_sel:BYTE_0 src1_sel:DWORD
	s_and_saveexec_b64 s[28:29], s[36:37]
	s_cbranch_execz .LBB584_338
; %bb.333:
	s_mov_b32 s3, 1
	s_mov_b64 s[36:37], 0
	v_mov_b32_e32 v19, 0
.LBB584_334:                            ; =>This Loop Header: Depth=1
                                        ;     Child Loop BB584_335 Depth 2
	s_max_u32 s33, s3, 1
.LBB584_335:                            ;   Parent Loop BB584_334 Depth=1
                                        ; =>  This Inner Loop Header: Depth=2
	s_add_i32 s33, s33, -1
	s_cmp_eq_u32 s33, 0
	s_sleep 1
	s_cbranch_scc0 .LBB584_335
; %bb.336:                              ;   in Loop: Header=BB584_334 Depth=1
	global_load_dwordx2 v[24:25], v[22:23], off sc1
	s_cmp_lt_u32 s3, 32
	s_cselect_b64 s[38:39], -1, 0
	s_cmp_lg_u64 s[38:39], 0
	s_addc_u32 s3, s3, 0
	s_waitcnt vmcnt(0)
	v_cmp_ne_u16_sdwa s[38:39], v25, v19 src0_sel:BYTE_0 src1_sel:DWORD
	s_or_b64 s[36:37], s[38:39], s[36:37]
	s_andn2_b64 exec, exec, s[36:37]
	s_cbranch_execnz .LBB584_334
; %bb.337:
	s_or_b64 exec, exec, s[36:37]
.LBB584_338:
	s_or_b64 exec, exec, s[28:29]
	v_and_b32_e32 v32, 63, v37
	v_mov_b32_e32 v19, 2
	v_cmp_ne_u32_e32 vcc, 63, v32
	v_cmp_eq_u16_sdwa s[28:29], v25, v19 src0_sel:BYTE_0 src1_sel:DWORD
	v_lshlrev_b64 v[22:23], v37, -1
	v_addc_co_u32_e32 v27, vcc, 0, v37, vcc
	v_and_b32_e32 v21, s29, v23
	v_lshlrev_b32_e32 v34, 2, v27
	v_or_b32_e32 v21, 0x80000000, v21
	ds_bpermute_b32 v27, v34, v24
	v_and_b32_e32 v26, s28, v22
	v_ffbl_b32_e32 v21, v21
	v_add_u32_e32 v21, 32, v21
	v_ffbl_b32_e32 v26, v26
	v_min_u32_e32 v21, v26, v21
	v_cmp_lt_u32_e32 vcc, v32, v21
	v_add_u32_e32 v41, 2, v32
	v_add_u32_e32 v43, 4, v32
	s_waitcnt lgkmcnt(0)
	v_cndmask_b32_e32 v26, 0, v27, vcc
	v_cmp_gt_u32_e32 vcc, 62, v32
	v_add_u32_e32 v24, v26, v24
	v_add_u32_e32 v45, 8, v32
	v_cndmask_b32_e64 v26, 0, 1, vcc
	v_lshlrev_b32_e32 v26, 1, v26
	v_add_lshl_u32 v40, v26, v37, 2
	ds_bpermute_b32 v26, v40, v24
	v_cmp_le_u32_e32 vcc, v41, v21
	v_add_u32_e32 v48, 16, v32
	v_add_u32_e32 v50, 32, v32
	s_waitcnt lgkmcnt(0)
	v_cndmask_b32_e32 v26, 0, v26, vcc
	v_cmp_gt_u32_e32 vcc, 60, v32
	v_add_u32_e32 v24, v24, v26
	s_nop 0
	v_cndmask_b32_e64 v26, 0, 1, vcc
	v_lshlrev_b32_e32 v26, 2, v26
	v_add_lshl_u32 v42, v26, v37, 2
	ds_bpermute_b32 v26, v42, v24
	v_cmp_le_u32_e32 vcc, v43, v21
	s_waitcnt lgkmcnt(0)
	s_nop 0
	v_cndmask_b32_e32 v26, 0, v26, vcc
	v_cmp_gt_u32_e32 vcc, 56, v32
	v_add_u32_e32 v24, v24, v26
	s_nop 0
	v_cndmask_b32_e64 v26, 0, 1, vcc
	v_lshlrev_b32_e32 v26, 3, v26
	v_add_lshl_u32 v44, v26, v37, 2
	ds_bpermute_b32 v26, v44, v24
	v_cmp_le_u32_e32 vcc, v45, v21
	s_waitcnt lgkmcnt(0)
	s_nop 0
	;; [unrolled: 11-line block ×4, first 2 shown]
	v_cndmask_b32_e32 v21, 0, v26, vcc
	v_add_u32_e32 v24, v24, v21
	v_mov_b32_e32 v21, 0
	s_branch .LBB584_340
.LBB584_339:                            ;   in Loop: Header=BB584_340 Depth=1
	s_or_b64 exec, exec, s[28:29]
	v_cmp_eq_u16_sdwa s[28:29], v25, v19 src0_sel:BYTE_0 src1_sel:DWORD
	ds_bpermute_b32 v51, v34, v24
	v_subrev_u32_e32 v20, 64, v20
	v_and_b32_e32 v26, s29, v23
	v_or_b32_e32 v26, 0x80000000, v26
	v_and_b32_e32 v27, s28, v22
	v_ffbl_b32_e32 v26, v26
	v_add_u32_e32 v26, 32, v26
	v_ffbl_b32_e32 v27, v27
	v_min_u32_e32 v26, v27, v26
	v_cmp_lt_u32_e32 vcc, v32, v26
	s_waitcnt lgkmcnt(0)
	s_nop 0
	v_cndmask_b32_e32 v27, 0, v51, vcc
	v_add_u32_e32 v24, v27, v24
	ds_bpermute_b32 v27, v40, v24
	v_cmp_le_u32_e32 vcc, v41, v26
	s_waitcnt lgkmcnt(0)
	s_nop 0
	v_cndmask_b32_e32 v27, 0, v27, vcc
	v_add_u32_e32 v24, v24, v27
	ds_bpermute_b32 v27, v42, v24
	v_cmp_le_u32_e32 vcc, v43, v26
	;; [unrolled: 6-line block ×5, first 2 shown]
	s_waitcnt lgkmcnt(0)
	s_nop 0
	v_cndmask_b32_e32 v26, 0, v27, vcc
	v_add3_u32 v24, v26, v46, v24
.LBB584_340:                            ; =>This Loop Header: Depth=1
                                        ;     Child Loop BB584_343 Depth 2
                                        ;       Child Loop BB584_344 Depth 3
	v_cmp_ne_u16_sdwa s[28:29], v25, v19 src0_sel:BYTE_0 src1_sel:DWORD
	v_mov_b32_e32 v46, v24
	s_nop 0
	v_cndmask_b32_e64 v25, 0, 1, s[28:29]
	;;#ASMSTART
	;;#ASMEND
	s_nop 0
	v_cmp_ne_u32_e32 vcc, 0, v25
	s_cmp_lg_u64 vcc, exec
	s_cbranch_scc1 .LBB584_347
; %bb.341:                              ;   in Loop: Header=BB584_340 Depth=1
	v_lshl_add_u64 v[26:27], v[20:21], 3, s[30:31]
	global_load_dwordx2 v[24:25], v[26:27], off sc1
	s_waitcnt vmcnt(0)
	v_cmp_eq_u16_sdwa s[36:37], v25, v21 src0_sel:BYTE_0 src1_sel:DWORD
	s_and_saveexec_b64 s[28:29], s[36:37]
	s_cbranch_execz .LBB584_339
; %bb.342:                              ;   in Loop: Header=BB584_340 Depth=1
	s_mov_b32 s3, 1
	s_mov_b64 s[36:37], 0
.LBB584_343:                            ;   Parent Loop BB584_340 Depth=1
                                        ; =>  This Loop Header: Depth=2
                                        ;       Child Loop BB584_344 Depth 3
	s_max_u32 s33, s3, 1
.LBB584_344:                            ;   Parent Loop BB584_340 Depth=1
                                        ;     Parent Loop BB584_343 Depth=2
                                        ; =>    This Inner Loop Header: Depth=3
	s_add_i32 s33, s33, -1
	s_cmp_eq_u32 s33, 0
	s_sleep 1
	s_cbranch_scc0 .LBB584_344
; %bb.345:                              ;   in Loop: Header=BB584_343 Depth=2
	global_load_dwordx2 v[24:25], v[26:27], off sc1
	s_cmp_lt_u32 s3, 32
	s_cselect_b64 s[38:39], -1, 0
	s_cmp_lg_u64 s[38:39], 0
	s_addc_u32 s3, s3, 0
	s_waitcnt vmcnt(0)
	v_cmp_ne_u16_sdwa s[38:39], v25, v21 src0_sel:BYTE_0 src1_sel:DWORD
	s_or_b64 s[36:37], s[38:39], s[36:37]
	s_andn2_b64 exec, exec, s[36:37]
	s_cbranch_execnz .LBB584_343
; %bb.346:                              ;   in Loop: Header=BB584_340 Depth=1
	s_or_b64 exec, exec, s[36:37]
	s_branch .LBB584_339
.LBB584_347:                            ;   in Loop: Header=BB584_340 Depth=1
                                        ; implicit-def: $vgpr24
                                        ; implicit-def: $vgpr25
	s_cbranch_execz .LBB584_340
; %bb.348:
	s_and_saveexec_b64 s[28:29], s[16:17]
	s_cbranch_execz .LBB584_350
; %bb.349:
	s_add_i32 s2, s2, 64
	s_mov_b32 s3, 0
	s_lshl_b64 s[2:3], s[2:3], 3
	s_add_u32 s2, s30, s2
	v_add_u32_e32 v20, v46, v18
	v_mov_b32_e32 v21, 2
	s_addc_u32 s3, s31, s3
	v_mov_b32_e32 v19, 0
	global_store_dwordx2 v19, v[20:21], s[2:3] sc1
	s_movk_i32 s2, 0x7000
	v_add_u32_e64 v19, s2, 0
	ds_write2_b32 v19, v18, v46 offset1:2
.LBB584_350:
	s_or_b64 exec, exec, s[28:29]
	v_cmp_eq_u32_e32 vcc, 0, v0
	s_and_b64 exec, exec, vcc
	s_cbranch_execz .LBB584_352
; %bb.351:
	v_mov_b32_e32 v18, 0
	ds_write_b32 v18, v46 offset:28
.LBB584_352:
	s_or_b64 exec, exec, s[26:27]
	v_mov_b32_e32 v18, 0
	s_waitcnt lgkmcnt(0)
	s_barrier
	ds_read_b32 v18, v18 offset:28
	v_cndmask_b32_e64 v19, v30, v28, s[16:17]
	v_cmp_ne_u32_e32 vcc, 0, v0
	s_movk_i32 s2, 0x7000
	s_waitcnt lgkmcnt(0)
	v_cndmask_b32_e32 v19, 0, v19, vcc
	v_add_u32_e32 v34, v18, v19
	v_add_u32_e32 v32, v34, v1
	v_add_u32_e64 v18, s2, 0
	v_add_u32_e32 v30, v32, v29
	s_barrier
	ds_read2_b32 v[18:19], v18 offset1:2
	v_add_u32_e32 v28, v30, v31
	v_add_u32_e32 v26, v28, v33
	;; [unrolled: 1-line block ×4, first 2 shown]
	s_load_dwordx2 s[2:3], s[0:1], 0x28
	v_lshrrev_b64 v[20:21], 24, v[16:17]
	s_branch .LBB584_363
.LBB584_353:
                                        ; implicit-def: $vgpr22
                                        ; implicit-def: $vgpr24
                                        ; implicit-def: $vgpr26
                                        ; implicit-def: $vgpr28
                                        ; implicit-def: $vgpr30
                                        ; implicit-def: $vgpr32
                                        ; implicit-def: $vgpr34
                                        ; implicit-def: $vgpr19
	s_load_dwordx2 s[2:3], s[0:1], 0x28
	v_lshrrev_b64 v[20:21], 24, v[16:17]
	s_cbranch_execz .LBB584_363
; %bb.354:
	s_waitcnt lgkmcnt(0)
	v_mov_b32_dpp v18, v39 row_shr:1 row_mask:0xf bank_mask:0xf
	v_cndmask_b32_e64 v18, v18, 0, s[14:15]
	v_add_u32_e32 v18, v18, v39
	s_nop 1
	v_mov_b32_dpp v19, v18 row_shr:2 row_mask:0xf bank_mask:0xf
	v_cndmask_b32_e64 v19, 0, v19, s[12:13]
	v_add_u32_e32 v18, v18, v19
	s_nop 1
	;; [unrolled: 4-line block ×4, first 2 shown]
	v_mov_b32_dpp v19, v18 row_bcast:15 row_mask:0xf bank_mask:0xf
	v_cndmask_b32_e64 v19, v19, 0, s[6:7]
	v_add_u32_e32 v18, v18, v19
	s_nop 1
	v_mov_b32_dpp v19, v18 row_bcast:31 row_mask:0xf bank_mask:0xf
	v_cndmask_b32_e64 v19, 0, v19, s[18:19]
	v_add_u32_e32 v18, v18, v19
	s_and_saveexec_b64 s[0:1], s[4:5]
	s_cbranch_execz .LBB584_356
; %bb.355:
	v_lshlrev_b32_e32 v19, 2, v38
	ds_write_b32 v19, v18
.LBB584_356:
	s_or_b64 exec, exec, s[0:1]
	v_cmp_gt_u32_e32 vcc, 8, v0
	s_waitcnt lgkmcnt(0)
	s_barrier
	s_and_saveexec_b64 s[0:1], vcc
	s_cbranch_execz .LBB584_358
; %bb.357:
	v_lshlrev_b32_e32 v19, 2, v0
	ds_read_b32 v21, v19
	v_and_b32_e32 v22, 7, v37
	v_cmp_ne_u32_e32 vcc, 0, v22
	s_waitcnt lgkmcnt(0)
	v_mov_b32_dpp v23, v21 row_shr:1 row_mask:0xf bank_mask:0xf
	v_cndmask_b32_e32 v23, 0, v23, vcc
	v_add_u32_e32 v21, v23, v21
	v_cmp_lt_u32_e32 vcc, 1, v22
	s_nop 0
	v_mov_b32_dpp v23, v21 row_shr:2 row_mask:0xf bank_mask:0xf
	v_cndmask_b32_e32 v23, 0, v23, vcc
	v_add_u32_e32 v21, v21, v23
	v_cmp_lt_u32_e32 vcc, 3, v22
	s_nop 0
	v_mov_b32_dpp v23, v21 row_shr:4 row_mask:0xf bank_mask:0xf
	v_cndmask_b32_e32 v22, 0, v23, vcc
	v_add_u32_e32 v21, v21, v22
	ds_write_b32 v19, v21
.LBB584_358:
	s_or_b64 exec, exec, s[0:1]
	v_cmp_lt_u32_e32 vcc, 63, v0
	v_mov_b32_e32 v19, 0
	v_mov_b32_e32 v21, 0
	s_waitcnt lgkmcnt(0)
	s_barrier
	s_and_saveexec_b64 s[0:1], vcc
	s_cbranch_execz .LBB584_360
; %bb.359:
	v_lshl_add_u32 v21, v38, 2, -4
	ds_read_b32 v21, v21
.LBB584_360:
	s_or_b64 exec, exec, s[0:1]
	v_add_u32_e32 v22, -1, v37
	v_and_b32_e32 v23, 64, v37
	v_cmp_lt_i32_e32 vcc, v22, v23
	s_waitcnt lgkmcnt(0)
	v_add_u32_e32 v18, v21, v18
	v_cndmask_b32_e32 v22, v22, v37, vcc
	v_lshlrev_b32_e32 v22, 2, v22
	ds_bpermute_b32 v22, v22, v18
	ds_read_b32 v18, v19 offset:28
	v_cmp_eq_u32_e32 vcc, 0, v0
	s_and_saveexec_b64 s[0:1], vcc
	s_cbranch_execz .LBB584_362
; %bb.361:
	v_mov_b32_e32 v23, 0
	v_mov_b32_e32 v19, 2
	s_waitcnt lgkmcnt(0)
	global_store_dwordx2 v23, v[18:19], s[30:31] offset:512 sc1
.LBB584_362:
	s_or_b64 exec, exec, s[0:1]
	v_cmp_eq_u32_e64 s[0:1], 0, v37
	v_mov_b32_e32 v19, 0
	s_waitcnt lgkmcnt(0)
	v_cndmask_b32_e64 v21, v22, v21, s[0:1]
	v_cndmask_b32_e64 v34, v21, 0, vcc
	v_add_u32_e32 v32, v34, v1
	v_add_u32_e32 v30, v32, v29
	;; [unrolled: 1-line block ×6, first 2 shown]
	s_barrier
.LBB584_363:
	s_movk_i32 s0, 0x201
	s_waitcnt lgkmcnt(0)
	v_cmp_gt_u32_e32 vcc, s0, v18
	v_lshrrev_b32_e32 v21, 8, v16
	v_lshrrev_b32_e32 v1, 8, v17
	s_mov_b64 s[0:1], -1
	s_cbranch_vccnz .LBB584_367
; %bb.364:
	s_and_b64 vcc, exec, s[0:1]
	s_cbranch_vccnz .LBB584_389
.LBB584_365:
	v_cmp_eq_u32_e32 vcc, 0, v0
	s_and_b64 s[0:1], vcc, s[24:25]
	s_and_saveexec_b64 s[2:3], s[0:1]
	s_cbranch_execnz .LBB584_407
.LBB584_366:
	s_endpgm
.LBB584_367:
	v_add_u32_e32 v23, v19, v18
	v_cmp_lt_u32_e32 vcc, v34, v23
	s_or_b64 s[4:5], s[34:35], vcc
	s_and_saveexec_b64 s[0:1], s[4:5]
	s_cbranch_execz .LBB584_370
; %bb.368:
	v_and_b32_e32 v25, 1, v16
	v_cmp_eq_u32_e32 vcc, 1, v25
	s_and_b64 exec, exec, vcc
	s_cbranch_execz .LBB584_370
; %bb.369:
	s_lshl_b64 s[4:5], s[22:23], 3
	s_add_u32 s4, s2, s4
	s_addc_u32 s5, s3, s5
	v_mov_b32_e32 v35, 0
	v_lshl_add_u64 v[36:37], v[34:35], 3, s[4:5]
	global_store_dwordx2 v[36:37], v[10:11], off
.LBB584_370:
	s_or_b64 exec, exec, s[0:1]
	v_cmp_lt_u32_e32 vcc, v32, v23
	s_or_b64 s[4:5], s[34:35], vcc
	s_and_saveexec_b64 s[0:1], s[4:5]
	s_cbranch_execz .LBB584_373
; %bb.371:
	v_and_b32_e32 v25, 1, v21
	v_cmp_eq_u32_e32 vcc, 1, v25
	s_and_b64 exec, exec, vcc
	s_cbranch_execz .LBB584_373
; %bb.372:
	s_lshl_b64 s[4:5], s[22:23], 3
	s_add_u32 s4, s2, s4
	s_addc_u32 s5, s3, s5
	v_mov_b32_e32 v33, 0
	v_lshl_add_u64 v[36:37], v[32:33], 3, s[4:5]
	global_store_dwordx2 v[36:37], v[12:13], off
.LBB584_373:
	s_or_b64 exec, exec, s[0:1]
	v_cmp_lt_u32_e32 vcc, v30, v23
	s_or_b64 s[4:5], s[34:35], vcc
	s_and_saveexec_b64 s[0:1], s[4:5]
	s_cbranch_execz .LBB584_376
; %bb.374:
	v_mov_b32_e32 v25, 1
	v_and_b32_sdwa v25, v25, v16 dst_sel:DWORD dst_unused:UNUSED_PAD src0_sel:DWORD src1_sel:WORD_1
	v_cmp_eq_u32_e32 vcc, 1, v25
	s_and_b64 exec, exec, vcc
	s_cbranch_execz .LBB584_376
; %bb.375:
	s_lshl_b64 s[4:5], s[22:23], 3
	s_add_u32 s4, s2, s4
	s_addc_u32 s5, s3, s5
	v_mov_b32_e32 v31, 0
	v_lshl_add_u64 v[36:37], v[30:31], 3, s[4:5]
	global_store_dwordx2 v[36:37], v[6:7], off
.LBB584_376:
	s_or_b64 exec, exec, s[0:1]
	v_cmp_lt_u32_e32 vcc, v28, v23
	s_or_b64 s[4:5], s[34:35], vcc
	s_and_saveexec_b64 s[0:1], s[4:5]
	s_cbranch_execz .LBB584_379
; %bb.377:
	v_and_b32_e32 v25, 1, v20
	v_cmp_eq_u32_e32 vcc, 1, v25
	s_and_b64 exec, exec, vcc
	s_cbranch_execz .LBB584_379
; %bb.378:
	s_lshl_b64 s[4:5], s[22:23], 3
	s_add_u32 s4, s2, s4
	s_addc_u32 s5, s3, s5
	v_mov_b32_e32 v29, 0
	v_lshl_add_u64 v[36:37], v[28:29], 3, s[4:5]
	global_store_dwordx2 v[36:37], v[8:9], off
.LBB584_379:
	s_or_b64 exec, exec, s[0:1]
	v_cmp_lt_u32_e32 vcc, v26, v23
	s_or_b64 s[4:5], s[34:35], vcc
	s_and_saveexec_b64 s[0:1], s[4:5]
	s_cbranch_execz .LBB584_382
; %bb.380:
	v_and_b32_e32 v25, 1, v17
	v_cmp_eq_u32_e32 vcc, 1, v25
	s_and_b64 exec, exec, vcc
	s_cbranch_execz .LBB584_382
; %bb.381:
	s_lshl_b64 s[4:5], s[22:23], 3
	s_add_u32 s4, s2, s4
	s_addc_u32 s5, s3, s5
	v_mov_b32_e32 v27, 0
	v_lshl_add_u64 v[36:37], v[26:27], 3, s[4:5]
	global_store_dwordx2 v[36:37], v[2:3], off
.LBB584_382:
	;; [unrolled: 18-line block ×3, first 2 shown]
	s_or_b64 exec, exec, s[0:1]
	v_cmp_lt_u32_e32 vcc, v22, v23
	s_or_b64 s[4:5], s[34:35], vcc
	s_and_saveexec_b64 s[0:1], s[4:5]
	s_cbranch_execz .LBB584_388
; %bb.386:
	v_mov_b32_e32 v23, 1
	v_and_b32_sdwa v23, v23, v17 dst_sel:DWORD dst_unused:UNUSED_PAD src0_sel:DWORD src1_sel:WORD_1
	v_cmp_eq_u32_e32 vcc, 1, v23
	s_and_b64 exec, exec, vcc
	s_cbranch_execz .LBB584_388
; %bb.387:
	s_lshl_b64 s[4:5], s[22:23], 3
	s_add_u32 s4, s2, s4
	s_addc_u32 s5, s3, s5
	v_mov_b32_e32 v23, 0
	v_lshl_add_u64 v[36:37], v[22:23], 3, s[4:5]
	global_store_dwordx2 v[36:37], v[14:15], off
.LBB584_388:
	s_or_b64 exec, exec, s[0:1]
	s_branch .LBB584_365
.LBB584_389:
	v_and_b32_e32 v23, 1, v16
	v_cmp_eq_u32_e32 vcc, 1, v23
	s_and_saveexec_b64 s[0:1], vcc
	s_cbranch_execz .LBB584_391
; %bb.390:
	v_sub_u32_e32 v23, v34, v19
	v_lshlrev_b32_e32 v23, 3, v23
	ds_write_b64 v23, v[10:11]
.LBB584_391:
	s_or_b64 exec, exec, s[0:1]
	v_and_b32_e32 v10, 1, v21
	v_cmp_eq_u32_e32 vcc, 1, v10
	s_and_saveexec_b64 s[0:1], vcc
	s_cbranch_execz .LBB584_393
; %bb.392:
	v_sub_u32_e32 v10, v32, v19
	v_lshlrev_b32_e32 v10, 3, v10
	ds_write_b64 v10, v[12:13]
.LBB584_393:
	s_or_b64 exec, exec, s[0:1]
	v_mov_b32_e32 v10, 1
	v_and_b32_sdwa v10, v10, v16 dst_sel:DWORD dst_unused:UNUSED_PAD src0_sel:DWORD src1_sel:WORD_1
	v_cmp_eq_u32_e32 vcc, 1, v10
	s_and_saveexec_b64 s[0:1], vcc
	s_cbranch_execz .LBB584_395
; %bb.394:
	v_sub_u32_e32 v10, v30, v19
	v_lshlrev_b32_e32 v10, 3, v10
	ds_write_b64 v10, v[6:7]
.LBB584_395:
	s_or_b64 exec, exec, s[0:1]
	v_and_b32_e32 v6, 1, v20
	v_cmp_eq_u32_e32 vcc, 1, v6
	s_and_saveexec_b64 s[0:1], vcc
	s_cbranch_execz .LBB584_397
; %bb.396:
	v_sub_u32_e32 v6, v28, v19
	v_lshlrev_b32_e32 v6, 3, v6
	ds_write_b64 v6, v[8:9]
.LBB584_397:
	s_or_b64 exec, exec, s[0:1]
	v_and_b32_e32 v6, 1, v17
	;; [unrolled: 10-line block ×3, first 2 shown]
	v_cmp_eq_u32_e32 vcc, 1, v1
	s_and_saveexec_b64 s[0:1], vcc
	s_cbranch_execz .LBB584_401
; %bb.400:
	v_sub_u32_e32 v1, v24, v19
	v_lshlrev_b32_e32 v1, 3, v1
	ds_write_b64 v1, v[4:5]
.LBB584_401:
	s_or_b64 exec, exec, s[0:1]
	v_mov_b32_e32 v1, 1
	v_and_b32_sdwa v1, v1, v17 dst_sel:DWORD dst_unused:UNUSED_PAD src0_sel:DWORD src1_sel:WORD_1
	v_cmp_eq_u32_e32 vcc, 1, v1
	s_and_saveexec_b64 s[0:1], vcc
	s_cbranch_execz .LBB584_403
; %bb.402:
	v_sub_u32_e32 v1, v22, v19
	v_lshlrev_b32_e32 v1, 3, v1
	ds_write_b64 v1, v[14:15]
.LBB584_403:
	s_or_b64 exec, exec, s[0:1]
	v_cmp_lt_u32_e32 vcc, v0, v18
	s_waitcnt lgkmcnt(0)
	s_barrier
	s_and_saveexec_b64 s[0:1], vcc
	s_cbranch_execz .LBB584_406
; %bb.404:
	v_mov_b32_e32 v5, 0
	v_mov_b32_e32 v4, v19
	s_lshl_b64 s[4:5], s[22:23], 3
	v_lshlrev_b64 v[6:7], 3, v[4:5]
	v_lshl_add_u64 v[6:7], s[4:5], 0, v[6:7]
	v_lshlrev_b32_e32 v2, 3, v0
	v_mov_b32_e32 v3, v5
	v_lshl_add_u64 v[4:5], s[2:3], 0, v[6:7]
	v_lshl_add_u64 v[4:5], v[4:5], 0, v[2:3]
	s_mov_b64 s[2:3], 0
	s_mov_b64 s[4:5], 0x1000
	v_mov_b32_e32 v1, v0
.LBB584_405:                            ; =>This Inner Loop Header: Depth=1
	ds_read_b64 v[6:7], v2
	v_add_u32_e32 v1, 0x200, v1
	v_cmp_ge_u32_e32 vcc, v1, v18
	v_add_u32_e32 v2, 0x1000, v2
	s_or_b64 s[2:3], vcc, s[2:3]
	s_waitcnt lgkmcnt(0)
	global_store_dwordx2 v[4:5], v[6:7], off
	v_lshl_add_u64 v[4:5], v[4:5], 0, s[4:5]
	s_andn2_b64 exec, exec, s[2:3]
	s_cbranch_execnz .LBB584_405
.LBB584_406:
	s_or_b64 exec, exec, s[0:1]
	v_cmp_eq_u32_e32 vcc, 0, v0
	s_and_b64 s[0:1], vcc, s[24:25]
	s_and_saveexec_b64 s[2:3], s[0:1]
	s_cbranch_execz .LBB584_366
.LBB584_407:
	v_mov_b32_e32 v1, 0
	v_mov_b32_e32 v0, v18
	v_lshl_add_u64 v[2:3], s[22:23], 0, v[0:1]
	v_mov_b32_e32 v0, v19
	v_lshl_add_u64 v[2:3], v[2:3], 0, v[0:1]
	global_store_dwordx2 v1, v[2:3], s[20:21]
	s_endpgm
	.section	.rodata,"a",@progbits
	.p2align	6, 0x0
	.amdhsa_kernel _ZN7rocprim17ROCPRIM_400000_NS6detail17trampoline_kernelINS0_14default_configENS1_25partition_config_selectorILNS1_17partition_subalgoE8ElNS0_10empty_typeEbEEZZNS1_14partition_implILS5_8ELb0ES3_jPlPS6_PKS6_NS0_5tupleIJS9_S6_EEENSD_IJSA_SA_EEENS0_18inequality_wrapperIZN2at6native12_GLOBAL__N_124unique_dim_cuda_templateIlEESt5tupleIJNSH_6TensorESM_SM_EERKSM_lbbbEUlllE0_EEPmJS6_EEE10hipError_tPvRmT3_T4_T5_T6_T7_T9_mT8_P12ihipStream_tbDpT10_ENKUlT_T0_E_clISt17integral_constantIbLb1EES1B_IbLb0EEEEDaS17_S18_EUlS17_E_NS1_11comp_targetILNS1_3genE5ELNS1_11target_archE942ELNS1_3gpuE9ELNS1_3repE0EEENS1_30default_config_static_selectorELNS0_4arch9wavefront6targetE1EEEvT1_
		.amdhsa_group_segment_fixed_size 28684
		.amdhsa_private_segment_fixed_size 0
		.amdhsa_kernarg_size 120
		.amdhsa_user_sgpr_count 2
		.amdhsa_user_sgpr_dispatch_ptr 0
		.amdhsa_user_sgpr_queue_ptr 0
		.amdhsa_user_sgpr_kernarg_segment_ptr 1
		.amdhsa_user_sgpr_dispatch_id 0
		.amdhsa_user_sgpr_kernarg_preload_length 0
		.amdhsa_user_sgpr_kernarg_preload_offset 0
		.amdhsa_user_sgpr_private_segment_size 0
		.amdhsa_uses_dynamic_stack 0
		.amdhsa_enable_private_segment 0
		.amdhsa_system_sgpr_workgroup_id_x 1
		.amdhsa_system_sgpr_workgroup_id_y 0
		.amdhsa_system_sgpr_workgroup_id_z 0
		.amdhsa_system_sgpr_workgroup_info 0
		.amdhsa_system_vgpr_workitem_id 0
		.amdhsa_next_free_vgpr 52
		.amdhsa_next_free_sgpr 52
		.amdhsa_accum_offset 52
		.amdhsa_reserve_vcc 1
		.amdhsa_float_round_mode_32 0
		.amdhsa_float_round_mode_16_64 0
		.amdhsa_float_denorm_mode_32 3
		.amdhsa_float_denorm_mode_16_64 3
		.amdhsa_dx10_clamp 1
		.amdhsa_ieee_mode 1
		.amdhsa_fp16_overflow 0
		.amdhsa_tg_split 0
		.amdhsa_exception_fp_ieee_invalid_op 0
		.amdhsa_exception_fp_denorm_src 0
		.amdhsa_exception_fp_ieee_div_zero 0
		.amdhsa_exception_fp_ieee_overflow 0
		.amdhsa_exception_fp_ieee_underflow 0
		.amdhsa_exception_fp_ieee_inexact 0
		.amdhsa_exception_int_div_zero 0
	.end_amdhsa_kernel
	.section	.text._ZN7rocprim17ROCPRIM_400000_NS6detail17trampoline_kernelINS0_14default_configENS1_25partition_config_selectorILNS1_17partition_subalgoE8ElNS0_10empty_typeEbEEZZNS1_14partition_implILS5_8ELb0ES3_jPlPS6_PKS6_NS0_5tupleIJS9_S6_EEENSD_IJSA_SA_EEENS0_18inequality_wrapperIZN2at6native12_GLOBAL__N_124unique_dim_cuda_templateIlEESt5tupleIJNSH_6TensorESM_SM_EERKSM_lbbbEUlllE0_EEPmJS6_EEE10hipError_tPvRmT3_T4_T5_T6_T7_T9_mT8_P12ihipStream_tbDpT10_ENKUlT_T0_E_clISt17integral_constantIbLb1EES1B_IbLb0EEEEDaS17_S18_EUlS17_E_NS1_11comp_targetILNS1_3genE5ELNS1_11target_archE942ELNS1_3gpuE9ELNS1_3repE0EEENS1_30default_config_static_selectorELNS0_4arch9wavefront6targetE1EEEvT1_,"axG",@progbits,_ZN7rocprim17ROCPRIM_400000_NS6detail17trampoline_kernelINS0_14default_configENS1_25partition_config_selectorILNS1_17partition_subalgoE8ElNS0_10empty_typeEbEEZZNS1_14partition_implILS5_8ELb0ES3_jPlPS6_PKS6_NS0_5tupleIJS9_S6_EEENSD_IJSA_SA_EEENS0_18inequality_wrapperIZN2at6native12_GLOBAL__N_124unique_dim_cuda_templateIlEESt5tupleIJNSH_6TensorESM_SM_EERKSM_lbbbEUlllE0_EEPmJS6_EEE10hipError_tPvRmT3_T4_T5_T6_T7_T9_mT8_P12ihipStream_tbDpT10_ENKUlT_T0_E_clISt17integral_constantIbLb1EES1B_IbLb0EEEEDaS17_S18_EUlS17_E_NS1_11comp_targetILNS1_3genE5ELNS1_11target_archE942ELNS1_3gpuE9ELNS1_3repE0EEENS1_30default_config_static_selectorELNS0_4arch9wavefront6targetE1EEEvT1_,comdat
.Lfunc_end584:
	.size	_ZN7rocprim17ROCPRIM_400000_NS6detail17trampoline_kernelINS0_14default_configENS1_25partition_config_selectorILNS1_17partition_subalgoE8ElNS0_10empty_typeEbEEZZNS1_14partition_implILS5_8ELb0ES3_jPlPS6_PKS6_NS0_5tupleIJS9_S6_EEENSD_IJSA_SA_EEENS0_18inequality_wrapperIZN2at6native12_GLOBAL__N_124unique_dim_cuda_templateIlEESt5tupleIJNSH_6TensorESM_SM_EERKSM_lbbbEUlllE0_EEPmJS6_EEE10hipError_tPvRmT3_T4_T5_T6_T7_T9_mT8_P12ihipStream_tbDpT10_ENKUlT_T0_E_clISt17integral_constantIbLb1EES1B_IbLb0EEEEDaS17_S18_EUlS17_E_NS1_11comp_targetILNS1_3genE5ELNS1_11target_archE942ELNS1_3gpuE9ELNS1_3repE0EEENS1_30default_config_static_selectorELNS0_4arch9wavefront6targetE1EEEvT1_, .Lfunc_end584-_ZN7rocprim17ROCPRIM_400000_NS6detail17trampoline_kernelINS0_14default_configENS1_25partition_config_selectorILNS1_17partition_subalgoE8ElNS0_10empty_typeEbEEZZNS1_14partition_implILS5_8ELb0ES3_jPlPS6_PKS6_NS0_5tupleIJS9_S6_EEENSD_IJSA_SA_EEENS0_18inequality_wrapperIZN2at6native12_GLOBAL__N_124unique_dim_cuda_templateIlEESt5tupleIJNSH_6TensorESM_SM_EERKSM_lbbbEUlllE0_EEPmJS6_EEE10hipError_tPvRmT3_T4_T5_T6_T7_T9_mT8_P12ihipStream_tbDpT10_ENKUlT_T0_E_clISt17integral_constantIbLb1EES1B_IbLb0EEEEDaS17_S18_EUlS17_E_NS1_11comp_targetILNS1_3genE5ELNS1_11target_archE942ELNS1_3gpuE9ELNS1_3repE0EEENS1_30default_config_static_selectorELNS0_4arch9wavefront6targetE1EEEvT1_
                                        ; -- End function
	.section	.AMDGPU.csdata,"",@progbits
; Kernel info:
; codeLenInByte = 12916
; NumSgprs: 58
; NumVgprs: 52
; NumAgprs: 0
; TotalNumVgprs: 52
; ScratchSize: 0
; MemoryBound: 1
; FloatMode: 240
; IeeeMode: 1
; LDSByteSize: 28684 bytes/workgroup (compile time only)
; SGPRBlocks: 7
; VGPRBlocks: 6
; NumSGPRsForWavesPerEU: 58
; NumVGPRsForWavesPerEU: 52
; AccumOffset: 52
; Occupancy: 4
; WaveLimiterHint : 1
; COMPUTE_PGM_RSRC2:SCRATCH_EN: 0
; COMPUTE_PGM_RSRC2:USER_SGPR: 2
; COMPUTE_PGM_RSRC2:TRAP_HANDLER: 0
; COMPUTE_PGM_RSRC2:TGID_X_EN: 1
; COMPUTE_PGM_RSRC2:TGID_Y_EN: 0
; COMPUTE_PGM_RSRC2:TGID_Z_EN: 0
; COMPUTE_PGM_RSRC2:TIDIG_COMP_CNT: 0
; COMPUTE_PGM_RSRC3_GFX90A:ACCUM_OFFSET: 12
; COMPUTE_PGM_RSRC3_GFX90A:TG_SPLIT: 0
	.section	.text._ZN7rocprim17ROCPRIM_400000_NS6detail17trampoline_kernelINS0_14default_configENS1_25partition_config_selectorILNS1_17partition_subalgoE8ElNS0_10empty_typeEbEEZZNS1_14partition_implILS5_8ELb0ES3_jPlPS6_PKS6_NS0_5tupleIJS9_S6_EEENSD_IJSA_SA_EEENS0_18inequality_wrapperIZN2at6native12_GLOBAL__N_124unique_dim_cuda_templateIlEESt5tupleIJNSH_6TensorESM_SM_EERKSM_lbbbEUlllE0_EEPmJS6_EEE10hipError_tPvRmT3_T4_T5_T6_T7_T9_mT8_P12ihipStream_tbDpT10_ENKUlT_T0_E_clISt17integral_constantIbLb1EES1B_IbLb0EEEEDaS17_S18_EUlS17_E_NS1_11comp_targetILNS1_3genE4ELNS1_11target_archE910ELNS1_3gpuE8ELNS1_3repE0EEENS1_30default_config_static_selectorELNS0_4arch9wavefront6targetE1EEEvT1_,"axG",@progbits,_ZN7rocprim17ROCPRIM_400000_NS6detail17trampoline_kernelINS0_14default_configENS1_25partition_config_selectorILNS1_17partition_subalgoE8ElNS0_10empty_typeEbEEZZNS1_14partition_implILS5_8ELb0ES3_jPlPS6_PKS6_NS0_5tupleIJS9_S6_EEENSD_IJSA_SA_EEENS0_18inequality_wrapperIZN2at6native12_GLOBAL__N_124unique_dim_cuda_templateIlEESt5tupleIJNSH_6TensorESM_SM_EERKSM_lbbbEUlllE0_EEPmJS6_EEE10hipError_tPvRmT3_T4_T5_T6_T7_T9_mT8_P12ihipStream_tbDpT10_ENKUlT_T0_E_clISt17integral_constantIbLb1EES1B_IbLb0EEEEDaS17_S18_EUlS17_E_NS1_11comp_targetILNS1_3genE4ELNS1_11target_archE910ELNS1_3gpuE8ELNS1_3repE0EEENS1_30default_config_static_selectorELNS0_4arch9wavefront6targetE1EEEvT1_,comdat
	.globl	_ZN7rocprim17ROCPRIM_400000_NS6detail17trampoline_kernelINS0_14default_configENS1_25partition_config_selectorILNS1_17partition_subalgoE8ElNS0_10empty_typeEbEEZZNS1_14partition_implILS5_8ELb0ES3_jPlPS6_PKS6_NS0_5tupleIJS9_S6_EEENSD_IJSA_SA_EEENS0_18inequality_wrapperIZN2at6native12_GLOBAL__N_124unique_dim_cuda_templateIlEESt5tupleIJNSH_6TensorESM_SM_EERKSM_lbbbEUlllE0_EEPmJS6_EEE10hipError_tPvRmT3_T4_T5_T6_T7_T9_mT8_P12ihipStream_tbDpT10_ENKUlT_T0_E_clISt17integral_constantIbLb1EES1B_IbLb0EEEEDaS17_S18_EUlS17_E_NS1_11comp_targetILNS1_3genE4ELNS1_11target_archE910ELNS1_3gpuE8ELNS1_3repE0EEENS1_30default_config_static_selectorELNS0_4arch9wavefront6targetE1EEEvT1_ ; -- Begin function _ZN7rocprim17ROCPRIM_400000_NS6detail17trampoline_kernelINS0_14default_configENS1_25partition_config_selectorILNS1_17partition_subalgoE8ElNS0_10empty_typeEbEEZZNS1_14partition_implILS5_8ELb0ES3_jPlPS6_PKS6_NS0_5tupleIJS9_S6_EEENSD_IJSA_SA_EEENS0_18inequality_wrapperIZN2at6native12_GLOBAL__N_124unique_dim_cuda_templateIlEESt5tupleIJNSH_6TensorESM_SM_EERKSM_lbbbEUlllE0_EEPmJS6_EEE10hipError_tPvRmT3_T4_T5_T6_T7_T9_mT8_P12ihipStream_tbDpT10_ENKUlT_T0_E_clISt17integral_constantIbLb1EES1B_IbLb0EEEEDaS17_S18_EUlS17_E_NS1_11comp_targetILNS1_3genE4ELNS1_11target_archE910ELNS1_3gpuE8ELNS1_3repE0EEENS1_30default_config_static_selectorELNS0_4arch9wavefront6targetE1EEEvT1_
	.p2align	8
	.type	_ZN7rocprim17ROCPRIM_400000_NS6detail17trampoline_kernelINS0_14default_configENS1_25partition_config_selectorILNS1_17partition_subalgoE8ElNS0_10empty_typeEbEEZZNS1_14partition_implILS5_8ELb0ES3_jPlPS6_PKS6_NS0_5tupleIJS9_S6_EEENSD_IJSA_SA_EEENS0_18inequality_wrapperIZN2at6native12_GLOBAL__N_124unique_dim_cuda_templateIlEESt5tupleIJNSH_6TensorESM_SM_EERKSM_lbbbEUlllE0_EEPmJS6_EEE10hipError_tPvRmT3_T4_T5_T6_T7_T9_mT8_P12ihipStream_tbDpT10_ENKUlT_T0_E_clISt17integral_constantIbLb1EES1B_IbLb0EEEEDaS17_S18_EUlS17_E_NS1_11comp_targetILNS1_3genE4ELNS1_11target_archE910ELNS1_3gpuE8ELNS1_3repE0EEENS1_30default_config_static_selectorELNS0_4arch9wavefront6targetE1EEEvT1_,@function
_ZN7rocprim17ROCPRIM_400000_NS6detail17trampoline_kernelINS0_14default_configENS1_25partition_config_selectorILNS1_17partition_subalgoE8ElNS0_10empty_typeEbEEZZNS1_14partition_implILS5_8ELb0ES3_jPlPS6_PKS6_NS0_5tupleIJS9_S6_EEENSD_IJSA_SA_EEENS0_18inequality_wrapperIZN2at6native12_GLOBAL__N_124unique_dim_cuda_templateIlEESt5tupleIJNSH_6TensorESM_SM_EERKSM_lbbbEUlllE0_EEPmJS6_EEE10hipError_tPvRmT3_T4_T5_T6_T7_T9_mT8_P12ihipStream_tbDpT10_ENKUlT_T0_E_clISt17integral_constantIbLb1EES1B_IbLb0EEEEDaS17_S18_EUlS17_E_NS1_11comp_targetILNS1_3genE4ELNS1_11target_archE910ELNS1_3gpuE8ELNS1_3repE0EEENS1_30default_config_static_selectorELNS0_4arch9wavefront6targetE1EEEvT1_: ; @_ZN7rocprim17ROCPRIM_400000_NS6detail17trampoline_kernelINS0_14default_configENS1_25partition_config_selectorILNS1_17partition_subalgoE8ElNS0_10empty_typeEbEEZZNS1_14partition_implILS5_8ELb0ES3_jPlPS6_PKS6_NS0_5tupleIJS9_S6_EEENSD_IJSA_SA_EEENS0_18inequality_wrapperIZN2at6native12_GLOBAL__N_124unique_dim_cuda_templateIlEESt5tupleIJNSH_6TensorESM_SM_EERKSM_lbbbEUlllE0_EEPmJS6_EEE10hipError_tPvRmT3_T4_T5_T6_T7_T9_mT8_P12ihipStream_tbDpT10_ENKUlT_T0_E_clISt17integral_constantIbLb1EES1B_IbLb0EEEEDaS17_S18_EUlS17_E_NS1_11comp_targetILNS1_3genE4ELNS1_11target_archE910ELNS1_3gpuE8ELNS1_3repE0EEENS1_30default_config_static_selectorELNS0_4arch9wavefront6targetE1EEEvT1_
; %bb.0:
	.section	.rodata,"a",@progbits
	.p2align	6, 0x0
	.amdhsa_kernel _ZN7rocprim17ROCPRIM_400000_NS6detail17trampoline_kernelINS0_14default_configENS1_25partition_config_selectorILNS1_17partition_subalgoE8ElNS0_10empty_typeEbEEZZNS1_14partition_implILS5_8ELb0ES3_jPlPS6_PKS6_NS0_5tupleIJS9_S6_EEENSD_IJSA_SA_EEENS0_18inequality_wrapperIZN2at6native12_GLOBAL__N_124unique_dim_cuda_templateIlEESt5tupleIJNSH_6TensorESM_SM_EERKSM_lbbbEUlllE0_EEPmJS6_EEE10hipError_tPvRmT3_T4_T5_T6_T7_T9_mT8_P12ihipStream_tbDpT10_ENKUlT_T0_E_clISt17integral_constantIbLb1EES1B_IbLb0EEEEDaS17_S18_EUlS17_E_NS1_11comp_targetILNS1_3genE4ELNS1_11target_archE910ELNS1_3gpuE8ELNS1_3repE0EEENS1_30default_config_static_selectorELNS0_4arch9wavefront6targetE1EEEvT1_
		.amdhsa_group_segment_fixed_size 0
		.amdhsa_private_segment_fixed_size 0
		.amdhsa_kernarg_size 120
		.amdhsa_user_sgpr_count 2
		.amdhsa_user_sgpr_dispatch_ptr 0
		.amdhsa_user_sgpr_queue_ptr 0
		.amdhsa_user_sgpr_kernarg_segment_ptr 1
		.amdhsa_user_sgpr_dispatch_id 0
		.amdhsa_user_sgpr_kernarg_preload_length 0
		.amdhsa_user_sgpr_kernarg_preload_offset 0
		.amdhsa_user_sgpr_private_segment_size 0
		.amdhsa_uses_dynamic_stack 0
		.amdhsa_enable_private_segment 0
		.amdhsa_system_sgpr_workgroup_id_x 1
		.amdhsa_system_sgpr_workgroup_id_y 0
		.amdhsa_system_sgpr_workgroup_id_z 0
		.amdhsa_system_sgpr_workgroup_info 0
		.amdhsa_system_vgpr_workitem_id 0
		.amdhsa_next_free_vgpr 1
		.amdhsa_next_free_sgpr 0
		.amdhsa_accum_offset 4
		.amdhsa_reserve_vcc 0
		.amdhsa_float_round_mode_32 0
		.amdhsa_float_round_mode_16_64 0
		.amdhsa_float_denorm_mode_32 3
		.amdhsa_float_denorm_mode_16_64 3
		.amdhsa_dx10_clamp 1
		.amdhsa_ieee_mode 1
		.amdhsa_fp16_overflow 0
		.amdhsa_tg_split 0
		.amdhsa_exception_fp_ieee_invalid_op 0
		.amdhsa_exception_fp_denorm_src 0
		.amdhsa_exception_fp_ieee_div_zero 0
		.amdhsa_exception_fp_ieee_overflow 0
		.amdhsa_exception_fp_ieee_underflow 0
		.amdhsa_exception_fp_ieee_inexact 0
		.amdhsa_exception_int_div_zero 0
	.end_amdhsa_kernel
	.section	.text._ZN7rocprim17ROCPRIM_400000_NS6detail17trampoline_kernelINS0_14default_configENS1_25partition_config_selectorILNS1_17partition_subalgoE8ElNS0_10empty_typeEbEEZZNS1_14partition_implILS5_8ELb0ES3_jPlPS6_PKS6_NS0_5tupleIJS9_S6_EEENSD_IJSA_SA_EEENS0_18inequality_wrapperIZN2at6native12_GLOBAL__N_124unique_dim_cuda_templateIlEESt5tupleIJNSH_6TensorESM_SM_EERKSM_lbbbEUlllE0_EEPmJS6_EEE10hipError_tPvRmT3_T4_T5_T6_T7_T9_mT8_P12ihipStream_tbDpT10_ENKUlT_T0_E_clISt17integral_constantIbLb1EES1B_IbLb0EEEEDaS17_S18_EUlS17_E_NS1_11comp_targetILNS1_3genE4ELNS1_11target_archE910ELNS1_3gpuE8ELNS1_3repE0EEENS1_30default_config_static_selectorELNS0_4arch9wavefront6targetE1EEEvT1_,"axG",@progbits,_ZN7rocprim17ROCPRIM_400000_NS6detail17trampoline_kernelINS0_14default_configENS1_25partition_config_selectorILNS1_17partition_subalgoE8ElNS0_10empty_typeEbEEZZNS1_14partition_implILS5_8ELb0ES3_jPlPS6_PKS6_NS0_5tupleIJS9_S6_EEENSD_IJSA_SA_EEENS0_18inequality_wrapperIZN2at6native12_GLOBAL__N_124unique_dim_cuda_templateIlEESt5tupleIJNSH_6TensorESM_SM_EERKSM_lbbbEUlllE0_EEPmJS6_EEE10hipError_tPvRmT3_T4_T5_T6_T7_T9_mT8_P12ihipStream_tbDpT10_ENKUlT_T0_E_clISt17integral_constantIbLb1EES1B_IbLb0EEEEDaS17_S18_EUlS17_E_NS1_11comp_targetILNS1_3genE4ELNS1_11target_archE910ELNS1_3gpuE8ELNS1_3repE0EEENS1_30default_config_static_selectorELNS0_4arch9wavefront6targetE1EEEvT1_,comdat
.Lfunc_end585:
	.size	_ZN7rocprim17ROCPRIM_400000_NS6detail17trampoline_kernelINS0_14default_configENS1_25partition_config_selectorILNS1_17partition_subalgoE8ElNS0_10empty_typeEbEEZZNS1_14partition_implILS5_8ELb0ES3_jPlPS6_PKS6_NS0_5tupleIJS9_S6_EEENSD_IJSA_SA_EEENS0_18inequality_wrapperIZN2at6native12_GLOBAL__N_124unique_dim_cuda_templateIlEESt5tupleIJNSH_6TensorESM_SM_EERKSM_lbbbEUlllE0_EEPmJS6_EEE10hipError_tPvRmT3_T4_T5_T6_T7_T9_mT8_P12ihipStream_tbDpT10_ENKUlT_T0_E_clISt17integral_constantIbLb1EES1B_IbLb0EEEEDaS17_S18_EUlS17_E_NS1_11comp_targetILNS1_3genE4ELNS1_11target_archE910ELNS1_3gpuE8ELNS1_3repE0EEENS1_30default_config_static_selectorELNS0_4arch9wavefront6targetE1EEEvT1_, .Lfunc_end585-_ZN7rocprim17ROCPRIM_400000_NS6detail17trampoline_kernelINS0_14default_configENS1_25partition_config_selectorILNS1_17partition_subalgoE8ElNS0_10empty_typeEbEEZZNS1_14partition_implILS5_8ELb0ES3_jPlPS6_PKS6_NS0_5tupleIJS9_S6_EEENSD_IJSA_SA_EEENS0_18inequality_wrapperIZN2at6native12_GLOBAL__N_124unique_dim_cuda_templateIlEESt5tupleIJNSH_6TensorESM_SM_EERKSM_lbbbEUlllE0_EEPmJS6_EEE10hipError_tPvRmT3_T4_T5_T6_T7_T9_mT8_P12ihipStream_tbDpT10_ENKUlT_T0_E_clISt17integral_constantIbLb1EES1B_IbLb0EEEEDaS17_S18_EUlS17_E_NS1_11comp_targetILNS1_3genE4ELNS1_11target_archE910ELNS1_3gpuE8ELNS1_3repE0EEENS1_30default_config_static_selectorELNS0_4arch9wavefront6targetE1EEEvT1_
                                        ; -- End function
	.section	.AMDGPU.csdata,"",@progbits
; Kernel info:
; codeLenInByte = 0
; NumSgprs: 6
; NumVgprs: 0
; NumAgprs: 0
; TotalNumVgprs: 0
; ScratchSize: 0
; MemoryBound: 0
; FloatMode: 240
; IeeeMode: 1
; LDSByteSize: 0 bytes/workgroup (compile time only)
; SGPRBlocks: 0
; VGPRBlocks: 0
; NumSGPRsForWavesPerEU: 6
; NumVGPRsForWavesPerEU: 1
; AccumOffset: 4
; Occupancy: 8
; WaveLimiterHint : 0
; COMPUTE_PGM_RSRC2:SCRATCH_EN: 0
; COMPUTE_PGM_RSRC2:USER_SGPR: 2
; COMPUTE_PGM_RSRC2:TRAP_HANDLER: 0
; COMPUTE_PGM_RSRC2:TGID_X_EN: 1
; COMPUTE_PGM_RSRC2:TGID_Y_EN: 0
; COMPUTE_PGM_RSRC2:TGID_Z_EN: 0
; COMPUTE_PGM_RSRC2:TIDIG_COMP_CNT: 0
; COMPUTE_PGM_RSRC3_GFX90A:ACCUM_OFFSET: 0
; COMPUTE_PGM_RSRC3_GFX90A:TG_SPLIT: 0
	.section	.text._ZN7rocprim17ROCPRIM_400000_NS6detail17trampoline_kernelINS0_14default_configENS1_25partition_config_selectorILNS1_17partition_subalgoE8ElNS0_10empty_typeEbEEZZNS1_14partition_implILS5_8ELb0ES3_jPlPS6_PKS6_NS0_5tupleIJS9_S6_EEENSD_IJSA_SA_EEENS0_18inequality_wrapperIZN2at6native12_GLOBAL__N_124unique_dim_cuda_templateIlEESt5tupleIJNSH_6TensorESM_SM_EERKSM_lbbbEUlllE0_EEPmJS6_EEE10hipError_tPvRmT3_T4_T5_T6_T7_T9_mT8_P12ihipStream_tbDpT10_ENKUlT_T0_E_clISt17integral_constantIbLb1EES1B_IbLb0EEEEDaS17_S18_EUlS17_E_NS1_11comp_targetILNS1_3genE3ELNS1_11target_archE908ELNS1_3gpuE7ELNS1_3repE0EEENS1_30default_config_static_selectorELNS0_4arch9wavefront6targetE1EEEvT1_,"axG",@progbits,_ZN7rocprim17ROCPRIM_400000_NS6detail17trampoline_kernelINS0_14default_configENS1_25partition_config_selectorILNS1_17partition_subalgoE8ElNS0_10empty_typeEbEEZZNS1_14partition_implILS5_8ELb0ES3_jPlPS6_PKS6_NS0_5tupleIJS9_S6_EEENSD_IJSA_SA_EEENS0_18inequality_wrapperIZN2at6native12_GLOBAL__N_124unique_dim_cuda_templateIlEESt5tupleIJNSH_6TensorESM_SM_EERKSM_lbbbEUlllE0_EEPmJS6_EEE10hipError_tPvRmT3_T4_T5_T6_T7_T9_mT8_P12ihipStream_tbDpT10_ENKUlT_T0_E_clISt17integral_constantIbLb1EES1B_IbLb0EEEEDaS17_S18_EUlS17_E_NS1_11comp_targetILNS1_3genE3ELNS1_11target_archE908ELNS1_3gpuE7ELNS1_3repE0EEENS1_30default_config_static_selectorELNS0_4arch9wavefront6targetE1EEEvT1_,comdat
	.globl	_ZN7rocprim17ROCPRIM_400000_NS6detail17trampoline_kernelINS0_14default_configENS1_25partition_config_selectorILNS1_17partition_subalgoE8ElNS0_10empty_typeEbEEZZNS1_14partition_implILS5_8ELb0ES3_jPlPS6_PKS6_NS0_5tupleIJS9_S6_EEENSD_IJSA_SA_EEENS0_18inequality_wrapperIZN2at6native12_GLOBAL__N_124unique_dim_cuda_templateIlEESt5tupleIJNSH_6TensorESM_SM_EERKSM_lbbbEUlllE0_EEPmJS6_EEE10hipError_tPvRmT3_T4_T5_T6_T7_T9_mT8_P12ihipStream_tbDpT10_ENKUlT_T0_E_clISt17integral_constantIbLb1EES1B_IbLb0EEEEDaS17_S18_EUlS17_E_NS1_11comp_targetILNS1_3genE3ELNS1_11target_archE908ELNS1_3gpuE7ELNS1_3repE0EEENS1_30default_config_static_selectorELNS0_4arch9wavefront6targetE1EEEvT1_ ; -- Begin function _ZN7rocprim17ROCPRIM_400000_NS6detail17trampoline_kernelINS0_14default_configENS1_25partition_config_selectorILNS1_17partition_subalgoE8ElNS0_10empty_typeEbEEZZNS1_14partition_implILS5_8ELb0ES3_jPlPS6_PKS6_NS0_5tupleIJS9_S6_EEENSD_IJSA_SA_EEENS0_18inequality_wrapperIZN2at6native12_GLOBAL__N_124unique_dim_cuda_templateIlEESt5tupleIJNSH_6TensorESM_SM_EERKSM_lbbbEUlllE0_EEPmJS6_EEE10hipError_tPvRmT3_T4_T5_T6_T7_T9_mT8_P12ihipStream_tbDpT10_ENKUlT_T0_E_clISt17integral_constantIbLb1EES1B_IbLb0EEEEDaS17_S18_EUlS17_E_NS1_11comp_targetILNS1_3genE3ELNS1_11target_archE908ELNS1_3gpuE7ELNS1_3repE0EEENS1_30default_config_static_selectorELNS0_4arch9wavefront6targetE1EEEvT1_
	.p2align	8
	.type	_ZN7rocprim17ROCPRIM_400000_NS6detail17trampoline_kernelINS0_14default_configENS1_25partition_config_selectorILNS1_17partition_subalgoE8ElNS0_10empty_typeEbEEZZNS1_14partition_implILS5_8ELb0ES3_jPlPS6_PKS6_NS0_5tupleIJS9_S6_EEENSD_IJSA_SA_EEENS0_18inequality_wrapperIZN2at6native12_GLOBAL__N_124unique_dim_cuda_templateIlEESt5tupleIJNSH_6TensorESM_SM_EERKSM_lbbbEUlllE0_EEPmJS6_EEE10hipError_tPvRmT3_T4_T5_T6_T7_T9_mT8_P12ihipStream_tbDpT10_ENKUlT_T0_E_clISt17integral_constantIbLb1EES1B_IbLb0EEEEDaS17_S18_EUlS17_E_NS1_11comp_targetILNS1_3genE3ELNS1_11target_archE908ELNS1_3gpuE7ELNS1_3repE0EEENS1_30default_config_static_selectorELNS0_4arch9wavefront6targetE1EEEvT1_,@function
_ZN7rocprim17ROCPRIM_400000_NS6detail17trampoline_kernelINS0_14default_configENS1_25partition_config_selectorILNS1_17partition_subalgoE8ElNS0_10empty_typeEbEEZZNS1_14partition_implILS5_8ELb0ES3_jPlPS6_PKS6_NS0_5tupleIJS9_S6_EEENSD_IJSA_SA_EEENS0_18inequality_wrapperIZN2at6native12_GLOBAL__N_124unique_dim_cuda_templateIlEESt5tupleIJNSH_6TensorESM_SM_EERKSM_lbbbEUlllE0_EEPmJS6_EEE10hipError_tPvRmT3_T4_T5_T6_T7_T9_mT8_P12ihipStream_tbDpT10_ENKUlT_T0_E_clISt17integral_constantIbLb1EES1B_IbLb0EEEEDaS17_S18_EUlS17_E_NS1_11comp_targetILNS1_3genE3ELNS1_11target_archE908ELNS1_3gpuE7ELNS1_3repE0EEENS1_30default_config_static_selectorELNS0_4arch9wavefront6targetE1EEEvT1_: ; @_ZN7rocprim17ROCPRIM_400000_NS6detail17trampoline_kernelINS0_14default_configENS1_25partition_config_selectorILNS1_17partition_subalgoE8ElNS0_10empty_typeEbEEZZNS1_14partition_implILS5_8ELb0ES3_jPlPS6_PKS6_NS0_5tupleIJS9_S6_EEENSD_IJSA_SA_EEENS0_18inequality_wrapperIZN2at6native12_GLOBAL__N_124unique_dim_cuda_templateIlEESt5tupleIJNSH_6TensorESM_SM_EERKSM_lbbbEUlllE0_EEPmJS6_EEE10hipError_tPvRmT3_T4_T5_T6_T7_T9_mT8_P12ihipStream_tbDpT10_ENKUlT_T0_E_clISt17integral_constantIbLb1EES1B_IbLb0EEEEDaS17_S18_EUlS17_E_NS1_11comp_targetILNS1_3genE3ELNS1_11target_archE908ELNS1_3gpuE7ELNS1_3repE0EEENS1_30default_config_static_selectorELNS0_4arch9wavefront6targetE1EEEvT1_
; %bb.0:
	.section	.rodata,"a",@progbits
	.p2align	6, 0x0
	.amdhsa_kernel _ZN7rocprim17ROCPRIM_400000_NS6detail17trampoline_kernelINS0_14default_configENS1_25partition_config_selectorILNS1_17partition_subalgoE8ElNS0_10empty_typeEbEEZZNS1_14partition_implILS5_8ELb0ES3_jPlPS6_PKS6_NS0_5tupleIJS9_S6_EEENSD_IJSA_SA_EEENS0_18inequality_wrapperIZN2at6native12_GLOBAL__N_124unique_dim_cuda_templateIlEESt5tupleIJNSH_6TensorESM_SM_EERKSM_lbbbEUlllE0_EEPmJS6_EEE10hipError_tPvRmT3_T4_T5_T6_T7_T9_mT8_P12ihipStream_tbDpT10_ENKUlT_T0_E_clISt17integral_constantIbLb1EES1B_IbLb0EEEEDaS17_S18_EUlS17_E_NS1_11comp_targetILNS1_3genE3ELNS1_11target_archE908ELNS1_3gpuE7ELNS1_3repE0EEENS1_30default_config_static_selectorELNS0_4arch9wavefront6targetE1EEEvT1_
		.amdhsa_group_segment_fixed_size 0
		.amdhsa_private_segment_fixed_size 0
		.amdhsa_kernarg_size 120
		.amdhsa_user_sgpr_count 2
		.amdhsa_user_sgpr_dispatch_ptr 0
		.amdhsa_user_sgpr_queue_ptr 0
		.amdhsa_user_sgpr_kernarg_segment_ptr 1
		.amdhsa_user_sgpr_dispatch_id 0
		.amdhsa_user_sgpr_kernarg_preload_length 0
		.amdhsa_user_sgpr_kernarg_preload_offset 0
		.amdhsa_user_sgpr_private_segment_size 0
		.amdhsa_uses_dynamic_stack 0
		.amdhsa_enable_private_segment 0
		.amdhsa_system_sgpr_workgroup_id_x 1
		.amdhsa_system_sgpr_workgroup_id_y 0
		.amdhsa_system_sgpr_workgroup_id_z 0
		.amdhsa_system_sgpr_workgroup_info 0
		.amdhsa_system_vgpr_workitem_id 0
		.amdhsa_next_free_vgpr 1
		.amdhsa_next_free_sgpr 0
		.amdhsa_accum_offset 4
		.amdhsa_reserve_vcc 0
		.amdhsa_float_round_mode_32 0
		.amdhsa_float_round_mode_16_64 0
		.amdhsa_float_denorm_mode_32 3
		.amdhsa_float_denorm_mode_16_64 3
		.amdhsa_dx10_clamp 1
		.amdhsa_ieee_mode 1
		.amdhsa_fp16_overflow 0
		.amdhsa_tg_split 0
		.amdhsa_exception_fp_ieee_invalid_op 0
		.amdhsa_exception_fp_denorm_src 0
		.amdhsa_exception_fp_ieee_div_zero 0
		.amdhsa_exception_fp_ieee_overflow 0
		.amdhsa_exception_fp_ieee_underflow 0
		.amdhsa_exception_fp_ieee_inexact 0
		.amdhsa_exception_int_div_zero 0
	.end_amdhsa_kernel
	.section	.text._ZN7rocprim17ROCPRIM_400000_NS6detail17trampoline_kernelINS0_14default_configENS1_25partition_config_selectorILNS1_17partition_subalgoE8ElNS0_10empty_typeEbEEZZNS1_14partition_implILS5_8ELb0ES3_jPlPS6_PKS6_NS0_5tupleIJS9_S6_EEENSD_IJSA_SA_EEENS0_18inequality_wrapperIZN2at6native12_GLOBAL__N_124unique_dim_cuda_templateIlEESt5tupleIJNSH_6TensorESM_SM_EERKSM_lbbbEUlllE0_EEPmJS6_EEE10hipError_tPvRmT3_T4_T5_T6_T7_T9_mT8_P12ihipStream_tbDpT10_ENKUlT_T0_E_clISt17integral_constantIbLb1EES1B_IbLb0EEEEDaS17_S18_EUlS17_E_NS1_11comp_targetILNS1_3genE3ELNS1_11target_archE908ELNS1_3gpuE7ELNS1_3repE0EEENS1_30default_config_static_selectorELNS0_4arch9wavefront6targetE1EEEvT1_,"axG",@progbits,_ZN7rocprim17ROCPRIM_400000_NS6detail17trampoline_kernelINS0_14default_configENS1_25partition_config_selectorILNS1_17partition_subalgoE8ElNS0_10empty_typeEbEEZZNS1_14partition_implILS5_8ELb0ES3_jPlPS6_PKS6_NS0_5tupleIJS9_S6_EEENSD_IJSA_SA_EEENS0_18inequality_wrapperIZN2at6native12_GLOBAL__N_124unique_dim_cuda_templateIlEESt5tupleIJNSH_6TensorESM_SM_EERKSM_lbbbEUlllE0_EEPmJS6_EEE10hipError_tPvRmT3_T4_T5_T6_T7_T9_mT8_P12ihipStream_tbDpT10_ENKUlT_T0_E_clISt17integral_constantIbLb1EES1B_IbLb0EEEEDaS17_S18_EUlS17_E_NS1_11comp_targetILNS1_3genE3ELNS1_11target_archE908ELNS1_3gpuE7ELNS1_3repE0EEENS1_30default_config_static_selectorELNS0_4arch9wavefront6targetE1EEEvT1_,comdat
.Lfunc_end586:
	.size	_ZN7rocprim17ROCPRIM_400000_NS6detail17trampoline_kernelINS0_14default_configENS1_25partition_config_selectorILNS1_17partition_subalgoE8ElNS0_10empty_typeEbEEZZNS1_14partition_implILS5_8ELb0ES3_jPlPS6_PKS6_NS0_5tupleIJS9_S6_EEENSD_IJSA_SA_EEENS0_18inequality_wrapperIZN2at6native12_GLOBAL__N_124unique_dim_cuda_templateIlEESt5tupleIJNSH_6TensorESM_SM_EERKSM_lbbbEUlllE0_EEPmJS6_EEE10hipError_tPvRmT3_T4_T5_T6_T7_T9_mT8_P12ihipStream_tbDpT10_ENKUlT_T0_E_clISt17integral_constantIbLb1EES1B_IbLb0EEEEDaS17_S18_EUlS17_E_NS1_11comp_targetILNS1_3genE3ELNS1_11target_archE908ELNS1_3gpuE7ELNS1_3repE0EEENS1_30default_config_static_selectorELNS0_4arch9wavefront6targetE1EEEvT1_, .Lfunc_end586-_ZN7rocprim17ROCPRIM_400000_NS6detail17trampoline_kernelINS0_14default_configENS1_25partition_config_selectorILNS1_17partition_subalgoE8ElNS0_10empty_typeEbEEZZNS1_14partition_implILS5_8ELb0ES3_jPlPS6_PKS6_NS0_5tupleIJS9_S6_EEENSD_IJSA_SA_EEENS0_18inequality_wrapperIZN2at6native12_GLOBAL__N_124unique_dim_cuda_templateIlEESt5tupleIJNSH_6TensorESM_SM_EERKSM_lbbbEUlllE0_EEPmJS6_EEE10hipError_tPvRmT3_T4_T5_T6_T7_T9_mT8_P12ihipStream_tbDpT10_ENKUlT_T0_E_clISt17integral_constantIbLb1EES1B_IbLb0EEEEDaS17_S18_EUlS17_E_NS1_11comp_targetILNS1_3genE3ELNS1_11target_archE908ELNS1_3gpuE7ELNS1_3repE0EEENS1_30default_config_static_selectorELNS0_4arch9wavefront6targetE1EEEvT1_
                                        ; -- End function
	.section	.AMDGPU.csdata,"",@progbits
; Kernel info:
; codeLenInByte = 0
; NumSgprs: 6
; NumVgprs: 0
; NumAgprs: 0
; TotalNumVgprs: 0
; ScratchSize: 0
; MemoryBound: 0
; FloatMode: 240
; IeeeMode: 1
; LDSByteSize: 0 bytes/workgroup (compile time only)
; SGPRBlocks: 0
; VGPRBlocks: 0
; NumSGPRsForWavesPerEU: 6
; NumVGPRsForWavesPerEU: 1
; AccumOffset: 4
; Occupancy: 8
; WaveLimiterHint : 0
; COMPUTE_PGM_RSRC2:SCRATCH_EN: 0
; COMPUTE_PGM_RSRC2:USER_SGPR: 2
; COMPUTE_PGM_RSRC2:TRAP_HANDLER: 0
; COMPUTE_PGM_RSRC2:TGID_X_EN: 1
; COMPUTE_PGM_RSRC2:TGID_Y_EN: 0
; COMPUTE_PGM_RSRC2:TGID_Z_EN: 0
; COMPUTE_PGM_RSRC2:TIDIG_COMP_CNT: 0
; COMPUTE_PGM_RSRC3_GFX90A:ACCUM_OFFSET: 0
; COMPUTE_PGM_RSRC3_GFX90A:TG_SPLIT: 0
	.section	.text._ZN7rocprim17ROCPRIM_400000_NS6detail17trampoline_kernelINS0_14default_configENS1_25partition_config_selectorILNS1_17partition_subalgoE8ElNS0_10empty_typeEbEEZZNS1_14partition_implILS5_8ELb0ES3_jPlPS6_PKS6_NS0_5tupleIJS9_S6_EEENSD_IJSA_SA_EEENS0_18inequality_wrapperIZN2at6native12_GLOBAL__N_124unique_dim_cuda_templateIlEESt5tupleIJNSH_6TensorESM_SM_EERKSM_lbbbEUlllE0_EEPmJS6_EEE10hipError_tPvRmT3_T4_T5_T6_T7_T9_mT8_P12ihipStream_tbDpT10_ENKUlT_T0_E_clISt17integral_constantIbLb1EES1B_IbLb0EEEEDaS17_S18_EUlS17_E_NS1_11comp_targetILNS1_3genE2ELNS1_11target_archE906ELNS1_3gpuE6ELNS1_3repE0EEENS1_30default_config_static_selectorELNS0_4arch9wavefront6targetE1EEEvT1_,"axG",@progbits,_ZN7rocprim17ROCPRIM_400000_NS6detail17trampoline_kernelINS0_14default_configENS1_25partition_config_selectorILNS1_17partition_subalgoE8ElNS0_10empty_typeEbEEZZNS1_14partition_implILS5_8ELb0ES3_jPlPS6_PKS6_NS0_5tupleIJS9_S6_EEENSD_IJSA_SA_EEENS0_18inequality_wrapperIZN2at6native12_GLOBAL__N_124unique_dim_cuda_templateIlEESt5tupleIJNSH_6TensorESM_SM_EERKSM_lbbbEUlllE0_EEPmJS6_EEE10hipError_tPvRmT3_T4_T5_T6_T7_T9_mT8_P12ihipStream_tbDpT10_ENKUlT_T0_E_clISt17integral_constantIbLb1EES1B_IbLb0EEEEDaS17_S18_EUlS17_E_NS1_11comp_targetILNS1_3genE2ELNS1_11target_archE906ELNS1_3gpuE6ELNS1_3repE0EEENS1_30default_config_static_selectorELNS0_4arch9wavefront6targetE1EEEvT1_,comdat
	.globl	_ZN7rocprim17ROCPRIM_400000_NS6detail17trampoline_kernelINS0_14default_configENS1_25partition_config_selectorILNS1_17partition_subalgoE8ElNS0_10empty_typeEbEEZZNS1_14partition_implILS5_8ELb0ES3_jPlPS6_PKS6_NS0_5tupleIJS9_S6_EEENSD_IJSA_SA_EEENS0_18inequality_wrapperIZN2at6native12_GLOBAL__N_124unique_dim_cuda_templateIlEESt5tupleIJNSH_6TensorESM_SM_EERKSM_lbbbEUlllE0_EEPmJS6_EEE10hipError_tPvRmT3_T4_T5_T6_T7_T9_mT8_P12ihipStream_tbDpT10_ENKUlT_T0_E_clISt17integral_constantIbLb1EES1B_IbLb0EEEEDaS17_S18_EUlS17_E_NS1_11comp_targetILNS1_3genE2ELNS1_11target_archE906ELNS1_3gpuE6ELNS1_3repE0EEENS1_30default_config_static_selectorELNS0_4arch9wavefront6targetE1EEEvT1_ ; -- Begin function _ZN7rocprim17ROCPRIM_400000_NS6detail17trampoline_kernelINS0_14default_configENS1_25partition_config_selectorILNS1_17partition_subalgoE8ElNS0_10empty_typeEbEEZZNS1_14partition_implILS5_8ELb0ES3_jPlPS6_PKS6_NS0_5tupleIJS9_S6_EEENSD_IJSA_SA_EEENS0_18inequality_wrapperIZN2at6native12_GLOBAL__N_124unique_dim_cuda_templateIlEESt5tupleIJNSH_6TensorESM_SM_EERKSM_lbbbEUlllE0_EEPmJS6_EEE10hipError_tPvRmT3_T4_T5_T6_T7_T9_mT8_P12ihipStream_tbDpT10_ENKUlT_T0_E_clISt17integral_constantIbLb1EES1B_IbLb0EEEEDaS17_S18_EUlS17_E_NS1_11comp_targetILNS1_3genE2ELNS1_11target_archE906ELNS1_3gpuE6ELNS1_3repE0EEENS1_30default_config_static_selectorELNS0_4arch9wavefront6targetE1EEEvT1_
	.p2align	8
	.type	_ZN7rocprim17ROCPRIM_400000_NS6detail17trampoline_kernelINS0_14default_configENS1_25partition_config_selectorILNS1_17partition_subalgoE8ElNS0_10empty_typeEbEEZZNS1_14partition_implILS5_8ELb0ES3_jPlPS6_PKS6_NS0_5tupleIJS9_S6_EEENSD_IJSA_SA_EEENS0_18inequality_wrapperIZN2at6native12_GLOBAL__N_124unique_dim_cuda_templateIlEESt5tupleIJNSH_6TensorESM_SM_EERKSM_lbbbEUlllE0_EEPmJS6_EEE10hipError_tPvRmT3_T4_T5_T6_T7_T9_mT8_P12ihipStream_tbDpT10_ENKUlT_T0_E_clISt17integral_constantIbLb1EES1B_IbLb0EEEEDaS17_S18_EUlS17_E_NS1_11comp_targetILNS1_3genE2ELNS1_11target_archE906ELNS1_3gpuE6ELNS1_3repE0EEENS1_30default_config_static_selectorELNS0_4arch9wavefront6targetE1EEEvT1_,@function
_ZN7rocprim17ROCPRIM_400000_NS6detail17trampoline_kernelINS0_14default_configENS1_25partition_config_selectorILNS1_17partition_subalgoE8ElNS0_10empty_typeEbEEZZNS1_14partition_implILS5_8ELb0ES3_jPlPS6_PKS6_NS0_5tupleIJS9_S6_EEENSD_IJSA_SA_EEENS0_18inequality_wrapperIZN2at6native12_GLOBAL__N_124unique_dim_cuda_templateIlEESt5tupleIJNSH_6TensorESM_SM_EERKSM_lbbbEUlllE0_EEPmJS6_EEE10hipError_tPvRmT3_T4_T5_T6_T7_T9_mT8_P12ihipStream_tbDpT10_ENKUlT_T0_E_clISt17integral_constantIbLb1EES1B_IbLb0EEEEDaS17_S18_EUlS17_E_NS1_11comp_targetILNS1_3genE2ELNS1_11target_archE906ELNS1_3gpuE6ELNS1_3repE0EEENS1_30default_config_static_selectorELNS0_4arch9wavefront6targetE1EEEvT1_: ; @_ZN7rocprim17ROCPRIM_400000_NS6detail17trampoline_kernelINS0_14default_configENS1_25partition_config_selectorILNS1_17partition_subalgoE8ElNS0_10empty_typeEbEEZZNS1_14partition_implILS5_8ELb0ES3_jPlPS6_PKS6_NS0_5tupleIJS9_S6_EEENSD_IJSA_SA_EEENS0_18inequality_wrapperIZN2at6native12_GLOBAL__N_124unique_dim_cuda_templateIlEESt5tupleIJNSH_6TensorESM_SM_EERKSM_lbbbEUlllE0_EEPmJS6_EEE10hipError_tPvRmT3_T4_T5_T6_T7_T9_mT8_P12ihipStream_tbDpT10_ENKUlT_T0_E_clISt17integral_constantIbLb1EES1B_IbLb0EEEEDaS17_S18_EUlS17_E_NS1_11comp_targetILNS1_3genE2ELNS1_11target_archE906ELNS1_3gpuE6ELNS1_3repE0EEENS1_30default_config_static_selectorELNS0_4arch9wavefront6targetE1EEEvT1_
; %bb.0:
	.section	.rodata,"a",@progbits
	.p2align	6, 0x0
	.amdhsa_kernel _ZN7rocprim17ROCPRIM_400000_NS6detail17trampoline_kernelINS0_14default_configENS1_25partition_config_selectorILNS1_17partition_subalgoE8ElNS0_10empty_typeEbEEZZNS1_14partition_implILS5_8ELb0ES3_jPlPS6_PKS6_NS0_5tupleIJS9_S6_EEENSD_IJSA_SA_EEENS0_18inequality_wrapperIZN2at6native12_GLOBAL__N_124unique_dim_cuda_templateIlEESt5tupleIJNSH_6TensorESM_SM_EERKSM_lbbbEUlllE0_EEPmJS6_EEE10hipError_tPvRmT3_T4_T5_T6_T7_T9_mT8_P12ihipStream_tbDpT10_ENKUlT_T0_E_clISt17integral_constantIbLb1EES1B_IbLb0EEEEDaS17_S18_EUlS17_E_NS1_11comp_targetILNS1_3genE2ELNS1_11target_archE906ELNS1_3gpuE6ELNS1_3repE0EEENS1_30default_config_static_selectorELNS0_4arch9wavefront6targetE1EEEvT1_
		.amdhsa_group_segment_fixed_size 0
		.amdhsa_private_segment_fixed_size 0
		.amdhsa_kernarg_size 120
		.amdhsa_user_sgpr_count 2
		.amdhsa_user_sgpr_dispatch_ptr 0
		.amdhsa_user_sgpr_queue_ptr 0
		.amdhsa_user_sgpr_kernarg_segment_ptr 1
		.amdhsa_user_sgpr_dispatch_id 0
		.amdhsa_user_sgpr_kernarg_preload_length 0
		.amdhsa_user_sgpr_kernarg_preload_offset 0
		.amdhsa_user_sgpr_private_segment_size 0
		.amdhsa_uses_dynamic_stack 0
		.amdhsa_enable_private_segment 0
		.amdhsa_system_sgpr_workgroup_id_x 1
		.amdhsa_system_sgpr_workgroup_id_y 0
		.amdhsa_system_sgpr_workgroup_id_z 0
		.amdhsa_system_sgpr_workgroup_info 0
		.amdhsa_system_vgpr_workitem_id 0
		.amdhsa_next_free_vgpr 1
		.amdhsa_next_free_sgpr 0
		.amdhsa_accum_offset 4
		.amdhsa_reserve_vcc 0
		.amdhsa_float_round_mode_32 0
		.amdhsa_float_round_mode_16_64 0
		.amdhsa_float_denorm_mode_32 3
		.amdhsa_float_denorm_mode_16_64 3
		.amdhsa_dx10_clamp 1
		.amdhsa_ieee_mode 1
		.amdhsa_fp16_overflow 0
		.amdhsa_tg_split 0
		.amdhsa_exception_fp_ieee_invalid_op 0
		.amdhsa_exception_fp_denorm_src 0
		.amdhsa_exception_fp_ieee_div_zero 0
		.amdhsa_exception_fp_ieee_overflow 0
		.amdhsa_exception_fp_ieee_underflow 0
		.amdhsa_exception_fp_ieee_inexact 0
		.amdhsa_exception_int_div_zero 0
	.end_amdhsa_kernel
	.section	.text._ZN7rocprim17ROCPRIM_400000_NS6detail17trampoline_kernelINS0_14default_configENS1_25partition_config_selectorILNS1_17partition_subalgoE8ElNS0_10empty_typeEbEEZZNS1_14partition_implILS5_8ELb0ES3_jPlPS6_PKS6_NS0_5tupleIJS9_S6_EEENSD_IJSA_SA_EEENS0_18inequality_wrapperIZN2at6native12_GLOBAL__N_124unique_dim_cuda_templateIlEESt5tupleIJNSH_6TensorESM_SM_EERKSM_lbbbEUlllE0_EEPmJS6_EEE10hipError_tPvRmT3_T4_T5_T6_T7_T9_mT8_P12ihipStream_tbDpT10_ENKUlT_T0_E_clISt17integral_constantIbLb1EES1B_IbLb0EEEEDaS17_S18_EUlS17_E_NS1_11comp_targetILNS1_3genE2ELNS1_11target_archE906ELNS1_3gpuE6ELNS1_3repE0EEENS1_30default_config_static_selectorELNS0_4arch9wavefront6targetE1EEEvT1_,"axG",@progbits,_ZN7rocprim17ROCPRIM_400000_NS6detail17trampoline_kernelINS0_14default_configENS1_25partition_config_selectorILNS1_17partition_subalgoE8ElNS0_10empty_typeEbEEZZNS1_14partition_implILS5_8ELb0ES3_jPlPS6_PKS6_NS0_5tupleIJS9_S6_EEENSD_IJSA_SA_EEENS0_18inequality_wrapperIZN2at6native12_GLOBAL__N_124unique_dim_cuda_templateIlEESt5tupleIJNSH_6TensorESM_SM_EERKSM_lbbbEUlllE0_EEPmJS6_EEE10hipError_tPvRmT3_T4_T5_T6_T7_T9_mT8_P12ihipStream_tbDpT10_ENKUlT_T0_E_clISt17integral_constantIbLb1EES1B_IbLb0EEEEDaS17_S18_EUlS17_E_NS1_11comp_targetILNS1_3genE2ELNS1_11target_archE906ELNS1_3gpuE6ELNS1_3repE0EEENS1_30default_config_static_selectorELNS0_4arch9wavefront6targetE1EEEvT1_,comdat
.Lfunc_end587:
	.size	_ZN7rocprim17ROCPRIM_400000_NS6detail17trampoline_kernelINS0_14default_configENS1_25partition_config_selectorILNS1_17partition_subalgoE8ElNS0_10empty_typeEbEEZZNS1_14partition_implILS5_8ELb0ES3_jPlPS6_PKS6_NS0_5tupleIJS9_S6_EEENSD_IJSA_SA_EEENS0_18inequality_wrapperIZN2at6native12_GLOBAL__N_124unique_dim_cuda_templateIlEESt5tupleIJNSH_6TensorESM_SM_EERKSM_lbbbEUlllE0_EEPmJS6_EEE10hipError_tPvRmT3_T4_T5_T6_T7_T9_mT8_P12ihipStream_tbDpT10_ENKUlT_T0_E_clISt17integral_constantIbLb1EES1B_IbLb0EEEEDaS17_S18_EUlS17_E_NS1_11comp_targetILNS1_3genE2ELNS1_11target_archE906ELNS1_3gpuE6ELNS1_3repE0EEENS1_30default_config_static_selectorELNS0_4arch9wavefront6targetE1EEEvT1_, .Lfunc_end587-_ZN7rocprim17ROCPRIM_400000_NS6detail17trampoline_kernelINS0_14default_configENS1_25partition_config_selectorILNS1_17partition_subalgoE8ElNS0_10empty_typeEbEEZZNS1_14partition_implILS5_8ELb0ES3_jPlPS6_PKS6_NS0_5tupleIJS9_S6_EEENSD_IJSA_SA_EEENS0_18inequality_wrapperIZN2at6native12_GLOBAL__N_124unique_dim_cuda_templateIlEESt5tupleIJNSH_6TensorESM_SM_EERKSM_lbbbEUlllE0_EEPmJS6_EEE10hipError_tPvRmT3_T4_T5_T6_T7_T9_mT8_P12ihipStream_tbDpT10_ENKUlT_T0_E_clISt17integral_constantIbLb1EES1B_IbLb0EEEEDaS17_S18_EUlS17_E_NS1_11comp_targetILNS1_3genE2ELNS1_11target_archE906ELNS1_3gpuE6ELNS1_3repE0EEENS1_30default_config_static_selectorELNS0_4arch9wavefront6targetE1EEEvT1_
                                        ; -- End function
	.section	.AMDGPU.csdata,"",@progbits
; Kernel info:
; codeLenInByte = 0
; NumSgprs: 6
; NumVgprs: 0
; NumAgprs: 0
; TotalNumVgprs: 0
; ScratchSize: 0
; MemoryBound: 0
; FloatMode: 240
; IeeeMode: 1
; LDSByteSize: 0 bytes/workgroup (compile time only)
; SGPRBlocks: 0
; VGPRBlocks: 0
; NumSGPRsForWavesPerEU: 6
; NumVGPRsForWavesPerEU: 1
; AccumOffset: 4
; Occupancy: 8
; WaveLimiterHint : 0
; COMPUTE_PGM_RSRC2:SCRATCH_EN: 0
; COMPUTE_PGM_RSRC2:USER_SGPR: 2
; COMPUTE_PGM_RSRC2:TRAP_HANDLER: 0
; COMPUTE_PGM_RSRC2:TGID_X_EN: 1
; COMPUTE_PGM_RSRC2:TGID_Y_EN: 0
; COMPUTE_PGM_RSRC2:TGID_Z_EN: 0
; COMPUTE_PGM_RSRC2:TIDIG_COMP_CNT: 0
; COMPUTE_PGM_RSRC3_GFX90A:ACCUM_OFFSET: 0
; COMPUTE_PGM_RSRC3_GFX90A:TG_SPLIT: 0
	.section	.text._ZN7rocprim17ROCPRIM_400000_NS6detail17trampoline_kernelINS0_14default_configENS1_25partition_config_selectorILNS1_17partition_subalgoE8ElNS0_10empty_typeEbEEZZNS1_14partition_implILS5_8ELb0ES3_jPlPS6_PKS6_NS0_5tupleIJS9_S6_EEENSD_IJSA_SA_EEENS0_18inequality_wrapperIZN2at6native12_GLOBAL__N_124unique_dim_cuda_templateIlEESt5tupleIJNSH_6TensorESM_SM_EERKSM_lbbbEUlllE0_EEPmJS6_EEE10hipError_tPvRmT3_T4_T5_T6_T7_T9_mT8_P12ihipStream_tbDpT10_ENKUlT_T0_E_clISt17integral_constantIbLb1EES1B_IbLb0EEEEDaS17_S18_EUlS17_E_NS1_11comp_targetILNS1_3genE10ELNS1_11target_archE1200ELNS1_3gpuE4ELNS1_3repE0EEENS1_30default_config_static_selectorELNS0_4arch9wavefront6targetE1EEEvT1_,"axG",@progbits,_ZN7rocprim17ROCPRIM_400000_NS6detail17trampoline_kernelINS0_14default_configENS1_25partition_config_selectorILNS1_17partition_subalgoE8ElNS0_10empty_typeEbEEZZNS1_14partition_implILS5_8ELb0ES3_jPlPS6_PKS6_NS0_5tupleIJS9_S6_EEENSD_IJSA_SA_EEENS0_18inequality_wrapperIZN2at6native12_GLOBAL__N_124unique_dim_cuda_templateIlEESt5tupleIJNSH_6TensorESM_SM_EERKSM_lbbbEUlllE0_EEPmJS6_EEE10hipError_tPvRmT3_T4_T5_T6_T7_T9_mT8_P12ihipStream_tbDpT10_ENKUlT_T0_E_clISt17integral_constantIbLb1EES1B_IbLb0EEEEDaS17_S18_EUlS17_E_NS1_11comp_targetILNS1_3genE10ELNS1_11target_archE1200ELNS1_3gpuE4ELNS1_3repE0EEENS1_30default_config_static_selectorELNS0_4arch9wavefront6targetE1EEEvT1_,comdat
	.globl	_ZN7rocprim17ROCPRIM_400000_NS6detail17trampoline_kernelINS0_14default_configENS1_25partition_config_selectorILNS1_17partition_subalgoE8ElNS0_10empty_typeEbEEZZNS1_14partition_implILS5_8ELb0ES3_jPlPS6_PKS6_NS0_5tupleIJS9_S6_EEENSD_IJSA_SA_EEENS0_18inequality_wrapperIZN2at6native12_GLOBAL__N_124unique_dim_cuda_templateIlEESt5tupleIJNSH_6TensorESM_SM_EERKSM_lbbbEUlllE0_EEPmJS6_EEE10hipError_tPvRmT3_T4_T5_T6_T7_T9_mT8_P12ihipStream_tbDpT10_ENKUlT_T0_E_clISt17integral_constantIbLb1EES1B_IbLb0EEEEDaS17_S18_EUlS17_E_NS1_11comp_targetILNS1_3genE10ELNS1_11target_archE1200ELNS1_3gpuE4ELNS1_3repE0EEENS1_30default_config_static_selectorELNS0_4arch9wavefront6targetE1EEEvT1_ ; -- Begin function _ZN7rocprim17ROCPRIM_400000_NS6detail17trampoline_kernelINS0_14default_configENS1_25partition_config_selectorILNS1_17partition_subalgoE8ElNS0_10empty_typeEbEEZZNS1_14partition_implILS5_8ELb0ES3_jPlPS6_PKS6_NS0_5tupleIJS9_S6_EEENSD_IJSA_SA_EEENS0_18inequality_wrapperIZN2at6native12_GLOBAL__N_124unique_dim_cuda_templateIlEESt5tupleIJNSH_6TensorESM_SM_EERKSM_lbbbEUlllE0_EEPmJS6_EEE10hipError_tPvRmT3_T4_T5_T6_T7_T9_mT8_P12ihipStream_tbDpT10_ENKUlT_T0_E_clISt17integral_constantIbLb1EES1B_IbLb0EEEEDaS17_S18_EUlS17_E_NS1_11comp_targetILNS1_3genE10ELNS1_11target_archE1200ELNS1_3gpuE4ELNS1_3repE0EEENS1_30default_config_static_selectorELNS0_4arch9wavefront6targetE1EEEvT1_
	.p2align	8
	.type	_ZN7rocprim17ROCPRIM_400000_NS6detail17trampoline_kernelINS0_14default_configENS1_25partition_config_selectorILNS1_17partition_subalgoE8ElNS0_10empty_typeEbEEZZNS1_14partition_implILS5_8ELb0ES3_jPlPS6_PKS6_NS0_5tupleIJS9_S6_EEENSD_IJSA_SA_EEENS0_18inequality_wrapperIZN2at6native12_GLOBAL__N_124unique_dim_cuda_templateIlEESt5tupleIJNSH_6TensorESM_SM_EERKSM_lbbbEUlllE0_EEPmJS6_EEE10hipError_tPvRmT3_T4_T5_T6_T7_T9_mT8_P12ihipStream_tbDpT10_ENKUlT_T0_E_clISt17integral_constantIbLb1EES1B_IbLb0EEEEDaS17_S18_EUlS17_E_NS1_11comp_targetILNS1_3genE10ELNS1_11target_archE1200ELNS1_3gpuE4ELNS1_3repE0EEENS1_30default_config_static_selectorELNS0_4arch9wavefront6targetE1EEEvT1_,@function
_ZN7rocprim17ROCPRIM_400000_NS6detail17trampoline_kernelINS0_14default_configENS1_25partition_config_selectorILNS1_17partition_subalgoE8ElNS0_10empty_typeEbEEZZNS1_14partition_implILS5_8ELb0ES3_jPlPS6_PKS6_NS0_5tupleIJS9_S6_EEENSD_IJSA_SA_EEENS0_18inequality_wrapperIZN2at6native12_GLOBAL__N_124unique_dim_cuda_templateIlEESt5tupleIJNSH_6TensorESM_SM_EERKSM_lbbbEUlllE0_EEPmJS6_EEE10hipError_tPvRmT3_T4_T5_T6_T7_T9_mT8_P12ihipStream_tbDpT10_ENKUlT_T0_E_clISt17integral_constantIbLb1EES1B_IbLb0EEEEDaS17_S18_EUlS17_E_NS1_11comp_targetILNS1_3genE10ELNS1_11target_archE1200ELNS1_3gpuE4ELNS1_3repE0EEENS1_30default_config_static_selectorELNS0_4arch9wavefront6targetE1EEEvT1_: ; @_ZN7rocprim17ROCPRIM_400000_NS6detail17trampoline_kernelINS0_14default_configENS1_25partition_config_selectorILNS1_17partition_subalgoE8ElNS0_10empty_typeEbEEZZNS1_14partition_implILS5_8ELb0ES3_jPlPS6_PKS6_NS0_5tupleIJS9_S6_EEENSD_IJSA_SA_EEENS0_18inequality_wrapperIZN2at6native12_GLOBAL__N_124unique_dim_cuda_templateIlEESt5tupleIJNSH_6TensorESM_SM_EERKSM_lbbbEUlllE0_EEPmJS6_EEE10hipError_tPvRmT3_T4_T5_T6_T7_T9_mT8_P12ihipStream_tbDpT10_ENKUlT_T0_E_clISt17integral_constantIbLb1EES1B_IbLb0EEEEDaS17_S18_EUlS17_E_NS1_11comp_targetILNS1_3genE10ELNS1_11target_archE1200ELNS1_3gpuE4ELNS1_3repE0EEENS1_30default_config_static_selectorELNS0_4arch9wavefront6targetE1EEEvT1_
; %bb.0:
	.section	.rodata,"a",@progbits
	.p2align	6, 0x0
	.amdhsa_kernel _ZN7rocprim17ROCPRIM_400000_NS6detail17trampoline_kernelINS0_14default_configENS1_25partition_config_selectorILNS1_17partition_subalgoE8ElNS0_10empty_typeEbEEZZNS1_14partition_implILS5_8ELb0ES3_jPlPS6_PKS6_NS0_5tupleIJS9_S6_EEENSD_IJSA_SA_EEENS0_18inequality_wrapperIZN2at6native12_GLOBAL__N_124unique_dim_cuda_templateIlEESt5tupleIJNSH_6TensorESM_SM_EERKSM_lbbbEUlllE0_EEPmJS6_EEE10hipError_tPvRmT3_T4_T5_T6_T7_T9_mT8_P12ihipStream_tbDpT10_ENKUlT_T0_E_clISt17integral_constantIbLb1EES1B_IbLb0EEEEDaS17_S18_EUlS17_E_NS1_11comp_targetILNS1_3genE10ELNS1_11target_archE1200ELNS1_3gpuE4ELNS1_3repE0EEENS1_30default_config_static_selectorELNS0_4arch9wavefront6targetE1EEEvT1_
		.amdhsa_group_segment_fixed_size 0
		.amdhsa_private_segment_fixed_size 0
		.amdhsa_kernarg_size 120
		.amdhsa_user_sgpr_count 2
		.amdhsa_user_sgpr_dispatch_ptr 0
		.amdhsa_user_sgpr_queue_ptr 0
		.amdhsa_user_sgpr_kernarg_segment_ptr 1
		.amdhsa_user_sgpr_dispatch_id 0
		.amdhsa_user_sgpr_kernarg_preload_length 0
		.amdhsa_user_sgpr_kernarg_preload_offset 0
		.amdhsa_user_sgpr_private_segment_size 0
		.amdhsa_uses_dynamic_stack 0
		.amdhsa_enable_private_segment 0
		.amdhsa_system_sgpr_workgroup_id_x 1
		.amdhsa_system_sgpr_workgroup_id_y 0
		.amdhsa_system_sgpr_workgroup_id_z 0
		.amdhsa_system_sgpr_workgroup_info 0
		.amdhsa_system_vgpr_workitem_id 0
		.amdhsa_next_free_vgpr 1
		.amdhsa_next_free_sgpr 0
		.amdhsa_accum_offset 4
		.amdhsa_reserve_vcc 0
		.amdhsa_float_round_mode_32 0
		.amdhsa_float_round_mode_16_64 0
		.amdhsa_float_denorm_mode_32 3
		.amdhsa_float_denorm_mode_16_64 3
		.amdhsa_dx10_clamp 1
		.amdhsa_ieee_mode 1
		.amdhsa_fp16_overflow 0
		.amdhsa_tg_split 0
		.amdhsa_exception_fp_ieee_invalid_op 0
		.amdhsa_exception_fp_denorm_src 0
		.amdhsa_exception_fp_ieee_div_zero 0
		.amdhsa_exception_fp_ieee_overflow 0
		.amdhsa_exception_fp_ieee_underflow 0
		.amdhsa_exception_fp_ieee_inexact 0
		.amdhsa_exception_int_div_zero 0
	.end_amdhsa_kernel
	.section	.text._ZN7rocprim17ROCPRIM_400000_NS6detail17trampoline_kernelINS0_14default_configENS1_25partition_config_selectorILNS1_17partition_subalgoE8ElNS0_10empty_typeEbEEZZNS1_14partition_implILS5_8ELb0ES3_jPlPS6_PKS6_NS0_5tupleIJS9_S6_EEENSD_IJSA_SA_EEENS0_18inequality_wrapperIZN2at6native12_GLOBAL__N_124unique_dim_cuda_templateIlEESt5tupleIJNSH_6TensorESM_SM_EERKSM_lbbbEUlllE0_EEPmJS6_EEE10hipError_tPvRmT3_T4_T5_T6_T7_T9_mT8_P12ihipStream_tbDpT10_ENKUlT_T0_E_clISt17integral_constantIbLb1EES1B_IbLb0EEEEDaS17_S18_EUlS17_E_NS1_11comp_targetILNS1_3genE10ELNS1_11target_archE1200ELNS1_3gpuE4ELNS1_3repE0EEENS1_30default_config_static_selectorELNS0_4arch9wavefront6targetE1EEEvT1_,"axG",@progbits,_ZN7rocprim17ROCPRIM_400000_NS6detail17trampoline_kernelINS0_14default_configENS1_25partition_config_selectorILNS1_17partition_subalgoE8ElNS0_10empty_typeEbEEZZNS1_14partition_implILS5_8ELb0ES3_jPlPS6_PKS6_NS0_5tupleIJS9_S6_EEENSD_IJSA_SA_EEENS0_18inequality_wrapperIZN2at6native12_GLOBAL__N_124unique_dim_cuda_templateIlEESt5tupleIJNSH_6TensorESM_SM_EERKSM_lbbbEUlllE0_EEPmJS6_EEE10hipError_tPvRmT3_T4_T5_T6_T7_T9_mT8_P12ihipStream_tbDpT10_ENKUlT_T0_E_clISt17integral_constantIbLb1EES1B_IbLb0EEEEDaS17_S18_EUlS17_E_NS1_11comp_targetILNS1_3genE10ELNS1_11target_archE1200ELNS1_3gpuE4ELNS1_3repE0EEENS1_30default_config_static_selectorELNS0_4arch9wavefront6targetE1EEEvT1_,comdat
.Lfunc_end588:
	.size	_ZN7rocprim17ROCPRIM_400000_NS6detail17trampoline_kernelINS0_14default_configENS1_25partition_config_selectorILNS1_17partition_subalgoE8ElNS0_10empty_typeEbEEZZNS1_14partition_implILS5_8ELb0ES3_jPlPS6_PKS6_NS0_5tupleIJS9_S6_EEENSD_IJSA_SA_EEENS0_18inequality_wrapperIZN2at6native12_GLOBAL__N_124unique_dim_cuda_templateIlEESt5tupleIJNSH_6TensorESM_SM_EERKSM_lbbbEUlllE0_EEPmJS6_EEE10hipError_tPvRmT3_T4_T5_T6_T7_T9_mT8_P12ihipStream_tbDpT10_ENKUlT_T0_E_clISt17integral_constantIbLb1EES1B_IbLb0EEEEDaS17_S18_EUlS17_E_NS1_11comp_targetILNS1_3genE10ELNS1_11target_archE1200ELNS1_3gpuE4ELNS1_3repE0EEENS1_30default_config_static_selectorELNS0_4arch9wavefront6targetE1EEEvT1_, .Lfunc_end588-_ZN7rocprim17ROCPRIM_400000_NS6detail17trampoline_kernelINS0_14default_configENS1_25partition_config_selectorILNS1_17partition_subalgoE8ElNS0_10empty_typeEbEEZZNS1_14partition_implILS5_8ELb0ES3_jPlPS6_PKS6_NS0_5tupleIJS9_S6_EEENSD_IJSA_SA_EEENS0_18inequality_wrapperIZN2at6native12_GLOBAL__N_124unique_dim_cuda_templateIlEESt5tupleIJNSH_6TensorESM_SM_EERKSM_lbbbEUlllE0_EEPmJS6_EEE10hipError_tPvRmT3_T4_T5_T6_T7_T9_mT8_P12ihipStream_tbDpT10_ENKUlT_T0_E_clISt17integral_constantIbLb1EES1B_IbLb0EEEEDaS17_S18_EUlS17_E_NS1_11comp_targetILNS1_3genE10ELNS1_11target_archE1200ELNS1_3gpuE4ELNS1_3repE0EEENS1_30default_config_static_selectorELNS0_4arch9wavefront6targetE1EEEvT1_
                                        ; -- End function
	.section	.AMDGPU.csdata,"",@progbits
; Kernel info:
; codeLenInByte = 0
; NumSgprs: 6
; NumVgprs: 0
; NumAgprs: 0
; TotalNumVgprs: 0
; ScratchSize: 0
; MemoryBound: 0
; FloatMode: 240
; IeeeMode: 1
; LDSByteSize: 0 bytes/workgroup (compile time only)
; SGPRBlocks: 0
; VGPRBlocks: 0
; NumSGPRsForWavesPerEU: 6
; NumVGPRsForWavesPerEU: 1
; AccumOffset: 4
; Occupancy: 8
; WaveLimiterHint : 0
; COMPUTE_PGM_RSRC2:SCRATCH_EN: 0
; COMPUTE_PGM_RSRC2:USER_SGPR: 2
; COMPUTE_PGM_RSRC2:TRAP_HANDLER: 0
; COMPUTE_PGM_RSRC2:TGID_X_EN: 1
; COMPUTE_PGM_RSRC2:TGID_Y_EN: 0
; COMPUTE_PGM_RSRC2:TGID_Z_EN: 0
; COMPUTE_PGM_RSRC2:TIDIG_COMP_CNT: 0
; COMPUTE_PGM_RSRC3_GFX90A:ACCUM_OFFSET: 0
; COMPUTE_PGM_RSRC3_GFX90A:TG_SPLIT: 0
	.section	.text._ZN7rocprim17ROCPRIM_400000_NS6detail17trampoline_kernelINS0_14default_configENS1_25partition_config_selectorILNS1_17partition_subalgoE8ElNS0_10empty_typeEbEEZZNS1_14partition_implILS5_8ELb0ES3_jPlPS6_PKS6_NS0_5tupleIJS9_S6_EEENSD_IJSA_SA_EEENS0_18inequality_wrapperIZN2at6native12_GLOBAL__N_124unique_dim_cuda_templateIlEESt5tupleIJNSH_6TensorESM_SM_EERKSM_lbbbEUlllE0_EEPmJS6_EEE10hipError_tPvRmT3_T4_T5_T6_T7_T9_mT8_P12ihipStream_tbDpT10_ENKUlT_T0_E_clISt17integral_constantIbLb1EES1B_IbLb0EEEEDaS17_S18_EUlS17_E_NS1_11comp_targetILNS1_3genE9ELNS1_11target_archE1100ELNS1_3gpuE3ELNS1_3repE0EEENS1_30default_config_static_selectorELNS0_4arch9wavefront6targetE1EEEvT1_,"axG",@progbits,_ZN7rocprim17ROCPRIM_400000_NS6detail17trampoline_kernelINS0_14default_configENS1_25partition_config_selectorILNS1_17partition_subalgoE8ElNS0_10empty_typeEbEEZZNS1_14partition_implILS5_8ELb0ES3_jPlPS6_PKS6_NS0_5tupleIJS9_S6_EEENSD_IJSA_SA_EEENS0_18inequality_wrapperIZN2at6native12_GLOBAL__N_124unique_dim_cuda_templateIlEESt5tupleIJNSH_6TensorESM_SM_EERKSM_lbbbEUlllE0_EEPmJS6_EEE10hipError_tPvRmT3_T4_T5_T6_T7_T9_mT8_P12ihipStream_tbDpT10_ENKUlT_T0_E_clISt17integral_constantIbLb1EES1B_IbLb0EEEEDaS17_S18_EUlS17_E_NS1_11comp_targetILNS1_3genE9ELNS1_11target_archE1100ELNS1_3gpuE3ELNS1_3repE0EEENS1_30default_config_static_selectorELNS0_4arch9wavefront6targetE1EEEvT1_,comdat
	.globl	_ZN7rocprim17ROCPRIM_400000_NS6detail17trampoline_kernelINS0_14default_configENS1_25partition_config_selectorILNS1_17partition_subalgoE8ElNS0_10empty_typeEbEEZZNS1_14partition_implILS5_8ELb0ES3_jPlPS6_PKS6_NS0_5tupleIJS9_S6_EEENSD_IJSA_SA_EEENS0_18inequality_wrapperIZN2at6native12_GLOBAL__N_124unique_dim_cuda_templateIlEESt5tupleIJNSH_6TensorESM_SM_EERKSM_lbbbEUlllE0_EEPmJS6_EEE10hipError_tPvRmT3_T4_T5_T6_T7_T9_mT8_P12ihipStream_tbDpT10_ENKUlT_T0_E_clISt17integral_constantIbLb1EES1B_IbLb0EEEEDaS17_S18_EUlS17_E_NS1_11comp_targetILNS1_3genE9ELNS1_11target_archE1100ELNS1_3gpuE3ELNS1_3repE0EEENS1_30default_config_static_selectorELNS0_4arch9wavefront6targetE1EEEvT1_ ; -- Begin function _ZN7rocprim17ROCPRIM_400000_NS6detail17trampoline_kernelINS0_14default_configENS1_25partition_config_selectorILNS1_17partition_subalgoE8ElNS0_10empty_typeEbEEZZNS1_14partition_implILS5_8ELb0ES3_jPlPS6_PKS6_NS0_5tupleIJS9_S6_EEENSD_IJSA_SA_EEENS0_18inequality_wrapperIZN2at6native12_GLOBAL__N_124unique_dim_cuda_templateIlEESt5tupleIJNSH_6TensorESM_SM_EERKSM_lbbbEUlllE0_EEPmJS6_EEE10hipError_tPvRmT3_T4_T5_T6_T7_T9_mT8_P12ihipStream_tbDpT10_ENKUlT_T0_E_clISt17integral_constantIbLb1EES1B_IbLb0EEEEDaS17_S18_EUlS17_E_NS1_11comp_targetILNS1_3genE9ELNS1_11target_archE1100ELNS1_3gpuE3ELNS1_3repE0EEENS1_30default_config_static_selectorELNS0_4arch9wavefront6targetE1EEEvT1_
	.p2align	8
	.type	_ZN7rocprim17ROCPRIM_400000_NS6detail17trampoline_kernelINS0_14default_configENS1_25partition_config_selectorILNS1_17partition_subalgoE8ElNS0_10empty_typeEbEEZZNS1_14partition_implILS5_8ELb0ES3_jPlPS6_PKS6_NS0_5tupleIJS9_S6_EEENSD_IJSA_SA_EEENS0_18inequality_wrapperIZN2at6native12_GLOBAL__N_124unique_dim_cuda_templateIlEESt5tupleIJNSH_6TensorESM_SM_EERKSM_lbbbEUlllE0_EEPmJS6_EEE10hipError_tPvRmT3_T4_T5_T6_T7_T9_mT8_P12ihipStream_tbDpT10_ENKUlT_T0_E_clISt17integral_constantIbLb1EES1B_IbLb0EEEEDaS17_S18_EUlS17_E_NS1_11comp_targetILNS1_3genE9ELNS1_11target_archE1100ELNS1_3gpuE3ELNS1_3repE0EEENS1_30default_config_static_selectorELNS0_4arch9wavefront6targetE1EEEvT1_,@function
_ZN7rocprim17ROCPRIM_400000_NS6detail17trampoline_kernelINS0_14default_configENS1_25partition_config_selectorILNS1_17partition_subalgoE8ElNS0_10empty_typeEbEEZZNS1_14partition_implILS5_8ELb0ES3_jPlPS6_PKS6_NS0_5tupleIJS9_S6_EEENSD_IJSA_SA_EEENS0_18inequality_wrapperIZN2at6native12_GLOBAL__N_124unique_dim_cuda_templateIlEESt5tupleIJNSH_6TensorESM_SM_EERKSM_lbbbEUlllE0_EEPmJS6_EEE10hipError_tPvRmT3_T4_T5_T6_T7_T9_mT8_P12ihipStream_tbDpT10_ENKUlT_T0_E_clISt17integral_constantIbLb1EES1B_IbLb0EEEEDaS17_S18_EUlS17_E_NS1_11comp_targetILNS1_3genE9ELNS1_11target_archE1100ELNS1_3gpuE3ELNS1_3repE0EEENS1_30default_config_static_selectorELNS0_4arch9wavefront6targetE1EEEvT1_: ; @_ZN7rocprim17ROCPRIM_400000_NS6detail17trampoline_kernelINS0_14default_configENS1_25partition_config_selectorILNS1_17partition_subalgoE8ElNS0_10empty_typeEbEEZZNS1_14partition_implILS5_8ELb0ES3_jPlPS6_PKS6_NS0_5tupleIJS9_S6_EEENSD_IJSA_SA_EEENS0_18inequality_wrapperIZN2at6native12_GLOBAL__N_124unique_dim_cuda_templateIlEESt5tupleIJNSH_6TensorESM_SM_EERKSM_lbbbEUlllE0_EEPmJS6_EEE10hipError_tPvRmT3_T4_T5_T6_T7_T9_mT8_P12ihipStream_tbDpT10_ENKUlT_T0_E_clISt17integral_constantIbLb1EES1B_IbLb0EEEEDaS17_S18_EUlS17_E_NS1_11comp_targetILNS1_3genE9ELNS1_11target_archE1100ELNS1_3gpuE3ELNS1_3repE0EEENS1_30default_config_static_selectorELNS0_4arch9wavefront6targetE1EEEvT1_
; %bb.0:
	.section	.rodata,"a",@progbits
	.p2align	6, 0x0
	.amdhsa_kernel _ZN7rocprim17ROCPRIM_400000_NS6detail17trampoline_kernelINS0_14default_configENS1_25partition_config_selectorILNS1_17partition_subalgoE8ElNS0_10empty_typeEbEEZZNS1_14partition_implILS5_8ELb0ES3_jPlPS6_PKS6_NS0_5tupleIJS9_S6_EEENSD_IJSA_SA_EEENS0_18inequality_wrapperIZN2at6native12_GLOBAL__N_124unique_dim_cuda_templateIlEESt5tupleIJNSH_6TensorESM_SM_EERKSM_lbbbEUlllE0_EEPmJS6_EEE10hipError_tPvRmT3_T4_T5_T6_T7_T9_mT8_P12ihipStream_tbDpT10_ENKUlT_T0_E_clISt17integral_constantIbLb1EES1B_IbLb0EEEEDaS17_S18_EUlS17_E_NS1_11comp_targetILNS1_3genE9ELNS1_11target_archE1100ELNS1_3gpuE3ELNS1_3repE0EEENS1_30default_config_static_selectorELNS0_4arch9wavefront6targetE1EEEvT1_
		.amdhsa_group_segment_fixed_size 0
		.amdhsa_private_segment_fixed_size 0
		.amdhsa_kernarg_size 120
		.amdhsa_user_sgpr_count 2
		.amdhsa_user_sgpr_dispatch_ptr 0
		.amdhsa_user_sgpr_queue_ptr 0
		.amdhsa_user_sgpr_kernarg_segment_ptr 1
		.amdhsa_user_sgpr_dispatch_id 0
		.amdhsa_user_sgpr_kernarg_preload_length 0
		.amdhsa_user_sgpr_kernarg_preload_offset 0
		.amdhsa_user_sgpr_private_segment_size 0
		.amdhsa_uses_dynamic_stack 0
		.amdhsa_enable_private_segment 0
		.amdhsa_system_sgpr_workgroup_id_x 1
		.amdhsa_system_sgpr_workgroup_id_y 0
		.amdhsa_system_sgpr_workgroup_id_z 0
		.amdhsa_system_sgpr_workgroup_info 0
		.amdhsa_system_vgpr_workitem_id 0
		.amdhsa_next_free_vgpr 1
		.amdhsa_next_free_sgpr 0
		.amdhsa_accum_offset 4
		.amdhsa_reserve_vcc 0
		.amdhsa_float_round_mode_32 0
		.amdhsa_float_round_mode_16_64 0
		.amdhsa_float_denorm_mode_32 3
		.amdhsa_float_denorm_mode_16_64 3
		.amdhsa_dx10_clamp 1
		.amdhsa_ieee_mode 1
		.amdhsa_fp16_overflow 0
		.amdhsa_tg_split 0
		.amdhsa_exception_fp_ieee_invalid_op 0
		.amdhsa_exception_fp_denorm_src 0
		.amdhsa_exception_fp_ieee_div_zero 0
		.amdhsa_exception_fp_ieee_overflow 0
		.amdhsa_exception_fp_ieee_underflow 0
		.amdhsa_exception_fp_ieee_inexact 0
		.amdhsa_exception_int_div_zero 0
	.end_amdhsa_kernel
	.section	.text._ZN7rocprim17ROCPRIM_400000_NS6detail17trampoline_kernelINS0_14default_configENS1_25partition_config_selectorILNS1_17partition_subalgoE8ElNS0_10empty_typeEbEEZZNS1_14partition_implILS5_8ELb0ES3_jPlPS6_PKS6_NS0_5tupleIJS9_S6_EEENSD_IJSA_SA_EEENS0_18inequality_wrapperIZN2at6native12_GLOBAL__N_124unique_dim_cuda_templateIlEESt5tupleIJNSH_6TensorESM_SM_EERKSM_lbbbEUlllE0_EEPmJS6_EEE10hipError_tPvRmT3_T4_T5_T6_T7_T9_mT8_P12ihipStream_tbDpT10_ENKUlT_T0_E_clISt17integral_constantIbLb1EES1B_IbLb0EEEEDaS17_S18_EUlS17_E_NS1_11comp_targetILNS1_3genE9ELNS1_11target_archE1100ELNS1_3gpuE3ELNS1_3repE0EEENS1_30default_config_static_selectorELNS0_4arch9wavefront6targetE1EEEvT1_,"axG",@progbits,_ZN7rocprim17ROCPRIM_400000_NS6detail17trampoline_kernelINS0_14default_configENS1_25partition_config_selectorILNS1_17partition_subalgoE8ElNS0_10empty_typeEbEEZZNS1_14partition_implILS5_8ELb0ES3_jPlPS6_PKS6_NS0_5tupleIJS9_S6_EEENSD_IJSA_SA_EEENS0_18inequality_wrapperIZN2at6native12_GLOBAL__N_124unique_dim_cuda_templateIlEESt5tupleIJNSH_6TensorESM_SM_EERKSM_lbbbEUlllE0_EEPmJS6_EEE10hipError_tPvRmT3_T4_T5_T6_T7_T9_mT8_P12ihipStream_tbDpT10_ENKUlT_T0_E_clISt17integral_constantIbLb1EES1B_IbLb0EEEEDaS17_S18_EUlS17_E_NS1_11comp_targetILNS1_3genE9ELNS1_11target_archE1100ELNS1_3gpuE3ELNS1_3repE0EEENS1_30default_config_static_selectorELNS0_4arch9wavefront6targetE1EEEvT1_,comdat
.Lfunc_end589:
	.size	_ZN7rocprim17ROCPRIM_400000_NS6detail17trampoline_kernelINS0_14default_configENS1_25partition_config_selectorILNS1_17partition_subalgoE8ElNS0_10empty_typeEbEEZZNS1_14partition_implILS5_8ELb0ES3_jPlPS6_PKS6_NS0_5tupleIJS9_S6_EEENSD_IJSA_SA_EEENS0_18inequality_wrapperIZN2at6native12_GLOBAL__N_124unique_dim_cuda_templateIlEESt5tupleIJNSH_6TensorESM_SM_EERKSM_lbbbEUlllE0_EEPmJS6_EEE10hipError_tPvRmT3_T4_T5_T6_T7_T9_mT8_P12ihipStream_tbDpT10_ENKUlT_T0_E_clISt17integral_constantIbLb1EES1B_IbLb0EEEEDaS17_S18_EUlS17_E_NS1_11comp_targetILNS1_3genE9ELNS1_11target_archE1100ELNS1_3gpuE3ELNS1_3repE0EEENS1_30default_config_static_selectorELNS0_4arch9wavefront6targetE1EEEvT1_, .Lfunc_end589-_ZN7rocprim17ROCPRIM_400000_NS6detail17trampoline_kernelINS0_14default_configENS1_25partition_config_selectorILNS1_17partition_subalgoE8ElNS0_10empty_typeEbEEZZNS1_14partition_implILS5_8ELb0ES3_jPlPS6_PKS6_NS0_5tupleIJS9_S6_EEENSD_IJSA_SA_EEENS0_18inequality_wrapperIZN2at6native12_GLOBAL__N_124unique_dim_cuda_templateIlEESt5tupleIJNSH_6TensorESM_SM_EERKSM_lbbbEUlllE0_EEPmJS6_EEE10hipError_tPvRmT3_T4_T5_T6_T7_T9_mT8_P12ihipStream_tbDpT10_ENKUlT_T0_E_clISt17integral_constantIbLb1EES1B_IbLb0EEEEDaS17_S18_EUlS17_E_NS1_11comp_targetILNS1_3genE9ELNS1_11target_archE1100ELNS1_3gpuE3ELNS1_3repE0EEENS1_30default_config_static_selectorELNS0_4arch9wavefront6targetE1EEEvT1_
                                        ; -- End function
	.section	.AMDGPU.csdata,"",@progbits
; Kernel info:
; codeLenInByte = 0
; NumSgprs: 6
; NumVgprs: 0
; NumAgprs: 0
; TotalNumVgprs: 0
; ScratchSize: 0
; MemoryBound: 0
; FloatMode: 240
; IeeeMode: 1
; LDSByteSize: 0 bytes/workgroup (compile time only)
; SGPRBlocks: 0
; VGPRBlocks: 0
; NumSGPRsForWavesPerEU: 6
; NumVGPRsForWavesPerEU: 1
; AccumOffset: 4
; Occupancy: 8
; WaveLimiterHint : 0
; COMPUTE_PGM_RSRC2:SCRATCH_EN: 0
; COMPUTE_PGM_RSRC2:USER_SGPR: 2
; COMPUTE_PGM_RSRC2:TRAP_HANDLER: 0
; COMPUTE_PGM_RSRC2:TGID_X_EN: 1
; COMPUTE_PGM_RSRC2:TGID_Y_EN: 0
; COMPUTE_PGM_RSRC2:TGID_Z_EN: 0
; COMPUTE_PGM_RSRC2:TIDIG_COMP_CNT: 0
; COMPUTE_PGM_RSRC3_GFX90A:ACCUM_OFFSET: 0
; COMPUTE_PGM_RSRC3_GFX90A:TG_SPLIT: 0
	.section	.text._ZN7rocprim17ROCPRIM_400000_NS6detail17trampoline_kernelINS0_14default_configENS1_25partition_config_selectorILNS1_17partition_subalgoE8ElNS0_10empty_typeEbEEZZNS1_14partition_implILS5_8ELb0ES3_jPlPS6_PKS6_NS0_5tupleIJS9_S6_EEENSD_IJSA_SA_EEENS0_18inequality_wrapperIZN2at6native12_GLOBAL__N_124unique_dim_cuda_templateIlEESt5tupleIJNSH_6TensorESM_SM_EERKSM_lbbbEUlllE0_EEPmJS6_EEE10hipError_tPvRmT3_T4_T5_T6_T7_T9_mT8_P12ihipStream_tbDpT10_ENKUlT_T0_E_clISt17integral_constantIbLb1EES1B_IbLb0EEEEDaS17_S18_EUlS17_E_NS1_11comp_targetILNS1_3genE8ELNS1_11target_archE1030ELNS1_3gpuE2ELNS1_3repE0EEENS1_30default_config_static_selectorELNS0_4arch9wavefront6targetE1EEEvT1_,"axG",@progbits,_ZN7rocprim17ROCPRIM_400000_NS6detail17trampoline_kernelINS0_14default_configENS1_25partition_config_selectorILNS1_17partition_subalgoE8ElNS0_10empty_typeEbEEZZNS1_14partition_implILS5_8ELb0ES3_jPlPS6_PKS6_NS0_5tupleIJS9_S6_EEENSD_IJSA_SA_EEENS0_18inequality_wrapperIZN2at6native12_GLOBAL__N_124unique_dim_cuda_templateIlEESt5tupleIJNSH_6TensorESM_SM_EERKSM_lbbbEUlllE0_EEPmJS6_EEE10hipError_tPvRmT3_T4_T5_T6_T7_T9_mT8_P12ihipStream_tbDpT10_ENKUlT_T0_E_clISt17integral_constantIbLb1EES1B_IbLb0EEEEDaS17_S18_EUlS17_E_NS1_11comp_targetILNS1_3genE8ELNS1_11target_archE1030ELNS1_3gpuE2ELNS1_3repE0EEENS1_30default_config_static_selectorELNS0_4arch9wavefront6targetE1EEEvT1_,comdat
	.globl	_ZN7rocprim17ROCPRIM_400000_NS6detail17trampoline_kernelINS0_14default_configENS1_25partition_config_selectorILNS1_17partition_subalgoE8ElNS0_10empty_typeEbEEZZNS1_14partition_implILS5_8ELb0ES3_jPlPS6_PKS6_NS0_5tupleIJS9_S6_EEENSD_IJSA_SA_EEENS0_18inequality_wrapperIZN2at6native12_GLOBAL__N_124unique_dim_cuda_templateIlEESt5tupleIJNSH_6TensorESM_SM_EERKSM_lbbbEUlllE0_EEPmJS6_EEE10hipError_tPvRmT3_T4_T5_T6_T7_T9_mT8_P12ihipStream_tbDpT10_ENKUlT_T0_E_clISt17integral_constantIbLb1EES1B_IbLb0EEEEDaS17_S18_EUlS17_E_NS1_11comp_targetILNS1_3genE8ELNS1_11target_archE1030ELNS1_3gpuE2ELNS1_3repE0EEENS1_30default_config_static_selectorELNS0_4arch9wavefront6targetE1EEEvT1_ ; -- Begin function _ZN7rocprim17ROCPRIM_400000_NS6detail17trampoline_kernelINS0_14default_configENS1_25partition_config_selectorILNS1_17partition_subalgoE8ElNS0_10empty_typeEbEEZZNS1_14partition_implILS5_8ELb0ES3_jPlPS6_PKS6_NS0_5tupleIJS9_S6_EEENSD_IJSA_SA_EEENS0_18inequality_wrapperIZN2at6native12_GLOBAL__N_124unique_dim_cuda_templateIlEESt5tupleIJNSH_6TensorESM_SM_EERKSM_lbbbEUlllE0_EEPmJS6_EEE10hipError_tPvRmT3_T4_T5_T6_T7_T9_mT8_P12ihipStream_tbDpT10_ENKUlT_T0_E_clISt17integral_constantIbLb1EES1B_IbLb0EEEEDaS17_S18_EUlS17_E_NS1_11comp_targetILNS1_3genE8ELNS1_11target_archE1030ELNS1_3gpuE2ELNS1_3repE0EEENS1_30default_config_static_selectorELNS0_4arch9wavefront6targetE1EEEvT1_
	.p2align	8
	.type	_ZN7rocprim17ROCPRIM_400000_NS6detail17trampoline_kernelINS0_14default_configENS1_25partition_config_selectorILNS1_17partition_subalgoE8ElNS0_10empty_typeEbEEZZNS1_14partition_implILS5_8ELb0ES3_jPlPS6_PKS6_NS0_5tupleIJS9_S6_EEENSD_IJSA_SA_EEENS0_18inequality_wrapperIZN2at6native12_GLOBAL__N_124unique_dim_cuda_templateIlEESt5tupleIJNSH_6TensorESM_SM_EERKSM_lbbbEUlllE0_EEPmJS6_EEE10hipError_tPvRmT3_T4_T5_T6_T7_T9_mT8_P12ihipStream_tbDpT10_ENKUlT_T0_E_clISt17integral_constantIbLb1EES1B_IbLb0EEEEDaS17_S18_EUlS17_E_NS1_11comp_targetILNS1_3genE8ELNS1_11target_archE1030ELNS1_3gpuE2ELNS1_3repE0EEENS1_30default_config_static_selectorELNS0_4arch9wavefront6targetE1EEEvT1_,@function
_ZN7rocprim17ROCPRIM_400000_NS6detail17trampoline_kernelINS0_14default_configENS1_25partition_config_selectorILNS1_17partition_subalgoE8ElNS0_10empty_typeEbEEZZNS1_14partition_implILS5_8ELb0ES3_jPlPS6_PKS6_NS0_5tupleIJS9_S6_EEENSD_IJSA_SA_EEENS0_18inequality_wrapperIZN2at6native12_GLOBAL__N_124unique_dim_cuda_templateIlEESt5tupleIJNSH_6TensorESM_SM_EERKSM_lbbbEUlllE0_EEPmJS6_EEE10hipError_tPvRmT3_T4_T5_T6_T7_T9_mT8_P12ihipStream_tbDpT10_ENKUlT_T0_E_clISt17integral_constantIbLb1EES1B_IbLb0EEEEDaS17_S18_EUlS17_E_NS1_11comp_targetILNS1_3genE8ELNS1_11target_archE1030ELNS1_3gpuE2ELNS1_3repE0EEENS1_30default_config_static_selectorELNS0_4arch9wavefront6targetE1EEEvT1_: ; @_ZN7rocprim17ROCPRIM_400000_NS6detail17trampoline_kernelINS0_14default_configENS1_25partition_config_selectorILNS1_17partition_subalgoE8ElNS0_10empty_typeEbEEZZNS1_14partition_implILS5_8ELb0ES3_jPlPS6_PKS6_NS0_5tupleIJS9_S6_EEENSD_IJSA_SA_EEENS0_18inequality_wrapperIZN2at6native12_GLOBAL__N_124unique_dim_cuda_templateIlEESt5tupleIJNSH_6TensorESM_SM_EERKSM_lbbbEUlllE0_EEPmJS6_EEE10hipError_tPvRmT3_T4_T5_T6_T7_T9_mT8_P12ihipStream_tbDpT10_ENKUlT_T0_E_clISt17integral_constantIbLb1EES1B_IbLb0EEEEDaS17_S18_EUlS17_E_NS1_11comp_targetILNS1_3genE8ELNS1_11target_archE1030ELNS1_3gpuE2ELNS1_3repE0EEENS1_30default_config_static_selectorELNS0_4arch9wavefront6targetE1EEEvT1_
; %bb.0:
	.section	.rodata,"a",@progbits
	.p2align	6, 0x0
	.amdhsa_kernel _ZN7rocprim17ROCPRIM_400000_NS6detail17trampoline_kernelINS0_14default_configENS1_25partition_config_selectorILNS1_17partition_subalgoE8ElNS0_10empty_typeEbEEZZNS1_14partition_implILS5_8ELb0ES3_jPlPS6_PKS6_NS0_5tupleIJS9_S6_EEENSD_IJSA_SA_EEENS0_18inequality_wrapperIZN2at6native12_GLOBAL__N_124unique_dim_cuda_templateIlEESt5tupleIJNSH_6TensorESM_SM_EERKSM_lbbbEUlllE0_EEPmJS6_EEE10hipError_tPvRmT3_T4_T5_T6_T7_T9_mT8_P12ihipStream_tbDpT10_ENKUlT_T0_E_clISt17integral_constantIbLb1EES1B_IbLb0EEEEDaS17_S18_EUlS17_E_NS1_11comp_targetILNS1_3genE8ELNS1_11target_archE1030ELNS1_3gpuE2ELNS1_3repE0EEENS1_30default_config_static_selectorELNS0_4arch9wavefront6targetE1EEEvT1_
		.amdhsa_group_segment_fixed_size 0
		.amdhsa_private_segment_fixed_size 0
		.amdhsa_kernarg_size 120
		.amdhsa_user_sgpr_count 2
		.amdhsa_user_sgpr_dispatch_ptr 0
		.amdhsa_user_sgpr_queue_ptr 0
		.amdhsa_user_sgpr_kernarg_segment_ptr 1
		.amdhsa_user_sgpr_dispatch_id 0
		.amdhsa_user_sgpr_kernarg_preload_length 0
		.amdhsa_user_sgpr_kernarg_preload_offset 0
		.amdhsa_user_sgpr_private_segment_size 0
		.amdhsa_uses_dynamic_stack 0
		.amdhsa_enable_private_segment 0
		.amdhsa_system_sgpr_workgroup_id_x 1
		.amdhsa_system_sgpr_workgroup_id_y 0
		.amdhsa_system_sgpr_workgroup_id_z 0
		.amdhsa_system_sgpr_workgroup_info 0
		.amdhsa_system_vgpr_workitem_id 0
		.amdhsa_next_free_vgpr 1
		.amdhsa_next_free_sgpr 0
		.amdhsa_accum_offset 4
		.amdhsa_reserve_vcc 0
		.amdhsa_float_round_mode_32 0
		.amdhsa_float_round_mode_16_64 0
		.amdhsa_float_denorm_mode_32 3
		.amdhsa_float_denorm_mode_16_64 3
		.amdhsa_dx10_clamp 1
		.amdhsa_ieee_mode 1
		.amdhsa_fp16_overflow 0
		.amdhsa_tg_split 0
		.amdhsa_exception_fp_ieee_invalid_op 0
		.amdhsa_exception_fp_denorm_src 0
		.amdhsa_exception_fp_ieee_div_zero 0
		.amdhsa_exception_fp_ieee_overflow 0
		.amdhsa_exception_fp_ieee_underflow 0
		.amdhsa_exception_fp_ieee_inexact 0
		.amdhsa_exception_int_div_zero 0
	.end_amdhsa_kernel
	.section	.text._ZN7rocprim17ROCPRIM_400000_NS6detail17trampoline_kernelINS0_14default_configENS1_25partition_config_selectorILNS1_17partition_subalgoE8ElNS0_10empty_typeEbEEZZNS1_14partition_implILS5_8ELb0ES3_jPlPS6_PKS6_NS0_5tupleIJS9_S6_EEENSD_IJSA_SA_EEENS0_18inequality_wrapperIZN2at6native12_GLOBAL__N_124unique_dim_cuda_templateIlEESt5tupleIJNSH_6TensorESM_SM_EERKSM_lbbbEUlllE0_EEPmJS6_EEE10hipError_tPvRmT3_T4_T5_T6_T7_T9_mT8_P12ihipStream_tbDpT10_ENKUlT_T0_E_clISt17integral_constantIbLb1EES1B_IbLb0EEEEDaS17_S18_EUlS17_E_NS1_11comp_targetILNS1_3genE8ELNS1_11target_archE1030ELNS1_3gpuE2ELNS1_3repE0EEENS1_30default_config_static_selectorELNS0_4arch9wavefront6targetE1EEEvT1_,"axG",@progbits,_ZN7rocprim17ROCPRIM_400000_NS6detail17trampoline_kernelINS0_14default_configENS1_25partition_config_selectorILNS1_17partition_subalgoE8ElNS0_10empty_typeEbEEZZNS1_14partition_implILS5_8ELb0ES3_jPlPS6_PKS6_NS0_5tupleIJS9_S6_EEENSD_IJSA_SA_EEENS0_18inequality_wrapperIZN2at6native12_GLOBAL__N_124unique_dim_cuda_templateIlEESt5tupleIJNSH_6TensorESM_SM_EERKSM_lbbbEUlllE0_EEPmJS6_EEE10hipError_tPvRmT3_T4_T5_T6_T7_T9_mT8_P12ihipStream_tbDpT10_ENKUlT_T0_E_clISt17integral_constantIbLb1EES1B_IbLb0EEEEDaS17_S18_EUlS17_E_NS1_11comp_targetILNS1_3genE8ELNS1_11target_archE1030ELNS1_3gpuE2ELNS1_3repE0EEENS1_30default_config_static_selectorELNS0_4arch9wavefront6targetE1EEEvT1_,comdat
.Lfunc_end590:
	.size	_ZN7rocprim17ROCPRIM_400000_NS6detail17trampoline_kernelINS0_14default_configENS1_25partition_config_selectorILNS1_17partition_subalgoE8ElNS0_10empty_typeEbEEZZNS1_14partition_implILS5_8ELb0ES3_jPlPS6_PKS6_NS0_5tupleIJS9_S6_EEENSD_IJSA_SA_EEENS0_18inequality_wrapperIZN2at6native12_GLOBAL__N_124unique_dim_cuda_templateIlEESt5tupleIJNSH_6TensorESM_SM_EERKSM_lbbbEUlllE0_EEPmJS6_EEE10hipError_tPvRmT3_T4_T5_T6_T7_T9_mT8_P12ihipStream_tbDpT10_ENKUlT_T0_E_clISt17integral_constantIbLb1EES1B_IbLb0EEEEDaS17_S18_EUlS17_E_NS1_11comp_targetILNS1_3genE8ELNS1_11target_archE1030ELNS1_3gpuE2ELNS1_3repE0EEENS1_30default_config_static_selectorELNS0_4arch9wavefront6targetE1EEEvT1_, .Lfunc_end590-_ZN7rocprim17ROCPRIM_400000_NS6detail17trampoline_kernelINS0_14default_configENS1_25partition_config_selectorILNS1_17partition_subalgoE8ElNS0_10empty_typeEbEEZZNS1_14partition_implILS5_8ELb0ES3_jPlPS6_PKS6_NS0_5tupleIJS9_S6_EEENSD_IJSA_SA_EEENS0_18inequality_wrapperIZN2at6native12_GLOBAL__N_124unique_dim_cuda_templateIlEESt5tupleIJNSH_6TensorESM_SM_EERKSM_lbbbEUlllE0_EEPmJS6_EEE10hipError_tPvRmT3_T4_T5_T6_T7_T9_mT8_P12ihipStream_tbDpT10_ENKUlT_T0_E_clISt17integral_constantIbLb1EES1B_IbLb0EEEEDaS17_S18_EUlS17_E_NS1_11comp_targetILNS1_3genE8ELNS1_11target_archE1030ELNS1_3gpuE2ELNS1_3repE0EEENS1_30default_config_static_selectorELNS0_4arch9wavefront6targetE1EEEvT1_
                                        ; -- End function
	.section	.AMDGPU.csdata,"",@progbits
; Kernel info:
; codeLenInByte = 0
; NumSgprs: 6
; NumVgprs: 0
; NumAgprs: 0
; TotalNumVgprs: 0
; ScratchSize: 0
; MemoryBound: 0
; FloatMode: 240
; IeeeMode: 1
; LDSByteSize: 0 bytes/workgroup (compile time only)
; SGPRBlocks: 0
; VGPRBlocks: 0
; NumSGPRsForWavesPerEU: 6
; NumVGPRsForWavesPerEU: 1
; AccumOffset: 4
; Occupancy: 8
; WaveLimiterHint : 0
; COMPUTE_PGM_RSRC2:SCRATCH_EN: 0
; COMPUTE_PGM_RSRC2:USER_SGPR: 2
; COMPUTE_PGM_RSRC2:TRAP_HANDLER: 0
; COMPUTE_PGM_RSRC2:TGID_X_EN: 1
; COMPUTE_PGM_RSRC2:TGID_Y_EN: 0
; COMPUTE_PGM_RSRC2:TGID_Z_EN: 0
; COMPUTE_PGM_RSRC2:TIDIG_COMP_CNT: 0
; COMPUTE_PGM_RSRC3_GFX90A:ACCUM_OFFSET: 0
; COMPUTE_PGM_RSRC3_GFX90A:TG_SPLIT: 0
	.section	.text._ZN7rocprim17ROCPRIM_400000_NS6detail17trampoline_kernelINS0_14default_configENS1_25partition_config_selectorILNS1_17partition_subalgoE8ElNS0_10empty_typeEbEEZZNS1_14partition_implILS5_8ELb0ES3_jPlPS6_PKS6_NS0_5tupleIJS9_S6_EEENSD_IJSA_SA_EEENS0_18inequality_wrapperIZN2at6native12_GLOBAL__N_124unique_dim_cuda_templateIlEESt5tupleIJNSH_6TensorESM_SM_EERKSM_lbbbEUlllE0_EEPmJS6_EEE10hipError_tPvRmT3_T4_T5_T6_T7_T9_mT8_P12ihipStream_tbDpT10_ENKUlT_T0_E_clISt17integral_constantIbLb0EES1B_IbLb1EEEEDaS17_S18_EUlS17_E_NS1_11comp_targetILNS1_3genE0ELNS1_11target_archE4294967295ELNS1_3gpuE0ELNS1_3repE0EEENS1_30default_config_static_selectorELNS0_4arch9wavefront6targetE1EEEvT1_,"axG",@progbits,_ZN7rocprim17ROCPRIM_400000_NS6detail17trampoline_kernelINS0_14default_configENS1_25partition_config_selectorILNS1_17partition_subalgoE8ElNS0_10empty_typeEbEEZZNS1_14partition_implILS5_8ELb0ES3_jPlPS6_PKS6_NS0_5tupleIJS9_S6_EEENSD_IJSA_SA_EEENS0_18inequality_wrapperIZN2at6native12_GLOBAL__N_124unique_dim_cuda_templateIlEESt5tupleIJNSH_6TensorESM_SM_EERKSM_lbbbEUlllE0_EEPmJS6_EEE10hipError_tPvRmT3_T4_T5_T6_T7_T9_mT8_P12ihipStream_tbDpT10_ENKUlT_T0_E_clISt17integral_constantIbLb0EES1B_IbLb1EEEEDaS17_S18_EUlS17_E_NS1_11comp_targetILNS1_3genE0ELNS1_11target_archE4294967295ELNS1_3gpuE0ELNS1_3repE0EEENS1_30default_config_static_selectorELNS0_4arch9wavefront6targetE1EEEvT1_,comdat
	.globl	_ZN7rocprim17ROCPRIM_400000_NS6detail17trampoline_kernelINS0_14default_configENS1_25partition_config_selectorILNS1_17partition_subalgoE8ElNS0_10empty_typeEbEEZZNS1_14partition_implILS5_8ELb0ES3_jPlPS6_PKS6_NS0_5tupleIJS9_S6_EEENSD_IJSA_SA_EEENS0_18inequality_wrapperIZN2at6native12_GLOBAL__N_124unique_dim_cuda_templateIlEESt5tupleIJNSH_6TensorESM_SM_EERKSM_lbbbEUlllE0_EEPmJS6_EEE10hipError_tPvRmT3_T4_T5_T6_T7_T9_mT8_P12ihipStream_tbDpT10_ENKUlT_T0_E_clISt17integral_constantIbLb0EES1B_IbLb1EEEEDaS17_S18_EUlS17_E_NS1_11comp_targetILNS1_3genE0ELNS1_11target_archE4294967295ELNS1_3gpuE0ELNS1_3repE0EEENS1_30default_config_static_selectorELNS0_4arch9wavefront6targetE1EEEvT1_ ; -- Begin function _ZN7rocprim17ROCPRIM_400000_NS6detail17trampoline_kernelINS0_14default_configENS1_25partition_config_selectorILNS1_17partition_subalgoE8ElNS0_10empty_typeEbEEZZNS1_14partition_implILS5_8ELb0ES3_jPlPS6_PKS6_NS0_5tupleIJS9_S6_EEENSD_IJSA_SA_EEENS0_18inequality_wrapperIZN2at6native12_GLOBAL__N_124unique_dim_cuda_templateIlEESt5tupleIJNSH_6TensorESM_SM_EERKSM_lbbbEUlllE0_EEPmJS6_EEE10hipError_tPvRmT3_T4_T5_T6_T7_T9_mT8_P12ihipStream_tbDpT10_ENKUlT_T0_E_clISt17integral_constantIbLb0EES1B_IbLb1EEEEDaS17_S18_EUlS17_E_NS1_11comp_targetILNS1_3genE0ELNS1_11target_archE4294967295ELNS1_3gpuE0ELNS1_3repE0EEENS1_30default_config_static_selectorELNS0_4arch9wavefront6targetE1EEEvT1_
	.p2align	8
	.type	_ZN7rocprim17ROCPRIM_400000_NS6detail17trampoline_kernelINS0_14default_configENS1_25partition_config_selectorILNS1_17partition_subalgoE8ElNS0_10empty_typeEbEEZZNS1_14partition_implILS5_8ELb0ES3_jPlPS6_PKS6_NS0_5tupleIJS9_S6_EEENSD_IJSA_SA_EEENS0_18inequality_wrapperIZN2at6native12_GLOBAL__N_124unique_dim_cuda_templateIlEESt5tupleIJNSH_6TensorESM_SM_EERKSM_lbbbEUlllE0_EEPmJS6_EEE10hipError_tPvRmT3_T4_T5_T6_T7_T9_mT8_P12ihipStream_tbDpT10_ENKUlT_T0_E_clISt17integral_constantIbLb0EES1B_IbLb1EEEEDaS17_S18_EUlS17_E_NS1_11comp_targetILNS1_3genE0ELNS1_11target_archE4294967295ELNS1_3gpuE0ELNS1_3repE0EEENS1_30default_config_static_selectorELNS0_4arch9wavefront6targetE1EEEvT1_,@function
_ZN7rocprim17ROCPRIM_400000_NS6detail17trampoline_kernelINS0_14default_configENS1_25partition_config_selectorILNS1_17partition_subalgoE8ElNS0_10empty_typeEbEEZZNS1_14partition_implILS5_8ELb0ES3_jPlPS6_PKS6_NS0_5tupleIJS9_S6_EEENSD_IJSA_SA_EEENS0_18inequality_wrapperIZN2at6native12_GLOBAL__N_124unique_dim_cuda_templateIlEESt5tupleIJNSH_6TensorESM_SM_EERKSM_lbbbEUlllE0_EEPmJS6_EEE10hipError_tPvRmT3_T4_T5_T6_T7_T9_mT8_P12ihipStream_tbDpT10_ENKUlT_T0_E_clISt17integral_constantIbLb0EES1B_IbLb1EEEEDaS17_S18_EUlS17_E_NS1_11comp_targetILNS1_3genE0ELNS1_11target_archE4294967295ELNS1_3gpuE0ELNS1_3repE0EEENS1_30default_config_static_selectorELNS0_4arch9wavefront6targetE1EEEvT1_: ; @_ZN7rocprim17ROCPRIM_400000_NS6detail17trampoline_kernelINS0_14default_configENS1_25partition_config_selectorILNS1_17partition_subalgoE8ElNS0_10empty_typeEbEEZZNS1_14partition_implILS5_8ELb0ES3_jPlPS6_PKS6_NS0_5tupleIJS9_S6_EEENSD_IJSA_SA_EEENS0_18inequality_wrapperIZN2at6native12_GLOBAL__N_124unique_dim_cuda_templateIlEESt5tupleIJNSH_6TensorESM_SM_EERKSM_lbbbEUlllE0_EEPmJS6_EEE10hipError_tPvRmT3_T4_T5_T6_T7_T9_mT8_P12ihipStream_tbDpT10_ENKUlT_T0_E_clISt17integral_constantIbLb0EES1B_IbLb1EEEEDaS17_S18_EUlS17_E_NS1_11comp_targetILNS1_3genE0ELNS1_11target_archE4294967295ELNS1_3gpuE0ELNS1_3repE0EEENS1_30default_config_static_selectorELNS0_4arch9wavefront6targetE1EEEvT1_
; %bb.0:
	.section	.rodata,"a",@progbits
	.p2align	6, 0x0
	.amdhsa_kernel _ZN7rocprim17ROCPRIM_400000_NS6detail17trampoline_kernelINS0_14default_configENS1_25partition_config_selectorILNS1_17partition_subalgoE8ElNS0_10empty_typeEbEEZZNS1_14partition_implILS5_8ELb0ES3_jPlPS6_PKS6_NS0_5tupleIJS9_S6_EEENSD_IJSA_SA_EEENS0_18inequality_wrapperIZN2at6native12_GLOBAL__N_124unique_dim_cuda_templateIlEESt5tupleIJNSH_6TensorESM_SM_EERKSM_lbbbEUlllE0_EEPmJS6_EEE10hipError_tPvRmT3_T4_T5_T6_T7_T9_mT8_P12ihipStream_tbDpT10_ENKUlT_T0_E_clISt17integral_constantIbLb0EES1B_IbLb1EEEEDaS17_S18_EUlS17_E_NS1_11comp_targetILNS1_3genE0ELNS1_11target_archE4294967295ELNS1_3gpuE0ELNS1_3repE0EEENS1_30default_config_static_selectorELNS0_4arch9wavefront6targetE1EEEvT1_
		.amdhsa_group_segment_fixed_size 0
		.amdhsa_private_segment_fixed_size 0
		.amdhsa_kernarg_size 136
		.amdhsa_user_sgpr_count 2
		.amdhsa_user_sgpr_dispatch_ptr 0
		.amdhsa_user_sgpr_queue_ptr 0
		.amdhsa_user_sgpr_kernarg_segment_ptr 1
		.amdhsa_user_sgpr_dispatch_id 0
		.amdhsa_user_sgpr_kernarg_preload_length 0
		.amdhsa_user_sgpr_kernarg_preload_offset 0
		.amdhsa_user_sgpr_private_segment_size 0
		.amdhsa_uses_dynamic_stack 0
		.amdhsa_enable_private_segment 0
		.amdhsa_system_sgpr_workgroup_id_x 1
		.amdhsa_system_sgpr_workgroup_id_y 0
		.amdhsa_system_sgpr_workgroup_id_z 0
		.amdhsa_system_sgpr_workgroup_info 0
		.amdhsa_system_vgpr_workitem_id 0
		.amdhsa_next_free_vgpr 1
		.amdhsa_next_free_sgpr 0
		.amdhsa_accum_offset 4
		.amdhsa_reserve_vcc 0
		.amdhsa_float_round_mode_32 0
		.amdhsa_float_round_mode_16_64 0
		.amdhsa_float_denorm_mode_32 3
		.amdhsa_float_denorm_mode_16_64 3
		.amdhsa_dx10_clamp 1
		.amdhsa_ieee_mode 1
		.amdhsa_fp16_overflow 0
		.amdhsa_tg_split 0
		.amdhsa_exception_fp_ieee_invalid_op 0
		.amdhsa_exception_fp_denorm_src 0
		.amdhsa_exception_fp_ieee_div_zero 0
		.amdhsa_exception_fp_ieee_overflow 0
		.amdhsa_exception_fp_ieee_underflow 0
		.amdhsa_exception_fp_ieee_inexact 0
		.amdhsa_exception_int_div_zero 0
	.end_amdhsa_kernel
	.section	.text._ZN7rocprim17ROCPRIM_400000_NS6detail17trampoline_kernelINS0_14default_configENS1_25partition_config_selectorILNS1_17partition_subalgoE8ElNS0_10empty_typeEbEEZZNS1_14partition_implILS5_8ELb0ES3_jPlPS6_PKS6_NS0_5tupleIJS9_S6_EEENSD_IJSA_SA_EEENS0_18inequality_wrapperIZN2at6native12_GLOBAL__N_124unique_dim_cuda_templateIlEESt5tupleIJNSH_6TensorESM_SM_EERKSM_lbbbEUlllE0_EEPmJS6_EEE10hipError_tPvRmT3_T4_T5_T6_T7_T9_mT8_P12ihipStream_tbDpT10_ENKUlT_T0_E_clISt17integral_constantIbLb0EES1B_IbLb1EEEEDaS17_S18_EUlS17_E_NS1_11comp_targetILNS1_3genE0ELNS1_11target_archE4294967295ELNS1_3gpuE0ELNS1_3repE0EEENS1_30default_config_static_selectorELNS0_4arch9wavefront6targetE1EEEvT1_,"axG",@progbits,_ZN7rocprim17ROCPRIM_400000_NS6detail17trampoline_kernelINS0_14default_configENS1_25partition_config_selectorILNS1_17partition_subalgoE8ElNS0_10empty_typeEbEEZZNS1_14partition_implILS5_8ELb0ES3_jPlPS6_PKS6_NS0_5tupleIJS9_S6_EEENSD_IJSA_SA_EEENS0_18inequality_wrapperIZN2at6native12_GLOBAL__N_124unique_dim_cuda_templateIlEESt5tupleIJNSH_6TensorESM_SM_EERKSM_lbbbEUlllE0_EEPmJS6_EEE10hipError_tPvRmT3_T4_T5_T6_T7_T9_mT8_P12ihipStream_tbDpT10_ENKUlT_T0_E_clISt17integral_constantIbLb0EES1B_IbLb1EEEEDaS17_S18_EUlS17_E_NS1_11comp_targetILNS1_3genE0ELNS1_11target_archE4294967295ELNS1_3gpuE0ELNS1_3repE0EEENS1_30default_config_static_selectorELNS0_4arch9wavefront6targetE1EEEvT1_,comdat
.Lfunc_end591:
	.size	_ZN7rocprim17ROCPRIM_400000_NS6detail17trampoline_kernelINS0_14default_configENS1_25partition_config_selectorILNS1_17partition_subalgoE8ElNS0_10empty_typeEbEEZZNS1_14partition_implILS5_8ELb0ES3_jPlPS6_PKS6_NS0_5tupleIJS9_S6_EEENSD_IJSA_SA_EEENS0_18inequality_wrapperIZN2at6native12_GLOBAL__N_124unique_dim_cuda_templateIlEESt5tupleIJNSH_6TensorESM_SM_EERKSM_lbbbEUlllE0_EEPmJS6_EEE10hipError_tPvRmT3_T4_T5_T6_T7_T9_mT8_P12ihipStream_tbDpT10_ENKUlT_T0_E_clISt17integral_constantIbLb0EES1B_IbLb1EEEEDaS17_S18_EUlS17_E_NS1_11comp_targetILNS1_3genE0ELNS1_11target_archE4294967295ELNS1_3gpuE0ELNS1_3repE0EEENS1_30default_config_static_selectorELNS0_4arch9wavefront6targetE1EEEvT1_, .Lfunc_end591-_ZN7rocprim17ROCPRIM_400000_NS6detail17trampoline_kernelINS0_14default_configENS1_25partition_config_selectorILNS1_17partition_subalgoE8ElNS0_10empty_typeEbEEZZNS1_14partition_implILS5_8ELb0ES3_jPlPS6_PKS6_NS0_5tupleIJS9_S6_EEENSD_IJSA_SA_EEENS0_18inequality_wrapperIZN2at6native12_GLOBAL__N_124unique_dim_cuda_templateIlEESt5tupleIJNSH_6TensorESM_SM_EERKSM_lbbbEUlllE0_EEPmJS6_EEE10hipError_tPvRmT3_T4_T5_T6_T7_T9_mT8_P12ihipStream_tbDpT10_ENKUlT_T0_E_clISt17integral_constantIbLb0EES1B_IbLb1EEEEDaS17_S18_EUlS17_E_NS1_11comp_targetILNS1_3genE0ELNS1_11target_archE4294967295ELNS1_3gpuE0ELNS1_3repE0EEENS1_30default_config_static_selectorELNS0_4arch9wavefront6targetE1EEEvT1_
                                        ; -- End function
	.section	.AMDGPU.csdata,"",@progbits
; Kernel info:
; codeLenInByte = 0
; NumSgprs: 6
; NumVgprs: 0
; NumAgprs: 0
; TotalNumVgprs: 0
; ScratchSize: 0
; MemoryBound: 0
; FloatMode: 240
; IeeeMode: 1
; LDSByteSize: 0 bytes/workgroup (compile time only)
; SGPRBlocks: 0
; VGPRBlocks: 0
; NumSGPRsForWavesPerEU: 6
; NumVGPRsForWavesPerEU: 1
; AccumOffset: 4
; Occupancy: 8
; WaveLimiterHint : 0
; COMPUTE_PGM_RSRC2:SCRATCH_EN: 0
; COMPUTE_PGM_RSRC2:USER_SGPR: 2
; COMPUTE_PGM_RSRC2:TRAP_HANDLER: 0
; COMPUTE_PGM_RSRC2:TGID_X_EN: 1
; COMPUTE_PGM_RSRC2:TGID_Y_EN: 0
; COMPUTE_PGM_RSRC2:TGID_Z_EN: 0
; COMPUTE_PGM_RSRC2:TIDIG_COMP_CNT: 0
; COMPUTE_PGM_RSRC3_GFX90A:ACCUM_OFFSET: 0
; COMPUTE_PGM_RSRC3_GFX90A:TG_SPLIT: 0
	.section	.text._ZN7rocprim17ROCPRIM_400000_NS6detail17trampoline_kernelINS0_14default_configENS1_25partition_config_selectorILNS1_17partition_subalgoE8ElNS0_10empty_typeEbEEZZNS1_14partition_implILS5_8ELb0ES3_jPlPS6_PKS6_NS0_5tupleIJS9_S6_EEENSD_IJSA_SA_EEENS0_18inequality_wrapperIZN2at6native12_GLOBAL__N_124unique_dim_cuda_templateIlEESt5tupleIJNSH_6TensorESM_SM_EERKSM_lbbbEUlllE0_EEPmJS6_EEE10hipError_tPvRmT3_T4_T5_T6_T7_T9_mT8_P12ihipStream_tbDpT10_ENKUlT_T0_E_clISt17integral_constantIbLb0EES1B_IbLb1EEEEDaS17_S18_EUlS17_E_NS1_11comp_targetILNS1_3genE5ELNS1_11target_archE942ELNS1_3gpuE9ELNS1_3repE0EEENS1_30default_config_static_selectorELNS0_4arch9wavefront6targetE1EEEvT1_,"axG",@progbits,_ZN7rocprim17ROCPRIM_400000_NS6detail17trampoline_kernelINS0_14default_configENS1_25partition_config_selectorILNS1_17partition_subalgoE8ElNS0_10empty_typeEbEEZZNS1_14partition_implILS5_8ELb0ES3_jPlPS6_PKS6_NS0_5tupleIJS9_S6_EEENSD_IJSA_SA_EEENS0_18inequality_wrapperIZN2at6native12_GLOBAL__N_124unique_dim_cuda_templateIlEESt5tupleIJNSH_6TensorESM_SM_EERKSM_lbbbEUlllE0_EEPmJS6_EEE10hipError_tPvRmT3_T4_T5_T6_T7_T9_mT8_P12ihipStream_tbDpT10_ENKUlT_T0_E_clISt17integral_constantIbLb0EES1B_IbLb1EEEEDaS17_S18_EUlS17_E_NS1_11comp_targetILNS1_3genE5ELNS1_11target_archE942ELNS1_3gpuE9ELNS1_3repE0EEENS1_30default_config_static_selectorELNS0_4arch9wavefront6targetE1EEEvT1_,comdat
	.globl	_ZN7rocprim17ROCPRIM_400000_NS6detail17trampoline_kernelINS0_14default_configENS1_25partition_config_selectorILNS1_17partition_subalgoE8ElNS0_10empty_typeEbEEZZNS1_14partition_implILS5_8ELb0ES3_jPlPS6_PKS6_NS0_5tupleIJS9_S6_EEENSD_IJSA_SA_EEENS0_18inequality_wrapperIZN2at6native12_GLOBAL__N_124unique_dim_cuda_templateIlEESt5tupleIJNSH_6TensorESM_SM_EERKSM_lbbbEUlllE0_EEPmJS6_EEE10hipError_tPvRmT3_T4_T5_T6_T7_T9_mT8_P12ihipStream_tbDpT10_ENKUlT_T0_E_clISt17integral_constantIbLb0EES1B_IbLb1EEEEDaS17_S18_EUlS17_E_NS1_11comp_targetILNS1_3genE5ELNS1_11target_archE942ELNS1_3gpuE9ELNS1_3repE0EEENS1_30default_config_static_selectorELNS0_4arch9wavefront6targetE1EEEvT1_ ; -- Begin function _ZN7rocprim17ROCPRIM_400000_NS6detail17trampoline_kernelINS0_14default_configENS1_25partition_config_selectorILNS1_17partition_subalgoE8ElNS0_10empty_typeEbEEZZNS1_14partition_implILS5_8ELb0ES3_jPlPS6_PKS6_NS0_5tupleIJS9_S6_EEENSD_IJSA_SA_EEENS0_18inequality_wrapperIZN2at6native12_GLOBAL__N_124unique_dim_cuda_templateIlEESt5tupleIJNSH_6TensorESM_SM_EERKSM_lbbbEUlllE0_EEPmJS6_EEE10hipError_tPvRmT3_T4_T5_T6_T7_T9_mT8_P12ihipStream_tbDpT10_ENKUlT_T0_E_clISt17integral_constantIbLb0EES1B_IbLb1EEEEDaS17_S18_EUlS17_E_NS1_11comp_targetILNS1_3genE5ELNS1_11target_archE942ELNS1_3gpuE9ELNS1_3repE0EEENS1_30default_config_static_selectorELNS0_4arch9wavefront6targetE1EEEvT1_
	.p2align	8
	.type	_ZN7rocprim17ROCPRIM_400000_NS6detail17trampoline_kernelINS0_14default_configENS1_25partition_config_selectorILNS1_17partition_subalgoE8ElNS0_10empty_typeEbEEZZNS1_14partition_implILS5_8ELb0ES3_jPlPS6_PKS6_NS0_5tupleIJS9_S6_EEENSD_IJSA_SA_EEENS0_18inequality_wrapperIZN2at6native12_GLOBAL__N_124unique_dim_cuda_templateIlEESt5tupleIJNSH_6TensorESM_SM_EERKSM_lbbbEUlllE0_EEPmJS6_EEE10hipError_tPvRmT3_T4_T5_T6_T7_T9_mT8_P12ihipStream_tbDpT10_ENKUlT_T0_E_clISt17integral_constantIbLb0EES1B_IbLb1EEEEDaS17_S18_EUlS17_E_NS1_11comp_targetILNS1_3genE5ELNS1_11target_archE942ELNS1_3gpuE9ELNS1_3repE0EEENS1_30default_config_static_selectorELNS0_4arch9wavefront6targetE1EEEvT1_,@function
_ZN7rocprim17ROCPRIM_400000_NS6detail17trampoline_kernelINS0_14default_configENS1_25partition_config_selectorILNS1_17partition_subalgoE8ElNS0_10empty_typeEbEEZZNS1_14partition_implILS5_8ELb0ES3_jPlPS6_PKS6_NS0_5tupleIJS9_S6_EEENSD_IJSA_SA_EEENS0_18inequality_wrapperIZN2at6native12_GLOBAL__N_124unique_dim_cuda_templateIlEESt5tupleIJNSH_6TensorESM_SM_EERKSM_lbbbEUlllE0_EEPmJS6_EEE10hipError_tPvRmT3_T4_T5_T6_T7_T9_mT8_P12ihipStream_tbDpT10_ENKUlT_T0_E_clISt17integral_constantIbLb0EES1B_IbLb1EEEEDaS17_S18_EUlS17_E_NS1_11comp_targetILNS1_3genE5ELNS1_11target_archE942ELNS1_3gpuE9ELNS1_3repE0EEENS1_30default_config_static_selectorELNS0_4arch9wavefront6targetE1EEEvT1_: ; @_ZN7rocprim17ROCPRIM_400000_NS6detail17trampoline_kernelINS0_14default_configENS1_25partition_config_selectorILNS1_17partition_subalgoE8ElNS0_10empty_typeEbEEZZNS1_14partition_implILS5_8ELb0ES3_jPlPS6_PKS6_NS0_5tupleIJS9_S6_EEENSD_IJSA_SA_EEENS0_18inequality_wrapperIZN2at6native12_GLOBAL__N_124unique_dim_cuda_templateIlEESt5tupleIJNSH_6TensorESM_SM_EERKSM_lbbbEUlllE0_EEPmJS6_EEE10hipError_tPvRmT3_T4_T5_T6_T7_T9_mT8_P12ihipStream_tbDpT10_ENKUlT_T0_E_clISt17integral_constantIbLb0EES1B_IbLb1EEEEDaS17_S18_EUlS17_E_NS1_11comp_targetILNS1_3genE5ELNS1_11target_archE942ELNS1_3gpuE9ELNS1_3repE0EEENS1_30default_config_static_selectorELNS0_4arch9wavefront6targetE1EEEvT1_
; %bb.0:
	s_load_dwordx2 s[34:35], s[0:1], 0x28
	s_load_dwordx8 s[20:27], s[0:1], 0x40
	s_load_dwordx4 s[28:31], s[0:1], 0x60
	v_cmp_ne_u32_e64 s[2:3], 0, v0
	v_cmp_eq_u32_e64 s[18:19], 0, v0
	s_and_saveexec_b64 s[4:5], s[18:19]
	s_cbranch_execz .LBB592_4
; %bb.1:
	s_mov_b64 s[8:9], exec
	v_mbcnt_lo_u32_b32 v1, s8, 0
	v_mbcnt_hi_u32_b32 v1, s9, v1
	v_cmp_eq_u32_e32 vcc, 0, v1
                                        ; implicit-def: $vgpr2
	s_and_saveexec_b64 s[6:7], vcc
	s_cbranch_execz .LBB592_3
; %bb.2:
	s_load_dwordx2 s[10:11], s[0:1], 0x78
	s_bcnt1_i32_b64 s8, s[8:9]
	v_mov_b32_e32 v2, 0
	v_mov_b32_e32 v3, s8
	s_waitcnt lgkmcnt(0)
	global_atomic_add v2, v2, v3, s[10:11] sc0
.LBB592_3:
	s_or_b64 exec, exec, s[6:7]
	s_waitcnt vmcnt(0)
	v_readfirstlane_b32 s6, v2
	v_mov_b32_e32 v2, 0
	s_nop 0
	v_add_u32_e32 v1, s6, v1
	ds_write_b32 v2, v1
.LBB592_4:
	s_or_b64 exec, exec, s[4:5]
	v_mov_b32_e32 v3, 0
	s_load_dwordx4 s[4:7], s[0:1], 0x8
	s_load_dword s10, s[0:1], 0x70
	s_waitcnt lgkmcnt(0)
	s_barrier
	ds_read_b32 v1, v3
	s_waitcnt lgkmcnt(0)
	s_barrier
	global_load_dwordx2 v[4:5], v3, s[22:23]
	s_lshl_b64 s[0:1], s[6:7], 3
	s_mul_i32 s12, s10, 0xe00
	s_add_u32 s0, s4, s0
	s_addc_u32 s1, s5, s1
	s_add_i32 s4, s12, s6
	s_add_i32 s10, s10, -1
	s_sub_i32 s52, s24, s4
	s_add_u32 s4, s6, s12
	s_movk_i32 s11, 0xe00
	s_addc_u32 s5, s7, 0
	v_readfirstlane_b32 s33, v1
	v_mov_b32_e32 v6, s24
	v_mov_b32_e32 v7, s25
	v_mul_lo_u32 v2, v1, s11
	s_cmp_eq_u32 s33, s10
	v_cmp_ge_u64_e32 vcc, s[4:5], v[6:7]
	v_lshlrev_b64 v[6:7], 3, v[2:3]
	s_cselect_b64 s[24:25], -1, 0
	v_lshl_add_u64 v[18:19], s[0:1], 0, v[6:7]
	s_and_b64 s[0:1], vcc, s[24:25]
	s_xor_b64 s[36:37], s[0:1], -1
	s_mov_b64 s[8:9], -1
	s_and_b64 vcc, exec, s[36:37]
	s_waitcnt vmcnt(0)
	v_readfirstlane_b32 s22, v4
	v_readfirstlane_b32 s23, v5
	s_cbranch_vccz .LBB592_6
; %bb.5:
	v_lshlrev_b32_e32 v2, 3, v0
	v_lshl_add_u64 v[4:5], v[18:19], 0, v[2:3]
	v_add_co_u32_e32 v8, vcc, 0x1000, v4
	v_readfirstlane_b32 s4, v18
	s_nop 0
	v_addc_co_u32_e32 v9, vcc, 0, v5, vcc
	v_add_co_u32_e32 v10, vcc, 0x2000, v4
	v_readfirstlane_b32 s5, v19
	s_nop 0
	v_addc_co_u32_e32 v11, vcc, 0, v5, vcc
	v_add_co_u32_e32 v12, vcc, 0x3000, v4
	s_mov_b64 s[8:9], 0
	s_nop 0
	v_addc_co_u32_e32 v13, vcc, 0, v5, vcc
	v_add_co_u32_e32 v14, vcc, 0x4000, v4
	global_load_dwordx2 v[6:7], v2, s[4:5]
	s_nop 0
	v_addc_co_u32_e32 v15, vcc, 0, v5, vcc
	global_load_dwordx2 v[16:17], v[8:9], off
	global_load_dwordx2 v[20:21], v[10:11], off
	;; [unrolled: 1-line block ×4, first 2 shown]
	v_add_co_u32_e32 v8, vcc, 0x5000, v4
	s_nop 1
	v_addc_co_u32_e32 v9, vcc, 0, v5, vcc
	v_add_co_u32_e32 v4, vcc, 0x6000, v4
	global_load_dwordx2 v[8:9], v[8:9], off
	s_nop 0
	v_addc_co_u32_e32 v5, vcc, 0, v5, vcc
	global_load_dwordx2 v[4:5], v[4:5], off
	s_waitcnt vmcnt(5)
	ds_write2st64_b64 v2, v[6:7], v[16:17] offset1:8
	s_waitcnt vmcnt(3)
	ds_write2st64_b64 v2, v[20:21], v[22:23] offset0:16 offset1:24
	s_waitcnt vmcnt(1)
	ds_write2st64_b64 v2, v[24:25], v[8:9] offset0:32 offset1:40
	s_waitcnt vmcnt(0)
	ds_write_b64 v2, v[4:5] offset:24576
	s_waitcnt lgkmcnt(0)
	s_barrier
.LBB592_6:
	s_andn2_b64 vcc, exec, s[8:9]
	s_addk_i32 s52, 0xe00
	s_cbranch_vccnz .LBB592_22
; %bb.7:
	v_cmp_gt_u32_e32 vcc, s52, v0
                                        ; implicit-def: $vgpr2_vgpr3_vgpr4_vgpr5_vgpr6_vgpr7_vgpr8_vgpr9_vgpr10_vgpr11_vgpr12_vgpr13_vgpr14_vgpr15_vgpr16_vgpr17
	s_and_saveexec_b64 s[4:5], vcc
	s_cbranch_execz .LBB592_9
; %bb.8:
	v_lshlrev_b32_e32 v1, 3, v0
	v_readfirstlane_b32 s8, v18
	v_readfirstlane_b32 s9, v19
	s_nop 4
	global_load_dwordx2 v[2:3], v1, s[8:9]
.LBB592_9:
	s_or_b64 exec, exec, s[4:5]
	v_or_b32_e32 v1, 0x200, v0
	v_cmp_gt_u32_e32 vcc, s52, v1
	s_and_saveexec_b64 s[4:5], vcc
	s_cbranch_execz .LBB592_11
; %bb.10:
	v_lshlrev_b32_e32 v1, 3, v1
	v_readfirstlane_b32 s8, v18
	v_readfirstlane_b32 s9, v19
	s_nop 4
	global_load_dwordx2 v[4:5], v1, s[8:9]
.LBB592_11:
	s_or_b64 exec, exec, s[4:5]
	v_or_b32_e32 v1, 0x400, v0
	v_cmp_gt_u32_e32 vcc, s52, v1
	;; [unrolled: 12-line block ×6, first 2 shown]
	s_and_saveexec_b64 s[4:5], vcc
	s_cbranch_execz .LBB592_21
; %bb.20:
	v_lshlrev_b32_e32 v1, 3, v1
	v_readfirstlane_b32 s8, v18
	v_readfirstlane_b32 s9, v19
	s_nop 4
	global_load_dwordx2 v[14:15], v1, s[8:9]
.LBB592_21:
	s_or_b64 exec, exec, s[4:5]
	v_lshlrev_b32_e32 v1, 3, v0
	s_waitcnt vmcnt(0)
	ds_write2st64_b64 v1, v[2:3], v[4:5] offset1:8
	ds_write2st64_b64 v1, v[6:7], v[8:9] offset0:16 offset1:24
	ds_write2st64_b64 v1, v[10:11], v[12:13] offset0:32 offset1:40
	ds_write_b64 v1, v[14:15] offset:24576
	s_waitcnt lgkmcnt(0)
	s_barrier
.LBB592_22:
	v_mul_u32_u24_e32 v1, 7, v0
	v_lshlrev_b32_e32 v32, 3, v1
	ds_read2_b64 v[10:13], v32 offset1:1
	ds_read2_b64 v[6:9], v32 offset0:2 offset1:3
	ds_read2_b64 v[2:5], v32 offset0:4 offset1:5
	ds_read_b64 v[14:15], v32 offset:48
	s_cmp_lg_u32 s33, 0
	s_cselect_b64 s[16:17], -1, 0
	s_cmp_lg_u64 s[6:7], 0
	s_cselect_b64 s[4:5], -1, 0
	s_or_b64 s[4:5], s[4:5], s[16:17]
	v_mad_u32_u24 v27, v0, 7, 1
	v_mad_u32_u24 v26, v0, 7, 2
	;; [unrolled: 1-line block ×6, first 2 shown]
	s_mov_b64 s[8:9], 0
	s_and_b64 vcc, exec, s[4:5]
	v_cmp_gt_i64_e64 s[4:5], s[26:27], 0
	s_waitcnt lgkmcnt(0)
	s_barrier
	s_cbranch_vccz .LBB592_31
; %bb.23:
	global_load_dwordx2 v[16:17], v[18:19], off offset:-8
	v_cndmask_b32_e64 v18, 0, 1, s[4:5]
	v_lshlrev_b32_e32 v33, 3, v0
	s_mov_b64 s[6:7], 0
	s_and_b64 vcc, exec, s[36:37]
	v_cmp_ne_u32_e64 s[4:5], 1, v18
	ds_write_b64 v33, v[14:15]
	s_cbranch_vccz .LBB592_33
; %bb.24:
	v_mul_lo_u32 v20, v5, s26
	v_mul_lo_u32 v21, v4, s27
	v_mad_u64_u32 v[18:19], s[8:9], v4, s26, 0
	v_add3_u32 v19, v19, v21, v20
	s_and_b64 vcc, exec, s[4:5]
	v_lshl_add_u64 v[18:19], v[18:19], 3, s[28:29]
	s_cbranch_vccnz .LBB592_36
; %bb.25:
	v_mul_lo_u32 v22, v15, s26
	v_mul_lo_u32 v23, v14, s27
	v_mad_u64_u32 v[20:21], s[6:7], v14, s26, 0
	v_add3_u32 v21, v21, v23, v22
	v_lshl_add_u64 v[20:21], v[20:21], 3, s[28:29]
	global_load_dwordx2 v[22:23], v[18:19], off
	global_load_dwordx2 v[24:25], v[20:21], off
	s_mov_b64 s[6:7], -1
	s_waitcnt vmcnt(0)
	v_cmp_eq_u64_e32 vcc, v[22:23], v[24:25]
	s_and_saveexec_b64 s[8:9], vcc
	s_cbranch_execz .LBB592_35
; %bb.26:
	s_add_u32 s6, s26, -1
	v_lshl_add_u64 v[20:21], v[20:21], 0, 8
	v_lshl_add_u64 v[22:23], v[18:19], 0, 8
	s_addc_u32 s7, s27, -1
	s_mov_b64 s[10:11], 0
	s_mov_b64 s[14:15], 0
                                        ; implicit-def: $sgpr12_sgpr13
	s_branch .LBB592_29
.LBB592_27:                             ;   in Loop: Header=BB592_29 Depth=1
	global_load_dwordx2 v[24:25], v[22:23], off
	global_load_dwordx2 v[34:35], v[20:21], off
	s_add_u32 s14, s14, 1
	s_addc_u32 s15, s15, 0
	s_andn2_b64 s[12:13], s[12:13], exec
	v_lshl_add_u64 v[20:21], v[20:21], 0, 8
	v_lshl_add_u64 v[22:23], v[22:23], 0, 8
	s_waitcnt vmcnt(0)
	v_cmp_ne_u64_e32 vcc, v[24:25], v[34:35]
	s_and_b64 s[38:39], vcc, exec
	s_or_b64 s[12:13], s[12:13], s[38:39]
.LBB592_28:                             ;   in Loop: Header=BB592_29 Depth=1
	s_and_b64 s[38:39], exec, s[12:13]
	s_or_b64 s[10:11], s[38:39], s[10:11]
	v_mov_b64_e32 v[24:25], s[14:15]
	s_andn2_b64 exec, exec, s[10:11]
	s_cbranch_execz .LBB592_34
.LBB592_29:                             ; =>This Inner Loop Header: Depth=1
	s_or_b64 s[12:13], s[12:13], exec
	s_cmp_eq_u64 s[6:7], s[14:15]
	s_cbranch_scc0 .LBB592_27
; %bb.30:                               ;   in Loop: Header=BB592_29 Depth=1
                                        ; implicit-def: $vgpr20_vgpr21
                                        ; implicit-def: $vgpr22_vgpr23
	s_mov_b64 s[14:15], s[26:27]
	s_branch .LBB592_28
.LBB592_31:
                                        ; implicit-def: $sgpr12_sgpr13
                                        ; implicit-def: $vgpr35
                                        ; implicit-def: $vgpr34
                                        ; implicit-def: $vgpr25
                                        ; implicit-def: $vgpr20
	s_branch .LBB592_174
.LBB592_32:
                                        ; implicit-def: $vgpr16_vgpr17
	s_branch .LBB592_322
.LBB592_33:
                                        ; implicit-def: $sgpr12_sgpr13
                                        ; implicit-def: $vgpr35
                                        ; implicit-def: $vgpr34
                                        ; implicit-def: $vgpr25
                                        ; implicit-def: $vgpr20
	s_cbranch_execnz .LBB592_93
	s_branch .LBB592_173
.LBB592_34:
	s_or_b64 exec, exec, s[10:11]
	v_cmp_gt_i64_e32 vcc, s[26:27], v[24:25]
	s_orn2_b64 s[6:7], vcc, exec
.LBB592_35:
	s_or_b64 exec, exec, s[8:9]
.LBB592_36:
	v_mul_lo_u32 v22, v3, s26
	v_mul_lo_u32 v23, v2, s27
	v_mad_u64_u32 v[20:21], s[8:9], v2, s26, 0
	v_add3_u32 v21, v21, v23, v22
	s_mov_b64 s[8:9], 0
	s_and_b64 vcc, exec, s[4:5]
	v_lshl_add_u64 v[20:21], v[20:21], 3, s[28:29]
	s_mov_b64 s[10:11], 0
	s_cbranch_vccnz .LBB592_45
; %bb.37:
	global_load_dwordx2 v[22:23], v[20:21], off
	global_load_dwordx2 v[24:25], v[18:19], off
	s_mov_b64 s[10:11], -1
	s_waitcnt vmcnt(0)
	v_cmp_eq_u64_e32 vcc, v[22:23], v[24:25]
	s_and_saveexec_b64 s[12:13], vcc
	s_cbranch_execz .LBB592_44
; %bb.38:
	s_add_u32 s10, s26, -1
	v_lshl_add_u64 v[18:19], v[18:19], 0, 8
	v_lshl_add_u64 v[22:23], v[20:21], 0, 8
	s_addc_u32 s11, s27, -1
	s_mov_b64 s[14:15], 0
	s_mov_b64 s[40:41], 0
                                        ; implicit-def: $sgpr38_sgpr39
	s_branch .LBB592_41
.LBB592_39:                             ;   in Loop: Header=BB592_41 Depth=1
	global_load_dwordx2 v[24:25], v[22:23], off
	global_load_dwordx2 v[34:35], v[18:19], off
	s_add_u32 s40, s40, 1
	s_addc_u32 s41, s41, 0
	s_andn2_b64 s[38:39], s[38:39], exec
	v_lshl_add_u64 v[18:19], v[18:19], 0, 8
	v_lshl_add_u64 v[22:23], v[22:23], 0, 8
	s_waitcnt vmcnt(0)
	v_cmp_ne_u64_e32 vcc, v[24:25], v[34:35]
	s_and_b64 s[42:43], vcc, exec
	s_or_b64 s[38:39], s[38:39], s[42:43]
.LBB592_40:                             ;   in Loop: Header=BB592_41 Depth=1
	s_and_b64 s[42:43], exec, s[38:39]
	s_or_b64 s[14:15], s[42:43], s[14:15]
	v_mov_b64_e32 v[24:25], s[40:41]
	s_andn2_b64 exec, exec, s[14:15]
	s_cbranch_execz .LBB592_43
.LBB592_41:                             ; =>This Inner Loop Header: Depth=1
	s_or_b64 s[38:39], s[38:39], exec
	s_cmp_eq_u64 s[10:11], s[40:41]
	s_cbranch_scc0 .LBB592_39
; %bb.42:                               ;   in Loop: Header=BB592_41 Depth=1
                                        ; implicit-def: $vgpr18_vgpr19
                                        ; implicit-def: $vgpr22_vgpr23
	s_mov_b64 s[40:41], s[26:27]
	s_branch .LBB592_40
.LBB592_43:
	s_or_b64 exec, exec, s[14:15]
	v_cmp_gt_i64_e32 vcc, s[26:27], v[24:25]
	s_orn2_b64 s[10:11], vcc, exec
.LBB592_44:
	s_or_b64 exec, exec, s[12:13]
.LBB592_45:
	v_mul_lo_u32 v22, v9, s26
	v_mul_lo_u32 v23, v8, s27
	v_mad_u64_u32 v[18:19], s[12:13], v8, s26, 0
	v_add3_u32 v19, v19, v23, v22
	s_and_b64 vcc, exec, s[4:5]
	v_lshl_add_u64 v[18:19], v[18:19], 3, s[28:29]
	s_cbranch_vccnz .LBB592_54
; %bb.46:
	global_load_dwordx2 v[22:23], v[18:19], off
	global_load_dwordx2 v[24:25], v[20:21], off
	s_mov_b64 s[8:9], -1
	s_waitcnt vmcnt(0)
	v_cmp_eq_u64_e32 vcc, v[22:23], v[24:25]
	s_and_saveexec_b64 s[12:13], vcc
	s_cbranch_execz .LBB592_53
; %bb.47:
	s_add_u32 s8, s26, -1
	v_lshl_add_u64 v[20:21], v[20:21], 0, 8
	v_lshl_add_u64 v[22:23], v[18:19], 0, 8
	s_addc_u32 s9, s27, -1
	s_mov_b64 s[14:15], 0
	s_mov_b64 s[40:41], 0
                                        ; implicit-def: $sgpr38_sgpr39
	s_branch .LBB592_50
.LBB592_48:                             ;   in Loop: Header=BB592_50 Depth=1
	global_load_dwordx2 v[24:25], v[22:23], off
	global_load_dwordx2 v[34:35], v[20:21], off
	s_add_u32 s40, s40, 1
	s_addc_u32 s41, s41, 0
	s_andn2_b64 s[38:39], s[38:39], exec
	v_lshl_add_u64 v[20:21], v[20:21], 0, 8
	v_lshl_add_u64 v[22:23], v[22:23], 0, 8
	s_waitcnt vmcnt(0)
	v_cmp_ne_u64_e32 vcc, v[24:25], v[34:35]
	s_and_b64 s[42:43], vcc, exec
	s_or_b64 s[38:39], s[38:39], s[42:43]
.LBB592_49:                             ;   in Loop: Header=BB592_50 Depth=1
	s_and_b64 s[42:43], exec, s[38:39]
	s_or_b64 s[14:15], s[42:43], s[14:15]
	v_mov_b64_e32 v[24:25], s[40:41]
	s_andn2_b64 exec, exec, s[14:15]
	s_cbranch_execz .LBB592_52
.LBB592_50:                             ; =>This Inner Loop Header: Depth=1
	s_or_b64 s[38:39], s[38:39], exec
	s_cmp_eq_u64 s[8:9], s[40:41]
	s_cbranch_scc0 .LBB592_48
; %bb.51:                               ;   in Loop: Header=BB592_50 Depth=1
                                        ; implicit-def: $vgpr20_vgpr21
                                        ; implicit-def: $vgpr22_vgpr23
	s_mov_b64 s[40:41], s[26:27]
	s_branch .LBB592_49
.LBB592_52:
	s_or_b64 exec, exec, s[14:15]
	v_cmp_gt_i64_e32 vcc, s[26:27], v[24:25]
	s_orn2_b64 s[8:9], vcc, exec
.LBB592_53:
	s_or_b64 exec, exec, s[12:13]
.LBB592_54:
	v_mul_lo_u32 v22, v7, s26
	v_mul_lo_u32 v23, v6, s27
	v_mad_u64_u32 v[20:21], s[12:13], v6, s26, 0
	v_add3_u32 v21, v21, v23, v22
	s_mov_b64 s[12:13], 0
	s_and_b64 vcc, exec, s[4:5]
	v_lshl_add_u64 v[22:23], v[20:21], 3, s[28:29]
	s_mov_b64 s[14:15], 0
	s_cbranch_vccnz .LBB592_63
; %bb.55:
	global_load_dwordx2 v[20:21], v[22:23], off
	global_load_dwordx2 v[24:25], v[18:19], off
	s_mov_b64 s[14:15], -1
	s_waitcnt vmcnt(0)
	v_cmp_eq_u64_e32 vcc, v[20:21], v[24:25]
	s_and_saveexec_b64 s[38:39], vcc
	s_cbranch_execz .LBB592_62
; %bb.56:
	s_add_u32 s14, s26, -1
	v_lshl_add_u64 v[18:19], v[18:19], 0, 8
	v_lshl_add_u64 v[20:21], v[22:23], 0, 8
	s_addc_u32 s15, s27, -1
	s_mov_b64 s[40:41], 0
	s_mov_b64 s[44:45], 0
                                        ; implicit-def: $sgpr42_sgpr43
	s_branch .LBB592_59
.LBB592_57:                             ;   in Loop: Header=BB592_59 Depth=1
	global_load_dwordx2 v[24:25], v[20:21], off
	global_load_dwordx2 v[34:35], v[18:19], off
	s_add_u32 s44, s44, 1
	s_addc_u32 s45, s45, 0
	s_andn2_b64 s[42:43], s[42:43], exec
	v_lshl_add_u64 v[18:19], v[18:19], 0, 8
	v_lshl_add_u64 v[20:21], v[20:21], 0, 8
	s_waitcnt vmcnt(0)
	v_cmp_ne_u64_e32 vcc, v[24:25], v[34:35]
	s_and_b64 s[46:47], vcc, exec
	s_or_b64 s[42:43], s[42:43], s[46:47]
.LBB592_58:                             ;   in Loop: Header=BB592_59 Depth=1
	s_and_b64 s[46:47], exec, s[42:43]
	s_or_b64 s[40:41], s[46:47], s[40:41]
	v_mov_b64_e32 v[24:25], s[44:45]
	s_andn2_b64 exec, exec, s[40:41]
	s_cbranch_execz .LBB592_61
.LBB592_59:                             ; =>This Inner Loop Header: Depth=1
	s_or_b64 s[42:43], s[42:43], exec
	s_cmp_eq_u64 s[14:15], s[44:45]
	s_cbranch_scc0 .LBB592_57
; %bb.60:                               ;   in Loop: Header=BB592_59 Depth=1
                                        ; implicit-def: $vgpr18_vgpr19
                                        ; implicit-def: $vgpr20_vgpr21
	s_mov_b64 s[44:45], s[26:27]
	s_branch .LBB592_58
.LBB592_61:
	s_or_b64 exec, exec, s[40:41]
	v_cmp_gt_i64_e32 vcc, s[26:27], v[24:25]
	s_orn2_b64 s[14:15], vcc, exec
.LBB592_62:
	s_or_b64 exec, exec, s[38:39]
.LBB592_63:
	v_mul_lo_u32 v20, v13, s26
	v_mul_lo_u32 v21, v12, s27
	v_mad_u64_u32 v[18:19], s[38:39], v12, s26, 0
	v_add3_u32 v19, v19, v21, v20
	s_and_b64 vcc, exec, s[4:5]
	v_lshl_add_u64 v[20:21], v[18:19], 3, s[28:29]
	s_cbranch_vccnz .LBB592_72
; %bb.64:
	global_load_dwordx2 v[18:19], v[20:21], off
	global_load_dwordx2 v[24:25], v[22:23], off
	s_mov_b64 s[12:13], -1
	s_waitcnt vmcnt(0)
	v_cmp_eq_u64_e32 vcc, v[18:19], v[24:25]
	s_and_saveexec_b64 s[38:39], vcc
	s_cbranch_execz .LBB592_71
; %bb.65:
	s_add_u32 s12, s26, -1
	v_lshl_add_u64 v[18:19], v[22:23], 0, 8
	v_lshl_add_u64 v[22:23], v[20:21], 0, 8
	s_addc_u32 s13, s27, -1
	s_mov_b64 s[40:41], 0
	s_mov_b64 s[44:45], 0
                                        ; implicit-def: $sgpr42_sgpr43
	s_branch .LBB592_68
.LBB592_66:                             ;   in Loop: Header=BB592_68 Depth=1
	global_load_dwordx2 v[24:25], v[22:23], off
	global_load_dwordx2 v[34:35], v[18:19], off
	s_add_u32 s44, s44, 1
	s_addc_u32 s45, s45, 0
	s_andn2_b64 s[42:43], s[42:43], exec
	v_lshl_add_u64 v[18:19], v[18:19], 0, 8
	v_lshl_add_u64 v[22:23], v[22:23], 0, 8
	s_waitcnt vmcnt(0)
	v_cmp_ne_u64_e32 vcc, v[24:25], v[34:35]
	s_and_b64 s[46:47], vcc, exec
	s_or_b64 s[42:43], s[42:43], s[46:47]
.LBB592_67:                             ;   in Loop: Header=BB592_68 Depth=1
	s_and_b64 s[46:47], exec, s[42:43]
	s_or_b64 s[40:41], s[46:47], s[40:41]
	v_mov_b64_e32 v[24:25], s[44:45]
	s_andn2_b64 exec, exec, s[40:41]
	s_cbranch_execz .LBB592_70
.LBB592_68:                             ; =>This Inner Loop Header: Depth=1
	s_or_b64 s[42:43], s[42:43], exec
	s_cmp_eq_u64 s[12:13], s[44:45]
	s_cbranch_scc0 .LBB592_66
; %bb.69:                               ;   in Loop: Header=BB592_68 Depth=1
                                        ; implicit-def: $vgpr18_vgpr19
                                        ; implicit-def: $vgpr22_vgpr23
	s_mov_b64 s[44:45], s[26:27]
	s_branch .LBB592_67
.LBB592_70:
	s_or_b64 exec, exec, s[40:41]
	v_cmp_gt_i64_e32 vcc, s[26:27], v[24:25]
	s_orn2_b64 s[12:13], vcc, exec
.LBB592_71:
	s_or_b64 exec, exec, s[38:39]
.LBB592_72:
	v_mul_lo_u32 v22, v11, s26
	v_mul_lo_u32 v23, v10, s27
	v_mad_u64_u32 v[18:19], s[38:39], v10, s26, 0
	v_add3_u32 v19, v19, v23, v22
	s_mov_b64 s[40:41], 0
	s_and_b64 vcc, exec, s[4:5]
	v_lshl_add_u64 v[18:19], v[18:19], 3, s[28:29]
	s_cbranch_vccnz .LBB592_81
; %bb.73:
	global_load_dwordx2 v[22:23], v[18:19], off
	global_load_dwordx2 v[24:25], v[20:21], off
	s_mov_b64 s[40:41], -1
	s_waitcnt vmcnt(0)
	v_cmp_eq_u64_e32 vcc, v[22:23], v[24:25]
	s_and_saveexec_b64 s[38:39], vcc
	s_cbranch_execz .LBB592_80
; %bb.74:
	s_add_u32 s40, s26, -1
	v_lshl_add_u64 v[20:21], v[20:21], 0, 8
	v_lshl_add_u64 v[22:23], v[18:19], 0, 8
	s_addc_u32 s41, s27, -1
	s_mov_b64 s[42:43], 0
	s_mov_b64 s[46:47], 0
                                        ; implicit-def: $sgpr44_sgpr45
	s_branch .LBB592_77
.LBB592_75:                             ;   in Loop: Header=BB592_77 Depth=1
	global_load_dwordx2 v[24:25], v[22:23], off
	global_load_dwordx2 v[34:35], v[20:21], off
	s_add_u32 s46, s46, 1
	s_addc_u32 s47, s47, 0
	s_andn2_b64 s[44:45], s[44:45], exec
	v_lshl_add_u64 v[20:21], v[20:21], 0, 8
	v_lshl_add_u64 v[22:23], v[22:23], 0, 8
	s_waitcnt vmcnt(0)
	v_cmp_ne_u64_e32 vcc, v[24:25], v[34:35]
	s_and_b64 s[48:49], vcc, exec
	s_or_b64 s[44:45], s[44:45], s[48:49]
.LBB592_76:                             ;   in Loop: Header=BB592_77 Depth=1
	s_and_b64 s[48:49], exec, s[44:45]
	s_or_b64 s[42:43], s[48:49], s[42:43]
	v_mov_b64_e32 v[24:25], s[46:47]
	s_andn2_b64 exec, exec, s[42:43]
	s_cbranch_execz .LBB592_79
.LBB592_77:                             ; =>This Inner Loop Header: Depth=1
	s_or_b64 s[44:45], s[44:45], exec
	s_cmp_eq_u64 s[40:41], s[46:47]
	s_cbranch_scc0 .LBB592_75
; %bb.78:                               ;   in Loop: Header=BB592_77 Depth=1
                                        ; implicit-def: $vgpr20_vgpr21
                                        ; implicit-def: $vgpr22_vgpr23
	s_mov_b64 s[46:47], s[26:27]
	s_branch .LBB592_76
.LBB592_79:
	s_or_b64 exec, exec, s[42:43]
	v_cmp_gt_i64_e32 vcc, s[26:27], v[24:25]
	s_orn2_b64 s[40:41], vcc, exec
.LBB592_80:
	s_or_b64 exec, exec, s[38:39]
.LBB592_81:
	s_waitcnt vmcnt(0)
	v_mov_b64_e32 v[20:21], v[16:17]
	s_waitcnt lgkmcnt(0)
	s_barrier
	s_and_saveexec_b64 s[38:39], s[2:3]
	s_cbranch_execz .LBB592_83
; %bb.82:
	v_add_u32_e32 v20, -8, v33
	ds_read_b64 v[20:21], v20
.LBB592_83:
	s_or_b64 exec, exec, s[38:39]
	v_cndmask_b32_e64 v23, 0, 1, s[14:15]
	v_cndmask_b32_e64 v22, 0, 1, s[12:13]
	;; [unrolled: 1-line block ×3, first 2 shown]
	v_lshlrev_b16_e32 v23, 8, v23
	v_lshlrev_b16_e32 v24, 8, v24
	v_or_b32_sdwa v36, v22, v23 dst_sel:WORD_1 dst_unused:UNUSED_PAD src0_sel:DWORD src1_sel:DWORD
	s_mov_b64 s[14:15], 0
	s_and_b64 vcc, exec, s[4:5]
	s_mov_b64 s[12:13], 0
	s_cbranch_vccnz .LBB592_92
; %bb.84:
	s_waitcnt lgkmcnt(0)
	v_mul_lo_u32 v22, v21, s26
	v_mul_lo_u32 v23, v20, s27
	v_mad_u64_u32 v[20:21], s[12:13], v20, s26, 0
	v_add3_u32 v21, v21, v23, v22
	v_lshl_add_u64 v[20:21], v[20:21], 3, s[28:29]
	global_load_dwordx2 v[22:23], v[20:21], off
	global_load_dwordx2 v[34:35], v[18:19], off
	s_mov_b64 s[12:13], -1
	s_waitcnt vmcnt(0)
	v_cmp_eq_u64_e32 vcc, v[22:23], v[34:35]
	s_and_saveexec_b64 s[38:39], vcc
	s_cbranch_execz .LBB592_91
; %bb.85:
	s_add_u32 s12, s26, -1
	v_lshl_add_u64 v[18:19], v[18:19], 0, 8
	v_lshl_add_u64 v[20:21], v[20:21], 0, 8
	s_addc_u32 s13, s27, -1
	s_mov_b64 s[40:41], 0
	s_mov_b64 s[44:45], 0
                                        ; implicit-def: $sgpr42_sgpr43
	s_branch .LBB592_88
.LBB592_86:                             ;   in Loop: Header=BB592_88 Depth=1
	global_load_dwordx2 v[22:23], v[20:21], off
	global_load_dwordx2 v[34:35], v[18:19], off
	s_add_u32 s44, s44, 1
	s_addc_u32 s45, s45, 0
	s_andn2_b64 s[42:43], s[42:43], exec
	v_lshl_add_u64 v[18:19], v[18:19], 0, 8
	v_lshl_add_u64 v[20:21], v[20:21], 0, 8
	s_waitcnt vmcnt(0)
	v_cmp_ne_u64_e32 vcc, v[22:23], v[34:35]
	s_and_b64 s[46:47], vcc, exec
	s_or_b64 s[42:43], s[42:43], s[46:47]
.LBB592_87:                             ;   in Loop: Header=BB592_88 Depth=1
	s_and_b64 s[46:47], exec, s[42:43]
	s_or_b64 s[40:41], s[46:47], s[40:41]
	v_mov_b64_e32 v[22:23], s[44:45]
	s_andn2_b64 exec, exec, s[40:41]
	s_cbranch_execz .LBB592_90
.LBB592_88:                             ; =>This Inner Loop Header: Depth=1
	s_or_b64 s[42:43], s[42:43], exec
	s_cmp_eq_u64 s[12:13], s[44:45]
	s_cbranch_scc0 .LBB592_86
; %bb.89:                               ;   in Loop: Header=BB592_88 Depth=1
                                        ; implicit-def: $vgpr18_vgpr19
                                        ; implicit-def: $vgpr20_vgpr21
	s_mov_b64 s[44:45], s[26:27]
	s_branch .LBB592_87
.LBB592_90:
	s_or_b64 exec, exec, s[40:41]
	v_cmp_gt_i64_e32 vcc, s[26:27], v[22:23]
	s_orn2_b64 s[12:13], vcc, exec
.LBB592_91:
	s_or_b64 exec, exec, s[38:39]
.LBB592_92:
	v_cndmask_b32_e64 v25, 0, 1, s[8:9]
	v_cndmask_b32_e64 v34, 0, 1, s[10:11]
	;; [unrolled: 1-line block ×3, first 2 shown]
	s_waitcnt lgkmcnt(0)
	v_or_b32_e32 v20, v24, v36
	s_and_b64 vcc, exec, s[14:15]
	s_cbranch_vccz .LBB592_173
.LBB592_93:
	v_cmp_gt_u32_e32 vcc, s52, v29
	s_mov_b64 s[8:9], 0
	s_mov_b64 s[6:7], 0
	s_and_saveexec_b64 s[10:11], vcc
	s_cbranch_execz .LBB592_104
; %bb.94:
	s_and_b64 vcc, exec, s[4:5]
	s_mov_b64 s[12:13], 0
	s_cbranch_vccnz .LBB592_103
; %bb.95:
	v_mul_lo_u32 v20, v5, s26
	v_mul_lo_u32 v21, v4, s27
	v_mad_u64_u32 v[18:19], s[6:7], v4, s26, 0
	v_add3_u32 v19, v19, v21, v20
	v_mul_lo_u32 v20, v15, s26
	v_mul_lo_u32 v21, v14, s27
	v_mad_u64_u32 v[22:23], s[6:7], v14, s26, 0
	v_add3_u32 v23, v23, v21, v20
	v_lshl_add_u64 v[20:21], v[18:19], 3, s[28:29]
	v_lshl_add_u64 v[18:19], v[22:23], 3, s[28:29]
	global_load_dwordx2 v[22:23], v[20:21], off
	global_load_dwordx2 v[24:25], v[18:19], off
	s_mov_b64 s[12:13], -1
	s_waitcnt vmcnt(0)
	v_cmp_eq_u64_e32 vcc, v[22:23], v[24:25]
	s_and_saveexec_b64 s[6:7], vcc
	s_cbranch_execz .LBB592_102
; %bb.96:
	s_add_u32 s12, s26, -1
	v_lshl_add_u64 v[18:19], v[18:19], 0, 8
	v_lshl_add_u64 v[20:21], v[20:21], 0, 8
	s_addc_u32 s13, s27, -1
	s_mov_b64 s[14:15], 0
	s_mov_b64 s[40:41], 0
                                        ; implicit-def: $sgpr38_sgpr39
	s_branch .LBB592_99
.LBB592_97:                             ;   in Loop: Header=BB592_99 Depth=1
	global_load_dwordx2 v[22:23], v[20:21], off
	global_load_dwordx2 v[24:25], v[18:19], off
	s_add_u32 s40, s40, 1
	s_addc_u32 s41, s41, 0
	s_andn2_b64 s[38:39], s[38:39], exec
	v_lshl_add_u64 v[18:19], v[18:19], 0, 8
	v_lshl_add_u64 v[20:21], v[20:21], 0, 8
	s_waitcnt vmcnt(0)
	v_cmp_ne_u64_e32 vcc, v[22:23], v[24:25]
	s_and_b64 s[42:43], vcc, exec
	s_or_b64 s[38:39], s[38:39], s[42:43]
.LBB592_98:                             ;   in Loop: Header=BB592_99 Depth=1
	s_and_b64 s[42:43], exec, s[38:39]
	s_or_b64 s[14:15], s[42:43], s[14:15]
	v_mov_b64_e32 v[22:23], s[40:41]
	s_andn2_b64 exec, exec, s[14:15]
	s_cbranch_execz .LBB592_101
.LBB592_99:                             ; =>This Inner Loop Header: Depth=1
	s_or_b64 s[38:39], s[38:39], exec
	s_cmp_eq_u64 s[12:13], s[40:41]
	s_cbranch_scc0 .LBB592_97
; %bb.100:                              ;   in Loop: Header=BB592_99 Depth=1
                                        ; implicit-def: $vgpr18_vgpr19
                                        ; implicit-def: $vgpr20_vgpr21
	s_mov_b64 s[40:41], s[26:27]
	s_branch .LBB592_98
.LBB592_101:
	s_or_b64 exec, exec, s[14:15]
	v_cmp_gt_i64_e32 vcc, s[26:27], v[22:23]
	s_orn2_b64 s[12:13], vcc, exec
.LBB592_102:
	s_or_b64 exec, exec, s[6:7]
.LBB592_103:
	s_and_b64 s[6:7], s[12:13], exec
.LBB592_104:
	s_or_b64 exec, exec, s[10:11]
	v_cmp_gt_u32_e32 vcc, s52, v31
	s_and_saveexec_b64 s[10:11], vcc
	s_cbranch_execz .LBB592_115
; %bb.105:
	s_and_b64 vcc, exec, s[4:5]
	s_mov_b64 s[12:13], 0
	s_cbranch_vccnz .LBB592_114
; %bb.106:
	v_mul_lo_u32 v20, v3, s26
	v_mul_lo_u32 v21, v2, s27
	v_mad_u64_u32 v[18:19], s[8:9], v2, s26, 0
	v_add3_u32 v19, v19, v21, v20
	v_mul_lo_u32 v20, v5, s26
	v_mul_lo_u32 v21, v4, s27
	v_mad_u64_u32 v[22:23], s[8:9], v4, s26, 0
	v_add3_u32 v23, v23, v21, v20
	v_lshl_add_u64 v[20:21], v[18:19], 3, s[28:29]
	v_lshl_add_u64 v[18:19], v[22:23], 3, s[28:29]
	global_load_dwordx2 v[22:23], v[20:21], off
	global_load_dwordx2 v[24:25], v[18:19], off
	s_mov_b64 s[12:13], -1
	s_waitcnt vmcnt(0)
	v_cmp_eq_u64_e32 vcc, v[22:23], v[24:25]
	s_and_saveexec_b64 s[8:9], vcc
	s_cbranch_execz .LBB592_113
; %bb.107:
	s_add_u32 s12, s26, -1
	v_lshl_add_u64 v[18:19], v[18:19], 0, 8
	v_lshl_add_u64 v[20:21], v[20:21], 0, 8
	s_addc_u32 s13, s27, -1
	s_mov_b64 s[14:15], 0
	s_mov_b64 s[40:41], 0
                                        ; implicit-def: $sgpr38_sgpr39
	s_branch .LBB592_110
.LBB592_108:                            ;   in Loop: Header=BB592_110 Depth=1
	global_load_dwordx2 v[22:23], v[20:21], off
	global_load_dwordx2 v[24:25], v[18:19], off
	s_add_u32 s40, s40, 1
	s_addc_u32 s41, s41, 0
	s_andn2_b64 s[38:39], s[38:39], exec
	v_lshl_add_u64 v[18:19], v[18:19], 0, 8
	v_lshl_add_u64 v[20:21], v[20:21], 0, 8
	s_waitcnt vmcnt(0)
	v_cmp_ne_u64_e32 vcc, v[22:23], v[24:25]
	s_and_b64 s[42:43], vcc, exec
	s_or_b64 s[38:39], s[38:39], s[42:43]
.LBB592_109:                            ;   in Loop: Header=BB592_110 Depth=1
	s_and_b64 s[42:43], exec, s[38:39]
	s_or_b64 s[14:15], s[42:43], s[14:15]
	v_mov_b64_e32 v[22:23], s[40:41]
	s_andn2_b64 exec, exec, s[14:15]
	s_cbranch_execz .LBB592_112
.LBB592_110:                            ; =>This Inner Loop Header: Depth=1
	s_or_b64 s[38:39], s[38:39], exec
	s_cmp_eq_u64 s[12:13], s[40:41]
	s_cbranch_scc0 .LBB592_108
; %bb.111:                              ;   in Loop: Header=BB592_110 Depth=1
                                        ; implicit-def: $vgpr18_vgpr19
                                        ; implicit-def: $vgpr20_vgpr21
	s_mov_b64 s[40:41], s[26:27]
	s_branch .LBB592_109
.LBB592_112:
	s_or_b64 exec, exec, s[14:15]
	v_cmp_gt_i64_e32 vcc, s[26:27], v[22:23]
	s_orn2_b64 s[12:13], vcc, exec
.LBB592_113:
	s_or_b64 exec, exec, s[8:9]
.LBB592_114:
	s_and_b64 s[8:9], s[12:13], exec
.LBB592_115:
	s_or_b64 exec, exec, s[10:11]
	v_cmp_gt_u32_e32 vcc, s52, v28
	s_mov_b64 s[12:13], 0
	s_mov_b64 s[10:11], 0
	s_and_saveexec_b64 s[14:15], vcc
	s_cbranch_execz .LBB592_126
; %bb.116:
	s_and_b64 vcc, exec, s[4:5]
	s_mov_b64 s[38:39], 0
	s_cbranch_vccnz .LBB592_125
; %bb.117:
	v_mul_lo_u32 v20, v9, s26
	v_mul_lo_u32 v21, v8, s27
	v_mad_u64_u32 v[18:19], s[10:11], v8, s26, 0
	v_add3_u32 v19, v19, v21, v20
	v_mul_lo_u32 v20, v3, s26
	v_mul_lo_u32 v21, v2, s27
	v_mad_u64_u32 v[22:23], s[10:11], v2, s26, 0
	v_add3_u32 v23, v23, v21, v20
	v_lshl_add_u64 v[20:21], v[18:19], 3, s[28:29]
	v_lshl_add_u64 v[18:19], v[22:23], 3, s[28:29]
	global_load_dwordx2 v[22:23], v[20:21], off
	global_load_dwordx2 v[24:25], v[18:19], off
	s_mov_b64 s[38:39], -1
	s_waitcnt vmcnt(0)
	v_cmp_eq_u64_e32 vcc, v[22:23], v[24:25]
	s_and_saveexec_b64 s[10:11], vcc
	s_cbranch_execz .LBB592_124
; %bb.118:
	s_add_u32 s38, s26, -1
	v_lshl_add_u64 v[18:19], v[18:19], 0, 8
	v_lshl_add_u64 v[20:21], v[20:21], 0, 8
	s_addc_u32 s39, s27, -1
	s_mov_b64 s[40:41], 0
	s_mov_b64 s[44:45], 0
                                        ; implicit-def: $sgpr42_sgpr43
	s_branch .LBB592_121
.LBB592_119:                            ;   in Loop: Header=BB592_121 Depth=1
	global_load_dwordx2 v[22:23], v[20:21], off
	global_load_dwordx2 v[24:25], v[18:19], off
	s_add_u32 s44, s44, 1
	s_addc_u32 s45, s45, 0
	s_andn2_b64 s[42:43], s[42:43], exec
	v_lshl_add_u64 v[18:19], v[18:19], 0, 8
	v_lshl_add_u64 v[20:21], v[20:21], 0, 8
	s_waitcnt vmcnt(0)
	v_cmp_ne_u64_e32 vcc, v[22:23], v[24:25]
	s_and_b64 s[46:47], vcc, exec
	s_or_b64 s[42:43], s[42:43], s[46:47]
.LBB592_120:                            ;   in Loop: Header=BB592_121 Depth=1
	s_and_b64 s[46:47], exec, s[42:43]
	s_or_b64 s[40:41], s[46:47], s[40:41]
	v_mov_b64_e32 v[22:23], s[44:45]
	s_andn2_b64 exec, exec, s[40:41]
	s_cbranch_execz .LBB592_123
.LBB592_121:                            ; =>This Inner Loop Header: Depth=1
	s_or_b64 s[42:43], s[42:43], exec
	s_cmp_eq_u64 s[38:39], s[44:45]
	s_cbranch_scc0 .LBB592_119
; %bb.122:                              ;   in Loop: Header=BB592_121 Depth=1
                                        ; implicit-def: $vgpr18_vgpr19
                                        ; implicit-def: $vgpr20_vgpr21
	s_mov_b64 s[44:45], s[26:27]
	s_branch .LBB592_120
.LBB592_123:
	s_or_b64 exec, exec, s[40:41]
	v_cmp_gt_i64_e32 vcc, s[26:27], v[22:23]
	s_orn2_b64 s[38:39], vcc, exec
.LBB592_124:
	s_or_b64 exec, exec, s[10:11]
.LBB592_125:
	s_and_b64 s[10:11], s[38:39], exec
.LBB592_126:
	s_or_b64 exec, exec, s[14:15]
	v_cmp_gt_u32_e32 vcc, s52, v30
	s_and_saveexec_b64 s[14:15], vcc
	s_cbranch_execz .LBB592_137
; %bb.127:
	s_and_b64 vcc, exec, s[4:5]
	s_mov_b64 s[38:39], 0
	s_cbranch_vccnz .LBB592_136
; %bb.128:
	v_mul_lo_u32 v20, v7, s26
	v_mul_lo_u32 v21, v6, s27
	v_mad_u64_u32 v[18:19], s[12:13], v6, s26, 0
	v_add3_u32 v19, v19, v21, v20
	v_mul_lo_u32 v20, v9, s26
	v_mul_lo_u32 v21, v8, s27
	v_mad_u64_u32 v[22:23], s[12:13], v8, s26, 0
	v_add3_u32 v23, v23, v21, v20
	v_lshl_add_u64 v[20:21], v[18:19], 3, s[28:29]
	v_lshl_add_u64 v[18:19], v[22:23], 3, s[28:29]
	global_load_dwordx2 v[22:23], v[20:21], off
	global_load_dwordx2 v[24:25], v[18:19], off
	s_mov_b64 s[38:39], -1
	s_waitcnt vmcnt(0)
	v_cmp_eq_u64_e32 vcc, v[22:23], v[24:25]
	s_and_saveexec_b64 s[12:13], vcc
	s_cbranch_execz .LBB592_135
; %bb.129:
	s_add_u32 s38, s26, -1
	v_lshl_add_u64 v[18:19], v[18:19], 0, 8
	v_lshl_add_u64 v[20:21], v[20:21], 0, 8
	s_addc_u32 s39, s27, -1
	s_mov_b64 s[40:41], 0
	s_mov_b64 s[44:45], 0
                                        ; implicit-def: $sgpr42_sgpr43
	s_branch .LBB592_132
.LBB592_130:                            ;   in Loop: Header=BB592_132 Depth=1
	global_load_dwordx2 v[22:23], v[20:21], off
	global_load_dwordx2 v[24:25], v[18:19], off
	s_add_u32 s44, s44, 1
	s_addc_u32 s45, s45, 0
	s_andn2_b64 s[42:43], s[42:43], exec
	v_lshl_add_u64 v[18:19], v[18:19], 0, 8
	v_lshl_add_u64 v[20:21], v[20:21], 0, 8
	s_waitcnt vmcnt(0)
	v_cmp_ne_u64_e32 vcc, v[22:23], v[24:25]
	s_and_b64 s[46:47], vcc, exec
	s_or_b64 s[42:43], s[42:43], s[46:47]
.LBB592_131:                            ;   in Loop: Header=BB592_132 Depth=1
	s_and_b64 s[46:47], exec, s[42:43]
	s_or_b64 s[40:41], s[46:47], s[40:41]
	v_mov_b64_e32 v[22:23], s[44:45]
	s_andn2_b64 exec, exec, s[40:41]
	s_cbranch_execz .LBB592_134
.LBB592_132:                            ; =>This Inner Loop Header: Depth=1
	s_or_b64 s[42:43], s[42:43], exec
	s_cmp_eq_u64 s[38:39], s[44:45]
	s_cbranch_scc0 .LBB592_130
; %bb.133:                              ;   in Loop: Header=BB592_132 Depth=1
                                        ; implicit-def: $vgpr18_vgpr19
                                        ; implicit-def: $vgpr20_vgpr21
	s_mov_b64 s[44:45], s[26:27]
	s_branch .LBB592_131
.LBB592_134:
	s_or_b64 exec, exec, s[40:41]
	v_cmp_gt_i64_e32 vcc, s[26:27], v[22:23]
	s_orn2_b64 s[38:39], vcc, exec
.LBB592_135:
	s_or_b64 exec, exec, s[12:13]
.LBB592_136:
	s_and_b64 s[12:13], s[38:39], exec
.LBB592_137:
	s_or_b64 exec, exec, s[14:15]
	v_cmp_gt_u32_e32 vcc, s52, v26
	s_mov_b64 s[14:15], 0
	s_mov_b64 s[38:39], 0
	s_and_saveexec_b64 s[40:41], vcc
	s_cbranch_execz .LBB592_148
; %bb.138:
	s_and_b64 vcc, exec, s[4:5]
	s_mov_b64 s[42:43], 0
	s_cbranch_vccnz .LBB592_147
; %bb.139:
	v_mul_lo_u32 v20, v13, s26
	v_mul_lo_u32 v21, v12, s27
	v_mad_u64_u32 v[18:19], s[38:39], v12, s26, 0
	v_add3_u32 v19, v19, v21, v20
	v_mul_lo_u32 v20, v7, s26
	v_mul_lo_u32 v21, v6, s27
	v_mad_u64_u32 v[22:23], s[38:39], v6, s26, 0
	v_add3_u32 v23, v23, v21, v20
	v_lshl_add_u64 v[20:21], v[18:19], 3, s[28:29]
	v_lshl_add_u64 v[18:19], v[22:23], 3, s[28:29]
	global_load_dwordx2 v[22:23], v[20:21], off
	global_load_dwordx2 v[24:25], v[18:19], off
	s_mov_b64 s[42:43], -1
	s_waitcnt vmcnt(0)
	v_cmp_eq_u64_e32 vcc, v[22:23], v[24:25]
	s_and_saveexec_b64 s[38:39], vcc
	s_cbranch_execz .LBB592_146
; %bb.140:
	s_add_u32 s42, s26, -1
	v_lshl_add_u64 v[18:19], v[18:19], 0, 8
	v_lshl_add_u64 v[20:21], v[20:21], 0, 8
	s_addc_u32 s43, s27, -1
	s_mov_b64 s[44:45], 0
	s_mov_b64 s[48:49], 0
                                        ; implicit-def: $sgpr46_sgpr47
	s_branch .LBB592_143
.LBB592_141:                            ;   in Loop: Header=BB592_143 Depth=1
	global_load_dwordx2 v[22:23], v[20:21], off
	global_load_dwordx2 v[24:25], v[18:19], off
	s_add_u32 s48, s48, 1
	s_addc_u32 s49, s49, 0
	s_andn2_b64 s[46:47], s[46:47], exec
	v_lshl_add_u64 v[18:19], v[18:19], 0, 8
	v_lshl_add_u64 v[20:21], v[20:21], 0, 8
	s_waitcnt vmcnt(0)
	v_cmp_ne_u64_e32 vcc, v[22:23], v[24:25]
	s_and_b64 s[50:51], vcc, exec
	s_or_b64 s[46:47], s[46:47], s[50:51]
.LBB592_142:                            ;   in Loop: Header=BB592_143 Depth=1
	s_and_b64 s[50:51], exec, s[46:47]
	s_or_b64 s[44:45], s[50:51], s[44:45]
	v_mov_b64_e32 v[22:23], s[48:49]
	s_andn2_b64 exec, exec, s[44:45]
	s_cbranch_execz .LBB592_145
.LBB592_143:                            ; =>This Inner Loop Header: Depth=1
	s_or_b64 s[46:47], s[46:47], exec
	s_cmp_eq_u64 s[42:43], s[48:49]
	s_cbranch_scc0 .LBB592_141
; %bb.144:                              ;   in Loop: Header=BB592_143 Depth=1
                                        ; implicit-def: $vgpr18_vgpr19
                                        ; implicit-def: $vgpr20_vgpr21
	s_mov_b64 s[48:49], s[26:27]
	s_branch .LBB592_142
.LBB592_145:
	s_or_b64 exec, exec, s[44:45]
	v_cmp_gt_i64_e32 vcc, s[26:27], v[22:23]
	s_orn2_b64 s[42:43], vcc, exec
.LBB592_146:
	s_or_b64 exec, exec, s[38:39]
.LBB592_147:
	s_and_b64 s[38:39], s[42:43], exec
.LBB592_148:
	s_or_b64 exec, exec, s[40:41]
	v_cmp_gt_u32_e32 vcc, s52, v27
	s_and_saveexec_b64 s[40:41], vcc
	s_cbranch_execz .LBB592_159
; %bb.149:
	s_and_b64 vcc, exec, s[4:5]
	s_mov_b64 s[42:43], 0
	s_cbranch_vccnz .LBB592_158
; %bb.150:
	v_mul_lo_u32 v20, v11, s26
	v_mul_lo_u32 v21, v10, s27
	v_mad_u64_u32 v[18:19], s[14:15], v10, s26, 0
	v_add3_u32 v19, v19, v21, v20
	v_mul_lo_u32 v20, v13, s26
	v_mul_lo_u32 v21, v12, s27
	v_mad_u64_u32 v[22:23], s[14:15], v12, s26, 0
	v_add3_u32 v23, v23, v21, v20
	v_lshl_add_u64 v[20:21], v[18:19], 3, s[28:29]
	v_lshl_add_u64 v[18:19], v[22:23], 3, s[28:29]
	global_load_dwordx2 v[22:23], v[20:21], off
	global_load_dwordx2 v[24:25], v[18:19], off
	s_mov_b64 s[42:43], -1
	s_waitcnt vmcnt(0)
	v_cmp_eq_u64_e32 vcc, v[22:23], v[24:25]
	s_and_saveexec_b64 s[14:15], vcc
	s_cbranch_execz .LBB592_157
; %bb.151:
	s_add_u32 s42, s26, -1
	v_lshl_add_u64 v[18:19], v[18:19], 0, 8
	v_lshl_add_u64 v[20:21], v[20:21], 0, 8
	s_addc_u32 s43, s27, -1
	s_mov_b64 s[44:45], 0
	s_mov_b64 s[48:49], 0
                                        ; implicit-def: $sgpr46_sgpr47
	s_branch .LBB592_154
.LBB592_152:                            ;   in Loop: Header=BB592_154 Depth=1
	global_load_dwordx2 v[22:23], v[20:21], off
	global_load_dwordx2 v[24:25], v[18:19], off
	s_add_u32 s48, s48, 1
	s_addc_u32 s49, s49, 0
	s_andn2_b64 s[46:47], s[46:47], exec
	v_lshl_add_u64 v[18:19], v[18:19], 0, 8
	v_lshl_add_u64 v[20:21], v[20:21], 0, 8
	s_waitcnt vmcnt(0)
	v_cmp_ne_u64_e32 vcc, v[22:23], v[24:25]
	s_and_b64 s[50:51], vcc, exec
	s_or_b64 s[46:47], s[46:47], s[50:51]
.LBB592_153:                            ;   in Loop: Header=BB592_154 Depth=1
	s_and_b64 s[50:51], exec, s[46:47]
	s_or_b64 s[44:45], s[50:51], s[44:45]
	v_mov_b64_e32 v[22:23], s[48:49]
	s_andn2_b64 exec, exec, s[44:45]
	s_cbranch_execz .LBB592_156
.LBB592_154:                            ; =>This Inner Loop Header: Depth=1
	s_or_b64 s[46:47], s[46:47], exec
	s_cmp_eq_u64 s[42:43], s[48:49]
	s_cbranch_scc0 .LBB592_152
; %bb.155:                              ;   in Loop: Header=BB592_154 Depth=1
                                        ; implicit-def: $vgpr18_vgpr19
                                        ; implicit-def: $vgpr20_vgpr21
	s_mov_b64 s[48:49], s[26:27]
	s_branch .LBB592_153
.LBB592_156:
	s_or_b64 exec, exec, s[44:45]
	v_cmp_gt_i64_e32 vcc, s[26:27], v[22:23]
	s_orn2_b64 s[42:43], vcc, exec
.LBB592_157:
	s_or_b64 exec, exec, s[14:15]
.LBB592_158:
	s_and_b64 s[14:15], s[42:43], exec
.LBB592_159:
	s_or_b64 exec, exec, s[40:41]
	s_waitcnt lgkmcnt(0)
	s_barrier
	s_and_saveexec_b64 s[40:41], s[2:3]
	s_cbranch_execz .LBB592_161
; %bb.160:
	s_waitcnt vmcnt(0)
	v_add_u32_e32 v16, -8, v33
	ds_read_b64 v[16:17], v16
.LBB592_161:
	s_or_b64 exec, exec, s[40:41]
	v_cndmask_b32_e64 v19, 0, 1, s[12:13]
	v_cndmask_b32_e64 v18, 0, 1, s[38:39]
	;; [unrolled: 1-line block ×3, first 2 shown]
	v_lshlrev_b16_e32 v19, 8, v19
	v_cmp_gt_u32_e32 vcc, s52, v1
	v_lshlrev_b16_e32 v22, 8, v20
	v_or_b32_sdwa v23, v18, v19 dst_sel:WORD_1 dst_unused:UNUSED_PAD src0_sel:DWORD src1_sel:DWORD
	s_mov_b64 s[12:13], 0
	s_and_saveexec_b64 s[14:15], vcc
	s_cbranch_execz .LBB592_172
; %bb.162:
	s_and_b64 vcc, exec, s[4:5]
	s_cbranch_vccnz .LBB592_171
; %bb.163:
	s_waitcnt vmcnt(0) lgkmcnt(0)
	v_mul_lo_u32 v18, v17, s26
	v_mul_lo_u32 v19, v16, s27
	v_mad_u64_u32 v[16:17], s[4:5], v16, s26, 0
	v_add3_u32 v17, v17, v19, v18
	v_mul_lo_u32 v18, v11, s26
	v_mul_lo_u32 v19, v10, s27
	v_mad_u64_u32 v[20:21], s[4:5], v10, s26, 0
	v_add3_u32 v21, v21, v19, v18
	v_lshl_add_u64 v[18:19], v[16:17], 3, s[28:29]
	v_lshl_add_u64 v[16:17], v[20:21], 3, s[28:29]
	global_load_dwordx2 v[20:21], v[18:19], off
	global_load_dwordx2 v[24:25], v[16:17], off
	s_mov_b64 s[12:13], -1
	s_waitcnt vmcnt(0)
	v_cmp_eq_u64_e32 vcc, v[20:21], v[24:25]
	s_and_saveexec_b64 s[4:5], vcc
	s_cbranch_execz .LBB592_170
; %bb.164:
	s_add_u32 s12, s26, -1
	v_lshl_add_u64 v[16:17], v[16:17], 0, 8
	v_lshl_add_u64 v[18:19], v[18:19], 0, 8
	s_addc_u32 s13, s27, -1
	s_mov_b64 s[38:39], 0
	s_mov_b64 s[42:43], 0
                                        ; implicit-def: $sgpr40_sgpr41
	s_branch .LBB592_167
.LBB592_165:                            ;   in Loop: Header=BB592_167 Depth=1
	global_load_dwordx2 v[20:21], v[18:19], off
	global_load_dwordx2 v[24:25], v[16:17], off
	s_add_u32 s42, s42, 1
	s_addc_u32 s43, s43, 0
	s_andn2_b64 s[40:41], s[40:41], exec
	v_lshl_add_u64 v[16:17], v[16:17], 0, 8
	v_lshl_add_u64 v[18:19], v[18:19], 0, 8
	s_waitcnt vmcnt(0)
	v_cmp_ne_u64_e32 vcc, v[20:21], v[24:25]
	s_and_b64 s[44:45], vcc, exec
	s_or_b64 s[40:41], s[40:41], s[44:45]
.LBB592_166:                            ;   in Loop: Header=BB592_167 Depth=1
	s_and_b64 s[44:45], exec, s[40:41]
	s_or_b64 s[38:39], s[44:45], s[38:39]
	v_mov_b64_e32 v[20:21], s[42:43]
	s_andn2_b64 exec, exec, s[38:39]
	s_cbranch_execz .LBB592_169
.LBB592_167:                            ; =>This Inner Loop Header: Depth=1
	s_or_b64 s[40:41], s[40:41], exec
	s_cmp_eq_u64 s[12:13], s[42:43]
	s_cbranch_scc0 .LBB592_165
; %bb.168:                              ;   in Loop: Header=BB592_167 Depth=1
                                        ; implicit-def: $vgpr16_vgpr17
                                        ; implicit-def: $vgpr18_vgpr19
	s_mov_b64 s[42:43], s[26:27]
	s_branch .LBB592_166
.LBB592_169:
	s_or_b64 exec, exec, s[38:39]
	v_cmp_gt_i64_e32 vcc, s[26:27], v[20:21]
	s_orn2_b64 s[12:13], vcc, exec
.LBB592_170:
	s_or_b64 exec, exec, s[4:5]
.LBB592_171:
	s_and_b64 s[12:13], s[12:13], exec
.LBB592_172:
	s_or_b64 exec, exec, s[14:15]
	v_cndmask_b32_e64 v25, 0, 1, s[10:11]
	v_cndmask_b32_e64 v34, 0, 1, s[8:9]
	;; [unrolled: 1-line block ×3, first 2 shown]
	v_or_b32_e32 v20, v22, v23
.LBB592_173:
	s_mov_b64 s[8:9], -1
	s_cbranch_execnz .LBB592_32
.LBB592_174:
	s_movk_i32 s4, 0xffd0
	v_mad_i32_i24 v24, v0, s4, v32
	s_mov_b64 s[10:11], 0
	v_cmp_gt_i64_e64 s[6:7], s[26:27], 0
	s_and_b64 vcc, exec, s[36:37]
	ds_write_b64 v24, v[14:15]
	s_cbranch_vccz .LBB592_182
; %bb.175:
	v_mul_lo_u32 v18, v5, s26
	v_mul_lo_u32 v19, v4, s27
	s_waitcnt vmcnt(0) lgkmcnt(1)
	v_mad_u64_u32 v[16:17], s[4:5], v4, s26, 0
	v_add3_u32 v17, v17, v19, v18
	v_cndmask_b32_e64 v18, 0, 1, s[6:7]
	v_cmp_ne_u32_e64 s[4:5], 1, v18
	s_andn2_b64 vcc, exec, s[6:7]
	v_lshl_add_u64 v[16:17], v[16:17], 3, s[28:29]
	s_cbranch_vccnz .LBB592_185
; %bb.176:
	v_mul_lo_u32 v20, v15, s26
	v_mul_lo_u32 v21, v14, s27
	v_mad_u64_u32 v[18:19], s[10:11], v14, s26, 0
	v_add3_u32 v19, v19, v21, v20
	v_lshl_add_u64 v[18:19], v[18:19], 3, s[28:29]
	global_load_dwordx2 v[20:21], v[16:17], off
	global_load_dwordx2 v[22:23], v[18:19], off
	s_mov_b64 s[10:11], -1
	s_waitcnt vmcnt(0)
	v_cmp_eq_u64_e32 vcc, v[20:21], v[22:23]
	s_and_saveexec_b64 s[12:13], vcc
	s_cbranch_execz .LBB592_184
; %bb.177:
	s_add_u32 s10, s26, -1
	v_lshl_add_u64 v[18:19], v[18:19], 0, 8
	v_lshl_add_u64 v[20:21], v[16:17], 0, 8
	s_addc_u32 s11, s27, -1
	s_mov_b64 s[14:15], 0
	s_mov_b64 s[40:41], 0
                                        ; implicit-def: $sgpr38_sgpr39
	s_branch .LBB592_180
.LBB592_178:                            ;   in Loop: Header=BB592_180 Depth=1
	global_load_dwordx2 v[22:23], v[20:21], off
	global_load_dwordx2 v[32:33], v[18:19], off
	s_add_u32 s40, s40, 1
	s_addc_u32 s41, s41, 0
	s_andn2_b64 s[38:39], s[38:39], exec
	v_lshl_add_u64 v[18:19], v[18:19], 0, 8
	v_lshl_add_u64 v[20:21], v[20:21], 0, 8
	s_waitcnt vmcnt(0)
	v_cmp_ne_u64_e32 vcc, v[22:23], v[32:33]
	s_and_b64 s[42:43], vcc, exec
	s_or_b64 s[38:39], s[38:39], s[42:43]
.LBB592_179:                            ;   in Loop: Header=BB592_180 Depth=1
	s_and_b64 s[42:43], exec, s[38:39]
	s_or_b64 s[14:15], s[42:43], s[14:15]
	v_mov_b64_e32 v[22:23], s[40:41]
	s_andn2_b64 exec, exec, s[14:15]
	s_cbranch_execz .LBB592_183
.LBB592_180:                            ; =>This Inner Loop Header: Depth=1
	s_or_b64 s[38:39], s[38:39], exec
	s_cmp_eq_u64 s[10:11], s[40:41]
	s_cbranch_scc0 .LBB592_178
; %bb.181:                              ;   in Loop: Header=BB592_180 Depth=1
                                        ; implicit-def: $vgpr18_vgpr19
                                        ; implicit-def: $vgpr20_vgpr21
	s_mov_b64 s[40:41], s[26:27]
	s_branch .LBB592_179
.LBB592_182:
                                        ; implicit-def: $sgpr12_sgpr13
                                        ; implicit-def: $vgpr35
                                        ; implicit-def: $vgpr34
                                        ; implicit-def: $vgpr25
                                        ; implicit-def: $vgpr20
                                        ; implicit-def: $vgpr16_vgpr17
	s_cbranch_execnz .LBB592_242
	s_branch .LBB592_322
.LBB592_183:
	s_or_b64 exec, exec, s[14:15]
	v_cmp_gt_i64_e32 vcc, s[26:27], v[22:23]
	s_orn2_b64 s[10:11], vcc, exec
.LBB592_184:
	s_or_b64 exec, exec, s[12:13]
.LBB592_185:
	v_mul_lo_u32 v20, v3, s26
	v_mul_lo_u32 v21, v2, s27
	v_mad_u64_u32 v[18:19], s[12:13], v2, s26, 0
	v_add3_u32 v19, v19, v21, v20
	s_mov_b64 s[12:13], 0
	s_and_b64 vcc, exec, s[4:5]
	v_lshl_add_u64 v[18:19], v[18:19], 3, s[28:29]
	s_mov_b64 s[14:15], 0
	s_cbranch_vccnz .LBB592_194
; %bb.186:
	global_load_dwordx2 v[20:21], v[18:19], off
	global_load_dwordx2 v[22:23], v[16:17], off
	s_mov_b64 s[14:15], -1
	s_waitcnt vmcnt(0)
	v_cmp_eq_u64_e32 vcc, v[20:21], v[22:23]
	s_and_saveexec_b64 s[38:39], vcc
	s_cbranch_execz .LBB592_193
; %bb.187:
	s_add_u32 s14, s26, -1
	v_lshl_add_u64 v[16:17], v[16:17], 0, 8
	v_lshl_add_u64 v[20:21], v[18:19], 0, 8
	s_addc_u32 s15, s27, -1
	s_mov_b64 s[40:41], 0
	s_mov_b64 s[44:45], 0
                                        ; implicit-def: $sgpr42_sgpr43
	s_branch .LBB592_190
.LBB592_188:                            ;   in Loop: Header=BB592_190 Depth=1
	global_load_dwordx2 v[22:23], v[20:21], off
	global_load_dwordx2 v[32:33], v[16:17], off
	s_add_u32 s44, s44, 1
	s_addc_u32 s45, s45, 0
	s_andn2_b64 s[42:43], s[42:43], exec
	v_lshl_add_u64 v[16:17], v[16:17], 0, 8
	v_lshl_add_u64 v[20:21], v[20:21], 0, 8
	s_waitcnt vmcnt(0)
	v_cmp_ne_u64_e32 vcc, v[22:23], v[32:33]
	s_and_b64 s[46:47], vcc, exec
	s_or_b64 s[42:43], s[42:43], s[46:47]
.LBB592_189:                            ;   in Loop: Header=BB592_190 Depth=1
	s_and_b64 s[46:47], exec, s[42:43]
	s_or_b64 s[40:41], s[46:47], s[40:41]
	v_mov_b64_e32 v[22:23], s[44:45]
	s_andn2_b64 exec, exec, s[40:41]
	s_cbranch_execz .LBB592_192
.LBB592_190:                            ; =>This Inner Loop Header: Depth=1
	s_or_b64 s[42:43], s[42:43], exec
	s_cmp_eq_u64 s[14:15], s[44:45]
	s_cbranch_scc0 .LBB592_188
; %bb.191:                              ;   in Loop: Header=BB592_190 Depth=1
                                        ; implicit-def: $vgpr16_vgpr17
                                        ; implicit-def: $vgpr20_vgpr21
	s_mov_b64 s[44:45], s[26:27]
	s_branch .LBB592_189
.LBB592_192:
	s_or_b64 exec, exec, s[40:41]
	v_cmp_gt_i64_e32 vcc, s[26:27], v[22:23]
	s_orn2_b64 s[14:15], vcc, exec
.LBB592_193:
	s_or_b64 exec, exec, s[38:39]
.LBB592_194:
	v_mul_lo_u32 v20, v9, s26
	v_mul_lo_u32 v21, v8, s27
	v_mad_u64_u32 v[16:17], s[38:39], v8, s26, 0
	v_add3_u32 v17, v17, v21, v20
	s_and_b64 vcc, exec, s[4:5]
	v_lshl_add_u64 v[16:17], v[16:17], 3, s[28:29]
	s_cbranch_vccnz .LBB592_203
; %bb.195:
	global_load_dwordx2 v[20:21], v[16:17], off
	global_load_dwordx2 v[22:23], v[18:19], off
	s_mov_b64 s[12:13], -1
	s_waitcnt vmcnt(0)
	v_cmp_eq_u64_e32 vcc, v[20:21], v[22:23]
	s_and_saveexec_b64 s[38:39], vcc
	s_cbranch_execz .LBB592_202
; %bb.196:
	s_add_u32 s12, s26, -1
	v_lshl_add_u64 v[18:19], v[18:19], 0, 8
	v_lshl_add_u64 v[20:21], v[16:17], 0, 8
	s_addc_u32 s13, s27, -1
	s_mov_b64 s[40:41], 0
	s_mov_b64 s[44:45], 0
                                        ; implicit-def: $sgpr42_sgpr43
	s_branch .LBB592_199
.LBB592_197:                            ;   in Loop: Header=BB592_199 Depth=1
	global_load_dwordx2 v[22:23], v[20:21], off
	global_load_dwordx2 v[32:33], v[18:19], off
	s_add_u32 s44, s44, 1
	s_addc_u32 s45, s45, 0
	s_andn2_b64 s[42:43], s[42:43], exec
	v_lshl_add_u64 v[18:19], v[18:19], 0, 8
	v_lshl_add_u64 v[20:21], v[20:21], 0, 8
	s_waitcnt vmcnt(0)
	v_cmp_ne_u64_e32 vcc, v[22:23], v[32:33]
	s_and_b64 s[46:47], vcc, exec
	s_or_b64 s[42:43], s[42:43], s[46:47]
.LBB592_198:                            ;   in Loop: Header=BB592_199 Depth=1
	s_and_b64 s[46:47], exec, s[42:43]
	s_or_b64 s[40:41], s[46:47], s[40:41]
	v_mov_b64_e32 v[22:23], s[44:45]
	s_andn2_b64 exec, exec, s[40:41]
	s_cbranch_execz .LBB592_201
.LBB592_199:                            ; =>This Inner Loop Header: Depth=1
	s_or_b64 s[42:43], s[42:43], exec
	s_cmp_eq_u64 s[12:13], s[44:45]
	s_cbranch_scc0 .LBB592_197
; %bb.200:                              ;   in Loop: Header=BB592_199 Depth=1
                                        ; implicit-def: $vgpr18_vgpr19
                                        ; implicit-def: $vgpr20_vgpr21
	s_mov_b64 s[44:45], s[26:27]
	s_branch .LBB592_198
.LBB592_201:
	s_or_b64 exec, exec, s[40:41]
	v_cmp_gt_i64_e32 vcc, s[26:27], v[22:23]
	s_orn2_b64 s[12:13], vcc, exec
.LBB592_202:
	s_or_b64 exec, exec, s[38:39]
.LBB592_203:
	v_mul_lo_u32 v20, v7, s26
	v_mul_lo_u32 v21, v6, s27
	v_mad_u64_u32 v[18:19], s[38:39], v6, s26, 0
	v_add3_u32 v19, v19, v21, v20
	s_mov_b64 s[38:39], 0
	s_and_b64 vcc, exec, s[4:5]
	v_lshl_add_u64 v[18:19], v[18:19], 3, s[28:29]
	s_mov_b64 s[40:41], 0
	s_cbranch_vccnz .LBB592_212
; %bb.204:
	global_load_dwordx2 v[20:21], v[18:19], off
	global_load_dwordx2 v[22:23], v[16:17], off
	s_mov_b64 s[40:41], -1
	s_waitcnt vmcnt(0)
	v_cmp_eq_u64_e32 vcc, v[20:21], v[22:23]
	s_and_saveexec_b64 s[42:43], vcc
	s_cbranch_execz .LBB592_211
; %bb.205:
	s_add_u32 s40, s26, -1
	v_lshl_add_u64 v[16:17], v[16:17], 0, 8
	v_lshl_add_u64 v[20:21], v[18:19], 0, 8
	s_addc_u32 s41, s27, -1
	s_mov_b64 s[44:45], 0
	s_mov_b64 s[48:49], 0
                                        ; implicit-def: $sgpr46_sgpr47
	s_branch .LBB592_208
.LBB592_206:                            ;   in Loop: Header=BB592_208 Depth=1
	global_load_dwordx2 v[22:23], v[20:21], off
	global_load_dwordx2 v[32:33], v[16:17], off
	s_add_u32 s48, s48, 1
	s_addc_u32 s49, s49, 0
	s_andn2_b64 s[46:47], s[46:47], exec
	v_lshl_add_u64 v[16:17], v[16:17], 0, 8
	v_lshl_add_u64 v[20:21], v[20:21], 0, 8
	s_waitcnt vmcnt(0)
	v_cmp_ne_u64_e32 vcc, v[22:23], v[32:33]
	s_and_b64 s[50:51], vcc, exec
	s_or_b64 s[46:47], s[46:47], s[50:51]
.LBB592_207:                            ;   in Loop: Header=BB592_208 Depth=1
	s_and_b64 s[50:51], exec, s[46:47]
	s_or_b64 s[44:45], s[50:51], s[44:45]
	v_mov_b64_e32 v[22:23], s[48:49]
	s_andn2_b64 exec, exec, s[44:45]
	s_cbranch_execz .LBB592_210
.LBB592_208:                            ; =>This Inner Loop Header: Depth=1
	s_or_b64 s[46:47], s[46:47], exec
	s_cmp_eq_u64 s[40:41], s[48:49]
	s_cbranch_scc0 .LBB592_206
; %bb.209:                              ;   in Loop: Header=BB592_208 Depth=1
                                        ; implicit-def: $vgpr16_vgpr17
                                        ; implicit-def: $vgpr20_vgpr21
	s_mov_b64 s[48:49], s[26:27]
	s_branch .LBB592_207
.LBB592_210:
	s_or_b64 exec, exec, s[44:45]
	v_cmp_gt_i64_e32 vcc, s[26:27], v[22:23]
	s_orn2_b64 s[40:41], vcc, exec
.LBB592_211:
	s_or_b64 exec, exec, s[42:43]
.LBB592_212:
	v_mul_lo_u32 v20, v13, s26
	v_mul_lo_u32 v21, v12, s27
	v_mad_u64_u32 v[16:17], s[42:43], v12, s26, 0
	v_add3_u32 v17, v17, v21, v20
	s_and_b64 vcc, exec, s[4:5]
	v_lshl_add_u64 v[16:17], v[16:17], 3, s[28:29]
	s_cbranch_vccnz .LBB592_221
; %bb.213:
	global_load_dwordx2 v[20:21], v[16:17], off
	global_load_dwordx2 v[22:23], v[18:19], off
	s_mov_b64 s[38:39], -1
	s_waitcnt vmcnt(0)
	v_cmp_eq_u64_e32 vcc, v[20:21], v[22:23]
	s_and_saveexec_b64 s[42:43], vcc
	s_cbranch_execz .LBB592_220
; %bb.214:
	s_add_u32 s38, s26, -1
	v_lshl_add_u64 v[18:19], v[18:19], 0, 8
	v_lshl_add_u64 v[20:21], v[16:17], 0, 8
	s_addc_u32 s39, s27, -1
	s_mov_b64 s[44:45], 0
	s_mov_b64 s[48:49], 0
                                        ; implicit-def: $sgpr46_sgpr47
	s_branch .LBB592_217
.LBB592_215:                            ;   in Loop: Header=BB592_217 Depth=1
	global_load_dwordx2 v[22:23], v[20:21], off
	global_load_dwordx2 v[32:33], v[18:19], off
	s_add_u32 s48, s48, 1
	s_addc_u32 s49, s49, 0
	s_andn2_b64 s[46:47], s[46:47], exec
	v_lshl_add_u64 v[18:19], v[18:19], 0, 8
	v_lshl_add_u64 v[20:21], v[20:21], 0, 8
	s_waitcnt vmcnt(0)
	v_cmp_ne_u64_e32 vcc, v[22:23], v[32:33]
	s_and_b64 s[50:51], vcc, exec
	s_or_b64 s[46:47], s[46:47], s[50:51]
.LBB592_216:                            ;   in Loop: Header=BB592_217 Depth=1
	s_and_b64 s[50:51], exec, s[46:47]
	s_or_b64 s[44:45], s[50:51], s[44:45]
	v_mov_b64_e32 v[22:23], s[48:49]
	s_andn2_b64 exec, exec, s[44:45]
	s_cbranch_execz .LBB592_219
.LBB592_217:                            ; =>This Inner Loop Header: Depth=1
	s_or_b64 s[46:47], s[46:47], exec
	s_cmp_eq_u64 s[38:39], s[48:49]
	s_cbranch_scc0 .LBB592_215
; %bb.218:                              ;   in Loop: Header=BB592_217 Depth=1
                                        ; implicit-def: $vgpr18_vgpr19
                                        ; implicit-def: $vgpr20_vgpr21
	s_mov_b64 s[48:49], s[26:27]
	s_branch .LBB592_216
.LBB592_219:
	s_or_b64 exec, exec, s[44:45]
	v_cmp_gt_i64_e32 vcc, s[26:27], v[22:23]
	s_orn2_b64 s[38:39], vcc, exec
.LBB592_220:
	s_or_b64 exec, exec, s[42:43]
.LBB592_221:
	v_mul_lo_u32 v20, v11, s26
	v_mul_lo_u32 v21, v10, s27
	v_mad_u64_u32 v[18:19], s[42:43], v10, s26, 0
	v_add3_u32 v19, v19, v21, v20
	s_and_b64 vcc, exec, s[4:5]
	s_mov_b64 s[44:45], 0
	s_cbranch_vccnz .LBB592_230
; %bb.222:
	v_lshl_add_u64 v[20:21], v[18:19], 3, s[28:29]
	global_load_dwordx2 v[22:23], v[20:21], off
	global_load_dwordx2 v[32:33], v[16:17], off
	s_mov_b64 s[44:45], -1
	s_waitcnt vmcnt(0)
	v_cmp_eq_u64_e32 vcc, v[22:23], v[32:33]
	s_and_saveexec_b64 s[42:43], vcc
	s_cbranch_execz .LBB592_229
; %bb.223:
	s_add_u32 s44, s26, -1
	v_lshl_add_u64 v[16:17], v[16:17], 0, 8
	v_lshl_add_u64 v[20:21], v[20:21], 0, 8
	s_addc_u32 s45, s27, -1
	s_mov_b64 s[46:47], 0
	s_mov_b64 s[50:51], 0
                                        ; implicit-def: $sgpr48_sgpr49
	s_branch .LBB592_226
.LBB592_224:                            ;   in Loop: Header=BB592_226 Depth=1
	global_load_dwordx2 v[22:23], v[20:21], off
	global_load_dwordx2 v[32:33], v[16:17], off
	s_add_u32 s50, s50, 1
	s_addc_u32 s51, s51, 0
	s_andn2_b64 s[48:49], s[48:49], exec
	v_lshl_add_u64 v[16:17], v[16:17], 0, 8
	v_lshl_add_u64 v[20:21], v[20:21], 0, 8
	s_waitcnt vmcnt(0)
	v_cmp_ne_u64_e32 vcc, v[22:23], v[32:33]
	s_and_b64 s[54:55], vcc, exec
	s_or_b64 s[48:49], s[48:49], s[54:55]
.LBB592_225:                            ;   in Loop: Header=BB592_226 Depth=1
	s_and_b64 s[54:55], exec, s[48:49]
	s_or_b64 s[46:47], s[54:55], s[46:47]
	v_mov_b64_e32 v[22:23], s[50:51]
	s_andn2_b64 exec, exec, s[46:47]
	s_cbranch_execz .LBB592_228
.LBB592_226:                            ; =>This Inner Loop Header: Depth=1
	s_or_b64 s[48:49], s[48:49], exec
	s_cmp_eq_u64 s[44:45], s[50:51]
	s_cbranch_scc0 .LBB592_224
; %bb.227:                              ;   in Loop: Header=BB592_226 Depth=1
                                        ; implicit-def: $vgpr16_vgpr17
                                        ; implicit-def: $vgpr20_vgpr21
	s_mov_b64 s[50:51], s[26:27]
	s_branch .LBB592_225
.LBB592_228:
	s_or_b64 exec, exec, s[46:47]
	v_cmp_gt_i64_e32 vcc, s[26:27], v[22:23]
	s_orn2_b64 s[44:45], vcc, exec
.LBB592_229:
	s_or_b64 exec, exec, s[42:43]
.LBB592_230:
	v_cndmask_b32_e64 v17, 0, 1, s[40:41]
	v_cndmask_b32_e64 v16, 0, 1, s[38:39]
	;; [unrolled: 1-line block ×3, first 2 shown]
	v_lshlrev_b16_e32 v17, 8, v17
	v_cndmask_b32_e64 v25, 0, 1, s[12:13]
	v_cndmask_b32_e64 v20, 0, 1, s[44:45]
	v_or_b32_sdwa v16, v16, v17 dst_sel:WORD_1 dst_unused:UNUSED_PAD src0_sel:DWORD src1_sel:DWORD
	v_lshlrev_b16_e32 v17, 8, v34
	v_lshlrev_b16_e32 v20, 8, v20
	v_or_b32_e32 v17, v25, v17
	v_or_b32_e32 v20, 1, v20
	v_and_b32_e32 v17, 0xffff, v17
	v_cndmask_b32_e64 v35, 0, 1, s[10:11]
	v_or_b32_sdwa v16, v20, v16 dst_sel:DWORD dst_unused:UNUSED_PAD src0_sel:WORD_0 src1_sel:DWORD
	v_lshl_or_b32 v17, v35, 16, v17
	s_waitcnt lgkmcnt(0)
	s_barrier
	s_waitcnt lgkmcnt(0)
                                        ; implicit-def: $sgpr12_sgpr13
                                        ; implicit-def: $vgpr20
	s_and_saveexec_b64 s[10:11], s[2:3]
	s_xor_b64 s[10:11], exec, s[10:11]
	s_cbranch_execz .LBB592_241
; %bb.231:
	s_mov_b32 s42, 0x3020104
	s_and_b64 vcc, exec, s[4:5]
	s_mov_b64 s[12:13], 0
	s_cbranch_vccnz .LBB592_240
; %bb.232:
	v_add_u32_e32 v17, -8, v24
	ds_read_b64 v[20:21], v17
	v_lshl_add_u64 v[18:19], v[18:19], 3, s[28:29]
	s_mov_b64 s[12:13], -1
	s_waitcnt lgkmcnt(0)
	v_mul_lo_u32 v17, v21, s26
	v_mul_lo_u32 v22, v20, s27
	v_mad_u64_u32 v[20:21], s[4:5], v20, s26, 0
	v_add3_u32 v21, v21, v22, v17
	v_lshl_add_u64 v[20:21], v[20:21], 3, s[28:29]
	global_load_dwordx2 v[22:23], v[20:21], off
	global_load_dwordx2 v[32:33], v[18:19], off
	s_waitcnt vmcnt(0)
	v_cmp_eq_u64_e32 vcc, v[22:23], v[32:33]
	s_and_saveexec_b64 s[4:5], vcc
	s_cbranch_execz .LBB592_239
; %bb.233:
	s_add_u32 s12, s26, -1
	v_lshl_add_u64 v[18:19], v[18:19], 0, 8
	v_lshl_add_u64 v[20:21], v[20:21], 0, 8
	s_addc_u32 s13, s27, -1
	s_mov_b64 s[14:15], 0
	s_mov_b64 s[40:41], 0
                                        ; implicit-def: $sgpr38_sgpr39
	s_branch .LBB592_236
.LBB592_234:                            ;   in Loop: Header=BB592_236 Depth=1
	global_load_dwordx2 v[22:23], v[20:21], off
	global_load_dwordx2 v[32:33], v[18:19], off
	s_add_u32 s40, s40, 1
	s_addc_u32 s41, s41, 0
	s_andn2_b64 s[38:39], s[38:39], exec
	v_lshl_add_u64 v[18:19], v[18:19], 0, 8
	v_lshl_add_u64 v[20:21], v[20:21], 0, 8
	s_waitcnt vmcnt(0)
	v_cmp_ne_u64_e32 vcc, v[22:23], v[32:33]
	s_and_b64 s[44:45], vcc, exec
	s_or_b64 s[38:39], s[38:39], s[44:45]
.LBB592_235:                            ;   in Loop: Header=BB592_236 Depth=1
	s_and_b64 s[44:45], exec, s[38:39]
	s_or_b64 s[14:15], s[44:45], s[14:15]
	v_mov_b64_e32 v[22:23], s[40:41]
	s_andn2_b64 exec, exec, s[14:15]
	s_cbranch_execz .LBB592_238
.LBB592_236:                            ; =>This Inner Loop Header: Depth=1
	s_or_b64 s[38:39], s[38:39], exec
	s_cmp_eq_u64 s[12:13], s[40:41]
	s_cbranch_scc0 .LBB592_234
; %bb.237:                              ;   in Loop: Header=BB592_236 Depth=1
                                        ; implicit-def: $vgpr18_vgpr19
                                        ; implicit-def: $vgpr20_vgpr21
	s_mov_b64 s[40:41], s[26:27]
	s_branch .LBB592_235
.LBB592_238:
	s_or_b64 exec, exec, s[14:15]
	v_cmp_gt_i64_e32 vcc, s[26:27], v[22:23]
	s_orn2_b64 s[12:13], vcc, exec
.LBB592_239:
	s_or_b64 exec, exec, s[4:5]
.LBB592_240:
	v_perm_b32 v20, v16, v16, s42
	s_and_b64 s[12:13], s[12:13], exec
	s_or_b64 s[8:9], s[8:9], exec
                                        ; implicit-def: $vgpr16_vgpr17
.LBB592_241:
	s_or_b64 exec, exec, s[10:11]
	s_branch .LBB592_322
.LBB592_242:
	v_cmp_gt_u32_e32 vcc, s52, v29
	s_mov_b64 s[10:11], 0
	s_mov_b64 s[4:5], 0
	s_and_saveexec_b64 s[12:13], vcc
	s_cbranch_execz .LBB592_253
; %bb.243:
	s_andn2_b64 vcc, exec, s[6:7]
	s_mov_b64 s[14:15], 0
	s_cbranch_vccnz .LBB592_252
; %bb.244:
	v_mul_lo_u32 v18, v5, s26
	v_mul_lo_u32 v19, v4, s27
	s_waitcnt vmcnt(0) lgkmcnt(1)
	v_mad_u64_u32 v[16:17], s[4:5], v4, s26, 0
	v_add3_u32 v17, v17, v19, v18
	v_mul_lo_u32 v18, v15, s26
	v_mul_lo_u32 v19, v14, s27
	v_mad_u64_u32 v[20:21], s[4:5], v14, s26, 0
	v_add3_u32 v21, v21, v19, v18
	v_lshl_add_u64 v[18:19], v[16:17], 3, s[28:29]
	v_lshl_add_u64 v[16:17], v[20:21], 3, s[28:29]
	global_load_dwordx2 v[20:21], v[18:19], off
	global_load_dwordx2 v[22:23], v[16:17], off
	s_mov_b64 s[14:15], -1
	s_waitcnt vmcnt(0)
	v_cmp_eq_u64_e32 vcc, v[20:21], v[22:23]
	s_and_saveexec_b64 s[4:5], vcc
	s_cbranch_execz .LBB592_251
; %bb.245:
	s_add_u32 s14, s26, -1
	v_lshl_add_u64 v[16:17], v[16:17], 0, 8
	v_lshl_add_u64 v[18:19], v[18:19], 0, 8
	s_addc_u32 s15, s27, -1
	s_mov_b64 s[38:39], 0
	s_mov_b64 s[42:43], 0
                                        ; implicit-def: $sgpr40_sgpr41
	s_branch .LBB592_248
.LBB592_246:                            ;   in Loop: Header=BB592_248 Depth=1
	global_load_dwordx2 v[20:21], v[18:19], off
	global_load_dwordx2 v[22:23], v[16:17], off
	s_add_u32 s42, s42, 1
	s_addc_u32 s43, s43, 0
	s_andn2_b64 s[40:41], s[40:41], exec
	v_lshl_add_u64 v[16:17], v[16:17], 0, 8
	v_lshl_add_u64 v[18:19], v[18:19], 0, 8
	s_waitcnt vmcnt(0)
	v_cmp_ne_u64_e32 vcc, v[20:21], v[22:23]
	s_and_b64 s[44:45], vcc, exec
	s_or_b64 s[40:41], s[40:41], s[44:45]
.LBB592_247:                            ;   in Loop: Header=BB592_248 Depth=1
	s_and_b64 s[44:45], exec, s[40:41]
	s_or_b64 s[38:39], s[44:45], s[38:39]
	v_mov_b64_e32 v[20:21], s[42:43]
	s_andn2_b64 exec, exec, s[38:39]
	s_cbranch_execz .LBB592_250
.LBB592_248:                            ; =>This Inner Loop Header: Depth=1
	s_or_b64 s[40:41], s[40:41], exec
	s_cmp_eq_u64 s[14:15], s[42:43]
	s_cbranch_scc0 .LBB592_246
; %bb.249:                              ;   in Loop: Header=BB592_248 Depth=1
                                        ; implicit-def: $vgpr16_vgpr17
                                        ; implicit-def: $vgpr18_vgpr19
	s_mov_b64 s[42:43], s[26:27]
	s_branch .LBB592_247
.LBB592_250:
	s_or_b64 exec, exec, s[38:39]
	v_cmp_gt_i64_e32 vcc, s[26:27], v[20:21]
	s_orn2_b64 s[14:15], vcc, exec
.LBB592_251:
	s_or_b64 exec, exec, s[4:5]
.LBB592_252:
	s_and_b64 s[4:5], s[14:15], exec
.LBB592_253:
	s_or_b64 exec, exec, s[12:13]
	v_cmp_gt_u32_e32 vcc, s52, v31
	s_and_saveexec_b64 s[12:13], vcc
	s_cbranch_execz .LBB592_264
; %bb.254:
	s_andn2_b64 vcc, exec, s[6:7]
	s_mov_b64 s[14:15], 0
	s_cbranch_vccnz .LBB592_263
; %bb.255:
	v_mul_lo_u32 v18, v3, s26
	v_mul_lo_u32 v19, v2, s27
	s_waitcnt vmcnt(0) lgkmcnt(1)
	v_mad_u64_u32 v[16:17], s[10:11], v2, s26, 0
	v_add3_u32 v17, v17, v19, v18
	v_mul_lo_u32 v18, v5, s26
	v_mul_lo_u32 v19, v4, s27
	v_mad_u64_u32 v[20:21], s[10:11], v4, s26, 0
	v_add3_u32 v21, v21, v19, v18
	v_lshl_add_u64 v[18:19], v[16:17], 3, s[28:29]
	v_lshl_add_u64 v[16:17], v[20:21], 3, s[28:29]
	global_load_dwordx2 v[20:21], v[18:19], off
	global_load_dwordx2 v[22:23], v[16:17], off
	s_mov_b64 s[14:15], -1
	s_waitcnt vmcnt(0)
	v_cmp_eq_u64_e32 vcc, v[20:21], v[22:23]
	s_and_saveexec_b64 s[10:11], vcc
	s_cbranch_execz .LBB592_262
; %bb.256:
	s_add_u32 s14, s26, -1
	v_lshl_add_u64 v[16:17], v[16:17], 0, 8
	v_lshl_add_u64 v[18:19], v[18:19], 0, 8
	s_addc_u32 s15, s27, -1
	s_mov_b64 s[38:39], 0
	s_mov_b64 s[42:43], 0
                                        ; implicit-def: $sgpr40_sgpr41
	s_branch .LBB592_259
.LBB592_257:                            ;   in Loop: Header=BB592_259 Depth=1
	global_load_dwordx2 v[20:21], v[18:19], off
	global_load_dwordx2 v[22:23], v[16:17], off
	s_add_u32 s42, s42, 1
	s_addc_u32 s43, s43, 0
	s_andn2_b64 s[40:41], s[40:41], exec
	v_lshl_add_u64 v[16:17], v[16:17], 0, 8
	v_lshl_add_u64 v[18:19], v[18:19], 0, 8
	s_waitcnt vmcnt(0)
	v_cmp_ne_u64_e32 vcc, v[20:21], v[22:23]
	s_and_b64 s[44:45], vcc, exec
	s_or_b64 s[40:41], s[40:41], s[44:45]
.LBB592_258:                            ;   in Loop: Header=BB592_259 Depth=1
	s_and_b64 s[44:45], exec, s[40:41]
	s_or_b64 s[38:39], s[44:45], s[38:39]
	v_mov_b64_e32 v[20:21], s[42:43]
	s_andn2_b64 exec, exec, s[38:39]
	s_cbranch_execz .LBB592_261
.LBB592_259:                            ; =>This Inner Loop Header: Depth=1
	s_or_b64 s[40:41], s[40:41], exec
	s_cmp_eq_u64 s[14:15], s[42:43]
	s_cbranch_scc0 .LBB592_257
; %bb.260:                              ;   in Loop: Header=BB592_259 Depth=1
                                        ; implicit-def: $vgpr16_vgpr17
                                        ; implicit-def: $vgpr18_vgpr19
	s_mov_b64 s[42:43], s[26:27]
	s_branch .LBB592_258
.LBB592_261:
	s_or_b64 exec, exec, s[38:39]
	v_cmp_gt_i64_e32 vcc, s[26:27], v[20:21]
	s_orn2_b64 s[14:15], vcc, exec
.LBB592_262:
	s_or_b64 exec, exec, s[10:11]
.LBB592_263:
	s_and_b64 s[10:11], s[14:15], exec
.LBB592_264:
	s_or_b64 exec, exec, s[12:13]
	v_cmp_gt_u32_e32 vcc, s52, v28
	s_mov_b64 s[14:15], 0
	s_mov_b64 s[12:13], 0
	s_and_saveexec_b64 s[38:39], vcc
	s_cbranch_execz .LBB592_275
; %bb.265:
	s_andn2_b64 vcc, exec, s[6:7]
	s_mov_b64 s[40:41], 0
	s_cbranch_vccnz .LBB592_274
; %bb.266:
	v_mul_lo_u32 v18, v9, s26
	v_mul_lo_u32 v19, v8, s27
	s_waitcnt vmcnt(0) lgkmcnt(1)
	v_mad_u64_u32 v[16:17], s[12:13], v8, s26, 0
	v_add3_u32 v17, v17, v19, v18
	v_mul_lo_u32 v18, v3, s26
	v_mul_lo_u32 v19, v2, s27
	v_mad_u64_u32 v[20:21], s[12:13], v2, s26, 0
	v_add3_u32 v21, v21, v19, v18
	v_lshl_add_u64 v[18:19], v[16:17], 3, s[28:29]
	v_lshl_add_u64 v[16:17], v[20:21], 3, s[28:29]
	global_load_dwordx2 v[20:21], v[18:19], off
	global_load_dwordx2 v[22:23], v[16:17], off
	s_mov_b64 s[40:41], -1
	s_waitcnt vmcnt(0)
	v_cmp_eq_u64_e32 vcc, v[20:21], v[22:23]
	s_and_saveexec_b64 s[12:13], vcc
	s_cbranch_execz .LBB592_273
; %bb.267:
	s_add_u32 s40, s26, -1
	v_lshl_add_u64 v[16:17], v[16:17], 0, 8
	v_lshl_add_u64 v[18:19], v[18:19], 0, 8
	s_addc_u32 s41, s27, -1
	s_mov_b64 s[42:43], 0
	s_mov_b64 s[46:47], 0
                                        ; implicit-def: $sgpr44_sgpr45
	s_branch .LBB592_270
.LBB592_268:                            ;   in Loop: Header=BB592_270 Depth=1
	global_load_dwordx2 v[20:21], v[18:19], off
	global_load_dwordx2 v[22:23], v[16:17], off
	s_add_u32 s46, s46, 1
	s_addc_u32 s47, s47, 0
	s_andn2_b64 s[44:45], s[44:45], exec
	v_lshl_add_u64 v[16:17], v[16:17], 0, 8
	v_lshl_add_u64 v[18:19], v[18:19], 0, 8
	s_waitcnt vmcnt(0)
	v_cmp_ne_u64_e32 vcc, v[20:21], v[22:23]
	s_and_b64 s[48:49], vcc, exec
	s_or_b64 s[44:45], s[44:45], s[48:49]
.LBB592_269:                            ;   in Loop: Header=BB592_270 Depth=1
	s_and_b64 s[48:49], exec, s[44:45]
	s_or_b64 s[42:43], s[48:49], s[42:43]
	v_mov_b64_e32 v[20:21], s[46:47]
	s_andn2_b64 exec, exec, s[42:43]
	s_cbranch_execz .LBB592_272
.LBB592_270:                            ; =>This Inner Loop Header: Depth=1
	s_or_b64 s[44:45], s[44:45], exec
	s_cmp_eq_u64 s[40:41], s[46:47]
	s_cbranch_scc0 .LBB592_268
; %bb.271:                              ;   in Loop: Header=BB592_270 Depth=1
                                        ; implicit-def: $vgpr16_vgpr17
                                        ; implicit-def: $vgpr18_vgpr19
	s_mov_b64 s[46:47], s[26:27]
	s_branch .LBB592_269
.LBB592_272:
	s_or_b64 exec, exec, s[42:43]
	v_cmp_gt_i64_e32 vcc, s[26:27], v[20:21]
	s_orn2_b64 s[40:41], vcc, exec
.LBB592_273:
	s_or_b64 exec, exec, s[12:13]
.LBB592_274:
	s_and_b64 s[12:13], s[40:41], exec
.LBB592_275:
	s_or_b64 exec, exec, s[38:39]
	v_cmp_gt_u32_e32 vcc, s52, v30
	s_and_saveexec_b64 s[38:39], vcc
	s_cbranch_execz .LBB592_286
; %bb.276:
	s_andn2_b64 vcc, exec, s[6:7]
	s_mov_b64 s[40:41], 0
	s_cbranch_vccnz .LBB592_285
; %bb.277:
	v_mul_lo_u32 v18, v7, s26
	v_mul_lo_u32 v19, v6, s27
	s_waitcnt vmcnt(0) lgkmcnt(1)
	v_mad_u64_u32 v[16:17], s[14:15], v6, s26, 0
	v_add3_u32 v17, v17, v19, v18
	v_mul_lo_u32 v18, v9, s26
	v_mul_lo_u32 v19, v8, s27
	v_mad_u64_u32 v[20:21], s[14:15], v8, s26, 0
	v_add3_u32 v21, v21, v19, v18
	v_lshl_add_u64 v[18:19], v[16:17], 3, s[28:29]
	v_lshl_add_u64 v[16:17], v[20:21], 3, s[28:29]
	global_load_dwordx2 v[20:21], v[18:19], off
	global_load_dwordx2 v[22:23], v[16:17], off
	s_mov_b64 s[40:41], -1
	s_waitcnt vmcnt(0)
	v_cmp_eq_u64_e32 vcc, v[20:21], v[22:23]
	s_and_saveexec_b64 s[14:15], vcc
	s_cbranch_execz .LBB592_284
; %bb.278:
	s_add_u32 s40, s26, -1
	v_lshl_add_u64 v[16:17], v[16:17], 0, 8
	v_lshl_add_u64 v[18:19], v[18:19], 0, 8
	s_addc_u32 s41, s27, -1
	s_mov_b64 s[42:43], 0
	s_mov_b64 s[46:47], 0
                                        ; implicit-def: $sgpr44_sgpr45
	s_branch .LBB592_281
.LBB592_279:                            ;   in Loop: Header=BB592_281 Depth=1
	global_load_dwordx2 v[20:21], v[18:19], off
	global_load_dwordx2 v[22:23], v[16:17], off
	s_add_u32 s46, s46, 1
	s_addc_u32 s47, s47, 0
	s_andn2_b64 s[44:45], s[44:45], exec
	v_lshl_add_u64 v[16:17], v[16:17], 0, 8
	v_lshl_add_u64 v[18:19], v[18:19], 0, 8
	s_waitcnt vmcnt(0)
	v_cmp_ne_u64_e32 vcc, v[20:21], v[22:23]
	s_and_b64 s[48:49], vcc, exec
	s_or_b64 s[44:45], s[44:45], s[48:49]
.LBB592_280:                            ;   in Loop: Header=BB592_281 Depth=1
	s_and_b64 s[48:49], exec, s[44:45]
	s_or_b64 s[42:43], s[48:49], s[42:43]
	v_mov_b64_e32 v[20:21], s[46:47]
	s_andn2_b64 exec, exec, s[42:43]
	s_cbranch_execz .LBB592_283
.LBB592_281:                            ; =>This Inner Loop Header: Depth=1
	s_or_b64 s[44:45], s[44:45], exec
	s_cmp_eq_u64 s[40:41], s[46:47]
	s_cbranch_scc0 .LBB592_279
; %bb.282:                              ;   in Loop: Header=BB592_281 Depth=1
                                        ; implicit-def: $vgpr16_vgpr17
                                        ; implicit-def: $vgpr18_vgpr19
	s_mov_b64 s[46:47], s[26:27]
	s_branch .LBB592_280
.LBB592_283:
	s_or_b64 exec, exec, s[42:43]
	v_cmp_gt_i64_e32 vcc, s[26:27], v[20:21]
	s_orn2_b64 s[40:41], vcc, exec
.LBB592_284:
	s_or_b64 exec, exec, s[14:15]
.LBB592_285:
	s_and_b64 s[14:15], s[40:41], exec
.LBB592_286:
	s_or_b64 exec, exec, s[38:39]
	v_cmp_gt_u32_e32 vcc, s52, v26
	s_mov_b64 s[38:39], 0
	s_mov_b64 s[40:41], 0
	s_and_saveexec_b64 s[42:43], vcc
	s_cbranch_execz .LBB592_297
; %bb.287:
	s_andn2_b64 vcc, exec, s[6:7]
	s_mov_b64 s[44:45], 0
	s_cbranch_vccnz .LBB592_296
; %bb.288:
	v_mul_lo_u32 v18, v13, s26
	v_mul_lo_u32 v19, v12, s27
	s_waitcnt vmcnt(0) lgkmcnt(1)
	v_mad_u64_u32 v[16:17], s[40:41], v12, s26, 0
	v_add3_u32 v17, v17, v19, v18
	v_mul_lo_u32 v18, v7, s26
	v_mul_lo_u32 v19, v6, s27
	v_mad_u64_u32 v[20:21], s[40:41], v6, s26, 0
	v_add3_u32 v21, v21, v19, v18
	v_lshl_add_u64 v[18:19], v[16:17], 3, s[28:29]
	v_lshl_add_u64 v[16:17], v[20:21], 3, s[28:29]
	global_load_dwordx2 v[20:21], v[18:19], off
	global_load_dwordx2 v[22:23], v[16:17], off
	s_mov_b64 s[44:45], -1
	s_waitcnt vmcnt(0)
	v_cmp_eq_u64_e32 vcc, v[20:21], v[22:23]
	s_and_saveexec_b64 s[40:41], vcc
	s_cbranch_execz .LBB592_295
; %bb.289:
	s_add_u32 s44, s26, -1
	v_lshl_add_u64 v[16:17], v[16:17], 0, 8
	v_lshl_add_u64 v[18:19], v[18:19], 0, 8
	s_addc_u32 s45, s27, -1
	s_mov_b64 s[46:47], 0
	s_mov_b64 s[50:51], 0
                                        ; implicit-def: $sgpr48_sgpr49
	s_branch .LBB592_292
.LBB592_290:                            ;   in Loop: Header=BB592_292 Depth=1
	global_load_dwordx2 v[20:21], v[18:19], off
	global_load_dwordx2 v[22:23], v[16:17], off
	s_add_u32 s50, s50, 1
	s_addc_u32 s51, s51, 0
	s_andn2_b64 s[48:49], s[48:49], exec
	v_lshl_add_u64 v[16:17], v[16:17], 0, 8
	v_lshl_add_u64 v[18:19], v[18:19], 0, 8
	s_waitcnt vmcnt(0)
	v_cmp_ne_u64_e32 vcc, v[20:21], v[22:23]
	s_and_b64 s[54:55], vcc, exec
	s_or_b64 s[48:49], s[48:49], s[54:55]
.LBB592_291:                            ;   in Loop: Header=BB592_292 Depth=1
	s_and_b64 s[54:55], exec, s[48:49]
	s_or_b64 s[46:47], s[54:55], s[46:47]
	v_mov_b64_e32 v[20:21], s[50:51]
	s_andn2_b64 exec, exec, s[46:47]
	s_cbranch_execz .LBB592_294
.LBB592_292:                            ; =>This Inner Loop Header: Depth=1
	s_or_b64 s[48:49], s[48:49], exec
	s_cmp_eq_u64 s[44:45], s[50:51]
	s_cbranch_scc0 .LBB592_290
; %bb.293:                              ;   in Loop: Header=BB592_292 Depth=1
                                        ; implicit-def: $vgpr16_vgpr17
                                        ; implicit-def: $vgpr18_vgpr19
	s_mov_b64 s[50:51], s[26:27]
	s_branch .LBB592_291
.LBB592_294:
	s_or_b64 exec, exec, s[46:47]
	v_cmp_gt_i64_e32 vcc, s[26:27], v[20:21]
	s_orn2_b64 s[44:45], vcc, exec
.LBB592_295:
	s_or_b64 exec, exec, s[40:41]
.LBB592_296:
	s_and_b64 s[40:41], s[44:45], exec
.LBB592_297:
	s_or_b64 exec, exec, s[42:43]
	v_cmp_gt_u32_e32 vcc, s52, v27
	s_and_saveexec_b64 s[42:43], vcc
	s_cbranch_execz .LBB592_308
; %bb.298:
	s_andn2_b64 vcc, exec, s[6:7]
	s_mov_b64 s[44:45], 0
	s_cbranch_vccnz .LBB592_307
; %bb.299:
	v_mul_lo_u32 v18, v11, s26
	v_mul_lo_u32 v19, v10, s27
	s_waitcnt vmcnt(0) lgkmcnt(1)
	v_mad_u64_u32 v[16:17], s[38:39], v10, s26, 0
	v_add3_u32 v17, v17, v19, v18
	v_mul_lo_u32 v18, v13, s26
	v_mul_lo_u32 v19, v12, s27
	v_mad_u64_u32 v[20:21], s[38:39], v12, s26, 0
	v_add3_u32 v21, v21, v19, v18
	v_lshl_add_u64 v[18:19], v[16:17], 3, s[28:29]
	v_lshl_add_u64 v[16:17], v[20:21], 3, s[28:29]
	global_load_dwordx2 v[20:21], v[18:19], off
	global_load_dwordx2 v[22:23], v[16:17], off
	s_mov_b64 s[44:45], -1
	s_waitcnt vmcnt(0)
	v_cmp_eq_u64_e32 vcc, v[20:21], v[22:23]
	s_and_saveexec_b64 s[38:39], vcc
	s_cbranch_execz .LBB592_306
; %bb.300:
	s_add_u32 s44, s26, -1
	v_lshl_add_u64 v[16:17], v[16:17], 0, 8
	v_lshl_add_u64 v[18:19], v[18:19], 0, 8
	s_addc_u32 s45, s27, -1
	s_mov_b64 s[46:47], 0
	s_mov_b64 s[50:51], 0
                                        ; implicit-def: $sgpr48_sgpr49
	s_branch .LBB592_303
.LBB592_301:                            ;   in Loop: Header=BB592_303 Depth=1
	global_load_dwordx2 v[20:21], v[18:19], off
	global_load_dwordx2 v[22:23], v[16:17], off
	s_add_u32 s50, s50, 1
	s_addc_u32 s51, s51, 0
	s_andn2_b64 s[48:49], s[48:49], exec
	v_lshl_add_u64 v[16:17], v[16:17], 0, 8
	v_lshl_add_u64 v[18:19], v[18:19], 0, 8
	s_waitcnt vmcnt(0)
	v_cmp_ne_u64_e32 vcc, v[20:21], v[22:23]
	s_and_b64 s[54:55], vcc, exec
	s_or_b64 s[48:49], s[48:49], s[54:55]
.LBB592_302:                            ;   in Loop: Header=BB592_303 Depth=1
	s_and_b64 s[54:55], exec, s[48:49]
	s_or_b64 s[46:47], s[54:55], s[46:47]
	v_mov_b64_e32 v[20:21], s[50:51]
	s_andn2_b64 exec, exec, s[46:47]
	s_cbranch_execz .LBB592_305
.LBB592_303:                            ; =>This Inner Loop Header: Depth=1
	s_or_b64 s[48:49], s[48:49], exec
	s_cmp_eq_u64 s[44:45], s[50:51]
	s_cbranch_scc0 .LBB592_301
; %bb.304:                              ;   in Loop: Header=BB592_303 Depth=1
                                        ; implicit-def: $vgpr16_vgpr17
                                        ; implicit-def: $vgpr18_vgpr19
	s_mov_b64 s[50:51], s[26:27]
	s_branch .LBB592_302
.LBB592_305:
	s_or_b64 exec, exec, s[46:47]
	v_cmp_gt_i64_e32 vcc, s[26:27], v[20:21]
	s_orn2_b64 s[44:45], vcc, exec
.LBB592_306:
	s_or_b64 exec, exec, s[38:39]
.LBB592_307:
	s_and_b64 s[38:39], s[44:45], exec
.LBB592_308:
	s_or_b64 exec, exec, s[42:43]
	s_waitcnt vmcnt(0) lgkmcnt(1)
	v_cndmask_b32_e64 v17, 0, 1, s[14:15]
	v_cndmask_b32_e64 v16, 0, 1, s[40:41]
	;; [unrolled: 1-line block ×3, first 2 shown]
	v_lshlrev_b16_e32 v17, 8, v17
	v_cndmask_b32_e64 v25, 0, 1, s[12:13]
	v_cndmask_b32_e64 v18, 0, 1, s[38:39]
	v_or_b32_sdwa v16, v16, v17 dst_sel:WORD_1 dst_unused:UNUSED_PAD src0_sel:DWORD src1_sel:DWORD
	v_lshlrev_b16_e32 v17, 8, v34
	v_lshlrev_b16_e32 v18, 8, v18
	v_or_b32_e32 v17, v25, v17
	v_or_b32_e32 v18, 1, v18
	v_and_b32_e32 v17, 0xffff, v17
	v_cndmask_b32_e64 v35, 0, 1, s[4:5]
	v_or_b32_sdwa v16, v18, v16 dst_sel:DWORD dst_unused:UNUSED_PAD src0_sel:WORD_0 src1_sel:DWORD
	v_lshl_or_b32 v17, v35, 16, v17
	s_waitcnt lgkmcnt(0)
	s_barrier
	s_waitcnt lgkmcnt(0)
                                        ; implicit-def: $sgpr12_sgpr13
                                        ; implicit-def: $vgpr20
	s_and_saveexec_b64 s[4:5], s[2:3]
	s_cbranch_execz .LBB592_321
; %bb.309:
	v_cmp_gt_u32_e32 vcc, s52, v1
	s_mov_b32 s38, 0x3020104
	s_mov_b64 s[10:11], 0
	s_and_saveexec_b64 s[2:3], vcc
	s_cbranch_execz .LBB592_320
; %bb.310:
	s_andn2_b64 vcc, exec, s[6:7]
	s_cbranch_vccnz .LBB592_319
; %bb.311:
	v_add_u32_e32 v17, -8, v24
	ds_read_b64 v[18:19], v17
	v_mul_lo_u32 v17, v11, s26
	v_mad_u64_u32 v[22:23], s[6:7], v10, s26, 0
	s_mov_b64 s[10:11], -1
	s_waitcnt lgkmcnt(0)
	v_mul_lo_u32 v20, v19, s26
	v_mul_lo_u32 v21, v18, s27
	v_mad_u64_u32 v[18:19], s[6:7], v18, s26, 0
	v_add3_u32 v19, v19, v21, v20
	v_mul_lo_u32 v20, v10, s27
	v_add3_u32 v23, v23, v20, v17
	v_lshl_add_u64 v[20:21], v[18:19], 3, s[28:29]
	v_lshl_add_u64 v[18:19], v[22:23], 3, s[28:29]
	global_load_dwordx2 v[22:23], v[20:21], off
	global_load_dwordx2 v[32:33], v[18:19], off
	s_waitcnt vmcnt(0)
	v_cmp_eq_u64_e32 vcc, v[22:23], v[32:33]
	s_and_saveexec_b64 s[6:7], vcc
	s_cbranch_execz .LBB592_318
; %bb.312:
	s_add_u32 s10, s26, -1
	v_lshl_add_u64 v[18:19], v[18:19], 0, 8
	v_lshl_add_u64 v[20:21], v[20:21], 0, 8
	s_addc_u32 s11, s27, -1
	s_mov_b64 s[12:13], 0
	s_mov_b64 s[28:29], 0
                                        ; implicit-def: $sgpr14_sgpr15
	s_branch .LBB592_315
.LBB592_313:                            ;   in Loop: Header=BB592_315 Depth=1
	global_load_dwordx2 v[22:23], v[20:21], off
	global_load_dwordx2 v[32:33], v[18:19], off
	s_add_u32 s28, s28, 1
	s_addc_u32 s29, s29, 0
	s_andn2_b64 s[14:15], s[14:15], exec
	v_lshl_add_u64 v[18:19], v[18:19], 0, 8
	v_lshl_add_u64 v[20:21], v[20:21], 0, 8
	s_waitcnt vmcnt(0)
	v_cmp_ne_u64_e32 vcc, v[22:23], v[32:33]
	s_and_b64 s[40:41], vcc, exec
	s_or_b64 s[14:15], s[14:15], s[40:41]
.LBB592_314:                            ;   in Loop: Header=BB592_315 Depth=1
	s_and_b64 s[40:41], exec, s[14:15]
	s_or_b64 s[12:13], s[40:41], s[12:13]
	v_mov_b64_e32 v[22:23], s[28:29]
	s_andn2_b64 exec, exec, s[12:13]
	s_cbranch_execz .LBB592_317
.LBB592_315:                            ; =>This Inner Loop Header: Depth=1
	s_or_b64 s[14:15], s[14:15], exec
	s_cmp_eq_u64 s[10:11], s[28:29]
	s_cbranch_scc0 .LBB592_313
; %bb.316:                              ;   in Loop: Header=BB592_315 Depth=1
                                        ; implicit-def: $vgpr18_vgpr19
                                        ; implicit-def: $vgpr20_vgpr21
	s_mov_b64 s[28:29], s[26:27]
	s_branch .LBB592_314
.LBB592_317:
	s_or_b64 exec, exec, s[12:13]
	v_cmp_gt_i64_e32 vcc, s[26:27], v[22:23]
	s_orn2_b64 s[10:11], vcc, exec
.LBB592_318:
	s_or_b64 exec, exec, s[6:7]
.LBB592_319:
	s_and_b64 s[10:11], s[10:11], exec
.LBB592_320:
	s_or_b64 exec, exec, s[2:3]
	v_perm_b32 v20, v16, v16, s38
	s_and_b64 s[12:13], s[10:11], exec
	s_or_b64 s[8:9], s[8:9], exec
                                        ; implicit-def: $vgpr16_vgpr17
.LBB592_321:
	s_or_b64 exec, exec, s[4:5]
.LBB592_322:
	s_and_saveexec_b64 s[2:3], s[8:9]
	s_cbranch_execz .LBB592_324
; %bb.323:
	s_waitcnt vmcnt(0) lgkmcnt(0)
	v_lshlrev_b16_e32 v17, 8, v34
	v_and_b32_e32 v18, 0xff, v35
	v_or_b32_sdwa v17, v25, v17 dst_sel:DWORD dst_unused:UNUSED_PAD src0_sel:BYTE_0 src1_sel:DWORD
	v_lshlrev_b32_e32 v18, 16, v18
	s_movk_i32 s4, 0xff
	v_or_b32_sdwa v17, v17, v18 dst_sel:DWORD dst_unused:UNUSED_PAD src0_sel:WORD_0 src1_sel:DWORD
	v_lshrrev_b32_e32 v18, 24, v20
	v_lshlrev_b16_e32 v18, 8, v18
	v_and_b32_sdwa v19, v20, s4 dst_sel:DWORD dst_unused:UNUSED_PAD src0_sel:WORD_1 src1_sel:DWORD
	v_or_b32_sdwa v18, v19, v18 dst_sel:WORD_1 dst_unused:UNUSED_PAD src0_sel:DWORD src1_sel:DWORD
	v_mov_b32_e32 v19, 8
	v_cndmask_b32_e64 v16, 0, 1, s[12:13]
	v_lshrrev_b32_sdwa v19, v19, v20 dst_sel:BYTE_1 dst_unused:UNUSED_PAD src0_sel:DWORD src1_sel:DWORD
	s_nop 0
	v_or_b32_e32 v16, v16, v19
	v_or_b32_sdwa v16, v16, v18 dst_sel:DWORD dst_unused:UNUSED_PAD src0_sel:WORD_0 src1_sel:DWORD
.LBB592_324:
	s_or_b64 exec, exec, s[2:3]
	s_andn2_b64 vcc, exec, s[0:1]
	s_cbranch_vccnz .LBB592_326
; %bb.325:
	s_waitcnt vmcnt(0) lgkmcnt(0)
	v_and_b32_e32 v18, 0xffff0000, v16
	v_cmp_gt_u32_e32 vcc, s52, v1
	s_mov_b32 s0, 0x40c0100
	s_nop 0
	v_cndmask_b32_e32 v1, v18, v16, vcc
	v_and_b32_e32 v1, 0xffff00ff, v1
	v_cmp_gt_u32_e32 vcc, s52, v27
	s_nop 1
	v_cndmask_b32_e32 v1, v1, v16, vcc
	v_lshrrev_b32_e32 v18, 24, v1
	v_perm_b32 v1, v18, v1, s0
	v_cmp_gt_u32_e32 vcc, s52, v26
	v_and_b32_e32 v18, 0xffffff00, v17
	s_nop 0
	v_cndmask_b32_e32 v1, v1, v16, vcc
	v_and_b32_e32 v1, 0xffffff, v1
	v_cmp_gt_u32_e32 vcc, s52, v30
	s_nop 1
	v_cndmask_b32_e32 v1, v1, v16, vcc
	v_cmp_gt_u32_e32 vcc, s52, v28
	s_nop 1
	v_cndmask_b32_e32 v18, v18, v17, vcc
	v_and_b32_e32 v18, 0xffff00ff, v18
	v_cndmask_b32_e32 v1, v1, v16, vcc
	v_cmp_gt_u32_e32 vcc, s52, v31
	s_nop 1
	v_cndmask_b32_e32 v18, v18, v17, vcc
	v_lshrrev_b32_e32 v19, 24, v18
	v_cndmask_b32_e32 v1, v1, v16, vcc
	v_perm_b32 v18, v19, v18, s0
	v_cmp_gt_u32_e32 vcc, s52, v29
	s_mov_b32 s0, 0x3020104
	s_nop 0
	v_cndmask_b32_e32 v1, v1, v16, vcc
	v_cndmask_b32_e32 v16, v18, v17, vcc
	v_mov_b32_e32 v17, 8
	v_lshrrev_b32_sdwa v17, v17, v16 dst_sel:BYTE_1 dst_unused:UNUSED_PAD src0_sel:DWORD src1_sel:DWORD
	s_nop 0
	v_or_b32_sdwa v17, v16, v17 dst_sel:DWORD dst_unused:UNUSED_PAD src0_sel:BYTE_0 src1_sel:DWORD
	v_and_b32_e32 v17, 0xffff, v17
	v_bfe_u32 v16, v16, 16, 8
	v_lshl_or_b32 v17, v16, 16, v17
	v_perm_b32 v16, v1, v1, s0
.LBB592_326:
	s_waitcnt vmcnt(0) lgkmcnt(0)
	v_and_b32_e32 v1, 0xff, v16
	v_bfe_u32 v29, v16, 8, 8
	v_bfe_u32 v31, v16, 16, 8
	v_alignbit_b32 v18, v17, v16, 24
	v_and_b32_e32 v33, 0xff, v18
	v_and_b32_e32 v35, 0xff, v17
	v_add3_u32 v19, v29, v1, v31
	v_bfe_u32 v36, v17, 8, 8
	v_bfe_u32 v18, v17, 16, 8
	v_add3_u32 v19, v19, v33, v35
	v_add3_u32 v39, v19, v36, v18
	v_mbcnt_lo_u32_b32 v18, -1, 0
	v_mbcnt_hi_u32_b32 v37, -1, v18
	v_and_b32_e32 v18, 15, v37
	v_cmp_eq_u32_e64 s[14:15], 0, v18
	v_cmp_lt_u32_e64 s[12:13], 1, v18
	v_cmp_lt_u32_e64 s[10:11], 3, v18
	;; [unrolled: 1-line block ×3, first 2 shown]
	v_and_b32_e32 v18, 16, v37
	v_cmp_eq_u32_e64 s[6:7], 0, v18
	v_or_b32_e32 v18, 63, v0
	v_cmp_lt_u32_e64 s[2:3], 31, v37
	v_lshrrev_b32_e32 v38, 6, v0
	v_cmp_eq_u32_e64 s[4:5], v18, v0
	s_and_b64 vcc, exec, s[16:17]
	s_barrier
	s_cbranch_vccz .LBB592_353
; %bb.327:
	v_mov_b32_dpp v18, v39 row_shr:1 row_mask:0xf bank_mask:0xf
	v_cndmask_b32_e64 v18, v18, 0, s[14:15]
	v_add_u32_e32 v18, v18, v39
	s_nop 1
	v_mov_b32_dpp v19, v18 row_shr:2 row_mask:0xf bank_mask:0xf
	v_cndmask_b32_e64 v19, 0, v19, s[12:13]
	v_add_u32_e32 v18, v18, v19
	s_nop 1
	v_mov_b32_dpp v19, v18 row_shr:4 row_mask:0xf bank_mask:0xf
	v_cndmask_b32_e64 v19, 0, v19, s[10:11]
	v_add_u32_e32 v18, v18, v19
	s_nop 1
	v_mov_b32_dpp v19, v18 row_shr:8 row_mask:0xf bank_mask:0xf
	v_cndmask_b32_e64 v19, 0, v19, s[8:9]
	v_add_u32_e32 v18, v18, v19
	s_nop 1
	v_mov_b32_dpp v19, v18 row_bcast:15 row_mask:0xf bank_mask:0xf
	v_cndmask_b32_e64 v19, v19, 0, s[6:7]
	v_add_u32_e32 v18, v18, v19
	s_nop 1
	v_mov_b32_dpp v19, v18 row_bcast:31 row_mask:0xf bank_mask:0xf
	v_cndmask_b32_e64 v19, 0, v19, s[2:3]
	v_add_u32_e32 v18, v18, v19
	s_and_saveexec_b64 s[0:1], s[4:5]
	s_cbranch_execz .LBB592_329
; %bb.328:
	v_lshlrev_b32_e32 v19, 2, v38
	ds_write_b32 v19, v18
.LBB592_329:
	s_or_b64 exec, exec, s[0:1]
	v_cmp_gt_u32_e32 vcc, 8, v0
	s_waitcnt lgkmcnt(0)
	s_barrier
	s_and_saveexec_b64 s[0:1], vcc
	s_cbranch_execz .LBB592_331
; %bb.330:
	v_lshlrev_b32_e32 v19, 2, v0
	ds_read_b32 v20, v19
	v_and_b32_e32 v21, 7, v37
	v_cmp_ne_u32_e32 vcc, 0, v21
	s_waitcnt lgkmcnt(0)
	v_mov_b32_dpp v22, v20 row_shr:1 row_mask:0xf bank_mask:0xf
	v_cndmask_b32_e32 v22, 0, v22, vcc
	v_add_u32_e32 v20, v22, v20
	v_cmp_lt_u32_e32 vcc, 1, v21
	s_nop 0
	v_mov_b32_dpp v22, v20 row_shr:2 row_mask:0xf bank_mask:0xf
	v_cndmask_b32_e32 v22, 0, v22, vcc
	v_add_u32_e32 v20, v20, v22
	v_cmp_lt_u32_e32 vcc, 3, v21
	s_nop 0
	v_mov_b32_dpp v22, v20 row_shr:4 row_mask:0xf bank_mask:0xf
	v_cndmask_b32_e32 v21, 0, v22, vcc
	v_add_u32_e32 v20, v20, v21
	ds_write_b32 v19, v20
.LBB592_331:
	s_or_b64 exec, exec, s[0:1]
	v_cmp_gt_u32_e32 vcc, 64, v0
	v_cmp_lt_u32_e64 s[0:1], 63, v0
	s_waitcnt lgkmcnt(0)
	s_barrier
	s_waitcnt lgkmcnt(0)
                                        ; implicit-def: $vgpr28
	s_and_saveexec_b64 s[16:17], s[0:1]
	s_cbranch_execz .LBB592_333
; %bb.332:
	v_lshl_add_u32 v19, v38, 2, -4
	ds_read_b32 v28, v19
	s_waitcnt lgkmcnt(0)
	v_add_u32_e32 v18, v28, v18
.LBB592_333:
	s_or_b64 exec, exec, s[16:17]
	v_add_u32_e32 v19, -1, v37
	v_and_b32_e32 v20, 64, v37
	v_cmp_lt_i32_e64 s[0:1], v19, v20
	v_cmp_eq_u32_e64 s[16:17], 0, v37
	s_nop 0
	v_cndmask_b32_e64 v19, v19, v37, s[0:1]
	v_lshlrev_b32_e32 v19, 2, v19
	ds_bpermute_b32 v30, v19, v18
	s_and_saveexec_b64 s[0:1], vcc
	s_cbranch_execz .LBB592_352
; %bb.334:
	v_mov_b32_e32 v25, 0
	ds_read_b32 v18, v25 offset:28
	s_and_saveexec_b64 s[26:27], s[16:17]
	s_cbranch_execz .LBB592_336
; %bb.335:
	s_add_i32 s28, s33, 64
	s_mov_b32 s29, 0
	s_lshl_b64 s[28:29], s[28:29], 3
	s_add_u32 s28, s30, s28
	v_mov_b32_e32 v19, 1
	s_addc_u32 s29, s31, s29
	s_waitcnt lgkmcnt(0)
	global_store_dwordx2 v25, v[18:19], s[28:29] sc1
.LBB592_336:
	s_or_b64 exec, exec, s[26:27]
	v_xad_u32 v20, v37, -1, s33
	v_add_u32_e32 v24, 64, v20
	v_lshl_add_u64 v[26:27], v[24:25], 3, s[30:31]
	global_load_dwordx2 v[22:23], v[26:27], off sc1
	s_waitcnt vmcnt(0)
	v_cmp_eq_u16_sdwa s[28:29], v23, v25 src0_sel:BYTE_0 src1_sel:DWORD
	s_and_saveexec_b64 s[26:27], s[28:29]
	s_cbranch_execz .LBB592_340
; %bb.337:
	s_mov_b64 s[28:29], 0
	v_mov_b32_e32 v19, 0
.LBB592_338:                            ; =>This Inner Loop Header: Depth=1
	global_load_dwordx2 v[22:23], v[26:27], off sc1
	s_waitcnt vmcnt(0)
	v_cmp_ne_u16_sdwa s[38:39], v23, v19 src0_sel:BYTE_0 src1_sel:DWORD
	s_or_b64 s[28:29], s[38:39], s[28:29]
	s_andn2_b64 exec, exec, s[28:29]
	s_cbranch_execnz .LBB592_338
; %bb.339:
	s_or_b64 exec, exec, s[28:29]
.LBB592_340:
	s_or_b64 exec, exec, s[26:27]
	v_and_b32_e32 v32, 63, v37
	v_mov_b32_e32 v19, 2
	v_cmp_ne_u32_e32 vcc, 63, v32
	v_cmp_eq_u16_sdwa s[26:27], v23, v19 src0_sel:BYTE_0 src1_sel:DWORD
	v_lshlrev_b64 v[24:25], v37, -1
	v_addc_co_u32_e32 v27, vcc, 0, v37, vcc
	v_and_b32_e32 v21, s27, v25
	v_lshlrev_b32_e32 v34, 2, v27
	v_or_b32_e32 v21, 0x80000000, v21
	ds_bpermute_b32 v27, v34, v22
	v_and_b32_e32 v26, s26, v24
	v_ffbl_b32_e32 v21, v21
	v_add_u32_e32 v21, 32, v21
	v_ffbl_b32_e32 v26, v26
	v_min_u32_e32 v21, v26, v21
	v_cmp_lt_u32_e32 vcc, v32, v21
	v_add_u32_e32 v41, 2, v32
	v_add_u32_e32 v43, 4, v32
	s_waitcnt lgkmcnt(0)
	v_cndmask_b32_e32 v26, 0, v27, vcc
	v_cmp_gt_u32_e32 vcc, 62, v32
	v_add_u32_e32 v22, v26, v22
	v_add_u32_e32 v45, 8, v32
	v_cndmask_b32_e64 v26, 0, 1, vcc
	v_lshlrev_b32_e32 v26, 1, v26
	v_add_lshl_u32 v40, v26, v37, 2
	ds_bpermute_b32 v26, v40, v22
	v_cmp_le_u32_e32 vcc, v41, v21
	v_add_u32_e32 v48, 16, v32
	v_add_u32_e32 v50, 32, v32
	s_waitcnt lgkmcnt(0)
	v_cndmask_b32_e32 v26, 0, v26, vcc
	v_cmp_gt_u32_e32 vcc, 60, v32
	v_add_u32_e32 v22, v22, v26
	s_nop 0
	v_cndmask_b32_e64 v26, 0, 1, vcc
	v_lshlrev_b32_e32 v26, 2, v26
	v_add_lshl_u32 v42, v26, v37, 2
	ds_bpermute_b32 v26, v42, v22
	v_cmp_le_u32_e32 vcc, v43, v21
	s_waitcnt lgkmcnt(0)
	s_nop 0
	v_cndmask_b32_e32 v26, 0, v26, vcc
	v_cmp_gt_u32_e32 vcc, 56, v32
	v_add_u32_e32 v22, v22, v26
	s_nop 0
	v_cndmask_b32_e64 v26, 0, 1, vcc
	v_lshlrev_b32_e32 v26, 3, v26
	v_add_lshl_u32 v44, v26, v37, 2
	ds_bpermute_b32 v26, v44, v22
	v_cmp_le_u32_e32 vcc, v45, v21
	s_waitcnt lgkmcnt(0)
	s_nop 0
	;; [unrolled: 11-line block ×4, first 2 shown]
	v_cndmask_b32_e32 v21, 0, v26, vcc
	v_add_u32_e32 v22, v22, v21
	v_mov_b32_e32 v21, 0
	s_branch .LBB592_342
.LBB592_341:                            ;   in Loop: Header=BB592_342 Depth=1
	s_or_b64 exec, exec, s[26:27]
	v_cmp_eq_u16_sdwa s[26:27], v23, v19 src0_sel:BYTE_0 src1_sel:DWORD
	ds_bpermute_b32 v51, v34, v22
	v_subrev_u32_e32 v20, 64, v20
	v_and_b32_e32 v26, s27, v25
	v_or_b32_e32 v26, 0x80000000, v26
	v_and_b32_e32 v27, s26, v24
	v_ffbl_b32_e32 v26, v26
	v_add_u32_e32 v26, 32, v26
	v_ffbl_b32_e32 v27, v27
	v_min_u32_e32 v26, v27, v26
	v_cmp_lt_u32_e32 vcc, v32, v26
	s_waitcnt lgkmcnt(0)
	s_nop 0
	v_cndmask_b32_e32 v27, 0, v51, vcc
	v_add_u32_e32 v22, v27, v22
	ds_bpermute_b32 v27, v40, v22
	v_cmp_le_u32_e32 vcc, v41, v26
	s_waitcnt lgkmcnt(0)
	s_nop 0
	v_cndmask_b32_e32 v27, 0, v27, vcc
	v_add_u32_e32 v22, v22, v27
	ds_bpermute_b32 v27, v42, v22
	v_cmp_le_u32_e32 vcc, v43, v26
	;; [unrolled: 6-line block ×5, first 2 shown]
	s_waitcnt lgkmcnt(0)
	s_nop 0
	v_cndmask_b32_e32 v26, 0, v27, vcc
	v_add3_u32 v22, v26, v46, v22
.LBB592_342:                            ; =>This Loop Header: Depth=1
                                        ;     Child Loop BB592_345 Depth 2
	v_cmp_ne_u16_sdwa s[26:27], v23, v19 src0_sel:BYTE_0 src1_sel:DWORD
	v_mov_b32_e32 v46, v22
	s_nop 0
	v_cndmask_b32_e64 v23, 0, 1, s[26:27]
	;;#ASMSTART
	;;#ASMEND
	s_nop 0
	v_cmp_ne_u32_e32 vcc, 0, v23
	s_cmp_lg_u64 vcc, exec
	s_cbranch_scc1 .LBB592_347
; %bb.343:                              ;   in Loop: Header=BB592_342 Depth=1
	v_lshl_add_u64 v[26:27], v[20:21], 3, s[30:31]
	global_load_dwordx2 v[22:23], v[26:27], off sc1
	s_waitcnt vmcnt(0)
	v_cmp_eq_u16_sdwa s[28:29], v23, v21 src0_sel:BYTE_0 src1_sel:DWORD
	s_and_saveexec_b64 s[26:27], s[28:29]
	s_cbranch_execz .LBB592_341
; %bb.344:                              ;   in Loop: Header=BB592_342 Depth=1
	s_mov_b64 s[28:29], 0
.LBB592_345:                            ;   Parent Loop BB592_342 Depth=1
                                        ; =>  This Inner Loop Header: Depth=2
	global_load_dwordx2 v[22:23], v[26:27], off sc1
	s_waitcnt vmcnt(0)
	v_cmp_ne_u16_sdwa s[38:39], v23, v21 src0_sel:BYTE_0 src1_sel:DWORD
	s_or_b64 s[28:29], s[38:39], s[28:29]
	s_andn2_b64 exec, exec, s[28:29]
	s_cbranch_execnz .LBB592_345
; %bb.346:                              ;   in Loop: Header=BB592_342 Depth=1
	s_or_b64 exec, exec, s[28:29]
	s_branch .LBB592_341
.LBB592_347:                            ;   in Loop: Header=BB592_342 Depth=1
                                        ; implicit-def: $vgpr22
                                        ; implicit-def: $vgpr23
	s_cbranch_execz .LBB592_342
; %bb.348:
	s_and_saveexec_b64 s[26:27], s[16:17]
	s_cbranch_execz .LBB592_350
; %bb.349:
	s_add_i32 s28, s33, 64
	s_mov_b32 s29, 0
	s_lshl_b64 s[28:29], s[28:29], 3
	s_add_u32 s28, s30, s28
	v_add_u32_e32 v20, v46, v18
	v_mov_b32_e32 v21, 2
	s_addc_u32 s29, s31, s29
	v_mov_b32_e32 v19, 0
	global_store_dwordx2 v19, v[20:21], s[28:29] sc1
	s_movk_i32 s28, 0x7000
	v_add_u32_e64 v19, s28, 0
	ds_write2_b32 v19, v18, v46 offset1:2
.LBB592_350:
	s_or_b64 exec, exec, s[26:27]
	s_and_b64 exec, exec, s[18:19]
	s_cbranch_execz .LBB592_352
; %bb.351:
	v_mov_b32_e32 v18, 0
	ds_write_b32 v18, v46 offset:28
.LBB592_352:
	s_or_b64 exec, exec, s[0:1]
	v_mov_b32_e32 v18, 0
	s_waitcnt lgkmcnt(0)
	s_barrier
	ds_read_b32 v18, v18 offset:28
	v_cndmask_b32_e64 v19, v30, v28, s[16:17]
	v_cndmask_b32_e64 v19, v19, 0, s[18:19]
	s_movk_i32 s0, 0x7000
	s_waitcnt lgkmcnt(0)
	v_add_u32_e32 v34, v18, v19
	v_add_u32_e32 v32, v34, v1
	v_add_u32_e64 v18, s0, 0
	v_add_u32_e32 v30, v32, v29
	s_barrier
	ds_read2_b32 v[18:19], v18 offset1:2
	v_add_u32_e32 v28, v30, v31
	v_add_u32_e32 v26, v28, v33
	;; [unrolled: 1-line block ×4, first 2 shown]
	v_lshrrev_b64 v[20:21], 24, v[16:17]
	s_branch .LBB592_363
.LBB592_353:
                                        ; implicit-def: $vgpr22
                                        ; implicit-def: $vgpr24
                                        ; implicit-def: $vgpr26
                                        ; implicit-def: $vgpr28
                                        ; implicit-def: $vgpr30
                                        ; implicit-def: $vgpr32
                                        ; implicit-def: $vgpr34
                                        ; implicit-def: $vgpr19
	v_lshrrev_b64 v[20:21], 24, v[16:17]
	s_cbranch_execz .LBB592_363
; %bb.354:
	s_waitcnt lgkmcnt(0)
	v_mov_b32_dpp v18, v39 row_shr:1 row_mask:0xf bank_mask:0xf
	v_cndmask_b32_e64 v18, v18, 0, s[14:15]
	v_add_u32_e32 v18, v18, v39
	s_nop 1
	v_mov_b32_dpp v19, v18 row_shr:2 row_mask:0xf bank_mask:0xf
	v_cndmask_b32_e64 v19, 0, v19, s[12:13]
	v_add_u32_e32 v18, v18, v19
	s_nop 1
	;; [unrolled: 4-line block ×4, first 2 shown]
	v_mov_b32_dpp v19, v18 row_bcast:15 row_mask:0xf bank_mask:0xf
	v_cndmask_b32_e64 v19, v19, 0, s[6:7]
	v_add_u32_e32 v18, v18, v19
	s_nop 1
	v_mov_b32_dpp v19, v18 row_bcast:31 row_mask:0xf bank_mask:0xf
	v_cndmask_b32_e64 v19, 0, v19, s[2:3]
	v_add_u32_e32 v18, v18, v19
	s_and_saveexec_b64 s[0:1], s[4:5]
	s_cbranch_execz .LBB592_356
; %bb.355:
	v_lshlrev_b32_e32 v19, 2, v38
	ds_write_b32 v19, v18
.LBB592_356:
	s_or_b64 exec, exec, s[0:1]
	v_cmp_gt_u32_e32 vcc, 8, v0
	s_waitcnt lgkmcnt(0)
	s_barrier
	s_and_saveexec_b64 s[0:1], vcc
	s_cbranch_execz .LBB592_358
; %bb.357:
	v_lshlrev_b32_e32 v19, 2, v0
	ds_read_b32 v21, v19
	v_and_b32_e32 v22, 7, v37
	v_cmp_ne_u32_e32 vcc, 0, v22
	s_waitcnt lgkmcnt(0)
	v_mov_b32_dpp v23, v21 row_shr:1 row_mask:0xf bank_mask:0xf
	v_cndmask_b32_e32 v23, 0, v23, vcc
	v_add_u32_e32 v21, v23, v21
	v_cmp_lt_u32_e32 vcc, 1, v22
	s_nop 0
	v_mov_b32_dpp v23, v21 row_shr:2 row_mask:0xf bank_mask:0xf
	v_cndmask_b32_e32 v23, 0, v23, vcc
	v_add_u32_e32 v21, v21, v23
	v_cmp_lt_u32_e32 vcc, 3, v22
	s_nop 0
	v_mov_b32_dpp v23, v21 row_shr:4 row_mask:0xf bank_mask:0xf
	v_cndmask_b32_e32 v22, 0, v23, vcc
	v_add_u32_e32 v21, v21, v22
	ds_write_b32 v19, v21
.LBB592_358:
	s_or_b64 exec, exec, s[0:1]
	v_cmp_lt_u32_e32 vcc, 63, v0
	v_mov_b32_e32 v19, 0
	v_mov_b32_e32 v21, 0
	s_waitcnt lgkmcnt(0)
	s_barrier
	s_and_saveexec_b64 s[0:1], vcc
	s_cbranch_execz .LBB592_360
; %bb.359:
	v_lshl_add_u32 v21, v38, 2, -4
	ds_read_b32 v21, v21
.LBB592_360:
	s_or_b64 exec, exec, s[0:1]
	v_add_u32_e32 v22, -1, v37
	v_and_b32_e32 v23, 64, v37
	v_cmp_lt_i32_e32 vcc, v22, v23
	s_waitcnt lgkmcnt(0)
	v_add_u32_e32 v18, v21, v18
	v_cndmask_b32_e32 v22, v22, v37, vcc
	v_lshlrev_b32_e32 v22, 2, v22
	ds_bpermute_b32 v22, v22, v18
	ds_read_b32 v18, v19 offset:28
	s_and_saveexec_b64 s[0:1], s[18:19]
	s_cbranch_execz .LBB592_362
; %bb.361:
	v_mov_b32_e32 v23, 0
	v_mov_b32_e32 v19, 2
	s_waitcnt lgkmcnt(0)
	global_store_dwordx2 v23, v[18:19], s[30:31] offset:512 sc1
.LBB592_362:
	s_or_b64 exec, exec, s[0:1]
	v_cmp_eq_u32_e32 vcc, 0, v37
	v_mov_b32_e32 v19, 0
	s_waitcnt lgkmcnt(0)
	v_cndmask_b32_e32 v21, v22, v21, vcc
	v_cndmask_b32_e64 v34, v21, 0, s[18:19]
	v_add_u32_e32 v32, v34, v1
	v_add_u32_e32 v30, v32, v29
	v_add_u32_e32 v28, v30, v31
	v_add_u32_e32 v26, v28, v33
	v_add_u32_e32 v24, v26, v35
	v_add_u32_e32 v22, v24, v36
	s_barrier
.LBB592_363:
	s_movk_i32 s0, 0x201
	s_waitcnt lgkmcnt(0)
	v_cmp_gt_u32_e32 vcc, s0, v18
	v_lshrrev_b32_e32 v21, 8, v16
	v_lshrrev_b32_e32 v1, 8, v17
	s_mov_b64 s[0:1], -1
	s_cbranch_vccnz .LBB592_367
; %bb.364:
	s_and_b64 vcc, exec, s[0:1]
	s_cbranch_vccnz .LBB592_389
.LBB592_365:
	s_and_b64 s[0:1], s[18:19], s[24:25]
	s_and_saveexec_b64 s[2:3], s[0:1]
	s_cbranch_execnz .LBB592_407
.LBB592_366:
	s_endpgm
.LBB592_367:
	v_add_u32_e32 v23, v19, v18
	v_cmp_lt_u32_e32 vcc, v34, v23
	s_or_b64 s[2:3], s[36:37], vcc
	s_and_saveexec_b64 s[0:1], s[2:3]
	s_cbranch_execz .LBB592_370
; %bb.368:
	v_and_b32_e32 v25, 1, v16
	v_cmp_eq_u32_e32 vcc, 1, v25
	s_and_b64 exec, exec, vcc
	s_cbranch_execz .LBB592_370
; %bb.369:
	s_lshl_b64 s[2:3], s[22:23], 3
	s_add_u32 s2, s34, s2
	s_addc_u32 s3, s35, s3
	v_mov_b32_e32 v35, 0
	v_lshl_add_u64 v[36:37], v[34:35], 3, s[2:3]
	global_store_dwordx2 v[36:37], v[10:11], off
.LBB592_370:
	s_or_b64 exec, exec, s[0:1]
	v_cmp_lt_u32_e32 vcc, v32, v23
	s_or_b64 s[2:3], s[36:37], vcc
	s_and_saveexec_b64 s[0:1], s[2:3]
	s_cbranch_execz .LBB592_373
; %bb.371:
	v_and_b32_e32 v25, 1, v21
	v_cmp_eq_u32_e32 vcc, 1, v25
	s_and_b64 exec, exec, vcc
	s_cbranch_execz .LBB592_373
; %bb.372:
	s_lshl_b64 s[2:3], s[22:23], 3
	s_add_u32 s2, s34, s2
	s_addc_u32 s3, s35, s3
	v_mov_b32_e32 v33, 0
	v_lshl_add_u64 v[36:37], v[32:33], 3, s[2:3]
	global_store_dwordx2 v[36:37], v[12:13], off
.LBB592_373:
	s_or_b64 exec, exec, s[0:1]
	v_cmp_lt_u32_e32 vcc, v30, v23
	s_or_b64 s[2:3], s[36:37], vcc
	s_and_saveexec_b64 s[0:1], s[2:3]
	s_cbranch_execz .LBB592_376
; %bb.374:
	v_mov_b32_e32 v25, 1
	v_and_b32_sdwa v25, v25, v16 dst_sel:DWORD dst_unused:UNUSED_PAD src0_sel:DWORD src1_sel:WORD_1
	v_cmp_eq_u32_e32 vcc, 1, v25
	s_and_b64 exec, exec, vcc
	s_cbranch_execz .LBB592_376
; %bb.375:
	s_lshl_b64 s[2:3], s[22:23], 3
	s_add_u32 s2, s34, s2
	s_addc_u32 s3, s35, s3
	v_mov_b32_e32 v31, 0
	v_lshl_add_u64 v[36:37], v[30:31], 3, s[2:3]
	global_store_dwordx2 v[36:37], v[6:7], off
.LBB592_376:
	s_or_b64 exec, exec, s[0:1]
	v_cmp_lt_u32_e32 vcc, v28, v23
	s_or_b64 s[2:3], s[36:37], vcc
	s_and_saveexec_b64 s[0:1], s[2:3]
	s_cbranch_execz .LBB592_379
; %bb.377:
	v_and_b32_e32 v25, 1, v20
	v_cmp_eq_u32_e32 vcc, 1, v25
	s_and_b64 exec, exec, vcc
	s_cbranch_execz .LBB592_379
; %bb.378:
	s_lshl_b64 s[2:3], s[22:23], 3
	s_add_u32 s2, s34, s2
	s_addc_u32 s3, s35, s3
	v_mov_b32_e32 v29, 0
	v_lshl_add_u64 v[36:37], v[28:29], 3, s[2:3]
	global_store_dwordx2 v[36:37], v[8:9], off
.LBB592_379:
	s_or_b64 exec, exec, s[0:1]
	v_cmp_lt_u32_e32 vcc, v26, v23
	s_or_b64 s[2:3], s[36:37], vcc
	s_and_saveexec_b64 s[0:1], s[2:3]
	s_cbranch_execz .LBB592_382
; %bb.380:
	v_and_b32_e32 v25, 1, v17
	v_cmp_eq_u32_e32 vcc, 1, v25
	s_and_b64 exec, exec, vcc
	s_cbranch_execz .LBB592_382
; %bb.381:
	s_lshl_b64 s[2:3], s[22:23], 3
	s_add_u32 s2, s34, s2
	s_addc_u32 s3, s35, s3
	v_mov_b32_e32 v27, 0
	v_lshl_add_u64 v[36:37], v[26:27], 3, s[2:3]
	global_store_dwordx2 v[36:37], v[2:3], off
.LBB592_382:
	;; [unrolled: 18-line block ×3, first 2 shown]
	s_or_b64 exec, exec, s[0:1]
	v_cmp_lt_u32_e32 vcc, v22, v23
	s_or_b64 s[2:3], s[36:37], vcc
	s_and_saveexec_b64 s[0:1], s[2:3]
	s_cbranch_execz .LBB592_388
; %bb.386:
	v_mov_b32_e32 v23, 1
	v_and_b32_sdwa v23, v23, v17 dst_sel:DWORD dst_unused:UNUSED_PAD src0_sel:DWORD src1_sel:WORD_1
	v_cmp_eq_u32_e32 vcc, 1, v23
	s_and_b64 exec, exec, vcc
	s_cbranch_execz .LBB592_388
; %bb.387:
	s_lshl_b64 s[2:3], s[22:23], 3
	s_add_u32 s2, s34, s2
	s_addc_u32 s3, s35, s3
	v_mov_b32_e32 v23, 0
	v_lshl_add_u64 v[36:37], v[22:23], 3, s[2:3]
	global_store_dwordx2 v[36:37], v[14:15], off
.LBB592_388:
	s_or_b64 exec, exec, s[0:1]
	s_branch .LBB592_365
.LBB592_389:
	v_and_b32_e32 v23, 1, v16
	v_cmp_eq_u32_e32 vcc, 1, v23
	s_and_saveexec_b64 s[0:1], vcc
	s_cbranch_execz .LBB592_391
; %bb.390:
	v_sub_u32_e32 v23, v34, v19
	v_lshlrev_b32_e32 v23, 3, v23
	ds_write_b64 v23, v[10:11]
.LBB592_391:
	s_or_b64 exec, exec, s[0:1]
	v_and_b32_e32 v10, 1, v21
	v_cmp_eq_u32_e32 vcc, 1, v10
	s_and_saveexec_b64 s[0:1], vcc
	s_cbranch_execz .LBB592_393
; %bb.392:
	v_sub_u32_e32 v10, v32, v19
	v_lshlrev_b32_e32 v10, 3, v10
	ds_write_b64 v10, v[12:13]
.LBB592_393:
	s_or_b64 exec, exec, s[0:1]
	v_mov_b32_e32 v10, 1
	v_and_b32_sdwa v10, v10, v16 dst_sel:DWORD dst_unused:UNUSED_PAD src0_sel:DWORD src1_sel:WORD_1
	v_cmp_eq_u32_e32 vcc, 1, v10
	s_and_saveexec_b64 s[0:1], vcc
	s_cbranch_execz .LBB592_395
; %bb.394:
	v_sub_u32_e32 v10, v30, v19
	v_lshlrev_b32_e32 v10, 3, v10
	ds_write_b64 v10, v[6:7]
.LBB592_395:
	s_or_b64 exec, exec, s[0:1]
	v_and_b32_e32 v6, 1, v20
	v_cmp_eq_u32_e32 vcc, 1, v6
	s_and_saveexec_b64 s[0:1], vcc
	s_cbranch_execz .LBB592_397
; %bb.396:
	v_sub_u32_e32 v6, v28, v19
	v_lshlrev_b32_e32 v6, 3, v6
	ds_write_b64 v6, v[8:9]
.LBB592_397:
	s_or_b64 exec, exec, s[0:1]
	v_and_b32_e32 v6, 1, v17
	;; [unrolled: 10-line block ×3, first 2 shown]
	v_cmp_eq_u32_e32 vcc, 1, v1
	s_and_saveexec_b64 s[0:1], vcc
	s_cbranch_execz .LBB592_401
; %bb.400:
	v_sub_u32_e32 v1, v24, v19
	v_lshlrev_b32_e32 v1, 3, v1
	ds_write_b64 v1, v[4:5]
.LBB592_401:
	s_or_b64 exec, exec, s[0:1]
	v_mov_b32_e32 v1, 1
	v_and_b32_sdwa v1, v1, v17 dst_sel:DWORD dst_unused:UNUSED_PAD src0_sel:DWORD src1_sel:WORD_1
	v_cmp_eq_u32_e32 vcc, 1, v1
	s_and_saveexec_b64 s[0:1], vcc
	s_cbranch_execz .LBB592_403
; %bb.402:
	v_sub_u32_e32 v1, v22, v19
	v_lshlrev_b32_e32 v1, 3, v1
	ds_write_b64 v1, v[14:15]
.LBB592_403:
	s_or_b64 exec, exec, s[0:1]
	v_cmp_lt_u32_e32 vcc, v0, v18
	s_waitcnt lgkmcnt(0)
	s_barrier
	s_and_saveexec_b64 s[0:1], vcc
	s_cbranch_execz .LBB592_406
; %bb.404:
	v_mov_b32_e32 v5, 0
	v_mov_b32_e32 v4, v19
	s_lshl_b64 s[2:3], s[22:23], 3
	v_lshlrev_b64 v[6:7], 3, v[4:5]
	v_lshl_add_u64 v[6:7], s[2:3], 0, v[6:7]
	v_lshlrev_b32_e32 v2, 3, v0
	v_mov_b32_e32 v3, v5
	v_lshl_add_u64 v[4:5], s[34:35], 0, v[6:7]
	v_lshl_add_u64 v[4:5], v[4:5], 0, v[2:3]
	s_mov_b64 s[2:3], 0
	s_mov_b64 s[4:5], 0x1000
.LBB592_405:                            ; =>This Inner Loop Header: Depth=1
	ds_read_b64 v[6:7], v2
	v_add_u32_e32 v0, 0x200, v0
	v_cmp_ge_u32_e32 vcc, v0, v18
	v_add_u32_e32 v2, 0x1000, v2
	s_or_b64 s[2:3], vcc, s[2:3]
	s_waitcnt lgkmcnt(0)
	global_store_dwordx2 v[4:5], v[6:7], off
	v_lshl_add_u64 v[4:5], v[4:5], 0, s[4:5]
	s_andn2_b64 exec, exec, s[2:3]
	s_cbranch_execnz .LBB592_405
.LBB592_406:
	s_or_b64 exec, exec, s[0:1]
	s_and_b64 s[0:1], s[18:19], s[24:25]
	s_and_saveexec_b64 s[2:3], s[0:1]
	s_cbranch_execz .LBB592_366
.LBB592_407:
	v_mov_b32_e32 v1, 0
	v_mov_b32_e32 v0, v18
	v_lshl_add_u64 v[2:3], s[22:23], 0, v[0:1]
	v_mov_b32_e32 v0, v19
	v_lshl_add_u64 v[2:3], v[2:3], 0, v[0:1]
	global_store_dwordx2 v1, v[2:3], s[20:21]
	s_endpgm
	.section	.rodata,"a",@progbits
	.p2align	6, 0x0
	.amdhsa_kernel _ZN7rocprim17ROCPRIM_400000_NS6detail17trampoline_kernelINS0_14default_configENS1_25partition_config_selectorILNS1_17partition_subalgoE8ElNS0_10empty_typeEbEEZZNS1_14partition_implILS5_8ELb0ES3_jPlPS6_PKS6_NS0_5tupleIJS9_S6_EEENSD_IJSA_SA_EEENS0_18inequality_wrapperIZN2at6native12_GLOBAL__N_124unique_dim_cuda_templateIlEESt5tupleIJNSH_6TensorESM_SM_EERKSM_lbbbEUlllE0_EEPmJS6_EEE10hipError_tPvRmT3_T4_T5_T6_T7_T9_mT8_P12ihipStream_tbDpT10_ENKUlT_T0_E_clISt17integral_constantIbLb0EES1B_IbLb1EEEEDaS17_S18_EUlS17_E_NS1_11comp_targetILNS1_3genE5ELNS1_11target_archE942ELNS1_3gpuE9ELNS1_3repE0EEENS1_30default_config_static_selectorELNS0_4arch9wavefront6targetE1EEEvT1_
		.amdhsa_group_segment_fixed_size 28684
		.amdhsa_private_segment_fixed_size 0
		.amdhsa_kernarg_size 136
		.amdhsa_user_sgpr_count 2
		.amdhsa_user_sgpr_dispatch_ptr 0
		.amdhsa_user_sgpr_queue_ptr 0
		.amdhsa_user_sgpr_kernarg_segment_ptr 1
		.amdhsa_user_sgpr_dispatch_id 0
		.amdhsa_user_sgpr_kernarg_preload_length 0
		.amdhsa_user_sgpr_kernarg_preload_offset 0
		.amdhsa_user_sgpr_private_segment_size 0
		.amdhsa_uses_dynamic_stack 0
		.amdhsa_enable_private_segment 0
		.amdhsa_system_sgpr_workgroup_id_x 1
		.amdhsa_system_sgpr_workgroup_id_y 0
		.amdhsa_system_sgpr_workgroup_id_z 0
		.amdhsa_system_sgpr_workgroup_info 0
		.amdhsa_system_vgpr_workitem_id 0
		.amdhsa_next_free_vgpr 52
		.amdhsa_next_free_sgpr 56
		.amdhsa_accum_offset 52
		.amdhsa_reserve_vcc 1
		.amdhsa_float_round_mode_32 0
		.amdhsa_float_round_mode_16_64 0
		.amdhsa_float_denorm_mode_32 3
		.amdhsa_float_denorm_mode_16_64 3
		.amdhsa_dx10_clamp 1
		.amdhsa_ieee_mode 1
		.amdhsa_fp16_overflow 0
		.amdhsa_tg_split 0
		.amdhsa_exception_fp_ieee_invalid_op 0
		.amdhsa_exception_fp_denorm_src 0
		.amdhsa_exception_fp_ieee_div_zero 0
		.amdhsa_exception_fp_ieee_overflow 0
		.amdhsa_exception_fp_ieee_underflow 0
		.amdhsa_exception_fp_ieee_inexact 0
		.amdhsa_exception_int_div_zero 0
	.end_amdhsa_kernel
	.section	.text._ZN7rocprim17ROCPRIM_400000_NS6detail17trampoline_kernelINS0_14default_configENS1_25partition_config_selectorILNS1_17partition_subalgoE8ElNS0_10empty_typeEbEEZZNS1_14partition_implILS5_8ELb0ES3_jPlPS6_PKS6_NS0_5tupleIJS9_S6_EEENSD_IJSA_SA_EEENS0_18inequality_wrapperIZN2at6native12_GLOBAL__N_124unique_dim_cuda_templateIlEESt5tupleIJNSH_6TensorESM_SM_EERKSM_lbbbEUlllE0_EEPmJS6_EEE10hipError_tPvRmT3_T4_T5_T6_T7_T9_mT8_P12ihipStream_tbDpT10_ENKUlT_T0_E_clISt17integral_constantIbLb0EES1B_IbLb1EEEEDaS17_S18_EUlS17_E_NS1_11comp_targetILNS1_3genE5ELNS1_11target_archE942ELNS1_3gpuE9ELNS1_3repE0EEENS1_30default_config_static_selectorELNS0_4arch9wavefront6targetE1EEEvT1_,"axG",@progbits,_ZN7rocprim17ROCPRIM_400000_NS6detail17trampoline_kernelINS0_14default_configENS1_25partition_config_selectorILNS1_17partition_subalgoE8ElNS0_10empty_typeEbEEZZNS1_14partition_implILS5_8ELb0ES3_jPlPS6_PKS6_NS0_5tupleIJS9_S6_EEENSD_IJSA_SA_EEENS0_18inequality_wrapperIZN2at6native12_GLOBAL__N_124unique_dim_cuda_templateIlEESt5tupleIJNSH_6TensorESM_SM_EERKSM_lbbbEUlllE0_EEPmJS6_EEE10hipError_tPvRmT3_T4_T5_T6_T7_T9_mT8_P12ihipStream_tbDpT10_ENKUlT_T0_E_clISt17integral_constantIbLb0EES1B_IbLb1EEEEDaS17_S18_EUlS17_E_NS1_11comp_targetILNS1_3genE5ELNS1_11target_archE942ELNS1_3gpuE9ELNS1_3repE0EEENS1_30default_config_static_selectorELNS0_4arch9wavefront6targetE1EEEvT1_,comdat
.Lfunc_end592:
	.size	_ZN7rocprim17ROCPRIM_400000_NS6detail17trampoline_kernelINS0_14default_configENS1_25partition_config_selectorILNS1_17partition_subalgoE8ElNS0_10empty_typeEbEEZZNS1_14partition_implILS5_8ELb0ES3_jPlPS6_PKS6_NS0_5tupleIJS9_S6_EEENSD_IJSA_SA_EEENS0_18inequality_wrapperIZN2at6native12_GLOBAL__N_124unique_dim_cuda_templateIlEESt5tupleIJNSH_6TensorESM_SM_EERKSM_lbbbEUlllE0_EEPmJS6_EEE10hipError_tPvRmT3_T4_T5_T6_T7_T9_mT8_P12ihipStream_tbDpT10_ENKUlT_T0_E_clISt17integral_constantIbLb0EES1B_IbLb1EEEEDaS17_S18_EUlS17_E_NS1_11comp_targetILNS1_3genE5ELNS1_11target_archE942ELNS1_3gpuE9ELNS1_3repE0EEENS1_30default_config_static_selectorELNS0_4arch9wavefront6targetE1EEEvT1_, .Lfunc_end592-_ZN7rocprim17ROCPRIM_400000_NS6detail17trampoline_kernelINS0_14default_configENS1_25partition_config_selectorILNS1_17partition_subalgoE8ElNS0_10empty_typeEbEEZZNS1_14partition_implILS5_8ELb0ES3_jPlPS6_PKS6_NS0_5tupleIJS9_S6_EEENSD_IJSA_SA_EEENS0_18inequality_wrapperIZN2at6native12_GLOBAL__N_124unique_dim_cuda_templateIlEESt5tupleIJNSH_6TensorESM_SM_EERKSM_lbbbEUlllE0_EEPmJS6_EEE10hipError_tPvRmT3_T4_T5_T6_T7_T9_mT8_P12ihipStream_tbDpT10_ENKUlT_T0_E_clISt17integral_constantIbLb0EES1B_IbLb1EEEEDaS17_S18_EUlS17_E_NS1_11comp_targetILNS1_3genE5ELNS1_11target_archE942ELNS1_3gpuE9ELNS1_3repE0EEENS1_30default_config_static_selectorELNS0_4arch9wavefront6targetE1EEEvT1_
                                        ; -- End function
	.section	.AMDGPU.csdata,"",@progbits
; Kernel info:
; codeLenInByte = 13044
; NumSgprs: 62
; NumVgprs: 52
; NumAgprs: 0
; TotalNumVgprs: 52
; ScratchSize: 0
; MemoryBound: 1
; FloatMode: 240
; IeeeMode: 1
; LDSByteSize: 28684 bytes/workgroup (compile time only)
; SGPRBlocks: 7
; VGPRBlocks: 6
; NumSGPRsForWavesPerEU: 62
; NumVGPRsForWavesPerEU: 52
; AccumOffset: 52
; Occupancy: 4
; WaveLimiterHint : 1
; COMPUTE_PGM_RSRC2:SCRATCH_EN: 0
; COMPUTE_PGM_RSRC2:USER_SGPR: 2
; COMPUTE_PGM_RSRC2:TRAP_HANDLER: 0
; COMPUTE_PGM_RSRC2:TGID_X_EN: 1
; COMPUTE_PGM_RSRC2:TGID_Y_EN: 0
; COMPUTE_PGM_RSRC2:TGID_Z_EN: 0
; COMPUTE_PGM_RSRC2:TIDIG_COMP_CNT: 0
; COMPUTE_PGM_RSRC3_GFX90A:ACCUM_OFFSET: 12
; COMPUTE_PGM_RSRC3_GFX90A:TG_SPLIT: 0
	.section	.text._ZN7rocprim17ROCPRIM_400000_NS6detail17trampoline_kernelINS0_14default_configENS1_25partition_config_selectorILNS1_17partition_subalgoE8ElNS0_10empty_typeEbEEZZNS1_14partition_implILS5_8ELb0ES3_jPlPS6_PKS6_NS0_5tupleIJS9_S6_EEENSD_IJSA_SA_EEENS0_18inequality_wrapperIZN2at6native12_GLOBAL__N_124unique_dim_cuda_templateIlEESt5tupleIJNSH_6TensorESM_SM_EERKSM_lbbbEUlllE0_EEPmJS6_EEE10hipError_tPvRmT3_T4_T5_T6_T7_T9_mT8_P12ihipStream_tbDpT10_ENKUlT_T0_E_clISt17integral_constantIbLb0EES1B_IbLb1EEEEDaS17_S18_EUlS17_E_NS1_11comp_targetILNS1_3genE4ELNS1_11target_archE910ELNS1_3gpuE8ELNS1_3repE0EEENS1_30default_config_static_selectorELNS0_4arch9wavefront6targetE1EEEvT1_,"axG",@progbits,_ZN7rocprim17ROCPRIM_400000_NS6detail17trampoline_kernelINS0_14default_configENS1_25partition_config_selectorILNS1_17partition_subalgoE8ElNS0_10empty_typeEbEEZZNS1_14partition_implILS5_8ELb0ES3_jPlPS6_PKS6_NS0_5tupleIJS9_S6_EEENSD_IJSA_SA_EEENS0_18inequality_wrapperIZN2at6native12_GLOBAL__N_124unique_dim_cuda_templateIlEESt5tupleIJNSH_6TensorESM_SM_EERKSM_lbbbEUlllE0_EEPmJS6_EEE10hipError_tPvRmT3_T4_T5_T6_T7_T9_mT8_P12ihipStream_tbDpT10_ENKUlT_T0_E_clISt17integral_constantIbLb0EES1B_IbLb1EEEEDaS17_S18_EUlS17_E_NS1_11comp_targetILNS1_3genE4ELNS1_11target_archE910ELNS1_3gpuE8ELNS1_3repE0EEENS1_30default_config_static_selectorELNS0_4arch9wavefront6targetE1EEEvT1_,comdat
	.globl	_ZN7rocprim17ROCPRIM_400000_NS6detail17trampoline_kernelINS0_14default_configENS1_25partition_config_selectorILNS1_17partition_subalgoE8ElNS0_10empty_typeEbEEZZNS1_14partition_implILS5_8ELb0ES3_jPlPS6_PKS6_NS0_5tupleIJS9_S6_EEENSD_IJSA_SA_EEENS0_18inequality_wrapperIZN2at6native12_GLOBAL__N_124unique_dim_cuda_templateIlEESt5tupleIJNSH_6TensorESM_SM_EERKSM_lbbbEUlllE0_EEPmJS6_EEE10hipError_tPvRmT3_T4_T5_T6_T7_T9_mT8_P12ihipStream_tbDpT10_ENKUlT_T0_E_clISt17integral_constantIbLb0EES1B_IbLb1EEEEDaS17_S18_EUlS17_E_NS1_11comp_targetILNS1_3genE4ELNS1_11target_archE910ELNS1_3gpuE8ELNS1_3repE0EEENS1_30default_config_static_selectorELNS0_4arch9wavefront6targetE1EEEvT1_ ; -- Begin function _ZN7rocprim17ROCPRIM_400000_NS6detail17trampoline_kernelINS0_14default_configENS1_25partition_config_selectorILNS1_17partition_subalgoE8ElNS0_10empty_typeEbEEZZNS1_14partition_implILS5_8ELb0ES3_jPlPS6_PKS6_NS0_5tupleIJS9_S6_EEENSD_IJSA_SA_EEENS0_18inequality_wrapperIZN2at6native12_GLOBAL__N_124unique_dim_cuda_templateIlEESt5tupleIJNSH_6TensorESM_SM_EERKSM_lbbbEUlllE0_EEPmJS6_EEE10hipError_tPvRmT3_T4_T5_T6_T7_T9_mT8_P12ihipStream_tbDpT10_ENKUlT_T0_E_clISt17integral_constantIbLb0EES1B_IbLb1EEEEDaS17_S18_EUlS17_E_NS1_11comp_targetILNS1_3genE4ELNS1_11target_archE910ELNS1_3gpuE8ELNS1_3repE0EEENS1_30default_config_static_selectorELNS0_4arch9wavefront6targetE1EEEvT1_
	.p2align	8
	.type	_ZN7rocprim17ROCPRIM_400000_NS6detail17trampoline_kernelINS0_14default_configENS1_25partition_config_selectorILNS1_17partition_subalgoE8ElNS0_10empty_typeEbEEZZNS1_14partition_implILS5_8ELb0ES3_jPlPS6_PKS6_NS0_5tupleIJS9_S6_EEENSD_IJSA_SA_EEENS0_18inequality_wrapperIZN2at6native12_GLOBAL__N_124unique_dim_cuda_templateIlEESt5tupleIJNSH_6TensorESM_SM_EERKSM_lbbbEUlllE0_EEPmJS6_EEE10hipError_tPvRmT3_T4_T5_T6_T7_T9_mT8_P12ihipStream_tbDpT10_ENKUlT_T0_E_clISt17integral_constantIbLb0EES1B_IbLb1EEEEDaS17_S18_EUlS17_E_NS1_11comp_targetILNS1_3genE4ELNS1_11target_archE910ELNS1_3gpuE8ELNS1_3repE0EEENS1_30default_config_static_selectorELNS0_4arch9wavefront6targetE1EEEvT1_,@function
_ZN7rocprim17ROCPRIM_400000_NS6detail17trampoline_kernelINS0_14default_configENS1_25partition_config_selectorILNS1_17partition_subalgoE8ElNS0_10empty_typeEbEEZZNS1_14partition_implILS5_8ELb0ES3_jPlPS6_PKS6_NS0_5tupleIJS9_S6_EEENSD_IJSA_SA_EEENS0_18inequality_wrapperIZN2at6native12_GLOBAL__N_124unique_dim_cuda_templateIlEESt5tupleIJNSH_6TensorESM_SM_EERKSM_lbbbEUlllE0_EEPmJS6_EEE10hipError_tPvRmT3_T4_T5_T6_T7_T9_mT8_P12ihipStream_tbDpT10_ENKUlT_T0_E_clISt17integral_constantIbLb0EES1B_IbLb1EEEEDaS17_S18_EUlS17_E_NS1_11comp_targetILNS1_3genE4ELNS1_11target_archE910ELNS1_3gpuE8ELNS1_3repE0EEENS1_30default_config_static_selectorELNS0_4arch9wavefront6targetE1EEEvT1_: ; @_ZN7rocprim17ROCPRIM_400000_NS6detail17trampoline_kernelINS0_14default_configENS1_25partition_config_selectorILNS1_17partition_subalgoE8ElNS0_10empty_typeEbEEZZNS1_14partition_implILS5_8ELb0ES3_jPlPS6_PKS6_NS0_5tupleIJS9_S6_EEENSD_IJSA_SA_EEENS0_18inequality_wrapperIZN2at6native12_GLOBAL__N_124unique_dim_cuda_templateIlEESt5tupleIJNSH_6TensorESM_SM_EERKSM_lbbbEUlllE0_EEPmJS6_EEE10hipError_tPvRmT3_T4_T5_T6_T7_T9_mT8_P12ihipStream_tbDpT10_ENKUlT_T0_E_clISt17integral_constantIbLb0EES1B_IbLb1EEEEDaS17_S18_EUlS17_E_NS1_11comp_targetILNS1_3genE4ELNS1_11target_archE910ELNS1_3gpuE8ELNS1_3repE0EEENS1_30default_config_static_selectorELNS0_4arch9wavefront6targetE1EEEvT1_
; %bb.0:
	.section	.rodata,"a",@progbits
	.p2align	6, 0x0
	.amdhsa_kernel _ZN7rocprim17ROCPRIM_400000_NS6detail17trampoline_kernelINS0_14default_configENS1_25partition_config_selectorILNS1_17partition_subalgoE8ElNS0_10empty_typeEbEEZZNS1_14partition_implILS5_8ELb0ES3_jPlPS6_PKS6_NS0_5tupleIJS9_S6_EEENSD_IJSA_SA_EEENS0_18inequality_wrapperIZN2at6native12_GLOBAL__N_124unique_dim_cuda_templateIlEESt5tupleIJNSH_6TensorESM_SM_EERKSM_lbbbEUlllE0_EEPmJS6_EEE10hipError_tPvRmT3_T4_T5_T6_T7_T9_mT8_P12ihipStream_tbDpT10_ENKUlT_T0_E_clISt17integral_constantIbLb0EES1B_IbLb1EEEEDaS17_S18_EUlS17_E_NS1_11comp_targetILNS1_3genE4ELNS1_11target_archE910ELNS1_3gpuE8ELNS1_3repE0EEENS1_30default_config_static_selectorELNS0_4arch9wavefront6targetE1EEEvT1_
		.amdhsa_group_segment_fixed_size 0
		.amdhsa_private_segment_fixed_size 0
		.amdhsa_kernarg_size 136
		.amdhsa_user_sgpr_count 2
		.amdhsa_user_sgpr_dispatch_ptr 0
		.amdhsa_user_sgpr_queue_ptr 0
		.amdhsa_user_sgpr_kernarg_segment_ptr 1
		.amdhsa_user_sgpr_dispatch_id 0
		.amdhsa_user_sgpr_kernarg_preload_length 0
		.amdhsa_user_sgpr_kernarg_preload_offset 0
		.amdhsa_user_sgpr_private_segment_size 0
		.amdhsa_uses_dynamic_stack 0
		.amdhsa_enable_private_segment 0
		.amdhsa_system_sgpr_workgroup_id_x 1
		.amdhsa_system_sgpr_workgroup_id_y 0
		.amdhsa_system_sgpr_workgroup_id_z 0
		.amdhsa_system_sgpr_workgroup_info 0
		.amdhsa_system_vgpr_workitem_id 0
		.amdhsa_next_free_vgpr 1
		.amdhsa_next_free_sgpr 0
		.amdhsa_accum_offset 4
		.amdhsa_reserve_vcc 0
		.amdhsa_float_round_mode_32 0
		.amdhsa_float_round_mode_16_64 0
		.amdhsa_float_denorm_mode_32 3
		.amdhsa_float_denorm_mode_16_64 3
		.amdhsa_dx10_clamp 1
		.amdhsa_ieee_mode 1
		.amdhsa_fp16_overflow 0
		.amdhsa_tg_split 0
		.amdhsa_exception_fp_ieee_invalid_op 0
		.amdhsa_exception_fp_denorm_src 0
		.amdhsa_exception_fp_ieee_div_zero 0
		.amdhsa_exception_fp_ieee_overflow 0
		.amdhsa_exception_fp_ieee_underflow 0
		.amdhsa_exception_fp_ieee_inexact 0
		.amdhsa_exception_int_div_zero 0
	.end_amdhsa_kernel
	.section	.text._ZN7rocprim17ROCPRIM_400000_NS6detail17trampoline_kernelINS0_14default_configENS1_25partition_config_selectorILNS1_17partition_subalgoE8ElNS0_10empty_typeEbEEZZNS1_14partition_implILS5_8ELb0ES3_jPlPS6_PKS6_NS0_5tupleIJS9_S6_EEENSD_IJSA_SA_EEENS0_18inequality_wrapperIZN2at6native12_GLOBAL__N_124unique_dim_cuda_templateIlEESt5tupleIJNSH_6TensorESM_SM_EERKSM_lbbbEUlllE0_EEPmJS6_EEE10hipError_tPvRmT3_T4_T5_T6_T7_T9_mT8_P12ihipStream_tbDpT10_ENKUlT_T0_E_clISt17integral_constantIbLb0EES1B_IbLb1EEEEDaS17_S18_EUlS17_E_NS1_11comp_targetILNS1_3genE4ELNS1_11target_archE910ELNS1_3gpuE8ELNS1_3repE0EEENS1_30default_config_static_selectorELNS0_4arch9wavefront6targetE1EEEvT1_,"axG",@progbits,_ZN7rocprim17ROCPRIM_400000_NS6detail17trampoline_kernelINS0_14default_configENS1_25partition_config_selectorILNS1_17partition_subalgoE8ElNS0_10empty_typeEbEEZZNS1_14partition_implILS5_8ELb0ES3_jPlPS6_PKS6_NS0_5tupleIJS9_S6_EEENSD_IJSA_SA_EEENS0_18inequality_wrapperIZN2at6native12_GLOBAL__N_124unique_dim_cuda_templateIlEESt5tupleIJNSH_6TensorESM_SM_EERKSM_lbbbEUlllE0_EEPmJS6_EEE10hipError_tPvRmT3_T4_T5_T6_T7_T9_mT8_P12ihipStream_tbDpT10_ENKUlT_T0_E_clISt17integral_constantIbLb0EES1B_IbLb1EEEEDaS17_S18_EUlS17_E_NS1_11comp_targetILNS1_3genE4ELNS1_11target_archE910ELNS1_3gpuE8ELNS1_3repE0EEENS1_30default_config_static_selectorELNS0_4arch9wavefront6targetE1EEEvT1_,comdat
.Lfunc_end593:
	.size	_ZN7rocprim17ROCPRIM_400000_NS6detail17trampoline_kernelINS0_14default_configENS1_25partition_config_selectorILNS1_17partition_subalgoE8ElNS0_10empty_typeEbEEZZNS1_14partition_implILS5_8ELb0ES3_jPlPS6_PKS6_NS0_5tupleIJS9_S6_EEENSD_IJSA_SA_EEENS0_18inequality_wrapperIZN2at6native12_GLOBAL__N_124unique_dim_cuda_templateIlEESt5tupleIJNSH_6TensorESM_SM_EERKSM_lbbbEUlllE0_EEPmJS6_EEE10hipError_tPvRmT3_T4_T5_T6_T7_T9_mT8_P12ihipStream_tbDpT10_ENKUlT_T0_E_clISt17integral_constantIbLb0EES1B_IbLb1EEEEDaS17_S18_EUlS17_E_NS1_11comp_targetILNS1_3genE4ELNS1_11target_archE910ELNS1_3gpuE8ELNS1_3repE0EEENS1_30default_config_static_selectorELNS0_4arch9wavefront6targetE1EEEvT1_, .Lfunc_end593-_ZN7rocprim17ROCPRIM_400000_NS6detail17trampoline_kernelINS0_14default_configENS1_25partition_config_selectorILNS1_17partition_subalgoE8ElNS0_10empty_typeEbEEZZNS1_14partition_implILS5_8ELb0ES3_jPlPS6_PKS6_NS0_5tupleIJS9_S6_EEENSD_IJSA_SA_EEENS0_18inequality_wrapperIZN2at6native12_GLOBAL__N_124unique_dim_cuda_templateIlEESt5tupleIJNSH_6TensorESM_SM_EERKSM_lbbbEUlllE0_EEPmJS6_EEE10hipError_tPvRmT3_T4_T5_T6_T7_T9_mT8_P12ihipStream_tbDpT10_ENKUlT_T0_E_clISt17integral_constantIbLb0EES1B_IbLb1EEEEDaS17_S18_EUlS17_E_NS1_11comp_targetILNS1_3genE4ELNS1_11target_archE910ELNS1_3gpuE8ELNS1_3repE0EEENS1_30default_config_static_selectorELNS0_4arch9wavefront6targetE1EEEvT1_
                                        ; -- End function
	.section	.AMDGPU.csdata,"",@progbits
; Kernel info:
; codeLenInByte = 0
; NumSgprs: 6
; NumVgprs: 0
; NumAgprs: 0
; TotalNumVgprs: 0
; ScratchSize: 0
; MemoryBound: 0
; FloatMode: 240
; IeeeMode: 1
; LDSByteSize: 0 bytes/workgroup (compile time only)
; SGPRBlocks: 0
; VGPRBlocks: 0
; NumSGPRsForWavesPerEU: 6
; NumVGPRsForWavesPerEU: 1
; AccumOffset: 4
; Occupancy: 8
; WaveLimiterHint : 0
; COMPUTE_PGM_RSRC2:SCRATCH_EN: 0
; COMPUTE_PGM_RSRC2:USER_SGPR: 2
; COMPUTE_PGM_RSRC2:TRAP_HANDLER: 0
; COMPUTE_PGM_RSRC2:TGID_X_EN: 1
; COMPUTE_PGM_RSRC2:TGID_Y_EN: 0
; COMPUTE_PGM_RSRC2:TGID_Z_EN: 0
; COMPUTE_PGM_RSRC2:TIDIG_COMP_CNT: 0
; COMPUTE_PGM_RSRC3_GFX90A:ACCUM_OFFSET: 0
; COMPUTE_PGM_RSRC3_GFX90A:TG_SPLIT: 0
	.section	.text._ZN7rocprim17ROCPRIM_400000_NS6detail17trampoline_kernelINS0_14default_configENS1_25partition_config_selectorILNS1_17partition_subalgoE8ElNS0_10empty_typeEbEEZZNS1_14partition_implILS5_8ELb0ES3_jPlPS6_PKS6_NS0_5tupleIJS9_S6_EEENSD_IJSA_SA_EEENS0_18inequality_wrapperIZN2at6native12_GLOBAL__N_124unique_dim_cuda_templateIlEESt5tupleIJNSH_6TensorESM_SM_EERKSM_lbbbEUlllE0_EEPmJS6_EEE10hipError_tPvRmT3_T4_T5_T6_T7_T9_mT8_P12ihipStream_tbDpT10_ENKUlT_T0_E_clISt17integral_constantIbLb0EES1B_IbLb1EEEEDaS17_S18_EUlS17_E_NS1_11comp_targetILNS1_3genE3ELNS1_11target_archE908ELNS1_3gpuE7ELNS1_3repE0EEENS1_30default_config_static_selectorELNS0_4arch9wavefront6targetE1EEEvT1_,"axG",@progbits,_ZN7rocprim17ROCPRIM_400000_NS6detail17trampoline_kernelINS0_14default_configENS1_25partition_config_selectorILNS1_17partition_subalgoE8ElNS0_10empty_typeEbEEZZNS1_14partition_implILS5_8ELb0ES3_jPlPS6_PKS6_NS0_5tupleIJS9_S6_EEENSD_IJSA_SA_EEENS0_18inequality_wrapperIZN2at6native12_GLOBAL__N_124unique_dim_cuda_templateIlEESt5tupleIJNSH_6TensorESM_SM_EERKSM_lbbbEUlllE0_EEPmJS6_EEE10hipError_tPvRmT3_T4_T5_T6_T7_T9_mT8_P12ihipStream_tbDpT10_ENKUlT_T0_E_clISt17integral_constantIbLb0EES1B_IbLb1EEEEDaS17_S18_EUlS17_E_NS1_11comp_targetILNS1_3genE3ELNS1_11target_archE908ELNS1_3gpuE7ELNS1_3repE0EEENS1_30default_config_static_selectorELNS0_4arch9wavefront6targetE1EEEvT1_,comdat
	.globl	_ZN7rocprim17ROCPRIM_400000_NS6detail17trampoline_kernelINS0_14default_configENS1_25partition_config_selectorILNS1_17partition_subalgoE8ElNS0_10empty_typeEbEEZZNS1_14partition_implILS5_8ELb0ES3_jPlPS6_PKS6_NS0_5tupleIJS9_S6_EEENSD_IJSA_SA_EEENS0_18inequality_wrapperIZN2at6native12_GLOBAL__N_124unique_dim_cuda_templateIlEESt5tupleIJNSH_6TensorESM_SM_EERKSM_lbbbEUlllE0_EEPmJS6_EEE10hipError_tPvRmT3_T4_T5_T6_T7_T9_mT8_P12ihipStream_tbDpT10_ENKUlT_T0_E_clISt17integral_constantIbLb0EES1B_IbLb1EEEEDaS17_S18_EUlS17_E_NS1_11comp_targetILNS1_3genE3ELNS1_11target_archE908ELNS1_3gpuE7ELNS1_3repE0EEENS1_30default_config_static_selectorELNS0_4arch9wavefront6targetE1EEEvT1_ ; -- Begin function _ZN7rocprim17ROCPRIM_400000_NS6detail17trampoline_kernelINS0_14default_configENS1_25partition_config_selectorILNS1_17partition_subalgoE8ElNS0_10empty_typeEbEEZZNS1_14partition_implILS5_8ELb0ES3_jPlPS6_PKS6_NS0_5tupleIJS9_S6_EEENSD_IJSA_SA_EEENS0_18inequality_wrapperIZN2at6native12_GLOBAL__N_124unique_dim_cuda_templateIlEESt5tupleIJNSH_6TensorESM_SM_EERKSM_lbbbEUlllE0_EEPmJS6_EEE10hipError_tPvRmT3_T4_T5_T6_T7_T9_mT8_P12ihipStream_tbDpT10_ENKUlT_T0_E_clISt17integral_constantIbLb0EES1B_IbLb1EEEEDaS17_S18_EUlS17_E_NS1_11comp_targetILNS1_3genE3ELNS1_11target_archE908ELNS1_3gpuE7ELNS1_3repE0EEENS1_30default_config_static_selectorELNS0_4arch9wavefront6targetE1EEEvT1_
	.p2align	8
	.type	_ZN7rocprim17ROCPRIM_400000_NS6detail17trampoline_kernelINS0_14default_configENS1_25partition_config_selectorILNS1_17partition_subalgoE8ElNS0_10empty_typeEbEEZZNS1_14partition_implILS5_8ELb0ES3_jPlPS6_PKS6_NS0_5tupleIJS9_S6_EEENSD_IJSA_SA_EEENS0_18inequality_wrapperIZN2at6native12_GLOBAL__N_124unique_dim_cuda_templateIlEESt5tupleIJNSH_6TensorESM_SM_EERKSM_lbbbEUlllE0_EEPmJS6_EEE10hipError_tPvRmT3_T4_T5_T6_T7_T9_mT8_P12ihipStream_tbDpT10_ENKUlT_T0_E_clISt17integral_constantIbLb0EES1B_IbLb1EEEEDaS17_S18_EUlS17_E_NS1_11comp_targetILNS1_3genE3ELNS1_11target_archE908ELNS1_3gpuE7ELNS1_3repE0EEENS1_30default_config_static_selectorELNS0_4arch9wavefront6targetE1EEEvT1_,@function
_ZN7rocprim17ROCPRIM_400000_NS6detail17trampoline_kernelINS0_14default_configENS1_25partition_config_selectorILNS1_17partition_subalgoE8ElNS0_10empty_typeEbEEZZNS1_14partition_implILS5_8ELb0ES3_jPlPS6_PKS6_NS0_5tupleIJS9_S6_EEENSD_IJSA_SA_EEENS0_18inequality_wrapperIZN2at6native12_GLOBAL__N_124unique_dim_cuda_templateIlEESt5tupleIJNSH_6TensorESM_SM_EERKSM_lbbbEUlllE0_EEPmJS6_EEE10hipError_tPvRmT3_T4_T5_T6_T7_T9_mT8_P12ihipStream_tbDpT10_ENKUlT_T0_E_clISt17integral_constantIbLb0EES1B_IbLb1EEEEDaS17_S18_EUlS17_E_NS1_11comp_targetILNS1_3genE3ELNS1_11target_archE908ELNS1_3gpuE7ELNS1_3repE0EEENS1_30default_config_static_selectorELNS0_4arch9wavefront6targetE1EEEvT1_: ; @_ZN7rocprim17ROCPRIM_400000_NS6detail17trampoline_kernelINS0_14default_configENS1_25partition_config_selectorILNS1_17partition_subalgoE8ElNS0_10empty_typeEbEEZZNS1_14partition_implILS5_8ELb0ES3_jPlPS6_PKS6_NS0_5tupleIJS9_S6_EEENSD_IJSA_SA_EEENS0_18inequality_wrapperIZN2at6native12_GLOBAL__N_124unique_dim_cuda_templateIlEESt5tupleIJNSH_6TensorESM_SM_EERKSM_lbbbEUlllE0_EEPmJS6_EEE10hipError_tPvRmT3_T4_T5_T6_T7_T9_mT8_P12ihipStream_tbDpT10_ENKUlT_T0_E_clISt17integral_constantIbLb0EES1B_IbLb1EEEEDaS17_S18_EUlS17_E_NS1_11comp_targetILNS1_3genE3ELNS1_11target_archE908ELNS1_3gpuE7ELNS1_3repE0EEENS1_30default_config_static_selectorELNS0_4arch9wavefront6targetE1EEEvT1_
; %bb.0:
	.section	.rodata,"a",@progbits
	.p2align	6, 0x0
	.amdhsa_kernel _ZN7rocprim17ROCPRIM_400000_NS6detail17trampoline_kernelINS0_14default_configENS1_25partition_config_selectorILNS1_17partition_subalgoE8ElNS0_10empty_typeEbEEZZNS1_14partition_implILS5_8ELb0ES3_jPlPS6_PKS6_NS0_5tupleIJS9_S6_EEENSD_IJSA_SA_EEENS0_18inequality_wrapperIZN2at6native12_GLOBAL__N_124unique_dim_cuda_templateIlEESt5tupleIJNSH_6TensorESM_SM_EERKSM_lbbbEUlllE0_EEPmJS6_EEE10hipError_tPvRmT3_T4_T5_T6_T7_T9_mT8_P12ihipStream_tbDpT10_ENKUlT_T0_E_clISt17integral_constantIbLb0EES1B_IbLb1EEEEDaS17_S18_EUlS17_E_NS1_11comp_targetILNS1_3genE3ELNS1_11target_archE908ELNS1_3gpuE7ELNS1_3repE0EEENS1_30default_config_static_selectorELNS0_4arch9wavefront6targetE1EEEvT1_
		.amdhsa_group_segment_fixed_size 0
		.amdhsa_private_segment_fixed_size 0
		.amdhsa_kernarg_size 136
		.amdhsa_user_sgpr_count 2
		.amdhsa_user_sgpr_dispatch_ptr 0
		.amdhsa_user_sgpr_queue_ptr 0
		.amdhsa_user_sgpr_kernarg_segment_ptr 1
		.amdhsa_user_sgpr_dispatch_id 0
		.amdhsa_user_sgpr_kernarg_preload_length 0
		.amdhsa_user_sgpr_kernarg_preload_offset 0
		.amdhsa_user_sgpr_private_segment_size 0
		.amdhsa_uses_dynamic_stack 0
		.amdhsa_enable_private_segment 0
		.amdhsa_system_sgpr_workgroup_id_x 1
		.amdhsa_system_sgpr_workgroup_id_y 0
		.amdhsa_system_sgpr_workgroup_id_z 0
		.amdhsa_system_sgpr_workgroup_info 0
		.amdhsa_system_vgpr_workitem_id 0
		.amdhsa_next_free_vgpr 1
		.amdhsa_next_free_sgpr 0
		.amdhsa_accum_offset 4
		.amdhsa_reserve_vcc 0
		.amdhsa_float_round_mode_32 0
		.amdhsa_float_round_mode_16_64 0
		.amdhsa_float_denorm_mode_32 3
		.amdhsa_float_denorm_mode_16_64 3
		.amdhsa_dx10_clamp 1
		.amdhsa_ieee_mode 1
		.amdhsa_fp16_overflow 0
		.amdhsa_tg_split 0
		.amdhsa_exception_fp_ieee_invalid_op 0
		.amdhsa_exception_fp_denorm_src 0
		.amdhsa_exception_fp_ieee_div_zero 0
		.amdhsa_exception_fp_ieee_overflow 0
		.amdhsa_exception_fp_ieee_underflow 0
		.amdhsa_exception_fp_ieee_inexact 0
		.amdhsa_exception_int_div_zero 0
	.end_amdhsa_kernel
	.section	.text._ZN7rocprim17ROCPRIM_400000_NS6detail17trampoline_kernelINS0_14default_configENS1_25partition_config_selectorILNS1_17partition_subalgoE8ElNS0_10empty_typeEbEEZZNS1_14partition_implILS5_8ELb0ES3_jPlPS6_PKS6_NS0_5tupleIJS9_S6_EEENSD_IJSA_SA_EEENS0_18inequality_wrapperIZN2at6native12_GLOBAL__N_124unique_dim_cuda_templateIlEESt5tupleIJNSH_6TensorESM_SM_EERKSM_lbbbEUlllE0_EEPmJS6_EEE10hipError_tPvRmT3_T4_T5_T6_T7_T9_mT8_P12ihipStream_tbDpT10_ENKUlT_T0_E_clISt17integral_constantIbLb0EES1B_IbLb1EEEEDaS17_S18_EUlS17_E_NS1_11comp_targetILNS1_3genE3ELNS1_11target_archE908ELNS1_3gpuE7ELNS1_3repE0EEENS1_30default_config_static_selectorELNS0_4arch9wavefront6targetE1EEEvT1_,"axG",@progbits,_ZN7rocprim17ROCPRIM_400000_NS6detail17trampoline_kernelINS0_14default_configENS1_25partition_config_selectorILNS1_17partition_subalgoE8ElNS0_10empty_typeEbEEZZNS1_14partition_implILS5_8ELb0ES3_jPlPS6_PKS6_NS0_5tupleIJS9_S6_EEENSD_IJSA_SA_EEENS0_18inequality_wrapperIZN2at6native12_GLOBAL__N_124unique_dim_cuda_templateIlEESt5tupleIJNSH_6TensorESM_SM_EERKSM_lbbbEUlllE0_EEPmJS6_EEE10hipError_tPvRmT3_T4_T5_T6_T7_T9_mT8_P12ihipStream_tbDpT10_ENKUlT_T0_E_clISt17integral_constantIbLb0EES1B_IbLb1EEEEDaS17_S18_EUlS17_E_NS1_11comp_targetILNS1_3genE3ELNS1_11target_archE908ELNS1_3gpuE7ELNS1_3repE0EEENS1_30default_config_static_selectorELNS0_4arch9wavefront6targetE1EEEvT1_,comdat
.Lfunc_end594:
	.size	_ZN7rocprim17ROCPRIM_400000_NS6detail17trampoline_kernelINS0_14default_configENS1_25partition_config_selectorILNS1_17partition_subalgoE8ElNS0_10empty_typeEbEEZZNS1_14partition_implILS5_8ELb0ES3_jPlPS6_PKS6_NS0_5tupleIJS9_S6_EEENSD_IJSA_SA_EEENS0_18inequality_wrapperIZN2at6native12_GLOBAL__N_124unique_dim_cuda_templateIlEESt5tupleIJNSH_6TensorESM_SM_EERKSM_lbbbEUlllE0_EEPmJS6_EEE10hipError_tPvRmT3_T4_T5_T6_T7_T9_mT8_P12ihipStream_tbDpT10_ENKUlT_T0_E_clISt17integral_constantIbLb0EES1B_IbLb1EEEEDaS17_S18_EUlS17_E_NS1_11comp_targetILNS1_3genE3ELNS1_11target_archE908ELNS1_3gpuE7ELNS1_3repE0EEENS1_30default_config_static_selectorELNS0_4arch9wavefront6targetE1EEEvT1_, .Lfunc_end594-_ZN7rocprim17ROCPRIM_400000_NS6detail17trampoline_kernelINS0_14default_configENS1_25partition_config_selectorILNS1_17partition_subalgoE8ElNS0_10empty_typeEbEEZZNS1_14partition_implILS5_8ELb0ES3_jPlPS6_PKS6_NS0_5tupleIJS9_S6_EEENSD_IJSA_SA_EEENS0_18inequality_wrapperIZN2at6native12_GLOBAL__N_124unique_dim_cuda_templateIlEESt5tupleIJNSH_6TensorESM_SM_EERKSM_lbbbEUlllE0_EEPmJS6_EEE10hipError_tPvRmT3_T4_T5_T6_T7_T9_mT8_P12ihipStream_tbDpT10_ENKUlT_T0_E_clISt17integral_constantIbLb0EES1B_IbLb1EEEEDaS17_S18_EUlS17_E_NS1_11comp_targetILNS1_3genE3ELNS1_11target_archE908ELNS1_3gpuE7ELNS1_3repE0EEENS1_30default_config_static_selectorELNS0_4arch9wavefront6targetE1EEEvT1_
                                        ; -- End function
	.section	.AMDGPU.csdata,"",@progbits
; Kernel info:
; codeLenInByte = 0
; NumSgprs: 6
; NumVgprs: 0
; NumAgprs: 0
; TotalNumVgprs: 0
; ScratchSize: 0
; MemoryBound: 0
; FloatMode: 240
; IeeeMode: 1
; LDSByteSize: 0 bytes/workgroup (compile time only)
; SGPRBlocks: 0
; VGPRBlocks: 0
; NumSGPRsForWavesPerEU: 6
; NumVGPRsForWavesPerEU: 1
; AccumOffset: 4
; Occupancy: 8
; WaveLimiterHint : 0
; COMPUTE_PGM_RSRC2:SCRATCH_EN: 0
; COMPUTE_PGM_RSRC2:USER_SGPR: 2
; COMPUTE_PGM_RSRC2:TRAP_HANDLER: 0
; COMPUTE_PGM_RSRC2:TGID_X_EN: 1
; COMPUTE_PGM_RSRC2:TGID_Y_EN: 0
; COMPUTE_PGM_RSRC2:TGID_Z_EN: 0
; COMPUTE_PGM_RSRC2:TIDIG_COMP_CNT: 0
; COMPUTE_PGM_RSRC3_GFX90A:ACCUM_OFFSET: 0
; COMPUTE_PGM_RSRC3_GFX90A:TG_SPLIT: 0
	.section	.text._ZN7rocprim17ROCPRIM_400000_NS6detail17trampoline_kernelINS0_14default_configENS1_25partition_config_selectorILNS1_17partition_subalgoE8ElNS0_10empty_typeEbEEZZNS1_14partition_implILS5_8ELb0ES3_jPlPS6_PKS6_NS0_5tupleIJS9_S6_EEENSD_IJSA_SA_EEENS0_18inequality_wrapperIZN2at6native12_GLOBAL__N_124unique_dim_cuda_templateIlEESt5tupleIJNSH_6TensorESM_SM_EERKSM_lbbbEUlllE0_EEPmJS6_EEE10hipError_tPvRmT3_T4_T5_T6_T7_T9_mT8_P12ihipStream_tbDpT10_ENKUlT_T0_E_clISt17integral_constantIbLb0EES1B_IbLb1EEEEDaS17_S18_EUlS17_E_NS1_11comp_targetILNS1_3genE2ELNS1_11target_archE906ELNS1_3gpuE6ELNS1_3repE0EEENS1_30default_config_static_selectorELNS0_4arch9wavefront6targetE1EEEvT1_,"axG",@progbits,_ZN7rocprim17ROCPRIM_400000_NS6detail17trampoline_kernelINS0_14default_configENS1_25partition_config_selectorILNS1_17partition_subalgoE8ElNS0_10empty_typeEbEEZZNS1_14partition_implILS5_8ELb0ES3_jPlPS6_PKS6_NS0_5tupleIJS9_S6_EEENSD_IJSA_SA_EEENS0_18inequality_wrapperIZN2at6native12_GLOBAL__N_124unique_dim_cuda_templateIlEESt5tupleIJNSH_6TensorESM_SM_EERKSM_lbbbEUlllE0_EEPmJS6_EEE10hipError_tPvRmT3_T4_T5_T6_T7_T9_mT8_P12ihipStream_tbDpT10_ENKUlT_T0_E_clISt17integral_constantIbLb0EES1B_IbLb1EEEEDaS17_S18_EUlS17_E_NS1_11comp_targetILNS1_3genE2ELNS1_11target_archE906ELNS1_3gpuE6ELNS1_3repE0EEENS1_30default_config_static_selectorELNS0_4arch9wavefront6targetE1EEEvT1_,comdat
	.globl	_ZN7rocprim17ROCPRIM_400000_NS6detail17trampoline_kernelINS0_14default_configENS1_25partition_config_selectorILNS1_17partition_subalgoE8ElNS0_10empty_typeEbEEZZNS1_14partition_implILS5_8ELb0ES3_jPlPS6_PKS6_NS0_5tupleIJS9_S6_EEENSD_IJSA_SA_EEENS0_18inequality_wrapperIZN2at6native12_GLOBAL__N_124unique_dim_cuda_templateIlEESt5tupleIJNSH_6TensorESM_SM_EERKSM_lbbbEUlllE0_EEPmJS6_EEE10hipError_tPvRmT3_T4_T5_T6_T7_T9_mT8_P12ihipStream_tbDpT10_ENKUlT_T0_E_clISt17integral_constantIbLb0EES1B_IbLb1EEEEDaS17_S18_EUlS17_E_NS1_11comp_targetILNS1_3genE2ELNS1_11target_archE906ELNS1_3gpuE6ELNS1_3repE0EEENS1_30default_config_static_selectorELNS0_4arch9wavefront6targetE1EEEvT1_ ; -- Begin function _ZN7rocprim17ROCPRIM_400000_NS6detail17trampoline_kernelINS0_14default_configENS1_25partition_config_selectorILNS1_17partition_subalgoE8ElNS0_10empty_typeEbEEZZNS1_14partition_implILS5_8ELb0ES3_jPlPS6_PKS6_NS0_5tupleIJS9_S6_EEENSD_IJSA_SA_EEENS0_18inequality_wrapperIZN2at6native12_GLOBAL__N_124unique_dim_cuda_templateIlEESt5tupleIJNSH_6TensorESM_SM_EERKSM_lbbbEUlllE0_EEPmJS6_EEE10hipError_tPvRmT3_T4_T5_T6_T7_T9_mT8_P12ihipStream_tbDpT10_ENKUlT_T0_E_clISt17integral_constantIbLb0EES1B_IbLb1EEEEDaS17_S18_EUlS17_E_NS1_11comp_targetILNS1_3genE2ELNS1_11target_archE906ELNS1_3gpuE6ELNS1_3repE0EEENS1_30default_config_static_selectorELNS0_4arch9wavefront6targetE1EEEvT1_
	.p2align	8
	.type	_ZN7rocprim17ROCPRIM_400000_NS6detail17trampoline_kernelINS0_14default_configENS1_25partition_config_selectorILNS1_17partition_subalgoE8ElNS0_10empty_typeEbEEZZNS1_14partition_implILS5_8ELb0ES3_jPlPS6_PKS6_NS0_5tupleIJS9_S6_EEENSD_IJSA_SA_EEENS0_18inequality_wrapperIZN2at6native12_GLOBAL__N_124unique_dim_cuda_templateIlEESt5tupleIJNSH_6TensorESM_SM_EERKSM_lbbbEUlllE0_EEPmJS6_EEE10hipError_tPvRmT3_T4_T5_T6_T7_T9_mT8_P12ihipStream_tbDpT10_ENKUlT_T0_E_clISt17integral_constantIbLb0EES1B_IbLb1EEEEDaS17_S18_EUlS17_E_NS1_11comp_targetILNS1_3genE2ELNS1_11target_archE906ELNS1_3gpuE6ELNS1_3repE0EEENS1_30default_config_static_selectorELNS0_4arch9wavefront6targetE1EEEvT1_,@function
_ZN7rocprim17ROCPRIM_400000_NS6detail17trampoline_kernelINS0_14default_configENS1_25partition_config_selectorILNS1_17partition_subalgoE8ElNS0_10empty_typeEbEEZZNS1_14partition_implILS5_8ELb0ES3_jPlPS6_PKS6_NS0_5tupleIJS9_S6_EEENSD_IJSA_SA_EEENS0_18inequality_wrapperIZN2at6native12_GLOBAL__N_124unique_dim_cuda_templateIlEESt5tupleIJNSH_6TensorESM_SM_EERKSM_lbbbEUlllE0_EEPmJS6_EEE10hipError_tPvRmT3_T4_T5_T6_T7_T9_mT8_P12ihipStream_tbDpT10_ENKUlT_T0_E_clISt17integral_constantIbLb0EES1B_IbLb1EEEEDaS17_S18_EUlS17_E_NS1_11comp_targetILNS1_3genE2ELNS1_11target_archE906ELNS1_3gpuE6ELNS1_3repE0EEENS1_30default_config_static_selectorELNS0_4arch9wavefront6targetE1EEEvT1_: ; @_ZN7rocprim17ROCPRIM_400000_NS6detail17trampoline_kernelINS0_14default_configENS1_25partition_config_selectorILNS1_17partition_subalgoE8ElNS0_10empty_typeEbEEZZNS1_14partition_implILS5_8ELb0ES3_jPlPS6_PKS6_NS0_5tupleIJS9_S6_EEENSD_IJSA_SA_EEENS0_18inequality_wrapperIZN2at6native12_GLOBAL__N_124unique_dim_cuda_templateIlEESt5tupleIJNSH_6TensorESM_SM_EERKSM_lbbbEUlllE0_EEPmJS6_EEE10hipError_tPvRmT3_T4_T5_T6_T7_T9_mT8_P12ihipStream_tbDpT10_ENKUlT_T0_E_clISt17integral_constantIbLb0EES1B_IbLb1EEEEDaS17_S18_EUlS17_E_NS1_11comp_targetILNS1_3genE2ELNS1_11target_archE906ELNS1_3gpuE6ELNS1_3repE0EEENS1_30default_config_static_selectorELNS0_4arch9wavefront6targetE1EEEvT1_
; %bb.0:
	.section	.rodata,"a",@progbits
	.p2align	6, 0x0
	.amdhsa_kernel _ZN7rocprim17ROCPRIM_400000_NS6detail17trampoline_kernelINS0_14default_configENS1_25partition_config_selectorILNS1_17partition_subalgoE8ElNS0_10empty_typeEbEEZZNS1_14partition_implILS5_8ELb0ES3_jPlPS6_PKS6_NS0_5tupleIJS9_S6_EEENSD_IJSA_SA_EEENS0_18inequality_wrapperIZN2at6native12_GLOBAL__N_124unique_dim_cuda_templateIlEESt5tupleIJNSH_6TensorESM_SM_EERKSM_lbbbEUlllE0_EEPmJS6_EEE10hipError_tPvRmT3_T4_T5_T6_T7_T9_mT8_P12ihipStream_tbDpT10_ENKUlT_T0_E_clISt17integral_constantIbLb0EES1B_IbLb1EEEEDaS17_S18_EUlS17_E_NS1_11comp_targetILNS1_3genE2ELNS1_11target_archE906ELNS1_3gpuE6ELNS1_3repE0EEENS1_30default_config_static_selectorELNS0_4arch9wavefront6targetE1EEEvT1_
		.amdhsa_group_segment_fixed_size 0
		.amdhsa_private_segment_fixed_size 0
		.amdhsa_kernarg_size 136
		.amdhsa_user_sgpr_count 2
		.amdhsa_user_sgpr_dispatch_ptr 0
		.amdhsa_user_sgpr_queue_ptr 0
		.amdhsa_user_sgpr_kernarg_segment_ptr 1
		.amdhsa_user_sgpr_dispatch_id 0
		.amdhsa_user_sgpr_kernarg_preload_length 0
		.amdhsa_user_sgpr_kernarg_preload_offset 0
		.amdhsa_user_sgpr_private_segment_size 0
		.amdhsa_uses_dynamic_stack 0
		.amdhsa_enable_private_segment 0
		.amdhsa_system_sgpr_workgroup_id_x 1
		.amdhsa_system_sgpr_workgroup_id_y 0
		.amdhsa_system_sgpr_workgroup_id_z 0
		.amdhsa_system_sgpr_workgroup_info 0
		.amdhsa_system_vgpr_workitem_id 0
		.amdhsa_next_free_vgpr 1
		.amdhsa_next_free_sgpr 0
		.amdhsa_accum_offset 4
		.amdhsa_reserve_vcc 0
		.amdhsa_float_round_mode_32 0
		.amdhsa_float_round_mode_16_64 0
		.amdhsa_float_denorm_mode_32 3
		.amdhsa_float_denorm_mode_16_64 3
		.amdhsa_dx10_clamp 1
		.amdhsa_ieee_mode 1
		.amdhsa_fp16_overflow 0
		.amdhsa_tg_split 0
		.amdhsa_exception_fp_ieee_invalid_op 0
		.amdhsa_exception_fp_denorm_src 0
		.amdhsa_exception_fp_ieee_div_zero 0
		.amdhsa_exception_fp_ieee_overflow 0
		.amdhsa_exception_fp_ieee_underflow 0
		.amdhsa_exception_fp_ieee_inexact 0
		.amdhsa_exception_int_div_zero 0
	.end_amdhsa_kernel
	.section	.text._ZN7rocprim17ROCPRIM_400000_NS6detail17trampoline_kernelINS0_14default_configENS1_25partition_config_selectorILNS1_17partition_subalgoE8ElNS0_10empty_typeEbEEZZNS1_14partition_implILS5_8ELb0ES3_jPlPS6_PKS6_NS0_5tupleIJS9_S6_EEENSD_IJSA_SA_EEENS0_18inequality_wrapperIZN2at6native12_GLOBAL__N_124unique_dim_cuda_templateIlEESt5tupleIJNSH_6TensorESM_SM_EERKSM_lbbbEUlllE0_EEPmJS6_EEE10hipError_tPvRmT3_T4_T5_T6_T7_T9_mT8_P12ihipStream_tbDpT10_ENKUlT_T0_E_clISt17integral_constantIbLb0EES1B_IbLb1EEEEDaS17_S18_EUlS17_E_NS1_11comp_targetILNS1_3genE2ELNS1_11target_archE906ELNS1_3gpuE6ELNS1_3repE0EEENS1_30default_config_static_selectorELNS0_4arch9wavefront6targetE1EEEvT1_,"axG",@progbits,_ZN7rocprim17ROCPRIM_400000_NS6detail17trampoline_kernelINS0_14default_configENS1_25partition_config_selectorILNS1_17partition_subalgoE8ElNS0_10empty_typeEbEEZZNS1_14partition_implILS5_8ELb0ES3_jPlPS6_PKS6_NS0_5tupleIJS9_S6_EEENSD_IJSA_SA_EEENS0_18inequality_wrapperIZN2at6native12_GLOBAL__N_124unique_dim_cuda_templateIlEESt5tupleIJNSH_6TensorESM_SM_EERKSM_lbbbEUlllE0_EEPmJS6_EEE10hipError_tPvRmT3_T4_T5_T6_T7_T9_mT8_P12ihipStream_tbDpT10_ENKUlT_T0_E_clISt17integral_constantIbLb0EES1B_IbLb1EEEEDaS17_S18_EUlS17_E_NS1_11comp_targetILNS1_3genE2ELNS1_11target_archE906ELNS1_3gpuE6ELNS1_3repE0EEENS1_30default_config_static_selectorELNS0_4arch9wavefront6targetE1EEEvT1_,comdat
.Lfunc_end595:
	.size	_ZN7rocprim17ROCPRIM_400000_NS6detail17trampoline_kernelINS0_14default_configENS1_25partition_config_selectorILNS1_17partition_subalgoE8ElNS0_10empty_typeEbEEZZNS1_14partition_implILS5_8ELb0ES3_jPlPS6_PKS6_NS0_5tupleIJS9_S6_EEENSD_IJSA_SA_EEENS0_18inequality_wrapperIZN2at6native12_GLOBAL__N_124unique_dim_cuda_templateIlEESt5tupleIJNSH_6TensorESM_SM_EERKSM_lbbbEUlllE0_EEPmJS6_EEE10hipError_tPvRmT3_T4_T5_T6_T7_T9_mT8_P12ihipStream_tbDpT10_ENKUlT_T0_E_clISt17integral_constantIbLb0EES1B_IbLb1EEEEDaS17_S18_EUlS17_E_NS1_11comp_targetILNS1_3genE2ELNS1_11target_archE906ELNS1_3gpuE6ELNS1_3repE0EEENS1_30default_config_static_selectorELNS0_4arch9wavefront6targetE1EEEvT1_, .Lfunc_end595-_ZN7rocprim17ROCPRIM_400000_NS6detail17trampoline_kernelINS0_14default_configENS1_25partition_config_selectorILNS1_17partition_subalgoE8ElNS0_10empty_typeEbEEZZNS1_14partition_implILS5_8ELb0ES3_jPlPS6_PKS6_NS0_5tupleIJS9_S6_EEENSD_IJSA_SA_EEENS0_18inequality_wrapperIZN2at6native12_GLOBAL__N_124unique_dim_cuda_templateIlEESt5tupleIJNSH_6TensorESM_SM_EERKSM_lbbbEUlllE0_EEPmJS6_EEE10hipError_tPvRmT3_T4_T5_T6_T7_T9_mT8_P12ihipStream_tbDpT10_ENKUlT_T0_E_clISt17integral_constantIbLb0EES1B_IbLb1EEEEDaS17_S18_EUlS17_E_NS1_11comp_targetILNS1_3genE2ELNS1_11target_archE906ELNS1_3gpuE6ELNS1_3repE0EEENS1_30default_config_static_selectorELNS0_4arch9wavefront6targetE1EEEvT1_
                                        ; -- End function
	.section	.AMDGPU.csdata,"",@progbits
; Kernel info:
; codeLenInByte = 0
; NumSgprs: 6
; NumVgprs: 0
; NumAgprs: 0
; TotalNumVgprs: 0
; ScratchSize: 0
; MemoryBound: 0
; FloatMode: 240
; IeeeMode: 1
; LDSByteSize: 0 bytes/workgroup (compile time only)
; SGPRBlocks: 0
; VGPRBlocks: 0
; NumSGPRsForWavesPerEU: 6
; NumVGPRsForWavesPerEU: 1
; AccumOffset: 4
; Occupancy: 8
; WaveLimiterHint : 0
; COMPUTE_PGM_RSRC2:SCRATCH_EN: 0
; COMPUTE_PGM_RSRC2:USER_SGPR: 2
; COMPUTE_PGM_RSRC2:TRAP_HANDLER: 0
; COMPUTE_PGM_RSRC2:TGID_X_EN: 1
; COMPUTE_PGM_RSRC2:TGID_Y_EN: 0
; COMPUTE_PGM_RSRC2:TGID_Z_EN: 0
; COMPUTE_PGM_RSRC2:TIDIG_COMP_CNT: 0
; COMPUTE_PGM_RSRC3_GFX90A:ACCUM_OFFSET: 0
; COMPUTE_PGM_RSRC3_GFX90A:TG_SPLIT: 0
	.section	.text._ZN7rocprim17ROCPRIM_400000_NS6detail17trampoline_kernelINS0_14default_configENS1_25partition_config_selectorILNS1_17partition_subalgoE8ElNS0_10empty_typeEbEEZZNS1_14partition_implILS5_8ELb0ES3_jPlPS6_PKS6_NS0_5tupleIJS9_S6_EEENSD_IJSA_SA_EEENS0_18inequality_wrapperIZN2at6native12_GLOBAL__N_124unique_dim_cuda_templateIlEESt5tupleIJNSH_6TensorESM_SM_EERKSM_lbbbEUlllE0_EEPmJS6_EEE10hipError_tPvRmT3_T4_T5_T6_T7_T9_mT8_P12ihipStream_tbDpT10_ENKUlT_T0_E_clISt17integral_constantIbLb0EES1B_IbLb1EEEEDaS17_S18_EUlS17_E_NS1_11comp_targetILNS1_3genE10ELNS1_11target_archE1200ELNS1_3gpuE4ELNS1_3repE0EEENS1_30default_config_static_selectorELNS0_4arch9wavefront6targetE1EEEvT1_,"axG",@progbits,_ZN7rocprim17ROCPRIM_400000_NS6detail17trampoline_kernelINS0_14default_configENS1_25partition_config_selectorILNS1_17partition_subalgoE8ElNS0_10empty_typeEbEEZZNS1_14partition_implILS5_8ELb0ES3_jPlPS6_PKS6_NS0_5tupleIJS9_S6_EEENSD_IJSA_SA_EEENS0_18inequality_wrapperIZN2at6native12_GLOBAL__N_124unique_dim_cuda_templateIlEESt5tupleIJNSH_6TensorESM_SM_EERKSM_lbbbEUlllE0_EEPmJS6_EEE10hipError_tPvRmT3_T4_T5_T6_T7_T9_mT8_P12ihipStream_tbDpT10_ENKUlT_T0_E_clISt17integral_constantIbLb0EES1B_IbLb1EEEEDaS17_S18_EUlS17_E_NS1_11comp_targetILNS1_3genE10ELNS1_11target_archE1200ELNS1_3gpuE4ELNS1_3repE0EEENS1_30default_config_static_selectorELNS0_4arch9wavefront6targetE1EEEvT1_,comdat
	.globl	_ZN7rocprim17ROCPRIM_400000_NS6detail17trampoline_kernelINS0_14default_configENS1_25partition_config_selectorILNS1_17partition_subalgoE8ElNS0_10empty_typeEbEEZZNS1_14partition_implILS5_8ELb0ES3_jPlPS6_PKS6_NS0_5tupleIJS9_S6_EEENSD_IJSA_SA_EEENS0_18inequality_wrapperIZN2at6native12_GLOBAL__N_124unique_dim_cuda_templateIlEESt5tupleIJNSH_6TensorESM_SM_EERKSM_lbbbEUlllE0_EEPmJS6_EEE10hipError_tPvRmT3_T4_T5_T6_T7_T9_mT8_P12ihipStream_tbDpT10_ENKUlT_T0_E_clISt17integral_constantIbLb0EES1B_IbLb1EEEEDaS17_S18_EUlS17_E_NS1_11comp_targetILNS1_3genE10ELNS1_11target_archE1200ELNS1_3gpuE4ELNS1_3repE0EEENS1_30default_config_static_selectorELNS0_4arch9wavefront6targetE1EEEvT1_ ; -- Begin function _ZN7rocprim17ROCPRIM_400000_NS6detail17trampoline_kernelINS0_14default_configENS1_25partition_config_selectorILNS1_17partition_subalgoE8ElNS0_10empty_typeEbEEZZNS1_14partition_implILS5_8ELb0ES3_jPlPS6_PKS6_NS0_5tupleIJS9_S6_EEENSD_IJSA_SA_EEENS0_18inequality_wrapperIZN2at6native12_GLOBAL__N_124unique_dim_cuda_templateIlEESt5tupleIJNSH_6TensorESM_SM_EERKSM_lbbbEUlllE0_EEPmJS6_EEE10hipError_tPvRmT3_T4_T5_T6_T7_T9_mT8_P12ihipStream_tbDpT10_ENKUlT_T0_E_clISt17integral_constantIbLb0EES1B_IbLb1EEEEDaS17_S18_EUlS17_E_NS1_11comp_targetILNS1_3genE10ELNS1_11target_archE1200ELNS1_3gpuE4ELNS1_3repE0EEENS1_30default_config_static_selectorELNS0_4arch9wavefront6targetE1EEEvT1_
	.p2align	8
	.type	_ZN7rocprim17ROCPRIM_400000_NS6detail17trampoline_kernelINS0_14default_configENS1_25partition_config_selectorILNS1_17partition_subalgoE8ElNS0_10empty_typeEbEEZZNS1_14partition_implILS5_8ELb0ES3_jPlPS6_PKS6_NS0_5tupleIJS9_S6_EEENSD_IJSA_SA_EEENS0_18inequality_wrapperIZN2at6native12_GLOBAL__N_124unique_dim_cuda_templateIlEESt5tupleIJNSH_6TensorESM_SM_EERKSM_lbbbEUlllE0_EEPmJS6_EEE10hipError_tPvRmT3_T4_T5_T6_T7_T9_mT8_P12ihipStream_tbDpT10_ENKUlT_T0_E_clISt17integral_constantIbLb0EES1B_IbLb1EEEEDaS17_S18_EUlS17_E_NS1_11comp_targetILNS1_3genE10ELNS1_11target_archE1200ELNS1_3gpuE4ELNS1_3repE0EEENS1_30default_config_static_selectorELNS0_4arch9wavefront6targetE1EEEvT1_,@function
_ZN7rocprim17ROCPRIM_400000_NS6detail17trampoline_kernelINS0_14default_configENS1_25partition_config_selectorILNS1_17partition_subalgoE8ElNS0_10empty_typeEbEEZZNS1_14partition_implILS5_8ELb0ES3_jPlPS6_PKS6_NS0_5tupleIJS9_S6_EEENSD_IJSA_SA_EEENS0_18inequality_wrapperIZN2at6native12_GLOBAL__N_124unique_dim_cuda_templateIlEESt5tupleIJNSH_6TensorESM_SM_EERKSM_lbbbEUlllE0_EEPmJS6_EEE10hipError_tPvRmT3_T4_T5_T6_T7_T9_mT8_P12ihipStream_tbDpT10_ENKUlT_T0_E_clISt17integral_constantIbLb0EES1B_IbLb1EEEEDaS17_S18_EUlS17_E_NS1_11comp_targetILNS1_3genE10ELNS1_11target_archE1200ELNS1_3gpuE4ELNS1_3repE0EEENS1_30default_config_static_selectorELNS0_4arch9wavefront6targetE1EEEvT1_: ; @_ZN7rocprim17ROCPRIM_400000_NS6detail17trampoline_kernelINS0_14default_configENS1_25partition_config_selectorILNS1_17partition_subalgoE8ElNS0_10empty_typeEbEEZZNS1_14partition_implILS5_8ELb0ES3_jPlPS6_PKS6_NS0_5tupleIJS9_S6_EEENSD_IJSA_SA_EEENS0_18inequality_wrapperIZN2at6native12_GLOBAL__N_124unique_dim_cuda_templateIlEESt5tupleIJNSH_6TensorESM_SM_EERKSM_lbbbEUlllE0_EEPmJS6_EEE10hipError_tPvRmT3_T4_T5_T6_T7_T9_mT8_P12ihipStream_tbDpT10_ENKUlT_T0_E_clISt17integral_constantIbLb0EES1B_IbLb1EEEEDaS17_S18_EUlS17_E_NS1_11comp_targetILNS1_3genE10ELNS1_11target_archE1200ELNS1_3gpuE4ELNS1_3repE0EEENS1_30default_config_static_selectorELNS0_4arch9wavefront6targetE1EEEvT1_
; %bb.0:
	.section	.rodata,"a",@progbits
	.p2align	6, 0x0
	.amdhsa_kernel _ZN7rocprim17ROCPRIM_400000_NS6detail17trampoline_kernelINS0_14default_configENS1_25partition_config_selectorILNS1_17partition_subalgoE8ElNS0_10empty_typeEbEEZZNS1_14partition_implILS5_8ELb0ES3_jPlPS6_PKS6_NS0_5tupleIJS9_S6_EEENSD_IJSA_SA_EEENS0_18inequality_wrapperIZN2at6native12_GLOBAL__N_124unique_dim_cuda_templateIlEESt5tupleIJNSH_6TensorESM_SM_EERKSM_lbbbEUlllE0_EEPmJS6_EEE10hipError_tPvRmT3_T4_T5_T6_T7_T9_mT8_P12ihipStream_tbDpT10_ENKUlT_T0_E_clISt17integral_constantIbLb0EES1B_IbLb1EEEEDaS17_S18_EUlS17_E_NS1_11comp_targetILNS1_3genE10ELNS1_11target_archE1200ELNS1_3gpuE4ELNS1_3repE0EEENS1_30default_config_static_selectorELNS0_4arch9wavefront6targetE1EEEvT1_
		.amdhsa_group_segment_fixed_size 0
		.amdhsa_private_segment_fixed_size 0
		.amdhsa_kernarg_size 136
		.amdhsa_user_sgpr_count 2
		.amdhsa_user_sgpr_dispatch_ptr 0
		.amdhsa_user_sgpr_queue_ptr 0
		.amdhsa_user_sgpr_kernarg_segment_ptr 1
		.amdhsa_user_sgpr_dispatch_id 0
		.amdhsa_user_sgpr_kernarg_preload_length 0
		.amdhsa_user_sgpr_kernarg_preload_offset 0
		.amdhsa_user_sgpr_private_segment_size 0
		.amdhsa_uses_dynamic_stack 0
		.amdhsa_enable_private_segment 0
		.amdhsa_system_sgpr_workgroup_id_x 1
		.amdhsa_system_sgpr_workgroup_id_y 0
		.amdhsa_system_sgpr_workgroup_id_z 0
		.amdhsa_system_sgpr_workgroup_info 0
		.amdhsa_system_vgpr_workitem_id 0
		.amdhsa_next_free_vgpr 1
		.amdhsa_next_free_sgpr 0
		.amdhsa_accum_offset 4
		.amdhsa_reserve_vcc 0
		.amdhsa_float_round_mode_32 0
		.amdhsa_float_round_mode_16_64 0
		.amdhsa_float_denorm_mode_32 3
		.amdhsa_float_denorm_mode_16_64 3
		.amdhsa_dx10_clamp 1
		.amdhsa_ieee_mode 1
		.amdhsa_fp16_overflow 0
		.amdhsa_tg_split 0
		.amdhsa_exception_fp_ieee_invalid_op 0
		.amdhsa_exception_fp_denorm_src 0
		.amdhsa_exception_fp_ieee_div_zero 0
		.amdhsa_exception_fp_ieee_overflow 0
		.amdhsa_exception_fp_ieee_underflow 0
		.amdhsa_exception_fp_ieee_inexact 0
		.amdhsa_exception_int_div_zero 0
	.end_amdhsa_kernel
	.section	.text._ZN7rocprim17ROCPRIM_400000_NS6detail17trampoline_kernelINS0_14default_configENS1_25partition_config_selectorILNS1_17partition_subalgoE8ElNS0_10empty_typeEbEEZZNS1_14partition_implILS5_8ELb0ES3_jPlPS6_PKS6_NS0_5tupleIJS9_S6_EEENSD_IJSA_SA_EEENS0_18inequality_wrapperIZN2at6native12_GLOBAL__N_124unique_dim_cuda_templateIlEESt5tupleIJNSH_6TensorESM_SM_EERKSM_lbbbEUlllE0_EEPmJS6_EEE10hipError_tPvRmT3_T4_T5_T6_T7_T9_mT8_P12ihipStream_tbDpT10_ENKUlT_T0_E_clISt17integral_constantIbLb0EES1B_IbLb1EEEEDaS17_S18_EUlS17_E_NS1_11comp_targetILNS1_3genE10ELNS1_11target_archE1200ELNS1_3gpuE4ELNS1_3repE0EEENS1_30default_config_static_selectorELNS0_4arch9wavefront6targetE1EEEvT1_,"axG",@progbits,_ZN7rocprim17ROCPRIM_400000_NS6detail17trampoline_kernelINS0_14default_configENS1_25partition_config_selectorILNS1_17partition_subalgoE8ElNS0_10empty_typeEbEEZZNS1_14partition_implILS5_8ELb0ES3_jPlPS6_PKS6_NS0_5tupleIJS9_S6_EEENSD_IJSA_SA_EEENS0_18inequality_wrapperIZN2at6native12_GLOBAL__N_124unique_dim_cuda_templateIlEESt5tupleIJNSH_6TensorESM_SM_EERKSM_lbbbEUlllE0_EEPmJS6_EEE10hipError_tPvRmT3_T4_T5_T6_T7_T9_mT8_P12ihipStream_tbDpT10_ENKUlT_T0_E_clISt17integral_constantIbLb0EES1B_IbLb1EEEEDaS17_S18_EUlS17_E_NS1_11comp_targetILNS1_3genE10ELNS1_11target_archE1200ELNS1_3gpuE4ELNS1_3repE0EEENS1_30default_config_static_selectorELNS0_4arch9wavefront6targetE1EEEvT1_,comdat
.Lfunc_end596:
	.size	_ZN7rocprim17ROCPRIM_400000_NS6detail17trampoline_kernelINS0_14default_configENS1_25partition_config_selectorILNS1_17partition_subalgoE8ElNS0_10empty_typeEbEEZZNS1_14partition_implILS5_8ELb0ES3_jPlPS6_PKS6_NS0_5tupleIJS9_S6_EEENSD_IJSA_SA_EEENS0_18inequality_wrapperIZN2at6native12_GLOBAL__N_124unique_dim_cuda_templateIlEESt5tupleIJNSH_6TensorESM_SM_EERKSM_lbbbEUlllE0_EEPmJS6_EEE10hipError_tPvRmT3_T4_T5_T6_T7_T9_mT8_P12ihipStream_tbDpT10_ENKUlT_T0_E_clISt17integral_constantIbLb0EES1B_IbLb1EEEEDaS17_S18_EUlS17_E_NS1_11comp_targetILNS1_3genE10ELNS1_11target_archE1200ELNS1_3gpuE4ELNS1_3repE0EEENS1_30default_config_static_selectorELNS0_4arch9wavefront6targetE1EEEvT1_, .Lfunc_end596-_ZN7rocprim17ROCPRIM_400000_NS6detail17trampoline_kernelINS0_14default_configENS1_25partition_config_selectorILNS1_17partition_subalgoE8ElNS0_10empty_typeEbEEZZNS1_14partition_implILS5_8ELb0ES3_jPlPS6_PKS6_NS0_5tupleIJS9_S6_EEENSD_IJSA_SA_EEENS0_18inequality_wrapperIZN2at6native12_GLOBAL__N_124unique_dim_cuda_templateIlEESt5tupleIJNSH_6TensorESM_SM_EERKSM_lbbbEUlllE0_EEPmJS6_EEE10hipError_tPvRmT3_T4_T5_T6_T7_T9_mT8_P12ihipStream_tbDpT10_ENKUlT_T0_E_clISt17integral_constantIbLb0EES1B_IbLb1EEEEDaS17_S18_EUlS17_E_NS1_11comp_targetILNS1_3genE10ELNS1_11target_archE1200ELNS1_3gpuE4ELNS1_3repE0EEENS1_30default_config_static_selectorELNS0_4arch9wavefront6targetE1EEEvT1_
                                        ; -- End function
	.section	.AMDGPU.csdata,"",@progbits
; Kernel info:
; codeLenInByte = 0
; NumSgprs: 6
; NumVgprs: 0
; NumAgprs: 0
; TotalNumVgprs: 0
; ScratchSize: 0
; MemoryBound: 0
; FloatMode: 240
; IeeeMode: 1
; LDSByteSize: 0 bytes/workgroup (compile time only)
; SGPRBlocks: 0
; VGPRBlocks: 0
; NumSGPRsForWavesPerEU: 6
; NumVGPRsForWavesPerEU: 1
; AccumOffset: 4
; Occupancy: 8
; WaveLimiterHint : 0
; COMPUTE_PGM_RSRC2:SCRATCH_EN: 0
; COMPUTE_PGM_RSRC2:USER_SGPR: 2
; COMPUTE_PGM_RSRC2:TRAP_HANDLER: 0
; COMPUTE_PGM_RSRC2:TGID_X_EN: 1
; COMPUTE_PGM_RSRC2:TGID_Y_EN: 0
; COMPUTE_PGM_RSRC2:TGID_Z_EN: 0
; COMPUTE_PGM_RSRC2:TIDIG_COMP_CNT: 0
; COMPUTE_PGM_RSRC3_GFX90A:ACCUM_OFFSET: 0
; COMPUTE_PGM_RSRC3_GFX90A:TG_SPLIT: 0
	.section	.text._ZN7rocprim17ROCPRIM_400000_NS6detail17trampoline_kernelINS0_14default_configENS1_25partition_config_selectorILNS1_17partition_subalgoE8ElNS0_10empty_typeEbEEZZNS1_14partition_implILS5_8ELb0ES3_jPlPS6_PKS6_NS0_5tupleIJS9_S6_EEENSD_IJSA_SA_EEENS0_18inequality_wrapperIZN2at6native12_GLOBAL__N_124unique_dim_cuda_templateIlEESt5tupleIJNSH_6TensorESM_SM_EERKSM_lbbbEUlllE0_EEPmJS6_EEE10hipError_tPvRmT3_T4_T5_T6_T7_T9_mT8_P12ihipStream_tbDpT10_ENKUlT_T0_E_clISt17integral_constantIbLb0EES1B_IbLb1EEEEDaS17_S18_EUlS17_E_NS1_11comp_targetILNS1_3genE9ELNS1_11target_archE1100ELNS1_3gpuE3ELNS1_3repE0EEENS1_30default_config_static_selectorELNS0_4arch9wavefront6targetE1EEEvT1_,"axG",@progbits,_ZN7rocprim17ROCPRIM_400000_NS6detail17trampoline_kernelINS0_14default_configENS1_25partition_config_selectorILNS1_17partition_subalgoE8ElNS0_10empty_typeEbEEZZNS1_14partition_implILS5_8ELb0ES3_jPlPS6_PKS6_NS0_5tupleIJS9_S6_EEENSD_IJSA_SA_EEENS0_18inequality_wrapperIZN2at6native12_GLOBAL__N_124unique_dim_cuda_templateIlEESt5tupleIJNSH_6TensorESM_SM_EERKSM_lbbbEUlllE0_EEPmJS6_EEE10hipError_tPvRmT3_T4_T5_T6_T7_T9_mT8_P12ihipStream_tbDpT10_ENKUlT_T0_E_clISt17integral_constantIbLb0EES1B_IbLb1EEEEDaS17_S18_EUlS17_E_NS1_11comp_targetILNS1_3genE9ELNS1_11target_archE1100ELNS1_3gpuE3ELNS1_3repE0EEENS1_30default_config_static_selectorELNS0_4arch9wavefront6targetE1EEEvT1_,comdat
	.globl	_ZN7rocprim17ROCPRIM_400000_NS6detail17trampoline_kernelINS0_14default_configENS1_25partition_config_selectorILNS1_17partition_subalgoE8ElNS0_10empty_typeEbEEZZNS1_14partition_implILS5_8ELb0ES3_jPlPS6_PKS6_NS0_5tupleIJS9_S6_EEENSD_IJSA_SA_EEENS0_18inequality_wrapperIZN2at6native12_GLOBAL__N_124unique_dim_cuda_templateIlEESt5tupleIJNSH_6TensorESM_SM_EERKSM_lbbbEUlllE0_EEPmJS6_EEE10hipError_tPvRmT3_T4_T5_T6_T7_T9_mT8_P12ihipStream_tbDpT10_ENKUlT_T0_E_clISt17integral_constantIbLb0EES1B_IbLb1EEEEDaS17_S18_EUlS17_E_NS1_11comp_targetILNS1_3genE9ELNS1_11target_archE1100ELNS1_3gpuE3ELNS1_3repE0EEENS1_30default_config_static_selectorELNS0_4arch9wavefront6targetE1EEEvT1_ ; -- Begin function _ZN7rocprim17ROCPRIM_400000_NS6detail17trampoline_kernelINS0_14default_configENS1_25partition_config_selectorILNS1_17partition_subalgoE8ElNS0_10empty_typeEbEEZZNS1_14partition_implILS5_8ELb0ES3_jPlPS6_PKS6_NS0_5tupleIJS9_S6_EEENSD_IJSA_SA_EEENS0_18inequality_wrapperIZN2at6native12_GLOBAL__N_124unique_dim_cuda_templateIlEESt5tupleIJNSH_6TensorESM_SM_EERKSM_lbbbEUlllE0_EEPmJS6_EEE10hipError_tPvRmT3_T4_T5_T6_T7_T9_mT8_P12ihipStream_tbDpT10_ENKUlT_T0_E_clISt17integral_constantIbLb0EES1B_IbLb1EEEEDaS17_S18_EUlS17_E_NS1_11comp_targetILNS1_3genE9ELNS1_11target_archE1100ELNS1_3gpuE3ELNS1_3repE0EEENS1_30default_config_static_selectorELNS0_4arch9wavefront6targetE1EEEvT1_
	.p2align	8
	.type	_ZN7rocprim17ROCPRIM_400000_NS6detail17trampoline_kernelINS0_14default_configENS1_25partition_config_selectorILNS1_17partition_subalgoE8ElNS0_10empty_typeEbEEZZNS1_14partition_implILS5_8ELb0ES3_jPlPS6_PKS6_NS0_5tupleIJS9_S6_EEENSD_IJSA_SA_EEENS0_18inequality_wrapperIZN2at6native12_GLOBAL__N_124unique_dim_cuda_templateIlEESt5tupleIJNSH_6TensorESM_SM_EERKSM_lbbbEUlllE0_EEPmJS6_EEE10hipError_tPvRmT3_T4_T5_T6_T7_T9_mT8_P12ihipStream_tbDpT10_ENKUlT_T0_E_clISt17integral_constantIbLb0EES1B_IbLb1EEEEDaS17_S18_EUlS17_E_NS1_11comp_targetILNS1_3genE9ELNS1_11target_archE1100ELNS1_3gpuE3ELNS1_3repE0EEENS1_30default_config_static_selectorELNS0_4arch9wavefront6targetE1EEEvT1_,@function
_ZN7rocprim17ROCPRIM_400000_NS6detail17trampoline_kernelINS0_14default_configENS1_25partition_config_selectorILNS1_17partition_subalgoE8ElNS0_10empty_typeEbEEZZNS1_14partition_implILS5_8ELb0ES3_jPlPS6_PKS6_NS0_5tupleIJS9_S6_EEENSD_IJSA_SA_EEENS0_18inequality_wrapperIZN2at6native12_GLOBAL__N_124unique_dim_cuda_templateIlEESt5tupleIJNSH_6TensorESM_SM_EERKSM_lbbbEUlllE0_EEPmJS6_EEE10hipError_tPvRmT3_T4_T5_T6_T7_T9_mT8_P12ihipStream_tbDpT10_ENKUlT_T0_E_clISt17integral_constantIbLb0EES1B_IbLb1EEEEDaS17_S18_EUlS17_E_NS1_11comp_targetILNS1_3genE9ELNS1_11target_archE1100ELNS1_3gpuE3ELNS1_3repE0EEENS1_30default_config_static_selectorELNS0_4arch9wavefront6targetE1EEEvT1_: ; @_ZN7rocprim17ROCPRIM_400000_NS6detail17trampoline_kernelINS0_14default_configENS1_25partition_config_selectorILNS1_17partition_subalgoE8ElNS0_10empty_typeEbEEZZNS1_14partition_implILS5_8ELb0ES3_jPlPS6_PKS6_NS0_5tupleIJS9_S6_EEENSD_IJSA_SA_EEENS0_18inequality_wrapperIZN2at6native12_GLOBAL__N_124unique_dim_cuda_templateIlEESt5tupleIJNSH_6TensorESM_SM_EERKSM_lbbbEUlllE0_EEPmJS6_EEE10hipError_tPvRmT3_T4_T5_T6_T7_T9_mT8_P12ihipStream_tbDpT10_ENKUlT_T0_E_clISt17integral_constantIbLb0EES1B_IbLb1EEEEDaS17_S18_EUlS17_E_NS1_11comp_targetILNS1_3genE9ELNS1_11target_archE1100ELNS1_3gpuE3ELNS1_3repE0EEENS1_30default_config_static_selectorELNS0_4arch9wavefront6targetE1EEEvT1_
; %bb.0:
	.section	.rodata,"a",@progbits
	.p2align	6, 0x0
	.amdhsa_kernel _ZN7rocprim17ROCPRIM_400000_NS6detail17trampoline_kernelINS0_14default_configENS1_25partition_config_selectorILNS1_17partition_subalgoE8ElNS0_10empty_typeEbEEZZNS1_14partition_implILS5_8ELb0ES3_jPlPS6_PKS6_NS0_5tupleIJS9_S6_EEENSD_IJSA_SA_EEENS0_18inequality_wrapperIZN2at6native12_GLOBAL__N_124unique_dim_cuda_templateIlEESt5tupleIJNSH_6TensorESM_SM_EERKSM_lbbbEUlllE0_EEPmJS6_EEE10hipError_tPvRmT3_T4_T5_T6_T7_T9_mT8_P12ihipStream_tbDpT10_ENKUlT_T0_E_clISt17integral_constantIbLb0EES1B_IbLb1EEEEDaS17_S18_EUlS17_E_NS1_11comp_targetILNS1_3genE9ELNS1_11target_archE1100ELNS1_3gpuE3ELNS1_3repE0EEENS1_30default_config_static_selectorELNS0_4arch9wavefront6targetE1EEEvT1_
		.amdhsa_group_segment_fixed_size 0
		.amdhsa_private_segment_fixed_size 0
		.amdhsa_kernarg_size 136
		.amdhsa_user_sgpr_count 2
		.amdhsa_user_sgpr_dispatch_ptr 0
		.amdhsa_user_sgpr_queue_ptr 0
		.amdhsa_user_sgpr_kernarg_segment_ptr 1
		.amdhsa_user_sgpr_dispatch_id 0
		.amdhsa_user_sgpr_kernarg_preload_length 0
		.amdhsa_user_sgpr_kernarg_preload_offset 0
		.amdhsa_user_sgpr_private_segment_size 0
		.amdhsa_uses_dynamic_stack 0
		.amdhsa_enable_private_segment 0
		.amdhsa_system_sgpr_workgroup_id_x 1
		.amdhsa_system_sgpr_workgroup_id_y 0
		.amdhsa_system_sgpr_workgroup_id_z 0
		.amdhsa_system_sgpr_workgroup_info 0
		.amdhsa_system_vgpr_workitem_id 0
		.amdhsa_next_free_vgpr 1
		.amdhsa_next_free_sgpr 0
		.amdhsa_accum_offset 4
		.amdhsa_reserve_vcc 0
		.amdhsa_float_round_mode_32 0
		.amdhsa_float_round_mode_16_64 0
		.amdhsa_float_denorm_mode_32 3
		.amdhsa_float_denorm_mode_16_64 3
		.amdhsa_dx10_clamp 1
		.amdhsa_ieee_mode 1
		.amdhsa_fp16_overflow 0
		.amdhsa_tg_split 0
		.amdhsa_exception_fp_ieee_invalid_op 0
		.amdhsa_exception_fp_denorm_src 0
		.amdhsa_exception_fp_ieee_div_zero 0
		.amdhsa_exception_fp_ieee_overflow 0
		.amdhsa_exception_fp_ieee_underflow 0
		.amdhsa_exception_fp_ieee_inexact 0
		.amdhsa_exception_int_div_zero 0
	.end_amdhsa_kernel
	.section	.text._ZN7rocprim17ROCPRIM_400000_NS6detail17trampoline_kernelINS0_14default_configENS1_25partition_config_selectorILNS1_17partition_subalgoE8ElNS0_10empty_typeEbEEZZNS1_14partition_implILS5_8ELb0ES3_jPlPS6_PKS6_NS0_5tupleIJS9_S6_EEENSD_IJSA_SA_EEENS0_18inequality_wrapperIZN2at6native12_GLOBAL__N_124unique_dim_cuda_templateIlEESt5tupleIJNSH_6TensorESM_SM_EERKSM_lbbbEUlllE0_EEPmJS6_EEE10hipError_tPvRmT3_T4_T5_T6_T7_T9_mT8_P12ihipStream_tbDpT10_ENKUlT_T0_E_clISt17integral_constantIbLb0EES1B_IbLb1EEEEDaS17_S18_EUlS17_E_NS1_11comp_targetILNS1_3genE9ELNS1_11target_archE1100ELNS1_3gpuE3ELNS1_3repE0EEENS1_30default_config_static_selectorELNS0_4arch9wavefront6targetE1EEEvT1_,"axG",@progbits,_ZN7rocprim17ROCPRIM_400000_NS6detail17trampoline_kernelINS0_14default_configENS1_25partition_config_selectorILNS1_17partition_subalgoE8ElNS0_10empty_typeEbEEZZNS1_14partition_implILS5_8ELb0ES3_jPlPS6_PKS6_NS0_5tupleIJS9_S6_EEENSD_IJSA_SA_EEENS0_18inequality_wrapperIZN2at6native12_GLOBAL__N_124unique_dim_cuda_templateIlEESt5tupleIJNSH_6TensorESM_SM_EERKSM_lbbbEUlllE0_EEPmJS6_EEE10hipError_tPvRmT3_T4_T5_T6_T7_T9_mT8_P12ihipStream_tbDpT10_ENKUlT_T0_E_clISt17integral_constantIbLb0EES1B_IbLb1EEEEDaS17_S18_EUlS17_E_NS1_11comp_targetILNS1_3genE9ELNS1_11target_archE1100ELNS1_3gpuE3ELNS1_3repE0EEENS1_30default_config_static_selectorELNS0_4arch9wavefront6targetE1EEEvT1_,comdat
.Lfunc_end597:
	.size	_ZN7rocprim17ROCPRIM_400000_NS6detail17trampoline_kernelINS0_14default_configENS1_25partition_config_selectorILNS1_17partition_subalgoE8ElNS0_10empty_typeEbEEZZNS1_14partition_implILS5_8ELb0ES3_jPlPS6_PKS6_NS0_5tupleIJS9_S6_EEENSD_IJSA_SA_EEENS0_18inequality_wrapperIZN2at6native12_GLOBAL__N_124unique_dim_cuda_templateIlEESt5tupleIJNSH_6TensorESM_SM_EERKSM_lbbbEUlllE0_EEPmJS6_EEE10hipError_tPvRmT3_T4_T5_T6_T7_T9_mT8_P12ihipStream_tbDpT10_ENKUlT_T0_E_clISt17integral_constantIbLb0EES1B_IbLb1EEEEDaS17_S18_EUlS17_E_NS1_11comp_targetILNS1_3genE9ELNS1_11target_archE1100ELNS1_3gpuE3ELNS1_3repE0EEENS1_30default_config_static_selectorELNS0_4arch9wavefront6targetE1EEEvT1_, .Lfunc_end597-_ZN7rocprim17ROCPRIM_400000_NS6detail17trampoline_kernelINS0_14default_configENS1_25partition_config_selectorILNS1_17partition_subalgoE8ElNS0_10empty_typeEbEEZZNS1_14partition_implILS5_8ELb0ES3_jPlPS6_PKS6_NS0_5tupleIJS9_S6_EEENSD_IJSA_SA_EEENS0_18inequality_wrapperIZN2at6native12_GLOBAL__N_124unique_dim_cuda_templateIlEESt5tupleIJNSH_6TensorESM_SM_EERKSM_lbbbEUlllE0_EEPmJS6_EEE10hipError_tPvRmT3_T4_T5_T6_T7_T9_mT8_P12ihipStream_tbDpT10_ENKUlT_T0_E_clISt17integral_constantIbLb0EES1B_IbLb1EEEEDaS17_S18_EUlS17_E_NS1_11comp_targetILNS1_3genE9ELNS1_11target_archE1100ELNS1_3gpuE3ELNS1_3repE0EEENS1_30default_config_static_selectorELNS0_4arch9wavefront6targetE1EEEvT1_
                                        ; -- End function
	.section	.AMDGPU.csdata,"",@progbits
; Kernel info:
; codeLenInByte = 0
; NumSgprs: 6
; NumVgprs: 0
; NumAgprs: 0
; TotalNumVgprs: 0
; ScratchSize: 0
; MemoryBound: 0
; FloatMode: 240
; IeeeMode: 1
; LDSByteSize: 0 bytes/workgroup (compile time only)
; SGPRBlocks: 0
; VGPRBlocks: 0
; NumSGPRsForWavesPerEU: 6
; NumVGPRsForWavesPerEU: 1
; AccumOffset: 4
; Occupancy: 8
; WaveLimiterHint : 0
; COMPUTE_PGM_RSRC2:SCRATCH_EN: 0
; COMPUTE_PGM_RSRC2:USER_SGPR: 2
; COMPUTE_PGM_RSRC2:TRAP_HANDLER: 0
; COMPUTE_PGM_RSRC2:TGID_X_EN: 1
; COMPUTE_PGM_RSRC2:TGID_Y_EN: 0
; COMPUTE_PGM_RSRC2:TGID_Z_EN: 0
; COMPUTE_PGM_RSRC2:TIDIG_COMP_CNT: 0
; COMPUTE_PGM_RSRC3_GFX90A:ACCUM_OFFSET: 0
; COMPUTE_PGM_RSRC3_GFX90A:TG_SPLIT: 0
	.section	.text._ZN7rocprim17ROCPRIM_400000_NS6detail17trampoline_kernelINS0_14default_configENS1_25partition_config_selectorILNS1_17partition_subalgoE8ElNS0_10empty_typeEbEEZZNS1_14partition_implILS5_8ELb0ES3_jPlPS6_PKS6_NS0_5tupleIJS9_S6_EEENSD_IJSA_SA_EEENS0_18inequality_wrapperIZN2at6native12_GLOBAL__N_124unique_dim_cuda_templateIlEESt5tupleIJNSH_6TensorESM_SM_EERKSM_lbbbEUlllE0_EEPmJS6_EEE10hipError_tPvRmT3_T4_T5_T6_T7_T9_mT8_P12ihipStream_tbDpT10_ENKUlT_T0_E_clISt17integral_constantIbLb0EES1B_IbLb1EEEEDaS17_S18_EUlS17_E_NS1_11comp_targetILNS1_3genE8ELNS1_11target_archE1030ELNS1_3gpuE2ELNS1_3repE0EEENS1_30default_config_static_selectorELNS0_4arch9wavefront6targetE1EEEvT1_,"axG",@progbits,_ZN7rocprim17ROCPRIM_400000_NS6detail17trampoline_kernelINS0_14default_configENS1_25partition_config_selectorILNS1_17partition_subalgoE8ElNS0_10empty_typeEbEEZZNS1_14partition_implILS5_8ELb0ES3_jPlPS6_PKS6_NS0_5tupleIJS9_S6_EEENSD_IJSA_SA_EEENS0_18inequality_wrapperIZN2at6native12_GLOBAL__N_124unique_dim_cuda_templateIlEESt5tupleIJNSH_6TensorESM_SM_EERKSM_lbbbEUlllE0_EEPmJS6_EEE10hipError_tPvRmT3_T4_T5_T6_T7_T9_mT8_P12ihipStream_tbDpT10_ENKUlT_T0_E_clISt17integral_constantIbLb0EES1B_IbLb1EEEEDaS17_S18_EUlS17_E_NS1_11comp_targetILNS1_3genE8ELNS1_11target_archE1030ELNS1_3gpuE2ELNS1_3repE0EEENS1_30default_config_static_selectorELNS0_4arch9wavefront6targetE1EEEvT1_,comdat
	.globl	_ZN7rocprim17ROCPRIM_400000_NS6detail17trampoline_kernelINS0_14default_configENS1_25partition_config_selectorILNS1_17partition_subalgoE8ElNS0_10empty_typeEbEEZZNS1_14partition_implILS5_8ELb0ES3_jPlPS6_PKS6_NS0_5tupleIJS9_S6_EEENSD_IJSA_SA_EEENS0_18inequality_wrapperIZN2at6native12_GLOBAL__N_124unique_dim_cuda_templateIlEESt5tupleIJNSH_6TensorESM_SM_EERKSM_lbbbEUlllE0_EEPmJS6_EEE10hipError_tPvRmT3_T4_T5_T6_T7_T9_mT8_P12ihipStream_tbDpT10_ENKUlT_T0_E_clISt17integral_constantIbLb0EES1B_IbLb1EEEEDaS17_S18_EUlS17_E_NS1_11comp_targetILNS1_3genE8ELNS1_11target_archE1030ELNS1_3gpuE2ELNS1_3repE0EEENS1_30default_config_static_selectorELNS0_4arch9wavefront6targetE1EEEvT1_ ; -- Begin function _ZN7rocprim17ROCPRIM_400000_NS6detail17trampoline_kernelINS0_14default_configENS1_25partition_config_selectorILNS1_17partition_subalgoE8ElNS0_10empty_typeEbEEZZNS1_14partition_implILS5_8ELb0ES3_jPlPS6_PKS6_NS0_5tupleIJS9_S6_EEENSD_IJSA_SA_EEENS0_18inequality_wrapperIZN2at6native12_GLOBAL__N_124unique_dim_cuda_templateIlEESt5tupleIJNSH_6TensorESM_SM_EERKSM_lbbbEUlllE0_EEPmJS6_EEE10hipError_tPvRmT3_T4_T5_T6_T7_T9_mT8_P12ihipStream_tbDpT10_ENKUlT_T0_E_clISt17integral_constantIbLb0EES1B_IbLb1EEEEDaS17_S18_EUlS17_E_NS1_11comp_targetILNS1_3genE8ELNS1_11target_archE1030ELNS1_3gpuE2ELNS1_3repE0EEENS1_30default_config_static_selectorELNS0_4arch9wavefront6targetE1EEEvT1_
	.p2align	8
	.type	_ZN7rocprim17ROCPRIM_400000_NS6detail17trampoline_kernelINS0_14default_configENS1_25partition_config_selectorILNS1_17partition_subalgoE8ElNS0_10empty_typeEbEEZZNS1_14partition_implILS5_8ELb0ES3_jPlPS6_PKS6_NS0_5tupleIJS9_S6_EEENSD_IJSA_SA_EEENS0_18inequality_wrapperIZN2at6native12_GLOBAL__N_124unique_dim_cuda_templateIlEESt5tupleIJNSH_6TensorESM_SM_EERKSM_lbbbEUlllE0_EEPmJS6_EEE10hipError_tPvRmT3_T4_T5_T6_T7_T9_mT8_P12ihipStream_tbDpT10_ENKUlT_T0_E_clISt17integral_constantIbLb0EES1B_IbLb1EEEEDaS17_S18_EUlS17_E_NS1_11comp_targetILNS1_3genE8ELNS1_11target_archE1030ELNS1_3gpuE2ELNS1_3repE0EEENS1_30default_config_static_selectorELNS0_4arch9wavefront6targetE1EEEvT1_,@function
_ZN7rocprim17ROCPRIM_400000_NS6detail17trampoline_kernelINS0_14default_configENS1_25partition_config_selectorILNS1_17partition_subalgoE8ElNS0_10empty_typeEbEEZZNS1_14partition_implILS5_8ELb0ES3_jPlPS6_PKS6_NS0_5tupleIJS9_S6_EEENSD_IJSA_SA_EEENS0_18inequality_wrapperIZN2at6native12_GLOBAL__N_124unique_dim_cuda_templateIlEESt5tupleIJNSH_6TensorESM_SM_EERKSM_lbbbEUlllE0_EEPmJS6_EEE10hipError_tPvRmT3_T4_T5_T6_T7_T9_mT8_P12ihipStream_tbDpT10_ENKUlT_T0_E_clISt17integral_constantIbLb0EES1B_IbLb1EEEEDaS17_S18_EUlS17_E_NS1_11comp_targetILNS1_3genE8ELNS1_11target_archE1030ELNS1_3gpuE2ELNS1_3repE0EEENS1_30default_config_static_selectorELNS0_4arch9wavefront6targetE1EEEvT1_: ; @_ZN7rocprim17ROCPRIM_400000_NS6detail17trampoline_kernelINS0_14default_configENS1_25partition_config_selectorILNS1_17partition_subalgoE8ElNS0_10empty_typeEbEEZZNS1_14partition_implILS5_8ELb0ES3_jPlPS6_PKS6_NS0_5tupleIJS9_S6_EEENSD_IJSA_SA_EEENS0_18inequality_wrapperIZN2at6native12_GLOBAL__N_124unique_dim_cuda_templateIlEESt5tupleIJNSH_6TensorESM_SM_EERKSM_lbbbEUlllE0_EEPmJS6_EEE10hipError_tPvRmT3_T4_T5_T6_T7_T9_mT8_P12ihipStream_tbDpT10_ENKUlT_T0_E_clISt17integral_constantIbLb0EES1B_IbLb1EEEEDaS17_S18_EUlS17_E_NS1_11comp_targetILNS1_3genE8ELNS1_11target_archE1030ELNS1_3gpuE2ELNS1_3repE0EEENS1_30default_config_static_selectorELNS0_4arch9wavefront6targetE1EEEvT1_
; %bb.0:
	.section	.rodata,"a",@progbits
	.p2align	6, 0x0
	.amdhsa_kernel _ZN7rocprim17ROCPRIM_400000_NS6detail17trampoline_kernelINS0_14default_configENS1_25partition_config_selectorILNS1_17partition_subalgoE8ElNS0_10empty_typeEbEEZZNS1_14partition_implILS5_8ELb0ES3_jPlPS6_PKS6_NS0_5tupleIJS9_S6_EEENSD_IJSA_SA_EEENS0_18inequality_wrapperIZN2at6native12_GLOBAL__N_124unique_dim_cuda_templateIlEESt5tupleIJNSH_6TensorESM_SM_EERKSM_lbbbEUlllE0_EEPmJS6_EEE10hipError_tPvRmT3_T4_T5_T6_T7_T9_mT8_P12ihipStream_tbDpT10_ENKUlT_T0_E_clISt17integral_constantIbLb0EES1B_IbLb1EEEEDaS17_S18_EUlS17_E_NS1_11comp_targetILNS1_3genE8ELNS1_11target_archE1030ELNS1_3gpuE2ELNS1_3repE0EEENS1_30default_config_static_selectorELNS0_4arch9wavefront6targetE1EEEvT1_
		.amdhsa_group_segment_fixed_size 0
		.amdhsa_private_segment_fixed_size 0
		.amdhsa_kernarg_size 136
		.amdhsa_user_sgpr_count 2
		.amdhsa_user_sgpr_dispatch_ptr 0
		.amdhsa_user_sgpr_queue_ptr 0
		.amdhsa_user_sgpr_kernarg_segment_ptr 1
		.amdhsa_user_sgpr_dispatch_id 0
		.amdhsa_user_sgpr_kernarg_preload_length 0
		.amdhsa_user_sgpr_kernarg_preload_offset 0
		.amdhsa_user_sgpr_private_segment_size 0
		.amdhsa_uses_dynamic_stack 0
		.amdhsa_enable_private_segment 0
		.amdhsa_system_sgpr_workgroup_id_x 1
		.amdhsa_system_sgpr_workgroup_id_y 0
		.amdhsa_system_sgpr_workgroup_id_z 0
		.amdhsa_system_sgpr_workgroup_info 0
		.amdhsa_system_vgpr_workitem_id 0
		.amdhsa_next_free_vgpr 1
		.amdhsa_next_free_sgpr 0
		.amdhsa_accum_offset 4
		.amdhsa_reserve_vcc 0
		.amdhsa_float_round_mode_32 0
		.amdhsa_float_round_mode_16_64 0
		.amdhsa_float_denorm_mode_32 3
		.amdhsa_float_denorm_mode_16_64 3
		.amdhsa_dx10_clamp 1
		.amdhsa_ieee_mode 1
		.amdhsa_fp16_overflow 0
		.amdhsa_tg_split 0
		.amdhsa_exception_fp_ieee_invalid_op 0
		.amdhsa_exception_fp_denorm_src 0
		.amdhsa_exception_fp_ieee_div_zero 0
		.amdhsa_exception_fp_ieee_overflow 0
		.amdhsa_exception_fp_ieee_underflow 0
		.amdhsa_exception_fp_ieee_inexact 0
		.amdhsa_exception_int_div_zero 0
	.end_amdhsa_kernel
	.section	.text._ZN7rocprim17ROCPRIM_400000_NS6detail17trampoline_kernelINS0_14default_configENS1_25partition_config_selectorILNS1_17partition_subalgoE8ElNS0_10empty_typeEbEEZZNS1_14partition_implILS5_8ELb0ES3_jPlPS6_PKS6_NS0_5tupleIJS9_S6_EEENSD_IJSA_SA_EEENS0_18inequality_wrapperIZN2at6native12_GLOBAL__N_124unique_dim_cuda_templateIlEESt5tupleIJNSH_6TensorESM_SM_EERKSM_lbbbEUlllE0_EEPmJS6_EEE10hipError_tPvRmT3_T4_T5_T6_T7_T9_mT8_P12ihipStream_tbDpT10_ENKUlT_T0_E_clISt17integral_constantIbLb0EES1B_IbLb1EEEEDaS17_S18_EUlS17_E_NS1_11comp_targetILNS1_3genE8ELNS1_11target_archE1030ELNS1_3gpuE2ELNS1_3repE0EEENS1_30default_config_static_selectorELNS0_4arch9wavefront6targetE1EEEvT1_,"axG",@progbits,_ZN7rocprim17ROCPRIM_400000_NS6detail17trampoline_kernelINS0_14default_configENS1_25partition_config_selectorILNS1_17partition_subalgoE8ElNS0_10empty_typeEbEEZZNS1_14partition_implILS5_8ELb0ES3_jPlPS6_PKS6_NS0_5tupleIJS9_S6_EEENSD_IJSA_SA_EEENS0_18inequality_wrapperIZN2at6native12_GLOBAL__N_124unique_dim_cuda_templateIlEESt5tupleIJNSH_6TensorESM_SM_EERKSM_lbbbEUlllE0_EEPmJS6_EEE10hipError_tPvRmT3_T4_T5_T6_T7_T9_mT8_P12ihipStream_tbDpT10_ENKUlT_T0_E_clISt17integral_constantIbLb0EES1B_IbLb1EEEEDaS17_S18_EUlS17_E_NS1_11comp_targetILNS1_3genE8ELNS1_11target_archE1030ELNS1_3gpuE2ELNS1_3repE0EEENS1_30default_config_static_selectorELNS0_4arch9wavefront6targetE1EEEvT1_,comdat
.Lfunc_end598:
	.size	_ZN7rocprim17ROCPRIM_400000_NS6detail17trampoline_kernelINS0_14default_configENS1_25partition_config_selectorILNS1_17partition_subalgoE8ElNS0_10empty_typeEbEEZZNS1_14partition_implILS5_8ELb0ES3_jPlPS6_PKS6_NS0_5tupleIJS9_S6_EEENSD_IJSA_SA_EEENS0_18inequality_wrapperIZN2at6native12_GLOBAL__N_124unique_dim_cuda_templateIlEESt5tupleIJNSH_6TensorESM_SM_EERKSM_lbbbEUlllE0_EEPmJS6_EEE10hipError_tPvRmT3_T4_T5_T6_T7_T9_mT8_P12ihipStream_tbDpT10_ENKUlT_T0_E_clISt17integral_constantIbLb0EES1B_IbLb1EEEEDaS17_S18_EUlS17_E_NS1_11comp_targetILNS1_3genE8ELNS1_11target_archE1030ELNS1_3gpuE2ELNS1_3repE0EEENS1_30default_config_static_selectorELNS0_4arch9wavefront6targetE1EEEvT1_, .Lfunc_end598-_ZN7rocprim17ROCPRIM_400000_NS6detail17trampoline_kernelINS0_14default_configENS1_25partition_config_selectorILNS1_17partition_subalgoE8ElNS0_10empty_typeEbEEZZNS1_14partition_implILS5_8ELb0ES3_jPlPS6_PKS6_NS0_5tupleIJS9_S6_EEENSD_IJSA_SA_EEENS0_18inequality_wrapperIZN2at6native12_GLOBAL__N_124unique_dim_cuda_templateIlEESt5tupleIJNSH_6TensorESM_SM_EERKSM_lbbbEUlllE0_EEPmJS6_EEE10hipError_tPvRmT3_T4_T5_T6_T7_T9_mT8_P12ihipStream_tbDpT10_ENKUlT_T0_E_clISt17integral_constantIbLb0EES1B_IbLb1EEEEDaS17_S18_EUlS17_E_NS1_11comp_targetILNS1_3genE8ELNS1_11target_archE1030ELNS1_3gpuE2ELNS1_3repE0EEENS1_30default_config_static_selectorELNS0_4arch9wavefront6targetE1EEEvT1_
                                        ; -- End function
	.section	.AMDGPU.csdata,"",@progbits
; Kernel info:
; codeLenInByte = 0
; NumSgprs: 6
; NumVgprs: 0
; NumAgprs: 0
; TotalNumVgprs: 0
; ScratchSize: 0
; MemoryBound: 0
; FloatMode: 240
; IeeeMode: 1
; LDSByteSize: 0 bytes/workgroup (compile time only)
; SGPRBlocks: 0
; VGPRBlocks: 0
; NumSGPRsForWavesPerEU: 6
; NumVGPRsForWavesPerEU: 1
; AccumOffset: 4
; Occupancy: 8
; WaveLimiterHint : 0
; COMPUTE_PGM_RSRC2:SCRATCH_EN: 0
; COMPUTE_PGM_RSRC2:USER_SGPR: 2
; COMPUTE_PGM_RSRC2:TRAP_HANDLER: 0
; COMPUTE_PGM_RSRC2:TGID_X_EN: 1
; COMPUTE_PGM_RSRC2:TGID_Y_EN: 0
; COMPUTE_PGM_RSRC2:TGID_Z_EN: 0
; COMPUTE_PGM_RSRC2:TIDIG_COMP_CNT: 0
; COMPUTE_PGM_RSRC3_GFX90A:ACCUM_OFFSET: 0
; COMPUTE_PGM_RSRC3_GFX90A:TG_SPLIT: 0
	.section	.text._ZN7rocprim17ROCPRIM_400000_NS6detail17trampoline_kernelINS0_14default_configENS1_25partition_config_selectorILNS1_17partition_subalgoE9EllbEEZZNS1_14partition_implILS5_9ELb0ES3_jPlS8_PNS0_10empty_typeENS0_5tupleIJS8_S9_EEENSB_IJS8_SA_EEENS0_18inequality_wrapperIZN2at6native12_GLOBAL__N_124unique_dim_cuda_templateIlEESt5tupleIJNSF_6TensorESK_SK_EERKSK_lbbbEUlllE0_EEPmJS9_EEE10hipError_tPvRmT3_T4_T5_T6_T7_T9_mT8_P12ihipStream_tbDpT10_ENKUlT_T0_E_clISt17integral_constantIbLb0EES1A_EEDaS15_S16_EUlS15_E_NS1_11comp_targetILNS1_3genE0ELNS1_11target_archE4294967295ELNS1_3gpuE0ELNS1_3repE0EEENS1_30default_config_static_selectorELNS0_4arch9wavefront6targetE1EEEvT1_,"axG",@progbits,_ZN7rocprim17ROCPRIM_400000_NS6detail17trampoline_kernelINS0_14default_configENS1_25partition_config_selectorILNS1_17partition_subalgoE9EllbEEZZNS1_14partition_implILS5_9ELb0ES3_jPlS8_PNS0_10empty_typeENS0_5tupleIJS8_S9_EEENSB_IJS8_SA_EEENS0_18inequality_wrapperIZN2at6native12_GLOBAL__N_124unique_dim_cuda_templateIlEESt5tupleIJNSF_6TensorESK_SK_EERKSK_lbbbEUlllE0_EEPmJS9_EEE10hipError_tPvRmT3_T4_T5_T6_T7_T9_mT8_P12ihipStream_tbDpT10_ENKUlT_T0_E_clISt17integral_constantIbLb0EES1A_EEDaS15_S16_EUlS15_E_NS1_11comp_targetILNS1_3genE0ELNS1_11target_archE4294967295ELNS1_3gpuE0ELNS1_3repE0EEENS1_30default_config_static_selectorELNS0_4arch9wavefront6targetE1EEEvT1_,comdat
	.globl	_ZN7rocprim17ROCPRIM_400000_NS6detail17trampoline_kernelINS0_14default_configENS1_25partition_config_selectorILNS1_17partition_subalgoE9EllbEEZZNS1_14partition_implILS5_9ELb0ES3_jPlS8_PNS0_10empty_typeENS0_5tupleIJS8_S9_EEENSB_IJS8_SA_EEENS0_18inequality_wrapperIZN2at6native12_GLOBAL__N_124unique_dim_cuda_templateIlEESt5tupleIJNSF_6TensorESK_SK_EERKSK_lbbbEUlllE0_EEPmJS9_EEE10hipError_tPvRmT3_T4_T5_T6_T7_T9_mT8_P12ihipStream_tbDpT10_ENKUlT_T0_E_clISt17integral_constantIbLb0EES1A_EEDaS15_S16_EUlS15_E_NS1_11comp_targetILNS1_3genE0ELNS1_11target_archE4294967295ELNS1_3gpuE0ELNS1_3repE0EEENS1_30default_config_static_selectorELNS0_4arch9wavefront6targetE1EEEvT1_ ; -- Begin function _ZN7rocprim17ROCPRIM_400000_NS6detail17trampoline_kernelINS0_14default_configENS1_25partition_config_selectorILNS1_17partition_subalgoE9EllbEEZZNS1_14partition_implILS5_9ELb0ES3_jPlS8_PNS0_10empty_typeENS0_5tupleIJS8_S9_EEENSB_IJS8_SA_EEENS0_18inequality_wrapperIZN2at6native12_GLOBAL__N_124unique_dim_cuda_templateIlEESt5tupleIJNSF_6TensorESK_SK_EERKSK_lbbbEUlllE0_EEPmJS9_EEE10hipError_tPvRmT3_T4_T5_T6_T7_T9_mT8_P12ihipStream_tbDpT10_ENKUlT_T0_E_clISt17integral_constantIbLb0EES1A_EEDaS15_S16_EUlS15_E_NS1_11comp_targetILNS1_3genE0ELNS1_11target_archE4294967295ELNS1_3gpuE0ELNS1_3repE0EEENS1_30default_config_static_selectorELNS0_4arch9wavefront6targetE1EEEvT1_
	.p2align	8
	.type	_ZN7rocprim17ROCPRIM_400000_NS6detail17trampoline_kernelINS0_14default_configENS1_25partition_config_selectorILNS1_17partition_subalgoE9EllbEEZZNS1_14partition_implILS5_9ELb0ES3_jPlS8_PNS0_10empty_typeENS0_5tupleIJS8_S9_EEENSB_IJS8_SA_EEENS0_18inequality_wrapperIZN2at6native12_GLOBAL__N_124unique_dim_cuda_templateIlEESt5tupleIJNSF_6TensorESK_SK_EERKSK_lbbbEUlllE0_EEPmJS9_EEE10hipError_tPvRmT3_T4_T5_T6_T7_T9_mT8_P12ihipStream_tbDpT10_ENKUlT_T0_E_clISt17integral_constantIbLb0EES1A_EEDaS15_S16_EUlS15_E_NS1_11comp_targetILNS1_3genE0ELNS1_11target_archE4294967295ELNS1_3gpuE0ELNS1_3repE0EEENS1_30default_config_static_selectorELNS0_4arch9wavefront6targetE1EEEvT1_,@function
_ZN7rocprim17ROCPRIM_400000_NS6detail17trampoline_kernelINS0_14default_configENS1_25partition_config_selectorILNS1_17partition_subalgoE9EllbEEZZNS1_14partition_implILS5_9ELb0ES3_jPlS8_PNS0_10empty_typeENS0_5tupleIJS8_S9_EEENSB_IJS8_SA_EEENS0_18inequality_wrapperIZN2at6native12_GLOBAL__N_124unique_dim_cuda_templateIlEESt5tupleIJNSF_6TensorESK_SK_EERKSK_lbbbEUlllE0_EEPmJS9_EEE10hipError_tPvRmT3_T4_T5_T6_T7_T9_mT8_P12ihipStream_tbDpT10_ENKUlT_T0_E_clISt17integral_constantIbLb0EES1A_EEDaS15_S16_EUlS15_E_NS1_11comp_targetILNS1_3genE0ELNS1_11target_archE4294967295ELNS1_3gpuE0ELNS1_3repE0EEENS1_30default_config_static_selectorELNS0_4arch9wavefront6targetE1EEEvT1_: ; @_ZN7rocprim17ROCPRIM_400000_NS6detail17trampoline_kernelINS0_14default_configENS1_25partition_config_selectorILNS1_17partition_subalgoE9EllbEEZZNS1_14partition_implILS5_9ELb0ES3_jPlS8_PNS0_10empty_typeENS0_5tupleIJS8_S9_EEENSB_IJS8_SA_EEENS0_18inequality_wrapperIZN2at6native12_GLOBAL__N_124unique_dim_cuda_templateIlEESt5tupleIJNSF_6TensorESK_SK_EERKSK_lbbbEUlllE0_EEPmJS9_EEE10hipError_tPvRmT3_T4_T5_T6_T7_T9_mT8_P12ihipStream_tbDpT10_ENKUlT_T0_E_clISt17integral_constantIbLb0EES1A_EEDaS15_S16_EUlS15_E_NS1_11comp_targetILNS1_3genE0ELNS1_11target_archE4294967295ELNS1_3gpuE0ELNS1_3repE0EEENS1_30default_config_static_selectorELNS0_4arch9wavefront6targetE1EEEvT1_
; %bb.0:
	.section	.rodata,"a",@progbits
	.p2align	6, 0x0
	.amdhsa_kernel _ZN7rocprim17ROCPRIM_400000_NS6detail17trampoline_kernelINS0_14default_configENS1_25partition_config_selectorILNS1_17partition_subalgoE9EllbEEZZNS1_14partition_implILS5_9ELb0ES3_jPlS8_PNS0_10empty_typeENS0_5tupleIJS8_S9_EEENSB_IJS8_SA_EEENS0_18inequality_wrapperIZN2at6native12_GLOBAL__N_124unique_dim_cuda_templateIlEESt5tupleIJNSF_6TensorESK_SK_EERKSK_lbbbEUlllE0_EEPmJS9_EEE10hipError_tPvRmT3_T4_T5_T6_T7_T9_mT8_P12ihipStream_tbDpT10_ENKUlT_T0_E_clISt17integral_constantIbLb0EES1A_EEDaS15_S16_EUlS15_E_NS1_11comp_targetILNS1_3genE0ELNS1_11target_archE4294967295ELNS1_3gpuE0ELNS1_3repE0EEENS1_30default_config_static_selectorELNS0_4arch9wavefront6targetE1EEEvT1_
		.amdhsa_group_segment_fixed_size 0
		.amdhsa_private_segment_fixed_size 0
		.amdhsa_kernarg_size 120
		.amdhsa_user_sgpr_count 2
		.amdhsa_user_sgpr_dispatch_ptr 0
		.amdhsa_user_sgpr_queue_ptr 0
		.amdhsa_user_sgpr_kernarg_segment_ptr 1
		.amdhsa_user_sgpr_dispatch_id 0
		.amdhsa_user_sgpr_kernarg_preload_length 0
		.amdhsa_user_sgpr_kernarg_preload_offset 0
		.amdhsa_user_sgpr_private_segment_size 0
		.amdhsa_uses_dynamic_stack 0
		.amdhsa_enable_private_segment 0
		.amdhsa_system_sgpr_workgroup_id_x 1
		.amdhsa_system_sgpr_workgroup_id_y 0
		.amdhsa_system_sgpr_workgroup_id_z 0
		.amdhsa_system_sgpr_workgroup_info 0
		.amdhsa_system_vgpr_workitem_id 0
		.amdhsa_next_free_vgpr 1
		.amdhsa_next_free_sgpr 0
		.amdhsa_accum_offset 4
		.amdhsa_reserve_vcc 0
		.amdhsa_float_round_mode_32 0
		.amdhsa_float_round_mode_16_64 0
		.amdhsa_float_denorm_mode_32 3
		.amdhsa_float_denorm_mode_16_64 3
		.amdhsa_dx10_clamp 1
		.amdhsa_ieee_mode 1
		.amdhsa_fp16_overflow 0
		.amdhsa_tg_split 0
		.amdhsa_exception_fp_ieee_invalid_op 0
		.amdhsa_exception_fp_denorm_src 0
		.amdhsa_exception_fp_ieee_div_zero 0
		.amdhsa_exception_fp_ieee_overflow 0
		.amdhsa_exception_fp_ieee_underflow 0
		.amdhsa_exception_fp_ieee_inexact 0
		.amdhsa_exception_int_div_zero 0
	.end_amdhsa_kernel
	.section	.text._ZN7rocprim17ROCPRIM_400000_NS6detail17trampoline_kernelINS0_14default_configENS1_25partition_config_selectorILNS1_17partition_subalgoE9EllbEEZZNS1_14partition_implILS5_9ELb0ES3_jPlS8_PNS0_10empty_typeENS0_5tupleIJS8_S9_EEENSB_IJS8_SA_EEENS0_18inequality_wrapperIZN2at6native12_GLOBAL__N_124unique_dim_cuda_templateIlEESt5tupleIJNSF_6TensorESK_SK_EERKSK_lbbbEUlllE0_EEPmJS9_EEE10hipError_tPvRmT3_T4_T5_T6_T7_T9_mT8_P12ihipStream_tbDpT10_ENKUlT_T0_E_clISt17integral_constantIbLb0EES1A_EEDaS15_S16_EUlS15_E_NS1_11comp_targetILNS1_3genE0ELNS1_11target_archE4294967295ELNS1_3gpuE0ELNS1_3repE0EEENS1_30default_config_static_selectorELNS0_4arch9wavefront6targetE1EEEvT1_,"axG",@progbits,_ZN7rocprim17ROCPRIM_400000_NS6detail17trampoline_kernelINS0_14default_configENS1_25partition_config_selectorILNS1_17partition_subalgoE9EllbEEZZNS1_14partition_implILS5_9ELb0ES3_jPlS8_PNS0_10empty_typeENS0_5tupleIJS8_S9_EEENSB_IJS8_SA_EEENS0_18inequality_wrapperIZN2at6native12_GLOBAL__N_124unique_dim_cuda_templateIlEESt5tupleIJNSF_6TensorESK_SK_EERKSK_lbbbEUlllE0_EEPmJS9_EEE10hipError_tPvRmT3_T4_T5_T6_T7_T9_mT8_P12ihipStream_tbDpT10_ENKUlT_T0_E_clISt17integral_constantIbLb0EES1A_EEDaS15_S16_EUlS15_E_NS1_11comp_targetILNS1_3genE0ELNS1_11target_archE4294967295ELNS1_3gpuE0ELNS1_3repE0EEENS1_30default_config_static_selectorELNS0_4arch9wavefront6targetE1EEEvT1_,comdat
.Lfunc_end599:
	.size	_ZN7rocprim17ROCPRIM_400000_NS6detail17trampoline_kernelINS0_14default_configENS1_25partition_config_selectorILNS1_17partition_subalgoE9EllbEEZZNS1_14partition_implILS5_9ELb0ES3_jPlS8_PNS0_10empty_typeENS0_5tupleIJS8_S9_EEENSB_IJS8_SA_EEENS0_18inequality_wrapperIZN2at6native12_GLOBAL__N_124unique_dim_cuda_templateIlEESt5tupleIJNSF_6TensorESK_SK_EERKSK_lbbbEUlllE0_EEPmJS9_EEE10hipError_tPvRmT3_T4_T5_T6_T7_T9_mT8_P12ihipStream_tbDpT10_ENKUlT_T0_E_clISt17integral_constantIbLb0EES1A_EEDaS15_S16_EUlS15_E_NS1_11comp_targetILNS1_3genE0ELNS1_11target_archE4294967295ELNS1_3gpuE0ELNS1_3repE0EEENS1_30default_config_static_selectorELNS0_4arch9wavefront6targetE1EEEvT1_, .Lfunc_end599-_ZN7rocprim17ROCPRIM_400000_NS6detail17trampoline_kernelINS0_14default_configENS1_25partition_config_selectorILNS1_17partition_subalgoE9EllbEEZZNS1_14partition_implILS5_9ELb0ES3_jPlS8_PNS0_10empty_typeENS0_5tupleIJS8_S9_EEENSB_IJS8_SA_EEENS0_18inequality_wrapperIZN2at6native12_GLOBAL__N_124unique_dim_cuda_templateIlEESt5tupleIJNSF_6TensorESK_SK_EERKSK_lbbbEUlllE0_EEPmJS9_EEE10hipError_tPvRmT3_T4_T5_T6_T7_T9_mT8_P12ihipStream_tbDpT10_ENKUlT_T0_E_clISt17integral_constantIbLb0EES1A_EEDaS15_S16_EUlS15_E_NS1_11comp_targetILNS1_3genE0ELNS1_11target_archE4294967295ELNS1_3gpuE0ELNS1_3repE0EEENS1_30default_config_static_selectorELNS0_4arch9wavefront6targetE1EEEvT1_
                                        ; -- End function
	.section	.AMDGPU.csdata,"",@progbits
; Kernel info:
; codeLenInByte = 0
; NumSgprs: 6
; NumVgprs: 0
; NumAgprs: 0
; TotalNumVgprs: 0
; ScratchSize: 0
; MemoryBound: 0
; FloatMode: 240
; IeeeMode: 1
; LDSByteSize: 0 bytes/workgroup (compile time only)
; SGPRBlocks: 0
; VGPRBlocks: 0
; NumSGPRsForWavesPerEU: 6
; NumVGPRsForWavesPerEU: 1
; AccumOffset: 4
; Occupancy: 8
; WaveLimiterHint : 0
; COMPUTE_PGM_RSRC2:SCRATCH_EN: 0
; COMPUTE_PGM_RSRC2:USER_SGPR: 2
; COMPUTE_PGM_RSRC2:TRAP_HANDLER: 0
; COMPUTE_PGM_RSRC2:TGID_X_EN: 1
; COMPUTE_PGM_RSRC2:TGID_Y_EN: 0
; COMPUTE_PGM_RSRC2:TGID_Z_EN: 0
; COMPUTE_PGM_RSRC2:TIDIG_COMP_CNT: 0
; COMPUTE_PGM_RSRC3_GFX90A:ACCUM_OFFSET: 0
; COMPUTE_PGM_RSRC3_GFX90A:TG_SPLIT: 0
	.section	.text._ZN7rocprim17ROCPRIM_400000_NS6detail17trampoline_kernelINS0_14default_configENS1_25partition_config_selectorILNS1_17partition_subalgoE9EllbEEZZNS1_14partition_implILS5_9ELb0ES3_jPlS8_PNS0_10empty_typeENS0_5tupleIJS8_S9_EEENSB_IJS8_SA_EEENS0_18inequality_wrapperIZN2at6native12_GLOBAL__N_124unique_dim_cuda_templateIlEESt5tupleIJNSF_6TensorESK_SK_EERKSK_lbbbEUlllE0_EEPmJS9_EEE10hipError_tPvRmT3_T4_T5_T6_T7_T9_mT8_P12ihipStream_tbDpT10_ENKUlT_T0_E_clISt17integral_constantIbLb0EES1A_EEDaS15_S16_EUlS15_E_NS1_11comp_targetILNS1_3genE5ELNS1_11target_archE942ELNS1_3gpuE9ELNS1_3repE0EEENS1_30default_config_static_selectorELNS0_4arch9wavefront6targetE1EEEvT1_,"axG",@progbits,_ZN7rocprim17ROCPRIM_400000_NS6detail17trampoline_kernelINS0_14default_configENS1_25partition_config_selectorILNS1_17partition_subalgoE9EllbEEZZNS1_14partition_implILS5_9ELb0ES3_jPlS8_PNS0_10empty_typeENS0_5tupleIJS8_S9_EEENSB_IJS8_SA_EEENS0_18inequality_wrapperIZN2at6native12_GLOBAL__N_124unique_dim_cuda_templateIlEESt5tupleIJNSF_6TensorESK_SK_EERKSK_lbbbEUlllE0_EEPmJS9_EEE10hipError_tPvRmT3_T4_T5_T6_T7_T9_mT8_P12ihipStream_tbDpT10_ENKUlT_T0_E_clISt17integral_constantIbLb0EES1A_EEDaS15_S16_EUlS15_E_NS1_11comp_targetILNS1_3genE5ELNS1_11target_archE942ELNS1_3gpuE9ELNS1_3repE0EEENS1_30default_config_static_selectorELNS0_4arch9wavefront6targetE1EEEvT1_,comdat
	.globl	_ZN7rocprim17ROCPRIM_400000_NS6detail17trampoline_kernelINS0_14default_configENS1_25partition_config_selectorILNS1_17partition_subalgoE9EllbEEZZNS1_14partition_implILS5_9ELb0ES3_jPlS8_PNS0_10empty_typeENS0_5tupleIJS8_S9_EEENSB_IJS8_SA_EEENS0_18inequality_wrapperIZN2at6native12_GLOBAL__N_124unique_dim_cuda_templateIlEESt5tupleIJNSF_6TensorESK_SK_EERKSK_lbbbEUlllE0_EEPmJS9_EEE10hipError_tPvRmT3_T4_T5_T6_T7_T9_mT8_P12ihipStream_tbDpT10_ENKUlT_T0_E_clISt17integral_constantIbLb0EES1A_EEDaS15_S16_EUlS15_E_NS1_11comp_targetILNS1_3genE5ELNS1_11target_archE942ELNS1_3gpuE9ELNS1_3repE0EEENS1_30default_config_static_selectorELNS0_4arch9wavefront6targetE1EEEvT1_ ; -- Begin function _ZN7rocprim17ROCPRIM_400000_NS6detail17trampoline_kernelINS0_14default_configENS1_25partition_config_selectorILNS1_17partition_subalgoE9EllbEEZZNS1_14partition_implILS5_9ELb0ES3_jPlS8_PNS0_10empty_typeENS0_5tupleIJS8_S9_EEENSB_IJS8_SA_EEENS0_18inequality_wrapperIZN2at6native12_GLOBAL__N_124unique_dim_cuda_templateIlEESt5tupleIJNSF_6TensorESK_SK_EERKSK_lbbbEUlllE0_EEPmJS9_EEE10hipError_tPvRmT3_T4_T5_T6_T7_T9_mT8_P12ihipStream_tbDpT10_ENKUlT_T0_E_clISt17integral_constantIbLb0EES1A_EEDaS15_S16_EUlS15_E_NS1_11comp_targetILNS1_3genE5ELNS1_11target_archE942ELNS1_3gpuE9ELNS1_3repE0EEENS1_30default_config_static_selectorELNS0_4arch9wavefront6targetE1EEEvT1_
	.p2align	8
	.type	_ZN7rocprim17ROCPRIM_400000_NS6detail17trampoline_kernelINS0_14default_configENS1_25partition_config_selectorILNS1_17partition_subalgoE9EllbEEZZNS1_14partition_implILS5_9ELb0ES3_jPlS8_PNS0_10empty_typeENS0_5tupleIJS8_S9_EEENSB_IJS8_SA_EEENS0_18inequality_wrapperIZN2at6native12_GLOBAL__N_124unique_dim_cuda_templateIlEESt5tupleIJNSF_6TensorESK_SK_EERKSK_lbbbEUlllE0_EEPmJS9_EEE10hipError_tPvRmT3_T4_T5_T6_T7_T9_mT8_P12ihipStream_tbDpT10_ENKUlT_T0_E_clISt17integral_constantIbLb0EES1A_EEDaS15_S16_EUlS15_E_NS1_11comp_targetILNS1_3genE5ELNS1_11target_archE942ELNS1_3gpuE9ELNS1_3repE0EEENS1_30default_config_static_selectorELNS0_4arch9wavefront6targetE1EEEvT1_,@function
_ZN7rocprim17ROCPRIM_400000_NS6detail17trampoline_kernelINS0_14default_configENS1_25partition_config_selectorILNS1_17partition_subalgoE9EllbEEZZNS1_14partition_implILS5_9ELb0ES3_jPlS8_PNS0_10empty_typeENS0_5tupleIJS8_S9_EEENSB_IJS8_SA_EEENS0_18inequality_wrapperIZN2at6native12_GLOBAL__N_124unique_dim_cuda_templateIlEESt5tupleIJNSF_6TensorESK_SK_EERKSK_lbbbEUlllE0_EEPmJS9_EEE10hipError_tPvRmT3_T4_T5_T6_T7_T9_mT8_P12ihipStream_tbDpT10_ENKUlT_T0_E_clISt17integral_constantIbLb0EES1A_EEDaS15_S16_EUlS15_E_NS1_11comp_targetILNS1_3genE5ELNS1_11target_archE942ELNS1_3gpuE9ELNS1_3repE0EEENS1_30default_config_static_selectorELNS0_4arch9wavefront6targetE1EEEvT1_: ; @_ZN7rocprim17ROCPRIM_400000_NS6detail17trampoline_kernelINS0_14default_configENS1_25partition_config_selectorILNS1_17partition_subalgoE9EllbEEZZNS1_14partition_implILS5_9ELb0ES3_jPlS8_PNS0_10empty_typeENS0_5tupleIJS8_S9_EEENSB_IJS8_SA_EEENS0_18inequality_wrapperIZN2at6native12_GLOBAL__N_124unique_dim_cuda_templateIlEESt5tupleIJNSF_6TensorESK_SK_EERKSK_lbbbEUlllE0_EEPmJS9_EEE10hipError_tPvRmT3_T4_T5_T6_T7_T9_mT8_P12ihipStream_tbDpT10_ENKUlT_T0_E_clISt17integral_constantIbLb0EES1A_EEDaS15_S16_EUlS15_E_NS1_11comp_targetILNS1_3genE5ELNS1_11target_archE942ELNS1_3gpuE9ELNS1_3repE0EEENS1_30default_config_static_selectorELNS0_4arch9wavefront6targetE1EEEvT1_
; %bb.0:
	s_load_dwordx8 s[20:27], s[0:1], 0x40
	s_load_dwordx4 s[4:7], s[0:1], 0x8
	s_load_dwordx2 s[10:11], s[0:1], 0x18
	s_load_dword s3, s[0:1], 0x70
	s_mul_i32 s12, s2, 0xe00
	s_waitcnt lgkmcnt(0)
	v_mov_b32_e32 v2, s24
	s_lshl_b64 s[14:15], s[6:7], 3
	s_add_u32 s18, s4, s14
	s_mul_i32 s4, s3, 0xe00
	s_addc_u32 s19, s5, s15
	s_add_i32 s8, s3, -1
	s_add_i32 s3, s4, s6
	s_sub_i32 s3, s24, s3
	s_addk_i32 s3, 0xe00
	s_add_u32 s4, s6, s4
	s_addc_u32 s5, s7, 0
	v_mov_b32_e32 v3, s25
	s_cmp_eq_u32 s2, s8
	s_load_dwordx2 s[22:23], s[22:23], 0x0
	v_cmp_ge_u64_e32 vcc, s[4:5], v[2:3]
	s_cselect_b64 s[24:25], -1, 0
	s_mov_b32 s13, 0
	s_and_b64 s[8:9], s[24:25], vcc
	s_xor_b64 s[34:35], s[8:9], -1
	s_lshl_b64 s[16:17], s[12:13], 3
	s_add_u32 s12, s18, s16
	s_mov_b64 s[4:5], -1
	s_addc_u32 s13, s19, s17
	s_and_b64 vcc, exec, s[34:35]
	s_cbranch_vccz .LBB600_2
; %bb.1:
	v_lshlrev_b32_e32 v2, 3, v0
	v_mov_b32_e32 v3, 0
	v_lshl_add_u64 v[4:5], s[12:13], 0, v[2:3]
	v_add_co_u32_e32 v8, vcc, 0x1000, v4
	global_load_dwordx2 v[6:7], v2, s[12:13]
	s_nop 0
	v_addc_co_u32_e32 v9, vcc, 0, v5, vcc
	v_add_co_u32_e32 v10, vcc, 0x2000, v4
	s_mov_b64 s[4:5], 0
	s_nop 0
	v_addc_co_u32_e32 v11, vcc, 0, v5, vcc
	v_add_co_u32_e32 v12, vcc, 0x3000, v4
	s_nop 1
	v_addc_co_u32_e32 v13, vcc, 0, v5, vcc
	v_add_co_u32_e32 v14, vcc, 0x4000, v4
	s_nop 1
	v_addc_co_u32_e32 v15, vcc, 0, v5, vcc
	global_load_dwordx2 v[16:17], v[8:9], off
	global_load_dwordx2 v[18:19], v[10:11], off
	;; [unrolled: 1-line block ×4, first 2 shown]
	v_add_co_u32_e32 v8, vcc, 0x5000, v4
	s_nop 1
	v_addc_co_u32_e32 v9, vcc, 0, v5, vcc
	v_add_co_u32_e32 v4, vcc, 0x6000, v4
	global_load_dwordx2 v[8:9], v[8:9], off
	s_nop 0
	v_addc_co_u32_e32 v5, vcc, 0, v5, vcc
	global_load_dwordx2 v[4:5], v[4:5], off
	s_waitcnt vmcnt(5)
	ds_write2st64_b64 v2, v[6:7], v[16:17] offset1:8
	s_waitcnt vmcnt(3)
	ds_write2st64_b64 v2, v[18:19], v[20:21] offset0:16 offset1:24
	s_waitcnt vmcnt(1)
	ds_write2st64_b64 v2, v[22:23], v[8:9] offset0:32 offset1:40
	s_waitcnt vmcnt(0)
	ds_write_b64 v2, v[4:5] offset:24576
	s_waitcnt lgkmcnt(0)
	s_barrier
.LBB600_2:
	s_load_dwordx4 s[28:31], s[0:1], 0x60
	s_andn2_b64 vcc, exec, s[4:5]
	v_cmp_gt_u32_e64 s[4:5], s3, v0
	s_cbranch_vccnz .LBB600_18
; %bb.3:
                                        ; implicit-def: $vgpr2_vgpr3_vgpr4_vgpr5_vgpr6_vgpr7_vgpr8_vgpr9_vgpr10_vgpr11_vgpr12_vgpr13_vgpr14_vgpr15_vgpr16_vgpr17
	s_and_saveexec_b64 s[18:19], s[4:5]
	s_cbranch_execz .LBB600_5
; %bb.4:
	v_lshlrev_b32_e32 v1, 3, v0
	global_load_dwordx2 v[2:3], v1, s[12:13]
.LBB600_5:
	s_or_b64 exec, exec, s[18:19]
	v_or_b32_e32 v1, 0x200, v0
	v_cmp_gt_u32_e32 vcc, s3, v1
	s_and_saveexec_b64 s[4:5], vcc
	s_cbranch_execz .LBB600_7
; %bb.6:
	v_lshlrev_b32_e32 v1, 3, v1
	global_load_dwordx2 v[4:5], v1, s[12:13]
.LBB600_7:
	s_or_b64 exec, exec, s[4:5]
	v_or_b32_e32 v1, 0x400, v0
	v_cmp_gt_u32_e32 vcc, s3, v1
	s_and_saveexec_b64 s[4:5], vcc
	;; [unrolled: 9-line block ×6, first 2 shown]
	s_cbranch_execz .LBB600_17
; %bb.16:
	v_lshlrev_b32_e32 v1, 3, v1
	global_load_dwordx2 v[14:15], v1, s[12:13]
.LBB600_17:
	s_or_b64 exec, exec, s[4:5]
	v_lshlrev_b32_e32 v1, 3, v0
	s_waitcnt vmcnt(0)
	ds_write2st64_b64 v1, v[2:3], v[4:5] offset1:8
	ds_write2st64_b64 v1, v[6:7], v[8:9] offset0:16 offset1:24
	ds_write2st64_b64 v1, v[10:11], v[12:13] offset0:32 offset1:40
	ds_write_b64 v1, v[14:15] offset:24576
	s_waitcnt lgkmcnt(0)
	s_barrier
.LBB600_18:
	v_mul_u32_u24_e32 v1, 7, v0
	v_lshlrev_b32_e32 v44, 3, v1
	s_waitcnt lgkmcnt(0)
	ds_read2_b64 v[22:25], v44 offset1:1
	ds_read2_b64 v[18:21], v44 offset0:2 offset1:3
	ds_read2_b64 v[14:17], v44 offset0:4 offset1:5
	ds_read_b64 v[28:29], v44 offset:48
	s_add_u32 s4, s10, s14
	s_addc_u32 s5, s11, s15
	s_add_u32 s4, s4, s16
	s_addc_u32 s5, s5, s17
	s_mov_b64 s[10:11], -1
	s_and_b64 vcc, exec, s[34:35]
	s_waitcnt lgkmcnt(0)
	s_barrier
	s_cbranch_vccz .LBB600_20
; %bb.19:
	v_lshlrev_b32_e32 v2, 3, v0
	v_mov_b32_e32 v3, 0
	v_lshl_add_u64 v[4:5], s[4:5], 0, v[2:3]
	v_add_co_u32_e32 v8, vcc, 0x1000, v4
	global_load_dwordx2 v[6:7], v2, s[4:5]
	s_nop 0
	v_addc_co_u32_e32 v9, vcc, 0, v5, vcc
	v_add_co_u32_e32 v10, vcc, 0x2000, v4
	s_mov_b64 s[10:11], 0
	s_nop 0
	v_addc_co_u32_e32 v11, vcc, 0, v5, vcc
	v_add_co_u32_e32 v12, vcc, 0x3000, v4
	s_nop 1
	v_addc_co_u32_e32 v13, vcc, 0, v5, vcc
	v_add_co_u32_e32 v26, vcc, 0x4000, v4
	s_nop 1
	v_addc_co_u32_e32 v27, vcc, 0, v5, vcc
	global_load_dwordx2 v[30:31], v[8:9], off
	global_load_dwordx2 v[32:33], v[10:11], off
	;; [unrolled: 1-line block ×4, first 2 shown]
	v_add_co_u32_e32 v8, vcc, 0x5000, v4
	s_nop 1
	v_addc_co_u32_e32 v9, vcc, 0, v5, vcc
	v_add_co_u32_e32 v4, vcc, 0x6000, v4
	global_load_dwordx2 v[8:9], v[8:9], off
	s_nop 0
	v_addc_co_u32_e32 v5, vcc, 0, v5, vcc
	global_load_dwordx2 v[4:5], v[4:5], off
	s_waitcnt vmcnt(5)
	ds_write2st64_b64 v2, v[6:7], v[30:31] offset1:8
	s_waitcnt vmcnt(3)
	ds_write2st64_b64 v2, v[32:33], v[34:35] offset0:16 offset1:24
	s_waitcnt vmcnt(1)
	ds_write2st64_b64 v2, v[36:37], v[8:9] offset0:32 offset1:40
	s_waitcnt vmcnt(0)
	ds_write_b64 v2, v[4:5] offset:24576
	s_waitcnt lgkmcnt(0)
	s_barrier
.LBB600_20:
	s_andn2_b64 vcc, exec, s[10:11]
	s_cbranch_vccnz .LBB600_36
; %bb.21:
	v_cmp_gt_u32_e32 vcc, s3, v0
                                        ; implicit-def: $vgpr2_vgpr3
	s_and_saveexec_b64 s[10:11], vcc
	s_cbranch_execz .LBB600_23
; %bb.22:
	v_lshlrev_b32_e32 v2, 3, v0
	global_load_dwordx2 v[2:3], v2, s[4:5]
.LBB600_23:
	s_or_b64 exec, exec, s[10:11]
	v_or_b32_e32 v6, 0x200, v0
	v_cmp_gt_u32_e32 vcc, s3, v6
                                        ; implicit-def: $vgpr4_vgpr5
	s_and_saveexec_b64 s[10:11], vcc
	s_cbranch_execz .LBB600_25
; %bb.24:
	v_lshlrev_b32_e32 v4, 3, v6
	global_load_dwordx2 v[4:5], v4, s[4:5]
.LBB600_25:
	s_or_b64 exec, exec, s[10:11]
	v_or_b32_e32 v8, 0x400, v0
	v_cmp_gt_u32_e32 vcc, s3, v8
                                        ; implicit-def: $vgpr6_vgpr7
	s_and_saveexec_b64 s[10:11], vcc
	s_cbranch_execz .LBB600_27
; %bb.26:
	v_lshlrev_b32_e32 v6, 3, v8
	global_load_dwordx2 v[6:7], v6, s[4:5]
.LBB600_27:
	s_or_b64 exec, exec, s[10:11]
	v_or_b32_e32 v10, 0x600, v0
	v_cmp_gt_u32_e32 vcc, s3, v10
                                        ; implicit-def: $vgpr8_vgpr9
	s_and_saveexec_b64 s[10:11], vcc
	s_cbranch_execz .LBB600_29
; %bb.28:
	v_lshlrev_b32_e32 v8, 3, v10
	global_load_dwordx2 v[8:9], v8, s[4:5]
.LBB600_29:
	s_or_b64 exec, exec, s[10:11]
	v_or_b32_e32 v12, 0x800, v0
	v_cmp_gt_u32_e32 vcc, s3, v12
                                        ; implicit-def: $vgpr10_vgpr11
	s_and_saveexec_b64 s[10:11], vcc
	s_cbranch_execz .LBB600_31
; %bb.30:
	v_lshlrev_b32_e32 v10, 3, v12
	global_load_dwordx2 v[10:11], v10, s[4:5]
.LBB600_31:
	s_or_b64 exec, exec, s[10:11]
	v_or_b32_e32 v26, 0xa00, v0
	v_cmp_gt_u32_e32 vcc, s3, v26
                                        ; implicit-def: $vgpr12_vgpr13
	s_and_saveexec_b64 s[10:11], vcc
	s_cbranch_execz .LBB600_33
; %bb.32:
	v_lshlrev_b32_e32 v12, 3, v26
	global_load_dwordx2 v[12:13], v12, s[4:5]
.LBB600_33:
	s_or_b64 exec, exec, s[10:11]
	v_or_b32_e32 v30, 0xc00, v0
	v_cmp_gt_u32_e32 vcc, s3, v30
                                        ; implicit-def: $vgpr26_vgpr27
	s_and_saveexec_b64 s[10:11], vcc
	s_cbranch_execz .LBB600_35
; %bb.34:
	v_lshlrev_b32_e32 v26, 3, v30
	global_load_dwordx2 v[26:27], v26, s[4:5]
.LBB600_35:
	s_or_b64 exec, exec, s[10:11]
	s_movk_i32 s4, 0xffd0
	v_mad_i32_i24 v30, v0, s4, v44
	s_waitcnt vmcnt(0)
	ds_write2st64_b64 v30, v[2:3], v[4:5] offset1:8
	ds_write2st64_b64 v30, v[6:7], v[8:9] offset0:16 offset1:24
	ds_write2st64_b64 v30, v[10:11], v[12:13] offset0:32 offset1:40
	ds_write_b64 v30, v[26:27] offset:24576
	s_waitcnt lgkmcnt(0)
	s_barrier
.LBB600_36:
	ds_read2_b64 v[10:13], v44 offset1:1
	ds_read2_b64 v[6:9], v44 offset0:2 offset1:3
	ds_read2_b64 v[2:5], v44 offset0:4 offset1:5
	ds_read_b64 v[26:27], v44 offset:48
	s_cmp_lg_u32 s2, 0
	s_cselect_b64 s[16:17], -1, 0
	s_cmp_lg_u64 s[6:7], 0
	s_cselect_b64 s[4:5], -1, 0
	s_or_b64 s[4:5], s[16:17], s[4:5]
	v_add_u32_e32 v41, 1, v1
	v_add_u32_e32 v38, 2, v1
	;; [unrolled: 1-line block ×6, first 2 shown]
	s_mov_b64 s[10:11], 0
	s_and_b64 vcc, exec, s[4:5]
	v_cmp_gt_i64_e64 s[4:5], s[26:27], 0
	s_waitcnt lgkmcnt(0)
	s_barrier
	s_cbranch_vccz .LBB600_45
; %bb.37:
	s_add_u32 s6, s12, -8
	s_addc_u32 s7, s13, -1
	s_load_dwordx2 s[6:7], s[6:7], 0x0
	v_cndmask_b32_e64 v30, 0, 1, s[4:5]
	v_lshlrev_b32_e32 v45, 3, v0
	s_and_b64 vcc, exec, s[34:35]
	v_cmp_ne_u32_e64 s[4:5], 1, v30
	ds_write_b64 v45, v[28:29]
	s_cbranch_vccz .LBB600_47
; %bb.38:
	v_mul_lo_u32 v32, v17, s26
	v_mul_lo_u32 v33, v16, s27
	v_mad_u64_u32 v[30:31], s[12:13], v16, s26, 0
	v_add3_u32 v31, v31, v33, v32
	s_and_b64 vcc, exec, s[4:5]
	v_lshl_add_u64 v[30:31], v[30:31], 3, s[28:29]
	s_cbranch_vccnz .LBB600_50
; %bb.39:
	v_mul_lo_u32 v34, v29, s26
	v_mul_lo_u32 v35, v28, s27
	v_mad_u64_u32 v[32:33], s[10:11], v28, s26, 0
	v_add3_u32 v33, v33, v35, v34
	v_lshl_add_u64 v[32:33], v[32:33], 3, s[28:29]
	global_load_dwordx2 v[34:35], v[30:31], off
	global_load_dwordx2 v[36:37], v[32:33], off
	s_mov_b64 s[10:11], -1
	s_waitcnt vmcnt(0)
	v_cmp_eq_u64_e32 vcc, v[34:35], v[36:37]
	s_and_saveexec_b64 s[12:13], vcc
	s_cbranch_execz .LBB600_49
; %bb.40:
	s_add_u32 s10, s26, -1
	v_lshl_add_u64 v[32:33], v[32:33], 0, 8
	v_lshl_add_u64 v[34:35], v[30:31], 0, 8
	s_addc_u32 s11, s27, -1
	s_mov_b64 s[14:15], 0
	s_mov_b64 s[36:37], 0
                                        ; implicit-def: $sgpr18_sgpr19
	s_branch .LBB600_43
.LBB600_41:                             ;   in Loop: Header=BB600_43 Depth=1
	global_load_dwordx2 v[36:37], v[34:35], off
	global_load_dwordx2 v[46:47], v[32:33], off
	s_add_u32 s36, s36, 1
	s_addc_u32 s37, s37, 0
	s_andn2_b64 s[18:19], s[18:19], exec
	v_lshl_add_u64 v[32:33], v[32:33], 0, 8
	v_lshl_add_u64 v[34:35], v[34:35], 0, 8
	s_waitcnt vmcnt(0)
	v_cmp_ne_u64_e32 vcc, v[36:37], v[46:47]
	s_and_b64 s[38:39], vcc, exec
	s_or_b64 s[18:19], s[18:19], s[38:39]
.LBB600_42:                             ;   in Loop: Header=BB600_43 Depth=1
	s_and_b64 s[38:39], exec, s[18:19]
	s_or_b64 s[14:15], s[38:39], s[14:15]
	v_mov_b64_e32 v[36:37], s[36:37]
	s_andn2_b64 exec, exec, s[14:15]
	s_cbranch_execz .LBB600_48
.LBB600_43:                             ; =>This Inner Loop Header: Depth=1
	s_or_b64 s[18:19], s[18:19], exec
	s_cmp_eq_u64 s[10:11], s[36:37]
	s_cbranch_scc0 .LBB600_41
; %bb.44:                               ;   in Loop: Header=BB600_43 Depth=1
                                        ; implicit-def: $vgpr32_vgpr33
                                        ; implicit-def: $vgpr34_vgpr35
	s_mov_b64 s[36:37], s[26:27]
	s_branch .LBB600_42
.LBB600_45:
                                        ; implicit-def: $sgpr18_sgpr19
                                        ; implicit-def: $vgpr48
                                        ; implicit-def: $vgpr47
                                        ; implicit-def: $vgpr46
                                        ; implicit-def: $vgpr34
	s_branch .LBB600_188
.LBB600_46:
                                        ; implicit-def: $vgpr30_vgpr31
	s_branch .LBB600_336
.LBB600_47:
                                        ; implicit-def: $sgpr18_sgpr19
                                        ; implicit-def: $vgpr48
                                        ; implicit-def: $vgpr47
                                        ; implicit-def: $vgpr46
                                        ; implicit-def: $vgpr34
	s_cbranch_execnz .LBB600_107
	s_branch .LBB600_187
.LBB600_48:
	s_or_b64 exec, exec, s[14:15]
	v_cmp_gt_i64_e32 vcc, s[26:27], v[36:37]
	s_orn2_b64 s[10:11], vcc, exec
.LBB600_49:
	s_or_b64 exec, exec, s[12:13]
.LBB600_50:
	v_mul_lo_u32 v34, v15, s26
	v_mul_lo_u32 v35, v14, s27
	v_mad_u64_u32 v[32:33], s[12:13], v14, s26, 0
	v_add3_u32 v33, v33, v35, v34
	s_mov_b64 s[12:13], 0
	s_and_b64 vcc, exec, s[4:5]
	v_lshl_add_u64 v[32:33], v[32:33], 3, s[28:29]
	s_mov_b64 s[14:15], 0
	s_cbranch_vccnz .LBB600_59
; %bb.51:
	global_load_dwordx2 v[34:35], v[32:33], off
	global_load_dwordx2 v[36:37], v[30:31], off
	s_mov_b64 s[14:15], -1
	s_waitcnt vmcnt(0)
	v_cmp_eq_u64_e32 vcc, v[34:35], v[36:37]
	s_and_saveexec_b64 s[18:19], vcc
	s_cbranch_execz .LBB600_58
; %bb.52:
	s_add_u32 s14, s26, -1
	v_lshl_add_u64 v[30:31], v[30:31], 0, 8
	v_lshl_add_u64 v[34:35], v[32:33], 0, 8
	s_addc_u32 s15, s27, -1
	s_mov_b64 s[36:37], 0
	s_mov_b64 s[40:41], 0
                                        ; implicit-def: $sgpr38_sgpr39
	s_branch .LBB600_55
.LBB600_53:                             ;   in Loop: Header=BB600_55 Depth=1
	global_load_dwordx2 v[36:37], v[34:35], off
	global_load_dwordx2 v[46:47], v[30:31], off
	s_add_u32 s40, s40, 1
	s_addc_u32 s41, s41, 0
	s_andn2_b64 s[38:39], s[38:39], exec
	v_lshl_add_u64 v[30:31], v[30:31], 0, 8
	v_lshl_add_u64 v[34:35], v[34:35], 0, 8
	s_waitcnt vmcnt(0)
	v_cmp_ne_u64_e32 vcc, v[36:37], v[46:47]
	s_and_b64 s[42:43], vcc, exec
	s_or_b64 s[38:39], s[38:39], s[42:43]
.LBB600_54:                             ;   in Loop: Header=BB600_55 Depth=1
	s_and_b64 s[42:43], exec, s[38:39]
	s_or_b64 s[36:37], s[42:43], s[36:37]
	v_mov_b64_e32 v[36:37], s[40:41]
	s_andn2_b64 exec, exec, s[36:37]
	s_cbranch_execz .LBB600_57
.LBB600_55:                             ; =>This Inner Loop Header: Depth=1
	s_or_b64 s[38:39], s[38:39], exec
	s_cmp_eq_u64 s[14:15], s[40:41]
	s_cbranch_scc0 .LBB600_53
; %bb.56:                               ;   in Loop: Header=BB600_55 Depth=1
                                        ; implicit-def: $vgpr30_vgpr31
                                        ; implicit-def: $vgpr34_vgpr35
	s_mov_b64 s[40:41], s[26:27]
	s_branch .LBB600_54
.LBB600_57:
	s_or_b64 exec, exec, s[36:37]
	v_cmp_gt_i64_e32 vcc, s[26:27], v[36:37]
	s_orn2_b64 s[14:15], vcc, exec
.LBB600_58:
	s_or_b64 exec, exec, s[18:19]
.LBB600_59:
	v_mul_lo_u32 v34, v21, s26
	v_mul_lo_u32 v35, v20, s27
	v_mad_u64_u32 v[30:31], s[18:19], v20, s26, 0
	v_add3_u32 v31, v31, v35, v34
	s_and_b64 vcc, exec, s[4:5]
	v_lshl_add_u64 v[30:31], v[30:31], 3, s[28:29]
	s_cbranch_vccnz .LBB600_68
; %bb.60:
	global_load_dwordx2 v[34:35], v[30:31], off
	global_load_dwordx2 v[36:37], v[32:33], off
	s_mov_b64 s[12:13], -1
	s_waitcnt vmcnt(0)
	v_cmp_eq_u64_e32 vcc, v[34:35], v[36:37]
	s_and_saveexec_b64 s[18:19], vcc
	s_cbranch_execz .LBB600_67
; %bb.61:
	s_add_u32 s12, s26, -1
	v_lshl_add_u64 v[32:33], v[32:33], 0, 8
	v_lshl_add_u64 v[34:35], v[30:31], 0, 8
	s_addc_u32 s13, s27, -1
	s_mov_b64 s[36:37], 0
	s_mov_b64 s[40:41], 0
                                        ; implicit-def: $sgpr38_sgpr39
	s_branch .LBB600_64
.LBB600_62:                             ;   in Loop: Header=BB600_64 Depth=1
	global_load_dwordx2 v[36:37], v[34:35], off
	global_load_dwordx2 v[46:47], v[32:33], off
	s_add_u32 s40, s40, 1
	s_addc_u32 s41, s41, 0
	s_andn2_b64 s[38:39], s[38:39], exec
	v_lshl_add_u64 v[32:33], v[32:33], 0, 8
	v_lshl_add_u64 v[34:35], v[34:35], 0, 8
	s_waitcnt vmcnt(0)
	v_cmp_ne_u64_e32 vcc, v[36:37], v[46:47]
	s_and_b64 s[42:43], vcc, exec
	s_or_b64 s[38:39], s[38:39], s[42:43]
.LBB600_63:                             ;   in Loop: Header=BB600_64 Depth=1
	s_and_b64 s[42:43], exec, s[38:39]
	s_or_b64 s[36:37], s[42:43], s[36:37]
	v_mov_b64_e32 v[36:37], s[40:41]
	s_andn2_b64 exec, exec, s[36:37]
	s_cbranch_execz .LBB600_66
.LBB600_64:                             ; =>This Inner Loop Header: Depth=1
	s_or_b64 s[38:39], s[38:39], exec
	s_cmp_eq_u64 s[12:13], s[40:41]
	s_cbranch_scc0 .LBB600_62
; %bb.65:                               ;   in Loop: Header=BB600_64 Depth=1
                                        ; implicit-def: $vgpr32_vgpr33
                                        ; implicit-def: $vgpr34_vgpr35
	s_mov_b64 s[40:41], s[26:27]
	s_branch .LBB600_63
.LBB600_66:
	s_or_b64 exec, exec, s[36:37]
	v_cmp_gt_i64_e32 vcc, s[26:27], v[36:37]
	s_orn2_b64 s[12:13], vcc, exec
.LBB600_67:
	s_or_b64 exec, exec, s[18:19]
.LBB600_68:
	v_mul_lo_u32 v34, v19, s26
	v_mul_lo_u32 v35, v18, s27
	v_mad_u64_u32 v[32:33], s[18:19], v18, s26, 0
	v_add3_u32 v33, v33, v35, v34
	s_mov_b64 s[18:19], 0
	s_and_b64 vcc, exec, s[4:5]
	v_lshl_add_u64 v[34:35], v[32:33], 3, s[28:29]
	s_mov_b64 s[36:37], 0
	s_cbranch_vccnz .LBB600_77
; %bb.69:
	global_load_dwordx2 v[32:33], v[34:35], off
	global_load_dwordx2 v[36:37], v[30:31], off
	s_mov_b64 s[36:37], -1
	s_waitcnt vmcnt(0)
	v_cmp_eq_u64_e32 vcc, v[32:33], v[36:37]
	s_and_saveexec_b64 s[38:39], vcc
	s_cbranch_execz .LBB600_76
; %bb.70:
	s_add_u32 s36, s26, -1
	v_lshl_add_u64 v[30:31], v[30:31], 0, 8
	v_lshl_add_u64 v[32:33], v[34:35], 0, 8
	s_addc_u32 s37, s27, -1
	s_mov_b64 s[40:41], 0
	s_mov_b64 s[44:45], 0
                                        ; implicit-def: $sgpr42_sgpr43
	s_branch .LBB600_73
.LBB600_71:                             ;   in Loop: Header=BB600_73 Depth=1
	global_load_dwordx2 v[36:37], v[32:33], off
	global_load_dwordx2 v[46:47], v[30:31], off
	s_add_u32 s44, s44, 1
	s_addc_u32 s45, s45, 0
	s_andn2_b64 s[42:43], s[42:43], exec
	v_lshl_add_u64 v[30:31], v[30:31], 0, 8
	v_lshl_add_u64 v[32:33], v[32:33], 0, 8
	s_waitcnt vmcnt(0)
	v_cmp_ne_u64_e32 vcc, v[36:37], v[46:47]
	s_and_b64 s[46:47], vcc, exec
	s_or_b64 s[42:43], s[42:43], s[46:47]
.LBB600_72:                             ;   in Loop: Header=BB600_73 Depth=1
	s_and_b64 s[46:47], exec, s[42:43]
	s_or_b64 s[40:41], s[46:47], s[40:41]
	v_mov_b64_e32 v[36:37], s[44:45]
	s_andn2_b64 exec, exec, s[40:41]
	s_cbranch_execz .LBB600_75
.LBB600_73:                             ; =>This Inner Loop Header: Depth=1
	s_or_b64 s[42:43], s[42:43], exec
	s_cmp_eq_u64 s[36:37], s[44:45]
	s_cbranch_scc0 .LBB600_71
; %bb.74:                               ;   in Loop: Header=BB600_73 Depth=1
                                        ; implicit-def: $vgpr30_vgpr31
                                        ; implicit-def: $vgpr32_vgpr33
	s_mov_b64 s[44:45], s[26:27]
	s_branch .LBB600_72
.LBB600_75:
	s_or_b64 exec, exec, s[40:41]
	v_cmp_gt_i64_e32 vcc, s[26:27], v[36:37]
	s_orn2_b64 s[36:37], vcc, exec
.LBB600_76:
	s_or_b64 exec, exec, s[38:39]
.LBB600_77:
	v_mul_lo_u32 v32, v25, s26
	v_mul_lo_u32 v33, v24, s27
	v_mad_u64_u32 v[30:31], s[38:39], v24, s26, 0
	v_add3_u32 v31, v31, v33, v32
	s_and_b64 vcc, exec, s[4:5]
	v_lshl_add_u64 v[32:33], v[30:31], 3, s[28:29]
	s_cbranch_vccnz .LBB600_86
; %bb.78:
	global_load_dwordx2 v[30:31], v[32:33], off
	global_load_dwordx2 v[36:37], v[34:35], off
	s_mov_b64 s[18:19], -1
	s_waitcnt vmcnt(0)
	v_cmp_eq_u64_e32 vcc, v[30:31], v[36:37]
	s_and_saveexec_b64 s[38:39], vcc
	s_cbranch_execz .LBB600_85
; %bb.79:
	s_add_u32 s18, s26, -1
	v_lshl_add_u64 v[30:31], v[34:35], 0, 8
	v_lshl_add_u64 v[34:35], v[32:33], 0, 8
	s_addc_u32 s19, s27, -1
	s_mov_b64 s[40:41], 0
	s_mov_b64 s[44:45], 0
                                        ; implicit-def: $sgpr42_sgpr43
	s_branch .LBB600_82
.LBB600_80:                             ;   in Loop: Header=BB600_82 Depth=1
	global_load_dwordx2 v[36:37], v[34:35], off
	global_load_dwordx2 v[46:47], v[30:31], off
	s_add_u32 s44, s44, 1
	s_addc_u32 s45, s45, 0
	s_andn2_b64 s[42:43], s[42:43], exec
	v_lshl_add_u64 v[30:31], v[30:31], 0, 8
	v_lshl_add_u64 v[34:35], v[34:35], 0, 8
	s_waitcnt vmcnt(0)
	v_cmp_ne_u64_e32 vcc, v[36:37], v[46:47]
	s_and_b64 s[46:47], vcc, exec
	s_or_b64 s[42:43], s[42:43], s[46:47]
.LBB600_81:                             ;   in Loop: Header=BB600_82 Depth=1
	s_and_b64 s[46:47], exec, s[42:43]
	s_or_b64 s[40:41], s[46:47], s[40:41]
	v_mov_b64_e32 v[36:37], s[44:45]
	s_andn2_b64 exec, exec, s[40:41]
	s_cbranch_execz .LBB600_84
.LBB600_82:                             ; =>This Inner Loop Header: Depth=1
	s_or_b64 s[42:43], s[42:43], exec
	s_cmp_eq_u64 s[18:19], s[44:45]
	s_cbranch_scc0 .LBB600_80
; %bb.83:                               ;   in Loop: Header=BB600_82 Depth=1
                                        ; implicit-def: $vgpr30_vgpr31
                                        ; implicit-def: $vgpr34_vgpr35
	s_mov_b64 s[44:45], s[26:27]
	s_branch .LBB600_81
.LBB600_84:
	s_or_b64 exec, exec, s[40:41]
	v_cmp_gt_i64_e32 vcc, s[26:27], v[36:37]
	s_orn2_b64 s[18:19], vcc, exec
.LBB600_85:
	s_or_b64 exec, exec, s[38:39]
.LBB600_86:
	v_mul_lo_u32 v34, v23, s26
	v_mul_lo_u32 v35, v22, s27
	v_mad_u64_u32 v[30:31], s[38:39], v22, s26, 0
	v_add3_u32 v31, v31, v35, v34
	s_mov_b64 s[40:41], 0
	s_and_b64 vcc, exec, s[4:5]
	v_lshl_add_u64 v[30:31], v[30:31], 3, s[28:29]
	s_cbranch_vccnz .LBB600_95
; %bb.87:
	global_load_dwordx2 v[34:35], v[30:31], off
	global_load_dwordx2 v[36:37], v[32:33], off
	s_mov_b64 s[40:41], -1
	s_waitcnt vmcnt(0)
	v_cmp_eq_u64_e32 vcc, v[34:35], v[36:37]
	s_and_saveexec_b64 s[38:39], vcc
	s_cbranch_execz .LBB600_94
; %bb.88:
	s_add_u32 s40, s26, -1
	v_lshl_add_u64 v[32:33], v[32:33], 0, 8
	v_lshl_add_u64 v[34:35], v[30:31], 0, 8
	s_addc_u32 s41, s27, -1
	s_mov_b64 s[42:43], 0
	s_mov_b64 s[46:47], 0
                                        ; implicit-def: $sgpr44_sgpr45
	s_branch .LBB600_91
.LBB600_89:                             ;   in Loop: Header=BB600_91 Depth=1
	global_load_dwordx2 v[36:37], v[34:35], off
	global_load_dwordx2 v[46:47], v[32:33], off
	s_add_u32 s46, s46, 1
	s_addc_u32 s47, s47, 0
	s_andn2_b64 s[44:45], s[44:45], exec
	v_lshl_add_u64 v[32:33], v[32:33], 0, 8
	v_lshl_add_u64 v[34:35], v[34:35], 0, 8
	s_waitcnt vmcnt(0)
	v_cmp_ne_u64_e32 vcc, v[36:37], v[46:47]
	s_and_b64 s[48:49], vcc, exec
	s_or_b64 s[44:45], s[44:45], s[48:49]
.LBB600_90:                             ;   in Loop: Header=BB600_91 Depth=1
	s_and_b64 s[48:49], exec, s[44:45]
	s_or_b64 s[42:43], s[48:49], s[42:43]
	v_mov_b64_e32 v[36:37], s[46:47]
	s_andn2_b64 exec, exec, s[42:43]
	s_cbranch_execz .LBB600_93
.LBB600_91:                             ; =>This Inner Loop Header: Depth=1
	s_or_b64 s[44:45], s[44:45], exec
	s_cmp_eq_u64 s[40:41], s[46:47]
	s_cbranch_scc0 .LBB600_89
; %bb.92:                               ;   in Loop: Header=BB600_91 Depth=1
                                        ; implicit-def: $vgpr32_vgpr33
                                        ; implicit-def: $vgpr34_vgpr35
	s_mov_b64 s[46:47], s[26:27]
	s_branch .LBB600_90
.LBB600_93:
	s_or_b64 exec, exec, s[42:43]
	v_cmp_gt_i64_e32 vcc, s[26:27], v[36:37]
	s_orn2_b64 s[40:41], vcc, exec
.LBB600_94:
	s_or_b64 exec, exec, s[38:39]
.LBB600_95:
	v_cmp_ne_u32_e32 vcc, 0, v0
	s_waitcnt lgkmcnt(0)
	v_mov_b64_e32 v[32:33], s[6:7]
	s_barrier
	s_and_saveexec_b64 s[38:39], vcc
	s_cbranch_execz .LBB600_97
; %bb.96:
	v_add_u32_e32 v32, -8, v45
	ds_read_b64 v[32:33], v32
.LBB600_97:
	s_or_b64 exec, exec, s[38:39]
	v_cndmask_b32_e64 v35, 0, 1, s[36:37]
	v_cndmask_b32_e64 v34, 0, 1, s[18:19]
	;; [unrolled: 1-line block ×3, first 2 shown]
	v_lshlrev_b16_e32 v35, 8, v35
	v_lshlrev_b16_e32 v36, 8, v36
	v_or_b32_sdwa v37, v34, v35 dst_sel:WORD_1 dst_unused:UNUSED_PAD src0_sel:DWORD src1_sel:DWORD
	s_mov_b64 s[36:37], 0
	s_and_b64 vcc, exec, s[4:5]
	s_mov_b64 s[18:19], 0
	s_cbranch_vccnz .LBB600_106
; %bb.98:
	s_waitcnt lgkmcnt(0)
	v_mul_lo_u32 v34, v33, s26
	v_mul_lo_u32 v35, v32, s27
	v_mad_u64_u32 v[32:33], s[18:19], v32, s26, 0
	v_add3_u32 v33, v33, v35, v34
	v_lshl_add_u64 v[32:33], v[32:33], 3, s[28:29]
	global_load_dwordx2 v[34:35], v[32:33], off
	global_load_dwordx2 v[46:47], v[30:31], off
	s_mov_b64 s[18:19], -1
	s_waitcnt vmcnt(0)
	v_cmp_eq_u64_e32 vcc, v[34:35], v[46:47]
	s_and_saveexec_b64 s[38:39], vcc
	s_cbranch_execz .LBB600_105
; %bb.99:
	s_add_u32 s18, s26, -1
	v_lshl_add_u64 v[30:31], v[30:31], 0, 8
	v_lshl_add_u64 v[32:33], v[32:33], 0, 8
	s_addc_u32 s19, s27, -1
	s_mov_b64 s[40:41], 0
	s_mov_b64 s[44:45], 0
                                        ; implicit-def: $sgpr42_sgpr43
	s_branch .LBB600_102
.LBB600_100:                            ;   in Loop: Header=BB600_102 Depth=1
	global_load_dwordx2 v[34:35], v[32:33], off
	global_load_dwordx2 v[46:47], v[30:31], off
	s_add_u32 s44, s44, 1
	s_addc_u32 s45, s45, 0
	s_andn2_b64 s[42:43], s[42:43], exec
	v_lshl_add_u64 v[30:31], v[30:31], 0, 8
	v_lshl_add_u64 v[32:33], v[32:33], 0, 8
	s_waitcnt vmcnt(0)
	v_cmp_ne_u64_e32 vcc, v[34:35], v[46:47]
	s_and_b64 s[46:47], vcc, exec
	s_or_b64 s[42:43], s[42:43], s[46:47]
.LBB600_101:                            ;   in Loop: Header=BB600_102 Depth=1
	s_and_b64 s[46:47], exec, s[42:43]
	s_or_b64 s[40:41], s[46:47], s[40:41]
	v_mov_b64_e32 v[34:35], s[44:45]
	s_andn2_b64 exec, exec, s[40:41]
	s_cbranch_execz .LBB600_104
.LBB600_102:                            ; =>This Inner Loop Header: Depth=1
	s_or_b64 s[42:43], s[42:43], exec
	s_cmp_eq_u64 s[18:19], s[44:45]
	s_cbranch_scc0 .LBB600_100
; %bb.103:                              ;   in Loop: Header=BB600_102 Depth=1
                                        ; implicit-def: $vgpr30_vgpr31
                                        ; implicit-def: $vgpr32_vgpr33
	s_mov_b64 s[44:45], s[26:27]
	s_branch .LBB600_101
.LBB600_104:
	s_or_b64 exec, exec, s[40:41]
	v_cmp_gt_i64_e32 vcc, s[26:27], v[34:35]
	s_orn2_b64 s[18:19], vcc, exec
.LBB600_105:
	s_or_b64 exec, exec, s[38:39]
.LBB600_106:
	v_cndmask_b32_e64 v46, 0, 1, s[12:13]
	v_cndmask_b32_e64 v47, 0, 1, s[14:15]
	;; [unrolled: 1-line block ×3, first 2 shown]
	v_or_b32_e32 v34, v36, v37
	s_and_b64 vcc, exec, s[36:37]
	s_cbranch_vccz .LBB600_187
.LBB600_107:
	v_cmp_gt_u32_e32 vcc, s3, v40
	s_mov_b64 s[12:13], 0
	s_mov_b64 s[10:11], 0
	s_and_saveexec_b64 s[14:15], vcc
	s_cbranch_execz .LBB600_118
; %bb.108:
	s_and_b64 vcc, exec, s[4:5]
	s_mov_b64 s[18:19], 0
	s_cbranch_vccnz .LBB600_117
; %bb.109:
	s_waitcnt lgkmcnt(0)
	v_mul_lo_u32 v32, v17, s26
	v_mul_lo_u32 v33, v16, s27
	v_mad_u64_u32 v[30:31], s[10:11], v16, s26, 0
	v_add3_u32 v31, v31, v33, v32
	v_mul_lo_u32 v32, v29, s26
	v_mul_lo_u32 v33, v28, s27
	v_mad_u64_u32 v[34:35], s[10:11], v28, s26, 0
	v_add3_u32 v35, v35, v33, v32
	v_lshl_add_u64 v[32:33], v[30:31], 3, s[28:29]
	v_lshl_add_u64 v[30:31], v[34:35], 3, s[28:29]
	global_load_dwordx2 v[34:35], v[32:33], off
	global_load_dwordx2 v[36:37], v[30:31], off
	s_mov_b64 s[18:19], -1
	s_waitcnt vmcnt(0)
	v_cmp_eq_u64_e32 vcc, v[34:35], v[36:37]
	s_and_saveexec_b64 s[10:11], vcc
	s_cbranch_execz .LBB600_116
; %bb.110:
	s_add_u32 s18, s26, -1
	v_lshl_add_u64 v[30:31], v[30:31], 0, 8
	v_lshl_add_u64 v[32:33], v[32:33], 0, 8
	s_addc_u32 s19, s27, -1
	s_mov_b64 s[36:37], 0
	s_mov_b64 s[40:41], 0
                                        ; implicit-def: $sgpr38_sgpr39
	s_branch .LBB600_113
.LBB600_111:                            ;   in Loop: Header=BB600_113 Depth=1
	global_load_dwordx2 v[34:35], v[32:33], off
	global_load_dwordx2 v[36:37], v[30:31], off
	s_add_u32 s40, s40, 1
	s_addc_u32 s41, s41, 0
	s_andn2_b64 s[38:39], s[38:39], exec
	v_lshl_add_u64 v[30:31], v[30:31], 0, 8
	v_lshl_add_u64 v[32:33], v[32:33], 0, 8
	s_waitcnt vmcnt(0)
	v_cmp_ne_u64_e32 vcc, v[34:35], v[36:37]
	s_and_b64 s[42:43], vcc, exec
	s_or_b64 s[38:39], s[38:39], s[42:43]
.LBB600_112:                            ;   in Loop: Header=BB600_113 Depth=1
	s_and_b64 s[42:43], exec, s[38:39]
	s_or_b64 s[36:37], s[42:43], s[36:37]
	v_mov_b64_e32 v[34:35], s[40:41]
	s_andn2_b64 exec, exec, s[36:37]
	s_cbranch_execz .LBB600_115
.LBB600_113:                            ; =>This Inner Loop Header: Depth=1
	s_or_b64 s[38:39], s[38:39], exec
	s_cmp_eq_u64 s[18:19], s[40:41]
	s_cbranch_scc0 .LBB600_111
; %bb.114:                              ;   in Loop: Header=BB600_113 Depth=1
                                        ; implicit-def: $vgpr30_vgpr31
                                        ; implicit-def: $vgpr32_vgpr33
	s_mov_b64 s[40:41], s[26:27]
	s_branch .LBB600_112
.LBB600_115:
	s_or_b64 exec, exec, s[36:37]
	v_cmp_gt_i64_e32 vcc, s[26:27], v[34:35]
	s_orn2_b64 s[18:19], vcc, exec
.LBB600_116:
	s_or_b64 exec, exec, s[10:11]
.LBB600_117:
	s_and_b64 s[10:11], s[18:19], exec
.LBB600_118:
	s_or_b64 exec, exec, s[14:15]
	v_cmp_gt_u32_e32 vcc, s3, v43
	s_and_saveexec_b64 s[14:15], vcc
	s_cbranch_execz .LBB600_129
; %bb.119:
	s_and_b64 vcc, exec, s[4:5]
	s_mov_b64 s[18:19], 0
	s_cbranch_vccnz .LBB600_128
; %bb.120:
	s_waitcnt lgkmcnt(0)
	v_mul_lo_u32 v32, v15, s26
	v_mul_lo_u32 v33, v14, s27
	v_mad_u64_u32 v[30:31], s[12:13], v14, s26, 0
	v_add3_u32 v31, v31, v33, v32
	v_mul_lo_u32 v32, v17, s26
	v_mul_lo_u32 v33, v16, s27
	v_mad_u64_u32 v[34:35], s[12:13], v16, s26, 0
	v_add3_u32 v35, v35, v33, v32
	v_lshl_add_u64 v[32:33], v[30:31], 3, s[28:29]
	v_lshl_add_u64 v[30:31], v[34:35], 3, s[28:29]
	global_load_dwordx2 v[34:35], v[32:33], off
	global_load_dwordx2 v[36:37], v[30:31], off
	s_mov_b64 s[18:19], -1
	s_waitcnt vmcnt(0)
	v_cmp_eq_u64_e32 vcc, v[34:35], v[36:37]
	s_and_saveexec_b64 s[12:13], vcc
	s_cbranch_execz .LBB600_127
; %bb.121:
	s_add_u32 s18, s26, -1
	v_lshl_add_u64 v[30:31], v[30:31], 0, 8
	v_lshl_add_u64 v[32:33], v[32:33], 0, 8
	s_addc_u32 s19, s27, -1
	s_mov_b64 s[36:37], 0
	s_mov_b64 s[40:41], 0
                                        ; implicit-def: $sgpr38_sgpr39
	s_branch .LBB600_124
.LBB600_122:                            ;   in Loop: Header=BB600_124 Depth=1
	global_load_dwordx2 v[34:35], v[32:33], off
	global_load_dwordx2 v[36:37], v[30:31], off
	s_add_u32 s40, s40, 1
	s_addc_u32 s41, s41, 0
	s_andn2_b64 s[38:39], s[38:39], exec
	v_lshl_add_u64 v[30:31], v[30:31], 0, 8
	v_lshl_add_u64 v[32:33], v[32:33], 0, 8
	s_waitcnt vmcnt(0)
	v_cmp_ne_u64_e32 vcc, v[34:35], v[36:37]
	s_and_b64 s[42:43], vcc, exec
	s_or_b64 s[38:39], s[38:39], s[42:43]
.LBB600_123:                            ;   in Loop: Header=BB600_124 Depth=1
	s_and_b64 s[42:43], exec, s[38:39]
	s_or_b64 s[36:37], s[42:43], s[36:37]
	v_mov_b64_e32 v[34:35], s[40:41]
	s_andn2_b64 exec, exec, s[36:37]
	s_cbranch_execz .LBB600_126
.LBB600_124:                            ; =>This Inner Loop Header: Depth=1
	s_or_b64 s[38:39], s[38:39], exec
	s_cmp_eq_u64 s[18:19], s[40:41]
	s_cbranch_scc0 .LBB600_122
; %bb.125:                              ;   in Loop: Header=BB600_124 Depth=1
                                        ; implicit-def: $vgpr30_vgpr31
                                        ; implicit-def: $vgpr32_vgpr33
	s_mov_b64 s[40:41], s[26:27]
	s_branch .LBB600_123
.LBB600_126:
	s_or_b64 exec, exec, s[36:37]
	v_cmp_gt_i64_e32 vcc, s[26:27], v[34:35]
	s_orn2_b64 s[18:19], vcc, exec
.LBB600_127:
	s_or_b64 exec, exec, s[12:13]
.LBB600_128:
	s_and_b64 s[12:13], s[18:19], exec
.LBB600_129:
	s_or_b64 exec, exec, s[14:15]
	v_cmp_gt_u32_e32 vcc, s3, v39
	s_mov_b64 s[18:19], 0
	s_mov_b64 s[14:15], 0
	s_and_saveexec_b64 s[36:37], vcc
	s_cbranch_execz .LBB600_140
; %bb.130:
	s_and_b64 vcc, exec, s[4:5]
	s_mov_b64 s[38:39], 0
	s_cbranch_vccnz .LBB600_139
; %bb.131:
	s_waitcnt lgkmcnt(0)
	v_mul_lo_u32 v32, v21, s26
	v_mul_lo_u32 v33, v20, s27
	v_mad_u64_u32 v[30:31], s[14:15], v20, s26, 0
	v_add3_u32 v31, v31, v33, v32
	v_mul_lo_u32 v32, v15, s26
	v_mul_lo_u32 v33, v14, s27
	v_mad_u64_u32 v[34:35], s[14:15], v14, s26, 0
	v_add3_u32 v35, v35, v33, v32
	v_lshl_add_u64 v[32:33], v[30:31], 3, s[28:29]
	v_lshl_add_u64 v[30:31], v[34:35], 3, s[28:29]
	global_load_dwordx2 v[34:35], v[32:33], off
	global_load_dwordx2 v[36:37], v[30:31], off
	s_mov_b64 s[38:39], -1
	s_waitcnt vmcnt(0)
	v_cmp_eq_u64_e32 vcc, v[34:35], v[36:37]
	s_and_saveexec_b64 s[14:15], vcc
	s_cbranch_execz .LBB600_138
; %bb.132:
	s_add_u32 s38, s26, -1
	v_lshl_add_u64 v[30:31], v[30:31], 0, 8
	v_lshl_add_u64 v[32:33], v[32:33], 0, 8
	s_addc_u32 s39, s27, -1
	s_mov_b64 s[40:41], 0
	s_mov_b64 s[44:45], 0
                                        ; implicit-def: $sgpr42_sgpr43
	s_branch .LBB600_135
.LBB600_133:                            ;   in Loop: Header=BB600_135 Depth=1
	global_load_dwordx2 v[34:35], v[32:33], off
	global_load_dwordx2 v[36:37], v[30:31], off
	s_add_u32 s44, s44, 1
	s_addc_u32 s45, s45, 0
	s_andn2_b64 s[42:43], s[42:43], exec
	v_lshl_add_u64 v[30:31], v[30:31], 0, 8
	v_lshl_add_u64 v[32:33], v[32:33], 0, 8
	s_waitcnt vmcnt(0)
	v_cmp_ne_u64_e32 vcc, v[34:35], v[36:37]
	s_and_b64 s[46:47], vcc, exec
	s_or_b64 s[42:43], s[42:43], s[46:47]
.LBB600_134:                            ;   in Loop: Header=BB600_135 Depth=1
	s_and_b64 s[46:47], exec, s[42:43]
	s_or_b64 s[40:41], s[46:47], s[40:41]
	v_mov_b64_e32 v[34:35], s[44:45]
	s_andn2_b64 exec, exec, s[40:41]
	s_cbranch_execz .LBB600_137
.LBB600_135:                            ; =>This Inner Loop Header: Depth=1
	s_or_b64 s[42:43], s[42:43], exec
	s_cmp_eq_u64 s[38:39], s[44:45]
	s_cbranch_scc0 .LBB600_133
; %bb.136:                              ;   in Loop: Header=BB600_135 Depth=1
                                        ; implicit-def: $vgpr30_vgpr31
                                        ; implicit-def: $vgpr32_vgpr33
	s_mov_b64 s[44:45], s[26:27]
	s_branch .LBB600_134
.LBB600_137:
	s_or_b64 exec, exec, s[40:41]
	v_cmp_gt_i64_e32 vcc, s[26:27], v[34:35]
	s_orn2_b64 s[38:39], vcc, exec
.LBB600_138:
	s_or_b64 exec, exec, s[14:15]
.LBB600_139:
	s_and_b64 s[14:15], s[38:39], exec
.LBB600_140:
	s_or_b64 exec, exec, s[36:37]
	v_cmp_gt_u32_e32 vcc, s3, v42
	s_and_saveexec_b64 s[36:37], vcc
	s_cbranch_execz .LBB600_151
; %bb.141:
	s_and_b64 vcc, exec, s[4:5]
	s_mov_b64 s[38:39], 0
	s_cbranch_vccnz .LBB600_150
; %bb.142:
	s_waitcnt lgkmcnt(0)
	v_mul_lo_u32 v32, v19, s26
	v_mul_lo_u32 v33, v18, s27
	v_mad_u64_u32 v[30:31], s[18:19], v18, s26, 0
	v_add3_u32 v31, v31, v33, v32
	v_mul_lo_u32 v32, v21, s26
	v_mul_lo_u32 v33, v20, s27
	v_mad_u64_u32 v[34:35], s[18:19], v20, s26, 0
	v_add3_u32 v35, v35, v33, v32
	v_lshl_add_u64 v[32:33], v[30:31], 3, s[28:29]
	v_lshl_add_u64 v[30:31], v[34:35], 3, s[28:29]
	global_load_dwordx2 v[34:35], v[32:33], off
	global_load_dwordx2 v[36:37], v[30:31], off
	s_mov_b64 s[38:39], -1
	s_waitcnt vmcnt(0)
	v_cmp_eq_u64_e32 vcc, v[34:35], v[36:37]
	s_and_saveexec_b64 s[18:19], vcc
	s_cbranch_execz .LBB600_149
; %bb.143:
	s_add_u32 s38, s26, -1
	v_lshl_add_u64 v[30:31], v[30:31], 0, 8
	v_lshl_add_u64 v[32:33], v[32:33], 0, 8
	s_addc_u32 s39, s27, -1
	s_mov_b64 s[40:41], 0
	s_mov_b64 s[44:45], 0
                                        ; implicit-def: $sgpr42_sgpr43
	s_branch .LBB600_146
.LBB600_144:                            ;   in Loop: Header=BB600_146 Depth=1
	global_load_dwordx2 v[34:35], v[32:33], off
	global_load_dwordx2 v[36:37], v[30:31], off
	s_add_u32 s44, s44, 1
	s_addc_u32 s45, s45, 0
	s_andn2_b64 s[42:43], s[42:43], exec
	v_lshl_add_u64 v[30:31], v[30:31], 0, 8
	v_lshl_add_u64 v[32:33], v[32:33], 0, 8
	s_waitcnt vmcnt(0)
	v_cmp_ne_u64_e32 vcc, v[34:35], v[36:37]
	s_and_b64 s[46:47], vcc, exec
	s_or_b64 s[42:43], s[42:43], s[46:47]
.LBB600_145:                            ;   in Loop: Header=BB600_146 Depth=1
	s_and_b64 s[46:47], exec, s[42:43]
	s_or_b64 s[40:41], s[46:47], s[40:41]
	v_mov_b64_e32 v[34:35], s[44:45]
	s_andn2_b64 exec, exec, s[40:41]
	s_cbranch_execz .LBB600_148
.LBB600_146:                            ; =>This Inner Loop Header: Depth=1
	s_or_b64 s[42:43], s[42:43], exec
	s_cmp_eq_u64 s[38:39], s[44:45]
	s_cbranch_scc0 .LBB600_144
; %bb.147:                              ;   in Loop: Header=BB600_146 Depth=1
                                        ; implicit-def: $vgpr30_vgpr31
                                        ; implicit-def: $vgpr32_vgpr33
	s_mov_b64 s[44:45], s[26:27]
	s_branch .LBB600_145
.LBB600_148:
	s_or_b64 exec, exec, s[40:41]
	v_cmp_gt_i64_e32 vcc, s[26:27], v[34:35]
	s_orn2_b64 s[38:39], vcc, exec
.LBB600_149:
	s_or_b64 exec, exec, s[18:19]
.LBB600_150:
	s_and_b64 s[18:19], s[38:39], exec
.LBB600_151:
	s_or_b64 exec, exec, s[36:37]
	v_cmp_gt_u32_e32 vcc, s3, v38
	s_mov_b64 s[36:37], 0
	s_mov_b64 s[38:39], 0
	s_and_saveexec_b64 s[40:41], vcc
	s_cbranch_execz .LBB600_162
; %bb.152:
	s_and_b64 vcc, exec, s[4:5]
	s_mov_b64 s[42:43], 0
	s_cbranch_vccnz .LBB600_161
; %bb.153:
	s_waitcnt lgkmcnt(0)
	v_mul_lo_u32 v32, v25, s26
	v_mul_lo_u32 v33, v24, s27
	v_mad_u64_u32 v[30:31], s[38:39], v24, s26, 0
	v_add3_u32 v31, v31, v33, v32
	v_mul_lo_u32 v32, v19, s26
	v_mul_lo_u32 v33, v18, s27
	v_mad_u64_u32 v[34:35], s[38:39], v18, s26, 0
	v_add3_u32 v35, v35, v33, v32
	v_lshl_add_u64 v[32:33], v[30:31], 3, s[28:29]
	v_lshl_add_u64 v[30:31], v[34:35], 3, s[28:29]
	global_load_dwordx2 v[34:35], v[32:33], off
	global_load_dwordx2 v[36:37], v[30:31], off
	s_mov_b64 s[42:43], -1
	s_waitcnt vmcnt(0)
	v_cmp_eq_u64_e32 vcc, v[34:35], v[36:37]
	s_and_saveexec_b64 s[38:39], vcc
	s_cbranch_execz .LBB600_160
; %bb.154:
	s_add_u32 s42, s26, -1
	v_lshl_add_u64 v[30:31], v[30:31], 0, 8
	v_lshl_add_u64 v[32:33], v[32:33], 0, 8
	s_addc_u32 s43, s27, -1
	s_mov_b64 s[44:45], 0
	s_mov_b64 s[48:49], 0
                                        ; implicit-def: $sgpr46_sgpr47
	s_branch .LBB600_157
.LBB600_155:                            ;   in Loop: Header=BB600_157 Depth=1
	global_load_dwordx2 v[34:35], v[32:33], off
	global_load_dwordx2 v[36:37], v[30:31], off
	s_add_u32 s48, s48, 1
	s_addc_u32 s49, s49, 0
	s_andn2_b64 s[46:47], s[46:47], exec
	v_lshl_add_u64 v[30:31], v[30:31], 0, 8
	v_lshl_add_u64 v[32:33], v[32:33], 0, 8
	s_waitcnt vmcnt(0)
	v_cmp_ne_u64_e32 vcc, v[34:35], v[36:37]
	s_and_b64 s[50:51], vcc, exec
	s_or_b64 s[46:47], s[46:47], s[50:51]
.LBB600_156:                            ;   in Loop: Header=BB600_157 Depth=1
	s_and_b64 s[50:51], exec, s[46:47]
	s_or_b64 s[44:45], s[50:51], s[44:45]
	v_mov_b64_e32 v[34:35], s[48:49]
	s_andn2_b64 exec, exec, s[44:45]
	s_cbranch_execz .LBB600_159
.LBB600_157:                            ; =>This Inner Loop Header: Depth=1
	s_or_b64 s[46:47], s[46:47], exec
	s_cmp_eq_u64 s[42:43], s[48:49]
	s_cbranch_scc0 .LBB600_155
; %bb.158:                              ;   in Loop: Header=BB600_157 Depth=1
                                        ; implicit-def: $vgpr30_vgpr31
                                        ; implicit-def: $vgpr32_vgpr33
	s_mov_b64 s[48:49], s[26:27]
	s_branch .LBB600_156
.LBB600_159:
	s_or_b64 exec, exec, s[44:45]
	v_cmp_gt_i64_e32 vcc, s[26:27], v[34:35]
	s_orn2_b64 s[42:43], vcc, exec
.LBB600_160:
	s_or_b64 exec, exec, s[38:39]
.LBB600_161:
	s_and_b64 s[38:39], s[42:43], exec
.LBB600_162:
	s_or_b64 exec, exec, s[40:41]
	v_cmp_gt_u32_e32 vcc, s3, v41
	s_and_saveexec_b64 s[40:41], vcc
	s_cbranch_execz .LBB600_173
; %bb.163:
	s_and_b64 vcc, exec, s[4:5]
	s_mov_b64 s[42:43], 0
	s_cbranch_vccnz .LBB600_172
; %bb.164:
	s_waitcnt lgkmcnt(0)
	v_mul_lo_u32 v32, v23, s26
	v_mul_lo_u32 v33, v22, s27
	v_mad_u64_u32 v[30:31], s[36:37], v22, s26, 0
	v_add3_u32 v31, v31, v33, v32
	v_mul_lo_u32 v32, v25, s26
	v_mul_lo_u32 v33, v24, s27
	v_mad_u64_u32 v[34:35], s[36:37], v24, s26, 0
	v_add3_u32 v35, v35, v33, v32
	v_lshl_add_u64 v[32:33], v[30:31], 3, s[28:29]
	v_lshl_add_u64 v[30:31], v[34:35], 3, s[28:29]
	global_load_dwordx2 v[34:35], v[32:33], off
	global_load_dwordx2 v[36:37], v[30:31], off
	s_mov_b64 s[42:43], -1
	s_waitcnt vmcnt(0)
	v_cmp_eq_u64_e32 vcc, v[34:35], v[36:37]
	s_and_saveexec_b64 s[36:37], vcc
	s_cbranch_execz .LBB600_171
; %bb.165:
	s_add_u32 s42, s26, -1
	v_lshl_add_u64 v[30:31], v[30:31], 0, 8
	v_lshl_add_u64 v[32:33], v[32:33], 0, 8
	s_addc_u32 s43, s27, -1
	s_mov_b64 s[44:45], 0
	s_mov_b64 s[48:49], 0
                                        ; implicit-def: $sgpr46_sgpr47
	s_branch .LBB600_168
.LBB600_166:                            ;   in Loop: Header=BB600_168 Depth=1
	global_load_dwordx2 v[34:35], v[32:33], off
	global_load_dwordx2 v[36:37], v[30:31], off
	s_add_u32 s48, s48, 1
	s_addc_u32 s49, s49, 0
	s_andn2_b64 s[46:47], s[46:47], exec
	v_lshl_add_u64 v[30:31], v[30:31], 0, 8
	v_lshl_add_u64 v[32:33], v[32:33], 0, 8
	s_waitcnt vmcnt(0)
	v_cmp_ne_u64_e32 vcc, v[34:35], v[36:37]
	s_and_b64 s[50:51], vcc, exec
	s_or_b64 s[46:47], s[46:47], s[50:51]
.LBB600_167:                            ;   in Loop: Header=BB600_168 Depth=1
	s_and_b64 s[50:51], exec, s[46:47]
	s_or_b64 s[44:45], s[50:51], s[44:45]
	v_mov_b64_e32 v[34:35], s[48:49]
	s_andn2_b64 exec, exec, s[44:45]
	s_cbranch_execz .LBB600_170
.LBB600_168:                            ; =>This Inner Loop Header: Depth=1
	s_or_b64 s[46:47], s[46:47], exec
	s_cmp_eq_u64 s[42:43], s[48:49]
	s_cbranch_scc0 .LBB600_166
; %bb.169:                              ;   in Loop: Header=BB600_168 Depth=1
                                        ; implicit-def: $vgpr30_vgpr31
                                        ; implicit-def: $vgpr32_vgpr33
	s_mov_b64 s[48:49], s[26:27]
	s_branch .LBB600_167
.LBB600_170:
	s_or_b64 exec, exec, s[44:45]
	v_cmp_gt_i64_e32 vcc, s[26:27], v[34:35]
	s_orn2_b64 s[42:43], vcc, exec
.LBB600_171:
	s_or_b64 exec, exec, s[36:37]
.LBB600_172:
	s_and_b64 s[36:37], s[42:43], exec
.LBB600_173:
	s_or_b64 exec, exec, s[40:41]
	v_cmp_ne_u32_e32 vcc, 0, v0
	s_waitcnt lgkmcnt(0)
	v_mov_b64_e32 v[30:31], s[6:7]
	s_barrier
	s_and_saveexec_b64 s[6:7], vcc
	s_cbranch_execz .LBB600_175
; %bb.174:
	v_add_u32_e32 v30, -8, v45
	ds_read_b64 v[30:31], v30
.LBB600_175:
	s_or_b64 exec, exec, s[6:7]
	v_cndmask_b32_e64 v33, 0, 1, s[18:19]
	v_cndmask_b32_e64 v32, 0, 1, s[38:39]
	;; [unrolled: 1-line block ×3, first 2 shown]
	v_lshlrev_b16_e32 v33, 8, v33
	v_cmp_gt_u32_e32 vcc, s3, v1
	v_lshlrev_b16_e32 v36, 8, v34
	v_or_b32_sdwa v37, v32, v33 dst_sel:WORD_1 dst_unused:UNUSED_PAD src0_sel:DWORD src1_sel:DWORD
	s_mov_b64 s[18:19], 0
	s_and_saveexec_b64 s[6:7], vcc
	s_cbranch_execz .LBB600_186
; %bb.176:
	s_and_b64 vcc, exec, s[4:5]
	s_cbranch_vccnz .LBB600_185
; %bb.177:
	s_waitcnt lgkmcnt(0)
	v_mul_lo_u32 v32, v31, s26
	v_mul_lo_u32 v33, v30, s27
	v_mad_u64_u32 v[30:31], s[4:5], v30, s26, 0
	v_add3_u32 v31, v31, v33, v32
	v_mul_lo_u32 v32, v23, s26
	v_mul_lo_u32 v33, v22, s27
	v_mad_u64_u32 v[34:35], s[4:5], v22, s26, 0
	v_add3_u32 v35, v35, v33, v32
	v_lshl_add_u64 v[32:33], v[30:31], 3, s[28:29]
	v_lshl_add_u64 v[30:31], v[34:35], 3, s[28:29]
	global_load_dwordx2 v[34:35], v[32:33], off
	global_load_dwordx2 v[46:47], v[30:31], off
	s_mov_b64 s[18:19], -1
	s_waitcnt vmcnt(0)
	v_cmp_eq_u64_e32 vcc, v[34:35], v[46:47]
	s_and_saveexec_b64 s[4:5], vcc
	s_cbranch_execz .LBB600_184
; %bb.178:
	s_add_u32 s18, s26, -1
	v_lshl_add_u64 v[30:31], v[30:31], 0, 8
	v_lshl_add_u64 v[32:33], v[32:33], 0, 8
	s_addc_u32 s19, s27, -1
	s_mov_b64 s[36:37], 0
	s_mov_b64 s[40:41], 0
                                        ; implicit-def: $sgpr38_sgpr39
	s_branch .LBB600_181
.LBB600_179:                            ;   in Loop: Header=BB600_181 Depth=1
	global_load_dwordx2 v[34:35], v[32:33], off
	global_load_dwordx2 v[46:47], v[30:31], off
	s_add_u32 s40, s40, 1
	s_addc_u32 s41, s41, 0
	s_andn2_b64 s[38:39], s[38:39], exec
	v_lshl_add_u64 v[30:31], v[30:31], 0, 8
	v_lshl_add_u64 v[32:33], v[32:33], 0, 8
	s_waitcnt vmcnt(0)
	v_cmp_ne_u64_e32 vcc, v[34:35], v[46:47]
	s_and_b64 s[42:43], vcc, exec
	s_or_b64 s[38:39], s[38:39], s[42:43]
.LBB600_180:                            ;   in Loop: Header=BB600_181 Depth=1
	s_and_b64 s[42:43], exec, s[38:39]
	s_or_b64 s[36:37], s[42:43], s[36:37]
	v_mov_b64_e32 v[34:35], s[40:41]
	s_andn2_b64 exec, exec, s[36:37]
	s_cbranch_execz .LBB600_183
.LBB600_181:                            ; =>This Inner Loop Header: Depth=1
	s_or_b64 s[38:39], s[38:39], exec
	s_cmp_eq_u64 s[18:19], s[40:41]
	s_cbranch_scc0 .LBB600_179
; %bb.182:                              ;   in Loop: Header=BB600_181 Depth=1
                                        ; implicit-def: $vgpr30_vgpr31
                                        ; implicit-def: $vgpr32_vgpr33
	s_mov_b64 s[40:41], s[26:27]
	s_branch .LBB600_180
.LBB600_183:
	s_or_b64 exec, exec, s[36:37]
	v_cmp_gt_i64_e32 vcc, s[26:27], v[34:35]
	s_orn2_b64 s[18:19], vcc, exec
.LBB600_184:
	s_or_b64 exec, exec, s[4:5]
.LBB600_185:
	s_and_b64 s[18:19], s[18:19], exec
.LBB600_186:
	s_or_b64 exec, exec, s[6:7]
	v_cndmask_b32_e64 v46, 0, 1, s[14:15]
	v_cndmask_b32_e64 v47, 0, 1, s[12:13]
	;; [unrolled: 1-line block ×3, first 2 shown]
	v_or_b32_e32 v34, v36, v37
.LBB600_187:
	s_mov_b64 s[10:11], -1
	s_cbranch_execnz .LBB600_46
.LBB600_188:
	s_movk_i32 s4, 0xffd0
	v_mad_i32_i24 v44, v0, s4, v44
	s_mov_b64 s[12:13], 0
	s_waitcnt lgkmcnt(0)
	v_cmp_gt_i64_e64 s[6:7], s[26:27], 0
	s_and_b64 vcc, exec, s[34:35]
	ds_write_b64 v44, v[28:29]
	s_cbranch_vccz .LBB600_196
; %bb.189:
	v_mul_lo_u32 v32, v17, s26
	v_mul_lo_u32 v33, v16, s27
	v_mad_u64_u32 v[30:31], s[4:5], v16, s26, 0
	v_add3_u32 v31, v31, v33, v32
	v_cndmask_b32_e64 v32, 0, 1, s[6:7]
	v_cmp_ne_u32_e64 s[4:5], 1, v32
	s_andn2_b64 vcc, exec, s[6:7]
	v_lshl_add_u64 v[30:31], v[30:31], 3, s[28:29]
	s_cbranch_vccnz .LBB600_199
; %bb.190:
	v_mul_lo_u32 v34, v29, s26
	v_mul_lo_u32 v35, v28, s27
	v_mad_u64_u32 v[32:33], s[12:13], v28, s26, 0
	v_add3_u32 v33, v33, v35, v34
	v_lshl_add_u64 v[32:33], v[32:33], 3, s[28:29]
	global_load_dwordx2 v[34:35], v[30:31], off
	global_load_dwordx2 v[36:37], v[32:33], off
	s_mov_b64 s[12:13], -1
	s_waitcnt vmcnt(0)
	v_cmp_eq_u64_e32 vcc, v[34:35], v[36:37]
	s_and_saveexec_b64 s[14:15], vcc
	s_cbranch_execz .LBB600_198
; %bb.191:
	s_add_u32 s12, s26, -1
	v_lshl_add_u64 v[32:33], v[32:33], 0, 8
	v_lshl_add_u64 v[34:35], v[30:31], 0, 8
	s_addc_u32 s13, s27, -1
	s_mov_b64 s[18:19], 0
	s_mov_b64 s[38:39], 0
                                        ; implicit-def: $sgpr36_sgpr37
	s_branch .LBB600_194
.LBB600_192:                            ;   in Loop: Header=BB600_194 Depth=1
	global_load_dwordx2 v[36:37], v[34:35], off
	global_load_dwordx2 v[46:47], v[32:33], off
	s_add_u32 s38, s38, 1
	s_addc_u32 s39, s39, 0
	s_andn2_b64 s[36:37], s[36:37], exec
	v_lshl_add_u64 v[32:33], v[32:33], 0, 8
	v_lshl_add_u64 v[34:35], v[34:35], 0, 8
	s_waitcnt vmcnt(0)
	v_cmp_ne_u64_e32 vcc, v[36:37], v[46:47]
	s_and_b64 s[40:41], vcc, exec
	s_or_b64 s[36:37], s[36:37], s[40:41]
.LBB600_193:                            ;   in Loop: Header=BB600_194 Depth=1
	s_and_b64 s[40:41], exec, s[36:37]
	s_or_b64 s[18:19], s[40:41], s[18:19]
	v_mov_b64_e32 v[36:37], s[38:39]
	s_andn2_b64 exec, exec, s[18:19]
	s_cbranch_execz .LBB600_197
.LBB600_194:                            ; =>This Inner Loop Header: Depth=1
	s_or_b64 s[36:37], s[36:37], exec
	s_cmp_eq_u64 s[12:13], s[38:39]
	s_cbranch_scc0 .LBB600_192
; %bb.195:                              ;   in Loop: Header=BB600_194 Depth=1
                                        ; implicit-def: $vgpr32_vgpr33
                                        ; implicit-def: $vgpr34_vgpr35
	s_mov_b64 s[38:39], s[26:27]
	s_branch .LBB600_193
.LBB600_196:
                                        ; implicit-def: $sgpr18_sgpr19
                                        ; implicit-def: $vgpr48
                                        ; implicit-def: $vgpr47
                                        ; implicit-def: $vgpr46
                                        ; implicit-def: $vgpr34
                                        ; implicit-def: $vgpr30_vgpr31
	s_cbranch_execnz .LBB600_256
	s_branch .LBB600_336
.LBB600_197:
	s_or_b64 exec, exec, s[18:19]
	v_cmp_gt_i64_e32 vcc, s[26:27], v[36:37]
	s_orn2_b64 s[12:13], vcc, exec
.LBB600_198:
	s_or_b64 exec, exec, s[14:15]
.LBB600_199:
	v_mul_lo_u32 v34, v15, s26
	v_mul_lo_u32 v35, v14, s27
	v_mad_u64_u32 v[32:33], s[14:15], v14, s26, 0
	v_add3_u32 v33, v33, v35, v34
	s_mov_b64 s[14:15], 0
	s_and_b64 vcc, exec, s[4:5]
	v_lshl_add_u64 v[32:33], v[32:33], 3, s[28:29]
	s_mov_b64 s[18:19], 0
	s_cbranch_vccnz .LBB600_208
; %bb.200:
	global_load_dwordx2 v[34:35], v[32:33], off
	global_load_dwordx2 v[36:37], v[30:31], off
	s_mov_b64 s[18:19], -1
	s_waitcnt vmcnt(0)
	v_cmp_eq_u64_e32 vcc, v[34:35], v[36:37]
	s_and_saveexec_b64 s[36:37], vcc
	s_cbranch_execz .LBB600_207
; %bb.201:
	s_add_u32 s18, s26, -1
	v_lshl_add_u64 v[30:31], v[30:31], 0, 8
	v_lshl_add_u64 v[34:35], v[32:33], 0, 8
	s_addc_u32 s19, s27, -1
	s_mov_b64 s[38:39], 0
	s_mov_b64 s[42:43], 0
                                        ; implicit-def: $sgpr40_sgpr41
	s_branch .LBB600_204
.LBB600_202:                            ;   in Loop: Header=BB600_204 Depth=1
	global_load_dwordx2 v[36:37], v[34:35], off
	global_load_dwordx2 v[46:47], v[30:31], off
	s_add_u32 s42, s42, 1
	s_addc_u32 s43, s43, 0
	s_andn2_b64 s[40:41], s[40:41], exec
	v_lshl_add_u64 v[30:31], v[30:31], 0, 8
	v_lshl_add_u64 v[34:35], v[34:35], 0, 8
	s_waitcnt vmcnt(0)
	v_cmp_ne_u64_e32 vcc, v[36:37], v[46:47]
	s_and_b64 s[44:45], vcc, exec
	s_or_b64 s[40:41], s[40:41], s[44:45]
.LBB600_203:                            ;   in Loop: Header=BB600_204 Depth=1
	s_and_b64 s[44:45], exec, s[40:41]
	s_or_b64 s[38:39], s[44:45], s[38:39]
	v_mov_b64_e32 v[36:37], s[42:43]
	s_andn2_b64 exec, exec, s[38:39]
	s_cbranch_execz .LBB600_206
.LBB600_204:                            ; =>This Inner Loop Header: Depth=1
	s_or_b64 s[40:41], s[40:41], exec
	s_cmp_eq_u64 s[18:19], s[42:43]
	s_cbranch_scc0 .LBB600_202
; %bb.205:                              ;   in Loop: Header=BB600_204 Depth=1
                                        ; implicit-def: $vgpr30_vgpr31
                                        ; implicit-def: $vgpr34_vgpr35
	s_mov_b64 s[42:43], s[26:27]
	s_branch .LBB600_203
.LBB600_206:
	s_or_b64 exec, exec, s[38:39]
	v_cmp_gt_i64_e32 vcc, s[26:27], v[36:37]
	s_orn2_b64 s[18:19], vcc, exec
.LBB600_207:
	s_or_b64 exec, exec, s[36:37]
.LBB600_208:
	v_mul_lo_u32 v34, v21, s26
	v_mul_lo_u32 v35, v20, s27
	v_mad_u64_u32 v[30:31], s[36:37], v20, s26, 0
	v_add3_u32 v31, v31, v35, v34
	s_and_b64 vcc, exec, s[4:5]
	v_lshl_add_u64 v[30:31], v[30:31], 3, s[28:29]
	s_cbranch_vccnz .LBB600_217
; %bb.209:
	global_load_dwordx2 v[34:35], v[30:31], off
	global_load_dwordx2 v[36:37], v[32:33], off
	s_mov_b64 s[14:15], -1
	s_waitcnt vmcnt(0)
	v_cmp_eq_u64_e32 vcc, v[34:35], v[36:37]
	s_and_saveexec_b64 s[36:37], vcc
	s_cbranch_execz .LBB600_216
; %bb.210:
	s_add_u32 s14, s26, -1
	v_lshl_add_u64 v[32:33], v[32:33], 0, 8
	v_lshl_add_u64 v[34:35], v[30:31], 0, 8
	s_addc_u32 s15, s27, -1
	s_mov_b64 s[38:39], 0
	s_mov_b64 s[42:43], 0
                                        ; implicit-def: $sgpr40_sgpr41
	s_branch .LBB600_213
.LBB600_211:                            ;   in Loop: Header=BB600_213 Depth=1
	global_load_dwordx2 v[36:37], v[34:35], off
	global_load_dwordx2 v[46:47], v[32:33], off
	s_add_u32 s42, s42, 1
	s_addc_u32 s43, s43, 0
	s_andn2_b64 s[40:41], s[40:41], exec
	v_lshl_add_u64 v[32:33], v[32:33], 0, 8
	v_lshl_add_u64 v[34:35], v[34:35], 0, 8
	s_waitcnt vmcnt(0)
	v_cmp_ne_u64_e32 vcc, v[36:37], v[46:47]
	s_and_b64 s[44:45], vcc, exec
	s_or_b64 s[40:41], s[40:41], s[44:45]
.LBB600_212:                            ;   in Loop: Header=BB600_213 Depth=1
	s_and_b64 s[44:45], exec, s[40:41]
	s_or_b64 s[38:39], s[44:45], s[38:39]
	v_mov_b64_e32 v[36:37], s[42:43]
	s_andn2_b64 exec, exec, s[38:39]
	s_cbranch_execz .LBB600_215
.LBB600_213:                            ; =>This Inner Loop Header: Depth=1
	s_or_b64 s[40:41], s[40:41], exec
	s_cmp_eq_u64 s[14:15], s[42:43]
	s_cbranch_scc0 .LBB600_211
; %bb.214:                              ;   in Loop: Header=BB600_213 Depth=1
                                        ; implicit-def: $vgpr32_vgpr33
                                        ; implicit-def: $vgpr34_vgpr35
	s_mov_b64 s[42:43], s[26:27]
	s_branch .LBB600_212
.LBB600_215:
	s_or_b64 exec, exec, s[38:39]
	v_cmp_gt_i64_e32 vcc, s[26:27], v[36:37]
	s_orn2_b64 s[14:15], vcc, exec
.LBB600_216:
	s_or_b64 exec, exec, s[36:37]
.LBB600_217:
	v_mul_lo_u32 v34, v19, s26
	v_mul_lo_u32 v35, v18, s27
	v_mad_u64_u32 v[32:33], s[36:37], v18, s26, 0
	v_add3_u32 v33, v33, v35, v34
	s_mov_b64 s[36:37], 0
	s_and_b64 vcc, exec, s[4:5]
	v_lshl_add_u64 v[32:33], v[32:33], 3, s[28:29]
	s_mov_b64 s[38:39], 0
	s_cbranch_vccnz .LBB600_226
; %bb.218:
	global_load_dwordx2 v[34:35], v[32:33], off
	global_load_dwordx2 v[36:37], v[30:31], off
	s_mov_b64 s[38:39], -1
	s_waitcnt vmcnt(0)
	v_cmp_eq_u64_e32 vcc, v[34:35], v[36:37]
	s_and_saveexec_b64 s[40:41], vcc
	s_cbranch_execz .LBB600_225
; %bb.219:
	s_add_u32 s38, s26, -1
	v_lshl_add_u64 v[30:31], v[30:31], 0, 8
	v_lshl_add_u64 v[34:35], v[32:33], 0, 8
	s_addc_u32 s39, s27, -1
	s_mov_b64 s[42:43], 0
	s_mov_b64 s[46:47], 0
                                        ; implicit-def: $sgpr44_sgpr45
	s_branch .LBB600_222
.LBB600_220:                            ;   in Loop: Header=BB600_222 Depth=1
	global_load_dwordx2 v[36:37], v[34:35], off
	global_load_dwordx2 v[46:47], v[30:31], off
	s_add_u32 s46, s46, 1
	s_addc_u32 s47, s47, 0
	s_andn2_b64 s[44:45], s[44:45], exec
	v_lshl_add_u64 v[30:31], v[30:31], 0, 8
	v_lshl_add_u64 v[34:35], v[34:35], 0, 8
	s_waitcnt vmcnt(0)
	v_cmp_ne_u64_e32 vcc, v[36:37], v[46:47]
	s_and_b64 s[48:49], vcc, exec
	s_or_b64 s[44:45], s[44:45], s[48:49]
.LBB600_221:                            ;   in Loop: Header=BB600_222 Depth=1
	s_and_b64 s[48:49], exec, s[44:45]
	s_or_b64 s[42:43], s[48:49], s[42:43]
	v_mov_b64_e32 v[36:37], s[46:47]
	s_andn2_b64 exec, exec, s[42:43]
	s_cbranch_execz .LBB600_224
.LBB600_222:                            ; =>This Inner Loop Header: Depth=1
	s_or_b64 s[44:45], s[44:45], exec
	s_cmp_eq_u64 s[38:39], s[46:47]
	s_cbranch_scc0 .LBB600_220
; %bb.223:                              ;   in Loop: Header=BB600_222 Depth=1
                                        ; implicit-def: $vgpr30_vgpr31
                                        ; implicit-def: $vgpr34_vgpr35
	s_mov_b64 s[46:47], s[26:27]
	s_branch .LBB600_221
.LBB600_224:
	s_or_b64 exec, exec, s[42:43]
	v_cmp_gt_i64_e32 vcc, s[26:27], v[36:37]
	s_orn2_b64 s[38:39], vcc, exec
.LBB600_225:
	s_or_b64 exec, exec, s[40:41]
.LBB600_226:
	v_mul_lo_u32 v34, v25, s26
	v_mul_lo_u32 v35, v24, s27
	v_mad_u64_u32 v[30:31], s[40:41], v24, s26, 0
	v_add3_u32 v31, v31, v35, v34
	s_and_b64 vcc, exec, s[4:5]
	v_lshl_add_u64 v[30:31], v[30:31], 3, s[28:29]
	s_cbranch_vccnz .LBB600_235
; %bb.227:
	global_load_dwordx2 v[34:35], v[30:31], off
	global_load_dwordx2 v[36:37], v[32:33], off
	s_mov_b64 s[36:37], -1
	s_waitcnt vmcnt(0)
	v_cmp_eq_u64_e32 vcc, v[34:35], v[36:37]
	s_and_saveexec_b64 s[40:41], vcc
	s_cbranch_execz .LBB600_234
; %bb.228:
	s_add_u32 s36, s26, -1
	v_lshl_add_u64 v[32:33], v[32:33], 0, 8
	v_lshl_add_u64 v[34:35], v[30:31], 0, 8
	s_addc_u32 s37, s27, -1
	s_mov_b64 s[42:43], 0
	s_mov_b64 s[46:47], 0
                                        ; implicit-def: $sgpr44_sgpr45
	s_branch .LBB600_231
.LBB600_229:                            ;   in Loop: Header=BB600_231 Depth=1
	global_load_dwordx2 v[36:37], v[34:35], off
	global_load_dwordx2 v[46:47], v[32:33], off
	s_add_u32 s46, s46, 1
	s_addc_u32 s47, s47, 0
	s_andn2_b64 s[44:45], s[44:45], exec
	v_lshl_add_u64 v[32:33], v[32:33], 0, 8
	v_lshl_add_u64 v[34:35], v[34:35], 0, 8
	s_waitcnt vmcnt(0)
	v_cmp_ne_u64_e32 vcc, v[36:37], v[46:47]
	s_and_b64 s[48:49], vcc, exec
	s_or_b64 s[44:45], s[44:45], s[48:49]
.LBB600_230:                            ;   in Loop: Header=BB600_231 Depth=1
	s_and_b64 s[48:49], exec, s[44:45]
	s_or_b64 s[42:43], s[48:49], s[42:43]
	v_mov_b64_e32 v[36:37], s[46:47]
	s_andn2_b64 exec, exec, s[42:43]
	s_cbranch_execz .LBB600_233
.LBB600_231:                            ; =>This Inner Loop Header: Depth=1
	s_or_b64 s[44:45], s[44:45], exec
	s_cmp_eq_u64 s[36:37], s[46:47]
	s_cbranch_scc0 .LBB600_229
; %bb.232:                              ;   in Loop: Header=BB600_231 Depth=1
                                        ; implicit-def: $vgpr32_vgpr33
                                        ; implicit-def: $vgpr34_vgpr35
	s_mov_b64 s[46:47], s[26:27]
	s_branch .LBB600_230
.LBB600_233:
	s_or_b64 exec, exec, s[42:43]
	v_cmp_gt_i64_e32 vcc, s[26:27], v[36:37]
	s_orn2_b64 s[36:37], vcc, exec
.LBB600_234:
	s_or_b64 exec, exec, s[40:41]
.LBB600_235:
	v_mul_lo_u32 v34, v23, s26
	v_mul_lo_u32 v35, v22, s27
	v_mad_u64_u32 v[32:33], s[40:41], v22, s26, 0
	v_add3_u32 v33, v33, v35, v34
	s_and_b64 vcc, exec, s[4:5]
	s_mov_b64 s[42:43], 0
	s_cbranch_vccnz .LBB600_244
; %bb.236:
	v_lshl_add_u64 v[34:35], v[32:33], 3, s[28:29]
	global_load_dwordx2 v[36:37], v[34:35], off
	global_load_dwordx2 v[46:47], v[30:31], off
	s_mov_b64 s[42:43], -1
	s_waitcnt vmcnt(0)
	v_cmp_eq_u64_e32 vcc, v[36:37], v[46:47]
	s_and_saveexec_b64 s[40:41], vcc
	s_cbranch_execz .LBB600_243
; %bb.237:
	s_add_u32 s42, s26, -1
	v_lshl_add_u64 v[30:31], v[30:31], 0, 8
	v_lshl_add_u64 v[34:35], v[34:35], 0, 8
	s_addc_u32 s43, s27, -1
	s_mov_b64 s[44:45], 0
	s_mov_b64 s[48:49], 0
                                        ; implicit-def: $sgpr46_sgpr47
	s_branch .LBB600_240
.LBB600_238:                            ;   in Loop: Header=BB600_240 Depth=1
	global_load_dwordx2 v[36:37], v[34:35], off
	global_load_dwordx2 v[46:47], v[30:31], off
	s_add_u32 s48, s48, 1
	s_addc_u32 s49, s49, 0
	s_andn2_b64 s[46:47], s[46:47], exec
	v_lshl_add_u64 v[30:31], v[30:31], 0, 8
	v_lshl_add_u64 v[34:35], v[34:35], 0, 8
	s_waitcnt vmcnt(0)
	v_cmp_ne_u64_e32 vcc, v[36:37], v[46:47]
	s_and_b64 s[50:51], vcc, exec
	s_or_b64 s[46:47], s[46:47], s[50:51]
.LBB600_239:                            ;   in Loop: Header=BB600_240 Depth=1
	s_and_b64 s[50:51], exec, s[46:47]
	s_or_b64 s[44:45], s[50:51], s[44:45]
	v_mov_b64_e32 v[36:37], s[48:49]
	s_andn2_b64 exec, exec, s[44:45]
	s_cbranch_execz .LBB600_242
.LBB600_240:                            ; =>This Inner Loop Header: Depth=1
	s_or_b64 s[46:47], s[46:47], exec
	s_cmp_eq_u64 s[42:43], s[48:49]
	s_cbranch_scc0 .LBB600_238
; %bb.241:                              ;   in Loop: Header=BB600_240 Depth=1
                                        ; implicit-def: $vgpr30_vgpr31
                                        ; implicit-def: $vgpr34_vgpr35
	s_mov_b64 s[48:49], s[26:27]
	s_branch .LBB600_239
.LBB600_242:
	s_or_b64 exec, exec, s[44:45]
	v_cmp_gt_i64_e32 vcc, s[26:27], v[36:37]
	s_orn2_b64 s[42:43], vcc, exec
.LBB600_243:
	s_or_b64 exec, exec, s[40:41]
.LBB600_244:
	v_cndmask_b32_e64 v31, 0, 1, s[38:39]
	v_cndmask_b32_e64 v30, 0, 1, s[36:37]
	;; [unrolled: 1-line block ×3, first 2 shown]
	v_lshlrev_b16_e32 v31, 8, v31
	v_cndmask_b32_e64 v46, 0, 1, s[14:15]
	v_cndmask_b32_e64 v34, 0, 1, s[42:43]
	v_or_b32_sdwa v30, v30, v31 dst_sel:WORD_1 dst_unused:UNUSED_PAD src0_sel:DWORD src1_sel:DWORD
	v_lshlrev_b16_e32 v31, 8, v47
	v_lshlrev_b16_e32 v34, 8, v34
	v_or_b32_e32 v31, v46, v31
	v_or_b32_e32 v34, 1, v34
	v_and_b32_e32 v31, 0xffff, v31
	v_cndmask_b32_e64 v48, 0, 1, s[12:13]
	v_or_b32_sdwa v30, v34, v30 dst_sel:DWORD dst_unused:UNUSED_PAD src0_sel:WORD_0 src1_sel:DWORD
	v_lshl_or_b32 v31, v48, 16, v31
	v_cmp_ne_u32_e32 vcc, 0, v0
	s_waitcnt lgkmcnt(0)
	s_barrier
	s_waitcnt lgkmcnt(0)
                                        ; implicit-def: $sgpr18_sgpr19
                                        ; implicit-def: $vgpr34
	s_and_saveexec_b64 s[12:13], vcc
	s_xor_b64 s[12:13], exec, s[12:13]
	s_cbranch_execz .LBB600_255
; %bb.245:
	s_mov_b32 s33, 0x3020104
	s_and_b64 vcc, exec, s[4:5]
	s_mov_b64 s[14:15], 0
	s_cbranch_vccnz .LBB600_254
; %bb.246:
	v_add_u32_e32 v31, -8, v44
	ds_read_b64 v[34:35], v31
	v_lshl_add_u64 v[32:33], v[32:33], 3, s[28:29]
	s_mov_b64 s[14:15], -1
	s_waitcnt lgkmcnt(0)
	v_mul_lo_u32 v31, v35, s26
	v_mul_lo_u32 v36, v34, s27
	v_mad_u64_u32 v[34:35], s[4:5], v34, s26, 0
	v_add3_u32 v35, v35, v36, v31
	v_lshl_add_u64 v[34:35], v[34:35], 3, s[28:29]
	global_load_dwordx2 v[36:37], v[34:35], off
	global_load_dwordx2 v[50:51], v[32:33], off
	s_waitcnt vmcnt(0)
	v_cmp_eq_u64_e32 vcc, v[36:37], v[50:51]
	s_and_saveexec_b64 s[4:5], vcc
	s_cbranch_execz .LBB600_253
; %bb.247:
	s_add_u32 s14, s26, -1
	v_lshl_add_u64 v[32:33], v[32:33], 0, 8
	v_lshl_add_u64 v[34:35], v[34:35], 0, 8
	s_addc_u32 s15, s27, -1
	s_mov_b64 s[18:19], 0
	s_mov_b64 s[38:39], 0
                                        ; implicit-def: $sgpr36_sgpr37
	s_branch .LBB600_250
.LBB600_248:                            ;   in Loop: Header=BB600_250 Depth=1
	global_load_dwordx2 v[36:37], v[34:35], off
	global_load_dwordx2 v[50:51], v[32:33], off
	s_add_u32 s38, s38, 1
	s_addc_u32 s39, s39, 0
	s_andn2_b64 s[36:37], s[36:37], exec
	v_lshl_add_u64 v[32:33], v[32:33], 0, 8
	v_lshl_add_u64 v[34:35], v[34:35], 0, 8
	s_waitcnt vmcnt(0)
	v_cmp_ne_u64_e32 vcc, v[36:37], v[50:51]
	s_and_b64 s[40:41], vcc, exec
	s_or_b64 s[36:37], s[36:37], s[40:41]
.LBB600_249:                            ;   in Loop: Header=BB600_250 Depth=1
	s_and_b64 s[40:41], exec, s[36:37]
	s_or_b64 s[18:19], s[40:41], s[18:19]
	v_mov_b64_e32 v[36:37], s[38:39]
	s_andn2_b64 exec, exec, s[18:19]
	s_cbranch_execz .LBB600_252
.LBB600_250:                            ; =>This Inner Loop Header: Depth=1
	s_or_b64 s[36:37], s[36:37], exec
	s_cmp_eq_u64 s[14:15], s[38:39]
	s_cbranch_scc0 .LBB600_248
; %bb.251:                              ;   in Loop: Header=BB600_250 Depth=1
                                        ; implicit-def: $vgpr32_vgpr33
                                        ; implicit-def: $vgpr34_vgpr35
	s_mov_b64 s[38:39], s[26:27]
	s_branch .LBB600_249
.LBB600_252:
	s_or_b64 exec, exec, s[18:19]
	v_cmp_gt_i64_e32 vcc, s[26:27], v[36:37]
	s_orn2_b64 s[14:15], vcc, exec
.LBB600_253:
	s_or_b64 exec, exec, s[4:5]
.LBB600_254:
	v_perm_b32 v34, v30, v30, s33
	s_and_b64 s[18:19], s[14:15], exec
	s_or_b64 s[10:11], s[10:11], exec
                                        ; implicit-def: $vgpr30_vgpr31
.LBB600_255:
	s_or_b64 exec, exec, s[12:13]
	s_branch .LBB600_336
.LBB600_256:
	v_cmp_gt_u32_e32 vcc, s3, v40
	s_mov_b64 s[12:13], 0
	s_mov_b64 s[4:5], 0
	s_and_saveexec_b64 s[14:15], vcc
	s_cbranch_execz .LBB600_267
; %bb.257:
	s_andn2_b64 vcc, exec, s[6:7]
	s_mov_b64 s[18:19], 0
	s_cbranch_vccnz .LBB600_266
; %bb.258:
	v_mul_lo_u32 v32, v17, s26
	v_mul_lo_u32 v33, v16, s27
	v_mad_u64_u32 v[30:31], s[4:5], v16, s26, 0
	v_add3_u32 v31, v31, v33, v32
	v_mul_lo_u32 v32, v29, s26
	v_mul_lo_u32 v33, v28, s27
	v_mad_u64_u32 v[34:35], s[4:5], v28, s26, 0
	v_add3_u32 v35, v35, v33, v32
	v_lshl_add_u64 v[32:33], v[30:31], 3, s[28:29]
	v_lshl_add_u64 v[30:31], v[34:35], 3, s[28:29]
	global_load_dwordx2 v[34:35], v[32:33], off
	global_load_dwordx2 v[36:37], v[30:31], off
	s_mov_b64 s[18:19], -1
	s_waitcnt vmcnt(0)
	v_cmp_eq_u64_e32 vcc, v[34:35], v[36:37]
	s_and_saveexec_b64 s[4:5], vcc
	s_cbranch_execz .LBB600_265
; %bb.259:
	s_add_u32 s18, s26, -1
	v_lshl_add_u64 v[30:31], v[30:31], 0, 8
	v_lshl_add_u64 v[32:33], v[32:33], 0, 8
	s_addc_u32 s19, s27, -1
	s_mov_b64 s[36:37], 0
	s_mov_b64 s[40:41], 0
                                        ; implicit-def: $sgpr38_sgpr39
	s_branch .LBB600_262
.LBB600_260:                            ;   in Loop: Header=BB600_262 Depth=1
	global_load_dwordx2 v[34:35], v[32:33], off
	global_load_dwordx2 v[36:37], v[30:31], off
	s_add_u32 s40, s40, 1
	s_addc_u32 s41, s41, 0
	s_andn2_b64 s[38:39], s[38:39], exec
	v_lshl_add_u64 v[30:31], v[30:31], 0, 8
	v_lshl_add_u64 v[32:33], v[32:33], 0, 8
	s_waitcnt vmcnt(0)
	v_cmp_ne_u64_e32 vcc, v[34:35], v[36:37]
	s_and_b64 s[42:43], vcc, exec
	s_or_b64 s[38:39], s[38:39], s[42:43]
.LBB600_261:                            ;   in Loop: Header=BB600_262 Depth=1
	s_and_b64 s[42:43], exec, s[38:39]
	s_or_b64 s[36:37], s[42:43], s[36:37]
	v_mov_b64_e32 v[34:35], s[40:41]
	s_andn2_b64 exec, exec, s[36:37]
	s_cbranch_execz .LBB600_264
.LBB600_262:                            ; =>This Inner Loop Header: Depth=1
	s_or_b64 s[38:39], s[38:39], exec
	s_cmp_eq_u64 s[18:19], s[40:41]
	s_cbranch_scc0 .LBB600_260
; %bb.263:                              ;   in Loop: Header=BB600_262 Depth=1
                                        ; implicit-def: $vgpr30_vgpr31
                                        ; implicit-def: $vgpr32_vgpr33
	s_mov_b64 s[40:41], s[26:27]
	s_branch .LBB600_261
.LBB600_264:
	s_or_b64 exec, exec, s[36:37]
	v_cmp_gt_i64_e32 vcc, s[26:27], v[34:35]
	s_orn2_b64 s[18:19], vcc, exec
.LBB600_265:
	s_or_b64 exec, exec, s[4:5]
.LBB600_266:
	s_and_b64 s[4:5], s[18:19], exec
.LBB600_267:
	s_or_b64 exec, exec, s[14:15]
	v_cmp_gt_u32_e32 vcc, s3, v43
	s_and_saveexec_b64 s[14:15], vcc
	s_cbranch_execz .LBB600_278
; %bb.268:
	s_andn2_b64 vcc, exec, s[6:7]
	s_mov_b64 s[18:19], 0
	s_cbranch_vccnz .LBB600_277
; %bb.269:
	v_mul_lo_u32 v32, v15, s26
	v_mul_lo_u32 v33, v14, s27
	v_mad_u64_u32 v[30:31], s[12:13], v14, s26, 0
	v_add3_u32 v31, v31, v33, v32
	v_mul_lo_u32 v32, v17, s26
	v_mul_lo_u32 v33, v16, s27
	v_mad_u64_u32 v[34:35], s[12:13], v16, s26, 0
	v_add3_u32 v35, v35, v33, v32
	v_lshl_add_u64 v[32:33], v[30:31], 3, s[28:29]
	v_lshl_add_u64 v[30:31], v[34:35], 3, s[28:29]
	global_load_dwordx2 v[34:35], v[32:33], off
	global_load_dwordx2 v[36:37], v[30:31], off
	s_mov_b64 s[18:19], -1
	s_waitcnt vmcnt(0)
	v_cmp_eq_u64_e32 vcc, v[34:35], v[36:37]
	s_and_saveexec_b64 s[12:13], vcc
	s_cbranch_execz .LBB600_276
; %bb.270:
	s_add_u32 s18, s26, -1
	v_lshl_add_u64 v[30:31], v[30:31], 0, 8
	v_lshl_add_u64 v[32:33], v[32:33], 0, 8
	s_addc_u32 s19, s27, -1
	s_mov_b64 s[36:37], 0
	s_mov_b64 s[40:41], 0
                                        ; implicit-def: $sgpr38_sgpr39
	s_branch .LBB600_273
.LBB600_271:                            ;   in Loop: Header=BB600_273 Depth=1
	global_load_dwordx2 v[34:35], v[32:33], off
	global_load_dwordx2 v[36:37], v[30:31], off
	s_add_u32 s40, s40, 1
	s_addc_u32 s41, s41, 0
	s_andn2_b64 s[38:39], s[38:39], exec
	v_lshl_add_u64 v[30:31], v[30:31], 0, 8
	v_lshl_add_u64 v[32:33], v[32:33], 0, 8
	s_waitcnt vmcnt(0)
	v_cmp_ne_u64_e32 vcc, v[34:35], v[36:37]
	s_and_b64 s[42:43], vcc, exec
	s_or_b64 s[38:39], s[38:39], s[42:43]
.LBB600_272:                            ;   in Loop: Header=BB600_273 Depth=1
	s_and_b64 s[42:43], exec, s[38:39]
	s_or_b64 s[36:37], s[42:43], s[36:37]
	v_mov_b64_e32 v[34:35], s[40:41]
	s_andn2_b64 exec, exec, s[36:37]
	s_cbranch_execz .LBB600_275
.LBB600_273:                            ; =>This Inner Loop Header: Depth=1
	s_or_b64 s[38:39], s[38:39], exec
	s_cmp_eq_u64 s[18:19], s[40:41]
	s_cbranch_scc0 .LBB600_271
; %bb.274:                              ;   in Loop: Header=BB600_273 Depth=1
                                        ; implicit-def: $vgpr30_vgpr31
                                        ; implicit-def: $vgpr32_vgpr33
	s_mov_b64 s[40:41], s[26:27]
	s_branch .LBB600_272
.LBB600_275:
	s_or_b64 exec, exec, s[36:37]
	v_cmp_gt_i64_e32 vcc, s[26:27], v[34:35]
	s_orn2_b64 s[18:19], vcc, exec
.LBB600_276:
	s_or_b64 exec, exec, s[12:13]
.LBB600_277:
	s_and_b64 s[12:13], s[18:19], exec
.LBB600_278:
	s_or_b64 exec, exec, s[14:15]
	v_cmp_gt_u32_e32 vcc, s3, v39
	s_mov_b64 s[18:19], 0
	s_mov_b64 s[14:15], 0
	s_and_saveexec_b64 s[36:37], vcc
	s_cbranch_execz .LBB600_289
; %bb.279:
	s_andn2_b64 vcc, exec, s[6:7]
	s_mov_b64 s[38:39], 0
	s_cbranch_vccnz .LBB600_288
; %bb.280:
	v_mul_lo_u32 v32, v21, s26
	v_mul_lo_u32 v33, v20, s27
	v_mad_u64_u32 v[30:31], s[14:15], v20, s26, 0
	v_add3_u32 v31, v31, v33, v32
	v_mul_lo_u32 v32, v15, s26
	v_mul_lo_u32 v33, v14, s27
	v_mad_u64_u32 v[34:35], s[14:15], v14, s26, 0
	v_add3_u32 v35, v35, v33, v32
	v_lshl_add_u64 v[32:33], v[30:31], 3, s[28:29]
	v_lshl_add_u64 v[30:31], v[34:35], 3, s[28:29]
	global_load_dwordx2 v[34:35], v[32:33], off
	global_load_dwordx2 v[36:37], v[30:31], off
	s_mov_b64 s[38:39], -1
	s_waitcnt vmcnt(0)
	v_cmp_eq_u64_e32 vcc, v[34:35], v[36:37]
	s_and_saveexec_b64 s[14:15], vcc
	s_cbranch_execz .LBB600_287
; %bb.281:
	s_add_u32 s38, s26, -1
	v_lshl_add_u64 v[30:31], v[30:31], 0, 8
	v_lshl_add_u64 v[32:33], v[32:33], 0, 8
	s_addc_u32 s39, s27, -1
	s_mov_b64 s[40:41], 0
	s_mov_b64 s[44:45], 0
                                        ; implicit-def: $sgpr42_sgpr43
	s_branch .LBB600_284
.LBB600_282:                            ;   in Loop: Header=BB600_284 Depth=1
	global_load_dwordx2 v[34:35], v[32:33], off
	global_load_dwordx2 v[36:37], v[30:31], off
	s_add_u32 s44, s44, 1
	s_addc_u32 s45, s45, 0
	s_andn2_b64 s[42:43], s[42:43], exec
	v_lshl_add_u64 v[30:31], v[30:31], 0, 8
	v_lshl_add_u64 v[32:33], v[32:33], 0, 8
	s_waitcnt vmcnt(0)
	v_cmp_ne_u64_e32 vcc, v[34:35], v[36:37]
	s_and_b64 s[46:47], vcc, exec
	s_or_b64 s[42:43], s[42:43], s[46:47]
.LBB600_283:                            ;   in Loop: Header=BB600_284 Depth=1
	s_and_b64 s[46:47], exec, s[42:43]
	s_or_b64 s[40:41], s[46:47], s[40:41]
	v_mov_b64_e32 v[34:35], s[44:45]
	s_andn2_b64 exec, exec, s[40:41]
	s_cbranch_execz .LBB600_286
.LBB600_284:                            ; =>This Inner Loop Header: Depth=1
	s_or_b64 s[42:43], s[42:43], exec
	s_cmp_eq_u64 s[38:39], s[44:45]
	s_cbranch_scc0 .LBB600_282
; %bb.285:                              ;   in Loop: Header=BB600_284 Depth=1
                                        ; implicit-def: $vgpr30_vgpr31
                                        ; implicit-def: $vgpr32_vgpr33
	s_mov_b64 s[44:45], s[26:27]
	s_branch .LBB600_283
.LBB600_286:
	s_or_b64 exec, exec, s[40:41]
	v_cmp_gt_i64_e32 vcc, s[26:27], v[34:35]
	s_orn2_b64 s[38:39], vcc, exec
.LBB600_287:
	s_or_b64 exec, exec, s[14:15]
.LBB600_288:
	s_and_b64 s[14:15], s[38:39], exec
.LBB600_289:
	s_or_b64 exec, exec, s[36:37]
	v_cmp_gt_u32_e32 vcc, s3, v42
	s_and_saveexec_b64 s[36:37], vcc
	s_cbranch_execz .LBB600_300
; %bb.290:
	s_andn2_b64 vcc, exec, s[6:7]
	s_mov_b64 s[38:39], 0
	s_cbranch_vccnz .LBB600_299
; %bb.291:
	v_mul_lo_u32 v32, v19, s26
	v_mul_lo_u32 v33, v18, s27
	v_mad_u64_u32 v[30:31], s[18:19], v18, s26, 0
	v_add3_u32 v31, v31, v33, v32
	v_mul_lo_u32 v32, v21, s26
	v_mul_lo_u32 v33, v20, s27
	v_mad_u64_u32 v[34:35], s[18:19], v20, s26, 0
	v_add3_u32 v35, v35, v33, v32
	v_lshl_add_u64 v[32:33], v[30:31], 3, s[28:29]
	v_lshl_add_u64 v[30:31], v[34:35], 3, s[28:29]
	global_load_dwordx2 v[34:35], v[32:33], off
	global_load_dwordx2 v[36:37], v[30:31], off
	s_mov_b64 s[38:39], -1
	s_waitcnt vmcnt(0)
	v_cmp_eq_u64_e32 vcc, v[34:35], v[36:37]
	s_and_saveexec_b64 s[18:19], vcc
	s_cbranch_execz .LBB600_298
; %bb.292:
	s_add_u32 s38, s26, -1
	v_lshl_add_u64 v[30:31], v[30:31], 0, 8
	v_lshl_add_u64 v[32:33], v[32:33], 0, 8
	s_addc_u32 s39, s27, -1
	s_mov_b64 s[40:41], 0
	s_mov_b64 s[44:45], 0
                                        ; implicit-def: $sgpr42_sgpr43
	s_branch .LBB600_295
.LBB600_293:                            ;   in Loop: Header=BB600_295 Depth=1
	global_load_dwordx2 v[34:35], v[32:33], off
	global_load_dwordx2 v[36:37], v[30:31], off
	s_add_u32 s44, s44, 1
	s_addc_u32 s45, s45, 0
	s_andn2_b64 s[42:43], s[42:43], exec
	v_lshl_add_u64 v[30:31], v[30:31], 0, 8
	v_lshl_add_u64 v[32:33], v[32:33], 0, 8
	s_waitcnt vmcnt(0)
	v_cmp_ne_u64_e32 vcc, v[34:35], v[36:37]
	s_and_b64 s[46:47], vcc, exec
	s_or_b64 s[42:43], s[42:43], s[46:47]
.LBB600_294:                            ;   in Loop: Header=BB600_295 Depth=1
	s_and_b64 s[46:47], exec, s[42:43]
	s_or_b64 s[40:41], s[46:47], s[40:41]
	v_mov_b64_e32 v[34:35], s[44:45]
	s_andn2_b64 exec, exec, s[40:41]
	s_cbranch_execz .LBB600_297
.LBB600_295:                            ; =>This Inner Loop Header: Depth=1
	s_or_b64 s[42:43], s[42:43], exec
	s_cmp_eq_u64 s[38:39], s[44:45]
	s_cbranch_scc0 .LBB600_293
; %bb.296:                              ;   in Loop: Header=BB600_295 Depth=1
                                        ; implicit-def: $vgpr30_vgpr31
                                        ; implicit-def: $vgpr32_vgpr33
	s_mov_b64 s[44:45], s[26:27]
	s_branch .LBB600_294
.LBB600_297:
	s_or_b64 exec, exec, s[40:41]
	v_cmp_gt_i64_e32 vcc, s[26:27], v[34:35]
	s_orn2_b64 s[38:39], vcc, exec
.LBB600_298:
	s_or_b64 exec, exec, s[18:19]
.LBB600_299:
	s_and_b64 s[18:19], s[38:39], exec
.LBB600_300:
	s_or_b64 exec, exec, s[36:37]
	v_cmp_gt_u32_e32 vcc, s3, v38
	s_mov_b64 s[36:37], 0
	s_mov_b64 s[38:39], 0
	s_and_saveexec_b64 s[40:41], vcc
	s_cbranch_execz .LBB600_311
; %bb.301:
	s_andn2_b64 vcc, exec, s[6:7]
	s_mov_b64 s[42:43], 0
	s_cbranch_vccnz .LBB600_310
; %bb.302:
	v_mul_lo_u32 v32, v25, s26
	v_mul_lo_u32 v33, v24, s27
	v_mad_u64_u32 v[30:31], s[38:39], v24, s26, 0
	v_add3_u32 v31, v31, v33, v32
	v_mul_lo_u32 v32, v19, s26
	v_mul_lo_u32 v33, v18, s27
	v_mad_u64_u32 v[34:35], s[38:39], v18, s26, 0
	v_add3_u32 v35, v35, v33, v32
	v_lshl_add_u64 v[32:33], v[30:31], 3, s[28:29]
	v_lshl_add_u64 v[30:31], v[34:35], 3, s[28:29]
	global_load_dwordx2 v[34:35], v[32:33], off
	global_load_dwordx2 v[36:37], v[30:31], off
	s_mov_b64 s[42:43], -1
	s_waitcnt vmcnt(0)
	v_cmp_eq_u64_e32 vcc, v[34:35], v[36:37]
	s_and_saveexec_b64 s[38:39], vcc
	s_cbranch_execz .LBB600_309
; %bb.303:
	s_add_u32 s42, s26, -1
	v_lshl_add_u64 v[30:31], v[30:31], 0, 8
	v_lshl_add_u64 v[32:33], v[32:33], 0, 8
	s_addc_u32 s43, s27, -1
	s_mov_b64 s[44:45], 0
	s_mov_b64 s[48:49], 0
                                        ; implicit-def: $sgpr46_sgpr47
	s_branch .LBB600_306
.LBB600_304:                            ;   in Loop: Header=BB600_306 Depth=1
	global_load_dwordx2 v[34:35], v[32:33], off
	global_load_dwordx2 v[36:37], v[30:31], off
	s_add_u32 s48, s48, 1
	s_addc_u32 s49, s49, 0
	s_andn2_b64 s[46:47], s[46:47], exec
	v_lshl_add_u64 v[30:31], v[30:31], 0, 8
	v_lshl_add_u64 v[32:33], v[32:33], 0, 8
	s_waitcnt vmcnt(0)
	v_cmp_ne_u64_e32 vcc, v[34:35], v[36:37]
	s_and_b64 s[50:51], vcc, exec
	s_or_b64 s[46:47], s[46:47], s[50:51]
.LBB600_305:                            ;   in Loop: Header=BB600_306 Depth=1
	s_and_b64 s[50:51], exec, s[46:47]
	s_or_b64 s[44:45], s[50:51], s[44:45]
	v_mov_b64_e32 v[34:35], s[48:49]
	s_andn2_b64 exec, exec, s[44:45]
	s_cbranch_execz .LBB600_308
.LBB600_306:                            ; =>This Inner Loop Header: Depth=1
	s_or_b64 s[46:47], s[46:47], exec
	s_cmp_eq_u64 s[42:43], s[48:49]
	s_cbranch_scc0 .LBB600_304
; %bb.307:                              ;   in Loop: Header=BB600_306 Depth=1
                                        ; implicit-def: $vgpr30_vgpr31
                                        ; implicit-def: $vgpr32_vgpr33
	s_mov_b64 s[48:49], s[26:27]
	s_branch .LBB600_305
.LBB600_308:
	s_or_b64 exec, exec, s[44:45]
	v_cmp_gt_i64_e32 vcc, s[26:27], v[34:35]
	s_orn2_b64 s[42:43], vcc, exec
.LBB600_309:
	s_or_b64 exec, exec, s[38:39]
.LBB600_310:
	s_and_b64 s[38:39], s[42:43], exec
.LBB600_311:
	s_or_b64 exec, exec, s[40:41]
	v_cmp_gt_u32_e32 vcc, s3, v41
	s_and_saveexec_b64 s[40:41], vcc
	s_cbranch_execz .LBB600_322
; %bb.312:
	s_andn2_b64 vcc, exec, s[6:7]
	s_mov_b64 s[42:43], 0
	s_cbranch_vccnz .LBB600_321
; %bb.313:
	v_mul_lo_u32 v32, v23, s26
	v_mul_lo_u32 v33, v22, s27
	v_mad_u64_u32 v[30:31], s[36:37], v22, s26, 0
	v_add3_u32 v31, v31, v33, v32
	v_mul_lo_u32 v32, v25, s26
	v_mul_lo_u32 v33, v24, s27
	v_mad_u64_u32 v[34:35], s[36:37], v24, s26, 0
	v_add3_u32 v35, v35, v33, v32
	v_lshl_add_u64 v[32:33], v[30:31], 3, s[28:29]
	v_lshl_add_u64 v[30:31], v[34:35], 3, s[28:29]
	global_load_dwordx2 v[34:35], v[32:33], off
	global_load_dwordx2 v[36:37], v[30:31], off
	s_mov_b64 s[42:43], -1
	s_waitcnt vmcnt(0)
	v_cmp_eq_u64_e32 vcc, v[34:35], v[36:37]
	s_and_saveexec_b64 s[36:37], vcc
	s_cbranch_execz .LBB600_320
; %bb.314:
	s_add_u32 s42, s26, -1
	v_lshl_add_u64 v[30:31], v[30:31], 0, 8
	v_lshl_add_u64 v[32:33], v[32:33], 0, 8
	s_addc_u32 s43, s27, -1
	s_mov_b64 s[44:45], 0
	s_mov_b64 s[48:49], 0
                                        ; implicit-def: $sgpr46_sgpr47
	s_branch .LBB600_317
.LBB600_315:                            ;   in Loop: Header=BB600_317 Depth=1
	global_load_dwordx2 v[34:35], v[32:33], off
	global_load_dwordx2 v[36:37], v[30:31], off
	s_add_u32 s48, s48, 1
	s_addc_u32 s49, s49, 0
	s_andn2_b64 s[46:47], s[46:47], exec
	v_lshl_add_u64 v[30:31], v[30:31], 0, 8
	v_lshl_add_u64 v[32:33], v[32:33], 0, 8
	s_waitcnt vmcnt(0)
	v_cmp_ne_u64_e32 vcc, v[34:35], v[36:37]
	s_and_b64 s[50:51], vcc, exec
	s_or_b64 s[46:47], s[46:47], s[50:51]
.LBB600_316:                            ;   in Loop: Header=BB600_317 Depth=1
	s_and_b64 s[50:51], exec, s[46:47]
	s_or_b64 s[44:45], s[50:51], s[44:45]
	v_mov_b64_e32 v[34:35], s[48:49]
	s_andn2_b64 exec, exec, s[44:45]
	s_cbranch_execz .LBB600_319
.LBB600_317:                            ; =>This Inner Loop Header: Depth=1
	s_or_b64 s[46:47], s[46:47], exec
	s_cmp_eq_u64 s[42:43], s[48:49]
	s_cbranch_scc0 .LBB600_315
; %bb.318:                              ;   in Loop: Header=BB600_317 Depth=1
                                        ; implicit-def: $vgpr30_vgpr31
                                        ; implicit-def: $vgpr32_vgpr33
	s_mov_b64 s[48:49], s[26:27]
	s_branch .LBB600_316
.LBB600_319:
	s_or_b64 exec, exec, s[44:45]
	v_cmp_gt_i64_e32 vcc, s[26:27], v[34:35]
	s_orn2_b64 s[42:43], vcc, exec
.LBB600_320:
	s_or_b64 exec, exec, s[36:37]
.LBB600_321:
	s_and_b64 s[36:37], s[42:43], exec
.LBB600_322:
	s_or_b64 exec, exec, s[40:41]
	v_cndmask_b32_e64 v31, 0, 1, s[18:19]
	v_cndmask_b32_e64 v30, 0, 1, s[38:39]
	;; [unrolled: 1-line block ×3, first 2 shown]
	v_lshlrev_b16_e32 v31, 8, v31
	v_cndmask_b32_e64 v46, 0, 1, s[14:15]
	v_cndmask_b32_e64 v32, 0, 1, s[36:37]
	v_or_b32_sdwa v30, v30, v31 dst_sel:WORD_1 dst_unused:UNUSED_PAD src0_sel:DWORD src1_sel:DWORD
	v_lshlrev_b16_e32 v31, 8, v47
	v_lshlrev_b16_e32 v32, 8, v32
	v_or_b32_e32 v31, v46, v31
	v_or_b32_e32 v32, 1, v32
	v_and_b32_e32 v31, 0xffff, v31
	v_cndmask_b32_e64 v48, 0, 1, s[4:5]
	v_or_b32_sdwa v30, v32, v30 dst_sel:DWORD dst_unused:UNUSED_PAD src0_sel:WORD_0 src1_sel:DWORD
	v_lshl_or_b32 v31, v48, 16, v31
	v_cmp_ne_u32_e32 vcc, 0, v0
	s_waitcnt lgkmcnt(0)
	s_barrier
	s_waitcnt lgkmcnt(0)
                                        ; implicit-def: $sgpr18_sgpr19
                                        ; implicit-def: $vgpr34
	s_and_saveexec_b64 s[4:5], vcc
	s_cbranch_execz .LBB600_335
; %bb.323:
	v_cmp_gt_u32_e32 vcc, s3, v1
	s_mov_b32 s33, 0x3020104
	s_mov_b64 s[14:15], 0
	s_and_saveexec_b64 s[12:13], vcc
	s_cbranch_execz .LBB600_334
; %bb.324:
	s_andn2_b64 vcc, exec, s[6:7]
	s_cbranch_vccnz .LBB600_333
; %bb.325:
	v_add_u32_e32 v31, -8, v44
	ds_read_b64 v[32:33], v31
	v_mul_lo_u32 v31, v23, s26
	v_mad_u64_u32 v[36:37], s[6:7], v22, s26, 0
	s_mov_b64 s[14:15], -1
	s_waitcnt lgkmcnt(0)
	v_mul_lo_u32 v34, v33, s26
	v_mul_lo_u32 v35, v32, s27
	v_mad_u64_u32 v[32:33], s[6:7], v32, s26, 0
	v_add3_u32 v33, v33, v35, v34
	v_mul_lo_u32 v34, v22, s27
	v_add3_u32 v37, v37, v34, v31
	v_lshl_add_u64 v[34:35], v[32:33], 3, s[28:29]
	v_lshl_add_u64 v[32:33], v[36:37], 3, s[28:29]
	global_load_dwordx2 v[36:37], v[34:35], off
	global_load_dwordx2 v[44:45], v[32:33], off
	s_waitcnt vmcnt(0)
	v_cmp_eq_u64_e32 vcc, v[36:37], v[44:45]
	s_and_saveexec_b64 s[6:7], vcc
	s_cbranch_execz .LBB600_332
; %bb.326:
	s_add_u32 s14, s26, -1
	v_lshl_add_u64 v[32:33], v[32:33], 0, 8
	v_lshl_add_u64 v[34:35], v[34:35], 0, 8
	s_addc_u32 s15, s27, -1
	s_mov_b64 s[18:19], 0
	s_mov_b64 s[36:37], 0
                                        ; implicit-def: $sgpr28_sgpr29
	s_branch .LBB600_329
.LBB600_327:                            ;   in Loop: Header=BB600_329 Depth=1
	global_load_dwordx2 v[36:37], v[34:35], off
	global_load_dwordx2 v[44:45], v[32:33], off
	s_add_u32 s36, s36, 1
	s_addc_u32 s37, s37, 0
	s_andn2_b64 s[28:29], s[28:29], exec
	v_lshl_add_u64 v[32:33], v[32:33], 0, 8
	v_lshl_add_u64 v[34:35], v[34:35], 0, 8
	s_waitcnt vmcnt(0)
	v_cmp_ne_u64_e32 vcc, v[36:37], v[44:45]
	s_and_b64 s[38:39], vcc, exec
	s_or_b64 s[28:29], s[28:29], s[38:39]
.LBB600_328:                            ;   in Loop: Header=BB600_329 Depth=1
	s_and_b64 s[38:39], exec, s[28:29]
	s_or_b64 s[18:19], s[38:39], s[18:19]
	v_mov_b64_e32 v[36:37], s[36:37]
	s_andn2_b64 exec, exec, s[18:19]
	s_cbranch_execz .LBB600_331
.LBB600_329:                            ; =>This Inner Loop Header: Depth=1
	s_or_b64 s[28:29], s[28:29], exec
	s_cmp_eq_u64 s[14:15], s[36:37]
	s_cbranch_scc0 .LBB600_327
; %bb.330:                              ;   in Loop: Header=BB600_329 Depth=1
                                        ; implicit-def: $vgpr32_vgpr33
                                        ; implicit-def: $vgpr34_vgpr35
	s_mov_b64 s[36:37], s[26:27]
	s_branch .LBB600_328
.LBB600_331:
	s_or_b64 exec, exec, s[18:19]
	v_cmp_gt_i64_e32 vcc, s[26:27], v[36:37]
	s_orn2_b64 s[14:15], vcc, exec
.LBB600_332:
	s_or_b64 exec, exec, s[6:7]
.LBB600_333:
	s_and_b64 s[14:15], s[14:15], exec
.LBB600_334:
	s_or_b64 exec, exec, s[12:13]
	v_perm_b32 v34, v30, v30, s33
	s_and_b64 s[18:19], s[14:15], exec
	s_or_b64 s[10:11], s[10:11], exec
                                        ; implicit-def: $vgpr30_vgpr31
.LBB600_335:
	s_or_b64 exec, exec, s[4:5]
.LBB600_336:
	s_and_saveexec_b64 s[4:5], s[10:11]
	s_cbranch_execz .LBB600_338
; %bb.337:
	s_waitcnt lgkmcnt(0)
	v_lshlrev_b16_e32 v31, 8, v47
	v_and_b32_e32 v32, 0xff, v48
	v_or_b32_sdwa v31, v46, v31 dst_sel:DWORD dst_unused:UNUSED_PAD src0_sel:BYTE_0 src1_sel:DWORD
	v_lshlrev_b32_e32 v32, 16, v32
	s_movk_i32 s6, 0xff
	v_or_b32_sdwa v31, v31, v32 dst_sel:DWORD dst_unused:UNUSED_PAD src0_sel:WORD_0 src1_sel:DWORD
	v_lshrrev_b32_e32 v32, 24, v34
	v_lshlrev_b16_e32 v32, 8, v32
	v_and_b32_sdwa v33, v34, s6 dst_sel:DWORD dst_unused:UNUSED_PAD src0_sel:WORD_1 src1_sel:DWORD
	v_or_b32_sdwa v32, v33, v32 dst_sel:WORD_1 dst_unused:UNUSED_PAD src0_sel:DWORD src1_sel:DWORD
	v_mov_b32_e32 v33, 8
	v_cndmask_b32_e64 v30, 0, 1, s[18:19]
	v_lshrrev_b32_sdwa v33, v33, v34 dst_sel:BYTE_1 dst_unused:UNUSED_PAD src0_sel:DWORD src1_sel:DWORD
	s_nop 0
	v_or_b32_e32 v30, v30, v33
	v_or_b32_sdwa v30, v30, v32 dst_sel:DWORD dst_unused:UNUSED_PAD src0_sel:WORD_0 src1_sel:DWORD
.LBB600_338:
	s_or_b64 exec, exec, s[4:5]
	s_andn2_b64 vcc, exec, s[8:9]
	s_cbranch_vccnz .LBB600_340
; %bb.339:
	s_waitcnt lgkmcnt(0)
	v_and_b32_e32 v32, 0xffff0000, v30
	v_cmp_gt_u32_e32 vcc, s3, v1
	s_mov_b32 s4, 0x40c0100
	s_nop 0
	v_cndmask_b32_e32 v1, v32, v30, vcc
	v_and_b32_e32 v1, 0xffff00ff, v1
	v_cmp_gt_u32_e32 vcc, s3, v41
	s_nop 1
	v_cndmask_b32_e32 v1, v1, v30, vcc
	v_lshrrev_b32_e32 v32, 24, v1
	v_perm_b32 v1, v32, v1, s4
	v_cmp_gt_u32_e32 vcc, s3, v38
	v_and_b32_e32 v32, 0xffffff00, v31
	s_nop 0
	v_cndmask_b32_e32 v1, v1, v30, vcc
	v_and_b32_e32 v1, 0xffffff, v1
	v_cmp_gt_u32_e32 vcc, s3, v42
	s_nop 1
	v_cndmask_b32_e32 v1, v1, v30, vcc
	v_cmp_gt_u32_e32 vcc, s3, v39
	s_nop 1
	v_cndmask_b32_e32 v32, v32, v31, vcc
	v_and_b32_e32 v32, 0xffff00ff, v32
	v_cndmask_b32_e32 v1, v1, v30, vcc
	v_cmp_gt_u32_e32 vcc, s3, v43
	s_nop 1
	v_cndmask_b32_e32 v32, v32, v31, vcc
	v_lshrrev_b32_e32 v33, 24, v32
	v_cndmask_b32_e32 v1, v1, v30, vcc
	v_perm_b32 v32, v33, v32, s4
	v_cmp_gt_u32_e32 vcc, s3, v40
	s_mov_b32 s3, 0x3020104
	s_nop 0
	v_cndmask_b32_e32 v1, v1, v30, vcc
	v_cndmask_b32_e32 v30, v32, v31, vcc
	v_mov_b32_e32 v31, 8
	v_lshrrev_b32_sdwa v31, v31, v30 dst_sel:BYTE_1 dst_unused:UNUSED_PAD src0_sel:DWORD src1_sel:DWORD
	s_nop 0
	v_or_b32_sdwa v31, v30, v31 dst_sel:DWORD dst_unused:UNUSED_PAD src0_sel:BYTE_0 src1_sel:DWORD
	v_and_b32_e32 v31, 0xffff, v31
	v_bfe_u32 v30, v30, 16, 8
	v_lshl_or_b32 v31, v30, 16, v31
	v_perm_b32 v30, v1, v1, s3
.LBB600_340:
	s_waitcnt lgkmcnt(0)
	v_and_b32_e32 v1, 0xff, v30
	v_bfe_u32 v43, v30, 8, 8
	v_bfe_u32 v45, v30, 16, 8
	v_alignbit_b32 v32, v31, v30, 24
	v_and_b32_e32 v47, 0xff, v32
	v_and_b32_e32 v48, 0xff, v31
	v_add3_u32 v33, v43, v1, v45
	v_bfe_u32 v49, v31, 8, 8
	v_bfe_u32 v32, v31, 16, 8
	v_add3_u32 v33, v33, v47, v48
	v_add3_u32 v52, v33, v49, v32
	v_mbcnt_lo_u32_b32 v32, -1, 0
	v_mbcnt_hi_u32_b32 v50, -1, v32
	v_and_b32_e32 v32, 15, v50
	v_cmp_eq_u32_e64 s[14:15], 0, v32
	v_cmp_lt_u32_e64 s[12:13], 1, v32
	v_cmp_lt_u32_e64 s[10:11], 3, v32
	;; [unrolled: 1-line block ×3, first 2 shown]
	v_and_b32_e32 v32, 16, v50
	v_cmp_eq_u32_e64 s[6:7], 0, v32
	v_or_b32_e32 v32, 63, v0
	v_cmp_lt_u32_e64 s[18:19], 31, v50
	v_lshrrev_b32_e32 v51, 6, v0
	v_cmp_eq_u32_e64 s[4:5], v32, v0
	s_and_b64 vcc, exec, s[16:17]
	s_barrier
	s_cbranch_vccz .LBB600_367
; %bb.341:
	v_mov_b32_dpp v32, v52 row_shr:1 row_mask:0xf bank_mask:0xf
	v_cndmask_b32_e64 v32, v32, 0, s[14:15]
	v_add_u32_e32 v32, v32, v52
	s_nop 1
	v_mov_b32_dpp v33, v32 row_shr:2 row_mask:0xf bank_mask:0xf
	v_cndmask_b32_e64 v33, 0, v33, s[12:13]
	v_add_u32_e32 v32, v32, v33
	s_nop 1
	;; [unrolled: 4-line block ×4, first 2 shown]
	v_mov_b32_dpp v33, v32 row_bcast:15 row_mask:0xf bank_mask:0xf
	v_cndmask_b32_e64 v33, v33, 0, s[6:7]
	v_add_u32_e32 v32, v32, v33
	s_nop 1
	v_mov_b32_dpp v33, v32 row_bcast:31 row_mask:0xf bank_mask:0xf
	v_cndmask_b32_e64 v33, 0, v33, s[18:19]
	v_add_u32_e32 v32, v32, v33
	s_and_saveexec_b64 s[16:17], s[4:5]
	s_cbranch_execz .LBB600_343
; %bb.342:
	v_lshlrev_b32_e32 v33, 2, v51
	ds_write_b32 v33, v32
.LBB600_343:
	s_or_b64 exec, exec, s[16:17]
	v_cmp_gt_u32_e32 vcc, 8, v0
	s_waitcnt lgkmcnt(0)
	s_barrier
	s_and_saveexec_b64 s[16:17], vcc
	s_cbranch_execz .LBB600_345
; %bb.344:
	v_lshlrev_b32_e32 v33, 2, v0
	ds_read_b32 v34, v33
	v_and_b32_e32 v35, 7, v50
	v_cmp_ne_u32_e32 vcc, 0, v35
	s_waitcnt lgkmcnt(0)
	v_mov_b32_dpp v36, v34 row_shr:1 row_mask:0xf bank_mask:0xf
	v_cndmask_b32_e32 v36, 0, v36, vcc
	v_add_u32_e32 v34, v36, v34
	v_cmp_lt_u32_e32 vcc, 1, v35
	s_nop 0
	v_mov_b32_dpp v36, v34 row_shr:2 row_mask:0xf bank_mask:0xf
	v_cndmask_b32_e32 v36, 0, v36, vcc
	v_add_u32_e32 v34, v34, v36
	v_cmp_lt_u32_e32 vcc, 3, v35
	s_nop 0
	v_mov_b32_dpp v36, v34 row_shr:4 row_mask:0xf bank_mask:0xf
	v_cndmask_b32_e32 v35, 0, v36, vcc
	v_add_u32_e32 v34, v34, v35
	ds_write_b32 v33, v34
.LBB600_345:
	s_or_b64 exec, exec, s[16:17]
	v_cmp_gt_u32_e32 vcc, 64, v0
	v_cmp_lt_u32_e64 s[16:17], 63, v0
	s_waitcnt lgkmcnt(0)
	s_barrier
	s_waitcnt lgkmcnt(0)
                                        ; implicit-def: $vgpr42
	s_and_saveexec_b64 s[26:27], s[16:17]
	s_cbranch_execz .LBB600_347
; %bb.346:
	v_lshl_add_u32 v33, v51, 2, -4
	ds_read_b32 v42, v33
	s_waitcnt lgkmcnt(0)
	v_add_u32_e32 v32, v42, v32
.LBB600_347:
	s_or_b64 exec, exec, s[26:27]
	v_add_u32_e32 v33, -1, v50
	v_and_b32_e32 v34, 64, v50
	v_cmp_lt_i32_e64 s[16:17], v33, v34
	s_nop 1
	v_cndmask_b32_e64 v33, v33, v50, s[16:17]
	v_lshlrev_b32_e32 v33, 2, v33
	ds_bpermute_b32 v44, v33, v32
	v_cmp_eq_u32_e64 s[16:17], 0, v50
	s_and_saveexec_b64 s[26:27], vcc
	s_cbranch_execz .LBB600_366
; %bb.348:
	v_mov_b32_e32 v39, 0
	ds_read_b32 v32, v39 offset:28
	s_and_saveexec_b64 s[28:29], s[16:17]
	s_cbranch_execz .LBB600_350
; %bb.349:
	s_add_i32 s36, s2, 64
	s_mov_b32 s37, 0
	s_lshl_b64 s[36:37], s[36:37], 3
	s_add_u32 s36, s30, s36
	v_mov_b32_e32 v33, 1
	s_addc_u32 s37, s31, s37
	s_waitcnt lgkmcnt(0)
	global_store_dwordx2 v39, v[32:33], s[36:37] sc1
.LBB600_350:
	s_or_b64 exec, exec, s[28:29]
	v_xad_u32 v34, v50, -1, s2
	v_add_u32_e32 v38, 64, v34
	v_lshl_add_u64 v[40:41], v[38:39], 3, s[30:31]
	global_load_dwordx2 v[36:37], v[40:41], off sc1
	s_waitcnt vmcnt(0)
	v_cmp_eq_u16_sdwa s[36:37], v37, v39 src0_sel:BYTE_0 src1_sel:DWORD
	s_and_saveexec_b64 s[28:29], s[36:37]
	s_cbranch_execz .LBB600_354
; %bb.351:
	s_mov_b64 s[36:37], 0
	v_mov_b32_e32 v33, 0
.LBB600_352:                            ; =>This Inner Loop Header: Depth=1
	global_load_dwordx2 v[36:37], v[40:41], off sc1
	s_waitcnt vmcnt(0)
	v_cmp_ne_u16_sdwa s[38:39], v37, v33 src0_sel:BYTE_0 src1_sel:DWORD
	s_or_b64 s[36:37], s[38:39], s[36:37]
	s_andn2_b64 exec, exec, s[36:37]
	s_cbranch_execnz .LBB600_352
; %bb.353:
	s_or_b64 exec, exec, s[36:37]
.LBB600_354:
	s_or_b64 exec, exec, s[28:29]
	v_and_b32_e32 v46, 63, v50
	v_mov_b32_e32 v33, 2
	v_cmp_ne_u32_e32 vcc, 63, v46
	v_cmp_eq_u16_sdwa s[28:29], v37, v33 src0_sel:BYTE_0 src1_sel:DWORD
	v_lshlrev_b64 v[38:39], v50, -1
	v_addc_co_u32_e32 v41, vcc, 0, v50, vcc
	v_and_b32_e32 v35, s29, v39
	v_lshlrev_b32_e32 v53, 2, v41
	v_or_b32_e32 v35, 0x80000000, v35
	ds_bpermute_b32 v41, v53, v36
	v_and_b32_e32 v40, s28, v38
	v_ffbl_b32_e32 v35, v35
	v_add_u32_e32 v35, 32, v35
	v_ffbl_b32_e32 v40, v40
	v_min_u32_e32 v35, v40, v35
	v_cmp_lt_u32_e32 vcc, v46, v35
	v_add_u32_e32 v55, 2, v46
	v_add_u32_e32 v57, 4, v46
	s_waitcnt lgkmcnt(0)
	v_cndmask_b32_e32 v40, 0, v41, vcc
	v_cmp_gt_u32_e32 vcc, 62, v46
	v_add_u32_e32 v36, v40, v36
	v_add_u32_e32 v59, 8, v46
	v_cndmask_b32_e64 v40, 0, 1, vcc
	v_lshlrev_b32_e32 v40, 1, v40
	v_add_lshl_u32 v54, v40, v50, 2
	ds_bpermute_b32 v40, v54, v36
	v_cmp_le_u32_e32 vcc, v55, v35
	v_add_u32_e32 v62, 16, v46
	v_add_u32_e32 v64, 32, v46
	s_waitcnt lgkmcnt(0)
	v_cndmask_b32_e32 v40, 0, v40, vcc
	v_cmp_gt_u32_e32 vcc, 60, v46
	v_add_u32_e32 v36, v36, v40
	s_nop 0
	v_cndmask_b32_e64 v40, 0, 1, vcc
	v_lshlrev_b32_e32 v40, 2, v40
	v_add_lshl_u32 v56, v40, v50, 2
	ds_bpermute_b32 v40, v56, v36
	v_cmp_le_u32_e32 vcc, v57, v35
	s_waitcnt lgkmcnt(0)
	s_nop 0
	v_cndmask_b32_e32 v40, 0, v40, vcc
	v_cmp_gt_u32_e32 vcc, 56, v46
	v_add_u32_e32 v36, v36, v40
	s_nop 0
	v_cndmask_b32_e64 v40, 0, 1, vcc
	v_lshlrev_b32_e32 v40, 3, v40
	v_add_lshl_u32 v58, v40, v50, 2
	ds_bpermute_b32 v40, v58, v36
	v_cmp_le_u32_e32 vcc, v59, v35
	s_waitcnt lgkmcnt(0)
	s_nop 0
	;; [unrolled: 11-line block ×4, first 2 shown]
	v_cndmask_b32_e32 v35, 0, v40, vcc
	v_add_u32_e32 v36, v36, v35
	v_mov_b32_e32 v35, 0
	s_branch .LBB600_356
.LBB600_355:                            ;   in Loop: Header=BB600_356 Depth=1
	s_or_b64 exec, exec, s[28:29]
	v_cmp_eq_u16_sdwa s[28:29], v37, v33 src0_sel:BYTE_0 src1_sel:DWORD
	ds_bpermute_b32 v65, v53, v36
	v_subrev_u32_e32 v34, 64, v34
	v_and_b32_e32 v40, s29, v39
	v_or_b32_e32 v40, 0x80000000, v40
	v_and_b32_e32 v41, s28, v38
	v_ffbl_b32_e32 v40, v40
	v_add_u32_e32 v40, 32, v40
	v_ffbl_b32_e32 v41, v41
	v_min_u32_e32 v40, v41, v40
	v_cmp_lt_u32_e32 vcc, v46, v40
	s_waitcnt lgkmcnt(0)
	s_nop 0
	v_cndmask_b32_e32 v41, 0, v65, vcc
	v_add_u32_e32 v36, v41, v36
	ds_bpermute_b32 v41, v54, v36
	v_cmp_le_u32_e32 vcc, v55, v40
	s_waitcnt lgkmcnt(0)
	s_nop 0
	v_cndmask_b32_e32 v41, 0, v41, vcc
	v_add_u32_e32 v36, v36, v41
	ds_bpermute_b32 v41, v56, v36
	v_cmp_le_u32_e32 vcc, v57, v40
	;; [unrolled: 6-line block ×5, first 2 shown]
	s_waitcnt lgkmcnt(0)
	s_nop 0
	v_cndmask_b32_e32 v40, 0, v41, vcc
	v_add3_u32 v36, v40, v60, v36
.LBB600_356:                            ; =>This Loop Header: Depth=1
                                        ;     Child Loop BB600_359 Depth 2
	v_cmp_ne_u16_sdwa s[28:29], v37, v33 src0_sel:BYTE_0 src1_sel:DWORD
	v_mov_b32_e32 v60, v36
	s_nop 0
	v_cndmask_b32_e64 v37, 0, 1, s[28:29]
	;;#ASMSTART
	;;#ASMEND
	s_nop 0
	v_cmp_ne_u32_e32 vcc, 0, v37
	s_cmp_lg_u64 vcc, exec
	s_cbranch_scc1 .LBB600_361
; %bb.357:                              ;   in Loop: Header=BB600_356 Depth=1
	v_lshl_add_u64 v[40:41], v[34:35], 3, s[30:31]
	global_load_dwordx2 v[36:37], v[40:41], off sc1
	s_waitcnt vmcnt(0)
	v_cmp_eq_u16_sdwa s[36:37], v37, v35 src0_sel:BYTE_0 src1_sel:DWORD
	s_and_saveexec_b64 s[28:29], s[36:37]
	s_cbranch_execz .LBB600_355
; %bb.358:                              ;   in Loop: Header=BB600_356 Depth=1
	s_mov_b64 s[36:37], 0
.LBB600_359:                            ;   Parent Loop BB600_356 Depth=1
                                        ; =>  This Inner Loop Header: Depth=2
	global_load_dwordx2 v[36:37], v[40:41], off sc1
	s_waitcnt vmcnt(0)
	v_cmp_ne_u16_sdwa s[38:39], v37, v35 src0_sel:BYTE_0 src1_sel:DWORD
	s_or_b64 s[36:37], s[38:39], s[36:37]
	s_andn2_b64 exec, exec, s[36:37]
	s_cbranch_execnz .LBB600_359
; %bb.360:                              ;   in Loop: Header=BB600_356 Depth=1
	s_or_b64 exec, exec, s[36:37]
	s_branch .LBB600_355
.LBB600_361:                            ;   in Loop: Header=BB600_356 Depth=1
                                        ; implicit-def: $vgpr36
                                        ; implicit-def: $vgpr37
	s_cbranch_execz .LBB600_356
; %bb.362:
	s_and_saveexec_b64 s[28:29], s[16:17]
	s_cbranch_execz .LBB600_364
; %bb.363:
	s_add_i32 s2, s2, 64
	s_mov_b32 s3, 0
	s_lshl_b64 s[2:3], s[2:3], 3
	s_add_u32 s2, s30, s2
	v_add_u32_e32 v34, v60, v32
	v_mov_b32_e32 v35, 2
	s_addc_u32 s3, s31, s3
	v_mov_b32_e32 v33, 0
	global_store_dwordx2 v33, v[34:35], s[2:3] sc1
	s_movk_i32 s2, 0x7000
	v_add_u32_e64 v33, s2, 0
	ds_write2_b32 v33, v32, v60 offset1:2
.LBB600_364:
	s_or_b64 exec, exec, s[28:29]
	v_cmp_eq_u32_e32 vcc, 0, v0
	s_and_b64 exec, exec, vcc
	s_cbranch_execz .LBB600_366
; %bb.365:
	v_mov_b32_e32 v32, 0
	ds_write_b32 v32, v60 offset:28
.LBB600_366:
	s_or_b64 exec, exec, s[26:27]
	v_mov_b32_e32 v32, 0
	s_waitcnt lgkmcnt(0)
	s_barrier
	ds_read_b32 v32, v32 offset:28
	v_cndmask_b32_e64 v33, v44, v42, s[16:17]
	v_cmp_ne_u32_e32 vcc, 0, v0
	s_movk_i32 s2, 0x7000
	s_waitcnt lgkmcnt(0)
	v_cndmask_b32_e32 v33, 0, v33, vcc
	v_add_u32_e32 v46, v32, v33
	v_add_u32_e64 v32, s2, 0
	v_add_u32_e32 v44, v46, v1
	s_barrier
	ds_read2_b32 v[32:33], v32 offset1:2
	v_add_u32_e32 v42, v44, v43
	v_add_u32_e32 v40, v42, v45
	;; [unrolled: 1-line block ×5, first 2 shown]
	s_waitcnt lgkmcnt(0)
	v_readfirstlane_b32 s26, v32
	v_readfirstlane_b32 s16, v33
	v_lshrrev_b64 v[32:33], 24, v[30:31]
	s_branch .LBB600_377
.LBB600_367:
                                        ; implicit-def: $vgpr34
                                        ; implicit-def: $vgpr36
                                        ; implicit-def: $vgpr38
                                        ; implicit-def: $vgpr40
                                        ; implicit-def: $vgpr42
                                        ; implicit-def: $vgpr44
                                        ; implicit-def: $vgpr46
                                        ; implicit-def: $sgpr16
                                        ; implicit-def: $sgpr26
	v_lshrrev_b64 v[32:33], 24, v[30:31]
	s_cbranch_execz .LBB600_377
; %bb.368:
	s_nop 0
	v_mov_b32_dpp v33, v52 row_shr:1 row_mask:0xf bank_mask:0xf
	v_cndmask_b32_e64 v33, v33, 0, s[14:15]
	v_add_u32_e32 v33, v33, v52
	s_nop 1
	v_mov_b32_dpp v34, v33 row_shr:2 row_mask:0xf bank_mask:0xf
	v_cndmask_b32_e64 v34, 0, v34, s[12:13]
	v_add_u32_e32 v33, v33, v34
	;; [unrolled: 4-line block ×4, first 2 shown]
	s_nop 1
	v_mov_b32_dpp v34, v33 row_bcast:15 row_mask:0xf bank_mask:0xf
	v_cndmask_b32_e64 v34, v34, 0, s[6:7]
	v_add_u32_e32 v33, v33, v34
	s_nop 1
	v_mov_b32_dpp v34, v33 row_bcast:31 row_mask:0xf bank_mask:0xf
	v_cndmask_b32_e64 v34, 0, v34, s[18:19]
	v_add_u32_e32 v33, v33, v34
	s_and_saveexec_b64 s[2:3], s[4:5]
	s_cbranch_execz .LBB600_370
; %bb.369:
	v_lshlrev_b32_e32 v34, 2, v51
	ds_write_b32 v34, v33
.LBB600_370:
	s_or_b64 exec, exec, s[2:3]
	v_cmp_gt_u32_e32 vcc, 8, v0
	s_waitcnt lgkmcnt(0)
	s_barrier
	s_and_saveexec_b64 s[2:3], vcc
	s_cbranch_execz .LBB600_372
; %bb.371:
	v_lshlrev_b32_e32 v34, 2, v0
	ds_read_b32 v35, v34
	v_and_b32_e32 v36, 7, v50
	v_cmp_ne_u32_e32 vcc, 0, v36
	s_waitcnt lgkmcnt(0)
	v_mov_b32_dpp v37, v35 row_shr:1 row_mask:0xf bank_mask:0xf
	v_cndmask_b32_e32 v37, 0, v37, vcc
	v_add_u32_e32 v35, v37, v35
	v_cmp_lt_u32_e32 vcc, 1, v36
	s_nop 0
	v_mov_b32_dpp v37, v35 row_shr:2 row_mask:0xf bank_mask:0xf
	v_cndmask_b32_e32 v37, 0, v37, vcc
	v_add_u32_e32 v35, v35, v37
	v_cmp_lt_u32_e32 vcc, 3, v36
	s_nop 0
	v_mov_b32_dpp v37, v35 row_shr:4 row_mask:0xf bank_mask:0xf
	v_cndmask_b32_e32 v36, 0, v37, vcc
	v_add_u32_e32 v35, v35, v36
	ds_write_b32 v34, v35
.LBB600_372:
	s_or_b64 exec, exec, s[2:3]
	v_cmp_lt_u32_e32 vcc, 63, v0
	v_mov_b32_e32 v35, 0
	v_mov_b32_e32 v34, 0
	s_waitcnt lgkmcnt(0)
	s_barrier
	s_and_saveexec_b64 s[2:3], vcc
	s_cbranch_execz .LBB600_374
; %bb.373:
	v_lshl_add_u32 v34, v51, 2, -4
	ds_read_b32 v34, v34
.LBB600_374:
	s_or_b64 exec, exec, s[2:3]
	v_add_u32_e32 v36, -1, v50
	v_and_b32_e32 v37, 64, v50
	v_cmp_lt_i32_e32 vcc, v36, v37
	s_waitcnt lgkmcnt(0)
	v_add_u32_e32 v33, v34, v33
	ds_read_b32 v35, v35 offset:28
	v_cndmask_b32_e32 v36, v36, v50, vcc
	v_lshlrev_b32_e32 v36, 2, v36
	ds_bpermute_b32 v33, v36, v33
	s_mov_b32 s16, 0
	v_cmp_eq_u32_e32 vcc, 0, v0
	s_waitcnt lgkmcnt(1)
	v_readfirstlane_b32 s26, v35
	s_and_saveexec_b64 s[2:3], vcc
	s_cbranch_execz .LBB600_376
; %bb.375:
	v_mov_b32_e32 v35, 0
	v_mov_b32_e32 v36, s26
	;; [unrolled: 1-line block ×3, first 2 shown]
	global_store_dwordx2 v35, v[36:37], s[30:31] offset:512 sc1
.LBB600_376:
	s_or_b64 exec, exec, s[2:3]
	v_cmp_eq_u32_e64 s[2:3], 0, v50
	s_waitcnt lgkmcnt(0)
	s_barrier
	v_cndmask_b32_e64 v33, v33, v34, s[2:3]
	v_cndmask_b32_e64 v46, v33, 0, vcc
	v_add_u32_e32 v44, v46, v1
	v_add_u32_e32 v42, v44, v43
	;; [unrolled: 1-line block ×6, first 2 shown]
.LBB600_377:
	s_load_dwordx4 s[4:7], s[0:1], 0x28
	s_cmpk_lt_u32 s26, 0x201
	s_cselect_b64 s[2:3], -1, 0
	v_lshrrev_b32_e32 v33, 8, v30
	v_lshrrev_b32_e32 v1, 8, v31
	s_mov_b64 s[0:1], -1
	s_and_b64 vcc, exec, s[2:3]
	s_cbranch_vccz .LBB600_400
; %bb.378:
	s_add_i32 s8, s16, s26
	v_cmp_gt_u32_e32 vcc, s8, v46
	s_or_b64 s[10:11], s[34:35], vcc
	s_and_saveexec_b64 s[0:1], s[10:11]
	s_cbranch_execz .LBB600_381
; %bb.379:
	v_and_b32_e32 v35, 1, v30
	v_cmp_eq_u32_e32 vcc, 1, v35
	s_and_b64 exec, exec, vcc
	s_cbranch_execz .LBB600_381
; %bb.380:
	s_lshl_b64 s[10:11], s[22:23], 3
	s_waitcnt lgkmcnt(0)
	s_add_u32 s10, s4, s10
	s_addc_u32 s11, s5, s11
	v_mov_b32_e32 v47, 0
	v_lshl_add_u64 v[48:49], v[46:47], 3, s[10:11]
	global_store_dwordx2 v[48:49], v[22:23], off
.LBB600_381:
	s_or_b64 exec, exec, s[0:1]
	v_cmp_gt_u32_e32 vcc, s8, v44
	s_or_b64 s[10:11], s[34:35], vcc
	s_and_saveexec_b64 s[0:1], s[10:11]
	s_cbranch_execz .LBB600_384
; %bb.382:
	v_and_b32_e32 v35, 1, v33
	v_cmp_eq_u32_e32 vcc, 1, v35
	s_and_b64 exec, exec, vcc
	s_cbranch_execz .LBB600_384
; %bb.383:
	s_lshl_b64 s[10:11], s[22:23], 3
	s_waitcnt lgkmcnt(0)
	s_add_u32 s10, s4, s10
	s_addc_u32 s11, s5, s11
	v_mov_b32_e32 v45, 0
	v_lshl_add_u64 v[48:49], v[44:45], 3, s[10:11]
	global_store_dwordx2 v[48:49], v[24:25], off
.LBB600_384:
	s_or_b64 exec, exec, s[0:1]
	v_cmp_gt_u32_e32 vcc, s8, v42
	s_or_b64 s[10:11], s[34:35], vcc
	s_and_saveexec_b64 s[0:1], s[10:11]
	s_cbranch_execz .LBB600_387
; %bb.385:
	v_mov_b32_e32 v35, 1
	v_and_b32_sdwa v35, v35, v30 dst_sel:DWORD dst_unused:UNUSED_PAD src0_sel:DWORD src1_sel:WORD_1
	v_cmp_eq_u32_e32 vcc, 1, v35
	s_and_b64 exec, exec, vcc
	s_cbranch_execz .LBB600_387
; %bb.386:
	s_lshl_b64 s[10:11], s[22:23], 3
	s_waitcnt lgkmcnt(0)
	s_add_u32 s10, s4, s10
	s_addc_u32 s11, s5, s11
	v_mov_b32_e32 v43, 0
	v_lshl_add_u64 v[48:49], v[42:43], 3, s[10:11]
	global_store_dwordx2 v[48:49], v[18:19], off
.LBB600_387:
	s_or_b64 exec, exec, s[0:1]
	v_cmp_gt_u32_e32 vcc, s8, v40
	s_or_b64 s[10:11], s[34:35], vcc
	s_and_saveexec_b64 s[0:1], s[10:11]
	s_cbranch_execz .LBB600_390
; %bb.388:
	v_and_b32_e32 v35, 1, v32
	v_cmp_eq_u32_e32 vcc, 1, v35
	s_and_b64 exec, exec, vcc
	s_cbranch_execz .LBB600_390
; %bb.389:
	s_lshl_b64 s[10:11], s[22:23], 3
	s_waitcnt lgkmcnt(0)
	s_add_u32 s10, s4, s10
	s_addc_u32 s11, s5, s11
	v_mov_b32_e32 v41, 0
	v_lshl_add_u64 v[48:49], v[40:41], 3, s[10:11]
	global_store_dwordx2 v[48:49], v[20:21], off
.LBB600_390:
	s_or_b64 exec, exec, s[0:1]
	v_cmp_gt_u32_e32 vcc, s8, v38
	s_or_b64 s[10:11], s[34:35], vcc
	s_and_saveexec_b64 s[0:1], s[10:11]
	s_cbranch_execz .LBB600_393
; %bb.391:
	v_and_b32_e32 v35, 1, v31
	v_cmp_eq_u32_e32 vcc, 1, v35
	s_and_b64 exec, exec, vcc
	s_cbranch_execz .LBB600_393
; %bb.392:
	s_lshl_b64 s[10:11], s[22:23], 3
	s_waitcnt lgkmcnt(0)
	s_add_u32 s10, s4, s10
	s_addc_u32 s11, s5, s11
	v_mov_b32_e32 v39, 0
	v_lshl_add_u64 v[48:49], v[38:39], 3, s[10:11]
	global_store_dwordx2 v[48:49], v[14:15], off
.LBB600_393:
	;; [unrolled: 19-line block ×3, first 2 shown]
	s_or_b64 exec, exec, s[0:1]
	v_cmp_gt_u32_e32 vcc, s8, v34
	s_or_b64 s[8:9], s[34:35], vcc
	s_and_saveexec_b64 s[0:1], s[8:9]
	s_cbranch_execz .LBB600_399
; %bb.397:
	v_mov_b32_e32 v35, 1
	v_and_b32_sdwa v35, v35, v31 dst_sel:DWORD dst_unused:UNUSED_PAD src0_sel:DWORD src1_sel:WORD_1
	v_cmp_eq_u32_e32 vcc, 1, v35
	s_and_b64 exec, exec, vcc
	s_cbranch_execz .LBB600_399
; %bb.398:
	s_lshl_b64 s[8:9], s[22:23], 3
	s_waitcnt lgkmcnt(0)
	s_add_u32 s8, s4, s8
	s_addc_u32 s9, s5, s9
	v_mov_b32_e32 v35, 0
	v_lshl_add_u64 v[48:49], v[34:35], 3, s[8:9]
	global_store_dwordx2 v[48:49], v[28:29], off
.LBB600_399:
	s_or_b64 exec, exec, s[0:1]
	s_mov_b64 s[0:1], 0
.LBB600_400:
	v_and_b32_e32 v48, 1, v30
	s_and_b64 vcc, exec, s[0:1]
	v_cmp_eq_u32_e64 s[0:1], 1, v48
	s_cbranch_vccz .LBB600_419
; %bb.401:
	s_and_saveexec_b64 s[8:9], s[0:1]
	s_cbranch_execz .LBB600_403
; %bb.402:
	v_subrev_u32_e32 v35, s16, v46
	v_lshlrev_b32_e32 v35, 3, v35
	ds_write_b64 v35, v[22:23]
.LBB600_403:
	s_or_b64 exec, exec, s[8:9]
	v_and_b32_e32 v22, 1, v33
	v_cmp_eq_u32_e32 vcc, 1, v22
	s_and_saveexec_b64 s[0:1], vcc
	s_cbranch_execz .LBB600_405
; %bb.404:
	v_subrev_u32_e32 v22, s16, v44
	v_lshlrev_b32_e32 v22, 3, v22
	ds_write_b64 v22, v[24:25]
.LBB600_405:
	s_or_b64 exec, exec, s[0:1]
	v_mov_b32_e32 v22, 1
	v_and_b32_sdwa v22, v22, v30 dst_sel:DWORD dst_unused:UNUSED_PAD src0_sel:DWORD src1_sel:WORD_1
	v_cmp_eq_u32_e32 vcc, 1, v22
	s_and_saveexec_b64 s[0:1], vcc
	s_cbranch_execz .LBB600_407
; %bb.406:
	v_subrev_u32_e32 v22, s16, v42
	v_lshlrev_b32_e32 v22, 3, v22
	ds_write_b64 v22, v[18:19]
.LBB600_407:
	s_or_b64 exec, exec, s[0:1]
	v_and_b32_e32 v18, 1, v32
	v_cmp_eq_u32_e32 vcc, 1, v18
	s_and_saveexec_b64 s[0:1], vcc
	s_cbranch_execz .LBB600_409
; %bb.408:
	v_subrev_u32_e32 v18, s16, v40
	v_lshlrev_b32_e32 v18, 3, v18
	ds_write_b64 v18, v[20:21]
.LBB600_409:
	s_or_b64 exec, exec, s[0:1]
	v_and_b32_e32 v18, 1, v31
	v_cmp_eq_u32_e32 vcc, 1, v18
	s_and_saveexec_b64 s[0:1], vcc
	s_cbranch_execz .LBB600_411
; %bb.410:
	v_subrev_u32_e32 v18, s16, v38
	v_lshlrev_b32_e32 v18, 3, v18
	ds_write_b64 v18, v[14:15]
.LBB600_411:
	s_or_b64 exec, exec, s[0:1]
	v_and_b32_e32 v14, 1, v1
	v_cmp_eq_u32_e32 vcc, 1, v14
	s_and_saveexec_b64 s[0:1], vcc
	s_cbranch_execz .LBB600_413
; %bb.412:
	v_subrev_u32_e32 v14, s16, v36
	v_lshlrev_b32_e32 v14, 3, v14
	ds_write_b64 v14, v[16:17]
.LBB600_413:
	s_or_b64 exec, exec, s[0:1]
	v_mov_b32_e32 v14, 1
	v_and_b32_sdwa v14, v14, v31 dst_sel:DWORD dst_unused:UNUSED_PAD src0_sel:DWORD src1_sel:WORD_1
	v_cmp_eq_u32_e32 vcc, 1, v14
	s_and_saveexec_b64 s[0:1], vcc
	s_cbranch_execz .LBB600_415
; %bb.414:
	v_subrev_u32_e32 v14, s16, v34
	v_lshlrev_b32_e32 v14, 3, v14
	ds_write_b64 v14, v[28:29]
.LBB600_415:
	s_or_b64 exec, exec, s[0:1]
	v_cmp_gt_u32_e32 vcc, s26, v0
	s_waitcnt lgkmcnt(0)
	s_barrier
	s_and_saveexec_b64 s[0:1], vcc
	s_cbranch_execz .LBB600_418
; %bb.416:
	s_mov_b32 s17, 0
	s_lshl_b64 s[8:9], s[22:23], 3
	s_lshl_b64 s[10:11], s[16:17], 3
	s_add_u32 s8, s8, s10
	s_addc_u32 s9, s9, s11
	s_add_u32 s4, s4, s8
	v_lshlrev_b32_e32 v14, 3, v0
	v_mov_b32_e32 v15, 0
	s_addc_u32 s5, s5, s9
	v_lshl_add_u64 v[16:17], s[4:5], 0, v[14:15]
	s_mov_b64 s[4:5], 0
	s_mov_b64 s[8:9], 0x1000
	v_mov_b32_e32 v15, v0
.LBB600_417:                            ; =>This Inner Loop Header: Depth=1
	ds_read_b64 v[18:19], v14
	v_add_u32_e32 v15, 0x200, v15
	v_cmp_le_u32_e32 vcc, s26, v15
	v_add_u32_e32 v14, 0x1000, v14
	s_or_b64 s[4:5], vcc, s[4:5]
	s_waitcnt lgkmcnt(0)
	global_store_dwordx2 v[16:17], v[18:19], off
	v_lshl_add_u64 v[16:17], v[16:17], 0, s[8:9]
	s_andn2_b64 exec, exec, s[4:5]
	s_cbranch_execnz .LBB600_417
.LBB600_418:
	s_or_b64 exec, exec, s[0:1]
.LBB600_419:
	s_mov_b64 s[0:1], -1
	s_and_b64 vcc, exec, s[2:3]
	s_waitcnt lgkmcnt(0)
	s_barrier
	s_cbranch_vccnz .LBB600_423
; %bb.420:
	s_and_b64 vcc, exec, s[0:1]
	s_cbranch_vccnz .LBB600_445
.LBB600_421:
	v_cmp_eq_u32_e32 vcc, 0, v0
	s_and_b64 s[0:1], vcc, s[24:25]
	s_and_saveexec_b64 s[2:3], s[0:1]
	s_cbranch_execnz .LBB600_463
.LBB600_422:
	s_endpgm
.LBB600_423:
	s_add_i32 s2, s16, s26
	v_cmp_gt_u32_e32 vcc, s2, v46
	s_or_b64 s[4:5], s[34:35], vcc
	s_and_saveexec_b64 s[0:1], s[4:5]
	s_cbranch_execz .LBB600_426
; %bb.424:
	v_cmp_eq_u32_e32 vcc, 1, v48
	s_and_b64 exec, exec, vcc
	s_cbranch_execz .LBB600_426
; %bb.425:
	s_lshl_b64 s[4:5], s[22:23], 3
	s_add_u32 s4, s6, s4
	s_addc_u32 s5, s7, s5
	v_mov_b32_e32 v47, 0
	v_lshl_add_u64 v[14:15], v[46:47], 3, s[4:5]
	global_store_dwordx2 v[14:15], v[10:11], off
.LBB600_426:
	s_or_b64 exec, exec, s[0:1]
	v_cmp_gt_u32_e32 vcc, s2, v44
	s_or_b64 s[4:5], s[34:35], vcc
	s_and_saveexec_b64 s[0:1], s[4:5]
	s_cbranch_execz .LBB600_429
; %bb.427:
	v_and_b32_e32 v14, 1, v33
	v_cmp_eq_u32_e32 vcc, 1, v14
	s_and_b64 exec, exec, vcc
	s_cbranch_execz .LBB600_429
; %bb.428:
	s_lshl_b64 s[4:5], s[22:23], 3
	s_add_u32 s4, s6, s4
	s_addc_u32 s5, s7, s5
	v_mov_b32_e32 v45, 0
	v_lshl_add_u64 v[14:15], v[44:45], 3, s[4:5]
	global_store_dwordx2 v[14:15], v[12:13], off
.LBB600_429:
	s_or_b64 exec, exec, s[0:1]
	v_cmp_gt_u32_e32 vcc, s2, v42
	s_or_b64 s[4:5], s[34:35], vcc
	s_and_saveexec_b64 s[0:1], s[4:5]
	s_cbranch_execz .LBB600_432
; %bb.430:
	v_mov_b32_e32 v14, 1
	v_and_b32_sdwa v14, v14, v30 dst_sel:DWORD dst_unused:UNUSED_PAD src0_sel:DWORD src1_sel:WORD_1
	v_cmp_eq_u32_e32 vcc, 1, v14
	s_and_b64 exec, exec, vcc
	s_cbranch_execz .LBB600_432
; %bb.431:
	s_lshl_b64 s[4:5], s[22:23], 3
	s_add_u32 s4, s6, s4
	s_addc_u32 s5, s7, s5
	v_mov_b32_e32 v43, 0
	v_lshl_add_u64 v[14:15], v[42:43], 3, s[4:5]
	global_store_dwordx2 v[14:15], v[6:7], off
.LBB600_432:
	s_or_b64 exec, exec, s[0:1]
	v_cmp_gt_u32_e32 vcc, s2, v40
	s_or_b64 s[4:5], s[34:35], vcc
	s_and_saveexec_b64 s[0:1], s[4:5]
	s_cbranch_execz .LBB600_435
; %bb.433:
	v_and_b32_e32 v14, 1, v32
	v_cmp_eq_u32_e32 vcc, 1, v14
	s_and_b64 exec, exec, vcc
	s_cbranch_execz .LBB600_435
; %bb.434:
	s_lshl_b64 s[4:5], s[22:23], 3
	s_add_u32 s4, s6, s4
	s_addc_u32 s5, s7, s5
	v_mov_b32_e32 v41, 0
	v_lshl_add_u64 v[14:15], v[40:41], 3, s[4:5]
	global_store_dwordx2 v[14:15], v[8:9], off
.LBB600_435:
	s_or_b64 exec, exec, s[0:1]
	v_cmp_gt_u32_e32 vcc, s2, v38
	s_or_b64 s[4:5], s[34:35], vcc
	s_and_saveexec_b64 s[0:1], s[4:5]
	s_cbranch_execz .LBB600_438
; %bb.436:
	v_and_b32_e32 v14, 1, v31
	v_cmp_eq_u32_e32 vcc, 1, v14
	s_and_b64 exec, exec, vcc
	s_cbranch_execz .LBB600_438
; %bb.437:
	s_lshl_b64 s[4:5], s[22:23], 3
	s_add_u32 s4, s6, s4
	s_addc_u32 s5, s7, s5
	v_mov_b32_e32 v39, 0
	v_lshl_add_u64 v[14:15], v[38:39], 3, s[4:5]
	global_store_dwordx2 v[14:15], v[2:3], off
.LBB600_438:
	;; [unrolled: 18-line block ×3, first 2 shown]
	s_or_b64 exec, exec, s[0:1]
	v_cmp_gt_u32_e32 vcc, s2, v34
	s_or_b64 s[2:3], s[34:35], vcc
	s_and_saveexec_b64 s[0:1], s[2:3]
	s_cbranch_execz .LBB600_444
; %bb.442:
	v_mov_b32_e32 v14, 1
	v_and_b32_sdwa v14, v14, v31 dst_sel:DWORD dst_unused:UNUSED_PAD src0_sel:DWORD src1_sel:WORD_1
	v_cmp_eq_u32_e32 vcc, 1, v14
	s_and_b64 exec, exec, vcc
	s_cbranch_execz .LBB600_444
; %bb.443:
	s_lshl_b64 s[2:3], s[22:23], 3
	s_add_u32 s2, s6, s2
	s_addc_u32 s3, s7, s3
	v_mov_b32_e32 v35, 0
	v_lshl_add_u64 v[14:15], v[34:35], 3, s[2:3]
	global_store_dwordx2 v[14:15], v[26:27], off
.LBB600_444:
	s_or_b64 exec, exec, s[0:1]
	s_branch .LBB600_421
.LBB600_445:
	v_cmp_eq_u32_e32 vcc, 1, v48
	s_and_saveexec_b64 s[0:1], vcc
	s_cbranch_execz .LBB600_447
; %bb.446:
	v_subrev_u32_e32 v14, s16, v46
	v_lshlrev_b32_e32 v14, 3, v14
	ds_write_b64 v14, v[10:11]
.LBB600_447:
	s_or_b64 exec, exec, s[0:1]
	v_and_b32_e32 v10, 1, v33
	v_cmp_eq_u32_e32 vcc, 1, v10
	s_and_saveexec_b64 s[0:1], vcc
	s_cbranch_execz .LBB600_449
; %bb.448:
	v_subrev_u32_e32 v10, s16, v44
	v_lshlrev_b32_e32 v10, 3, v10
	ds_write_b64 v10, v[12:13]
.LBB600_449:
	s_or_b64 exec, exec, s[0:1]
	v_mov_b32_e32 v10, 1
	v_and_b32_sdwa v10, v10, v30 dst_sel:DWORD dst_unused:UNUSED_PAD src0_sel:DWORD src1_sel:WORD_1
	v_cmp_eq_u32_e32 vcc, 1, v10
	s_and_saveexec_b64 s[0:1], vcc
	s_cbranch_execz .LBB600_451
; %bb.450:
	v_subrev_u32_e32 v10, s16, v42
	v_lshlrev_b32_e32 v10, 3, v10
	ds_write_b64 v10, v[6:7]
.LBB600_451:
	s_or_b64 exec, exec, s[0:1]
	v_and_b32_e32 v6, 1, v32
	v_cmp_eq_u32_e32 vcc, 1, v6
	s_and_saveexec_b64 s[0:1], vcc
	s_cbranch_execz .LBB600_453
; %bb.452:
	v_subrev_u32_e32 v6, s16, v40
	v_lshlrev_b32_e32 v6, 3, v6
	ds_write_b64 v6, v[8:9]
.LBB600_453:
	s_or_b64 exec, exec, s[0:1]
	v_and_b32_e32 v6, 1, v31
	;; [unrolled: 10-line block ×3, first 2 shown]
	v_cmp_eq_u32_e32 vcc, 1, v1
	s_and_saveexec_b64 s[0:1], vcc
	s_cbranch_execz .LBB600_457
; %bb.456:
	v_subrev_u32_e32 v1, s16, v36
	v_lshlrev_b32_e32 v1, 3, v1
	ds_write_b64 v1, v[4:5]
.LBB600_457:
	s_or_b64 exec, exec, s[0:1]
	v_mov_b32_e32 v1, 1
	v_and_b32_sdwa v1, v1, v31 dst_sel:DWORD dst_unused:UNUSED_PAD src0_sel:DWORD src1_sel:WORD_1
	v_cmp_eq_u32_e32 vcc, 1, v1
	s_and_saveexec_b64 s[0:1], vcc
	s_cbranch_execz .LBB600_459
; %bb.458:
	v_subrev_u32_e32 v1, s16, v34
	v_lshlrev_b32_e32 v1, 3, v1
	ds_write_b64 v1, v[26:27]
.LBB600_459:
	s_or_b64 exec, exec, s[0:1]
	v_cmp_gt_u32_e32 vcc, s26, v0
	s_waitcnt lgkmcnt(0)
	s_barrier
	s_and_saveexec_b64 s[0:1], vcc
	s_cbranch_execz .LBB600_462
; %bb.460:
	s_mov_b32 s17, 0
	s_lshl_b64 s[2:3], s[22:23], 3
	s_lshl_b64 s[4:5], s[16:17], 3
	s_add_u32 s2, s2, s4
	s_addc_u32 s3, s3, s5
	s_add_u32 s2, s6, s2
	v_lshlrev_b32_e32 v2, 3, v0
	v_mov_b32_e32 v3, 0
	s_addc_u32 s3, s7, s3
	v_lshl_add_u64 v[4:5], s[2:3], 0, v[2:3]
	s_mov_b64 s[2:3], 0
	s_mov_b64 s[4:5], 0x1000
	v_mov_b32_e32 v1, v0
.LBB600_461:                            ; =>This Inner Loop Header: Depth=1
	ds_read_b64 v[6:7], v2
	v_add_u32_e32 v1, 0x200, v1
	v_cmp_le_u32_e32 vcc, s26, v1
	v_add_u32_e32 v2, 0x1000, v2
	s_or_b64 s[2:3], vcc, s[2:3]
	s_waitcnt lgkmcnt(0)
	global_store_dwordx2 v[4:5], v[6:7], off
	v_lshl_add_u64 v[4:5], v[4:5], 0, s[4:5]
	s_andn2_b64 exec, exec, s[2:3]
	s_cbranch_execnz .LBB600_461
.LBB600_462:
	s_or_b64 exec, exec, s[0:1]
	v_cmp_eq_u32_e32 vcc, 0, v0
	s_and_b64 s[0:1], vcc, s[24:25]
	s_and_saveexec_b64 s[2:3], s[0:1]
	s_cbranch_execz .LBB600_422
.LBB600_463:
	s_add_u32 s0, s22, s26
	s_addc_u32 s1, s23, 0
	s_add_u32 s0, s0, s16
	s_addc_u32 s1, s1, 0
	v_mov_b32_e32 v2, 0
	v_mov_b64_e32 v[0:1], s[0:1]
	global_store_dwordx2 v2, v[0:1], s[20:21]
	s_endpgm
	.section	.rodata,"a",@progbits
	.p2align	6, 0x0
	.amdhsa_kernel _ZN7rocprim17ROCPRIM_400000_NS6detail17trampoline_kernelINS0_14default_configENS1_25partition_config_selectorILNS1_17partition_subalgoE9EllbEEZZNS1_14partition_implILS5_9ELb0ES3_jPlS8_PNS0_10empty_typeENS0_5tupleIJS8_S9_EEENSB_IJS8_SA_EEENS0_18inequality_wrapperIZN2at6native12_GLOBAL__N_124unique_dim_cuda_templateIlEESt5tupleIJNSF_6TensorESK_SK_EERKSK_lbbbEUlllE0_EEPmJS9_EEE10hipError_tPvRmT3_T4_T5_T6_T7_T9_mT8_P12ihipStream_tbDpT10_ENKUlT_T0_E_clISt17integral_constantIbLb0EES1A_EEDaS15_S16_EUlS15_E_NS1_11comp_targetILNS1_3genE5ELNS1_11target_archE942ELNS1_3gpuE9ELNS1_3repE0EEENS1_30default_config_static_selectorELNS0_4arch9wavefront6targetE1EEEvT1_
		.amdhsa_group_segment_fixed_size 28684
		.amdhsa_private_segment_fixed_size 0
		.amdhsa_kernarg_size 120
		.amdhsa_user_sgpr_count 2
		.amdhsa_user_sgpr_dispatch_ptr 0
		.amdhsa_user_sgpr_queue_ptr 0
		.amdhsa_user_sgpr_kernarg_segment_ptr 1
		.amdhsa_user_sgpr_dispatch_id 0
		.amdhsa_user_sgpr_kernarg_preload_length 0
		.amdhsa_user_sgpr_kernarg_preload_offset 0
		.amdhsa_user_sgpr_private_segment_size 0
		.amdhsa_uses_dynamic_stack 0
		.amdhsa_enable_private_segment 0
		.amdhsa_system_sgpr_workgroup_id_x 1
		.amdhsa_system_sgpr_workgroup_id_y 0
		.amdhsa_system_sgpr_workgroup_id_z 0
		.amdhsa_system_sgpr_workgroup_info 0
		.amdhsa_system_vgpr_workitem_id 0
		.amdhsa_next_free_vgpr 66
		.amdhsa_next_free_sgpr 52
		.amdhsa_accum_offset 68
		.amdhsa_reserve_vcc 1
		.amdhsa_float_round_mode_32 0
		.amdhsa_float_round_mode_16_64 0
		.amdhsa_float_denorm_mode_32 3
		.amdhsa_float_denorm_mode_16_64 3
		.amdhsa_dx10_clamp 1
		.amdhsa_ieee_mode 1
		.amdhsa_fp16_overflow 0
		.amdhsa_tg_split 0
		.amdhsa_exception_fp_ieee_invalid_op 0
		.amdhsa_exception_fp_denorm_src 0
		.amdhsa_exception_fp_ieee_div_zero 0
		.amdhsa_exception_fp_ieee_overflow 0
		.amdhsa_exception_fp_ieee_underflow 0
		.amdhsa_exception_fp_ieee_inexact 0
		.amdhsa_exception_int_div_zero 0
	.end_amdhsa_kernel
	.section	.text._ZN7rocprim17ROCPRIM_400000_NS6detail17trampoline_kernelINS0_14default_configENS1_25partition_config_selectorILNS1_17partition_subalgoE9EllbEEZZNS1_14partition_implILS5_9ELb0ES3_jPlS8_PNS0_10empty_typeENS0_5tupleIJS8_S9_EEENSB_IJS8_SA_EEENS0_18inequality_wrapperIZN2at6native12_GLOBAL__N_124unique_dim_cuda_templateIlEESt5tupleIJNSF_6TensorESK_SK_EERKSK_lbbbEUlllE0_EEPmJS9_EEE10hipError_tPvRmT3_T4_T5_T6_T7_T9_mT8_P12ihipStream_tbDpT10_ENKUlT_T0_E_clISt17integral_constantIbLb0EES1A_EEDaS15_S16_EUlS15_E_NS1_11comp_targetILNS1_3genE5ELNS1_11target_archE942ELNS1_3gpuE9ELNS1_3repE0EEENS1_30default_config_static_selectorELNS0_4arch9wavefront6targetE1EEEvT1_,"axG",@progbits,_ZN7rocprim17ROCPRIM_400000_NS6detail17trampoline_kernelINS0_14default_configENS1_25partition_config_selectorILNS1_17partition_subalgoE9EllbEEZZNS1_14partition_implILS5_9ELb0ES3_jPlS8_PNS0_10empty_typeENS0_5tupleIJS8_S9_EEENSB_IJS8_SA_EEENS0_18inequality_wrapperIZN2at6native12_GLOBAL__N_124unique_dim_cuda_templateIlEESt5tupleIJNSF_6TensorESK_SK_EERKSK_lbbbEUlllE0_EEPmJS9_EEE10hipError_tPvRmT3_T4_T5_T6_T7_T9_mT8_P12ihipStream_tbDpT10_ENKUlT_T0_E_clISt17integral_constantIbLb0EES1A_EEDaS15_S16_EUlS15_E_NS1_11comp_targetILNS1_3genE5ELNS1_11target_archE942ELNS1_3gpuE9ELNS1_3repE0EEENS1_30default_config_static_selectorELNS0_4arch9wavefront6targetE1EEEvT1_,comdat
.Lfunc_end600:
	.size	_ZN7rocprim17ROCPRIM_400000_NS6detail17trampoline_kernelINS0_14default_configENS1_25partition_config_selectorILNS1_17partition_subalgoE9EllbEEZZNS1_14partition_implILS5_9ELb0ES3_jPlS8_PNS0_10empty_typeENS0_5tupleIJS8_S9_EEENSB_IJS8_SA_EEENS0_18inequality_wrapperIZN2at6native12_GLOBAL__N_124unique_dim_cuda_templateIlEESt5tupleIJNSF_6TensorESK_SK_EERKSK_lbbbEUlllE0_EEPmJS9_EEE10hipError_tPvRmT3_T4_T5_T6_T7_T9_mT8_P12ihipStream_tbDpT10_ENKUlT_T0_E_clISt17integral_constantIbLb0EES1A_EEDaS15_S16_EUlS15_E_NS1_11comp_targetILNS1_3genE5ELNS1_11target_archE942ELNS1_3gpuE9ELNS1_3repE0EEENS1_30default_config_static_selectorELNS0_4arch9wavefront6targetE1EEEvT1_, .Lfunc_end600-_ZN7rocprim17ROCPRIM_400000_NS6detail17trampoline_kernelINS0_14default_configENS1_25partition_config_selectorILNS1_17partition_subalgoE9EllbEEZZNS1_14partition_implILS5_9ELb0ES3_jPlS8_PNS0_10empty_typeENS0_5tupleIJS8_S9_EEENSB_IJS8_SA_EEENS0_18inequality_wrapperIZN2at6native12_GLOBAL__N_124unique_dim_cuda_templateIlEESt5tupleIJNSF_6TensorESK_SK_EERKSK_lbbbEUlllE0_EEPmJS9_EEE10hipError_tPvRmT3_T4_T5_T6_T7_T9_mT8_P12ihipStream_tbDpT10_ENKUlT_T0_E_clISt17integral_constantIbLb0EES1A_EEDaS15_S16_EUlS15_E_NS1_11comp_targetILNS1_3genE5ELNS1_11target_archE942ELNS1_3gpuE9ELNS1_3repE0EEENS1_30default_config_static_selectorELNS0_4arch9wavefront6targetE1EEEvT1_
                                        ; -- End function
	.section	.AMDGPU.csdata,"",@progbits
; Kernel info:
; codeLenInByte = 14392
; NumSgprs: 58
; NumVgprs: 66
; NumAgprs: 0
; TotalNumVgprs: 66
; ScratchSize: 0
; MemoryBound: 1
; FloatMode: 240
; IeeeMode: 1
; LDSByteSize: 28684 bytes/workgroup (compile time only)
; SGPRBlocks: 7
; VGPRBlocks: 8
; NumSGPRsForWavesPerEU: 58
; NumVGPRsForWavesPerEU: 66
; AccumOffset: 68
; Occupancy: 4
; WaveLimiterHint : 1
; COMPUTE_PGM_RSRC2:SCRATCH_EN: 0
; COMPUTE_PGM_RSRC2:USER_SGPR: 2
; COMPUTE_PGM_RSRC2:TRAP_HANDLER: 0
; COMPUTE_PGM_RSRC2:TGID_X_EN: 1
; COMPUTE_PGM_RSRC2:TGID_Y_EN: 0
; COMPUTE_PGM_RSRC2:TGID_Z_EN: 0
; COMPUTE_PGM_RSRC2:TIDIG_COMP_CNT: 0
; COMPUTE_PGM_RSRC3_GFX90A:ACCUM_OFFSET: 16
; COMPUTE_PGM_RSRC3_GFX90A:TG_SPLIT: 0
	.section	.text._ZN7rocprim17ROCPRIM_400000_NS6detail17trampoline_kernelINS0_14default_configENS1_25partition_config_selectorILNS1_17partition_subalgoE9EllbEEZZNS1_14partition_implILS5_9ELb0ES3_jPlS8_PNS0_10empty_typeENS0_5tupleIJS8_S9_EEENSB_IJS8_SA_EEENS0_18inequality_wrapperIZN2at6native12_GLOBAL__N_124unique_dim_cuda_templateIlEESt5tupleIJNSF_6TensorESK_SK_EERKSK_lbbbEUlllE0_EEPmJS9_EEE10hipError_tPvRmT3_T4_T5_T6_T7_T9_mT8_P12ihipStream_tbDpT10_ENKUlT_T0_E_clISt17integral_constantIbLb0EES1A_EEDaS15_S16_EUlS15_E_NS1_11comp_targetILNS1_3genE4ELNS1_11target_archE910ELNS1_3gpuE8ELNS1_3repE0EEENS1_30default_config_static_selectorELNS0_4arch9wavefront6targetE1EEEvT1_,"axG",@progbits,_ZN7rocprim17ROCPRIM_400000_NS6detail17trampoline_kernelINS0_14default_configENS1_25partition_config_selectorILNS1_17partition_subalgoE9EllbEEZZNS1_14partition_implILS5_9ELb0ES3_jPlS8_PNS0_10empty_typeENS0_5tupleIJS8_S9_EEENSB_IJS8_SA_EEENS0_18inequality_wrapperIZN2at6native12_GLOBAL__N_124unique_dim_cuda_templateIlEESt5tupleIJNSF_6TensorESK_SK_EERKSK_lbbbEUlllE0_EEPmJS9_EEE10hipError_tPvRmT3_T4_T5_T6_T7_T9_mT8_P12ihipStream_tbDpT10_ENKUlT_T0_E_clISt17integral_constantIbLb0EES1A_EEDaS15_S16_EUlS15_E_NS1_11comp_targetILNS1_3genE4ELNS1_11target_archE910ELNS1_3gpuE8ELNS1_3repE0EEENS1_30default_config_static_selectorELNS0_4arch9wavefront6targetE1EEEvT1_,comdat
	.globl	_ZN7rocprim17ROCPRIM_400000_NS6detail17trampoline_kernelINS0_14default_configENS1_25partition_config_selectorILNS1_17partition_subalgoE9EllbEEZZNS1_14partition_implILS5_9ELb0ES3_jPlS8_PNS0_10empty_typeENS0_5tupleIJS8_S9_EEENSB_IJS8_SA_EEENS0_18inequality_wrapperIZN2at6native12_GLOBAL__N_124unique_dim_cuda_templateIlEESt5tupleIJNSF_6TensorESK_SK_EERKSK_lbbbEUlllE0_EEPmJS9_EEE10hipError_tPvRmT3_T4_T5_T6_T7_T9_mT8_P12ihipStream_tbDpT10_ENKUlT_T0_E_clISt17integral_constantIbLb0EES1A_EEDaS15_S16_EUlS15_E_NS1_11comp_targetILNS1_3genE4ELNS1_11target_archE910ELNS1_3gpuE8ELNS1_3repE0EEENS1_30default_config_static_selectorELNS0_4arch9wavefront6targetE1EEEvT1_ ; -- Begin function _ZN7rocprim17ROCPRIM_400000_NS6detail17trampoline_kernelINS0_14default_configENS1_25partition_config_selectorILNS1_17partition_subalgoE9EllbEEZZNS1_14partition_implILS5_9ELb0ES3_jPlS8_PNS0_10empty_typeENS0_5tupleIJS8_S9_EEENSB_IJS8_SA_EEENS0_18inequality_wrapperIZN2at6native12_GLOBAL__N_124unique_dim_cuda_templateIlEESt5tupleIJNSF_6TensorESK_SK_EERKSK_lbbbEUlllE0_EEPmJS9_EEE10hipError_tPvRmT3_T4_T5_T6_T7_T9_mT8_P12ihipStream_tbDpT10_ENKUlT_T0_E_clISt17integral_constantIbLb0EES1A_EEDaS15_S16_EUlS15_E_NS1_11comp_targetILNS1_3genE4ELNS1_11target_archE910ELNS1_3gpuE8ELNS1_3repE0EEENS1_30default_config_static_selectorELNS0_4arch9wavefront6targetE1EEEvT1_
	.p2align	8
	.type	_ZN7rocprim17ROCPRIM_400000_NS6detail17trampoline_kernelINS0_14default_configENS1_25partition_config_selectorILNS1_17partition_subalgoE9EllbEEZZNS1_14partition_implILS5_9ELb0ES3_jPlS8_PNS0_10empty_typeENS0_5tupleIJS8_S9_EEENSB_IJS8_SA_EEENS0_18inequality_wrapperIZN2at6native12_GLOBAL__N_124unique_dim_cuda_templateIlEESt5tupleIJNSF_6TensorESK_SK_EERKSK_lbbbEUlllE0_EEPmJS9_EEE10hipError_tPvRmT3_T4_T5_T6_T7_T9_mT8_P12ihipStream_tbDpT10_ENKUlT_T0_E_clISt17integral_constantIbLb0EES1A_EEDaS15_S16_EUlS15_E_NS1_11comp_targetILNS1_3genE4ELNS1_11target_archE910ELNS1_3gpuE8ELNS1_3repE0EEENS1_30default_config_static_selectorELNS0_4arch9wavefront6targetE1EEEvT1_,@function
_ZN7rocprim17ROCPRIM_400000_NS6detail17trampoline_kernelINS0_14default_configENS1_25partition_config_selectorILNS1_17partition_subalgoE9EllbEEZZNS1_14partition_implILS5_9ELb0ES3_jPlS8_PNS0_10empty_typeENS0_5tupleIJS8_S9_EEENSB_IJS8_SA_EEENS0_18inequality_wrapperIZN2at6native12_GLOBAL__N_124unique_dim_cuda_templateIlEESt5tupleIJNSF_6TensorESK_SK_EERKSK_lbbbEUlllE0_EEPmJS9_EEE10hipError_tPvRmT3_T4_T5_T6_T7_T9_mT8_P12ihipStream_tbDpT10_ENKUlT_T0_E_clISt17integral_constantIbLb0EES1A_EEDaS15_S16_EUlS15_E_NS1_11comp_targetILNS1_3genE4ELNS1_11target_archE910ELNS1_3gpuE8ELNS1_3repE0EEENS1_30default_config_static_selectorELNS0_4arch9wavefront6targetE1EEEvT1_: ; @_ZN7rocprim17ROCPRIM_400000_NS6detail17trampoline_kernelINS0_14default_configENS1_25partition_config_selectorILNS1_17partition_subalgoE9EllbEEZZNS1_14partition_implILS5_9ELb0ES3_jPlS8_PNS0_10empty_typeENS0_5tupleIJS8_S9_EEENSB_IJS8_SA_EEENS0_18inequality_wrapperIZN2at6native12_GLOBAL__N_124unique_dim_cuda_templateIlEESt5tupleIJNSF_6TensorESK_SK_EERKSK_lbbbEUlllE0_EEPmJS9_EEE10hipError_tPvRmT3_T4_T5_T6_T7_T9_mT8_P12ihipStream_tbDpT10_ENKUlT_T0_E_clISt17integral_constantIbLb0EES1A_EEDaS15_S16_EUlS15_E_NS1_11comp_targetILNS1_3genE4ELNS1_11target_archE910ELNS1_3gpuE8ELNS1_3repE0EEENS1_30default_config_static_selectorELNS0_4arch9wavefront6targetE1EEEvT1_
; %bb.0:
	.section	.rodata,"a",@progbits
	.p2align	6, 0x0
	.amdhsa_kernel _ZN7rocprim17ROCPRIM_400000_NS6detail17trampoline_kernelINS0_14default_configENS1_25partition_config_selectorILNS1_17partition_subalgoE9EllbEEZZNS1_14partition_implILS5_9ELb0ES3_jPlS8_PNS0_10empty_typeENS0_5tupleIJS8_S9_EEENSB_IJS8_SA_EEENS0_18inequality_wrapperIZN2at6native12_GLOBAL__N_124unique_dim_cuda_templateIlEESt5tupleIJNSF_6TensorESK_SK_EERKSK_lbbbEUlllE0_EEPmJS9_EEE10hipError_tPvRmT3_T4_T5_T6_T7_T9_mT8_P12ihipStream_tbDpT10_ENKUlT_T0_E_clISt17integral_constantIbLb0EES1A_EEDaS15_S16_EUlS15_E_NS1_11comp_targetILNS1_3genE4ELNS1_11target_archE910ELNS1_3gpuE8ELNS1_3repE0EEENS1_30default_config_static_selectorELNS0_4arch9wavefront6targetE1EEEvT1_
		.amdhsa_group_segment_fixed_size 0
		.amdhsa_private_segment_fixed_size 0
		.amdhsa_kernarg_size 120
		.amdhsa_user_sgpr_count 2
		.amdhsa_user_sgpr_dispatch_ptr 0
		.amdhsa_user_sgpr_queue_ptr 0
		.amdhsa_user_sgpr_kernarg_segment_ptr 1
		.amdhsa_user_sgpr_dispatch_id 0
		.amdhsa_user_sgpr_kernarg_preload_length 0
		.amdhsa_user_sgpr_kernarg_preload_offset 0
		.amdhsa_user_sgpr_private_segment_size 0
		.amdhsa_uses_dynamic_stack 0
		.amdhsa_enable_private_segment 0
		.amdhsa_system_sgpr_workgroup_id_x 1
		.amdhsa_system_sgpr_workgroup_id_y 0
		.amdhsa_system_sgpr_workgroup_id_z 0
		.amdhsa_system_sgpr_workgroup_info 0
		.amdhsa_system_vgpr_workitem_id 0
		.amdhsa_next_free_vgpr 1
		.amdhsa_next_free_sgpr 0
		.amdhsa_accum_offset 4
		.amdhsa_reserve_vcc 0
		.amdhsa_float_round_mode_32 0
		.amdhsa_float_round_mode_16_64 0
		.amdhsa_float_denorm_mode_32 3
		.amdhsa_float_denorm_mode_16_64 3
		.amdhsa_dx10_clamp 1
		.amdhsa_ieee_mode 1
		.amdhsa_fp16_overflow 0
		.amdhsa_tg_split 0
		.amdhsa_exception_fp_ieee_invalid_op 0
		.amdhsa_exception_fp_denorm_src 0
		.amdhsa_exception_fp_ieee_div_zero 0
		.amdhsa_exception_fp_ieee_overflow 0
		.amdhsa_exception_fp_ieee_underflow 0
		.amdhsa_exception_fp_ieee_inexact 0
		.amdhsa_exception_int_div_zero 0
	.end_amdhsa_kernel
	.section	.text._ZN7rocprim17ROCPRIM_400000_NS6detail17trampoline_kernelINS0_14default_configENS1_25partition_config_selectorILNS1_17partition_subalgoE9EllbEEZZNS1_14partition_implILS5_9ELb0ES3_jPlS8_PNS0_10empty_typeENS0_5tupleIJS8_S9_EEENSB_IJS8_SA_EEENS0_18inequality_wrapperIZN2at6native12_GLOBAL__N_124unique_dim_cuda_templateIlEESt5tupleIJNSF_6TensorESK_SK_EERKSK_lbbbEUlllE0_EEPmJS9_EEE10hipError_tPvRmT3_T4_T5_T6_T7_T9_mT8_P12ihipStream_tbDpT10_ENKUlT_T0_E_clISt17integral_constantIbLb0EES1A_EEDaS15_S16_EUlS15_E_NS1_11comp_targetILNS1_3genE4ELNS1_11target_archE910ELNS1_3gpuE8ELNS1_3repE0EEENS1_30default_config_static_selectorELNS0_4arch9wavefront6targetE1EEEvT1_,"axG",@progbits,_ZN7rocprim17ROCPRIM_400000_NS6detail17trampoline_kernelINS0_14default_configENS1_25partition_config_selectorILNS1_17partition_subalgoE9EllbEEZZNS1_14partition_implILS5_9ELb0ES3_jPlS8_PNS0_10empty_typeENS0_5tupleIJS8_S9_EEENSB_IJS8_SA_EEENS0_18inequality_wrapperIZN2at6native12_GLOBAL__N_124unique_dim_cuda_templateIlEESt5tupleIJNSF_6TensorESK_SK_EERKSK_lbbbEUlllE0_EEPmJS9_EEE10hipError_tPvRmT3_T4_T5_T6_T7_T9_mT8_P12ihipStream_tbDpT10_ENKUlT_T0_E_clISt17integral_constantIbLb0EES1A_EEDaS15_S16_EUlS15_E_NS1_11comp_targetILNS1_3genE4ELNS1_11target_archE910ELNS1_3gpuE8ELNS1_3repE0EEENS1_30default_config_static_selectorELNS0_4arch9wavefront6targetE1EEEvT1_,comdat
.Lfunc_end601:
	.size	_ZN7rocprim17ROCPRIM_400000_NS6detail17trampoline_kernelINS0_14default_configENS1_25partition_config_selectorILNS1_17partition_subalgoE9EllbEEZZNS1_14partition_implILS5_9ELb0ES3_jPlS8_PNS0_10empty_typeENS0_5tupleIJS8_S9_EEENSB_IJS8_SA_EEENS0_18inequality_wrapperIZN2at6native12_GLOBAL__N_124unique_dim_cuda_templateIlEESt5tupleIJNSF_6TensorESK_SK_EERKSK_lbbbEUlllE0_EEPmJS9_EEE10hipError_tPvRmT3_T4_T5_T6_T7_T9_mT8_P12ihipStream_tbDpT10_ENKUlT_T0_E_clISt17integral_constantIbLb0EES1A_EEDaS15_S16_EUlS15_E_NS1_11comp_targetILNS1_3genE4ELNS1_11target_archE910ELNS1_3gpuE8ELNS1_3repE0EEENS1_30default_config_static_selectorELNS0_4arch9wavefront6targetE1EEEvT1_, .Lfunc_end601-_ZN7rocprim17ROCPRIM_400000_NS6detail17trampoline_kernelINS0_14default_configENS1_25partition_config_selectorILNS1_17partition_subalgoE9EllbEEZZNS1_14partition_implILS5_9ELb0ES3_jPlS8_PNS0_10empty_typeENS0_5tupleIJS8_S9_EEENSB_IJS8_SA_EEENS0_18inequality_wrapperIZN2at6native12_GLOBAL__N_124unique_dim_cuda_templateIlEESt5tupleIJNSF_6TensorESK_SK_EERKSK_lbbbEUlllE0_EEPmJS9_EEE10hipError_tPvRmT3_T4_T5_T6_T7_T9_mT8_P12ihipStream_tbDpT10_ENKUlT_T0_E_clISt17integral_constantIbLb0EES1A_EEDaS15_S16_EUlS15_E_NS1_11comp_targetILNS1_3genE4ELNS1_11target_archE910ELNS1_3gpuE8ELNS1_3repE0EEENS1_30default_config_static_selectorELNS0_4arch9wavefront6targetE1EEEvT1_
                                        ; -- End function
	.section	.AMDGPU.csdata,"",@progbits
; Kernel info:
; codeLenInByte = 0
; NumSgprs: 6
; NumVgprs: 0
; NumAgprs: 0
; TotalNumVgprs: 0
; ScratchSize: 0
; MemoryBound: 0
; FloatMode: 240
; IeeeMode: 1
; LDSByteSize: 0 bytes/workgroup (compile time only)
; SGPRBlocks: 0
; VGPRBlocks: 0
; NumSGPRsForWavesPerEU: 6
; NumVGPRsForWavesPerEU: 1
; AccumOffset: 4
; Occupancy: 8
; WaveLimiterHint : 0
; COMPUTE_PGM_RSRC2:SCRATCH_EN: 0
; COMPUTE_PGM_RSRC2:USER_SGPR: 2
; COMPUTE_PGM_RSRC2:TRAP_HANDLER: 0
; COMPUTE_PGM_RSRC2:TGID_X_EN: 1
; COMPUTE_PGM_RSRC2:TGID_Y_EN: 0
; COMPUTE_PGM_RSRC2:TGID_Z_EN: 0
; COMPUTE_PGM_RSRC2:TIDIG_COMP_CNT: 0
; COMPUTE_PGM_RSRC3_GFX90A:ACCUM_OFFSET: 0
; COMPUTE_PGM_RSRC3_GFX90A:TG_SPLIT: 0
	.section	.text._ZN7rocprim17ROCPRIM_400000_NS6detail17trampoline_kernelINS0_14default_configENS1_25partition_config_selectorILNS1_17partition_subalgoE9EllbEEZZNS1_14partition_implILS5_9ELb0ES3_jPlS8_PNS0_10empty_typeENS0_5tupleIJS8_S9_EEENSB_IJS8_SA_EEENS0_18inequality_wrapperIZN2at6native12_GLOBAL__N_124unique_dim_cuda_templateIlEESt5tupleIJNSF_6TensorESK_SK_EERKSK_lbbbEUlllE0_EEPmJS9_EEE10hipError_tPvRmT3_T4_T5_T6_T7_T9_mT8_P12ihipStream_tbDpT10_ENKUlT_T0_E_clISt17integral_constantIbLb0EES1A_EEDaS15_S16_EUlS15_E_NS1_11comp_targetILNS1_3genE3ELNS1_11target_archE908ELNS1_3gpuE7ELNS1_3repE0EEENS1_30default_config_static_selectorELNS0_4arch9wavefront6targetE1EEEvT1_,"axG",@progbits,_ZN7rocprim17ROCPRIM_400000_NS6detail17trampoline_kernelINS0_14default_configENS1_25partition_config_selectorILNS1_17partition_subalgoE9EllbEEZZNS1_14partition_implILS5_9ELb0ES3_jPlS8_PNS0_10empty_typeENS0_5tupleIJS8_S9_EEENSB_IJS8_SA_EEENS0_18inequality_wrapperIZN2at6native12_GLOBAL__N_124unique_dim_cuda_templateIlEESt5tupleIJNSF_6TensorESK_SK_EERKSK_lbbbEUlllE0_EEPmJS9_EEE10hipError_tPvRmT3_T4_T5_T6_T7_T9_mT8_P12ihipStream_tbDpT10_ENKUlT_T0_E_clISt17integral_constantIbLb0EES1A_EEDaS15_S16_EUlS15_E_NS1_11comp_targetILNS1_3genE3ELNS1_11target_archE908ELNS1_3gpuE7ELNS1_3repE0EEENS1_30default_config_static_selectorELNS0_4arch9wavefront6targetE1EEEvT1_,comdat
	.globl	_ZN7rocprim17ROCPRIM_400000_NS6detail17trampoline_kernelINS0_14default_configENS1_25partition_config_selectorILNS1_17partition_subalgoE9EllbEEZZNS1_14partition_implILS5_9ELb0ES3_jPlS8_PNS0_10empty_typeENS0_5tupleIJS8_S9_EEENSB_IJS8_SA_EEENS0_18inequality_wrapperIZN2at6native12_GLOBAL__N_124unique_dim_cuda_templateIlEESt5tupleIJNSF_6TensorESK_SK_EERKSK_lbbbEUlllE0_EEPmJS9_EEE10hipError_tPvRmT3_T4_T5_T6_T7_T9_mT8_P12ihipStream_tbDpT10_ENKUlT_T0_E_clISt17integral_constantIbLb0EES1A_EEDaS15_S16_EUlS15_E_NS1_11comp_targetILNS1_3genE3ELNS1_11target_archE908ELNS1_3gpuE7ELNS1_3repE0EEENS1_30default_config_static_selectorELNS0_4arch9wavefront6targetE1EEEvT1_ ; -- Begin function _ZN7rocprim17ROCPRIM_400000_NS6detail17trampoline_kernelINS0_14default_configENS1_25partition_config_selectorILNS1_17partition_subalgoE9EllbEEZZNS1_14partition_implILS5_9ELb0ES3_jPlS8_PNS0_10empty_typeENS0_5tupleIJS8_S9_EEENSB_IJS8_SA_EEENS0_18inequality_wrapperIZN2at6native12_GLOBAL__N_124unique_dim_cuda_templateIlEESt5tupleIJNSF_6TensorESK_SK_EERKSK_lbbbEUlllE0_EEPmJS9_EEE10hipError_tPvRmT3_T4_T5_T6_T7_T9_mT8_P12ihipStream_tbDpT10_ENKUlT_T0_E_clISt17integral_constantIbLb0EES1A_EEDaS15_S16_EUlS15_E_NS1_11comp_targetILNS1_3genE3ELNS1_11target_archE908ELNS1_3gpuE7ELNS1_3repE0EEENS1_30default_config_static_selectorELNS0_4arch9wavefront6targetE1EEEvT1_
	.p2align	8
	.type	_ZN7rocprim17ROCPRIM_400000_NS6detail17trampoline_kernelINS0_14default_configENS1_25partition_config_selectorILNS1_17partition_subalgoE9EllbEEZZNS1_14partition_implILS5_9ELb0ES3_jPlS8_PNS0_10empty_typeENS0_5tupleIJS8_S9_EEENSB_IJS8_SA_EEENS0_18inequality_wrapperIZN2at6native12_GLOBAL__N_124unique_dim_cuda_templateIlEESt5tupleIJNSF_6TensorESK_SK_EERKSK_lbbbEUlllE0_EEPmJS9_EEE10hipError_tPvRmT3_T4_T5_T6_T7_T9_mT8_P12ihipStream_tbDpT10_ENKUlT_T0_E_clISt17integral_constantIbLb0EES1A_EEDaS15_S16_EUlS15_E_NS1_11comp_targetILNS1_3genE3ELNS1_11target_archE908ELNS1_3gpuE7ELNS1_3repE0EEENS1_30default_config_static_selectorELNS0_4arch9wavefront6targetE1EEEvT1_,@function
_ZN7rocprim17ROCPRIM_400000_NS6detail17trampoline_kernelINS0_14default_configENS1_25partition_config_selectorILNS1_17partition_subalgoE9EllbEEZZNS1_14partition_implILS5_9ELb0ES3_jPlS8_PNS0_10empty_typeENS0_5tupleIJS8_S9_EEENSB_IJS8_SA_EEENS0_18inequality_wrapperIZN2at6native12_GLOBAL__N_124unique_dim_cuda_templateIlEESt5tupleIJNSF_6TensorESK_SK_EERKSK_lbbbEUlllE0_EEPmJS9_EEE10hipError_tPvRmT3_T4_T5_T6_T7_T9_mT8_P12ihipStream_tbDpT10_ENKUlT_T0_E_clISt17integral_constantIbLb0EES1A_EEDaS15_S16_EUlS15_E_NS1_11comp_targetILNS1_3genE3ELNS1_11target_archE908ELNS1_3gpuE7ELNS1_3repE0EEENS1_30default_config_static_selectorELNS0_4arch9wavefront6targetE1EEEvT1_: ; @_ZN7rocprim17ROCPRIM_400000_NS6detail17trampoline_kernelINS0_14default_configENS1_25partition_config_selectorILNS1_17partition_subalgoE9EllbEEZZNS1_14partition_implILS5_9ELb0ES3_jPlS8_PNS0_10empty_typeENS0_5tupleIJS8_S9_EEENSB_IJS8_SA_EEENS0_18inequality_wrapperIZN2at6native12_GLOBAL__N_124unique_dim_cuda_templateIlEESt5tupleIJNSF_6TensorESK_SK_EERKSK_lbbbEUlllE0_EEPmJS9_EEE10hipError_tPvRmT3_T4_T5_T6_T7_T9_mT8_P12ihipStream_tbDpT10_ENKUlT_T0_E_clISt17integral_constantIbLb0EES1A_EEDaS15_S16_EUlS15_E_NS1_11comp_targetILNS1_3genE3ELNS1_11target_archE908ELNS1_3gpuE7ELNS1_3repE0EEENS1_30default_config_static_selectorELNS0_4arch9wavefront6targetE1EEEvT1_
; %bb.0:
	.section	.rodata,"a",@progbits
	.p2align	6, 0x0
	.amdhsa_kernel _ZN7rocprim17ROCPRIM_400000_NS6detail17trampoline_kernelINS0_14default_configENS1_25partition_config_selectorILNS1_17partition_subalgoE9EllbEEZZNS1_14partition_implILS5_9ELb0ES3_jPlS8_PNS0_10empty_typeENS0_5tupleIJS8_S9_EEENSB_IJS8_SA_EEENS0_18inequality_wrapperIZN2at6native12_GLOBAL__N_124unique_dim_cuda_templateIlEESt5tupleIJNSF_6TensorESK_SK_EERKSK_lbbbEUlllE0_EEPmJS9_EEE10hipError_tPvRmT3_T4_T5_T6_T7_T9_mT8_P12ihipStream_tbDpT10_ENKUlT_T0_E_clISt17integral_constantIbLb0EES1A_EEDaS15_S16_EUlS15_E_NS1_11comp_targetILNS1_3genE3ELNS1_11target_archE908ELNS1_3gpuE7ELNS1_3repE0EEENS1_30default_config_static_selectorELNS0_4arch9wavefront6targetE1EEEvT1_
		.amdhsa_group_segment_fixed_size 0
		.amdhsa_private_segment_fixed_size 0
		.amdhsa_kernarg_size 120
		.amdhsa_user_sgpr_count 2
		.amdhsa_user_sgpr_dispatch_ptr 0
		.amdhsa_user_sgpr_queue_ptr 0
		.amdhsa_user_sgpr_kernarg_segment_ptr 1
		.amdhsa_user_sgpr_dispatch_id 0
		.amdhsa_user_sgpr_kernarg_preload_length 0
		.amdhsa_user_sgpr_kernarg_preload_offset 0
		.amdhsa_user_sgpr_private_segment_size 0
		.amdhsa_uses_dynamic_stack 0
		.amdhsa_enable_private_segment 0
		.amdhsa_system_sgpr_workgroup_id_x 1
		.amdhsa_system_sgpr_workgroup_id_y 0
		.amdhsa_system_sgpr_workgroup_id_z 0
		.amdhsa_system_sgpr_workgroup_info 0
		.amdhsa_system_vgpr_workitem_id 0
		.amdhsa_next_free_vgpr 1
		.amdhsa_next_free_sgpr 0
		.amdhsa_accum_offset 4
		.amdhsa_reserve_vcc 0
		.amdhsa_float_round_mode_32 0
		.amdhsa_float_round_mode_16_64 0
		.amdhsa_float_denorm_mode_32 3
		.amdhsa_float_denorm_mode_16_64 3
		.amdhsa_dx10_clamp 1
		.amdhsa_ieee_mode 1
		.amdhsa_fp16_overflow 0
		.amdhsa_tg_split 0
		.amdhsa_exception_fp_ieee_invalid_op 0
		.amdhsa_exception_fp_denorm_src 0
		.amdhsa_exception_fp_ieee_div_zero 0
		.amdhsa_exception_fp_ieee_overflow 0
		.amdhsa_exception_fp_ieee_underflow 0
		.amdhsa_exception_fp_ieee_inexact 0
		.amdhsa_exception_int_div_zero 0
	.end_amdhsa_kernel
	.section	.text._ZN7rocprim17ROCPRIM_400000_NS6detail17trampoline_kernelINS0_14default_configENS1_25partition_config_selectorILNS1_17partition_subalgoE9EllbEEZZNS1_14partition_implILS5_9ELb0ES3_jPlS8_PNS0_10empty_typeENS0_5tupleIJS8_S9_EEENSB_IJS8_SA_EEENS0_18inequality_wrapperIZN2at6native12_GLOBAL__N_124unique_dim_cuda_templateIlEESt5tupleIJNSF_6TensorESK_SK_EERKSK_lbbbEUlllE0_EEPmJS9_EEE10hipError_tPvRmT3_T4_T5_T6_T7_T9_mT8_P12ihipStream_tbDpT10_ENKUlT_T0_E_clISt17integral_constantIbLb0EES1A_EEDaS15_S16_EUlS15_E_NS1_11comp_targetILNS1_3genE3ELNS1_11target_archE908ELNS1_3gpuE7ELNS1_3repE0EEENS1_30default_config_static_selectorELNS0_4arch9wavefront6targetE1EEEvT1_,"axG",@progbits,_ZN7rocprim17ROCPRIM_400000_NS6detail17trampoline_kernelINS0_14default_configENS1_25partition_config_selectorILNS1_17partition_subalgoE9EllbEEZZNS1_14partition_implILS5_9ELb0ES3_jPlS8_PNS0_10empty_typeENS0_5tupleIJS8_S9_EEENSB_IJS8_SA_EEENS0_18inequality_wrapperIZN2at6native12_GLOBAL__N_124unique_dim_cuda_templateIlEESt5tupleIJNSF_6TensorESK_SK_EERKSK_lbbbEUlllE0_EEPmJS9_EEE10hipError_tPvRmT3_T4_T5_T6_T7_T9_mT8_P12ihipStream_tbDpT10_ENKUlT_T0_E_clISt17integral_constantIbLb0EES1A_EEDaS15_S16_EUlS15_E_NS1_11comp_targetILNS1_3genE3ELNS1_11target_archE908ELNS1_3gpuE7ELNS1_3repE0EEENS1_30default_config_static_selectorELNS0_4arch9wavefront6targetE1EEEvT1_,comdat
.Lfunc_end602:
	.size	_ZN7rocprim17ROCPRIM_400000_NS6detail17trampoline_kernelINS0_14default_configENS1_25partition_config_selectorILNS1_17partition_subalgoE9EllbEEZZNS1_14partition_implILS5_9ELb0ES3_jPlS8_PNS0_10empty_typeENS0_5tupleIJS8_S9_EEENSB_IJS8_SA_EEENS0_18inequality_wrapperIZN2at6native12_GLOBAL__N_124unique_dim_cuda_templateIlEESt5tupleIJNSF_6TensorESK_SK_EERKSK_lbbbEUlllE0_EEPmJS9_EEE10hipError_tPvRmT3_T4_T5_T6_T7_T9_mT8_P12ihipStream_tbDpT10_ENKUlT_T0_E_clISt17integral_constantIbLb0EES1A_EEDaS15_S16_EUlS15_E_NS1_11comp_targetILNS1_3genE3ELNS1_11target_archE908ELNS1_3gpuE7ELNS1_3repE0EEENS1_30default_config_static_selectorELNS0_4arch9wavefront6targetE1EEEvT1_, .Lfunc_end602-_ZN7rocprim17ROCPRIM_400000_NS6detail17trampoline_kernelINS0_14default_configENS1_25partition_config_selectorILNS1_17partition_subalgoE9EllbEEZZNS1_14partition_implILS5_9ELb0ES3_jPlS8_PNS0_10empty_typeENS0_5tupleIJS8_S9_EEENSB_IJS8_SA_EEENS0_18inequality_wrapperIZN2at6native12_GLOBAL__N_124unique_dim_cuda_templateIlEESt5tupleIJNSF_6TensorESK_SK_EERKSK_lbbbEUlllE0_EEPmJS9_EEE10hipError_tPvRmT3_T4_T5_T6_T7_T9_mT8_P12ihipStream_tbDpT10_ENKUlT_T0_E_clISt17integral_constantIbLb0EES1A_EEDaS15_S16_EUlS15_E_NS1_11comp_targetILNS1_3genE3ELNS1_11target_archE908ELNS1_3gpuE7ELNS1_3repE0EEENS1_30default_config_static_selectorELNS0_4arch9wavefront6targetE1EEEvT1_
                                        ; -- End function
	.section	.AMDGPU.csdata,"",@progbits
; Kernel info:
; codeLenInByte = 0
; NumSgprs: 6
; NumVgprs: 0
; NumAgprs: 0
; TotalNumVgprs: 0
; ScratchSize: 0
; MemoryBound: 0
; FloatMode: 240
; IeeeMode: 1
; LDSByteSize: 0 bytes/workgroup (compile time only)
; SGPRBlocks: 0
; VGPRBlocks: 0
; NumSGPRsForWavesPerEU: 6
; NumVGPRsForWavesPerEU: 1
; AccumOffset: 4
; Occupancy: 8
; WaveLimiterHint : 0
; COMPUTE_PGM_RSRC2:SCRATCH_EN: 0
; COMPUTE_PGM_RSRC2:USER_SGPR: 2
; COMPUTE_PGM_RSRC2:TRAP_HANDLER: 0
; COMPUTE_PGM_RSRC2:TGID_X_EN: 1
; COMPUTE_PGM_RSRC2:TGID_Y_EN: 0
; COMPUTE_PGM_RSRC2:TGID_Z_EN: 0
; COMPUTE_PGM_RSRC2:TIDIG_COMP_CNT: 0
; COMPUTE_PGM_RSRC3_GFX90A:ACCUM_OFFSET: 0
; COMPUTE_PGM_RSRC3_GFX90A:TG_SPLIT: 0
	.section	.text._ZN7rocprim17ROCPRIM_400000_NS6detail17trampoline_kernelINS0_14default_configENS1_25partition_config_selectorILNS1_17partition_subalgoE9EllbEEZZNS1_14partition_implILS5_9ELb0ES3_jPlS8_PNS0_10empty_typeENS0_5tupleIJS8_S9_EEENSB_IJS8_SA_EEENS0_18inequality_wrapperIZN2at6native12_GLOBAL__N_124unique_dim_cuda_templateIlEESt5tupleIJNSF_6TensorESK_SK_EERKSK_lbbbEUlllE0_EEPmJS9_EEE10hipError_tPvRmT3_T4_T5_T6_T7_T9_mT8_P12ihipStream_tbDpT10_ENKUlT_T0_E_clISt17integral_constantIbLb0EES1A_EEDaS15_S16_EUlS15_E_NS1_11comp_targetILNS1_3genE2ELNS1_11target_archE906ELNS1_3gpuE6ELNS1_3repE0EEENS1_30default_config_static_selectorELNS0_4arch9wavefront6targetE1EEEvT1_,"axG",@progbits,_ZN7rocprim17ROCPRIM_400000_NS6detail17trampoline_kernelINS0_14default_configENS1_25partition_config_selectorILNS1_17partition_subalgoE9EllbEEZZNS1_14partition_implILS5_9ELb0ES3_jPlS8_PNS0_10empty_typeENS0_5tupleIJS8_S9_EEENSB_IJS8_SA_EEENS0_18inequality_wrapperIZN2at6native12_GLOBAL__N_124unique_dim_cuda_templateIlEESt5tupleIJNSF_6TensorESK_SK_EERKSK_lbbbEUlllE0_EEPmJS9_EEE10hipError_tPvRmT3_T4_T5_T6_T7_T9_mT8_P12ihipStream_tbDpT10_ENKUlT_T0_E_clISt17integral_constantIbLb0EES1A_EEDaS15_S16_EUlS15_E_NS1_11comp_targetILNS1_3genE2ELNS1_11target_archE906ELNS1_3gpuE6ELNS1_3repE0EEENS1_30default_config_static_selectorELNS0_4arch9wavefront6targetE1EEEvT1_,comdat
	.globl	_ZN7rocprim17ROCPRIM_400000_NS6detail17trampoline_kernelINS0_14default_configENS1_25partition_config_selectorILNS1_17partition_subalgoE9EllbEEZZNS1_14partition_implILS5_9ELb0ES3_jPlS8_PNS0_10empty_typeENS0_5tupleIJS8_S9_EEENSB_IJS8_SA_EEENS0_18inequality_wrapperIZN2at6native12_GLOBAL__N_124unique_dim_cuda_templateIlEESt5tupleIJNSF_6TensorESK_SK_EERKSK_lbbbEUlllE0_EEPmJS9_EEE10hipError_tPvRmT3_T4_T5_T6_T7_T9_mT8_P12ihipStream_tbDpT10_ENKUlT_T0_E_clISt17integral_constantIbLb0EES1A_EEDaS15_S16_EUlS15_E_NS1_11comp_targetILNS1_3genE2ELNS1_11target_archE906ELNS1_3gpuE6ELNS1_3repE0EEENS1_30default_config_static_selectorELNS0_4arch9wavefront6targetE1EEEvT1_ ; -- Begin function _ZN7rocprim17ROCPRIM_400000_NS6detail17trampoline_kernelINS0_14default_configENS1_25partition_config_selectorILNS1_17partition_subalgoE9EllbEEZZNS1_14partition_implILS5_9ELb0ES3_jPlS8_PNS0_10empty_typeENS0_5tupleIJS8_S9_EEENSB_IJS8_SA_EEENS0_18inequality_wrapperIZN2at6native12_GLOBAL__N_124unique_dim_cuda_templateIlEESt5tupleIJNSF_6TensorESK_SK_EERKSK_lbbbEUlllE0_EEPmJS9_EEE10hipError_tPvRmT3_T4_T5_T6_T7_T9_mT8_P12ihipStream_tbDpT10_ENKUlT_T0_E_clISt17integral_constantIbLb0EES1A_EEDaS15_S16_EUlS15_E_NS1_11comp_targetILNS1_3genE2ELNS1_11target_archE906ELNS1_3gpuE6ELNS1_3repE0EEENS1_30default_config_static_selectorELNS0_4arch9wavefront6targetE1EEEvT1_
	.p2align	8
	.type	_ZN7rocprim17ROCPRIM_400000_NS6detail17trampoline_kernelINS0_14default_configENS1_25partition_config_selectorILNS1_17partition_subalgoE9EllbEEZZNS1_14partition_implILS5_9ELb0ES3_jPlS8_PNS0_10empty_typeENS0_5tupleIJS8_S9_EEENSB_IJS8_SA_EEENS0_18inequality_wrapperIZN2at6native12_GLOBAL__N_124unique_dim_cuda_templateIlEESt5tupleIJNSF_6TensorESK_SK_EERKSK_lbbbEUlllE0_EEPmJS9_EEE10hipError_tPvRmT3_T4_T5_T6_T7_T9_mT8_P12ihipStream_tbDpT10_ENKUlT_T0_E_clISt17integral_constantIbLb0EES1A_EEDaS15_S16_EUlS15_E_NS1_11comp_targetILNS1_3genE2ELNS1_11target_archE906ELNS1_3gpuE6ELNS1_3repE0EEENS1_30default_config_static_selectorELNS0_4arch9wavefront6targetE1EEEvT1_,@function
_ZN7rocprim17ROCPRIM_400000_NS6detail17trampoline_kernelINS0_14default_configENS1_25partition_config_selectorILNS1_17partition_subalgoE9EllbEEZZNS1_14partition_implILS5_9ELb0ES3_jPlS8_PNS0_10empty_typeENS0_5tupleIJS8_S9_EEENSB_IJS8_SA_EEENS0_18inequality_wrapperIZN2at6native12_GLOBAL__N_124unique_dim_cuda_templateIlEESt5tupleIJNSF_6TensorESK_SK_EERKSK_lbbbEUlllE0_EEPmJS9_EEE10hipError_tPvRmT3_T4_T5_T6_T7_T9_mT8_P12ihipStream_tbDpT10_ENKUlT_T0_E_clISt17integral_constantIbLb0EES1A_EEDaS15_S16_EUlS15_E_NS1_11comp_targetILNS1_3genE2ELNS1_11target_archE906ELNS1_3gpuE6ELNS1_3repE0EEENS1_30default_config_static_selectorELNS0_4arch9wavefront6targetE1EEEvT1_: ; @_ZN7rocprim17ROCPRIM_400000_NS6detail17trampoline_kernelINS0_14default_configENS1_25partition_config_selectorILNS1_17partition_subalgoE9EllbEEZZNS1_14partition_implILS5_9ELb0ES3_jPlS8_PNS0_10empty_typeENS0_5tupleIJS8_S9_EEENSB_IJS8_SA_EEENS0_18inequality_wrapperIZN2at6native12_GLOBAL__N_124unique_dim_cuda_templateIlEESt5tupleIJNSF_6TensorESK_SK_EERKSK_lbbbEUlllE0_EEPmJS9_EEE10hipError_tPvRmT3_T4_T5_T6_T7_T9_mT8_P12ihipStream_tbDpT10_ENKUlT_T0_E_clISt17integral_constantIbLb0EES1A_EEDaS15_S16_EUlS15_E_NS1_11comp_targetILNS1_3genE2ELNS1_11target_archE906ELNS1_3gpuE6ELNS1_3repE0EEENS1_30default_config_static_selectorELNS0_4arch9wavefront6targetE1EEEvT1_
; %bb.0:
	.section	.rodata,"a",@progbits
	.p2align	6, 0x0
	.amdhsa_kernel _ZN7rocprim17ROCPRIM_400000_NS6detail17trampoline_kernelINS0_14default_configENS1_25partition_config_selectorILNS1_17partition_subalgoE9EllbEEZZNS1_14partition_implILS5_9ELb0ES3_jPlS8_PNS0_10empty_typeENS0_5tupleIJS8_S9_EEENSB_IJS8_SA_EEENS0_18inequality_wrapperIZN2at6native12_GLOBAL__N_124unique_dim_cuda_templateIlEESt5tupleIJNSF_6TensorESK_SK_EERKSK_lbbbEUlllE0_EEPmJS9_EEE10hipError_tPvRmT3_T4_T5_T6_T7_T9_mT8_P12ihipStream_tbDpT10_ENKUlT_T0_E_clISt17integral_constantIbLb0EES1A_EEDaS15_S16_EUlS15_E_NS1_11comp_targetILNS1_3genE2ELNS1_11target_archE906ELNS1_3gpuE6ELNS1_3repE0EEENS1_30default_config_static_selectorELNS0_4arch9wavefront6targetE1EEEvT1_
		.amdhsa_group_segment_fixed_size 0
		.amdhsa_private_segment_fixed_size 0
		.amdhsa_kernarg_size 120
		.amdhsa_user_sgpr_count 2
		.amdhsa_user_sgpr_dispatch_ptr 0
		.amdhsa_user_sgpr_queue_ptr 0
		.amdhsa_user_sgpr_kernarg_segment_ptr 1
		.amdhsa_user_sgpr_dispatch_id 0
		.amdhsa_user_sgpr_kernarg_preload_length 0
		.amdhsa_user_sgpr_kernarg_preload_offset 0
		.amdhsa_user_sgpr_private_segment_size 0
		.amdhsa_uses_dynamic_stack 0
		.amdhsa_enable_private_segment 0
		.amdhsa_system_sgpr_workgroup_id_x 1
		.amdhsa_system_sgpr_workgroup_id_y 0
		.amdhsa_system_sgpr_workgroup_id_z 0
		.amdhsa_system_sgpr_workgroup_info 0
		.amdhsa_system_vgpr_workitem_id 0
		.amdhsa_next_free_vgpr 1
		.amdhsa_next_free_sgpr 0
		.amdhsa_accum_offset 4
		.amdhsa_reserve_vcc 0
		.amdhsa_float_round_mode_32 0
		.amdhsa_float_round_mode_16_64 0
		.amdhsa_float_denorm_mode_32 3
		.amdhsa_float_denorm_mode_16_64 3
		.amdhsa_dx10_clamp 1
		.amdhsa_ieee_mode 1
		.amdhsa_fp16_overflow 0
		.amdhsa_tg_split 0
		.amdhsa_exception_fp_ieee_invalid_op 0
		.amdhsa_exception_fp_denorm_src 0
		.amdhsa_exception_fp_ieee_div_zero 0
		.amdhsa_exception_fp_ieee_overflow 0
		.amdhsa_exception_fp_ieee_underflow 0
		.amdhsa_exception_fp_ieee_inexact 0
		.amdhsa_exception_int_div_zero 0
	.end_amdhsa_kernel
	.section	.text._ZN7rocprim17ROCPRIM_400000_NS6detail17trampoline_kernelINS0_14default_configENS1_25partition_config_selectorILNS1_17partition_subalgoE9EllbEEZZNS1_14partition_implILS5_9ELb0ES3_jPlS8_PNS0_10empty_typeENS0_5tupleIJS8_S9_EEENSB_IJS8_SA_EEENS0_18inequality_wrapperIZN2at6native12_GLOBAL__N_124unique_dim_cuda_templateIlEESt5tupleIJNSF_6TensorESK_SK_EERKSK_lbbbEUlllE0_EEPmJS9_EEE10hipError_tPvRmT3_T4_T5_T6_T7_T9_mT8_P12ihipStream_tbDpT10_ENKUlT_T0_E_clISt17integral_constantIbLb0EES1A_EEDaS15_S16_EUlS15_E_NS1_11comp_targetILNS1_3genE2ELNS1_11target_archE906ELNS1_3gpuE6ELNS1_3repE0EEENS1_30default_config_static_selectorELNS0_4arch9wavefront6targetE1EEEvT1_,"axG",@progbits,_ZN7rocprim17ROCPRIM_400000_NS6detail17trampoline_kernelINS0_14default_configENS1_25partition_config_selectorILNS1_17partition_subalgoE9EllbEEZZNS1_14partition_implILS5_9ELb0ES3_jPlS8_PNS0_10empty_typeENS0_5tupleIJS8_S9_EEENSB_IJS8_SA_EEENS0_18inequality_wrapperIZN2at6native12_GLOBAL__N_124unique_dim_cuda_templateIlEESt5tupleIJNSF_6TensorESK_SK_EERKSK_lbbbEUlllE0_EEPmJS9_EEE10hipError_tPvRmT3_T4_T5_T6_T7_T9_mT8_P12ihipStream_tbDpT10_ENKUlT_T0_E_clISt17integral_constantIbLb0EES1A_EEDaS15_S16_EUlS15_E_NS1_11comp_targetILNS1_3genE2ELNS1_11target_archE906ELNS1_3gpuE6ELNS1_3repE0EEENS1_30default_config_static_selectorELNS0_4arch9wavefront6targetE1EEEvT1_,comdat
.Lfunc_end603:
	.size	_ZN7rocprim17ROCPRIM_400000_NS6detail17trampoline_kernelINS0_14default_configENS1_25partition_config_selectorILNS1_17partition_subalgoE9EllbEEZZNS1_14partition_implILS5_9ELb0ES3_jPlS8_PNS0_10empty_typeENS0_5tupleIJS8_S9_EEENSB_IJS8_SA_EEENS0_18inequality_wrapperIZN2at6native12_GLOBAL__N_124unique_dim_cuda_templateIlEESt5tupleIJNSF_6TensorESK_SK_EERKSK_lbbbEUlllE0_EEPmJS9_EEE10hipError_tPvRmT3_T4_T5_T6_T7_T9_mT8_P12ihipStream_tbDpT10_ENKUlT_T0_E_clISt17integral_constantIbLb0EES1A_EEDaS15_S16_EUlS15_E_NS1_11comp_targetILNS1_3genE2ELNS1_11target_archE906ELNS1_3gpuE6ELNS1_3repE0EEENS1_30default_config_static_selectorELNS0_4arch9wavefront6targetE1EEEvT1_, .Lfunc_end603-_ZN7rocprim17ROCPRIM_400000_NS6detail17trampoline_kernelINS0_14default_configENS1_25partition_config_selectorILNS1_17partition_subalgoE9EllbEEZZNS1_14partition_implILS5_9ELb0ES3_jPlS8_PNS0_10empty_typeENS0_5tupleIJS8_S9_EEENSB_IJS8_SA_EEENS0_18inequality_wrapperIZN2at6native12_GLOBAL__N_124unique_dim_cuda_templateIlEESt5tupleIJNSF_6TensorESK_SK_EERKSK_lbbbEUlllE0_EEPmJS9_EEE10hipError_tPvRmT3_T4_T5_T6_T7_T9_mT8_P12ihipStream_tbDpT10_ENKUlT_T0_E_clISt17integral_constantIbLb0EES1A_EEDaS15_S16_EUlS15_E_NS1_11comp_targetILNS1_3genE2ELNS1_11target_archE906ELNS1_3gpuE6ELNS1_3repE0EEENS1_30default_config_static_selectorELNS0_4arch9wavefront6targetE1EEEvT1_
                                        ; -- End function
	.section	.AMDGPU.csdata,"",@progbits
; Kernel info:
; codeLenInByte = 0
; NumSgprs: 6
; NumVgprs: 0
; NumAgprs: 0
; TotalNumVgprs: 0
; ScratchSize: 0
; MemoryBound: 0
; FloatMode: 240
; IeeeMode: 1
; LDSByteSize: 0 bytes/workgroup (compile time only)
; SGPRBlocks: 0
; VGPRBlocks: 0
; NumSGPRsForWavesPerEU: 6
; NumVGPRsForWavesPerEU: 1
; AccumOffset: 4
; Occupancy: 8
; WaveLimiterHint : 0
; COMPUTE_PGM_RSRC2:SCRATCH_EN: 0
; COMPUTE_PGM_RSRC2:USER_SGPR: 2
; COMPUTE_PGM_RSRC2:TRAP_HANDLER: 0
; COMPUTE_PGM_RSRC2:TGID_X_EN: 1
; COMPUTE_PGM_RSRC2:TGID_Y_EN: 0
; COMPUTE_PGM_RSRC2:TGID_Z_EN: 0
; COMPUTE_PGM_RSRC2:TIDIG_COMP_CNT: 0
; COMPUTE_PGM_RSRC3_GFX90A:ACCUM_OFFSET: 0
; COMPUTE_PGM_RSRC3_GFX90A:TG_SPLIT: 0
	.section	.text._ZN7rocprim17ROCPRIM_400000_NS6detail17trampoline_kernelINS0_14default_configENS1_25partition_config_selectorILNS1_17partition_subalgoE9EllbEEZZNS1_14partition_implILS5_9ELb0ES3_jPlS8_PNS0_10empty_typeENS0_5tupleIJS8_S9_EEENSB_IJS8_SA_EEENS0_18inequality_wrapperIZN2at6native12_GLOBAL__N_124unique_dim_cuda_templateIlEESt5tupleIJNSF_6TensorESK_SK_EERKSK_lbbbEUlllE0_EEPmJS9_EEE10hipError_tPvRmT3_T4_T5_T6_T7_T9_mT8_P12ihipStream_tbDpT10_ENKUlT_T0_E_clISt17integral_constantIbLb0EES1A_EEDaS15_S16_EUlS15_E_NS1_11comp_targetILNS1_3genE10ELNS1_11target_archE1200ELNS1_3gpuE4ELNS1_3repE0EEENS1_30default_config_static_selectorELNS0_4arch9wavefront6targetE1EEEvT1_,"axG",@progbits,_ZN7rocprim17ROCPRIM_400000_NS6detail17trampoline_kernelINS0_14default_configENS1_25partition_config_selectorILNS1_17partition_subalgoE9EllbEEZZNS1_14partition_implILS5_9ELb0ES3_jPlS8_PNS0_10empty_typeENS0_5tupleIJS8_S9_EEENSB_IJS8_SA_EEENS0_18inequality_wrapperIZN2at6native12_GLOBAL__N_124unique_dim_cuda_templateIlEESt5tupleIJNSF_6TensorESK_SK_EERKSK_lbbbEUlllE0_EEPmJS9_EEE10hipError_tPvRmT3_T4_T5_T6_T7_T9_mT8_P12ihipStream_tbDpT10_ENKUlT_T0_E_clISt17integral_constantIbLb0EES1A_EEDaS15_S16_EUlS15_E_NS1_11comp_targetILNS1_3genE10ELNS1_11target_archE1200ELNS1_3gpuE4ELNS1_3repE0EEENS1_30default_config_static_selectorELNS0_4arch9wavefront6targetE1EEEvT1_,comdat
	.globl	_ZN7rocprim17ROCPRIM_400000_NS6detail17trampoline_kernelINS0_14default_configENS1_25partition_config_selectorILNS1_17partition_subalgoE9EllbEEZZNS1_14partition_implILS5_9ELb0ES3_jPlS8_PNS0_10empty_typeENS0_5tupleIJS8_S9_EEENSB_IJS8_SA_EEENS0_18inequality_wrapperIZN2at6native12_GLOBAL__N_124unique_dim_cuda_templateIlEESt5tupleIJNSF_6TensorESK_SK_EERKSK_lbbbEUlllE0_EEPmJS9_EEE10hipError_tPvRmT3_T4_T5_T6_T7_T9_mT8_P12ihipStream_tbDpT10_ENKUlT_T0_E_clISt17integral_constantIbLb0EES1A_EEDaS15_S16_EUlS15_E_NS1_11comp_targetILNS1_3genE10ELNS1_11target_archE1200ELNS1_3gpuE4ELNS1_3repE0EEENS1_30default_config_static_selectorELNS0_4arch9wavefront6targetE1EEEvT1_ ; -- Begin function _ZN7rocprim17ROCPRIM_400000_NS6detail17trampoline_kernelINS0_14default_configENS1_25partition_config_selectorILNS1_17partition_subalgoE9EllbEEZZNS1_14partition_implILS5_9ELb0ES3_jPlS8_PNS0_10empty_typeENS0_5tupleIJS8_S9_EEENSB_IJS8_SA_EEENS0_18inequality_wrapperIZN2at6native12_GLOBAL__N_124unique_dim_cuda_templateIlEESt5tupleIJNSF_6TensorESK_SK_EERKSK_lbbbEUlllE0_EEPmJS9_EEE10hipError_tPvRmT3_T4_T5_T6_T7_T9_mT8_P12ihipStream_tbDpT10_ENKUlT_T0_E_clISt17integral_constantIbLb0EES1A_EEDaS15_S16_EUlS15_E_NS1_11comp_targetILNS1_3genE10ELNS1_11target_archE1200ELNS1_3gpuE4ELNS1_3repE0EEENS1_30default_config_static_selectorELNS0_4arch9wavefront6targetE1EEEvT1_
	.p2align	8
	.type	_ZN7rocprim17ROCPRIM_400000_NS6detail17trampoline_kernelINS0_14default_configENS1_25partition_config_selectorILNS1_17partition_subalgoE9EllbEEZZNS1_14partition_implILS5_9ELb0ES3_jPlS8_PNS0_10empty_typeENS0_5tupleIJS8_S9_EEENSB_IJS8_SA_EEENS0_18inequality_wrapperIZN2at6native12_GLOBAL__N_124unique_dim_cuda_templateIlEESt5tupleIJNSF_6TensorESK_SK_EERKSK_lbbbEUlllE0_EEPmJS9_EEE10hipError_tPvRmT3_T4_T5_T6_T7_T9_mT8_P12ihipStream_tbDpT10_ENKUlT_T0_E_clISt17integral_constantIbLb0EES1A_EEDaS15_S16_EUlS15_E_NS1_11comp_targetILNS1_3genE10ELNS1_11target_archE1200ELNS1_3gpuE4ELNS1_3repE0EEENS1_30default_config_static_selectorELNS0_4arch9wavefront6targetE1EEEvT1_,@function
_ZN7rocprim17ROCPRIM_400000_NS6detail17trampoline_kernelINS0_14default_configENS1_25partition_config_selectorILNS1_17partition_subalgoE9EllbEEZZNS1_14partition_implILS5_9ELb0ES3_jPlS8_PNS0_10empty_typeENS0_5tupleIJS8_S9_EEENSB_IJS8_SA_EEENS0_18inequality_wrapperIZN2at6native12_GLOBAL__N_124unique_dim_cuda_templateIlEESt5tupleIJNSF_6TensorESK_SK_EERKSK_lbbbEUlllE0_EEPmJS9_EEE10hipError_tPvRmT3_T4_T5_T6_T7_T9_mT8_P12ihipStream_tbDpT10_ENKUlT_T0_E_clISt17integral_constantIbLb0EES1A_EEDaS15_S16_EUlS15_E_NS1_11comp_targetILNS1_3genE10ELNS1_11target_archE1200ELNS1_3gpuE4ELNS1_3repE0EEENS1_30default_config_static_selectorELNS0_4arch9wavefront6targetE1EEEvT1_: ; @_ZN7rocprim17ROCPRIM_400000_NS6detail17trampoline_kernelINS0_14default_configENS1_25partition_config_selectorILNS1_17partition_subalgoE9EllbEEZZNS1_14partition_implILS5_9ELb0ES3_jPlS8_PNS0_10empty_typeENS0_5tupleIJS8_S9_EEENSB_IJS8_SA_EEENS0_18inequality_wrapperIZN2at6native12_GLOBAL__N_124unique_dim_cuda_templateIlEESt5tupleIJNSF_6TensorESK_SK_EERKSK_lbbbEUlllE0_EEPmJS9_EEE10hipError_tPvRmT3_T4_T5_T6_T7_T9_mT8_P12ihipStream_tbDpT10_ENKUlT_T0_E_clISt17integral_constantIbLb0EES1A_EEDaS15_S16_EUlS15_E_NS1_11comp_targetILNS1_3genE10ELNS1_11target_archE1200ELNS1_3gpuE4ELNS1_3repE0EEENS1_30default_config_static_selectorELNS0_4arch9wavefront6targetE1EEEvT1_
; %bb.0:
	.section	.rodata,"a",@progbits
	.p2align	6, 0x0
	.amdhsa_kernel _ZN7rocprim17ROCPRIM_400000_NS6detail17trampoline_kernelINS0_14default_configENS1_25partition_config_selectorILNS1_17partition_subalgoE9EllbEEZZNS1_14partition_implILS5_9ELb0ES3_jPlS8_PNS0_10empty_typeENS0_5tupleIJS8_S9_EEENSB_IJS8_SA_EEENS0_18inequality_wrapperIZN2at6native12_GLOBAL__N_124unique_dim_cuda_templateIlEESt5tupleIJNSF_6TensorESK_SK_EERKSK_lbbbEUlllE0_EEPmJS9_EEE10hipError_tPvRmT3_T4_T5_T6_T7_T9_mT8_P12ihipStream_tbDpT10_ENKUlT_T0_E_clISt17integral_constantIbLb0EES1A_EEDaS15_S16_EUlS15_E_NS1_11comp_targetILNS1_3genE10ELNS1_11target_archE1200ELNS1_3gpuE4ELNS1_3repE0EEENS1_30default_config_static_selectorELNS0_4arch9wavefront6targetE1EEEvT1_
		.amdhsa_group_segment_fixed_size 0
		.amdhsa_private_segment_fixed_size 0
		.amdhsa_kernarg_size 120
		.amdhsa_user_sgpr_count 2
		.amdhsa_user_sgpr_dispatch_ptr 0
		.amdhsa_user_sgpr_queue_ptr 0
		.amdhsa_user_sgpr_kernarg_segment_ptr 1
		.amdhsa_user_sgpr_dispatch_id 0
		.amdhsa_user_sgpr_kernarg_preload_length 0
		.amdhsa_user_sgpr_kernarg_preload_offset 0
		.amdhsa_user_sgpr_private_segment_size 0
		.amdhsa_uses_dynamic_stack 0
		.amdhsa_enable_private_segment 0
		.amdhsa_system_sgpr_workgroup_id_x 1
		.amdhsa_system_sgpr_workgroup_id_y 0
		.amdhsa_system_sgpr_workgroup_id_z 0
		.amdhsa_system_sgpr_workgroup_info 0
		.amdhsa_system_vgpr_workitem_id 0
		.amdhsa_next_free_vgpr 1
		.amdhsa_next_free_sgpr 0
		.amdhsa_accum_offset 4
		.amdhsa_reserve_vcc 0
		.amdhsa_float_round_mode_32 0
		.amdhsa_float_round_mode_16_64 0
		.amdhsa_float_denorm_mode_32 3
		.amdhsa_float_denorm_mode_16_64 3
		.amdhsa_dx10_clamp 1
		.amdhsa_ieee_mode 1
		.amdhsa_fp16_overflow 0
		.amdhsa_tg_split 0
		.amdhsa_exception_fp_ieee_invalid_op 0
		.amdhsa_exception_fp_denorm_src 0
		.amdhsa_exception_fp_ieee_div_zero 0
		.amdhsa_exception_fp_ieee_overflow 0
		.amdhsa_exception_fp_ieee_underflow 0
		.amdhsa_exception_fp_ieee_inexact 0
		.amdhsa_exception_int_div_zero 0
	.end_amdhsa_kernel
	.section	.text._ZN7rocprim17ROCPRIM_400000_NS6detail17trampoline_kernelINS0_14default_configENS1_25partition_config_selectorILNS1_17partition_subalgoE9EllbEEZZNS1_14partition_implILS5_9ELb0ES3_jPlS8_PNS0_10empty_typeENS0_5tupleIJS8_S9_EEENSB_IJS8_SA_EEENS0_18inequality_wrapperIZN2at6native12_GLOBAL__N_124unique_dim_cuda_templateIlEESt5tupleIJNSF_6TensorESK_SK_EERKSK_lbbbEUlllE0_EEPmJS9_EEE10hipError_tPvRmT3_T4_T5_T6_T7_T9_mT8_P12ihipStream_tbDpT10_ENKUlT_T0_E_clISt17integral_constantIbLb0EES1A_EEDaS15_S16_EUlS15_E_NS1_11comp_targetILNS1_3genE10ELNS1_11target_archE1200ELNS1_3gpuE4ELNS1_3repE0EEENS1_30default_config_static_selectorELNS0_4arch9wavefront6targetE1EEEvT1_,"axG",@progbits,_ZN7rocprim17ROCPRIM_400000_NS6detail17trampoline_kernelINS0_14default_configENS1_25partition_config_selectorILNS1_17partition_subalgoE9EllbEEZZNS1_14partition_implILS5_9ELb0ES3_jPlS8_PNS0_10empty_typeENS0_5tupleIJS8_S9_EEENSB_IJS8_SA_EEENS0_18inequality_wrapperIZN2at6native12_GLOBAL__N_124unique_dim_cuda_templateIlEESt5tupleIJNSF_6TensorESK_SK_EERKSK_lbbbEUlllE0_EEPmJS9_EEE10hipError_tPvRmT3_T4_T5_T6_T7_T9_mT8_P12ihipStream_tbDpT10_ENKUlT_T0_E_clISt17integral_constantIbLb0EES1A_EEDaS15_S16_EUlS15_E_NS1_11comp_targetILNS1_3genE10ELNS1_11target_archE1200ELNS1_3gpuE4ELNS1_3repE0EEENS1_30default_config_static_selectorELNS0_4arch9wavefront6targetE1EEEvT1_,comdat
.Lfunc_end604:
	.size	_ZN7rocprim17ROCPRIM_400000_NS6detail17trampoline_kernelINS0_14default_configENS1_25partition_config_selectorILNS1_17partition_subalgoE9EllbEEZZNS1_14partition_implILS5_9ELb0ES3_jPlS8_PNS0_10empty_typeENS0_5tupleIJS8_S9_EEENSB_IJS8_SA_EEENS0_18inequality_wrapperIZN2at6native12_GLOBAL__N_124unique_dim_cuda_templateIlEESt5tupleIJNSF_6TensorESK_SK_EERKSK_lbbbEUlllE0_EEPmJS9_EEE10hipError_tPvRmT3_T4_T5_T6_T7_T9_mT8_P12ihipStream_tbDpT10_ENKUlT_T0_E_clISt17integral_constantIbLb0EES1A_EEDaS15_S16_EUlS15_E_NS1_11comp_targetILNS1_3genE10ELNS1_11target_archE1200ELNS1_3gpuE4ELNS1_3repE0EEENS1_30default_config_static_selectorELNS0_4arch9wavefront6targetE1EEEvT1_, .Lfunc_end604-_ZN7rocprim17ROCPRIM_400000_NS6detail17trampoline_kernelINS0_14default_configENS1_25partition_config_selectorILNS1_17partition_subalgoE9EllbEEZZNS1_14partition_implILS5_9ELb0ES3_jPlS8_PNS0_10empty_typeENS0_5tupleIJS8_S9_EEENSB_IJS8_SA_EEENS0_18inequality_wrapperIZN2at6native12_GLOBAL__N_124unique_dim_cuda_templateIlEESt5tupleIJNSF_6TensorESK_SK_EERKSK_lbbbEUlllE0_EEPmJS9_EEE10hipError_tPvRmT3_T4_T5_T6_T7_T9_mT8_P12ihipStream_tbDpT10_ENKUlT_T0_E_clISt17integral_constantIbLb0EES1A_EEDaS15_S16_EUlS15_E_NS1_11comp_targetILNS1_3genE10ELNS1_11target_archE1200ELNS1_3gpuE4ELNS1_3repE0EEENS1_30default_config_static_selectorELNS0_4arch9wavefront6targetE1EEEvT1_
                                        ; -- End function
	.section	.AMDGPU.csdata,"",@progbits
; Kernel info:
; codeLenInByte = 0
; NumSgprs: 6
; NumVgprs: 0
; NumAgprs: 0
; TotalNumVgprs: 0
; ScratchSize: 0
; MemoryBound: 0
; FloatMode: 240
; IeeeMode: 1
; LDSByteSize: 0 bytes/workgroup (compile time only)
; SGPRBlocks: 0
; VGPRBlocks: 0
; NumSGPRsForWavesPerEU: 6
; NumVGPRsForWavesPerEU: 1
; AccumOffset: 4
; Occupancy: 8
; WaveLimiterHint : 0
; COMPUTE_PGM_RSRC2:SCRATCH_EN: 0
; COMPUTE_PGM_RSRC2:USER_SGPR: 2
; COMPUTE_PGM_RSRC2:TRAP_HANDLER: 0
; COMPUTE_PGM_RSRC2:TGID_X_EN: 1
; COMPUTE_PGM_RSRC2:TGID_Y_EN: 0
; COMPUTE_PGM_RSRC2:TGID_Z_EN: 0
; COMPUTE_PGM_RSRC2:TIDIG_COMP_CNT: 0
; COMPUTE_PGM_RSRC3_GFX90A:ACCUM_OFFSET: 0
; COMPUTE_PGM_RSRC3_GFX90A:TG_SPLIT: 0
	.section	.text._ZN7rocprim17ROCPRIM_400000_NS6detail17trampoline_kernelINS0_14default_configENS1_25partition_config_selectorILNS1_17partition_subalgoE9EllbEEZZNS1_14partition_implILS5_9ELb0ES3_jPlS8_PNS0_10empty_typeENS0_5tupleIJS8_S9_EEENSB_IJS8_SA_EEENS0_18inequality_wrapperIZN2at6native12_GLOBAL__N_124unique_dim_cuda_templateIlEESt5tupleIJNSF_6TensorESK_SK_EERKSK_lbbbEUlllE0_EEPmJS9_EEE10hipError_tPvRmT3_T4_T5_T6_T7_T9_mT8_P12ihipStream_tbDpT10_ENKUlT_T0_E_clISt17integral_constantIbLb0EES1A_EEDaS15_S16_EUlS15_E_NS1_11comp_targetILNS1_3genE9ELNS1_11target_archE1100ELNS1_3gpuE3ELNS1_3repE0EEENS1_30default_config_static_selectorELNS0_4arch9wavefront6targetE1EEEvT1_,"axG",@progbits,_ZN7rocprim17ROCPRIM_400000_NS6detail17trampoline_kernelINS0_14default_configENS1_25partition_config_selectorILNS1_17partition_subalgoE9EllbEEZZNS1_14partition_implILS5_9ELb0ES3_jPlS8_PNS0_10empty_typeENS0_5tupleIJS8_S9_EEENSB_IJS8_SA_EEENS0_18inequality_wrapperIZN2at6native12_GLOBAL__N_124unique_dim_cuda_templateIlEESt5tupleIJNSF_6TensorESK_SK_EERKSK_lbbbEUlllE0_EEPmJS9_EEE10hipError_tPvRmT3_T4_T5_T6_T7_T9_mT8_P12ihipStream_tbDpT10_ENKUlT_T0_E_clISt17integral_constantIbLb0EES1A_EEDaS15_S16_EUlS15_E_NS1_11comp_targetILNS1_3genE9ELNS1_11target_archE1100ELNS1_3gpuE3ELNS1_3repE0EEENS1_30default_config_static_selectorELNS0_4arch9wavefront6targetE1EEEvT1_,comdat
	.globl	_ZN7rocprim17ROCPRIM_400000_NS6detail17trampoline_kernelINS0_14default_configENS1_25partition_config_selectorILNS1_17partition_subalgoE9EllbEEZZNS1_14partition_implILS5_9ELb0ES3_jPlS8_PNS0_10empty_typeENS0_5tupleIJS8_S9_EEENSB_IJS8_SA_EEENS0_18inequality_wrapperIZN2at6native12_GLOBAL__N_124unique_dim_cuda_templateIlEESt5tupleIJNSF_6TensorESK_SK_EERKSK_lbbbEUlllE0_EEPmJS9_EEE10hipError_tPvRmT3_T4_T5_T6_T7_T9_mT8_P12ihipStream_tbDpT10_ENKUlT_T0_E_clISt17integral_constantIbLb0EES1A_EEDaS15_S16_EUlS15_E_NS1_11comp_targetILNS1_3genE9ELNS1_11target_archE1100ELNS1_3gpuE3ELNS1_3repE0EEENS1_30default_config_static_selectorELNS0_4arch9wavefront6targetE1EEEvT1_ ; -- Begin function _ZN7rocprim17ROCPRIM_400000_NS6detail17trampoline_kernelINS0_14default_configENS1_25partition_config_selectorILNS1_17partition_subalgoE9EllbEEZZNS1_14partition_implILS5_9ELb0ES3_jPlS8_PNS0_10empty_typeENS0_5tupleIJS8_S9_EEENSB_IJS8_SA_EEENS0_18inequality_wrapperIZN2at6native12_GLOBAL__N_124unique_dim_cuda_templateIlEESt5tupleIJNSF_6TensorESK_SK_EERKSK_lbbbEUlllE0_EEPmJS9_EEE10hipError_tPvRmT3_T4_T5_T6_T7_T9_mT8_P12ihipStream_tbDpT10_ENKUlT_T0_E_clISt17integral_constantIbLb0EES1A_EEDaS15_S16_EUlS15_E_NS1_11comp_targetILNS1_3genE9ELNS1_11target_archE1100ELNS1_3gpuE3ELNS1_3repE0EEENS1_30default_config_static_selectorELNS0_4arch9wavefront6targetE1EEEvT1_
	.p2align	8
	.type	_ZN7rocprim17ROCPRIM_400000_NS6detail17trampoline_kernelINS0_14default_configENS1_25partition_config_selectorILNS1_17partition_subalgoE9EllbEEZZNS1_14partition_implILS5_9ELb0ES3_jPlS8_PNS0_10empty_typeENS0_5tupleIJS8_S9_EEENSB_IJS8_SA_EEENS0_18inequality_wrapperIZN2at6native12_GLOBAL__N_124unique_dim_cuda_templateIlEESt5tupleIJNSF_6TensorESK_SK_EERKSK_lbbbEUlllE0_EEPmJS9_EEE10hipError_tPvRmT3_T4_T5_T6_T7_T9_mT8_P12ihipStream_tbDpT10_ENKUlT_T0_E_clISt17integral_constantIbLb0EES1A_EEDaS15_S16_EUlS15_E_NS1_11comp_targetILNS1_3genE9ELNS1_11target_archE1100ELNS1_3gpuE3ELNS1_3repE0EEENS1_30default_config_static_selectorELNS0_4arch9wavefront6targetE1EEEvT1_,@function
_ZN7rocprim17ROCPRIM_400000_NS6detail17trampoline_kernelINS0_14default_configENS1_25partition_config_selectorILNS1_17partition_subalgoE9EllbEEZZNS1_14partition_implILS5_9ELb0ES3_jPlS8_PNS0_10empty_typeENS0_5tupleIJS8_S9_EEENSB_IJS8_SA_EEENS0_18inequality_wrapperIZN2at6native12_GLOBAL__N_124unique_dim_cuda_templateIlEESt5tupleIJNSF_6TensorESK_SK_EERKSK_lbbbEUlllE0_EEPmJS9_EEE10hipError_tPvRmT3_T4_T5_T6_T7_T9_mT8_P12ihipStream_tbDpT10_ENKUlT_T0_E_clISt17integral_constantIbLb0EES1A_EEDaS15_S16_EUlS15_E_NS1_11comp_targetILNS1_3genE9ELNS1_11target_archE1100ELNS1_3gpuE3ELNS1_3repE0EEENS1_30default_config_static_selectorELNS0_4arch9wavefront6targetE1EEEvT1_: ; @_ZN7rocprim17ROCPRIM_400000_NS6detail17trampoline_kernelINS0_14default_configENS1_25partition_config_selectorILNS1_17partition_subalgoE9EllbEEZZNS1_14partition_implILS5_9ELb0ES3_jPlS8_PNS0_10empty_typeENS0_5tupleIJS8_S9_EEENSB_IJS8_SA_EEENS0_18inequality_wrapperIZN2at6native12_GLOBAL__N_124unique_dim_cuda_templateIlEESt5tupleIJNSF_6TensorESK_SK_EERKSK_lbbbEUlllE0_EEPmJS9_EEE10hipError_tPvRmT3_T4_T5_T6_T7_T9_mT8_P12ihipStream_tbDpT10_ENKUlT_T0_E_clISt17integral_constantIbLb0EES1A_EEDaS15_S16_EUlS15_E_NS1_11comp_targetILNS1_3genE9ELNS1_11target_archE1100ELNS1_3gpuE3ELNS1_3repE0EEENS1_30default_config_static_selectorELNS0_4arch9wavefront6targetE1EEEvT1_
; %bb.0:
	.section	.rodata,"a",@progbits
	.p2align	6, 0x0
	.amdhsa_kernel _ZN7rocprim17ROCPRIM_400000_NS6detail17trampoline_kernelINS0_14default_configENS1_25partition_config_selectorILNS1_17partition_subalgoE9EllbEEZZNS1_14partition_implILS5_9ELb0ES3_jPlS8_PNS0_10empty_typeENS0_5tupleIJS8_S9_EEENSB_IJS8_SA_EEENS0_18inequality_wrapperIZN2at6native12_GLOBAL__N_124unique_dim_cuda_templateIlEESt5tupleIJNSF_6TensorESK_SK_EERKSK_lbbbEUlllE0_EEPmJS9_EEE10hipError_tPvRmT3_T4_T5_T6_T7_T9_mT8_P12ihipStream_tbDpT10_ENKUlT_T0_E_clISt17integral_constantIbLb0EES1A_EEDaS15_S16_EUlS15_E_NS1_11comp_targetILNS1_3genE9ELNS1_11target_archE1100ELNS1_3gpuE3ELNS1_3repE0EEENS1_30default_config_static_selectorELNS0_4arch9wavefront6targetE1EEEvT1_
		.amdhsa_group_segment_fixed_size 0
		.amdhsa_private_segment_fixed_size 0
		.amdhsa_kernarg_size 120
		.amdhsa_user_sgpr_count 2
		.amdhsa_user_sgpr_dispatch_ptr 0
		.amdhsa_user_sgpr_queue_ptr 0
		.amdhsa_user_sgpr_kernarg_segment_ptr 1
		.amdhsa_user_sgpr_dispatch_id 0
		.amdhsa_user_sgpr_kernarg_preload_length 0
		.amdhsa_user_sgpr_kernarg_preload_offset 0
		.amdhsa_user_sgpr_private_segment_size 0
		.amdhsa_uses_dynamic_stack 0
		.amdhsa_enable_private_segment 0
		.amdhsa_system_sgpr_workgroup_id_x 1
		.amdhsa_system_sgpr_workgroup_id_y 0
		.amdhsa_system_sgpr_workgroup_id_z 0
		.amdhsa_system_sgpr_workgroup_info 0
		.amdhsa_system_vgpr_workitem_id 0
		.amdhsa_next_free_vgpr 1
		.amdhsa_next_free_sgpr 0
		.amdhsa_accum_offset 4
		.amdhsa_reserve_vcc 0
		.amdhsa_float_round_mode_32 0
		.amdhsa_float_round_mode_16_64 0
		.amdhsa_float_denorm_mode_32 3
		.amdhsa_float_denorm_mode_16_64 3
		.amdhsa_dx10_clamp 1
		.amdhsa_ieee_mode 1
		.amdhsa_fp16_overflow 0
		.amdhsa_tg_split 0
		.amdhsa_exception_fp_ieee_invalid_op 0
		.amdhsa_exception_fp_denorm_src 0
		.amdhsa_exception_fp_ieee_div_zero 0
		.amdhsa_exception_fp_ieee_overflow 0
		.amdhsa_exception_fp_ieee_underflow 0
		.amdhsa_exception_fp_ieee_inexact 0
		.amdhsa_exception_int_div_zero 0
	.end_amdhsa_kernel
	.section	.text._ZN7rocprim17ROCPRIM_400000_NS6detail17trampoline_kernelINS0_14default_configENS1_25partition_config_selectorILNS1_17partition_subalgoE9EllbEEZZNS1_14partition_implILS5_9ELb0ES3_jPlS8_PNS0_10empty_typeENS0_5tupleIJS8_S9_EEENSB_IJS8_SA_EEENS0_18inequality_wrapperIZN2at6native12_GLOBAL__N_124unique_dim_cuda_templateIlEESt5tupleIJNSF_6TensorESK_SK_EERKSK_lbbbEUlllE0_EEPmJS9_EEE10hipError_tPvRmT3_T4_T5_T6_T7_T9_mT8_P12ihipStream_tbDpT10_ENKUlT_T0_E_clISt17integral_constantIbLb0EES1A_EEDaS15_S16_EUlS15_E_NS1_11comp_targetILNS1_3genE9ELNS1_11target_archE1100ELNS1_3gpuE3ELNS1_3repE0EEENS1_30default_config_static_selectorELNS0_4arch9wavefront6targetE1EEEvT1_,"axG",@progbits,_ZN7rocprim17ROCPRIM_400000_NS6detail17trampoline_kernelINS0_14default_configENS1_25partition_config_selectorILNS1_17partition_subalgoE9EllbEEZZNS1_14partition_implILS5_9ELb0ES3_jPlS8_PNS0_10empty_typeENS0_5tupleIJS8_S9_EEENSB_IJS8_SA_EEENS0_18inequality_wrapperIZN2at6native12_GLOBAL__N_124unique_dim_cuda_templateIlEESt5tupleIJNSF_6TensorESK_SK_EERKSK_lbbbEUlllE0_EEPmJS9_EEE10hipError_tPvRmT3_T4_T5_T6_T7_T9_mT8_P12ihipStream_tbDpT10_ENKUlT_T0_E_clISt17integral_constantIbLb0EES1A_EEDaS15_S16_EUlS15_E_NS1_11comp_targetILNS1_3genE9ELNS1_11target_archE1100ELNS1_3gpuE3ELNS1_3repE0EEENS1_30default_config_static_selectorELNS0_4arch9wavefront6targetE1EEEvT1_,comdat
.Lfunc_end605:
	.size	_ZN7rocprim17ROCPRIM_400000_NS6detail17trampoline_kernelINS0_14default_configENS1_25partition_config_selectorILNS1_17partition_subalgoE9EllbEEZZNS1_14partition_implILS5_9ELb0ES3_jPlS8_PNS0_10empty_typeENS0_5tupleIJS8_S9_EEENSB_IJS8_SA_EEENS0_18inequality_wrapperIZN2at6native12_GLOBAL__N_124unique_dim_cuda_templateIlEESt5tupleIJNSF_6TensorESK_SK_EERKSK_lbbbEUlllE0_EEPmJS9_EEE10hipError_tPvRmT3_T4_T5_T6_T7_T9_mT8_P12ihipStream_tbDpT10_ENKUlT_T0_E_clISt17integral_constantIbLb0EES1A_EEDaS15_S16_EUlS15_E_NS1_11comp_targetILNS1_3genE9ELNS1_11target_archE1100ELNS1_3gpuE3ELNS1_3repE0EEENS1_30default_config_static_selectorELNS0_4arch9wavefront6targetE1EEEvT1_, .Lfunc_end605-_ZN7rocprim17ROCPRIM_400000_NS6detail17trampoline_kernelINS0_14default_configENS1_25partition_config_selectorILNS1_17partition_subalgoE9EllbEEZZNS1_14partition_implILS5_9ELb0ES3_jPlS8_PNS0_10empty_typeENS0_5tupleIJS8_S9_EEENSB_IJS8_SA_EEENS0_18inequality_wrapperIZN2at6native12_GLOBAL__N_124unique_dim_cuda_templateIlEESt5tupleIJNSF_6TensorESK_SK_EERKSK_lbbbEUlllE0_EEPmJS9_EEE10hipError_tPvRmT3_T4_T5_T6_T7_T9_mT8_P12ihipStream_tbDpT10_ENKUlT_T0_E_clISt17integral_constantIbLb0EES1A_EEDaS15_S16_EUlS15_E_NS1_11comp_targetILNS1_3genE9ELNS1_11target_archE1100ELNS1_3gpuE3ELNS1_3repE0EEENS1_30default_config_static_selectorELNS0_4arch9wavefront6targetE1EEEvT1_
                                        ; -- End function
	.section	.AMDGPU.csdata,"",@progbits
; Kernel info:
; codeLenInByte = 0
; NumSgprs: 6
; NumVgprs: 0
; NumAgprs: 0
; TotalNumVgprs: 0
; ScratchSize: 0
; MemoryBound: 0
; FloatMode: 240
; IeeeMode: 1
; LDSByteSize: 0 bytes/workgroup (compile time only)
; SGPRBlocks: 0
; VGPRBlocks: 0
; NumSGPRsForWavesPerEU: 6
; NumVGPRsForWavesPerEU: 1
; AccumOffset: 4
; Occupancy: 8
; WaveLimiterHint : 0
; COMPUTE_PGM_RSRC2:SCRATCH_EN: 0
; COMPUTE_PGM_RSRC2:USER_SGPR: 2
; COMPUTE_PGM_RSRC2:TRAP_HANDLER: 0
; COMPUTE_PGM_RSRC2:TGID_X_EN: 1
; COMPUTE_PGM_RSRC2:TGID_Y_EN: 0
; COMPUTE_PGM_RSRC2:TGID_Z_EN: 0
; COMPUTE_PGM_RSRC2:TIDIG_COMP_CNT: 0
; COMPUTE_PGM_RSRC3_GFX90A:ACCUM_OFFSET: 0
; COMPUTE_PGM_RSRC3_GFX90A:TG_SPLIT: 0
	.section	.text._ZN7rocprim17ROCPRIM_400000_NS6detail17trampoline_kernelINS0_14default_configENS1_25partition_config_selectorILNS1_17partition_subalgoE9EllbEEZZNS1_14partition_implILS5_9ELb0ES3_jPlS8_PNS0_10empty_typeENS0_5tupleIJS8_S9_EEENSB_IJS8_SA_EEENS0_18inequality_wrapperIZN2at6native12_GLOBAL__N_124unique_dim_cuda_templateIlEESt5tupleIJNSF_6TensorESK_SK_EERKSK_lbbbEUlllE0_EEPmJS9_EEE10hipError_tPvRmT3_T4_T5_T6_T7_T9_mT8_P12ihipStream_tbDpT10_ENKUlT_T0_E_clISt17integral_constantIbLb0EES1A_EEDaS15_S16_EUlS15_E_NS1_11comp_targetILNS1_3genE8ELNS1_11target_archE1030ELNS1_3gpuE2ELNS1_3repE0EEENS1_30default_config_static_selectorELNS0_4arch9wavefront6targetE1EEEvT1_,"axG",@progbits,_ZN7rocprim17ROCPRIM_400000_NS6detail17trampoline_kernelINS0_14default_configENS1_25partition_config_selectorILNS1_17partition_subalgoE9EllbEEZZNS1_14partition_implILS5_9ELb0ES3_jPlS8_PNS0_10empty_typeENS0_5tupleIJS8_S9_EEENSB_IJS8_SA_EEENS0_18inequality_wrapperIZN2at6native12_GLOBAL__N_124unique_dim_cuda_templateIlEESt5tupleIJNSF_6TensorESK_SK_EERKSK_lbbbEUlllE0_EEPmJS9_EEE10hipError_tPvRmT3_T4_T5_T6_T7_T9_mT8_P12ihipStream_tbDpT10_ENKUlT_T0_E_clISt17integral_constantIbLb0EES1A_EEDaS15_S16_EUlS15_E_NS1_11comp_targetILNS1_3genE8ELNS1_11target_archE1030ELNS1_3gpuE2ELNS1_3repE0EEENS1_30default_config_static_selectorELNS0_4arch9wavefront6targetE1EEEvT1_,comdat
	.globl	_ZN7rocprim17ROCPRIM_400000_NS6detail17trampoline_kernelINS0_14default_configENS1_25partition_config_selectorILNS1_17partition_subalgoE9EllbEEZZNS1_14partition_implILS5_9ELb0ES3_jPlS8_PNS0_10empty_typeENS0_5tupleIJS8_S9_EEENSB_IJS8_SA_EEENS0_18inequality_wrapperIZN2at6native12_GLOBAL__N_124unique_dim_cuda_templateIlEESt5tupleIJNSF_6TensorESK_SK_EERKSK_lbbbEUlllE0_EEPmJS9_EEE10hipError_tPvRmT3_T4_T5_T6_T7_T9_mT8_P12ihipStream_tbDpT10_ENKUlT_T0_E_clISt17integral_constantIbLb0EES1A_EEDaS15_S16_EUlS15_E_NS1_11comp_targetILNS1_3genE8ELNS1_11target_archE1030ELNS1_3gpuE2ELNS1_3repE0EEENS1_30default_config_static_selectorELNS0_4arch9wavefront6targetE1EEEvT1_ ; -- Begin function _ZN7rocprim17ROCPRIM_400000_NS6detail17trampoline_kernelINS0_14default_configENS1_25partition_config_selectorILNS1_17partition_subalgoE9EllbEEZZNS1_14partition_implILS5_9ELb0ES3_jPlS8_PNS0_10empty_typeENS0_5tupleIJS8_S9_EEENSB_IJS8_SA_EEENS0_18inequality_wrapperIZN2at6native12_GLOBAL__N_124unique_dim_cuda_templateIlEESt5tupleIJNSF_6TensorESK_SK_EERKSK_lbbbEUlllE0_EEPmJS9_EEE10hipError_tPvRmT3_T4_T5_T6_T7_T9_mT8_P12ihipStream_tbDpT10_ENKUlT_T0_E_clISt17integral_constantIbLb0EES1A_EEDaS15_S16_EUlS15_E_NS1_11comp_targetILNS1_3genE8ELNS1_11target_archE1030ELNS1_3gpuE2ELNS1_3repE0EEENS1_30default_config_static_selectorELNS0_4arch9wavefront6targetE1EEEvT1_
	.p2align	8
	.type	_ZN7rocprim17ROCPRIM_400000_NS6detail17trampoline_kernelINS0_14default_configENS1_25partition_config_selectorILNS1_17partition_subalgoE9EllbEEZZNS1_14partition_implILS5_9ELb0ES3_jPlS8_PNS0_10empty_typeENS0_5tupleIJS8_S9_EEENSB_IJS8_SA_EEENS0_18inequality_wrapperIZN2at6native12_GLOBAL__N_124unique_dim_cuda_templateIlEESt5tupleIJNSF_6TensorESK_SK_EERKSK_lbbbEUlllE0_EEPmJS9_EEE10hipError_tPvRmT3_T4_T5_T6_T7_T9_mT8_P12ihipStream_tbDpT10_ENKUlT_T0_E_clISt17integral_constantIbLb0EES1A_EEDaS15_S16_EUlS15_E_NS1_11comp_targetILNS1_3genE8ELNS1_11target_archE1030ELNS1_3gpuE2ELNS1_3repE0EEENS1_30default_config_static_selectorELNS0_4arch9wavefront6targetE1EEEvT1_,@function
_ZN7rocprim17ROCPRIM_400000_NS6detail17trampoline_kernelINS0_14default_configENS1_25partition_config_selectorILNS1_17partition_subalgoE9EllbEEZZNS1_14partition_implILS5_9ELb0ES3_jPlS8_PNS0_10empty_typeENS0_5tupleIJS8_S9_EEENSB_IJS8_SA_EEENS0_18inequality_wrapperIZN2at6native12_GLOBAL__N_124unique_dim_cuda_templateIlEESt5tupleIJNSF_6TensorESK_SK_EERKSK_lbbbEUlllE0_EEPmJS9_EEE10hipError_tPvRmT3_T4_T5_T6_T7_T9_mT8_P12ihipStream_tbDpT10_ENKUlT_T0_E_clISt17integral_constantIbLb0EES1A_EEDaS15_S16_EUlS15_E_NS1_11comp_targetILNS1_3genE8ELNS1_11target_archE1030ELNS1_3gpuE2ELNS1_3repE0EEENS1_30default_config_static_selectorELNS0_4arch9wavefront6targetE1EEEvT1_: ; @_ZN7rocprim17ROCPRIM_400000_NS6detail17trampoline_kernelINS0_14default_configENS1_25partition_config_selectorILNS1_17partition_subalgoE9EllbEEZZNS1_14partition_implILS5_9ELb0ES3_jPlS8_PNS0_10empty_typeENS0_5tupleIJS8_S9_EEENSB_IJS8_SA_EEENS0_18inequality_wrapperIZN2at6native12_GLOBAL__N_124unique_dim_cuda_templateIlEESt5tupleIJNSF_6TensorESK_SK_EERKSK_lbbbEUlllE0_EEPmJS9_EEE10hipError_tPvRmT3_T4_T5_T6_T7_T9_mT8_P12ihipStream_tbDpT10_ENKUlT_T0_E_clISt17integral_constantIbLb0EES1A_EEDaS15_S16_EUlS15_E_NS1_11comp_targetILNS1_3genE8ELNS1_11target_archE1030ELNS1_3gpuE2ELNS1_3repE0EEENS1_30default_config_static_selectorELNS0_4arch9wavefront6targetE1EEEvT1_
; %bb.0:
	.section	.rodata,"a",@progbits
	.p2align	6, 0x0
	.amdhsa_kernel _ZN7rocprim17ROCPRIM_400000_NS6detail17trampoline_kernelINS0_14default_configENS1_25partition_config_selectorILNS1_17partition_subalgoE9EllbEEZZNS1_14partition_implILS5_9ELb0ES3_jPlS8_PNS0_10empty_typeENS0_5tupleIJS8_S9_EEENSB_IJS8_SA_EEENS0_18inequality_wrapperIZN2at6native12_GLOBAL__N_124unique_dim_cuda_templateIlEESt5tupleIJNSF_6TensorESK_SK_EERKSK_lbbbEUlllE0_EEPmJS9_EEE10hipError_tPvRmT3_T4_T5_T6_T7_T9_mT8_P12ihipStream_tbDpT10_ENKUlT_T0_E_clISt17integral_constantIbLb0EES1A_EEDaS15_S16_EUlS15_E_NS1_11comp_targetILNS1_3genE8ELNS1_11target_archE1030ELNS1_3gpuE2ELNS1_3repE0EEENS1_30default_config_static_selectorELNS0_4arch9wavefront6targetE1EEEvT1_
		.amdhsa_group_segment_fixed_size 0
		.amdhsa_private_segment_fixed_size 0
		.amdhsa_kernarg_size 120
		.amdhsa_user_sgpr_count 2
		.amdhsa_user_sgpr_dispatch_ptr 0
		.amdhsa_user_sgpr_queue_ptr 0
		.amdhsa_user_sgpr_kernarg_segment_ptr 1
		.amdhsa_user_sgpr_dispatch_id 0
		.amdhsa_user_sgpr_kernarg_preload_length 0
		.amdhsa_user_sgpr_kernarg_preload_offset 0
		.amdhsa_user_sgpr_private_segment_size 0
		.amdhsa_uses_dynamic_stack 0
		.amdhsa_enable_private_segment 0
		.amdhsa_system_sgpr_workgroup_id_x 1
		.amdhsa_system_sgpr_workgroup_id_y 0
		.amdhsa_system_sgpr_workgroup_id_z 0
		.amdhsa_system_sgpr_workgroup_info 0
		.amdhsa_system_vgpr_workitem_id 0
		.amdhsa_next_free_vgpr 1
		.amdhsa_next_free_sgpr 0
		.amdhsa_accum_offset 4
		.amdhsa_reserve_vcc 0
		.amdhsa_float_round_mode_32 0
		.amdhsa_float_round_mode_16_64 0
		.amdhsa_float_denorm_mode_32 3
		.amdhsa_float_denorm_mode_16_64 3
		.amdhsa_dx10_clamp 1
		.amdhsa_ieee_mode 1
		.amdhsa_fp16_overflow 0
		.amdhsa_tg_split 0
		.amdhsa_exception_fp_ieee_invalid_op 0
		.amdhsa_exception_fp_denorm_src 0
		.amdhsa_exception_fp_ieee_div_zero 0
		.amdhsa_exception_fp_ieee_overflow 0
		.amdhsa_exception_fp_ieee_underflow 0
		.amdhsa_exception_fp_ieee_inexact 0
		.amdhsa_exception_int_div_zero 0
	.end_amdhsa_kernel
	.section	.text._ZN7rocprim17ROCPRIM_400000_NS6detail17trampoline_kernelINS0_14default_configENS1_25partition_config_selectorILNS1_17partition_subalgoE9EllbEEZZNS1_14partition_implILS5_9ELb0ES3_jPlS8_PNS0_10empty_typeENS0_5tupleIJS8_S9_EEENSB_IJS8_SA_EEENS0_18inequality_wrapperIZN2at6native12_GLOBAL__N_124unique_dim_cuda_templateIlEESt5tupleIJNSF_6TensorESK_SK_EERKSK_lbbbEUlllE0_EEPmJS9_EEE10hipError_tPvRmT3_T4_T5_T6_T7_T9_mT8_P12ihipStream_tbDpT10_ENKUlT_T0_E_clISt17integral_constantIbLb0EES1A_EEDaS15_S16_EUlS15_E_NS1_11comp_targetILNS1_3genE8ELNS1_11target_archE1030ELNS1_3gpuE2ELNS1_3repE0EEENS1_30default_config_static_selectorELNS0_4arch9wavefront6targetE1EEEvT1_,"axG",@progbits,_ZN7rocprim17ROCPRIM_400000_NS6detail17trampoline_kernelINS0_14default_configENS1_25partition_config_selectorILNS1_17partition_subalgoE9EllbEEZZNS1_14partition_implILS5_9ELb0ES3_jPlS8_PNS0_10empty_typeENS0_5tupleIJS8_S9_EEENSB_IJS8_SA_EEENS0_18inequality_wrapperIZN2at6native12_GLOBAL__N_124unique_dim_cuda_templateIlEESt5tupleIJNSF_6TensorESK_SK_EERKSK_lbbbEUlllE0_EEPmJS9_EEE10hipError_tPvRmT3_T4_T5_T6_T7_T9_mT8_P12ihipStream_tbDpT10_ENKUlT_T0_E_clISt17integral_constantIbLb0EES1A_EEDaS15_S16_EUlS15_E_NS1_11comp_targetILNS1_3genE8ELNS1_11target_archE1030ELNS1_3gpuE2ELNS1_3repE0EEENS1_30default_config_static_selectorELNS0_4arch9wavefront6targetE1EEEvT1_,comdat
.Lfunc_end606:
	.size	_ZN7rocprim17ROCPRIM_400000_NS6detail17trampoline_kernelINS0_14default_configENS1_25partition_config_selectorILNS1_17partition_subalgoE9EllbEEZZNS1_14partition_implILS5_9ELb0ES3_jPlS8_PNS0_10empty_typeENS0_5tupleIJS8_S9_EEENSB_IJS8_SA_EEENS0_18inequality_wrapperIZN2at6native12_GLOBAL__N_124unique_dim_cuda_templateIlEESt5tupleIJNSF_6TensorESK_SK_EERKSK_lbbbEUlllE0_EEPmJS9_EEE10hipError_tPvRmT3_T4_T5_T6_T7_T9_mT8_P12ihipStream_tbDpT10_ENKUlT_T0_E_clISt17integral_constantIbLb0EES1A_EEDaS15_S16_EUlS15_E_NS1_11comp_targetILNS1_3genE8ELNS1_11target_archE1030ELNS1_3gpuE2ELNS1_3repE0EEENS1_30default_config_static_selectorELNS0_4arch9wavefront6targetE1EEEvT1_, .Lfunc_end606-_ZN7rocprim17ROCPRIM_400000_NS6detail17trampoline_kernelINS0_14default_configENS1_25partition_config_selectorILNS1_17partition_subalgoE9EllbEEZZNS1_14partition_implILS5_9ELb0ES3_jPlS8_PNS0_10empty_typeENS0_5tupleIJS8_S9_EEENSB_IJS8_SA_EEENS0_18inequality_wrapperIZN2at6native12_GLOBAL__N_124unique_dim_cuda_templateIlEESt5tupleIJNSF_6TensorESK_SK_EERKSK_lbbbEUlllE0_EEPmJS9_EEE10hipError_tPvRmT3_T4_T5_T6_T7_T9_mT8_P12ihipStream_tbDpT10_ENKUlT_T0_E_clISt17integral_constantIbLb0EES1A_EEDaS15_S16_EUlS15_E_NS1_11comp_targetILNS1_3genE8ELNS1_11target_archE1030ELNS1_3gpuE2ELNS1_3repE0EEENS1_30default_config_static_selectorELNS0_4arch9wavefront6targetE1EEEvT1_
                                        ; -- End function
	.section	.AMDGPU.csdata,"",@progbits
; Kernel info:
; codeLenInByte = 0
; NumSgprs: 6
; NumVgprs: 0
; NumAgprs: 0
; TotalNumVgprs: 0
; ScratchSize: 0
; MemoryBound: 0
; FloatMode: 240
; IeeeMode: 1
; LDSByteSize: 0 bytes/workgroup (compile time only)
; SGPRBlocks: 0
; VGPRBlocks: 0
; NumSGPRsForWavesPerEU: 6
; NumVGPRsForWavesPerEU: 1
; AccumOffset: 4
; Occupancy: 8
; WaveLimiterHint : 0
; COMPUTE_PGM_RSRC2:SCRATCH_EN: 0
; COMPUTE_PGM_RSRC2:USER_SGPR: 2
; COMPUTE_PGM_RSRC2:TRAP_HANDLER: 0
; COMPUTE_PGM_RSRC2:TGID_X_EN: 1
; COMPUTE_PGM_RSRC2:TGID_Y_EN: 0
; COMPUTE_PGM_RSRC2:TGID_Z_EN: 0
; COMPUTE_PGM_RSRC2:TIDIG_COMP_CNT: 0
; COMPUTE_PGM_RSRC3_GFX90A:ACCUM_OFFSET: 0
; COMPUTE_PGM_RSRC3_GFX90A:TG_SPLIT: 0
	.section	.text._ZN7rocprim17ROCPRIM_400000_NS6detail17trampoline_kernelINS0_14default_configENS1_25partition_config_selectorILNS1_17partition_subalgoE9EllbEEZZNS1_14partition_implILS5_9ELb0ES3_jPlS8_PNS0_10empty_typeENS0_5tupleIJS8_S9_EEENSB_IJS8_SA_EEENS0_18inequality_wrapperIZN2at6native12_GLOBAL__N_124unique_dim_cuda_templateIlEESt5tupleIJNSF_6TensorESK_SK_EERKSK_lbbbEUlllE0_EEPmJS9_EEE10hipError_tPvRmT3_T4_T5_T6_T7_T9_mT8_P12ihipStream_tbDpT10_ENKUlT_T0_E_clISt17integral_constantIbLb1EES1A_EEDaS15_S16_EUlS15_E_NS1_11comp_targetILNS1_3genE0ELNS1_11target_archE4294967295ELNS1_3gpuE0ELNS1_3repE0EEENS1_30default_config_static_selectorELNS0_4arch9wavefront6targetE1EEEvT1_,"axG",@progbits,_ZN7rocprim17ROCPRIM_400000_NS6detail17trampoline_kernelINS0_14default_configENS1_25partition_config_selectorILNS1_17partition_subalgoE9EllbEEZZNS1_14partition_implILS5_9ELb0ES3_jPlS8_PNS0_10empty_typeENS0_5tupleIJS8_S9_EEENSB_IJS8_SA_EEENS0_18inequality_wrapperIZN2at6native12_GLOBAL__N_124unique_dim_cuda_templateIlEESt5tupleIJNSF_6TensorESK_SK_EERKSK_lbbbEUlllE0_EEPmJS9_EEE10hipError_tPvRmT3_T4_T5_T6_T7_T9_mT8_P12ihipStream_tbDpT10_ENKUlT_T0_E_clISt17integral_constantIbLb1EES1A_EEDaS15_S16_EUlS15_E_NS1_11comp_targetILNS1_3genE0ELNS1_11target_archE4294967295ELNS1_3gpuE0ELNS1_3repE0EEENS1_30default_config_static_selectorELNS0_4arch9wavefront6targetE1EEEvT1_,comdat
	.globl	_ZN7rocprim17ROCPRIM_400000_NS6detail17trampoline_kernelINS0_14default_configENS1_25partition_config_selectorILNS1_17partition_subalgoE9EllbEEZZNS1_14partition_implILS5_9ELb0ES3_jPlS8_PNS0_10empty_typeENS0_5tupleIJS8_S9_EEENSB_IJS8_SA_EEENS0_18inequality_wrapperIZN2at6native12_GLOBAL__N_124unique_dim_cuda_templateIlEESt5tupleIJNSF_6TensorESK_SK_EERKSK_lbbbEUlllE0_EEPmJS9_EEE10hipError_tPvRmT3_T4_T5_T6_T7_T9_mT8_P12ihipStream_tbDpT10_ENKUlT_T0_E_clISt17integral_constantIbLb1EES1A_EEDaS15_S16_EUlS15_E_NS1_11comp_targetILNS1_3genE0ELNS1_11target_archE4294967295ELNS1_3gpuE0ELNS1_3repE0EEENS1_30default_config_static_selectorELNS0_4arch9wavefront6targetE1EEEvT1_ ; -- Begin function _ZN7rocprim17ROCPRIM_400000_NS6detail17trampoline_kernelINS0_14default_configENS1_25partition_config_selectorILNS1_17partition_subalgoE9EllbEEZZNS1_14partition_implILS5_9ELb0ES3_jPlS8_PNS0_10empty_typeENS0_5tupleIJS8_S9_EEENSB_IJS8_SA_EEENS0_18inequality_wrapperIZN2at6native12_GLOBAL__N_124unique_dim_cuda_templateIlEESt5tupleIJNSF_6TensorESK_SK_EERKSK_lbbbEUlllE0_EEPmJS9_EEE10hipError_tPvRmT3_T4_T5_T6_T7_T9_mT8_P12ihipStream_tbDpT10_ENKUlT_T0_E_clISt17integral_constantIbLb1EES1A_EEDaS15_S16_EUlS15_E_NS1_11comp_targetILNS1_3genE0ELNS1_11target_archE4294967295ELNS1_3gpuE0ELNS1_3repE0EEENS1_30default_config_static_selectorELNS0_4arch9wavefront6targetE1EEEvT1_
	.p2align	8
	.type	_ZN7rocprim17ROCPRIM_400000_NS6detail17trampoline_kernelINS0_14default_configENS1_25partition_config_selectorILNS1_17partition_subalgoE9EllbEEZZNS1_14partition_implILS5_9ELb0ES3_jPlS8_PNS0_10empty_typeENS0_5tupleIJS8_S9_EEENSB_IJS8_SA_EEENS0_18inequality_wrapperIZN2at6native12_GLOBAL__N_124unique_dim_cuda_templateIlEESt5tupleIJNSF_6TensorESK_SK_EERKSK_lbbbEUlllE0_EEPmJS9_EEE10hipError_tPvRmT3_T4_T5_T6_T7_T9_mT8_P12ihipStream_tbDpT10_ENKUlT_T0_E_clISt17integral_constantIbLb1EES1A_EEDaS15_S16_EUlS15_E_NS1_11comp_targetILNS1_3genE0ELNS1_11target_archE4294967295ELNS1_3gpuE0ELNS1_3repE0EEENS1_30default_config_static_selectorELNS0_4arch9wavefront6targetE1EEEvT1_,@function
_ZN7rocprim17ROCPRIM_400000_NS6detail17trampoline_kernelINS0_14default_configENS1_25partition_config_selectorILNS1_17partition_subalgoE9EllbEEZZNS1_14partition_implILS5_9ELb0ES3_jPlS8_PNS0_10empty_typeENS0_5tupleIJS8_S9_EEENSB_IJS8_SA_EEENS0_18inequality_wrapperIZN2at6native12_GLOBAL__N_124unique_dim_cuda_templateIlEESt5tupleIJNSF_6TensorESK_SK_EERKSK_lbbbEUlllE0_EEPmJS9_EEE10hipError_tPvRmT3_T4_T5_T6_T7_T9_mT8_P12ihipStream_tbDpT10_ENKUlT_T0_E_clISt17integral_constantIbLb1EES1A_EEDaS15_S16_EUlS15_E_NS1_11comp_targetILNS1_3genE0ELNS1_11target_archE4294967295ELNS1_3gpuE0ELNS1_3repE0EEENS1_30default_config_static_selectorELNS0_4arch9wavefront6targetE1EEEvT1_: ; @_ZN7rocprim17ROCPRIM_400000_NS6detail17trampoline_kernelINS0_14default_configENS1_25partition_config_selectorILNS1_17partition_subalgoE9EllbEEZZNS1_14partition_implILS5_9ELb0ES3_jPlS8_PNS0_10empty_typeENS0_5tupleIJS8_S9_EEENSB_IJS8_SA_EEENS0_18inequality_wrapperIZN2at6native12_GLOBAL__N_124unique_dim_cuda_templateIlEESt5tupleIJNSF_6TensorESK_SK_EERKSK_lbbbEUlllE0_EEPmJS9_EEE10hipError_tPvRmT3_T4_T5_T6_T7_T9_mT8_P12ihipStream_tbDpT10_ENKUlT_T0_E_clISt17integral_constantIbLb1EES1A_EEDaS15_S16_EUlS15_E_NS1_11comp_targetILNS1_3genE0ELNS1_11target_archE4294967295ELNS1_3gpuE0ELNS1_3repE0EEENS1_30default_config_static_selectorELNS0_4arch9wavefront6targetE1EEEvT1_
; %bb.0:
	.section	.rodata,"a",@progbits
	.p2align	6, 0x0
	.amdhsa_kernel _ZN7rocprim17ROCPRIM_400000_NS6detail17trampoline_kernelINS0_14default_configENS1_25partition_config_selectorILNS1_17partition_subalgoE9EllbEEZZNS1_14partition_implILS5_9ELb0ES3_jPlS8_PNS0_10empty_typeENS0_5tupleIJS8_S9_EEENSB_IJS8_SA_EEENS0_18inequality_wrapperIZN2at6native12_GLOBAL__N_124unique_dim_cuda_templateIlEESt5tupleIJNSF_6TensorESK_SK_EERKSK_lbbbEUlllE0_EEPmJS9_EEE10hipError_tPvRmT3_T4_T5_T6_T7_T9_mT8_P12ihipStream_tbDpT10_ENKUlT_T0_E_clISt17integral_constantIbLb1EES1A_EEDaS15_S16_EUlS15_E_NS1_11comp_targetILNS1_3genE0ELNS1_11target_archE4294967295ELNS1_3gpuE0ELNS1_3repE0EEENS1_30default_config_static_selectorELNS0_4arch9wavefront6targetE1EEEvT1_
		.amdhsa_group_segment_fixed_size 0
		.amdhsa_private_segment_fixed_size 0
		.amdhsa_kernarg_size 136
		.amdhsa_user_sgpr_count 2
		.amdhsa_user_sgpr_dispatch_ptr 0
		.amdhsa_user_sgpr_queue_ptr 0
		.amdhsa_user_sgpr_kernarg_segment_ptr 1
		.amdhsa_user_sgpr_dispatch_id 0
		.amdhsa_user_sgpr_kernarg_preload_length 0
		.amdhsa_user_sgpr_kernarg_preload_offset 0
		.amdhsa_user_sgpr_private_segment_size 0
		.amdhsa_uses_dynamic_stack 0
		.amdhsa_enable_private_segment 0
		.amdhsa_system_sgpr_workgroup_id_x 1
		.amdhsa_system_sgpr_workgroup_id_y 0
		.amdhsa_system_sgpr_workgroup_id_z 0
		.amdhsa_system_sgpr_workgroup_info 0
		.amdhsa_system_vgpr_workitem_id 0
		.amdhsa_next_free_vgpr 1
		.amdhsa_next_free_sgpr 0
		.amdhsa_accum_offset 4
		.amdhsa_reserve_vcc 0
		.amdhsa_float_round_mode_32 0
		.amdhsa_float_round_mode_16_64 0
		.amdhsa_float_denorm_mode_32 3
		.amdhsa_float_denorm_mode_16_64 3
		.amdhsa_dx10_clamp 1
		.amdhsa_ieee_mode 1
		.amdhsa_fp16_overflow 0
		.amdhsa_tg_split 0
		.amdhsa_exception_fp_ieee_invalid_op 0
		.amdhsa_exception_fp_denorm_src 0
		.amdhsa_exception_fp_ieee_div_zero 0
		.amdhsa_exception_fp_ieee_overflow 0
		.amdhsa_exception_fp_ieee_underflow 0
		.amdhsa_exception_fp_ieee_inexact 0
		.amdhsa_exception_int_div_zero 0
	.end_amdhsa_kernel
	.section	.text._ZN7rocprim17ROCPRIM_400000_NS6detail17trampoline_kernelINS0_14default_configENS1_25partition_config_selectorILNS1_17partition_subalgoE9EllbEEZZNS1_14partition_implILS5_9ELb0ES3_jPlS8_PNS0_10empty_typeENS0_5tupleIJS8_S9_EEENSB_IJS8_SA_EEENS0_18inequality_wrapperIZN2at6native12_GLOBAL__N_124unique_dim_cuda_templateIlEESt5tupleIJNSF_6TensorESK_SK_EERKSK_lbbbEUlllE0_EEPmJS9_EEE10hipError_tPvRmT3_T4_T5_T6_T7_T9_mT8_P12ihipStream_tbDpT10_ENKUlT_T0_E_clISt17integral_constantIbLb1EES1A_EEDaS15_S16_EUlS15_E_NS1_11comp_targetILNS1_3genE0ELNS1_11target_archE4294967295ELNS1_3gpuE0ELNS1_3repE0EEENS1_30default_config_static_selectorELNS0_4arch9wavefront6targetE1EEEvT1_,"axG",@progbits,_ZN7rocprim17ROCPRIM_400000_NS6detail17trampoline_kernelINS0_14default_configENS1_25partition_config_selectorILNS1_17partition_subalgoE9EllbEEZZNS1_14partition_implILS5_9ELb0ES3_jPlS8_PNS0_10empty_typeENS0_5tupleIJS8_S9_EEENSB_IJS8_SA_EEENS0_18inequality_wrapperIZN2at6native12_GLOBAL__N_124unique_dim_cuda_templateIlEESt5tupleIJNSF_6TensorESK_SK_EERKSK_lbbbEUlllE0_EEPmJS9_EEE10hipError_tPvRmT3_T4_T5_T6_T7_T9_mT8_P12ihipStream_tbDpT10_ENKUlT_T0_E_clISt17integral_constantIbLb1EES1A_EEDaS15_S16_EUlS15_E_NS1_11comp_targetILNS1_3genE0ELNS1_11target_archE4294967295ELNS1_3gpuE0ELNS1_3repE0EEENS1_30default_config_static_selectorELNS0_4arch9wavefront6targetE1EEEvT1_,comdat
.Lfunc_end607:
	.size	_ZN7rocprim17ROCPRIM_400000_NS6detail17trampoline_kernelINS0_14default_configENS1_25partition_config_selectorILNS1_17partition_subalgoE9EllbEEZZNS1_14partition_implILS5_9ELb0ES3_jPlS8_PNS0_10empty_typeENS0_5tupleIJS8_S9_EEENSB_IJS8_SA_EEENS0_18inequality_wrapperIZN2at6native12_GLOBAL__N_124unique_dim_cuda_templateIlEESt5tupleIJNSF_6TensorESK_SK_EERKSK_lbbbEUlllE0_EEPmJS9_EEE10hipError_tPvRmT3_T4_T5_T6_T7_T9_mT8_P12ihipStream_tbDpT10_ENKUlT_T0_E_clISt17integral_constantIbLb1EES1A_EEDaS15_S16_EUlS15_E_NS1_11comp_targetILNS1_3genE0ELNS1_11target_archE4294967295ELNS1_3gpuE0ELNS1_3repE0EEENS1_30default_config_static_selectorELNS0_4arch9wavefront6targetE1EEEvT1_, .Lfunc_end607-_ZN7rocprim17ROCPRIM_400000_NS6detail17trampoline_kernelINS0_14default_configENS1_25partition_config_selectorILNS1_17partition_subalgoE9EllbEEZZNS1_14partition_implILS5_9ELb0ES3_jPlS8_PNS0_10empty_typeENS0_5tupleIJS8_S9_EEENSB_IJS8_SA_EEENS0_18inequality_wrapperIZN2at6native12_GLOBAL__N_124unique_dim_cuda_templateIlEESt5tupleIJNSF_6TensorESK_SK_EERKSK_lbbbEUlllE0_EEPmJS9_EEE10hipError_tPvRmT3_T4_T5_T6_T7_T9_mT8_P12ihipStream_tbDpT10_ENKUlT_T0_E_clISt17integral_constantIbLb1EES1A_EEDaS15_S16_EUlS15_E_NS1_11comp_targetILNS1_3genE0ELNS1_11target_archE4294967295ELNS1_3gpuE0ELNS1_3repE0EEENS1_30default_config_static_selectorELNS0_4arch9wavefront6targetE1EEEvT1_
                                        ; -- End function
	.section	.AMDGPU.csdata,"",@progbits
; Kernel info:
; codeLenInByte = 0
; NumSgprs: 6
; NumVgprs: 0
; NumAgprs: 0
; TotalNumVgprs: 0
; ScratchSize: 0
; MemoryBound: 0
; FloatMode: 240
; IeeeMode: 1
; LDSByteSize: 0 bytes/workgroup (compile time only)
; SGPRBlocks: 0
; VGPRBlocks: 0
; NumSGPRsForWavesPerEU: 6
; NumVGPRsForWavesPerEU: 1
; AccumOffset: 4
; Occupancy: 8
; WaveLimiterHint : 0
; COMPUTE_PGM_RSRC2:SCRATCH_EN: 0
; COMPUTE_PGM_RSRC2:USER_SGPR: 2
; COMPUTE_PGM_RSRC2:TRAP_HANDLER: 0
; COMPUTE_PGM_RSRC2:TGID_X_EN: 1
; COMPUTE_PGM_RSRC2:TGID_Y_EN: 0
; COMPUTE_PGM_RSRC2:TGID_Z_EN: 0
; COMPUTE_PGM_RSRC2:TIDIG_COMP_CNT: 0
; COMPUTE_PGM_RSRC3_GFX90A:ACCUM_OFFSET: 0
; COMPUTE_PGM_RSRC3_GFX90A:TG_SPLIT: 0
	.section	.text._ZN7rocprim17ROCPRIM_400000_NS6detail17trampoline_kernelINS0_14default_configENS1_25partition_config_selectorILNS1_17partition_subalgoE9EllbEEZZNS1_14partition_implILS5_9ELb0ES3_jPlS8_PNS0_10empty_typeENS0_5tupleIJS8_S9_EEENSB_IJS8_SA_EEENS0_18inequality_wrapperIZN2at6native12_GLOBAL__N_124unique_dim_cuda_templateIlEESt5tupleIJNSF_6TensorESK_SK_EERKSK_lbbbEUlllE0_EEPmJS9_EEE10hipError_tPvRmT3_T4_T5_T6_T7_T9_mT8_P12ihipStream_tbDpT10_ENKUlT_T0_E_clISt17integral_constantIbLb1EES1A_EEDaS15_S16_EUlS15_E_NS1_11comp_targetILNS1_3genE5ELNS1_11target_archE942ELNS1_3gpuE9ELNS1_3repE0EEENS1_30default_config_static_selectorELNS0_4arch9wavefront6targetE1EEEvT1_,"axG",@progbits,_ZN7rocprim17ROCPRIM_400000_NS6detail17trampoline_kernelINS0_14default_configENS1_25partition_config_selectorILNS1_17partition_subalgoE9EllbEEZZNS1_14partition_implILS5_9ELb0ES3_jPlS8_PNS0_10empty_typeENS0_5tupleIJS8_S9_EEENSB_IJS8_SA_EEENS0_18inequality_wrapperIZN2at6native12_GLOBAL__N_124unique_dim_cuda_templateIlEESt5tupleIJNSF_6TensorESK_SK_EERKSK_lbbbEUlllE0_EEPmJS9_EEE10hipError_tPvRmT3_T4_T5_T6_T7_T9_mT8_P12ihipStream_tbDpT10_ENKUlT_T0_E_clISt17integral_constantIbLb1EES1A_EEDaS15_S16_EUlS15_E_NS1_11comp_targetILNS1_3genE5ELNS1_11target_archE942ELNS1_3gpuE9ELNS1_3repE0EEENS1_30default_config_static_selectorELNS0_4arch9wavefront6targetE1EEEvT1_,comdat
	.globl	_ZN7rocprim17ROCPRIM_400000_NS6detail17trampoline_kernelINS0_14default_configENS1_25partition_config_selectorILNS1_17partition_subalgoE9EllbEEZZNS1_14partition_implILS5_9ELb0ES3_jPlS8_PNS0_10empty_typeENS0_5tupleIJS8_S9_EEENSB_IJS8_SA_EEENS0_18inequality_wrapperIZN2at6native12_GLOBAL__N_124unique_dim_cuda_templateIlEESt5tupleIJNSF_6TensorESK_SK_EERKSK_lbbbEUlllE0_EEPmJS9_EEE10hipError_tPvRmT3_T4_T5_T6_T7_T9_mT8_P12ihipStream_tbDpT10_ENKUlT_T0_E_clISt17integral_constantIbLb1EES1A_EEDaS15_S16_EUlS15_E_NS1_11comp_targetILNS1_3genE5ELNS1_11target_archE942ELNS1_3gpuE9ELNS1_3repE0EEENS1_30default_config_static_selectorELNS0_4arch9wavefront6targetE1EEEvT1_ ; -- Begin function _ZN7rocprim17ROCPRIM_400000_NS6detail17trampoline_kernelINS0_14default_configENS1_25partition_config_selectorILNS1_17partition_subalgoE9EllbEEZZNS1_14partition_implILS5_9ELb0ES3_jPlS8_PNS0_10empty_typeENS0_5tupleIJS8_S9_EEENSB_IJS8_SA_EEENS0_18inequality_wrapperIZN2at6native12_GLOBAL__N_124unique_dim_cuda_templateIlEESt5tupleIJNSF_6TensorESK_SK_EERKSK_lbbbEUlllE0_EEPmJS9_EEE10hipError_tPvRmT3_T4_T5_T6_T7_T9_mT8_P12ihipStream_tbDpT10_ENKUlT_T0_E_clISt17integral_constantIbLb1EES1A_EEDaS15_S16_EUlS15_E_NS1_11comp_targetILNS1_3genE5ELNS1_11target_archE942ELNS1_3gpuE9ELNS1_3repE0EEENS1_30default_config_static_selectorELNS0_4arch9wavefront6targetE1EEEvT1_
	.p2align	8
	.type	_ZN7rocprim17ROCPRIM_400000_NS6detail17trampoline_kernelINS0_14default_configENS1_25partition_config_selectorILNS1_17partition_subalgoE9EllbEEZZNS1_14partition_implILS5_9ELb0ES3_jPlS8_PNS0_10empty_typeENS0_5tupleIJS8_S9_EEENSB_IJS8_SA_EEENS0_18inequality_wrapperIZN2at6native12_GLOBAL__N_124unique_dim_cuda_templateIlEESt5tupleIJNSF_6TensorESK_SK_EERKSK_lbbbEUlllE0_EEPmJS9_EEE10hipError_tPvRmT3_T4_T5_T6_T7_T9_mT8_P12ihipStream_tbDpT10_ENKUlT_T0_E_clISt17integral_constantIbLb1EES1A_EEDaS15_S16_EUlS15_E_NS1_11comp_targetILNS1_3genE5ELNS1_11target_archE942ELNS1_3gpuE9ELNS1_3repE0EEENS1_30default_config_static_selectorELNS0_4arch9wavefront6targetE1EEEvT1_,@function
_ZN7rocprim17ROCPRIM_400000_NS6detail17trampoline_kernelINS0_14default_configENS1_25partition_config_selectorILNS1_17partition_subalgoE9EllbEEZZNS1_14partition_implILS5_9ELb0ES3_jPlS8_PNS0_10empty_typeENS0_5tupleIJS8_S9_EEENSB_IJS8_SA_EEENS0_18inequality_wrapperIZN2at6native12_GLOBAL__N_124unique_dim_cuda_templateIlEESt5tupleIJNSF_6TensorESK_SK_EERKSK_lbbbEUlllE0_EEPmJS9_EEE10hipError_tPvRmT3_T4_T5_T6_T7_T9_mT8_P12ihipStream_tbDpT10_ENKUlT_T0_E_clISt17integral_constantIbLb1EES1A_EEDaS15_S16_EUlS15_E_NS1_11comp_targetILNS1_3genE5ELNS1_11target_archE942ELNS1_3gpuE9ELNS1_3repE0EEENS1_30default_config_static_selectorELNS0_4arch9wavefront6targetE1EEEvT1_: ; @_ZN7rocprim17ROCPRIM_400000_NS6detail17trampoline_kernelINS0_14default_configENS1_25partition_config_selectorILNS1_17partition_subalgoE9EllbEEZZNS1_14partition_implILS5_9ELb0ES3_jPlS8_PNS0_10empty_typeENS0_5tupleIJS8_S9_EEENSB_IJS8_SA_EEENS0_18inequality_wrapperIZN2at6native12_GLOBAL__N_124unique_dim_cuda_templateIlEESt5tupleIJNSF_6TensorESK_SK_EERKSK_lbbbEUlllE0_EEPmJS9_EEE10hipError_tPvRmT3_T4_T5_T6_T7_T9_mT8_P12ihipStream_tbDpT10_ENKUlT_T0_E_clISt17integral_constantIbLb1EES1A_EEDaS15_S16_EUlS15_E_NS1_11comp_targetILNS1_3genE5ELNS1_11target_archE942ELNS1_3gpuE9ELNS1_3repE0EEENS1_30default_config_static_selectorELNS0_4arch9wavefront6targetE1EEEvT1_
; %bb.0:
	s_load_dwordx4 s[4:7], s[0:1], 0x8
	s_load_dwordx2 s[10:11], s[0:1], 0x18
	s_load_dwordx8 s[20:27], s[0:1], 0x40
	s_load_dwordx4 s[36:39], s[0:1], 0x60
	v_cmp_ne_u32_e64 s[2:3], 0, v0
	v_cmp_eq_u32_e64 s[18:19], 0, v0
	s_and_saveexec_b64 s[8:9], s[18:19]
	s_cbranch_execz .LBB608_4
; %bb.1:
	s_mov_b64 s[14:15], exec
	v_mbcnt_lo_u32_b32 v1, s14, 0
	v_mbcnt_hi_u32_b32 v1, s15, v1
	v_cmp_eq_u32_e32 vcc, 0, v1
                                        ; implicit-def: $vgpr2
	s_and_saveexec_b64 s[12:13], vcc
	s_cbranch_execz .LBB608_3
; %bb.2:
	s_load_dwordx2 s[16:17], s[0:1], 0x78
	s_bcnt1_i32_b64 s14, s[14:15]
	v_mov_b32_e32 v2, 0
	v_mov_b32_e32 v3, s14
	s_waitcnt lgkmcnt(0)
	global_atomic_add v2, v2, v3, s[16:17] sc0
.LBB608_3:
	s_or_b64 exec, exec, s[12:13]
	s_waitcnt vmcnt(0)
	v_readfirstlane_b32 s12, v2
	v_mov_b32_e32 v2, 0
	s_nop 0
	v_add_u32_e32 v1, s12, v1
	ds_write_b32 v2, v1
.LBB608_4:
	s_or_b64 exec, exec, s[8:9]
	v_mov_b32_e32 v3, 0
	s_load_dwordx4 s[28:31], s[0:1], 0x28
	s_load_dword s8, s[0:1], 0x70
	s_waitcnt lgkmcnt(0)
	s_barrier
	ds_read_b32 v1, v3
	s_waitcnt lgkmcnt(0)
	s_barrier
	global_load_dwordx2 v[4:5], v3, s[22:23]
	s_lshl_b64 s[12:13], s[6:7], 3
	s_mul_i32 s14, s8, 0xe00
	s_add_u32 s16, s4, s12
	s_addc_u32 s17, s5, s13
	s_add_i32 s4, s14, s6
	s_sub_i32 s54, s24, s4
	s_add_i32 s15, s8, -1
	s_addk_i32 s54, 0xe00
	s_add_u32 s4, s6, s14
	v_readfirstlane_b32 s33, v1
	s_addc_u32 s5, s7, 0
	v_mov_b32_e32 v6, s24
	v_mov_b32_e32 v7, s25
	s_cmp_eq_u32 s33, s15
	s_mov_b32 s9, 0
	s_mul_i32 s8, s33, 0xe00
	v_cmp_ge_u64_e32 vcc, s[4:5], v[6:7]
	s_cselect_b64 s[24:25], -1, 0
	s_lshl_b64 s[14:15], s[8:9], 3
	s_and_b64 s[8:9], vcc, s[24:25]
	s_xor_b64 s[34:35], s[8:9], -1
	s_add_u32 s4, s16, s14
	s_mov_b64 s[0:1], -1
	s_addc_u32 s5, s17, s15
	s_and_b64 vcc, exec, s[34:35]
	s_waitcnt vmcnt(0)
	v_readfirstlane_b32 s22, v4
	v_readfirstlane_b32 s23, v5
	s_cbranch_vccz .LBB608_6
; %bb.5:
	v_lshlrev_b32_e32 v2, 3, v0
	v_lshl_add_u64 v[4:5], s[4:5], 0, v[2:3]
	v_add_co_u32_e32 v8, vcc, 0x1000, v4
	global_load_dwordx2 v[6:7], v2, s[4:5]
	s_nop 0
	v_addc_co_u32_e32 v9, vcc, 0, v5, vcc
	v_add_co_u32_e32 v10, vcc, 0x2000, v4
	s_mov_b64 s[0:1], 0
	s_nop 0
	v_addc_co_u32_e32 v11, vcc, 0, v5, vcc
	v_add_co_u32_e32 v12, vcc, 0x3000, v4
	s_nop 1
	v_addc_co_u32_e32 v13, vcc, 0, v5, vcc
	v_add_co_u32_e32 v14, vcc, 0x4000, v4
	s_nop 1
	v_addc_co_u32_e32 v15, vcc, 0, v5, vcc
	global_load_dwordx2 v[16:17], v[8:9], off
	global_load_dwordx2 v[18:19], v[10:11], off
	;; [unrolled: 1-line block ×4, first 2 shown]
	v_add_co_u32_e32 v8, vcc, 0x5000, v4
	s_nop 1
	v_addc_co_u32_e32 v9, vcc, 0, v5, vcc
	v_add_co_u32_e32 v4, vcc, 0x6000, v4
	global_load_dwordx2 v[8:9], v[8:9], off
	s_nop 0
	v_addc_co_u32_e32 v5, vcc, 0, v5, vcc
	global_load_dwordx2 v[4:5], v[4:5], off
	s_waitcnt vmcnt(5)
	ds_write2st64_b64 v2, v[6:7], v[16:17] offset1:8
	s_waitcnt vmcnt(3)
	ds_write2st64_b64 v2, v[18:19], v[20:21] offset0:16 offset1:24
	s_waitcnt vmcnt(1)
	ds_write2st64_b64 v2, v[22:23], v[8:9] offset0:32 offset1:40
	s_waitcnt vmcnt(0)
	ds_write_b64 v2, v[4:5] offset:24576
	s_waitcnt lgkmcnt(0)
	s_barrier
.LBB608_6:
	s_andn2_b64 vcc, exec, s[0:1]
	v_cmp_gt_u32_e64 s[0:1], s54, v0
	s_cbranch_vccnz .LBB608_22
; %bb.7:
                                        ; implicit-def: $vgpr2_vgpr3_vgpr4_vgpr5_vgpr6_vgpr7_vgpr8_vgpr9_vgpr10_vgpr11_vgpr12_vgpr13_vgpr14_vgpr15_vgpr16_vgpr17
	s_and_saveexec_b64 s[16:17], s[0:1]
	s_cbranch_execz .LBB608_9
; %bb.8:
	v_lshlrev_b32_e32 v1, 3, v0
	global_load_dwordx2 v[2:3], v1, s[4:5]
.LBB608_9:
	s_or_b64 exec, exec, s[16:17]
	v_or_b32_e32 v1, 0x200, v0
	v_cmp_gt_u32_e32 vcc, s54, v1
	s_and_saveexec_b64 s[0:1], vcc
	s_cbranch_execz .LBB608_11
; %bb.10:
	v_lshlrev_b32_e32 v1, 3, v1
	global_load_dwordx2 v[4:5], v1, s[4:5]
.LBB608_11:
	s_or_b64 exec, exec, s[0:1]
	v_or_b32_e32 v1, 0x400, v0
	v_cmp_gt_u32_e32 vcc, s54, v1
	s_and_saveexec_b64 s[0:1], vcc
	;; [unrolled: 9-line block ×6, first 2 shown]
	s_cbranch_execz .LBB608_21
; %bb.20:
	v_lshlrev_b32_e32 v1, 3, v1
	global_load_dwordx2 v[14:15], v1, s[4:5]
.LBB608_21:
	s_or_b64 exec, exec, s[0:1]
	v_lshlrev_b32_e32 v1, 3, v0
	s_waitcnt vmcnt(0)
	ds_write2st64_b64 v1, v[2:3], v[4:5] offset1:8
	ds_write2st64_b64 v1, v[6:7], v[8:9] offset0:16 offset1:24
	ds_write2st64_b64 v1, v[10:11], v[12:13] offset0:32 offset1:40
	ds_write_b64 v1, v[14:15] offset:24576
	s_waitcnt lgkmcnt(0)
	s_barrier
.LBB608_22:
	v_mul_u32_u24_e32 v1, 7, v0
	v_lshlrev_b32_e32 v46, 3, v1
	ds_read2_b64 v[22:25], v46 offset1:1
	ds_read2_b64 v[18:21], v46 offset0:2 offset1:3
	ds_read2_b64 v[14:17], v46 offset0:4 offset1:5
	ds_read_b64 v[28:29], v46 offset:48
	s_add_u32 s0, s10, s12
	s_addc_u32 s1, s11, s13
	s_add_u32 s0, s0, s14
	s_addc_u32 s1, s1, s15
	s_mov_b64 s[10:11], -1
	s_and_b64 vcc, exec, s[34:35]
	s_waitcnt lgkmcnt(0)
	s_barrier
	s_cbranch_vccz .LBB608_24
; %bb.23:
	v_lshlrev_b32_e32 v2, 3, v0
	v_mov_b32_e32 v3, 0
	v_lshl_add_u64 v[4:5], s[0:1], 0, v[2:3]
	v_add_co_u32_e32 v8, vcc, 0x1000, v4
	global_load_dwordx2 v[6:7], v2, s[0:1]
	s_nop 0
	v_addc_co_u32_e32 v9, vcc, 0, v5, vcc
	v_add_co_u32_e32 v10, vcc, 0x2000, v4
	s_mov_b64 s[10:11], 0
	s_nop 0
	v_addc_co_u32_e32 v11, vcc, 0, v5, vcc
	v_add_co_u32_e32 v12, vcc, 0x3000, v4
	s_nop 1
	v_addc_co_u32_e32 v13, vcc, 0, v5, vcc
	v_add_co_u32_e32 v26, vcc, 0x4000, v4
	s_nop 1
	v_addc_co_u32_e32 v27, vcc, 0, v5, vcc
	global_load_dwordx2 v[30:31], v[8:9], off
	global_load_dwordx2 v[32:33], v[10:11], off
	;; [unrolled: 1-line block ×4, first 2 shown]
	v_add_co_u32_e32 v8, vcc, 0x5000, v4
	s_nop 1
	v_addc_co_u32_e32 v9, vcc, 0, v5, vcc
	v_add_co_u32_e32 v4, vcc, 0x6000, v4
	global_load_dwordx2 v[8:9], v[8:9], off
	s_nop 0
	v_addc_co_u32_e32 v5, vcc, 0, v5, vcc
	global_load_dwordx2 v[4:5], v[4:5], off
	s_waitcnt vmcnt(5)
	ds_write2st64_b64 v2, v[6:7], v[30:31] offset1:8
	s_waitcnt vmcnt(3)
	ds_write2st64_b64 v2, v[32:33], v[34:35] offset0:16 offset1:24
	s_waitcnt vmcnt(1)
	ds_write2st64_b64 v2, v[36:37], v[8:9] offset0:32 offset1:40
	s_waitcnt vmcnt(0)
	ds_write_b64 v2, v[4:5] offset:24576
	s_waitcnt lgkmcnt(0)
	s_barrier
.LBB608_24:
	s_andn2_b64 vcc, exec, s[10:11]
	s_cbranch_vccnz .LBB608_40
; %bb.25:
	v_cmp_gt_u32_e32 vcc, s54, v0
                                        ; implicit-def: $vgpr2_vgpr3
	s_and_saveexec_b64 s[10:11], vcc
	s_cbranch_execz .LBB608_27
; %bb.26:
	v_lshlrev_b32_e32 v2, 3, v0
	global_load_dwordx2 v[2:3], v2, s[0:1]
.LBB608_27:
	s_or_b64 exec, exec, s[10:11]
	v_or_b32_e32 v6, 0x200, v0
	v_cmp_gt_u32_e32 vcc, s54, v6
                                        ; implicit-def: $vgpr4_vgpr5
	s_and_saveexec_b64 s[10:11], vcc
	s_cbranch_execz .LBB608_29
; %bb.28:
	v_lshlrev_b32_e32 v4, 3, v6
	global_load_dwordx2 v[4:5], v4, s[0:1]
.LBB608_29:
	s_or_b64 exec, exec, s[10:11]
	v_or_b32_e32 v8, 0x400, v0
	v_cmp_gt_u32_e32 vcc, s54, v8
                                        ; implicit-def: $vgpr6_vgpr7
	s_and_saveexec_b64 s[10:11], vcc
	s_cbranch_execz .LBB608_31
; %bb.30:
	v_lshlrev_b32_e32 v6, 3, v8
	global_load_dwordx2 v[6:7], v6, s[0:1]
.LBB608_31:
	s_or_b64 exec, exec, s[10:11]
	v_or_b32_e32 v10, 0x600, v0
	v_cmp_gt_u32_e32 vcc, s54, v10
                                        ; implicit-def: $vgpr8_vgpr9
	s_and_saveexec_b64 s[10:11], vcc
	s_cbranch_execz .LBB608_33
; %bb.32:
	v_lshlrev_b32_e32 v8, 3, v10
	global_load_dwordx2 v[8:9], v8, s[0:1]
.LBB608_33:
	s_or_b64 exec, exec, s[10:11]
	v_or_b32_e32 v12, 0x800, v0
	v_cmp_gt_u32_e32 vcc, s54, v12
                                        ; implicit-def: $vgpr10_vgpr11
	s_and_saveexec_b64 s[10:11], vcc
	s_cbranch_execz .LBB608_35
; %bb.34:
	v_lshlrev_b32_e32 v10, 3, v12
	global_load_dwordx2 v[10:11], v10, s[0:1]
.LBB608_35:
	s_or_b64 exec, exec, s[10:11]
	v_or_b32_e32 v26, 0xa00, v0
	v_cmp_gt_u32_e32 vcc, s54, v26
                                        ; implicit-def: $vgpr12_vgpr13
	s_and_saveexec_b64 s[10:11], vcc
	s_cbranch_execz .LBB608_37
; %bb.36:
	v_lshlrev_b32_e32 v12, 3, v26
	global_load_dwordx2 v[12:13], v12, s[0:1]
.LBB608_37:
	s_or_b64 exec, exec, s[10:11]
	v_or_b32_e32 v30, 0xc00, v0
	v_cmp_gt_u32_e32 vcc, s54, v30
                                        ; implicit-def: $vgpr26_vgpr27
	s_and_saveexec_b64 s[10:11], vcc
	s_cbranch_execz .LBB608_39
; %bb.38:
	v_lshlrev_b32_e32 v26, 3, v30
	global_load_dwordx2 v[26:27], v26, s[0:1]
.LBB608_39:
	s_or_b64 exec, exec, s[10:11]
	s_movk_i32 s0, 0xffd0
	v_mad_i32_i24 v30, v0, s0, v46
	s_waitcnt vmcnt(0)
	ds_write2st64_b64 v30, v[2:3], v[4:5] offset1:8
	ds_write2st64_b64 v30, v[6:7], v[8:9] offset0:16 offset1:24
	ds_write2st64_b64 v30, v[10:11], v[12:13] offset0:32 offset1:40
	ds_write_b64 v30, v[26:27] offset:24576
	s_waitcnt lgkmcnt(0)
	s_barrier
.LBB608_40:
	ds_read2_b64 v[10:13], v46 offset1:1
	ds_read2_b64 v[6:9], v46 offset0:2 offset1:3
	ds_read2_b64 v[2:5], v46 offset0:4 offset1:5
	ds_read_b64 v[26:27], v46 offset:48
	s_cmp_lg_u32 s33, 0
	s_cselect_b64 s[0:1], -1, 0
	s_cmp_lg_u64 s[6:7], 0
	s_cselect_b64 s[6:7], -1, 0
	s_or_b64 s[6:7], s[6:7], s[0:1]
	v_add_u32_e32 v43, 1, v1
	v_add_u32_e32 v40, 2, v1
	v_add_u32_e32 v44, 3, v1
	v_add_u32_e32 v41, 4, v1
	v_add_u32_e32 v45, 5, v1
	v_add_u32_e32 v42, 6, v1
	s_mov_b64 s[10:11], 0
	s_and_b64 vcc, exec, s[6:7]
	v_cmp_gt_i64_e64 s[12:13], s[26:27], 0
	s_waitcnt lgkmcnt(0)
	s_barrier
	s_cbranch_vccz .LBB608_49
; %bb.41:
	v_mov_b32_e32 v30, 0
	global_load_dwordx2 v[30:31], v30, s[4:5] offset:-8
	v_cndmask_b32_e64 v32, 0, 1, s[12:13]
	v_lshlrev_b32_e32 v47, 3, v0
	s_mov_b64 s[6:7], 0
	s_and_b64 vcc, exec, s[34:35]
	v_cmp_ne_u32_e64 s[4:5], 1, v32
	ds_write_b64 v47, v[28:29]
	s_cbranch_vccz .LBB608_51
; %bb.42:
	v_mul_lo_u32 v34, v17, s26
	v_mul_lo_u32 v35, v16, s27
	v_mad_u64_u32 v[32:33], s[10:11], v16, s26, 0
	v_add3_u32 v33, v33, v35, v34
	s_and_b64 vcc, exec, s[4:5]
	v_lshl_add_u64 v[32:33], v[32:33], 3, s[36:37]
	s_cbranch_vccnz .LBB608_54
; %bb.43:
	v_mul_lo_u32 v36, v29, s26
	v_mul_lo_u32 v37, v28, s27
	v_mad_u64_u32 v[34:35], s[6:7], v28, s26, 0
	v_add3_u32 v35, v35, v37, v36
	v_lshl_add_u64 v[34:35], v[34:35], 3, s[36:37]
	global_load_dwordx2 v[36:37], v[32:33], off
	global_load_dwordx2 v[38:39], v[34:35], off
	s_mov_b64 s[6:7], -1
	s_waitcnt vmcnt(0)
	v_cmp_eq_u64_e32 vcc, v[36:37], v[38:39]
	s_and_saveexec_b64 s[10:11], vcc
	s_cbranch_execz .LBB608_53
; %bb.44:
	s_add_u32 s6, s26, -1
	v_lshl_add_u64 v[34:35], v[34:35], 0, 8
	v_lshl_add_u64 v[36:37], v[32:33], 0, 8
	s_addc_u32 s7, s27, -1
	s_mov_b64 s[12:13], 0
	s_mov_b64 s[16:17], 0
                                        ; implicit-def: $sgpr14_sgpr15
	s_branch .LBB608_47
.LBB608_45:                             ;   in Loop: Header=BB608_47 Depth=1
	global_load_dwordx2 v[38:39], v[36:37], off
	global_load_dwordx2 v[48:49], v[34:35], off
	s_add_u32 s16, s16, 1
	s_addc_u32 s17, s17, 0
	s_andn2_b64 s[14:15], s[14:15], exec
	v_lshl_add_u64 v[34:35], v[34:35], 0, 8
	v_lshl_add_u64 v[36:37], v[36:37], 0, 8
	s_waitcnt vmcnt(0)
	v_cmp_ne_u64_e32 vcc, v[38:39], v[48:49]
	s_and_b64 s[40:41], vcc, exec
	s_or_b64 s[14:15], s[14:15], s[40:41]
.LBB608_46:                             ;   in Loop: Header=BB608_47 Depth=1
	s_and_b64 s[40:41], exec, s[14:15]
	s_or_b64 s[12:13], s[40:41], s[12:13]
	v_mov_b64_e32 v[38:39], s[16:17]
	s_andn2_b64 exec, exec, s[12:13]
	s_cbranch_execz .LBB608_52
.LBB608_47:                             ; =>This Inner Loop Header: Depth=1
	s_or_b64 s[14:15], s[14:15], exec
	s_cmp_eq_u64 s[6:7], s[16:17]
	s_cbranch_scc0 .LBB608_45
; %bb.48:                               ;   in Loop: Header=BB608_47 Depth=1
                                        ; implicit-def: $vgpr34_vgpr35
                                        ; implicit-def: $vgpr36_vgpr37
	s_mov_b64 s[16:17], s[26:27]
	s_branch .LBB608_46
.LBB608_49:
                                        ; implicit-def: $sgpr14_sgpr15
                                        ; implicit-def: $vgpr49
                                        ; implicit-def: $vgpr48
                                        ; implicit-def: $vgpr39
                                        ; implicit-def: $vgpr34
	s_branch .LBB608_192
.LBB608_50:
                                        ; implicit-def: $vgpr30_vgpr31
	s_branch .LBB608_340
.LBB608_51:
                                        ; implicit-def: $sgpr14_sgpr15
                                        ; implicit-def: $vgpr49
                                        ; implicit-def: $vgpr48
                                        ; implicit-def: $vgpr39
                                        ; implicit-def: $vgpr34
	s_cbranch_execnz .LBB608_111
	s_branch .LBB608_191
.LBB608_52:
	s_or_b64 exec, exec, s[12:13]
	v_cmp_gt_i64_e32 vcc, s[26:27], v[38:39]
	s_orn2_b64 s[6:7], vcc, exec
.LBB608_53:
	s_or_b64 exec, exec, s[10:11]
.LBB608_54:
	v_mul_lo_u32 v36, v15, s26
	v_mul_lo_u32 v37, v14, s27
	v_mad_u64_u32 v[34:35], s[10:11], v14, s26, 0
	v_add3_u32 v35, v35, v37, v36
	s_mov_b64 s[10:11], 0
	s_and_b64 vcc, exec, s[4:5]
	v_lshl_add_u64 v[34:35], v[34:35], 3, s[36:37]
	s_mov_b64 s[12:13], 0
	s_cbranch_vccnz .LBB608_63
; %bb.55:
	global_load_dwordx2 v[36:37], v[34:35], off
	global_load_dwordx2 v[38:39], v[32:33], off
	s_mov_b64 s[12:13], -1
	s_waitcnt vmcnt(0)
	v_cmp_eq_u64_e32 vcc, v[36:37], v[38:39]
	s_and_saveexec_b64 s[14:15], vcc
	s_cbranch_execz .LBB608_62
; %bb.56:
	s_add_u32 s12, s26, -1
	v_lshl_add_u64 v[32:33], v[32:33], 0, 8
	v_lshl_add_u64 v[36:37], v[34:35], 0, 8
	s_addc_u32 s13, s27, -1
	s_mov_b64 s[16:17], 0
	s_mov_b64 s[42:43], 0
                                        ; implicit-def: $sgpr40_sgpr41
	s_branch .LBB608_59
.LBB608_57:                             ;   in Loop: Header=BB608_59 Depth=1
	global_load_dwordx2 v[38:39], v[36:37], off
	global_load_dwordx2 v[48:49], v[32:33], off
	s_add_u32 s42, s42, 1
	s_addc_u32 s43, s43, 0
	s_andn2_b64 s[40:41], s[40:41], exec
	v_lshl_add_u64 v[32:33], v[32:33], 0, 8
	v_lshl_add_u64 v[36:37], v[36:37], 0, 8
	s_waitcnt vmcnt(0)
	v_cmp_ne_u64_e32 vcc, v[38:39], v[48:49]
	s_and_b64 s[44:45], vcc, exec
	s_or_b64 s[40:41], s[40:41], s[44:45]
.LBB608_58:                             ;   in Loop: Header=BB608_59 Depth=1
	s_and_b64 s[44:45], exec, s[40:41]
	s_or_b64 s[16:17], s[44:45], s[16:17]
	v_mov_b64_e32 v[38:39], s[42:43]
	s_andn2_b64 exec, exec, s[16:17]
	s_cbranch_execz .LBB608_61
.LBB608_59:                             ; =>This Inner Loop Header: Depth=1
	s_or_b64 s[40:41], s[40:41], exec
	s_cmp_eq_u64 s[12:13], s[42:43]
	s_cbranch_scc0 .LBB608_57
; %bb.60:                               ;   in Loop: Header=BB608_59 Depth=1
                                        ; implicit-def: $vgpr32_vgpr33
                                        ; implicit-def: $vgpr36_vgpr37
	s_mov_b64 s[42:43], s[26:27]
	s_branch .LBB608_58
.LBB608_61:
	s_or_b64 exec, exec, s[16:17]
	v_cmp_gt_i64_e32 vcc, s[26:27], v[38:39]
	s_orn2_b64 s[12:13], vcc, exec
.LBB608_62:
	s_or_b64 exec, exec, s[14:15]
.LBB608_63:
	v_mul_lo_u32 v36, v21, s26
	v_mul_lo_u32 v37, v20, s27
	v_mad_u64_u32 v[32:33], s[14:15], v20, s26, 0
	v_add3_u32 v33, v33, v37, v36
	s_and_b64 vcc, exec, s[4:5]
	v_lshl_add_u64 v[32:33], v[32:33], 3, s[36:37]
	s_cbranch_vccnz .LBB608_72
; %bb.64:
	global_load_dwordx2 v[36:37], v[32:33], off
	global_load_dwordx2 v[38:39], v[34:35], off
	s_mov_b64 s[10:11], -1
	s_waitcnt vmcnt(0)
	v_cmp_eq_u64_e32 vcc, v[36:37], v[38:39]
	s_and_saveexec_b64 s[14:15], vcc
	s_cbranch_execz .LBB608_71
; %bb.65:
	s_add_u32 s10, s26, -1
	v_lshl_add_u64 v[34:35], v[34:35], 0, 8
	v_lshl_add_u64 v[36:37], v[32:33], 0, 8
	s_addc_u32 s11, s27, -1
	s_mov_b64 s[16:17], 0
	s_mov_b64 s[42:43], 0
                                        ; implicit-def: $sgpr40_sgpr41
	s_branch .LBB608_68
.LBB608_66:                             ;   in Loop: Header=BB608_68 Depth=1
	global_load_dwordx2 v[38:39], v[36:37], off
	global_load_dwordx2 v[48:49], v[34:35], off
	s_add_u32 s42, s42, 1
	s_addc_u32 s43, s43, 0
	s_andn2_b64 s[40:41], s[40:41], exec
	v_lshl_add_u64 v[34:35], v[34:35], 0, 8
	v_lshl_add_u64 v[36:37], v[36:37], 0, 8
	s_waitcnt vmcnt(0)
	v_cmp_ne_u64_e32 vcc, v[38:39], v[48:49]
	s_and_b64 s[44:45], vcc, exec
	s_or_b64 s[40:41], s[40:41], s[44:45]
.LBB608_67:                             ;   in Loop: Header=BB608_68 Depth=1
	s_and_b64 s[44:45], exec, s[40:41]
	s_or_b64 s[16:17], s[44:45], s[16:17]
	v_mov_b64_e32 v[38:39], s[42:43]
	s_andn2_b64 exec, exec, s[16:17]
	s_cbranch_execz .LBB608_70
.LBB608_68:                             ; =>This Inner Loop Header: Depth=1
	s_or_b64 s[40:41], s[40:41], exec
	s_cmp_eq_u64 s[10:11], s[42:43]
	s_cbranch_scc0 .LBB608_66
; %bb.69:                               ;   in Loop: Header=BB608_68 Depth=1
                                        ; implicit-def: $vgpr34_vgpr35
                                        ; implicit-def: $vgpr36_vgpr37
	s_mov_b64 s[42:43], s[26:27]
	s_branch .LBB608_67
.LBB608_70:
	s_or_b64 exec, exec, s[16:17]
	v_cmp_gt_i64_e32 vcc, s[26:27], v[38:39]
	s_orn2_b64 s[10:11], vcc, exec
.LBB608_71:
	s_or_b64 exec, exec, s[14:15]
.LBB608_72:
	v_mul_lo_u32 v36, v19, s26
	v_mul_lo_u32 v37, v18, s27
	v_mad_u64_u32 v[34:35], s[14:15], v18, s26, 0
	v_add3_u32 v35, v35, v37, v36
	s_mov_b64 s[14:15], 0
	s_and_b64 vcc, exec, s[4:5]
	v_lshl_add_u64 v[36:37], v[34:35], 3, s[36:37]
	s_mov_b64 s[16:17], 0
	s_cbranch_vccnz .LBB608_81
; %bb.73:
	global_load_dwordx2 v[34:35], v[36:37], off
	global_load_dwordx2 v[38:39], v[32:33], off
	s_mov_b64 s[16:17], -1
	s_waitcnt vmcnt(0)
	v_cmp_eq_u64_e32 vcc, v[34:35], v[38:39]
	s_and_saveexec_b64 s[40:41], vcc
	s_cbranch_execz .LBB608_80
; %bb.74:
	s_add_u32 s16, s26, -1
	v_lshl_add_u64 v[32:33], v[32:33], 0, 8
	v_lshl_add_u64 v[34:35], v[36:37], 0, 8
	s_addc_u32 s17, s27, -1
	s_mov_b64 s[42:43], 0
	s_mov_b64 s[46:47], 0
                                        ; implicit-def: $sgpr44_sgpr45
	s_branch .LBB608_77
.LBB608_75:                             ;   in Loop: Header=BB608_77 Depth=1
	global_load_dwordx2 v[38:39], v[34:35], off
	global_load_dwordx2 v[48:49], v[32:33], off
	s_add_u32 s46, s46, 1
	s_addc_u32 s47, s47, 0
	s_andn2_b64 s[44:45], s[44:45], exec
	v_lshl_add_u64 v[32:33], v[32:33], 0, 8
	v_lshl_add_u64 v[34:35], v[34:35], 0, 8
	s_waitcnt vmcnt(0)
	v_cmp_ne_u64_e32 vcc, v[38:39], v[48:49]
	s_and_b64 s[48:49], vcc, exec
	s_or_b64 s[44:45], s[44:45], s[48:49]
.LBB608_76:                             ;   in Loop: Header=BB608_77 Depth=1
	s_and_b64 s[48:49], exec, s[44:45]
	s_or_b64 s[42:43], s[48:49], s[42:43]
	v_mov_b64_e32 v[38:39], s[46:47]
	s_andn2_b64 exec, exec, s[42:43]
	s_cbranch_execz .LBB608_79
.LBB608_77:                             ; =>This Inner Loop Header: Depth=1
	s_or_b64 s[44:45], s[44:45], exec
	s_cmp_eq_u64 s[16:17], s[46:47]
	s_cbranch_scc0 .LBB608_75
; %bb.78:                               ;   in Loop: Header=BB608_77 Depth=1
                                        ; implicit-def: $vgpr32_vgpr33
                                        ; implicit-def: $vgpr34_vgpr35
	s_mov_b64 s[46:47], s[26:27]
	s_branch .LBB608_76
.LBB608_79:
	s_or_b64 exec, exec, s[42:43]
	v_cmp_gt_i64_e32 vcc, s[26:27], v[38:39]
	s_orn2_b64 s[16:17], vcc, exec
.LBB608_80:
	s_or_b64 exec, exec, s[40:41]
.LBB608_81:
	v_mul_lo_u32 v34, v25, s26
	v_mul_lo_u32 v35, v24, s27
	v_mad_u64_u32 v[32:33], s[40:41], v24, s26, 0
	v_add3_u32 v33, v33, v35, v34
	s_and_b64 vcc, exec, s[4:5]
	v_lshl_add_u64 v[34:35], v[32:33], 3, s[36:37]
	s_cbranch_vccnz .LBB608_90
; %bb.82:
	global_load_dwordx2 v[32:33], v[34:35], off
	global_load_dwordx2 v[38:39], v[36:37], off
	s_mov_b64 s[14:15], -1
	s_waitcnt vmcnt(0)
	v_cmp_eq_u64_e32 vcc, v[32:33], v[38:39]
	s_and_saveexec_b64 s[40:41], vcc
	s_cbranch_execz .LBB608_89
; %bb.83:
	s_add_u32 s14, s26, -1
	v_lshl_add_u64 v[32:33], v[36:37], 0, 8
	v_lshl_add_u64 v[36:37], v[34:35], 0, 8
	s_addc_u32 s15, s27, -1
	s_mov_b64 s[42:43], 0
	s_mov_b64 s[46:47], 0
                                        ; implicit-def: $sgpr44_sgpr45
	s_branch .LBB608_86
.LBB608_84:                             ;   in Loop: Header=BB608_86 Depth=1
	global_load_dwordx2 v[38:39], v[36:37], off
	global_load_dwordx2 v[48:49], v[32:33], off
	s_add_u32 s46, s46, 1
	s_addc_u32 s47, s47, 0
	s_andn2_b64 s[44:45], s[44:45], exec
	v_lshl_add_u64 v[32:33], v[32:33], 0, 8
	v_lshl_add_u64 v[36:37], v[36:37], 0, 8
	s_waitcnt vmcnt(0)
	v_cmp_ne_u64_e32 vcc, v[38:39], v[48:49]
	s_and_b64 s[48:49], vcc, exec
	s_or_b64 s[44:45], s[44:45], s[48:49]
.LBB608_85:                             ;   in Loop: Header=BB608_86 Depth=1
	s_and_b64 s[48:49], exec, s[44:45]
	s_or_b64 s[42:43], s[48:49], s[42:43]
	v_mov_b64_e32 v[38:39], s[46:47]
	s_andn2_b64 exec, exec, s[42:43]
	s_cbranch_execz .LBB608_88
.LBB608_86:                             ; =>This Inner Loop Header: Depth=1
	s_or_b64 s[44:45], s[44:45], exec
	s_cmp_eq_u64 s[14:15], s[46:47]
	s_cbranch_scc0 .LBB608_84
; %bb.87:                               ;   in Loop: Header=BB608_86 Depth=1
                                        ; implicit-def: $vgpr32_vgpr33
                                        ; implicit-def: $vgpr36_vgpr37
	s_mov_b64 s[46:47], s[26:27]
	s_branch .LBB608_85
.LBB608_88:
	s_or_b64 exec, exec, s[42:43]
	v_cmp_gt_i64_e32 vcc, s[26:27], v[38:39]
	s_orn2_b64 s[14:15], vcc, exec
.LBB608_89:
	s_or_b64 exec, exec, s[40:41]
.LBB608_90:
	v_mul_lo_u32 v36, v23, s26
	v_mul_lo_u32 v37, v22, s27
	v_mad_u64_u32 v[32:33], s[40:41], v22, s26, 0
	v_add3_u32 v33, v33, v37, v36
	s_mov_b64 s[42:43], 0
	s_and_b64 vcc, exec, s[4:5]
	v_lshl_add_u64 v[32:33], v[32:33], 3, s[36:37]
	s_cbranch_vccnz .LBB608_99
; %bb.91:
	global_load_dwordx2 v[36:37], v[32:33], off
	global_load_dwordx2 v[38:39], v[34:35], off
	s_mov_b64 s[42:43], -1
	s_waitcnt vmcnt(0)
	v_cmp_eq_u64_e32 vcc, v[36:37], v[38:39]
	s_and_saveexec_b64 s[40:41], vcc
	s_cbranch_execz .LBB608_98
; %bb.92:
	s_add_u32 s42, s26, -1
	v_lshl_add_u64 v[34:35], v[34:35], 0, 8
	v_lshl_add_u64 v[36:37], v[32:33], 0, 8
	s_addc_u32 s43, s27, -1
	s_mov_b64 s[44:45], 0
	s_mov_b64 s[48:49], 0
                                        ; implicit-def: $sgpr46_sgpr47
	s_branch .LBB608_95
.LBB608_93:                             ;   in Loop: Header=BB608_95 Depth=1
	global_load_dwordx2 v[38:39], v[36:37], off
	global_load_dwordx2 v[48:49], v[34:35], off
	s_add_u32 s48, s48, 1
	s_addc_u32 s49, s49, 0
	s_andn2_b64 s[46:47], s[46:47], exec
	v_lshl_add_u64 v[34:35], v[34:35], 0, 8
	v_lshl_add_u64 v[36:37], v[36:37], 0, 8
	s_waitcnt vmcnt(0)
	v_cmp_ne_u64_e32 vcc, v[38:39], v[48:49]
	s_and_b64 s[50:51], vcc, exec
	s_or_b64 s[46:47], s[46:47], s[50:51]
.LBB608_94:                             ;   in Loop: Header=BB608_95 Depth=1
	s_and_b64 s[50:51], exec, s[46:47]
	s_or_b64 s[44:45], s[50:51], s[44:45]
	v_mov_b64_e32 v[38:39], s[48:49]
	s_andn2_b64 exec, exec, s[44:45]
	s_cbranch_execz .LBB608_97
.LBB608_95:                             ; =>This Inner Loop Header: Depth=1
	s_or_b64 s[46:47], s[46:47], exec
	s_cmp_eq_u64 s[42:43], s[48:49]
	s_cbranch_scc0 .LBB608_93
; %bb.96:                               ;   in Loop: Header=BB608_95 Depth=1
                                        ; implicit-def: $vgpr34_vgpr35
                                        ; implicit-def: $vgpr36_vgpr37
	s_mov_b64 s[48:49], s[26:27]
	s_branch .LBB608_94
.LBB608_97:
	s_or_b64 exec, exec, s[44:45]
	v_cmp_gt_i64_e32 vcc, s[26:27], v[38:39]
	s_orn2_b64 s[42:43], vcc, exec
.LBB608_98:
	s_or_b64 exec, exec, s[40:41]
.LBB608_99:
	s_waitcnt vmcnt(0)
	v_mov_b64_e32 v[34:35], v[30:31]
	s_waitcnt lgkmcnt(0)
	s_barrier
	s_and_saveexec_b64 s[40:41], s[2:3]
	s_cbranch_execz .LBB608_101
; %bb.100:
	v_add_u32_e32 v34, -8, v47
	ds_read_b64 v[34:35], v34
.LBB608_101:
	s_or_b64 exec, exec, s[40:41]
	v_cndmask_b32_e64 v37, 0, 1, s[16:17]
	v_cndmask_b32_e64 v36, 0, 1, s[14:15]
	;; [unrolled: 1-line block ×3, first 2 shown]
	v_lshlrev_b16_e32 v37, 8, v37
	v_lshlrev_b16_e32 v38, 8, v38
	v_or_b32_sdwa v50, v36, v37 dst_sel:WORD_1 dst_unused:UNUSED_PAD src0_sel:DWORD src1_sel:DWORD
	s_mov_b64 s[16:17], 0
	s_and_b64 vcc, exec, s[4:5]
	s_mov_b64 s[14:15], 0
	s_cbranch_vccnz .LBB608_110
; %bb.102:
	s_waitcnt lgkmcnt(0)
	v_mul_lo_u32 v36, v35, s26
	v_mul_lo_u32 v37, v34, s27
	v_mad_u64_u32 v[34:35], s[14:15], v34, s26, 0
	v_add3_u32 v35, v35, v37, v36
	v_lshl_add_u64 v[34:35], v[34:35], 3, s[36:37]
	global_load_dwordx2 v[36:37], v[34:35], off
	global_load_dwordx2 v[48:49], v[32:33], off
	s_mov_b64 s[14:15], -1
	s_waitcnt vmcnt(0)
	v_cmp_eq_u64_e32 vcc, v[36:37], v[48:49]
	s_and_saveexec_b64 s[40:41], vcc
	s_cbranch_execz .LBB608_109
; %bb.103:
	s_add_u32 s14, s26, -1
	v_lshl_add_u64 v[32:33], v[32:33], 0, 8
	v_lshl_add_u64 v[34:35], v[34:35], 0, 8
	s_addc_u32 s15, s27, -1
	s_mov_b64 s[42:43], 0
	s_mov_b64 s[46:47], 0
                                        ; implicit-def: $sgpr44_sgpr45
	s_branch .LBB608_106
.LBB608_104:                            ;   in Loop: Header=BB608_106 Depth=1
	global_load_dwordx2 v[36:37], v[34:35], off
	global_load_dwordx2 v[48:49], v[32:33], off
	s_add_u32 s46, s46, 1
	s_addc_u32 s47, s47, 0
	s_andn2_b64 s[44:45], s[44:45], exec
	v_lshl_add_u64 v[32:33], v[32:33], 0, 8
	v_lshl_add_u64 v[34:35], v[34:35], 0, 8
	s_waitcnt vmcnt(0)
	v_cmp_ne_u64_e32 vcc, v[36:37], v[48:49]
	s_and_b64 s[48:49], vcc, exec
	s_or_b64 s[44:45], s[44:45], s[48:49]
.LBB608_105:                            ;   in Loop: Header=BB608_106 Depth=1
	s_and_b64 s[48:49], exec, s[44:45]
	s_or_b64 s[42:43], s[48:49], s[42:43]
	v_mov_b64_e32 v[36:37], s[46:47]
	s_andn2_b64 exec, exec, s[42:43]
	s_cbranch_execz .LBB608_108
.LBB608_106:                            ; =>This Inner Loop Header: Depth=1
	s_or_b64 s[44:45], s[44:45], exec
	s_cmp_eq_u64 s[14:15], s[46:47]
	s_cbranch_scc0 .LBB608_104
; %bb.107:                              ;   in Loop: Header=BB608_106 Depth=1
                                        ; implicit-def: $vgpr32_vgpr33
                                        ; implicit-def: $vgpr34_vgpr35
	s_mov_b64 s[46:47], s[26:27]
	s_branch .LBB608_105
.LBB608_108:
	s_or_b64 exec, exec, s[42:43]
	v_cmp_gt_i64_e32 vcc, s[26:27], v[36:37]
	s_orn2_b64 s[14:15], vcc, exec
.LBB608_109:
	s_or_b64 exec, exec, s[40:41]
.LBB608_110:
	v_cndmask_b32_e64 v39, 0, 1, s[10:11]
	v_cndmask_b32_e64 v48, 0, 1, s[12:13]
	v_cndmask_b32_e64 v49, 0, 1, s[6:7]
	s_waitcnt lgkmcnt(0)
	v_or_b32_e32 v34, v38, v50
	s_and_b64 vcc, exec, s[16:17]
	s_cbranch_vccz .LBB608_191
.LBB608_111:
	v_cmp_gt_u32_e32 vcc, s54, v42
	s_mov_b64 s[10:11], 0
	s_mov_b64 s[6:7], 0
	s_and_saveexec_b64 s[12:13], vcc
	s_cbranch_execz .LBB608_122
; %bb.112:
	s_and_b64 vcc, exec, s[4:5]
	s_mov_b64 s[14:15], 0
	s_cbranch_vccnz .LBB608_121
; %bb.113:
	v_mul_lo_u32 v34, v17, s26
	v_mul_lo_u32 v35, v16, s27
	v_mad_u64_u32 v[32:33], s[6:7], v16, s26, 0
	v_add3_u32 v33, v33, v35, v34
	v_mul_lo_u32 v34, v29, s26
	v_mul_lo_u32 v35, v28, s27
	v_mad_u64_u32 v[36:37], s[6:7], v28, s26, 0
	v_add3_u32 v37, v37, v35, v34
	v_lshl_add_u64 v[34:35], v[32:33], 3, s[36:37]
	v_lshl_add_u64 v[32:33], v[36:37], 3, s[36:37]
	global_load_dwordx2 v[36:37], v[34:35], off
	global_load_dwordx2 v[38:39], v[32:33], off
	s_mov_b64 s[14:15], -1
	s_waitcnt vmcnt(0)
	v_cmp_eq_u64_e32 vcc, v[36:37], v[38:39]
	s_and_saveexec_b64 s[6:7], vcc
	s_cbranch_execz .LBB608_120
; %bb.114:
	s_add_u32 s14, s26, -1
	v_lshl_add_u64 v[32:33], v[32:33], 0, 8
	v_lshl_add_u64 v[34:35], v[34:35], 0, 8
	s_addc_u32 s15, s27, -1
	s_mov_b64 s[16:17], 0
	s_mov_b64 s[42:43], 0
                                        ; implicit-def: $sgpr40_sgpr41
	s_branch .LBB608_117
.LBB608_115:                            ;   in Loop: Header=BB608_117 Depth=1
	global_load_dwordx2 v[36:37], v[34:35], off
	global_load_dwordx2 v[38:39], v[32:33], off
	s_add_u32 s42, s42, 1
	s_addc_u32 s43, s43, 0
	s_andn2_b64 s[40:41], s[40:41], exec
	v_lshl_add_u64 v[32:33], v[32:33], 0, 8
	v_lshl_add_u64 v[34:35], v[34:35], 0, 8
	s_waitcnt vmcnt(0)
	v_cmp_ne_u64_e32 vcc, v[36:37], v[38:39]
	s_and_b64 s[44:45], vcc, exec
	s_or_b64 s[40:41], s[40:41], s[44:45]
.LBB608_116:                            ;   in Loop: Header=BB608_117 Depth=1
	s_and_b64 s[44:45], exec, s[40:41]
	s_or_b64 s[16:17], s[44:45], s[16:17]
	v_mov_b64_e32 v[36:37], s[42:43]
	s_andn2_b64 exec, exec, s[16:17]
	s_cbranch_execz .LBB608_119
.LBB608_117:                            ; =>This Inner Loop Header: Depth=1
	s_or_b64 s[40:41], s[40:41], exec
	s_cmp_eq_u64 s[14:15], s[42:43]
	s_cbranch_scc0 .LBB608_115
; %bb.118:                              ;   in Loop: Header=BB608_117 Depth=1
                                        ; implicit-def: $vgpr32_vgpr33
                                        ; implicit-def: $vgpr34_vgpr35
	s_mov_b64 s[42:43], s[26:27]
	s_branch .LBB608_116
.LBB608_119:
	s_or_b64 exec, exec, s[16:17]
	v_cmp_gt_i64_e32 vcc, s[26:27], v[36:37]
	s_orn2_b64 s[14:15], vcc, exec
.LBB608_120:
	s_or_b64 exec, exec, s[6:7]
.LBB608_121:
	s_and_b64 s[6:7], s[14:15], exec
.LBB608_122:
	s_or_b64 exec, exec, s[12:13]
	v_cmp_gt_u32_e32 vcc, s54, v45
	s_and_saveexec_b64 s[12:13], vcc
	s_cbranch_execz .LBB608_133
; %bb.123:
	s_and_b64 vcc, exec, s[4:5]
	s_mov_b64 s[14:15], 0
	s_cbranch_vccnz .LBB608_132
; %bb.124:
	v_mul_lo_u32 v34, v15, s26
	v_mul_lo_u32 v35, v14, s27
	v_mad_u64_u32 v[32:33], s[10:11], v14, s26, 0
	v_add3_u32 v33, v33, v35, v34
	v_mul_lo_u32 v34, v17, s26
	v_mul_lo_u32 v35, v16, s27
	v_mad_u64_u32 v[36:37], s[10:11], v16, s26, 0
	v_add3_u32 v37, v37, v35, v34
	v_lshl_add_u64 v[34:35], v[32:33], 3, s[36:37]
	v_lshl_add_u64 v[32:33], v[36:37], 3, s[36:37]
	global_load_dwordx2 v[36:37], v[34:35], off
	global_load_dwordx2 v[38:39], v[32:33], off
	s_mov_b64 s[14:15], -1
	s_waitcnt vmcnt(0)
	v_cmp_eq_u64_e32 vcc, v[36:37], v[38:39]
	s_and_saveexec_b64 s[10:11], vcc
	s_cbranch_execz .LBB608_131
; %bb.125:
	s_add_u32 s14, s26, -1
	v_lshl_add_u64 v[32:33], v[32:33], 0, 8
	v_lshl_add_u64 v[34:35], v[34:35], 0, 8
	s_addc_u32 s15, s27, -1
	s_mov_b64 s[16:17], 0
	s_mov_b64 s[42:43], 0
                                        ; implicit-def: $sgpr40_sgpr41
	s_branch .LBB608_128
.LBB608_126:                            ;   in Loop: Header=BB608_128 Depth=1
	global_load_dwordx2 v[36:37], v[34:35], off
	global_load_dwordx2 v[38:39], v[32:33], off
	s_add_u32 s42, s42, 1
	s_addc_u32 s43, s43, 0
	s_andn2_b64 s[40:41], s[40:41], exec
	v_lshl_add_u64 v[32:33], v[32:33], 0, 8
	v_lshl_add_u64 v[34:35], v[34:35], 0, 8
	s_waitcnt vmcnt(0)
	v_cmp_ne_u64_e32 vcc, v[36:37], v[38:39]
	s_and_b64 s[44:45], vcc, exec
	s_or_b64 s[40:41], s[40:41], s[44:45]
.LBB608_127:                            ;   in Loop: Header=BB608_128 Depth=1
	s_and_b64 s[44:45], exec, s[40:41]
	s_or_b64 s[16:17], s[44:45], s[16:17]
	v_mov_b64_e32 v[36:37], s[42:43]
	s_andn2_b64 exec, exec, s[16:17]
	s_cbranch_execz .LBB608_130
.LBB608_128:                            ; =>This Inner Loop Header: Depth=1
	s_or_b64 s[40:41], s[40:41], exec
	s_cmp_eq_u64 s[14:15], s[42:43]
	s_cbranch_scc0 .LBB608_126
; %bb.129:                              ;   in Loop: Header=BB608_128 Depth=1
                                        ; implicit-def: $vgpr32_vgpr33
                                        ; implicit-def: $vgpr34_vgpr35
	s_mov_b64 s[42:43], s[26:27]
	s_branch .LBB608_127
.LBB608_130:
	s_or_b64 exec, exec, s[16:17]
	v_cmp_gt_i64_e32 vcc, s[26:27], v[36:37]
	s_orn2_b64 s[14:15], vcc, exec
.LBB608_131:
	s_or_b64 exec, exec, s[10:11]
.LBB608_132:
	s_and_b64 s[10:11], s[14:15], exec
.LBB608_133:
	s_or_b64 exec, exec, s[12:13]
	v_cmp_gt_u32_e32 vcc, s54, v41
	s_mov_b64 s[14:15], 0
	s_mov_b64 s[12:13], 0
	s_and_saveexec_b64 s[16:17], vcc
	s_cbranch_execz .LBB608_144
; %bb.134:
	s_and_b64 vcc, exec, s[4:5]
	s_mov_b64 s[40:41], 0
	s_cbranch_vccnz .LBB608_143
; %bb.135:
	v_mul_lo_u32 v34, v21, s26
	v_mul_lo_u32 v35, v20, s27
	v_mad_u64_u32 v[32:33], s[12:13], v20, s26, 0
	v_add3_u32 v33, v33, v35, v34
	v_mul_lo_u32 v34, v15, s26
	v_mul_lo_u32 v35, v14, s27
	v_mad_u64_u32 v[36:37], s[12:13], v14, s26, 0
	v_add3_u32 v37, v37, v35, v34
	v_lshl_add_u64 v[34:35], v[32:33], 3, s[36:37]
	v_lshl_add_u64 v[32:33], v[36:37], 3, s[36:37]
	global_load_dwordx2 v[36:37], v[34:35], off
	global_load_dwordx2 v[38:39], v[32:33], off
	s_mov_b64 s[40:41], -1
	s_waitcnt vmcnt(0)
	v_cmp_eq_u64_e32 vcc, v[36:37], v[38:39]
	s_and_saveexec_b64 s[12:13], vcc
	s_cbranch_execz .LBB608_142
; %bb.136:
	s_add_u32 s40, s26, -1
	v_lshl_add_u64 v[32:33], v[32:33], 0, 8
	v_lshl_add_u64 v[34:35], v[34:35], 0, 8
	s_addc_u32 s41, s27, -1
	s_mov_b64 s[42:43], 0
	s_mov_b64 s[46:47], 0
                                        ; implicit-def: $sgpr44_sgpr45
	s_branch .LBB608_139
.LBB608_137:                            ;   in Loop: Header=BB608_139 Depth=1
	global_load_dwordx2 v[36:37], v[34:35], off
	global_load_dwordx2 v[38:39], v[32:33], off
	s_add_u32 s46, s46, 1
	s_addc_u32 s47, s47, 0
	s_andn2_b64 s[44:45], s[44:45], exec
	v_lshl_add_u64 v[32:33], v[32:33], 0, 8
	v_lshl_add_u64 v[34:35], v[34:35], 0, 8
	s_waitcnt vmcnt(0)
	v_cmp_ne_u64_e32 vcc, v[36:37], v[38:39]
	s_and_b64 s[48:49], vcc, exec
	s_or_b64 s[44:45], s[44:45], s[48:49]
.LBB608_138:                            ;   in Loop: Header=BB608_139 Depth=1
	s_and_b64 s[48:49], exec, s[44:45]
	s_or_b64 s[42:43], s[48:49], s[42:43]
	v_mov_b64_e32 v[36:37], s[46:47]
	s_andn2_b64 exec, exec, s[42:43]
	s_cbranch_execz .LBB608_141
.LBB608_139:                            ; =>This Inner Loop Header: Depth=1
	s_or_b64 s[44:45], s[44:45], exec
	s_cmp_eq_u64 s[40:41], s[46:47]
	s_cbranch_scc0 .LBB608_137
; %bb.140:                              ;   in Loop: Header=BB608_139 Depth=1
                                        ; implicit-def: $vgpr32_vgpr33
                                        ; implicit-def: $vgpr34_vgpr35
	s_mov_b64 s[46:47], s[26:27]
	s_branch .LBB608_138
.LBB608_141:
	s_or_b64 exec, exec, s[42:43]
	v_cmp_gt_i64_e32 vcc, s[26:27], v[36:37]
	s_orn2_b64 s[40:41], vcc, exec
.LBB608_142:
	s_or_b64 exec, exec, s[12:13]
.LBB608_143:
	s_and_b64 s[12:13], s[40:41], exec
.LBB608_144:
	s_or_b64 exec, exec, s[16:17]
	v_cmp_gt_u32_e32 vcc, s54, v44
	s_and_saveexec_b64 s[16:17], vcc
	s_cbranch_execz .LBB608_155
; %bb.145:
	s_and_b64 vcc, exec, s[4:5]
	s_mov_b64 s[40:41], 0
	s_cbranch_vccnz .LBB608_154
; %bb.146:
	v_mul_lo_u32 v34, v19, s26
	v_mul_lo_u32 v35, v18, s27
	v_mad_u64_u32 v[32:33], s[14:15], v18, s26, 0
	v_add3_u32 v33, v33, v35, v34
	v_mul_lo_u32 v34, v21, s26
	v_mul_lo_u32 v35, v20, s27
	v_mad_u64_u32 v[36:37], s[14:15], v20, s26, 0
	v_add3_u32 v37, v37, v35, v34
	v_lshl_add_u64 v[34:35], v[32:33], 3, s[36:37]
	v_lshl_add_u64 v[32:33], v[36:37], 3, s[36:37]
	global_load_dwordx2 v[36:37], v[34:35], off
	global_load_dwordx2 v[38:39], v[32:33], off
	s_mov_b64 s[40:41], -1
	s_waitcnt vmcnt(0)
	v_cmp_eq_u64_e32 vcc, v[36:37], v[38:39]
	s_and_saveexec_b64 s[14:15], vcc
	s_cbranch_execz .LBB608_153
; %bb.147:
	s_add_u32 s40, s26, -1
	v_lshl_add_u64 v[32:33], v[32:33], 0, 8
	v_lshl_add_u64 v[34:35], v[34:35], 0, 8
	s_addc_u32 s41, s27, -1
	s_mov_b64 s[42:43], 0
	s_mov_b64 s[46:47], 0
                                        ; implicit-def: $sgpr44_sgpr45
	s_branch .LBB608_150
.LBB608_148:                            ;   in Loop: Header=BB608_150 Depth=1
	global_load_dwordx2 v[36:37], v[34:35], off
	global_load_dwordx2 v[38:39], v[32:33], off
	s_add_u32 s46, s46, 1
	s_addc_u32 s47, s47, 0
	s_andn2_b64 s[44:45], s[44:45], exec
	v_lshl_add_u64 v[32:33], v[32:33], 0, 8
	v_lshl_add_u64 v[34:35], v[34:35], 0, 8
	s_waitcnt vmcnt(0)
	v_cmp_ne_u64_e32 vcc, v[36:37], v[38:39]
	s_and_b64 s[48:49], vcc, exec
	s_or_b64 s[44:45], s[44:45], s[48:49]
.LBB608_149:                            ;   in Loop: Header=BB608_150 Depth=1
	s_and_b64 s[48:49], exec, s[44:45]
	s_or_b64 s[42:43], s[48:49], s[42:43]
	v_mov_b64_e32 v[36:37], s[46:47]
	s_andn2_b64 exec, exec, s[42:43]
	s_cbranch_execz .LBB608_152
.LBB608_150:                            ; =>This Inner Loop Header: Depth=1
	s_or_b64 s[44:45], s[44:45], exec
	s_cmp_eq_u64 s[40:41], s[46:47]
	s_cbranch_scc0 .LBB608_148
; %bb.151:                              ;   in Loop: Header=BB608_150 Depth=1
                                        ; implicit-def: $vgpr32_vgpr33
                                        ; implicit-def: $vgpr34_vgpr35
	s_mov_b64 s[46:47], s[26:27]
	s_branch .LBB608_149
.LBB608_152:
	s_or_b64 exec, exec, s[42:43]
	v_cmp_gt_i64_e32 vcc, s[26:27], v[36:37]
	s_orn2_b64 s[40:41], vcc, exec
.LBB608_153:
	s_or_b64 exec, exec, s[14:15]
.LBB608_154:
	s_and_b64 s[14:15], s[40:41], exec
.LBB608_155:
	s_or_b64 exec, exec, s[16:17]
	v_cmp_gt_u32_e32 vcc, s54, v40
	s_mov_b64 s[16:17], 0
	s_mov_b64 s[40:41], 0
	s_and_saveexec_b64 s[42:43], vcc
	s_cbranch_execz .LBB608_166
; %bb.156:
	s_and_b64 vcc, exec, s[4:5]
	s_mov_b64 s[44:45], 0
	s_cbranch_vccnz .LBB608_165
; %bb.157:
	v_mul_lo_u32 v34, v25, s26
	v_mul_lo_u32 v35, v24, s27
	v_mad_u64_u32 v[32:33], s[40:41], v24, s26, 0
	v_add3_u32 v33, v33, v35, v34
	v_mul_lo_u32 v34, v19, s26
	v_mul_lo_u32 v35, v18, s27
	v_mad_u64_u32 v[36:37], s[40:41], v18, s26, 0
	v_add3_u32 v37, v37, v35, v34
	v_lshl_add_u64 v[34:35], v[32:33], 3, s[36:37]
	v_lshl_add_u64 v[32:33], v[36:37], 3, s[36:37]
	global_load_dwordx2 v[36:37], v[34:35], off
	global_load_dwordx2 v[38:39], v[32:33], off
	s_mov_b64 s[44:45], -1
	s_waitcnt vmcnt(0)
	v_cmp_eq_u64_e32 vcc, v[36:37], v[38:39]
	s_and_saveexec_b64 s[40:41], vcc
	s_cbranch_execz .LBB608_164
; %bb.158:
	s_add_u32 s44, s26, -1
	v_lshl_add_u64 v[32:33], v[32:33], 0, 8
	v_lshl_add_u64 v[34:35], v[34:35], 0, 8
	s_addc_u32 s45, s27, -1
	s_mov_b64 s[46:47], 0
	s_mov_b64 s[50:51], 0
                                        ; implicit-def: $sgpr48_sgpr49
	s_branch .LBB608_161
.LBB608_159:                            ;   in Loop: Header=BB608_161 Depth=1
	global_load_dwordx2 v[36:37], v[34:35], off
	global_load_dwordx2 v[38:39], v[32:33], off
	s_add_u32 s50, s50, 1
	s_addc_u32 s51, s51, 0
	s_andn2_b64 s[48:49], s[48:49], exec
	v_lshl_add_u64 v[32:33], v[32:33], 0, 8
	v_lshl_add_u64 v[34:35], v[34:35], 0, 8
	s_waitcnt vmcnt(0)
	v_cmp_ne_u64_e32 vcc, v[36:37], v[38:39]
	s_and_b64 s[52:53], vcc, exec
	s_or_b64 s[48:49], s[48:49], s[52:53]
.LBB608_160:                            ;   in Loop: Header=BB608_161 Depth=1
	s_and_b64 s[52:53], exec, s[48:49]
	s_or_b64 s[46:47], s[52:53], s[46:47]
	v_mov_b64_e32 v[36:37], s[50:51]
	s_andn2_b64 exec, exec, s[46:47]
	s_cbranch_execz .LBB608_163
.LBB608_161:                            ; =>This Inner Loop Header: Depth=1
	s_or_b64 s[48:49], s[48:49], exec
	s_cmp_eq_u64 s[44:45], s[50:51]
	s_cbranch_scc0 .LBB608_159
; %bb.162:                              ;   in Loop: Header=BB608_161 Depth=1
                                        ; implicit-def: $vgpr32_vgpr33
                                        ; implicit-def: $vgpr34_vgpr35
	s_mov_b64 s[50:51], s[26:27]
	s_branch .LBB608_160
.LBB608_163:
	s_or_b64 exec, exec, s[46:47]
	v_cmp_gt_i64_e32 vcc, s[26:27], v[36:37]
	s_orn2_b64 s[44:45], vcc, exec
.LBB608_164:
	s_or_b64 exec, exec, s[40:41]
.LBB608_165:
	s_and_b64 s[40:41], s[44:45], exec
.LBB608_166:
	s_or_b64 exec, exec, s[42:43]
	v_cmp_gt_u32_e32 vcc, s54, v43
	s_and_saveexec_b64 s[42:43], vcc
	s_cbranch_execz .LBB608_177
; %bb.167:
	s_and_b64 vcc, exec, s[4:5]
	s_mov_b64 s[44:45], 0
	s_cbranch_vccnz .LBB608_176
; %bb.168:
	v_mul_lo_u32 v34, v23, s26
	v_mul_lo_u32 v35, v22, s27
	v_mad_u64_u32 v[32:33], s[16:17], v22, s26, 0
	v_add3_u32 v33, v33, v35, v34
	v_mul_lo_u32 v34, v25, s26
	v_mul_lo_u32 v35, v24, s27
	v_mad_u64_u32 v[36:37], s[16:17], v24, s26, 0
	v_add3_u32 v37, v37, v35, v34
	v_lshl_add_u64 v[34:35], v[32:33], 3, s[36:37]
	v_lshl_add_u64 v[32:33], v[36:37], 3, s[36:37]
	global_load_dwordx2 v[36:37], v[34:35], off
	global_load_dwordx2 v[38:39], v[32:33], off
	s_mov_b64 s[44:45], -1
	s_waitcnt vmcnt(0)
	v_cmp_eq_u64_e32 vcc, v[36:37], v[38:39]
	s_and_saveexec_b64 s[16:17], vcc
	s_cbranch_execz .LBB608_175
; %bb.169:
	s_add_u32 s44, s26, -1
	v_lshl_add_u64 v[32:33], v[32:33], 0, 8
	v_lshl_add_u64 v[34:35], v[34:35], 0, 8
	s_addc_u32 s45, s27, -1
	s_mov_b64 s[46:47], 0
	s_mov_b64 s[50:51], 0
                                        ; implicit-def: $sgpr48_sgpr49
	s_branch .LBB608_172
.LBB608_170:                            ;   in Loop: Header=BB608_172 Depth=1
	global_load_dwordx2 v[36:37], v[34:35], off
	global_load_dwordx2 v[38:39], v[32:33], off
	s_add_u32 s50, s50, 1
	s_addc_u32 s51, s51, 0
	s_andn2_b64 s[48:49], s[48:49], exec
	v_lshl_add_u64 v[32:33], v[32:33], 0, 8
	v_lshl_add_u64 v[34:35], v[34:35], 0, 8
	s_waitcnt vmcnt(0)
	v_cmp_ne_u64_e32 vcc, v[36:37], v[38:39]
	s_and_b64 s[52:53], vcc, exec
	s_or_b64 s[48:49], s[48:49], s[52:53]
.LBB608_171:                            ;   in Loop: Header=BB608_172 Depth=1
	s_and_b64 s[52:53], exec, s[48:49]
	s_or_b64 s[46:47], s[52:53], s[46:47]
	v_mov_b64_e32 v[36:37], s[50:51]
	s_andn2_b64 exec, exec, s[46:47]
	s_cbranch_execz .LBB608_174
.LBB608_172:                            ; =>This Inner Loop Header: Depth=1
	s_or_b64 s[48:49], s[48:49], exec
	s_cmp_eq_u64 s[44:45], s[50:51]
	s_cbranch_scc0 .LBB608_170
; %bb.173:                              ;   in Loop: Header=BB608_172 Depth=1
                                        ; implicit-def: $vgpr32_vgpr33
                                        ; implicit-def: $vgpr34_vgpr35
	s_mov_b64 s[50:51], s[26:27]
	s_branch .LBB608_171
.LBB608_174:
	s_or_b64 exec, exec, s[46:47]
	v_cmp_gt_i64_e32 vcc, s[26:27], v[36:37]
	s_orn2_b64 s[44:45], vcc, exec
.LBB608_175:
	s_or_b64 exec, exec, s[16:17]
.LBB608_176:
	s_and_b64 s[16:17], s[44:45], exec
.LBB608_177:
	s_or_b64 exec, exec, s[42:43]
	s_waitcnt lgkmcnt(0)
	s_barrier
	s_and_saveexec_b64 s[42:43], s[2:3]
	s_cbranch_execz .LBB608_179
; %bb.178:
	s_waitcnt vmcnt(0)
	v_add_u32_e32 v30, -8, v47
	ds_read_b64 v[30:31], v30
.LBB608_179:
	s_or_b64 exec, exec, s[42:43]
	v_cndmask_b32_e64 v33, 0, 1, s[14:15]
	v_cndmask_b32_e64 v32, 0, 1, s[40:41]
	;; [unrolled: 1-line block ×3, first 2 shown]
	v_lshlrev_b16_e32 v33, 8, v33
	v_cmp_gt_u32_e32 vcc, s54, v1
	v_lshlrev_b16_e32 v36, 8, v34
	v_or_b32_sdwa v37, v32, v33 dst_sel:WORD_1 dst_unused:UNUSED_PAD src0_sel:DWORD src1_sel:DWORD
	s_mov_b64 s[14:15], 0
	s_and_saveexec_b64 s[16:17], vcc
	s_cbranch_execz .LBB608_190
; %bb.180:
	s_and_b64 vcc, exec, s[4:5]
	s_cbranch_vccnz .LBB608_189
; %bb.181:
	s_waitcnt vmcnt(0) lgkmcnt(0)
	v_mul_lo_u32 v32, v31, s26
	v_mul_lo_u32 v33, v30, s27
	v_mad_u64_u32 v[30:31], s[4:5], v30, s26, 0
	v_add3_u32 v31, v31, v33, v32
	v_mul_lo_u32 v32, v23, s26
	v_mul_lo_u32 v33, v22, s27
	v_mad_u64_u32 v[34:35], s[4:5], v22, s26, 0
	v_add3_u32 v35, v35, v33, v32
	v_lshl_add_u64 v[32:33], v[30:31], 3, s[36:37]
	v_lshl_add_u64 v[30:31], v[34:35], 3, s[36:37]
	global_load_dwordx2 v[34:35], v[32:33], off
	global_load_dwordx2 v[38:39], v[30:31], off
	s_mov_b64 s[14:15], -1
	s_waitcnt vmcnt(0)
	v_cmp_eq_u64_e32 vcc, v[34:35], v[38:39]
	s_and_saveexec_b64 s[4:5], vcc
	s_cbranch_execz .LBB608_188
; %bb.182:
	s_add_u32 s14, s26, -1
	v_lshl_add_u64 v[30:31], v[30:31], 0, 8
	v_lshl_add_u64 v[32:33], v[32:33], 0, 8
	s_addc_u32 s15, s27, -1
	s_mov_b64 s[40:41], 0
	s_mov_b64 s[44:45], 0
                                        ; implicit-def: $sgpr42_sgpr43
	s_branch .LBB608_185
.LBB608_183:                            ;   in Loop: Header=BB608_185 Depth=1
	global_load_dwordx2 v[34:35], v[32:33], off
	global_load_dwordx2 v[38:39], v[30:31], off
	s_add_u32 s44, s44, 1
	s_addc_u32 s45, s45, 0
	s_andn2_b64 s[42:43], s[42:43], exec
	v_lshl_add_u64 v[30:31], v[30:31], 0, 8
	v_lshl_add_u64 v[32:33], v[32:33], 0, 8
	s_waitcnt vmcnt(0)
	v_cmp_ne_u64_e32 vcc, v[34:35], v[38:39]
	s_and_b64 s[46:47], vcc, exec
	s_or_b64 s[42:43], s[42:43], s[46:47]
.LBB608_184:                            ;   in Loop: Header=BB608_185 Depth=1
	s_and_b64 s[46:47], exec, s[42:43]
	s_or_b64 s[40:41], s[46:47], s[40:41]
	v_mov_b64_e32 v[34:35], s[44:45]
	s_andn2_b64 exec, exec, s[40:41]
	s_cbranch_execz .LBB608_187
.LBB608_185:                            ; =>This Inner Loop Header: Depth=1
	s_or_b64 s[42:43], s[42:43], exec
	s_cmp_eq_u64 s[14:15], s[44:45]
	s_cbranch_scc0 .LBB608_183
; %bb.186:                              ;   in Loop: Header=BB608_185 Depth=1
                                        ; implicit-def: $vgpr30_vgpr31
                                        ; implicit-def: $vgpr32_vgpr33
	s_mov_b64 s[44:45], s[26:27]
	s_branch .LBB608_184
.LBB608_187:
	s_or_b64 exec, exec, s[40:41]
	v_cmp_gt_i64_e32 vcc, s[26:27], v[34:35]
	s_orn2_b64 s[14:15], vcc, exec
.LBB608_188:
	s_or_b64 exec, exec, s[4:5]
.LBB608_189:
	s_and_b64 s[14:15], s[14:15], exec
.LBB608_190:
	s_or_b64 exec, exec, s[16:17]
	v_cndmask_b32_e64 v39, 0, 1, s[12:13]
	v_cndmask_b32_e64 v48, 0, 1, s[10:11]
	;; [unrolled: 1-line block ×3, first 2 shown]
	v_or_b32_e32 v34, v36, v37
.LBB608_191:
	s_mov_b64 s[10:11], -1
	s_cbranch_execnz .LBB608_50
.LBB608_192:
	s_movk_i32 s4, 0xffd0
	v_mad_i32_i24 v38, v0, s4, v46
	s_mov_b64 s[12:13], 0
	v_cmp_gt_i64_e64 s[6:7], s[26:27], 0
	s_and_b64 vcc, exec, s[34:35]
	ds_write_b64 v38, v[28:29]
	s_cbranch_vccz .LBB608_200
; %bb.193:
	v_mul_lo_u32 v32, v17, s26
	v_mul_lo_u32 v33, v16, s27
	s_waitcnt vmcnt(0) lgkmcnt(1)
	v_mad_u64_u32 v[30:31], s[4:5], v16, s26, 0
	v_add3_u32 v31, v31, v33, v32
	v_cndmask_b32_e64 v32, 0, 1, s[6:7]
	v_cmp_ne_u32_e64 s[4:5], 1, v32
	s_andn2_b64 vcc, exec, s[6:7]
	v_lshl_add_u64 v[30:31], v[30:31], 3, s[36:37]
	s_cbranch_vccnz .LBB608_203
; %bb.194:
	v_mul_lo_u32 v34, v29, s26
	v_mul_lo_u32 v35, v28, s27
	v_mad_u64_u32 v[32:33], s[12:13], v28, s26, 0
	v_add3_u32 v33, v33, v35, v34
	v_lshl_add_u64 v[32:33], v[32:33], 3, s[36:37]
	global_load_dwordx2 v[34:35], v[30:31], off
	global_load_dwordx2 v[36:37], v[32:33], off
	s_mov_b64 s[12:13], -1
	s_waitcnt vmcnt(0)
	v_cmp_eq_u64_e32 vcc, v[34:35], v[36:37]
	s_and_saveexec_b64 s[14:15], vcc
	s_cbranch_execz .LBB608_202
; %bb.195:
	s_add_u32 s12, s26, -1
	v_lshl_add_u64 v[32:33], v[32:33], 0, 8
	v_lshl_add_u64 v[34:35], v[30:31], 0, 8
	s_addc_u32 s13, s27, -1
	s_mov_b64 s[16:17], 0
	s_mov_b64 s[42:43], 0
                                        ; implicit-def: $sgpr40_sgpr41
	s_branch .LBB608_198
.LBB608_196:                            ;   in Loop: Header=BB608_198 Depth=1
	global_load_dwordx2 v[36:37], v[34:35], off
	global_load_dwordx2 v[46:47], v[32:33], off
	s_add_u32 s42, s42, 1
	s_addc_u32 s43, s43, 0
	s_andn2_b64 s[40:41], s[40:41], exec
	v_lshl_add_u64 v[32:33], v[32:33], 0, 8
	v_lshl_add_u64 v[34:35], v[34:35], 0, 8
	s_waitcnt vmcnt(0)
	v_cmp_ne_u64_e32 vcc, v[36:37], v[46:47]
	s_and_b64 s[44:45], vcc, exec
	s_or_b64 s[40:41], s[40:41], s[44:45]
.LBB608_197:                            ;   in Loop: Header=BB608_198 Depth=1
	s_and_b64 s[44:45], exec, s[40:41]
	s_or_b64 s[16:17], s[44:45], s[16:17]
	v_mov_b64_e32 v[36:37], s[42:43]
	s_andn2_b64 exec, exec, s[16:17]
	s_cbranch_execz .LBB608_201
.LBB608_198:                            ; =>This Inner Loop Header: Depth=1
	s_or_b64 s[40:41], s[40:41], exec
	s_cmp_eq_u64 s[12:13], s[42:43]
	s_cbranch_scc0 .LBB608_196
; %bb.199:                              ;   in Loop: Header=BB608_198 Depth=1
                                        ; implicit-def: $vgpr32_vgpr33
                                        ; implicit-def: $vgpr34_vgpr35
	s_mov_b64 s[42:43], s[26:27]
	s_branch .LBB608_197
.LBB608_200:
                                        ; implicit-def: $sgpr14_sgpr15
                                        ; implicit-def: $vgpr49
                                        ; implicit-def: $vgpr48
                                        ; implicit-def: $vgpr39
                                        ; implicit-def: $vgpr34
                                        ; implicit-def: $vgpr30_vgpr31
	s_cbranch_execnz .LBB608_260
	s_branch .LBB608_340
.LBB608_201:
	s_or_b64 exec, exec, s[16:17]
	v_cmp_gt_i64_e32 vcc, s[26:27], v[36:37]
	s_orn2_b64 s[12:13], vcc, exec
.LBB608_202:
	s_or_b64 exec, exec, s[14:15]
.LBB608_203:
	v_mul_lo_u32 v34, v15, s26
	v_mul_lo_u32 v35, v14, s27
	v_mad_u64_u32 v[32:33], s[14:15], v14, s26, 0
	v_add3_u32 v33, v33, v35, v34
	s_mov_b64 s[14:15], 0
	s_and_b64 vcc, exec, s[4:5]
	v_lshl_add_u64 v[32:33], v[32:33], 3, s[36:37]
	s_mov_b64 s[16:17], 0
	s_cbranch_vccnz .LBB608_212
; %bb.204:
	global_load_dwordx2 v[34:35], v[32:33], off
	global_load_dwordx2 v[36:37], v[30:31], off
	s_mov_b64 s[16:17], -1
	s_waitcnt vmcnt(0)
	v_cmp_eq_u64_e32 vcc, v[34:35], v[36:37]
	s_and_saveexec_b64 s[40:41], vcc
	s_cbranch_execz .LBB608_211
; %bb.205:
	s_add_u32 s16, s26, -1
	v_lshl_add_u64 v[30:31], v[30:31], 0, 8
	v_lshl_add_u64 v[34:35], v[32:33], 0, 8
	s_addc_u32 s17, s27, -1
	s_mov_b64 s[42:43], 0
	s_mov_b64 s[46:47], 0
                                        ; implicit-def: $sgpr44_sgpr45
	s_branch .LBB608_208
.LBB608_206:                            ;   in Loop: Header=BB608_208 Depth=1
	global_load_dwordx2 v[36:37], v[34:35], off
	global_load_dwordx2 v[46:47], v[30:31], off
	s_add_u32 s46, s46, 1
	s_addc_u32 s47, s47, 0
	s_andn2_b64 s[44:45], s[44:45], exec
	v_lshl_add_u64 v[30:31], v[30:31], 0, 8
	v_lshl_add_u64 v[34:35], v[34:35], 0, 8
	s_waitcnt vmcnt(0)
	v_cmp_ne_u64_e32 vcc, v[36:37], v[46:47]
	s_and_b64 s[48:49], vcc, exec
	s_or_b64 s[44:45], s[44:45], s[48:49]
.LBB608_207:                            ;   in Loop: Header=BB608_208 Depth=1
	s_and_b64 s[48:49], exec, s[44:45]
	s_or_b64 s[42:43], s[48:49], s[42:43]
	v_mov_b64_e32 v[36:37], s[46:47]
	s_andn2_b64 exec, exec, s[42:43]
	s_cbranch_execz .LBB608_210
.LBB608_208:                            ; =>This Inner Loop Header: Depth=1
	s_or_b64 s[44:45], s[44:45], exec
	s_cmp_eq_u64 s[16:17], s[46:47]
	s_cbranch_scc0 .LBB608_206
; %bb.209:                              ;   in Loop: Header=BB608_208 Depth=1
                                        ; implicit-def: $vgpr30_vgpr31
                                        ; implicit-def: $vgpr34_vgpr35
	s_mov_b64 s[46:47], s[26:27]
	s_branch .LBB608_207
.LBB608_210:
	s_or_b64 exec, exec, s[42:43]
	v_cmp_gt_i64_e32 vcc, s[26:27], v[36:37]
	s_orn2_b64 s[16:17], vcc, exec
.LBB608_211:
	s_or_b64 exec, exec, s[40:41]
.LBB608_212:
	v_mul_lo_u32 v34, v21, s26
	v_mul_lo_u32 v35, v20, s27
	v_mad_u64_u32 v[30:31], s[40:41], v20, s26, 0
	v_add3_u32 v31, v31, v35, v34
	s_and_b64 vcc, exec, s[4:5]
	v_lshl_add_u64 v[30:31], v[30:31], 3, s[36:37]
	s_cbranch_vccnz .LBB608_221
; %bb.213:
	global_load_dwordx2 v[34:35], v[30:31], off
	global_load_dwordx2 v[36:37], v[32:33], off
	s_mov_b64 s[14:15], -1
	s_waitcnt vmcnt(0)
	v_cmp_eq_u64_e32 vcc, v[34:35], v[36:37]
	s_and_saveexec_b64 s[40:41], vcc
	s_cbranch_execz .LBB608_220
; %bb.214:
	s_add_u32 s14, s26, -1
	v_lshl_add_u64 v[32:33], v[32:33], 0, 8
	v_lshl_add_u64 v[34:35], v[30:31], 0, 8
	s_addc_u32 s15, s27, -1
	s_mov_b64 s[42:43], 0
	s_mov_b64 s[46:47], 0
                                        ; implicit-def: $sgpr44_sgpr45
	s_branch .LBB608_217
.LBB608_215:                            ;   in Loop: Header=BB608_217 Depth=1
	global_load_dwordx2 v[36:37], v[34:35], off
	global_load_dwordx2 v[46:47], v[32:33], off
	s_add_u32 s46, s46, 1
	s_addc_u32 s47, s47, 0
	s_andn2_b64 s[44:45], s[44:45], exec
	v_lshl_add_u64 v[32:33], v[32:33], 0, 8
	v_lshl_add_u64 v[34:35], v[34:35], 0, 8
	s_waitcnt vmcnt(0)
	v_cmp_ne_u64_e32 vcc, v[36:37], v[46:47]
	s_and_b64 s[48:49], vcc, exec
	s_or_b64 s[44:45], s[44:45], s[48:49]
.LBB608_216:                            ;   in Loop: Header=BB608_217 Depth=1
	s_and_b64 s[48:49], exec, s[44:45]
	s_or_b64 s[42:43], s[48:49], s[42:43]
	v_mov_b64_e32 v[36:37], s[46:47]
	s_andn2_b64 exec, exec, s[42:43]
	s_cbranch_execz .LBB608_219
.LBB608_217:                            ; =>This Inner Loop Header: Depth=1
	s_or_b64 s[44:45], s[44:45], exec
	s_cmp_eq_u64 s[14:15], s[46:47]
	s_cbranch_scc0 .LBB608_215
; %bb.218:                              ;   in Loop: Header=BB608_217 Depth=1
                                        ; implicit-def: $vgpr32_vgpr33
                                        ; implicit-def: $vgpr34_vgpr35
	s_mov_b64 s[46:47], s[26:27]
	s_branch .LBB608_216
.LBB608_219:
	s_or_b64 exec, exec, s[42:43]
	v_cmp_gt_i64_e32 vcc, s[26:27], v[36:37]
	s_orn2_b64 s[14:15], vcc, exec
.LBB608_220:
	s_or_b64 exec, exec, s[40:41]
.LBB608_221:
	v_mul_lo_u32 v34, v19, s26
	v_mul_lo_u32 v35, v18, s27
	v_mad_u64_u32 v[32:33], s[40:41], v18, s26, 0
	v_add3_u32 v33, v33, v35, v34
	s_mov_b64 s[40:41], 0
	s_and_b64 vcc, exec, s[4:5]
	v_lshl_add_u64 v[32:33], v[32:33], 3, s[36:37]
	s_mov_b64 s[42:43], 0
	s_cbranch_vccnz .LBB608_230
; %bb.222:
	global_load_dwordx2 v[34:35], v[32:33], off
	global_load_dwordx2 v[36:37], v[30:31], off
	s_mov_b64 s[42:43], -1
	s_waitcnt vmcnt(0)
	v_cmp_eq_u64_e32 vcc, v[34:35], v[36:37]
	s_and_saveexec_b64 s[44:45], vcc
	s_cbranch_execz .LBB608_229
; %bb.223:
	s_add_u32 s42, s26, -1
	v_lshl_add_u64 v[30:31], v[30:31], 0, 8
	v_lshl_add_u64 v[34:35], v[32:33], 0, 8
	s_addc_u32 s43, s27, -1
	s_mov_b64 s[46:47], 0
	s_mov_b64 s[50:51], 0
                                        ; implicit-def: $sgpr48_sgpr49
	s_branch .LBB608_226
.LBB608_224:                            ;   in Loop: Header=BB608_226 Depth=1
	global_load_dwordx2 v[36:37], v[34:35], off
	global_load_dwordx2 v[46:47], v[30:31], off
	s_add_u32 s50, s50, 1
	s_addc_u32 s51, s51, 0
	s_andn2_b64 s[48:49], s[48:49], exec
	v_lshl_add_u64 v[30:31], v[30:31], 0, 8
	v_lshl_add_u64 v[34:35], v[34:35], 0, 8
	s_waitcnt vmcnt(0)
	v_cmp_ne_u64_e32 vcc, v[36:37], v[46:47]
	s_and_b64 s[52:53], vcc, exec
	s_or_b64 s[48:49], s[48:49], s[52:53]
.LBB608_225:                            ;   in Loop: Header=BB608_226 Depth=1
	s_and_b64 s[52:53], exec, s[48:49]
	s_or_b64 s[46:47], s[52:53], s[46:47]
	v_mov_b64_e32 v[36:37], s[50:51]
	s_andn2_b64 exec, exec, s[46:47]
	s_cbranch_execz .LBB608_228
.LBB608_226:                            ; =>This Inner Loop Header: Depth=1
	s_or_b64 s[48:49], s[48:49], exec
	s_cmp_eq_u64 s[42:43], s[50:51]
	s_cbranch_scc0 .LBB608_224
; %bb.227:                              ;   in Loop: Header=BB608_226 Depth=1
                                        ; implicit-def: $vgpr30_vgpr31
                                        ; implicit-def: $vgpr34_vgpr35
	s_mov_b64 s[50:51], s[26:27]
	s_branch .LBB608_225
.LBB608_228:
	s_or_b64 exec, exec, s[46:47]
	v_cmp_gt_i64_e32 vcc, s[26:27], v[36:37]
	s_orn2_b64 s[42:43], vcc, exec
.LBB608_229:
	s_or_b64 exec, exec, s[44:45]
.LBB608_230:
	v_mul_lo_u32 v34, v25, s26
	v_mul_lo_u32 v35, v24, s27
	v_mad_u64_u32 v[30:31], s[44:45], v24, s26, 0
	v_add3_u32 v31, v31, v35, v34
	s_and_b64 vcc, exec, s[4:5]
	v_lshl_add_u64 v[30:31], v[30:31], 3, s[36:37]
	s_cbranch_vccnz .LBB608_239
; %bb.231:
	global_load_dwordx2 v[34:35], v[30:31], off
	global_load_dwordx2 v[36:37], v[32:33], off
	s_mov_b64 s[40:41], -1
	s_waitcnt vmcnt(0)
	v_cmp_eq_u64_e32 vcc, v[34:35], v[36:37]
	s_and_saveexec_b64 s[44:45], vcc
	s_cbranch_execz .LBB608_238
; %bb.232:
	s_add_u32 s40, s26, -1
	v_lshl_add_u64 v[32:33], v[32:33], 0, 8
	v_lshl_add_u64 v[34:35], v[30:31], 0, 8
	s_addc_u32 s41, s27, -1
	s_mov_b64 s[46:47], 0
	s_mov_b64 s[50:51], 0
                                        ; implicit-def: $sgpr48_sgpr49
	s_branch .LBB608_235
.LBB608_233:                            ;   in Loop: Header=BB608_235 Depth=1
	global_load_dwordx2 v[36:37], v[34:35], off
	global_load_dwordx2 v[46:47], v[32:33], off
	s_add_u32 s50, s50, 1
	s_addc_u32 s51, s51, 0
	s_andn2_b64 s[48:49], s[48:49], exec
	v_lshl_add_u64 v[32:33], v[32:33], 0, 8
	v_lshl_add_u64 v[34:35], v[34:35], 0, 8
	s_waitcnt vmcnt(0)
	v_cmp_ne_u64_e32 vcc, v[36:37], v[46:47]
	s_and_b64 s[52:53], vcc, exec
	s_or_b64 s[48:49], s[48:49], s[52:53]
.LBB608_234:                            ;   in Loop: Header=BB608_235 Depth=1
	s_and_b64 s[52:53], exec, s[48:49]
	s_or_b64 s[46:47], s[52:53], s[46:47]
	v_mov_b64_e32 v[36:37], s[50:51]
	s_andn2_b64 exec, exec, s[46:47]
	s_cbranch_execz .LBB608_237
.LBB608_235:                            ; =>This Inner Loop Header: Depth=1
	s_or_b64 s[48:49], s[48:49], exec
	s_cmp_eq_u64 s[40:41], s[50:51]
	s_cbranch_scc0 .LBB608_233
; %bb.236:                              ;   in Loop: Header=BB608_235 Depth=1
                                        ; implicit-def: $vgpr32_vgpr33
                                        ; implicit-def: $vgpr34_vgpr35
	s_mov_b64 s[50:51], s[26:27]
	s_branch .LBB608_234
.LBB608_237:
	s_or_b64 exec, exec, s[46:47]
	v_cmp_gt_i64_e32 vcc, s[26:27], v[36:37]
	s_orn2_b64 s[40:41], vcc, exec
.LBB608_238:
	s_or_b64 exec, exec, s[44:45]
.LBB608_239:
	v_mul_lo_u32 v34, v23, s26
	v_mul_lo_u32 v35, v22, s27
	v_mad_u64_u32 v[32:33], s[44:45], v22, s26, 0
	v_add3_u32 v33, v33, v35, v34
	s_and_b64 vcc, exec, s[4:5]
	s_mov_b64 s[46:47], 0
	s_cbranch_vccnz .LBB608_248
; %bb.240:
	v_lshl_add_u64 v[34:35], v[32:33], 3, s[36:37]
	global_load_dwordx2 v[36:37], v[34:35], off
	global_load_dwordx2 v[46:47], v[30:31], off
	s_mov_b64 s[46:47], -1
	s_waitcnt vmcnt(0)
	v_cmp_eq_u64_e32 vcc, v[36:37], v[46:47]
	s_and_saveexec_b64 s[44:45], vcc
	s_cbranch_execz .LBB608_247
; %bb.241:
	s_add_u32 s46, s26, -1
	v_lshl_add_u64 v[30:31], v[30:31], 0, 8
	v_lshl_add_u64 v[34:35], v[34:35], 0, 8
	s_addc_u32 s47, s27, -1
	s_mov_b64 s[48:49], 0
	s_mov_b64 s[52:53], 0
                                        ; implicit-def: $sgpr50_sgpr51
	s_branch .LBB608_244
.LBB608_242:                            ;   in Loop: Header=BB608_244 Depth=1
	global_load_dwordx2 v[36:37], v[34:35], off
	global_load_dwordx2 v[46:47], v[30:31], off
	s_add_u32 s52, s52, 1
	s_addc_u32 s53, s53, 0
	s_andn2_b64 s[50:51], s[50:51], exec
	v_lshl_add_u64 v[30:31], v[30:31], 0, 8
	v_lshl_add_u64 v[34:35], v[34:35], 0, 8
	s_waitcnt vmcnt(0)
	v_cmp_ne_u64_e32 vcc, v[36:37], v[46:47]
	s_and_b64 s[56:57], vcc, exec
	s_or_b64 s[50:51], s[50:51], s[56:57]
.LBB608_243:                            ;   in Loop: Header=BB608_244 Depth=1
	s_and_b64 s[56:57], exec, s[50:51]
	s_or_b64 s[48:49], s[56:57], s[48:49]
	v_mov_b64_e32 v[36:37], s[52:53]
	s_andn2_b64 exec, exec, s[48:49]
	s_cbranch_execz .LBB608_246
.LBB608_244:                            ; =>This Inner Loop Header: Depth=1
	s_or_b64 s[50:51], s[50:51], exec
	s_cmp_eq_u64 s[46:47], s[52:53]
	s_cbranch_scc0 .LBB608_242
; %bb.245:                              ;   in Loop: Header=BB608_244 Depth=1
                                        ; implicit-def: $vgpr30_vgpr31
                                        ; implicit-def: $vgpr34_vgpr35
	s_mov_b64 s[52:53], s[26:27]
	s_branch .LBB608_243
.LBB608_246:
	s_or_b64 exec, exec, s[48:49]
	v_cmp_gt_i64_e32 vcc, s[26:27], v[36:37]
	s_orn2_b64 s[46:47], vcc, exec
.LBB608_247:
	s_or_b64 exec, exec, s[44:45]
.LBB608_248:
	v_cndmask_b32_e64 v31, 0, 1, s[42:43]
	v_cndmask_b32_e64 v30, 0, 1, s[40:41]
	;; [unrolled: 1-line block ×3, first 2 shown]
	v_lshlrev_b16_e32 v31, 8, v31
	v_cndmask_b32_e64 v39, 0, 1, s[14:15]
	v_cndmask_b32_e64 v34, 0, 1, s[46:47]
	v_or_b32_sdwa v30, v30, v31 dst_sel:WORD_1 dst_unused:UNUSED_PAD src0_sel:DWORD src1_sel:DWORD
	v_lshlrev_b16_e32 v31, 8, v48
	v_lshlrev_b16_e32 v34, 8, v34
	v_or_b32_e32 v31, v39, v31
	v_or_b32_e32 v34, 1, v34
	v_and_b32_e32 v31, 0xffff, v31
	v_cndmask_b32_e64 v49, 0, 1, s[12:13]
	v_or_b32_sdwa v30, v34, v30 dst_sel:DWORD dst_unused:UNUSED_PAD src0_sel:WORD_0 src1_sel:DWORD
	v_lshl_or_b32 v31, v49, 16, v31
	s_waitcnt lgkmcnt(0)
	s_barrier
	s_waitcnt lgkmcnt(0)
                                        ; implicit-def: $sgpr14_sgpr15
                                        ; implicit-def: $vgpr34
	s_and_saveexec_b64 s[12:13], s[2:3]
	s_xor_b64 s[12:13], exec, s[12:13]
	s_cbranch_execz .LBB608_259
; %bb.249:
	s_mov_b32 s44, 0x3020104
	s_and_b64 vcc, exec, s[4:5]
	s_mov_b64 s[14:15], 0
	s_cbranch_vccnz .LBB608_258
; %bb.250:
	v_add_u32_e32 v31, -8, v38
	ds_read_b64 v[34:35], v31
	v_lshl_add_u64 v[32:33], v[32:33], 3, s[36:37]
	s_mov_b64 s[14:15], -1
	s_waitcnt lgkmcnt(0)
	v_mul_lo_u32 v31, v35, s26
	v_mul_lo_u32 v36, v34, s27
	v_mad_u64_u32 v[34:35], s[4:5], v34, s26, 0
	v_add3_u32 v35, v35, v36, v31
	v_lshl_add_u64 v[34:35], v[34:35], 3, s[36:37]
	global_load_dwordx2 v[36:37], v[34:35], off
	global_load_dwordx2 v[46:47], v[32:33], off
	s_waitcnt vmcnt(0)
	v_cmp_eq_u64_e32 vcc, v[36:37], v[46:47]
	s_and_saveexec_b64 s[4:5], vcc
	s_cbranch_execz .LBB608_257
; %bb.251:
	s_add_u32 s14, s26, -1
	v_lshl_add_u64 v[32:33], v[32:33], 0, 8
	v_lshl_add_u64 v[34:35], v[34:35], 0, 8
	s_addc_u32 s15, s27, -1
	s_mov_b64 s[16:17], 0
	s_mov_b64 s[42:43], 0
                                        ; implicit-def: $sgpr40_sgpr41
	s_branch .LBB608_254
.LBB608_252:                            ;   in Loop: Header=BB608_254 Depth=1
	global_load_dwordx2 v[36:37], v[34:35], off
	global_load_dwordx2 v[46:47], v[32:33], off
	s_add_u32 s42, s42, 1
	s_addc_u32 s43, s43, 0
	s_andn2_b64 s[40:41], s[40:41], exec
	v_lshl_add_u64 v[32:33], v[32:33], 0, 8
	v_lshl_add_u64 v[34:35], v[34:35], 0, 8
	s_waitcnt vmcnt(0)
	v_cmp_ne_u64_e32 vcc, v[36:37], v[46:47]
	s_and_b64 s[46:47], vcc, exec
	s_or_b64 s[40:41], s[40:41], s[46:47]
.LBB608_253:                            ;   in Loop: Header=BB608_254 Depth=1
	s_and_b64 s[46:47], exec, s[40:41]
	s_or_b64 s[16:17], s[46:47], s[16:17]
	v_mov_b64_e32 v[36:37], s[42:43]
	s_andn2_b64 exec, exec, s[16:17]
	s_cbranch_execz .LBB608_256
.LBB608_254:                            ; =>This Inner Loop Header: Depth=1
	s_or_b64 s[40:41], s[40:41], exec
	s_cmp_eq_u64 s[14:15], s[42:43]
	s_cbranch_scc0 .LBB608_252
; %bb.255:                              ;   in Loop: Header=BB608_254 Depth=1
                                        ; implicit-def: $vgpr32_vgpr33
                                        ; implicit-def: $vgpr34_vgpr35
	s_mov_b64 s[42:43], s[26:27]
	s_branch .LBB608_253
.LBB608_256:
	s_or_b64 exec, exec, s[16:17]
	v_cmp_gt_i64_e32 vcc, s[26:27], v[36:37]
	s_orn2_b64 s[14:15], vcc, exec
.LBB608_257:
	s_or_b64 exec, exec, s[4:5]
.LBB608_258:
	v_perm_b32 v34, v30, v30, s44
	s_and_b64 s[14:15], s[14:15], exec
	s_or_b64 s[10:11], s[10:11], exec
                                        ; implicit-def: $vgpr30_vgpr31
.LBB608_259:
	s_or_b64 exec, exec, s[12:13]
	s_branch .LBB608_340
.LBB608_260:
	v_cmp_gt_u32_e32 vcc, s54, v42
	s_mov_b64 s[12:13], 0
	s_mov_b64 s[4:5], 0
	s_and_saveexec_b64 s[14:15], vcc
	s_cbranch_execz .LBB608_271
; %bb.261:
	s_andn2_b64 vcc, exec, s[6:7]
	s_mov_b64 s[16:17], 0
	s_cbranch_vccnz .LBB608_270
; %bb.262:
	v_mul_lo_u32 v32, v17, s26
	v_mul_lo_u32 v33, v16, s27
	s_waitcnt vmcnt(0) lgkmcnt(1)
	v_mad_u64_u32 v[30:31], s[4:5], v16, s26, 0
	v_add3_u32 v31, v31, v33, v32
	v_mul_lo_u32 v32, v29, s26
	v_mul_lo_u32 v33, v28, s27
	v_mad_u64_u32 v[34:35], s[4:5], v28, s26, 0
	v_add3_u32 v35, v35, v33, v32
	v_lshl_add_u64 v[32:33], v[30:31], 3, s[36:37]
	v_lshl_add_u64 v[30:31], v[34:35], 3, s[36:37]
	global_load_dwordx2 v[34:35], v[32:33], off
	global_load_dwordx2 v[36:37], v[30:31], off
	s_mov_b64 s[16:17], -1
	s_waitcnt vmcnt(0)
	v_cmp_eq_u64_e32 vcc, v[34:35], v[36:37]
	s_and_saveexec_b64 s[4:5], vcc
	s_cbranch_execz .LBB608_269
; %bb.263:
	s_add_u32 s16, s26, -1
	v_lshl_add_u64 v[30:31], v[30:31], 0, 8
	v_lshl_add_u64 v[32:33], v[32:33], 0, 8
	s_addc_u32 s17, s27, -1
	s_mov_b64 s[40:41], 0
	s_mov_b64 s[44:45], 0
                                        ; implicit-def: $sgpr42_sgpr43
	s_branch .LBB608_266
.LBB608_264:                            ;   in Loop: Header=BB608_266 Depth=1
	global_load_dwordx2 v[34:35], v[32:33], off
	global_load_dwordx2 v[36:37], v[30:31], off
	s_add_u32 s44, s44, 1
	s_addc_u32 s45, s45, 0
	s_andn2_b64 s[42:43], s[42:43], exec
	v_lshl_add_u64 v[30:31], v[30:31], 0, 8
	v_lshl_add_u64 v[32:33], v[32:33], 0, 8
	s_waitcnt vmcnt(0)
	v_cmp_ne_u64_e32 vcc, v[34:35], v[36:37]
	s_and_b64 s[46:47], vcc, exec
	s_or_b64 s[42:43], s[42:43], s[46:47]
.LBB608_265:                            ;   in Loop: Header=BB608_266 Depth=1
	s_and_b64 s[46:47], exec, s[42:43]
	s_or_b64 s[40:41], s[46:47], s[40:41]
	v_mov_b64_e32 v[34:35], s[44:45]
	s_andn2_b64 exec, exec, s[40:41]
	s_cbranch_execz .LBB608_268
.LBB608_266:                            ; =>This Inner Loop Header: Depth=1
	s_or_b64 s[42:43], s[42:43], exec
	s_cmp_eq_u64 s[16:17], s[44:45]
	s_cbranch_scc0 .LBB608_264
; %bb.267:                              ;   in Loop: Header=BB608_266 Depth=1
                                        ; implicit-def: $vgpr30_vgpr31
                                        ; implicit-def: $vgpr32_vgpr33
	s_mov_b64 s[44:45], s[26:27]
	s_branch .LBB608_265
.LBB608_268:
	s_or_b64 exec, exec, s[40:41]
	v_cmp_gt_i64_e32 vcc, s[26:27], v[34:35]
	s_orn2_b64 s[16:17], vcc, exec
.LBB608_269:
	s_or_b64 exec, exec, s[4:5]
.LBB608_270:
	s_and_b64 s[4:5], s[16:17], exec
.LBB608_271:
	s_or_b64 exec, exec, s[14:15]
	v_cmp_gt_u32_e32 vcc, s54, v45
	s_and_saveexec_b64 s[14:15], vcc
	s_cbranch_execz .LBB608_282
; %bb.272:
	s_andn2_b64 vcc, exec, s[6:7]
	s_mov_b64 s[16:17], 0
	s_cbranch_vccnz .LBB608_281
; %bb.273:
	v_mul_lo_u32 v32, v15, s26
	v_mul_lo_u32 v33, v14, s27
	s_waitcnt vmcnt(0) lgkmcnt(1)
	v_mad_u64_u32 v[30:31], s[12:13], v14, s26, 0
	v_add3_u32 v31, v31, v33, v32
	v_mul_lo_u32 v32, v17, s26
	v_mul_lo_u32 v33, v16, s27
	v_mad_u64_u32 v[34:35], s[12:13], v16, s26, 0
	v_add3_u32 v35, v35, v33, v32
	v_lshl_add_u64 v[32:33], v[30:31], 3, s[36:37]
	v_lshl_add_u64 v[30:31], v[34:35], 3, s[36:37]
	global_load_dwordx2 v[34:35], v[32:33], off
	global_load_dwordx2 v[36:37], v[30:31], off
	s_mov_b64 s[16:17], -1
	s_waitcnt vmcnt(0)
	v_cmp_eq_u64_e32 vcc, v[34:35], v[36:37]
	s_and_saveexec_b64 s[12:13], vcc
	s_cbranch_execz .LBB608_280
; %bb.274:
	s_add_u32 s16, s26, -1
	v_lshl_add_u64 v[30:31], v[30:31], 0, 8
	v_lshl_add_u64 v[32:33], v[32:33], 0, 8
	s_addc_u32 s17, s27, -1
	s_mov_b64 s[40:41], 0
	s_mov_b64 s[44:45], 0
                                        ; implicit-def: $sgpr42_sgpr43
	s_branch .LBB608_277
.LBB608_275:                            ;   in Loop: Header=BB608_277 Depth=1
	global_load_dwordx2 v[34:35], v[32:33], off
	global_load_dwordx2 v[36:37], v[30:31], off
	s_add_u32 s44, s44, 1
	s_addc_u32 s45, s45, 0
	s_andn2_b64 s[42:43], s[42:43], exec
	v_lshl_add_u64 v[30:31], v[30:31], 0, 8
	v_lshl_add_u64 v[32:33], v[32:33], 0, 8
	s_waitcnt vmcnt(0)
	v_cmp_ne_u64_e32 vcc, v[34:35], v[36:37]
	s_and_b64 s[46:47], vcc, exec
	s_or_b64 s[42:43], s[42:43], s[46:47]
.LBB608_276:                            ;   in Loop: Header=BB608_277 Depth=1
	s_and_b64 s[46:47], exec, s[42:43]
	s_or_b64 s[40:41], s[46:47], s[40:41]
	v_mov_b64_e32 v[34:35], s[44:45]
	s_andn2_b64 exec, exec, s[40:41]
	s_cbranch_execz .LBB608_279
.LBB608_277:                            ; =>This Inner Loop Header: Depth=1
	s_or_b64 s[42:43], s[42:43], exec
	s_cmp_eq_u64 s[16:17], s[44:45]
	s_cbranch_scc0 .LBB608_275
; %bb.278:                              ;   in Loop: Header=BB608_277 Depth=1
                                        ; implicit-def: $vgpr30_vgpr31
                                        ; implicit-def: $vgpr32_vgpr33
	s_mov_b64 s[44:45], s[26:27]
	s_branch .LBB608_276
.LBB608_279:
	s_or_b64 exec, exec, s[40:41]
	v_cmp_gt_i64_e32 vcc, s[26:27], v[34:35]
	s_orn2_b64 s[16:17], vcc, exec
.LBB608_280:
	s_or_b64 exec, exec, s[12:13]
.LBB608_281:
	s_and_b64 s[12:13], s[16:17], exec
.LBB608_282:
	s_or_b64 exec, exec, s[14:15]
	v_cmp_gt_u32_e32 vcc, s54, v41
	s_mov_b64 s[16:17], 0
	s_mov_b64 s[14:15], 0
	s_and_saveexec_b64 s[40:41], vcc
	s_cbranch_execz .LBB608_293
; %bb.283:
	s_andn2_b64 vcc, exec, s[6:7]
	s_mov_b64 s[42:43], 0
	s_cbranch_vccnz .LBB608_292
; %bb.284:
	v_mul_lo_u32 v32, v21, s26
	v_mul_lo_u32 v33, v20, s27
	s_waitcnt vmcnt(0) lgkmcnt(1)
	v_mad_u64_u32 v[30:31], s[14:15], v20, s26, 0
	v_add3_u32 v31, v31, v33, v32
	v_mul_lo_u32 v32, v15, s26
	v_mul_lo_u32 v33, v14, s27
	v_mad_u64_u32 v[34:35], s[14:15], v14, s26, 0
	v_add3_u32 v35, v35, v33, v32
	v_lshl_add_u64 v[32:33], v[30:31], 3, s[36:37]
	v_lshl_add_u64 v[30:31], v[34:35], 3, s[36:37]
	global_load_dwordx2 v[34:35], v[32:33], off
	global_load_dwordx2 v[36:37], v[30:31], off
	s_mov_b64 s[42:43], -1
	s_waitcnt vmcnt(0)
	v_cmp_eq_u64_e32 vcc, v[34:35], v[36:37]
	s_and_saveexec_b64 s[14:15], vcc
	s_cbranch_execz .LBB608_291
; %bb.285:
	s_add_u32 s42, s26, -1
	v_lshl_add_u64 v[30:31], v[30:31], 0, 8
	v_lshl_add_u64 v[32:33], v[32:33], 0, 8
	s_addc_u32 s43, s27, -1
	s_mov_b64 s[44:45], 0
	s_mov_b64 s[48:49], 0
                                        ; implicit-def: $sgpr46_sgpr47
	s_branch .LBB608_288
.LBB608_286:                            ;   in Loop: Header=BB608_288 Depth=1
	global_load_dwordx2 v[34:35], v[32:33], off
	global_load_dwordx2 v[36:37], v[30:31], off
	s_add_u32 s48, s48, 1
	s_addc_u32 s49, s49, 0
	s_andn2_b64 s[46:47], s[46:47], exec
	v_lshl_add_u64 v[30:31], v[30:31], 0, 8
	v_lshl_add_u64 v[32:33], v[32:33], 0, 8
	s_waitcnt vmcnt(0)
	v_cmp_ne_u64_e32 vcc, v[34:35], v[36:37]
	s_and_b64 s[50:51], vcc, exec
	s_or_b64 s[46:47], s[46:47], s[50:51]
.LBB608_287:                            ;   in Loop: Header=BB608_288 Depth=1
	s_and_b64 s[50:51], exec, s[46:47]
	s_or_b64 s[44:45], s[50:51], s[44:45]
	v_mov_b64_e32 v[34:35], s[48:49]
	s_andn2_b64 exec, exec, s[44:45]
	s_cbranch_execz .LBB608_290
.LBB608_288:                            ; =>This Inner Loop Header: Depth=1
	s_or_b64 s[46:47], s[46:47], exec
	s_cmp_eq_u64 s[42:43], s[48:49]
	s_cbranch_scc0 .LBB608_286
; %bb.289:                              ;   in Loop: Header=BB608_288 Depth=1
                                        ; implicit-def: $vgpr30_vgpr31
                                        ; implicit-def: $vgpr32_vgpr33
	s_mov_b64 s[48:49], s[26:27]
	s_branch .LBB608_287
.LBB608_290:
	s_or_b64 exec, exec, s[44:45]
	v_cmp_gt_i64_e32 vcc, s[26:27], v[34:35]
	s_orn2_b64 s[42:43], vcc, exec
.LBB608_291:
	s_or_b64 exec, exec, s[14:15]
.LBB608_292:
	s_and_b64 s[14:15], s[42:43], exec
.LBB608_293:
	s_or_b64 exec, exec, s[40:41]
	v_cmp_gt_u32_e32 vcc, s54, v44
	s_and_saveexec_b64 s[40:41], vcc
	s_cbranch_execz .LBB608_304
; %bb.294:
	s_andn2_b64 vcc, exec, s[6:7]
	s_mov_b64 s[42:43], 0
	s_cbranch_vccnz .LBB608_303
; %bb.295:
	v_mul_lo_u32 v32, v19, s26
	v_mul_lo_u32 v33, v18, s27
	s_waitcnt vmcnt(0) lgkmcnt(1)
	v_mad_u64_u32 v[30:31], s[16:17], v18, s26, 0
	v_add3_u32 v31, v31, v33, v32
	v_mul_lo_u32 v32, v21, s26
	v_mul_lo_u32 v33, v20, s27
	v_mad_u64_u32 v[34:35], s[16:17], v20, s26, 0
	v_add3_u32 v35, v35, v33, v32
	v_lshl_add_u64 v[32:33], v[30:31], 3, s[36:37]
	v_lshl_add_u64 v[30:31], v[34:35], 3, s[36:37]
	global_load_dwordx2 v[34:35], v[32:33], off
	global_load_dwordx2 v[36:37], v[30:31], off
	s_mov_b64 s[42:43], -1
	s_waitcnt vmcnt(0)
	v_cmp_eq_u64_e32 vcc, v[34:35], v[36:37]
	s_and_saveexec_b64 s[16:17], vcc
	s_cbranch_execz .LBB608_302
; %bb.296:
	s_add_u32 s42, s26, -1
	v_lshl_add_u64 v[30:31], v[30:31], 0, 8
	v_lshl_add_u64 v[32:33], v[32:33], 0, 8
	s_addc_u32 s43, s27, -1
	s_mov_b64 s[44:45], 0
	s_mov_b64 s[48:49], 0
                                        ; implicit-def: $sgpr46_sgpr47
	s_branch .LBB608_299
.LBB608_297:                            ;   in Loop: Header=BB608_299 Depth=1
	global_load_dwordx2 v[34:35], v[32:33], off
	global_load_dwordx2 v[36:37], v[30:31], off
	s_add_u32 s48, s48, 1
	s_addc_u32 s49, s49, 0
	s_andn2_b64 s[46:47], s[46:47], exec
	v_lshl_add_u64 v[30:31], v[30:31], 0, 8
	v_lshl_add_u64 v[32:33], v[32:33], 0, 8
	s_waitcnt vmcnt(0)
	v_cmp_ne_u64_e32 vcc, v[34:35], v[36:37]
	s_and_b64 s[50:51], vcc, exec
	s_or_b64 s[46:47], s[46:47], s[50:51]
.LBB608_298:                            ;   in Loop: Header=BB608_299 Depth=1
	s_and_b64 s[50:51], exec, s[46:47]
	s_or_b64 s[44:45], s[50:51], s[44:45]
	v_mov_b64_e32 v[34:35], s[48:49]
	s_andn2_b64 exec, exec, s[44:45]
	s_cbranch_execz .LBB608_301
.LBB608_299:                            ; =>This Inner Loop Header: Depth=1
	s_or_b64 s[46:47], s[46:47], exec
	s_cmp_eq_u64 s[42:43], s[48:49]
	s_cbranch_scc0 .LBB608_297
; %bb.300:                              ;   in Loop: Header=BB608_299 Depth=1
                                        ; implicit-def: $vgpr30_vgpr31
                                        ; implicit-def: $vgpr32_vgpr33
	s_mov_b64 s[48:49], s[26:27]
	s_branch .LBB608_298
.LBB608_301:
	s_or_b64 exec, exec, s[44:45]
	v_cmp_gt_i64_e32 vcc, s[26:27], v[34:35]
	s_orn2_b64 s[42:43], vcc, exec
.LBB608_302:
	s_or_b64 exec, exec, s[16:17]
.LBB608_303:
	s_and_b64 s[16:17], s[42:43], exec
.LBB608_304:
	s_or_b64 exec, exec, s[40:41]
	v_cmp_gt_u32_e32 vcc, s54, v40
	s_mov_b64 s[40:41], 0
	s_mov_b64 s[42:43], 0
	s_and_saveexec_b64 s[44:45], vcc
	s_cbranch_execz .LBB608_315
; %bb.305:
	s_andn2_b64 vcc, exec, s[6:7]
	s_mov_b64 s[46:47], 0
	s_cbranch_vccnz .LBB608_314
; %bb.306:
	v_mul_lo_u32 v32, v25, s26
	v_mul_lo_u32 v33, v24, s27
	s_waitcnt vmcnt(0) lgkmcnt(1)
	v_mad_u64_u32 v[30:31], s[42:43], v24, s26, 0
	v_add3_u32 v31, v31, v33, v32
	v_mul_lo_u32 v32, v19, s26
	v_mul_lo_u32 v33, v18, s27
	v_mad_u64_u32 v[34:35], s[42:43], v18, s26, 0
	v_add3_u32 v35, v35, v33, v32
	v_lshl_add_u64 v[32:33], v[30:31], 3, s[36:37]
	v_lshl_add_u64 v[30:31], v[34:35], 3, s[36:37]
	global_load_dwordx2 v[34:35], v[32:33], off
	global_load_dwordx2 v[36:37], v[30:31], off
	s_mov_b64 s[46:47], -1
	s_waitcnt vmcnt(0)
	v_cmp_eq_u64_e32 vcc, v[34:35], v[36:37]
	s_and_saveexec_b64 s[42:43], vcc
	s_cbranch_execz .LBB608_313
; %bb.307:
	s_add_u32 s46, s26, -1
	v_lshl_add_u64 v[30:31], v[30:31], 0, 8
	v_lshl_add_u64 v[32:33], v[32:33], 0, 8
	s_addc_u32 s47, s27, -1
	s_mov_b64 s[48:49], 0
	s_mov_b64 s[52:53], 0
                                        ; implicit-def: $sgpr50_sgpr51
	s_branch .LBB608_310
.LBB608_308:                            ;   in Loop: Header=BB608_310 Depth=1
	global_load_dwordx2 v[34:35], v[32:33], off
	global_load_dwordx2 v[36:37], v[30:31], off
	s_add_u32 s52, s52, 1
	s_addc_u32 s53, s53, 0
	s_andn2_b64 s[50:51], s[50:51], exec
	v_lshl_add_u64 v[30:31], v[30:31], 0, 8
	v_lshl_add_u64 v[32:33], v[32:33], 0, 8
	s_waitcnt vmcnt(0)
	v_cmp_ne_u64_e32 vcc, v[34:35], v[36:37]
	s_and_b64 s[56:57], vcc, exec
	s_or_b64 s[50:51], s[50:51], s[56:57]
.LBB608_309:                            ;   in Loop: Header=BB608_310 Depth=1
	s_and_b64 s[56:57], exec, s[50:51]
	s_or_b64 s[48:49], s[56:57], s[48:49]
	v_mov_b64_e32 v[34:35], s[52:53]
	s_andn2_b64 exec, exec, s[48:49]
	s_cbranch_execz .LBB608_312
.LBB608_310:                            ; =>This Inner Loop Header: Depth=1
	s_or_b64 s[50:51], s[50:51], exec
	s_cmp_eq_u64 s[46:47], s[52:53]
	s_cbranch_scc0 .LBB608_308
; %bb.311:                              ;   in Loop: Header=BB608_310 Depth=1
                                        ; implicit-def: $vgpr30_vgpr31
                                        ; implicit-def: $vgpr32_vgpr33
	s_mov_b64 s[52:53], s[26:27]
	s_branch .LBB608_309
.LBB608_312:
	s_or_b64 exec, exec, s[48:49]
	v_cmp_gt_i64_e32 vcc, s[26:27], v[34:35]
	s_orn2_b64 s[46:47], vcc, exec
.LBB608_313:
	s_or_b64 exec, exec, s[42:43]
.LBB608_314:
	s_and_b64 s[42:43], s[46:47], exec
.LBB608_315:
	s_or_b64 exec, exec, s[44:45]
	v_cmp_gt_u32_e32 vcc, s54, v43
	s_and_saveexec_b64 s[44:45], vcc
	s_cbranch_execz .LBB608_326
; %bb.316:
	s_andn2_b64 vcc, exec, s[6:7]
	s_mov_b64 s[46:47], 0
	s_cbranch_vccnz .LBB608_325
; %bb.317:
	v_mul_lo_u32 v32, v23, s26
	v_mul_lo_u32 v33, v22, s27
	s_waitcnt vmcnt(0) lgkmcnt(1)
	v_mad_u64_u32 v[30:31], s[40:41], v22, s26, 0
	v_add3_u32 v31, v31, v33, v32
	v_mul_lo_u32 v32, v25, s26
	v_mul_lo_u32 v33, v24, s27
	v_mad_u64_u32 v[34:35], s[40:41], v24, s26, 0
	v_add3_u32 v35, v35, v33, v32
	v_lshl_add_u64 v[32:33], v[30:31], 3, s[36:37]
	v_lshl_add_u64 v[30:31], v[34:35], 3, s[36:37]
	global_load_dwordx2 v[34:35], v[32:33], off
	global_load_dwordx2 v[36:37], v[30:31], off
	s_mov_b64 s[46:47], -1
	s_waitcnt vmcnt(0)
	v_cmp_eq_u64_e32 vcc, v[34:35], v[36:37]
	s_and_saveexec_b64 s[40:41], vcc
	s_cbranch_execz .LBB608_324
; %bb.318:
	s_add_u32 s46, s26, -1
	v_lshl_add_u64 v[30:31], v[30:31], 0, 8
	v_lshl_add_u64 v[32:33], v[32:33], 0, 8
	s_addc_u32 s47, s27, -1
	s_mov_b64 s[48:49], 0
	s_mov_b64 s[52:53], 0
                                        ; implicit-def: $sgpr50_sgpr51
	s_branch .LBB608_321
.LBB608_319:                            ;   in Loop: Header=BB608_321 Depth=1
	global_load_dwordx2 v[34:35], v[32:33], off
	global_load_dwordx2 v[36:37], v[30:31], off
	s_add_u32 s52, s52, 1
	s_addc_u32 s53, s53, 0
	s_andn2_b64 s[50:51], s[50:51], exec
	v_lshl_add_u64 v[30:31], v[30:31], 0, 8
	v_lshl_add_u64 v[32:33], v[32:33], 0, 8
	s_waitcnt vmcnt(0)
	v_cmp_ne_u64_e32 vcc, v[34:35], v[36:37]
	s_and_b64 s[56:57], vcc, exec
	s_or_b64 s[50:51], s[50:51], s[56:57]
.LBB608_320:                            ;   in Loop: Header=BB608_321 Depth=1
	s_and_b64 s[56:57], exec, s[50:51]
	s_or_b64 s[48:49], s[56:57], s[48:49]
	v_mov_b64_e32 v[34:35], s[52:53]
	s_andn2_b64 exec, exec, s[48:49]
	s_cbranch_execz .LBB608_323
.LBB608_321:                            ; =>This Inner Loop Header: Depth=1
	s_or_b64 s[50:51], s[50:51], exec
	s_cmp_eq_u64 s[46:47], s[52:53]
	s_cbranch_scc0 .LBB608_319
; %bb.322:                              ;   in Loop: Header=BB608_321 Depth=1
                                        ; implicit-def: $vgpr30_vgpr31
                                        ; implicit-def: $vgpr32_vgpr33
	s_mov_b64 s[52:53], s[26:27]
	s_branch .LBB608_320
.LBB608_323:
	s_or_b64 exec, exec, s[48:49]
	v_cmp_gt_i64_e32 vcc, s[26:27], v[34:35]
	s_orn2_b64 s[46:47], vcc, exec
.LBB608_324:
	s_or_b64 exec, exec, s[40:41]
.LBB608_325:
	s_and_b64 s[40:41], s[46:47], exec
.LBB608_326:
	s_or_b64 exec, exec, s[44:45]
	s_waitcnt vmcnt(0) lgkmcnt(1)
	v_cndmask_b32_e64 v31, 0, 1, s[16:17]
	v_cndmask_b32_e64 v30, 0, 1, s[42:43]
	;; [unrolled: 1-line block ×3, first 2 shown]
	v_lshlrev_b16_e32 v31, 8, v31
	v_cndmask_b32_e64 v39, 0, 1, s[14:15]
	v_cndmask_b32_e64 v32, 0, 1, s[40:41]
	v_or_b32_sdwa v30, v30, v31 dst_sel:WORD_1 dst_unused:UNUSED_PAD src0_sel:DWORD src1_sel:DWORD
	v_lshlrev_b16_e32 v31, 8, v48
	v_lshlrev_b16_e32 v32, 8, v32
	v_or_b32_e32 v31, v39, v31
	v_or_b32_e32 v32, 1, v32
	v_and_b32_e32 v31, 0xffff, v31
	v_cndmask_b32_e64 v49, 0, 1, s[4:5]
	v_or_b32_sdwa v30, v32, v30 dst_sel:DWORD dst_unused:UNUSED_PAD src0_sel:WORD_0 src1_sel:DWORD
	v_lshl_or_b32 v31, v49, 16, v31
	s_waitcnt lgkmcnt(0)
	s_barrier
	s_waitcnt lgkmcnt(0)
                                        ; implicit-def: $sgpr14_sgpr15
                                        ; implicit-def: $vgpr34
	s_and_saveexec_b64 s[4:5], s[2:3]
	s_cbranch_execz .LBB608_339
; %bb.327:
	v_cmp_gt_u32_e32 vcc, s54, v1
	s_mov_b32 s40, 0x3020104
	s_mov_b64 s[12:13], 0
	s_and_saveexec_b64 s[2:3], vcc
	s_cbranch_execz .LBB608_338
; %bb.328:
	s_andn2_b64 vcc, exec, s[6:7]
	s_cbranch_vccnz .LBB608_337
; %bb.329:
	v_add_u32_e32 v31, -8, v38
	ds_read_b64 v[32:33], v31
	v_mul_lo_u32 v31, v23, s26
	v_mad_u64_u32 v[36:37], s[6:7], v22, s26, 0
	s_mov_b64 s[12:13], -1
	s_waitcnt lgkmcnt(0)
	v_mul_lo_u32 v34, v33, s26
	v_mul_lo_u32 v35, v32, s27
	v_mad_u64_u32 v[32:33], s[6:7], v32, s26, 0
	v_add3_u32 v33, v33, v35, v34
	v_mul_lo_u32 v34, v22, s27
	v_add3_u32 v37, v37, v34, v31
	v_lshl_add_u64 v[34:35], v[32:33], 3, s[36:37]
	v_lshl_add_u64 v[32:33], v[36:37], 3, s[36:37]
	global_load_dwordx2 v[36:37], v[34:35], off
	global_load_dwordx2 v[46:47], v[32:33], off
	s_waitcnt vmcnt(0)
	v_cmp_eq_u64_e32 vcc, v[36:37], v[46:47]
	s_and_saveexec_b64 s[6:7], vcc
	s_cbranch_execz .LBB608_336
; %bb.330:
	s_add_u32 s12, s26, -1
	v_lshl_add_u64 v[32:33], v[32:33], 0, 8
	v_lshl_add_u64 v[34:35], v[34:35], 0, 8
	s_addc_u32 s13, s27, -1
	s_mov_b64 s[14:15], 0
	s_mov_b64 s[36:37], 0
                                        ; implicit-def: $sgpr16_sgpr17
	s_branch .LBB608_333
.LBB608_331:                            ;   in Loop: Header=BB608_333 Depth=1
	global_load_dwordx2 v[36:37], v[34:35], off
	global_load_dwordx2 v[46:47], v[32:33], off
	s_add_u32 s36, s36, 1
	s_addc_u32 s37, s37, 0
	s_andn2_b64 s[16:17], s[16:17], exec
	v_lshl_add_u64 v[32:33], v[32:33], 0, 8
	v_lshl_add_u64 v[34:35], v[34:35], 0, 8
	s_waitcnt vmcnt(0)
	v_cmp_ne_u64_e32 vcc, v[36:37], v[46:47]
	s_and_b64 s[42:43], vcc, exec
	s_or_b64 s[16:17], s[16:17], s[42:43]
.LBB608_332:                            ;   in Loop: Header=BB608_333 Depth=1
	s_and_b64 s[42:43], exec, s[16:17]
	s_or_b64 s[14:15], s[42:43], s[14:15]
	v_mov_b64_e32 v[36:37], s[36:37]
	s_andn2_b64 exec, exec, s[14:15]
	s_cbranch_execz .LBB608_335
.LBB608_333:                            ; =>This Inner Loop Header: Depth=1
	s_or_b64 s[16:17], s[16:17], exec
	s_cmp_eq_u64 s[12:13], s[36:37]
	s_cbranch_scc0 .LBB608_331
; %bb.334:                              ;   in Loop: Header=BB608_333 Depth=1
                                        ; implicit-def: $vgpr32_vgpr33
                                        ; implicit-def: $vgpr34_vgpr35
	s_mov_b64 s[36:37], s[26:27]
	s_branch .LBB608_332
.LBB608_335:
	s_or_b64 exec, exec, s[14:15]
	v_cmp_gt_i64_e32 vcc, s[26:27], v[36:37]
	s_orn2_b64 s[12:13], vcc, exec
.LBB608_336:
	s_or_b64 exec, exec, s[6:7]
.LBB608_337:
	s_and_b64 s[12:13], s[12:13], exec
.LBB608_338:
	s_or_b64 exec, exec, s[2:3]
	v_perm_b32 v34, v30, v30, s40
	s_and_b64 s[14:15], s[12:13], exec
	s_or_b64 s[10:11], s[10:11], exec
                                        ; implicit-def: $vgpr30_vgpr31
.LBB608_339:
	s_or_b64 exec, exec, s[4:5]
.LBB608_340:
	s_and_saveexec_b64 s[2:3], s[10:11]
	s_cbranch_execz .LBB608_342
; %bb.341:
	s_waitcnt vmcnt(0) lgkmcnt(0)
	v_lshlrev_b16_e32 v31, 8, v48
	v_and_b32_e32 v32, 0xff, v49
	v_or_b32_sdwa v31, v39, v31 dst_sel:DWORD dst_unused:UNUSED_PAD src0_sel:BYTE_0 src1_sel:DWORD
	v_lshlrev_b32_e32 v32, 16, v32
	s_movk_i32 s4, 0xff
	v_or_b32_sdwa v31, v31, v32 dst_sel:DWORD dst_unused:UNUSED_PAD src0_sel:WORD_0 src1_sel:DWORD
	v_lshrrev_b32_e32 v32, 24, v34
	v_lshlrev_b16_e32 v32, 8, v32
	v_and_b32_sdwa v33, v34, s4 dst_sel:DWORD dst_unused:UNUSED_PAD src0_sel:WORD_1 src1_sel:DWORD
	v_or_b32_sdwa v32, v33, v32 dst_sel:WORD_1 dst_unused:UNUSED_PAD src0_sel:DWORD src1_sel:DWORD
	v_mov_b32_e32 v33, 8
	v_cndmask_b32_e64 v30, 0, 1, s[14:15]
	v_lshrrev_b32_sdwa v33, v33, v34 dst_sel:BYTE_1 dst_unused:UNUSED_PAD src0_sel:DWORD src1_sel:DWORD
	s_nop 0
	v_or_b32_e32 v30, v30, v33
	v_or_b32_sdwa v30, v30, v32 dst_sel:DWORD dst_unused:UNUSED_PAD src0_sel:WORD_0 src1_sel:DWORD
.LBB608_342:
	s_or_b64 exec, exec, s[2:3]
	s_andn2_b64 vcc, exec, s[8:9]
	s_cbranch_vccnz .LBB608_344
; %bb.343:
	s_waitcnt vmcnt(0) lgkmcnt(0)
	v_and_b32_e32 v32, 0xffff0000, v30
	v_cmp_gt_u32_e32 vcc, s54, v1
	s_mov_b32 s2, 0x40c0100
	s_nop 0
	v_cndmask_b32_e32 v1, v32, v30, vcc
	v_and_b32_e32 v1, 0xffff00ff, v1
	v_cmp_gt_u32_e32 vcc, s54, v43
	s_nop 1
	v_cndmask_b32_e32 v1, v1, v30, vcc
	v_lshrrev_b32_e32 v32, 24, v1
	v_perm_b32 v1, v32, v1, s2
	v_cmp_gt_u32_e32 vcc, s54, v40
	v_and_b32_e32 v32, 0xffffff00, v31
	s_nop 0
	v_cndmask_b32_e32 v1, v1, v30, vcc
	v_and_b32_e32 v1, 0xffffff, v1
	v_cmp_gt_u32_e32 vcc, s54, v44
	s_nop 1
	v_cndmask_b32_e32 v1, v1, v30, vcc
	v_cmp_gt_u32_e32 vcc, s54, v41
	s_nop 1
	v_cndmask_b32_e32 v32, v32, v31, vcc
	v_and_b32_e32 v32, 0xffff00ff, v32
	v_cndmask_b32_e32 v1, v1, v30, vcc
	v_cmp_gt_u32_e32 vcc, s54, v45
	s_nop 1
	v_cndmask_b32_e32 v32, v32, v31, vcc
	v_lshrrev_b32_e32 v33, 24, v32
	v_cndmask_b32_e32 v1, v1, v30, vcc
	v_perm_b32 v32, v33, v32, s2
	v_cmp_gt_u32_e32 vcc, s54, v42
	s_mov_b32 s2, 0x3020104
	s_nop 0
	v_cndmask_b32_e32 v1, v1, v30, vcc
	v_cndmask_b32_e32 v30, v32, v31, vcc
	v_mov_b32_e32 v31, 8
	v_lshrrev_b32_sdwa v31, v31, v30 dst_sel:BYTE_1 dst_unused:UNUSED_PAD src0_sel:DWORD src1_sel:DWORD
	s_nop 0
	v_or_b32_sdwa v31, v30, v31 dst_sel:DWORD dst_unused:UNUSED_PAD src0_sel:BYTE_0 src1_sel:DWORD
	v_and_b32_e32 v31, 0xffff, v31
	v_bfe_u32 v30, v30, 16, 8
	v_lshl_or_b32 v31, v30, 16, v31
	v_perm_b32 v30, v1, v1, s2
.LBB608_344:
	s_waitcnt vmcnt(0) lgkmcnt(0)
	v_and_b32_e32 v1, 0xff, v30
	v_bfe_u32 v43, v30, 8, 8
	v_bfe_u32 v45, v30, 16, 8
	v_alignbit_b32 v32, v31, v30, 24
	v_and_b32_e32 v47, 0xff, v32
	v_and_b32_e32 v48, 0xff, v31
	v_add3_u32 v33, v43, v1, v45
	v_bfe_u32 v49, v31, 8, 8
	v_bfe_u32 v32, v31, 16, 8
	v_add3_u32 v33, v33, v47, v48
	v_add3_u32 v52, v33, v49, v32
	v_mbcnt_lo_u32_b32 v32, -1, 0
	v_mbcnt_hi_u32_b32 v50, -1, v32
	v_and_b32_e32 v32, 15, v50
	v_cmp_eq_u32_e64 s[14:15], 0, v32
	v_cmp_lt_u32_e64 s[12:13], 1, v32
	v_cmp_lt_u32_e64 s[10:11], 3, v32
	;; [unrolled: 1-line block ×3, first 2 shown]
	v_and_b32_e32 v32, 16, v50
	v_cmp_eq_u32_e64 s[6:7], 0, v32
	v_or_b32_e32 v32, 63, v0
	v_cmp_lt_u32_e64 s[2:3], 31, v50
	v_lshrrev_b32_e32 v51, 6, v0
	v_cmp_eq_u32_e64 s[4:5], v32, v0
	s_and_b64 vcc, exec, s[0:1]
	s_barrier
	s_cbranch_vccz .LBB608_375
; %bb.345:
	v_mov_b32_dpp v32, v52 row_shr:1 row_mask:0xf bank_mask:0xf
	v_cndmask_b32_e64 v32, v32, 0, s[14:15]
	v_add_u32_e32 v32, v32, v52
	s_nop 1
	v_mov_b32_dpp v33, v32 row_shr:2 row_mask:0xf bank_mask:0xf
	v_cndmask_b32_e64 v33, 0, v33, s[12:13]
	v_add_u32_e32 v32, v32, v33
	s_nop 1
	;; [unrolled: 4-line block ×4, first 2 shown]
	v_mov_b32_dpp v33, v32 row_bcast:15 row_mask:0xf bank_mask:0xf
	v_cndmask_b32_e64 v33, v33, 0, s[6:7]
	v_add_u32_e32 v32, v32, v33
	s_nop 1
	v_mov_b32_dpp v33, v32 row_bcast:31 row_mask:0xf bank_mask:0xf
	v_cndmask_b32_e64 v33, 0, v33, s[2:3]
	v_add_u32_e32 v32, v32, v33
	s_and_saveexec_b64 s[0:1], s[4:5]
	s_cbranch_execz .LBB608_347
; %bb.346:
	v_lshlrev_b32_e32 v33, 2, v51
	ds_write_b32 v33, v32
.LBB608_347:
	s_or_b64 exec, exec, s[0:1]
	v_cmp_gt_u32_e32 vcc, 8, v0
	s_waitcnt lgkmcnt(0)
	s_barrier
	s_and_saveexec_b64 s[0:1], vcc
	s_cbranch_execz .LBB608_349
; %bb.348:
	v_lshlrev_b32_e32 v33, 2, v0
	ds_read_b32 v34, v33
	v_and_b32_e32 v35, 7, v50
	v_cmp_ne_u32_e32 vcc, 0, v35
	s_waitcnt lgkmcnt(0)
	v_mov_b32_dpp v36, v34 row_shr:1 row_mask:0xf bank_mask:0xf
	v_cndmask_b32_e32 v36, 0, v36, vcc
	v_add_u32_e32 v34, v36, v34
	v_cmp_lt_u32_e32 vcc, 1, v35
	s_nop 0
	v_mov_b32_dpp v36, v34 row_shr:2 row_mask:0xf bank_mask:0xf
	v_cndmask_b32_e32 v36, 0, v36, vcc
	v_add_u32_e32 v34, v34, v36
	v_cmp_lt_u32_e32 vcc, 3, v35
	s_nop 0
	v_mov_b32_dpp v36, v34 row_shr:4 row_mask:0xf bank_mask:0xf
	v_cndmask_b32_e32 v35, 0, v36, vcc
	v_add_u32_e32 v34, v34, v35
	ds_write_b32 v33, v34
.LBB608_349:
	s_or_b64 exec, exec, s[0:1]
	v_cmp_gt_u32_e32 vcc, 64, v0
	v_cmp_lt_u32_e64 s[0:1], 63, v0
	s_waitcnt lgkmcnt(0)
	s_barrier
	s_waitcnt lgkmcnt(0)
                                        ; implicit-def: $vgpr42
	s_and_saveexec_b64 s[16:17], s[0:1]
	s_cbranch_execz .LBB608_351
; %bb.350:
	v_lshl_add_u32 v33, v51, 2, -4
	ds_read_b32 v42, v33
	s_waitcnt lgkmcnt(0)
	v_add_u32_e32 v32, v42, v32
.LBB608_351:
	s_or_b64 exec, exec, s[16:17]
	v_add_u32_e32 v33, -1, v50
	v_and_b32_e32 v34, 64, v50
	v_cmp_lt_i32_e64 s[0:1], v33, v34
	v_cmp_eq_u32_e64 s[16:17], 0, v50
	s_nop 0
	v_cndmask_b32_e64 v33, v33, v50, s[0:1]
	v_lshlrev_b32_e32 v33, 2, v33
	ds_bpermute_b32 v44, v33, v32
	s_and_saveexec_b64 s[0:1], vcc
	s_cbranch_execz .LBB608_374
; %bb.352:
	v_mov_b32_e32 v41, 0
	ds_read_b32 v32, v41 offset:28
	s_and_saveexec_b64 s[26:27], s[16:17]
	s_cbranch_execz .LBB608_354
; %bb.353:
	s_add_i32 s36, s33, 64
	s_mov_b32 s37, 0
	s_lshl_b64 s[36:37], s[36:37], 3
	s_add_u32 s36, s38, s36
	v_mov_b32_e32 v33, 1
	s_addc_u32 s37, s39, s37
	s_waitcnt lgkmcnt(0)
	global_store_dwordx2 v41, v[32:33], s[36:37] sc1
.LBB608_354:
	s_or_b64 exec, exec, s[26:27]
	v_xad_u32 v34, v50, -1, s33
	v_add_u32_e32 v40, 64, v34
	v_lshl_add_u64 v[36:37], v[40:41], 3, s[38:39]
	global_load_dwordx2 v[38:39], v[36:37], off sc1
	s_waitcnt vmcnt(0)
	v_cmp_eq_u16_sdwa s[36:37], v39, v41 src0_sel:BYTE_0 src1_sel:DWORD
	s_and_saveexec_b64 s[26:27], s[36:37]
	s_cbranch_execz .LBB608_360
; %bb.355:
	s_mov_b32 s40, 1
	s_mov_b64 s[36:37], 0
	v_mov_b32_e32 v33, 0
.LBB608_356:                            ; =>This Loop Header: Depth=1
                                        ;     Child Loop BB608_357 Depth 2
	s_max_u32 s41, s40, 1
.LBB608_357:                            ;   Parent Loop BB608_356 Depth=1
                                        ; =>  This Inner Loop Header: Depth=2
	s_add_i32 s41, s41, -1
	s_cmp_eq_u32 s41, 0
	s_sleep 1
	s_cbranch_scc0 .LBB608_357
; %bb.358:                              ;   in Loop: Header=BB608_356 Depth=1
	global_load_dwordx2 v[38:39], v[36:37], off sc1
	s_cmp_lt_u32 s40, 32
	s_cselect_b64 s[42:43], -1, 0
	s_cmp_lg_u64 s[42:43], 0
	s_addc_u32 s40, s40, 0
	s_waitcnt vmcnt(0)
	v_cmp_ne_u16_sdwa s[42:43], v39, v33 src0_sel:BYTE_0 src1_sel:DWORD
	s_or_b64 s[36:37], s[42:43], s[36:37]
	s_andn2_b64 exec, exec, s[36:37]
	s_cbranch_execnz .LBB608_356
; %bb.359:
	s_or_b64 exec, exec, s[36:37]
.LBB608_360:
	s_or_b64 exec, exec, s[26:27]
	v_and_b32_e32 v46, 63, v50
	v_mov_b32_e32 v33, 2
	v_cmp_ne_u32_e32 vcc, 63, v46
	v_cmp_eq_u16_sdwa s[26:27], v39, v33 src0_sel:BYTE_0 src1_sel:DWORD
	v_lshlrev_b64 v[36:37], v50, -1
	v_addc_co_u32_e32 v41, vcc, 0, v50, vcc
	v_and_b32_e32 v35, s27, v37
	v_lshlrev_b32_e32 v53, 2, v41
	v_or_b32_e32 v35, 0x80000000, v35
	ds_bpermute_b32 v41, v53, v38
	v_and_b32_e32 v40, s26, v36
	v_ffbl_b32_e32 v35, v35
	v_add_u32_e32 v35, 32, v35
	v_ffbl_b32_e32 v40, v40
	v_min_u32_e32 v35, v40, v35
	v_cmp_lt_u32_e32 vcc, v46, v35
	v_add_u32_e32 v55, 2, v46
	v_add_u32_e32 v57, 4, v46
	s_waitcnt lgkmcnt(0)
	v_cndmask_b32_e32 v40, 0, v41, vcc
	v_cmp_gt_u32_e32 vcc, 62, v46
	v_add_u32_e32 v38, v40, v38
	v_add_u32_e32 v59, 8, v46
	v_cndmask_b32_e64 v40, 0, 1, vcc
	v_lshlrev_b32_e32 v40, 1, v40
	v_add_lshl_u32 v54, v40, v50, 2
	ds_bpermute_b32 v40, v54, v38
	v_cmp_le_u32_e32 vcc, v55, v35
	v_add_u32_e32 v62, 16, v46
	v_add_u32_e32 v64, 32, v46
	s_waitcnt lgkmcnt(0)
	v_cndmask_b32_e32 v40, 0, v40, vcc
	v_cmp_gt_u32_e32 vcc, 60, v46
	v_add_u32_e32 v38, v38, v40
	s_nop 0
	v_cndmask_b32_e64 v40, 0, 1, vcc
	v_lshlrev_b32_e32 v40, 2, v40
	v_add_lshl_u32 v56, v40, v50, 2
	ds_bpermute_b32 v40, v56, v38
	v_cmp_le_u32_e32 vcc, v57, v35
	s_waitcnt lgkmcnt(0)
	s_nop 0
	v_cndmask_b32_e32 v40, 0, v40, vcc
	v_cmp_gt_u32_e32 vcc, 56, v46
	v_add_u32_e32 v38, v38, v40
	s_nop 0
	v_cndmask_b32_e64 v40, 0, 1, vcc
	v_lshlrev_b32_e32 v40, 3, v40
	v_add_lshl_u32 v58, v40, v50, 2
	ds_bpermute_b32 v40, v58, v38
	v_cmp_le_u32_e32 vcc, v59, v35
	s_waitcnt lgkmcnt(0)
	s_nop 0
	;; [unrolled: 11-line block ×4, first 2 shown]
	v_cndmask_b32_e32 v35, 0, v40, vcc
	v_add_u32_e32 v38, v38, v35
	v_mov_b32_e32 v35, 0
	s_branch .LBB608_362
.LBB608_361:                            ;   in Loop: Header=BB608_362 Depth=1
	s_or_b64 exec, exec, s[26:27]
	v_cmp_eq_u16_sdwa s[26:27], v39, v33 src0_sel:BYTE_0 src1_sel:DWORD
	ds_bpermute_b32 v65, v53, v38
	v_subrev_u32_e32 v34, 64, v34
	v_and_b32_e32 v40, s27, v37
	v_or_b32_e32 v40, 0x80000000, v40
	v_and_b32_e32 v41, s26, v36
	v_ffbl_b32_e32 v40, v40
	v_add_u32_e32 v40, 32, v40
	v_ffbl_b32_e32 v41, v41
	v_min_u32_e32 v40, v41, v40
	v_cmp_lt_u32_e32 vcc, v46, v40
	s_waitcnt lgkmcnt(0)
	s_nop 0
	v_cndmask_b32_e32 v41, 0, v65, vcc
	v_add_u32_e32 v38, v41, v38
	ds_bpermute_b32 v41, v54, v38
	v_cmp_le_u32_e32 vcc, v55, v40
	s_waitcnt lgkmcnt(0)
	s_nop 0
	v_cndmask_b32_e32 v41, 0, v41, vcc
	v_add_u32_e32 v38, v38, v41
	ds_bpermute_b32 v41, v56, v38
	v_cmp_le_u32_e32 vcc, v57, v40
	;; [unrolled: 6-line block ×5, first 2 shown]
	s_waitcnt lgkmcnt(0)
	s_nop 0
	v_cndmask_b32_e32 v40, 0, v41, vcc
	v_add3_u32 v38, v40, v60, v38
.LBB608_362:                            ; =>This Loop Header: Depth=1
                                        ;     Child Loop BB608_365 Depth 2
                                        ;       Child Loop BB608_366 Depth 3
	v_cmp_ne_u16_sdwa s[26:27], v39, v33 src0_sel:BYTE_0 src1_sel:DWORD
	v_mov_b32_e32 v60, v38
	s_nop 0
	v_cndmask_b32_e64 v39, 0, 1, s[26:27]
	;;#ASMSTART
	;;#ASMEND
	s_nop 0
	v_cmp_ne_u32_e32 vcc, 0, v39
	s_cmp_lg_u64 vcc, exec
	s_cbranch_scc1 .LBB608_369
; %bb.363:                              ;   in Loop: Header=BB608_362 Depth=1
	v_lshl_add_u64 v[40:41], v[34:35], 3, s[38:39]
	global_load_dwordx2 v[38:39], v[40:41], off sc1
	s_waitcnt vmcnt(0)
	v_cmp_eq_u16_sdwa s[36:37], v39, v35 src0_sel:BYTE_0 src1_sel:DWORD
	s_and_saveexec_b64 s[26:27], s[36:37]
	s_cbranch_execz .LBB608_361
; %bb.364:                              ;   in Loop: Header=BB608_362 Depth=1
	s_mov_b32 s40, 1
	s_mov_b64 s[36:37], 0
.LBB608_365:                            ;   Parent Loop BB608_362 Depth=1
                                        ; =>  This Loop Header: Depth=2
                                        ;       Child Loop BB608_366 Depth 3
	s_max_u32 s41, s40, 1
.LBB608_366:                            ;   Parent Loop BB608_362 Depth=1
                                        ;     Parent Loop BB608_365 Depth=2
                                        ; =>    This Inner Loop Header: Depth=3
	s_add_i32 s41, s41, -1
	s_cmp_eq_u32 s41, 0
	s_sleep 1
	s_cbranch_scc0 .LBB608_366
; %bb.367:                              ;   in Loop: Header=BB608_365 Depth=2
	global_load_dwordx2 v[38:39], v[40:41], off sc1
	s_cmp_lt_u32 s40, 32
	s_cselect_b64 s[42:43], -1, 0
	s_cmp_lg_u64 s[42:43], 0
	s_addc_u32 s40, s40, 0
	s_waitcnt vmcnt(0)
	v_cmp_ne_u16_sdwa s[42:43], v39, v35 src0_sel:BYTE_0 src1_sel:DWORD
	s_or_b64 s[36:37], s[42:43], s[36:37]
	s_andn2_b64 exec, exec, s[36:37]
	s_cbranch_execnz .LBB608_365
; %bb.368:                              ;   in Loop: Header=BB608_362 Depth=1
	s_or_b64 exec, exec, s[36:37]
	s_branch .LBB608_361
.LBB608_369:                            ;   in Loop: Header=BB608_362 Depth=1
                                        ; implicit-def: $vgpr38
                                        ; implicit-def: $vgpr39
	s_cbranch_execz .LBB608_362
; %bb.370:
	s_and_saveexec_b64 s[26:27], s[16:17]
	s_cbranch_execz .LBB608_372
; %bb.371:
	s_add_i32 s36, s33, 64
	s_mov_b32 s37, 0
	s_lshl_b64 s[36:37], s[36:37], 3
	s_add_u32 s36, s38, s36
	v_add_u32_e32 v34, v60, v32
	v_mov_b32_e32 v35, 2
	s_addc_u32 s37, s39, s37
	v_mov_b32_e32 v33, 0
	s_movk_i32 s33, 0x7000
	global_store_dwordx2 v33, v[34:35], s[36:37] sc1
	v_add_u32_e64 v33, s33, 0
	ds_write2_b32 v33, v32, v60 offset1:2
.LBB608_372:
	s_or_b64 exec, exec, s[26:27]
	s_and_b64 exec, exec, s[18:19]
	s_cbranch_execz .LBB608_374
; %bb.373:
	v_mov_b32_e32 v32, 0
	ds_write_b32 v32, v60 offset:28
.LBB608_374:
	s_or_b64 exec, exec, s[0:1]
	v_mov_b32_e32 v32, 0
	s_waitcnt lgkmcnt(0)
	s_barrier
	ds_read_b32 v32, v32 offset:28
	v_cndmask_b32_e64 v33, v44, v42, s[16:17]
	v_cndmask_b32_e64 v33, v33, 0, s[18:19]
	s_movk_i32 s0, 0x7000
	s_waitcnt lgkmcnt(0)
	v_add_u32_e32 v46, v32, v33
	v_add_u32_e64 v32, s0, 0
	v_add_u32_e32 v44, v46, v1
	s_barrier
	ds_read2_b32 v[32:33], v32 offset1:2
	v_add_u32_e32 v42, v44, v43
	v_add_u32_e32 v40, v42, v45
	;; [unrolled: 1-line block ×5, first 2 shown]
	s_waitcnt lgkmcnt(0)
	v_readfirstlane_b32 s26, v32
	v_readfirstlane_b32 s16, v33
	v_lshrrev_b64 v[32:33], 24, v[30:31]
	s_branch .LBB608_385
.LBB608_375:
                                        ; implicit-def: $vgpr34
                                        ; implicit-def: $vgpr36
                                        ; implicit-def: $vgpr38
                                        ; implicit-def: $vgpr40
                                        ; implicit-def: $vgpr42
                                        ; implicit-def: $vgpr44
                                        ; implicit-def: $vgpr46
                                        ; implicit-def: $sgpr16
                                        ; implicit-def: $sgpr26
	v_lshrrev_b64 v[32:33], 24, v[30:31]
	s_cbranch_execz .LBB608_385
; %bb.376:
	s_nop 0
	v_mov_b32_dpp v33, v52 row_shr:1 row_mask:0xf bank_mask:0xf
	v_cndmask_b32_e64 v33, v33, 0, s[14:15]
	v_add_u32_e32 v33, v33, v52
	s_nop 1
	v_mov_b32_dpp v34, v33 row_shr:2 row_mask:0xf bank_mask:0xf
	v_cndmask_b32_e64 v34, 0, v34, s[12:13]
	v_add_u32_e32 v33, v33, v34
	;; [unrolled: 4-line block ×4, first 2 shown]
	s_nop 1
	v_mov_b32_dpp v34, v33 row_bcast:15 row_mask:0xf bank_mask:0xf
	v_cndmask_b32_e64 v34, v34, 0, s[6:7]
	v_add_u32_e32 v33, v33, v34
	s_nop 1
	v_mov_b32_dpp v34, v33 row_bcast:31 row_mask:0xf bank_mask:0xf
	v_cndmask_b32_e64 v34, 0, v34, s[2:3]
	v_add_u32_e32 v33, v33, v34
	s_and_saveexec_b64 s[0:1], s[4:5]
	s_cbranch_execz .LBB608_378
; %bb.377:
	v_lshlrev_b32_e32 v34, 2, v51
	ds_write_b32 v34, v33
.LBB608_378:
	s_or_b64 exec, exec, s[0:1]
	v_cmp_gt_u32_e32 vcc, 8, v0
	s_waitcnt lgkmcnt(0)
	s_barrier
	s_and_saveexec_b64 s[0:1], vcc
	s_cbranch_execz .LBB608_380
; %bb.379:
	v_lshlrev_b32_e32 v34, 2, v0
	ds_read_b32 v35, v34
	v_and_b32_e32 v36, 7, v50
	v_cmp_ne_u32_e32 vcc, 0, v36
	s_waitcnt lgkmcnt(0)
	v_mov_b32_dpp v37, v35 row_shr:1 row_mask:0xf bank_mask:0xf
	v_cndmask_b32_e32 v37, 0, v37, vcc
	v_add_u32_e32 v35, v37, v35
	v_cmp_lt_u32_e32 vcc, 1, v36
	s_nop 0
	v_mov_b32_dpp v37, v35 row_shr:2 row_mask:0xf bank_mask:0xf
	v_cndmask_b32_e32 v37, 0, v37, vcc
	v_add_u32_e32 v35, v35, v37
	v_cmp_lt_u32_e32 vcc, 3, v36
	s_nop 0
	v_mov_b32_dpp v37, v35 row_shr:4 row_mask:0xf bank_mask:0xf
	v_cndmask_b32_e32 v36, 0, v37, vcc
	v_add_u32_e32 v35, v35, v36
	ds_write_b32 v34, v35
.LBB608_380:
	s_or_b64 exec, exec, s[0:1]
	v_cmp_lt_u32_e32 vcc, 63, v0
	v_mov_b32_e32 v35, 0
	v_mov_b32_e32 v34, 0
	s_waitcnt lgkmcnt(0)
	s_barrier
	s_and_saveexec_b64 s[0:1], vcc
	s_cbranch_execz .LBB608_382
; %bb.381:
	v_lshl_add_u32 v34, v51, 2, -4
	ds_read_b32 v34, v34
.LBB608_382:
	s_or_b64 exec, exec, s[0:1]
	v_add_u32_e32 v36, -1, v50
	v_and_b32_e32 v37, 64, v50
	v_cmp_lt_i32_e32 vcc, v36, v37
	s_waitcnt lgkmcnt(0)
	v_add_u32_e32 v33, v34, v33
	ds_read_b32 v35, v35 offset:28
	v_cndmask_b32_e32 v36, v36, v50, vcc
	v_lshlrev_b32_e32 v36, 2, v36
	ds_bpermute_b32 v33, v36, v33
	s_waitcnt lgkmcnt(1)
	v_readfirstlane_b32 s26, v35
	s_and_saveexec_b64 s[0:1], s[18:19]
	s_cbranch_execz .LBB608_384
; %bb.383:
	v_mov_b32_e32 v35, 0
	v_mov_b32_e32 v36, s26
	;; [unrolled: 1-line block ×3, first 2 shown]
	global_store_dwordx2 v35, v[36:37], s[38:39] offset:512 sc1
.LBB608_384:
	s_or_b64 exec, exec, s[0:1]
	v_cmp_eq_u32_e32 vcc, 0, v50
	s_mov_b32 s16, 0
	s_waitcnt lgkmcnt(0)
	v_cndmask_b32_e32 v33, v33, v34, vcc
	v_cndmask_b32_e64 v46, v33, 0, s[18:19]
	v_add_u32_e32 v44, v46, v1
	v_add_u32_e32 v42, v44, v43
	;; [unrolled: 1-line block ×6, first 2 shown]
	s_barrier
.LBB608_385:
	s_cmpk_lt_u32 s26, 0x201
	s_cselect_b64 s[2:3], -1, 0
	v_lshrrev_b32_e32 v33, 8, v30
	v_lshrrev_b32_e32 v1, 8, v31
	s_mov_b64 s[0:1], -1
	s_and_b64 vcc, exec, s[2:3]
	s_cbranch_vccz .LBB608_408
; %bb.386:
	s_add_i32 s4, s16, s26
	v_cmp_gt_u32_e32 vcc, s4, v46
	s_or_b64 s[6:7], s[34:35], vcc
	s_and_saveexec_b64 s[0:1], s[6:7]
	s_cbranch_execz .LBB608_389
; %bb.387:
	v_and_b32_e32 v35, 1, v30
	v_cmp_eq_u32_e32 vcc, 1, v35
	s_and_b64 exec, exec, vcc
	s_cbranch_execz .LBB608_389
; %bb.388:
	s_lshl_b64 s[6:7], s[22:23], 3
	s_add_u32 s6, s28, s6
	s_addc_u32 s7, s29, s7
	v_mov_b32_e32 v47, 0
	v_lshl_add_u64 v[48:49], v[46:47], 3, s[6:7]
	global_store_dwordx2 v[48:49], v[22:23], off
.LBB608_389:
	s_or_b64 exec, exec, s[0:1]
	v_cmp_gt_u32_e32 vcc, s4, v44
	s_or_b64 s[6:7], s[34:35], vcc
	s_and_saveexec_b64 s[0:1], s[6:7]
	s_cbranch_execz .LBB608_392
; %bb.390:
	v_and_b32_e32 v35, 1, v33
	v_cmp_eq_u32_e32 vcc, 1, v35
	s_and_b64 exec, exec, vcc
	s_cbranch_execz .LBB608_392
; %bb.391:
	s_lshl_b64 s[6:7], s[22:23], 3
	s_add_u32 s6, s28, s6
	s_addc_u32 s7, s29, s7
	v_mov_b32_e32 v45, 0
	v_lshl_add_u64 v[48:49], v[44:45], 3, s[6:7]
	global_store_dwordx2 v[48:49], v[24:25], off
.LBB608_392:
	s_or_b64 exec, exec, s[0:1]
	v_cmp_gt_u32_e32 vcc, s4, v42
	s_or_b64 s[6:7], s[34:35], vcc
	s_and_saveexec_b64 s[0:1], s[6:7]
	s_cbranch_execz .LBB608_395
; %bb.393:
	v_mov_b32_e32 v35, 1
	v_and_b32_sdwa v35, v35, v30 dst_sel:DWORD dst_unused:UNUSED_PAD src0_sel:DWORD src1_sel:WORD_1
	v_cmp_eq_u32_e32 vcc, 1, v35
	s_and_b64 exec, exec, vcc
	s_cbranch_execz .LBB608_395
; %bb.394:
	s_lshl_b64 s[6:7], s[22:23], 3
	s_add_u32 s6, s28, s6
	s_addc_u32 s7, s29, s7
	v_mov_b32_e32 v43, 0
	v_lshl_add_u64 v[48:49], v[42:43], 3, s[6:7]
	global_store_dwordx2 v[48:49], v[18:19], off
.LBB608_395:
	s_or_b64 exec, exec, s[0:1]
	v_cmp_gt_u32_e32 vcc, s4, v40
	s_or_b64 s[6:7], s[34:35], vcc
	s_and_saveexec_b64 s[0:1], s[6:7]
	s_cbranch_execz .LBB608_398
; %bb.396:
	v_and_b32_e32 v35, 1, v32
	v_cmp_eq_u32_e32 vcc, 1, v35
	s_and_b64 exec, exec, vcc
	s_cbranch_execz .LBB608_398
; %bb.397:
	s_lshl_b64 s[6:7], s[22:23], 3
	s_add_u32 s6, s28, s6
	s_addc_u32 s7, s29, s7
	v_mov_b32_e32 v41, 0
	v_lshl_add_u64 v[48:49], v[40:41], 3, s[6:7]
	global_store_dwordx2 v[48:49], v[20:21], off
.LBB608_398:
	s_or_b64 exec, exec, s[0:1]
	v_cmp_gt_u32_e32 vcc, s4, v38
	s_or_b64 s[6:7], s[34:35], vcc
	s_and_saveexec_b64 s[0:1], s[6:7]
	s_cbranch_execz .LBB608_401
; %bb.399:
	v_and_b32_e32 v35, 1, v31
	v_cmp_eq_u32_e32 vcc, 1, v35
	s_and_b64 exec, exec, vcc
	s_cbranch_execz .LBB608_401
; %bb.400:
	s_lshl_b64 s[6:7], s[22:23], 3
	s_add_u32 s6, s28, s6
	s_addc_u32 s7, s29, s7
	v_mov_b32_e32 v39, 0
	v_lshl_add_u64 v[48:49], v[38:39], 3, s[6:7]
	global_store_dwordx2 v[48:49], v[14:15], off
.LBB608_401:
	;; [unrolled: 18-line block ×3, first 2 shown]
	s_or_b64 exec, exec, s[0:1]
	v_cmp_gt_u32_e32 vcc, s4, v34
	s_or_b64 s[4:5], s[34:35], vcc
	s_and_saveexec_b64 s[0:1], s[4:5]
	s_cbranch_execz .LBB608_407
; %bb.405:
	v_mov_b32_e32 v35, 1
	v_and_b32_sdwa v35, v35, v31 dst_sel:DWORD dst_unused:UNUSED_PAD src0_sel:DWORD src1_sel:WORD_1
	v_cmp_eq_u32_e32 vcc, 1, v35
	s_and_b64 exec, exec, vcc
	s_cbranch_execz .LBB608_407
; %bb.406:
	s_lshl_b64 s[4:5], s[22:23], 3
	s_add_u32 s4, s28, s4
	s_addc_u32 s5, s29, s5
	v_mov_b32_e32 v35, 0
	v_lshl_add_u64 v[48:49], v[34:35], 3, s[4:5]
	global_store_dwordx2 v[48:49], v[28:29], off
.LBB608_407:
	s_or_b64 exec, exec, s[0:1]
	s_mov_b64 s[0:1], 0
.LBB608_408:
	v_and_b32_e32 v48, 1, v30
	s_and_b64 vcc, exec, s[0:1]
	v_cmp_eq_u32_e64 s[0:1], 1, v48
	s_cbranch_vccz .LBB608_427
; %bb.409:
	s_and_saveexec_b64 s[4:5], s[0:1]
	s_cbranch_execz .LBB608_411
; %bb.410:
	v_subrev_u32_e32 v35, s16, v46
	v_lshlrev_b32_e32 v35, 3, v35
	ds_write_b64 v35, v[22:23]
.LBB608_411:
	s_or_b64 exec, exec, s[4:5]
	v_and_b32_e32 v22, 1, v33
	v_cmp_eq_u32_e32 vcc, 1, v22
	s_and_saveexec_b64 s[0:1], vcc
	s_cbranch_execz .LBB608_413
; %bb.412:
	v_subrev_u32_e32 v22, s16, v44
	v_lshlrev_b32_e32 v22, 3, v22
	ds_write_b64 v22, v[24:25]
.LBB608_413:
	s_or_b64 exec, exec, s[0:1]
	v_mov_b32_e32 v22, 1
	v_and_b32_sdwa v22, v22, v30 dst_sel:DWORD dst_unused:UNUSED_PAD src0_sel:DWORD src1_sel:WORD_1
	v_cmp_eq_u32_e32 vcc, 1, v22
	s_and_saveexec_b64 s[0:1], vcc
	s_cbranch_execz .LBB608_415
; %bb.414:
	v_subrev_u32_e32 v22, s16, v42
	v_lshlrev_b32_e32 v22, 3, v22
	ds_write_b64 v22, v[18:19]
.LBB608_415:
	s_or_b64 exec, exec, s[0:1]
	v_and_b32_e32 v18, 1, v32
	v_cmp_eq_u32_e32 vcc, 1, v18
	s_and_saveexec_b64 s[0:1], vcc
	s_cbranch_execz .LBB608_417
; %bb.416:
	v_subrev_u32_e32 v18, s16, v40
	v_lshlrev_b32_e32 v18, 3, v18
	ds_write_b64 v18, v[20:21]
.LBB608_417:
	s_or_b64 exec, exec, s[0:1]
	v_and_b32_e32 v18, 1, v31
	;; [unrolled: 10-line block ×3, first 2 shown]
	v_cmp_eq_u32_e32 vcc, 1, v14
	s_and_saveexec_b64 s[0:1], vcc
	s_cbranch_execz .LBB608_421
; %bb.420:
	v_subrev_u32_e32 v14, s16, v36
	v_lshlrev_b32_e32 v14, 3, v14
	ds_write_b64 v14, v[16:17]
.LBB608_421:
	s_or_b64 exec, exec, s[0:1]
	v_mov_b32_e32 v14, 1
	v_and_b32_sdwa v14, v14, v31 dst_sel:DWORD dst_unused:UNUSED_PAD src0_sel:DWORD src1_sel:WORD_1
	v_cmp_eq_u32_e32 vcc, 1, v14
	s_and_saveexec_b64 s[0:1], vcc
	s_cbranch_execz .LBB608_423
; %bb.422:
	v_subrev_u32_e32 v14, s16, v34
	v_lshlrev_b32_e32 v14, 3, v14
	ds_write_b64 v14, v[28:29]
.LBB608_423:
	s_or_b64 exec, exec, s[0:1]
	v_cmp_gt_u32_e32 vcc, s26, v0
	s_waitcnt lgkmcnt(0)
	s_barrier
	s_and_saveexec_b64 s[0:1], vcc
	s_cbranch_execz .LBB608_426
; %bb.424:
	s_mov_b32 s17, 0
	s_lshl_b64 s[4:5], s[22:23], 3
	s_lshl_b64 s[6:7], s[16:17], 3
	s_add_u32 s4, s4, s6
	s_addc_u32 s5, s5, s7
	s_add_u32 s4, s28, s4
	v_lshlrev_b32_e32 v14, 3, v0
	v_mov_b32_e32 v15, 0
	s_addc_u32 s5, s29, s5
	v_lshl_add_u64 v[16:17], s[4:5], 0, v[14:15]
	s_mov_b64 s[4:5], 0
	s_mov_b64 s[6:7], 0x1000
	v_mov_b32_e32 v15, v0
.LBB608_425:                            ; =>This Inner Loop Header: Depth=1
	ds_read_b64 v[18:19], v14
	v_add_u32_e32 v15, 0x200, v15
	v_cmp_le_u32_e32 vcc, s26, v15
	v_add_u32_e32 v14, 0x1000, v14
	s_or_b64 s[4:5], vcc, s[4:5]
	s_waitcnt lgkmcnt(0)
	global_store_dwordx2 v[16:17], v[18:19], off
	v_lshl_add_u64 v[16:17], v[16:17], 0, s[6:7]
	s_andn2_b64 exec, exec, s[4:5]
	s_cbranch_execnz .LBB608_425
.LBB608_426:
	s_or_b64 exec, exec, s[0:1]
.LBB608_427:
	s_mov_b64 s[0:1], -1
	s_and_b64 vcc, exec, s[2:3]
	s_barrier
	s_cbranch_vccnz .LBB608_431
; %bb.428:
	s_and_b64 vcc, exec, s[0:1]
	s_cbranch_vccnz .LBB608_453
.LBB608_429:
	s_and_b64 s[0:1], s[18:19], s[24:25]
	s_and_saveexec_b64 s[2:3], s[0:1]
	s_cbranch_execnz .LBB608_471
.LBB608_430:
	s_endpgm
.LBB608_431:
	s_add_i32 s2, s16, s26
	v_cmp_gt_u32_e32 vcc, s2, v46
	s_or_b64 s[4:5], s[34:35], vcc
	s_and_saveexec_b64 s[0:1], s[4:5]
	s_cbranch_execz .LBB608_434
; %bb.432:
	v_cmp_eq_u32_e32 vcc, 1, v48
	s_and_b64 exec, exec, vcc
	s_cbranch_execz .LBB608_434
; %bb.433:
	s_lshl_b64 s[4:5], s[22:23], 3
	s_add_u32 s4, s30, s4
	s_addc_u32 s5, s31, s5
	v_mov_b32_e32 v47, 0
	v_lshl_add_u64 v[14:15], v[46:47], 3, s[4:5]
	global_store_dwordx2 v[14:15], v[10:11], off
.LBB608_434:
	s_or_b64 exec, exec, s[0:1]
	v_cmp_gt_u32_e32 vcc, s2, v44
	s_or_b64 s[4:5], s[34:35], vcc
	s_and_saveexec_b64 s[0:1], s[4:5]
	s_cbranch_execz .LBB608_437
; %bb.435:
	v_and_b32_e32 v14, 1, v33
	v_cmp_eq_u32_e32 vcc, 1, v14
	s_and_b64 exec, exec, vcc
	s_cbranch_execz .LBB608_437
; %bb.436:
	s_lshl_b64 s[4:5], s[22:23], 3
	s_add_u32 s4, s30, s4
	s_addc_u32 s5, s31, s5
	v_mov_b32_e32 v45, 0
	v_lshl_add_u64 v[14:15], v[44:45], 3, s[4:5]
	global_store_dwordx2 v[14:15], v[12:13], off
.LBB608_437:
	s_or_b64 exec, exec, s[0:1]
	v_cmp_gt_u32_e32 vcc, s2, v42
	s_or_b64 s[4:5], s[34:35], vcc
	s_and_saveexec_b64 s[0:1], s[4:5]
	s_cbranch_execz .LBB608_440
; %bb.438:
	v_mov_b32_e32 v14, 1
	v_and_b32_sdwa v14, v14, v30 dst_sel:DWORD dst_unused:UNUSED_PAD src0_sel:DWORD src1_sel:WORD_1
	v_cmp_eq_u32_e32 vcc, 1, v14
	s_and_b64 exec, exec, vcc
	s_cbranch_execz .LBB608_440
; %bb.439:
	s_lshl_b64 s[4:5], s[22:23], 3
	s_add_u32 s4, s30, s4
	s_addc_u32 s5, s31, s5
	v_mov_b32_e32 v43, 0
	v_lshl_add_u64 v[14:15], v[42:43], 3, s[4:5]
	global_store_dwordx2 v[14:15], v[6:7], off
.LBB608_440:
	s_or_b64 exec, exec, s[0:1]
	v_cmp_gt_u32_e32 vcc, s2, v40
	s_or_b64 s[4:5], s[34:35], vcc
	s_and_saveexec_b64 s[0:1], s[4:5]
	s_cbranch_execz .LBB608_443
; %bb.441:
	v_and_b32_e32 v14, 1, v32
	v_cmp_eq_u32_e32 vcc, 1, v14
	s_and_b64 exec, exec, vcc
	s_cbranch_execz .LBB608_443
; %bb.442:
	s_lshl_b64 s[4:5], s[22:23], 3
	s_add_u32 s4, s30, s4
	s_addc_u32 s5, s31, s5
	v_mov_b32_e32 v41, 0
	v_lshl_add_u64 v[14:15], v[40:41], 3, s[4:5]
	global_store_dwordx2 v[14:15], v[8:9], off
.LBB608_443:
	s_or_b64 exec, exec, s[0:1]
	v_cmp_gt_u32_e32 vcc, s2, v38
	s_or_b64 s[4:5], s[34:35], vcc
	s_and_saveexec_b64 s[0:1], s[4:5]
	s_cbranch_execz .LBB608_446
; %bb.444:
	v_and_b32_e32 v14, 1, v31
	v_cmp_eq_u32_e32 vcc, 1, v14
	s_and_b64 exec, exec, vcc
	s_cbranch_execz .LBB608_446
; %bb.445:
	s_lshl_b64 s[4:5], s[22:23], 3
	s_add_u32 s4, s30, s4
	s_addc_u32 s5, s31, s5
	v_mov_b32_e32 v39, 0
	v_lshl_add_u64 v[14:15], v[38:39], 3, s[4:5]
	global_store_dwordx2 v[14:15], v[2:3], off
.LBB608_446:
	;; [unrolled: 18-line block ×3, first 2 shown]
	s_or_b64 exec, exec, s[0:1]
	v_cmp_gt_u32_e32 vcc, s2, v34
	s_or_b64 s[2:3], s[34:35], vcc
	s_and_saveexec_b64 s[0:1], s[2:3]
	s_cbranch_execz .LBB608_452
; %bb.450:
	v_mov_b32_e32 v14, 1
	v_and_b32_sdwa v14, v14, v31 dst_sel:DWORD dst_unused:UNUSED_PAD src0_sel:DWORD src1_sel:WORD_1
	v_cmp_eq_u32_e32 vcc, 1, v14
	s_and_b64 exec, exec, vcc
	s_cbranch_execz .LBB608_452
; %bb.451:
	s_lshl_b64 s[2:3], s[22:23], 3
	s_add_u32 s2, s30, s2
	s_addc_u32 s3, s31, s3
	v_mov_b32_e32 v35, 0
	v_lshl_add_u64 v[14:15], v[34:35], 3, s[2:3]
	global_store_dwordx2 v[14:15], v[26:27], off
.LBB608_452:
	s_or_b64 exec, exec, s[0:1]
	s_branch .LBB608_429
.LBB608_453:
	v_cmp_eq_u32_e32 vcc, 1, v48
	s_and_saveexec_b64 s[0:1], vcc
	s_cbranch_execz .LBB608_455
; %bb.454:
	v_subrev_u32_e32 v14, s16, v46
	v_lshlrev_b32_e32 v14, 3, v14
	ds_write_b64 v14, v[10:11]
.LBB608_455:
	s_or_b64 exec, exec, s[0:1]
	v_and_b32_e32 v10, 1, v33
	v_cmp_eq_u32_e32 vcc, 1, v10
	s_and_saveexec_b64 s[0:1], vcc
	s_cbranch_execz .LBB608_457
; %bb.456:
	v_subrev_u32_e32 v10, s16, v44
	v_lshlrev_b32_e32 v10, 3, v10
	ds_write_b64 v10, v[12:13]
.LBB608_457:
	s_or_b64 exec, exec, s[0:1]
	v_mov_b32_e32 v10, 1
	v_and_b32_sdwa v10, v10, v30 dst_sel:DWORD dst_unused:UNUSED_PAD src0_sel:DWORD src1_sel:WORD_1
	v_cmp_eq_u32_e32 vcc, 1, v10
	s_and_saveexec_b64 s[0:1], vcc
	s_cbranch_execz .LBB608_459
; %bb.458:
	v_subrev_u32_e32 v10, s16, v42
	v_lshlrev_b32_e32 v10, 3, v10
	ds_write_b64 v10, v[6:7]
.LBB608_459:
	s_or_b64 exec, exec, s[0:1]
	v_and_b32_e32 v6, 1, v32
	v_cmp_eq_u32_e32 vcc, 1, v6
	s_and_saveexec_b64 s[0:1], vcc
	s_cbranch_execz .LBB608_461
; %bb.460:
	v_subrev_u32_e32 v6, s16, v40
	v_lshlrev_b32_e32 v6, 3, v6
	ds_write_b64 v6, v[8:9]
.LBB608_461:
	s_or_b64 exec, exec, s[0:1]
	v_and_b32_e32 v6, 1, v31
	;; [unrolled: 10-line block ×3, first 2 shown]
	v_cmp_eq_u32_e32 vcc, 1, v1
	s_and_saveexec_b64 s[0:1], vcc
	s_cbranch_execz .LBB608_465
; %bb.464:
	v_subrev_u32_e32 v1, s16, v36
	v_lshlrev_b32_e32 v1, 3, v1
	ds_write_b64 v1, v[4:5]
.LBB608_465:
	s_or_b64 exec, exec, s[0:1]
	v_mov_b32_e32 v1, 1
	v_and_b32_sdwa v1, v1, v31 dst_sel:DWORD dst_unused:UNUSED_PAD src0_sel:DWORD src1_sel:WORD_1
	v_cmp_eq_u32_e32 vcc, 1, v1
	s_and_saveexec_b64 s[0:1], vcc
	s_cbranch_execz .LBB608_467
; %bb.466:
	v_subrev_u32_e32 v1, s16, v34
	v_lshlrev_b32_e32 v1, 3, v1
	ds_write_b64 v1, v[26:27]
.LBB608_467:
	s_or_b64 exec, exec, s[0:1]
	v_cmp_gt_u32_e32 vcc, s26, v0
	s_waitcnt lgkmcnt(0)
	s_barrier
	s_and_saveexec_b64 s[0:1], vcc
	s_cbranch_execz .LBB608_470
; %bb.468:
	s_mov_b32 s17, 0
	s_lshl_b64 s[2:3], s[22:23], 3
	s_lshl_b64 s[4:5], s[16:17], 3
	s_add_u32 s2, s2, s4
	s_addc_u32 s3, s3, s5
	s_add_u32 s2, s30, s2
	v_lshlrev_b32_e32 v2, 3, v0
	v_mov_b32_e32 v3, 0
	s_addc_u32 s3, s31, s3
	v_lshl_add_u64 v[4:5], s[2:3], 0, v[2:3]
	s_mov_b64 s[2:3], 0
	s_mov_b64 s[4:5], 0x1000
.LBB608_469:                            ; =>This Inner Loop Header: Depth=1
	ds_read_b64 v[6:7], v2
	v_add_u32_e32 v0, 0x200, v0
	v_cmp_le_u32_e32 vcc, s26, v0
	v_add_u32_e32 v2, 0x1000, v2
	s_or_b64 s[2:3], vcc, s[2:3]
	s_waitcnt lgkmcnt(0)
	global_store_dwordx2 v[4:5], v[6:7], off
	v_lshl_add_u64 v[4:5], v[4:5], 0, s[4:5]
	s_andn2_b64 exec, exec, s[2:3]
	s_cbranch_execnz .LBB608_469
.LBB608_470:
	s_or_b64 exec, exec, s[0:1]
	s_and_b64 s[0:1], s[18:19], s[24:25]
	s_and_saveexec_b64 s[2:3], s[0:1]
	s_cbranch_execz .LBB608_430
.LBB608_471:
	s_add_u32 s0, s22, s26
	s_addc_u32 s1, s23, 0
	s_add_u32 s0, s0, s16
	s_addc_u32 s1, s1, 0
	v_mov_b32_e32 v2, 0
	v_mov_b64_e32 v[0:1], s[0:1]
	global_store_dwordx2 v2, v[0:1], s[20:21]
	s_endpgm
	.section	.rodata,"a",@progbits
	.p2align	6, 0x0
	.amdhsa_kernel _ZN7rocprim17ROCPRIM_400000_NS6detail17trampoline_kernelINS0_14default_configENS1_25partition_config_selectorILNS1_17partition_subalgoE9EllbEEZZNS1_14partition_implILS5_9ELb0ES3_jPlS8_PNS0_10empty_typeENS0_5tupleIJS8_S9_EEENSB_IJS8_SA_EEENS0_18inequality_wrapperIZN2at6native12_GLOBAL__N_124unique_dim_cuda_templateIlEESt5tupleIJNSF_6TensorESK_SK_EERKSK_lbbbEUlllE0_EEPmJS9_EEE10hipError_tPvRmT3_T4_T5_T6_T7_T9_mT8_P12ihipStream_tbDpT10_ENKUlT_T0_E_clISt17integral_constantIbLb1EES1A_EEDaS15_S16_EUlS15_E_NS1_11comp_targetILNS1_3genE5ELNS1_11target_archE942ELNS1_3gpuE9ELNS1_3repE0EEENS1_30default_config_static_selectorELNS0_4arch9wavefront6targetE1EEEvT1_
		.amdhsa_group_segment_fixed_size 28684
		.amdhsa_private_segment_fixed_size 0
		.amdhsa_kernarg_size 136
		.amdhsa_user_sgpr_count 2
		.amdhsa_user_sgpr_dispatch_ptr 0
		.amdhsa_user_sgpr_queue_ptr 0
		.amdhsa_user_sgpr_kernarg_segment_ptr 1
		.amdhsa_user_sgpr_dispatch_id 0
		.amdhsa_user_sgpr_kernarg_preload_length 0
		.amdhsa_user_sgpr_kernarg_preload_offset 0
		.amdhsa_user_sgpr_private_segment_size 0
		.amdhsa_uses_dynamic_stack 0
		.amdhsa_enable_private_segment 0
		.amdhsa_system_sgpr_workgroup_id_x 1
		.amdhsa_system_sgpr_workgroup_id_y 0
		.amdhsa_system_sgpr_workgroup_id_z 0
		.amdhsa_system_sgpr_workgroup_info 0
		.amdhsa_system_vgpr_workitem_id 0
		.amdhsa_next_free_vgpr 66
		.amdhsa_next_free_sgpr 58
		.amdhsa_accum_offset 68
		.amdhsa_reserve_vcc 1
		.amdhsa_float_round_mode_32 0
		.amdhsa_float_round_mode_16_64 0
		.amdhsa_float_denorm_mode_32 3
		.amdhsa_float_denorm_mode_16_64 3
		.amdhsa_dx10_clamp 1
		.amdhsa_ieee_mode 1
		.amdhsa_fp16_overflow 0
		.amdhsa_tg_split 0
		.amdhsa_exception_fp_ieee_invalid_op 0
		.amdhsa_exception_fp_denorm_src 0
		.amdhsa_exception_fp_ieee_div_zero 0
		.amdhsa_exception_fp_ieee_overflow 0
		.amdhsa_exception_fp_ieee_underflow 0
		.amdhsa_exception_fp_ieee_inexact 0
		.amdhsa_exception_int_div_zero 0
	.end_amdhsa_kernel
	.section	.text._ZN7rocprim17ROCPRIM_400000_NS6detail17trampoline_kernelINS0_14default_configENS1_25partition_config_selectorILNS1_17partition_subalgoE9EllbEEZZNS1_14partition_implILS5_9ELb0ES3_jPlS8_PNS0_10empty_typeENS0_5tupleIJS8_S9_EEENSB_IJS8_SA_EEENS0_18inequality_wrapperIZN2at6native12_GLOBAL__N_124unique_dim_cuda_templateIlEESt5tupleIJNSF_6TensorESK_SK_EERKSK_lbbbEUlllE0_EEPmJS9_EEE10hipError_tPvRmT3_T4_T5_T6_T7_T9_mT8_P12ihipStream_tbDpT10_ENKUlT_T0_E_clISt17integral_constantIbLb1EES1A_EEDaS15_S16_EUlS15_E_NS1_11comp_targetILNS1_3genE5ELNS1_11target_archE942ELNS1_3gpuE9ELNS1_3repE0EEENS1_30default_config_static_selectorELNS0_4arch9wavefront6targetE1EEEvT1_,"axG",@progbits,_ZN7rocprim17ROCPRIM_400000_NS6detail17trampoline_kernelINS0_14default_configENS1_25partition_config_selectorILNS1_17partition_subalgoE9EllbEEZZNS1_14partition_implILS5_9ELb0ES3_jPlS8_PNS0_10empty_typeENS0_5tupleIJS8_S9_EEENSB_IJS8_SA_EEENS0_18inequality_wrapperIZN2at6native12_GLOBAL__N_124unique_dim_cuda_templateIlEESt5tupleIJNSF_6TensorESK_SK_EERKSK_lbbbEUlllE0_EEPmJS9_EEE10hipError_tPvRmT3_T4_T5_T6_T7_T9_mT8_P12ihipStream_tbDpT10_ENKUlT_T0_E_clISt17integral_constantIbLb1EES1A_EEDaS15_S16_EUlS15_E_NS1_11comp_targetILNS1_3genE5ELNS1_11target_archE942ELNS1_3gpuE9ELNS1_3repE0EEENS1_30default_config_static_selectorELNS0_4arch9wavefront6targetE1EEEvT1_,comdat
.Lfunc_end608:
	.size	_ZN7rocprim17ROCPRIM_400000_NS6detail17trampoline_kernelINS0_14default_configENS1_25partition_config_selectorILNS1_17partition_subalgoE9EllbEEZZNS1_14partition_implILS5_9ELb0ES3_jPlS8_PNS0_10empty_typeENS0_5tupleIJS8_S9_EEENSB_IJS8_SA_EEENS0_18inequality_wrapperIZN2at6native12_GLOBAL__N_124unique_dim_cuda_templateIlEESt5tupleIJNSF_6TensorESK_SK_EERKSK_lbbbEUlllE0_EEPmJS9_EEE10hipError_tPvRmT3_T4_T5_T6_T7_T9_mT8_P12ihipStream_tbDpT10_ENKUlT_T0_E_clISt17integral_constantIbLb1EES1A_EEDaS15_S16_EUlS15_E_NS1_11comp_targetILNS1_3genE5ELNS1_11target_archE942ELNS1_3gpuE9ELNS1_3repE0EEENS1_30default_config_static_selectorELNS0_4arch9wavefront6targetE1EEEvT1_, .Lfunc_end608-_ZN7rocprim17ROCPRIM_400000_NS6detail17trampoline_kernelINS0_14default_configENS1_25partition_config_selectorILNS1_17partition_subalgoE9EllbEEZZNS1_14partition_implILS5_9ELb0ES3_jPlS8_PNS0_10empty_typeENS0_5tupleIJS8_S9_EEENSB_IJS8_SA_EEENS0_18inequality_wrapperIZN2at6native12_GLOBAL__N_124unique_dim_cuda_templateIlEESt5tupleIJNSF_6TensorESK_SK_EERKSK_lbbbEUlllE0_EEPmJS9_EEE10hipError_tPvRmT3_T4_T5_T6_T7_T9_mT8_P12ihipStream_tbDpT10_ENKUlT_T0_E_clISt17integral_constantIbLb1EES1A_EEDaS15_S16_EUlS15_E_NS1_11comp_targetILNS1_3genE5ELNS1_11target_archE942ELNS1_3gpuE9ELNS1_3repE0EEENS1_30default_config_static_selectorELNS0_4arch9wavefront6targetE1EEEvT1_
                                        ; -- End function
	.section	.AMDGPU.csdata,"",@progbits
; Kernel info:
; codeLenInByte = 14564
; NumSgprs: 64
; NumVgprs: 66
; NumAgprs: 0
; TotalNumVgprs: 66
; ScratchSize: 0
; MemoryBound: 1
; FloatMode: 240
; IeeeMode: 1
; LDSByteSize: 28684 bytes/workgroup (compile time only)
; SGPRBlocks: 7
; VGPRBlocks: 8
; NumSGPRsForWavesPerEU: 64
; NumVGPRsForWavesPerEU: 66
; AccumOffset: 68
; Occupancy: 4
; WaveLimiterHint : 1
; COMPUTE_PGM_RSRC2:SCRATCH_EN: 0
; COMPUTE_PGM_RSRC2:USER_SGPR: 2
; COMPUTE_PGM_RSRC2:TRAP_HANDLER: 0
; COMPUTE_PGM_RSRC2:TGID_X_EN: 1
; COMPUTE_PGM_RSRC2:TGID_Y_EN: 0
; COMPUTE_PGM_RSRC2:TGID_Z_EN: 0
; COMPUTE_PGM_RSRC2:TIDIG_COMP_CNT: 0
; COMPUTE_PGM_RSRC3_GFX90A:ACCUM_OFFSET: 16
; COMPUTE_PGM_RSRC3_GFX90A:TG_SPLIT: 0
	.section	.text._ZN7rocprim17ROCPRIM_400000_NS6detail17trampoline_kernelINS0_14default_configENS1_25partition_config_selectorILNS1_17partition_subalgoE9EllbEEZZNS1_14partition_implILS5_9ELb0ES3_jPlS8_PNS0_10empty_typeENS0_5tupleIJS8_S9_EEENSB_IJS8_SA_EEENS0_18inequality_wrapperIZN2at6native12_GLOBAL__N_124unique_dim_cuda_templateIlEESt5tupleIJNSF_6TensorESK_SK_EERKSK_lbbbEUlllE0_EEPmJS9_EEE10hipError_tPvRmT3_T4_T5_T6_T7_T9_mT8_P12ihipStream_tbDpT10_ENKUlT_T0_E_clISt17integral_constantIbLb1EES1A_EEDaS15_S16_EUlS15_E_NS1_11comp_targetILNS1_3genE4ELNS1_11target_archE910ELNS1_3gpuE8ELNS1_3repE0EEENS1_30default_config_static_selectorELNS0_4arch9wavefront6targetE1EEEvT1_,"axG",@progbits,_ZN7rocprim17ROCPRIM_400000_NS6detail17trampoline_kernelINS0_14default_configENS1_25partition_config_selectorILNS1_17partition_subalgoE9EllbEEZZNS1_14partition_implILS5_9ELb0ES3_jPlS8_PNS0_10empty_typeENS0_5tupleIJS8_S9_EEENSB_IJS8_SA_EEENS0_18inequality_wrapperIZN2at6native12_GLOBAL__N_124unique_dim_cuda_templateIlEESt5tupleIJNSF_6TensorESK_SK_EERKSK_lbbbEUlllE0_EEPmJS9_EEE10hipError_tPvRmT3_T4_T5_T6_T7_T9_mT8_P12ihipStream_tbDpT10_ENKUlT_T0_E_clISt17integral_constantIbLb1EES1A_EEDaS15_S16_EUlS15_E_NS1_11comp_targetILNS1_3genE4ELNS1_11target_archE910ELNS1_3gpuE8ELNS1_3repE0EEENS1_30default_config_static_selectorELNS0_4arch9wavefront6targetE1EEEvT1_,comdat
	.globl	_ZN7rocprim17ROCPRIM_400000_NS6detail17trampoline_kernelINS0_14default_configENS1_25partition_config_selectorILNS1_17partition_subalgoE9EllbEEZZNS1_14partition_implILS5_9ELb0ES3_jPlS8_PNS0_10empty_typeENS0_5tupleIJS8_S9_EEENSB_IJS8_SA_EEENS0_18inequality_wrapperIZN2at6native12_GLOBAL__N_124unique_dim_cuda_templateIlEESt5tupleIJNSF_6TensorESK_SK_EERKSK_lbbbEUlllE0_EEPmJS9_EEE10hipError_tPvRmT3_T4_T5_T6_T7_T9_mT8_P12ihipStream_tbDpT10_ENKUlT_T0_E_clISt17integral_constantIbLb1EES1A_EEDaS15_S16_EUlS15_E_NS1_11comp_targetILNS1_3genE4ELNS1_11target_archE910ELNS1_3gpuE8ELNS1_3repE0EEENS1_30default_config_static_selectorELNS0_4arch9wavefront6targetE1EEEvT1_ ; -- Begin function _ZN7rocprim17ROCPRIM_400000_NS6detail17trampoline_kernelINS0_14default_configENS1_25partition_config_selectorILNS1_17partition_subalgoE9EllbEEZZNS1_14partition_implILS5_9ELb0ES3_jPlS8_PNS0_10empty_typeENS0_5tupleIJS8_S9_EEENSB_IJS8_SA_EEENS0_18inequality_wrapperIZN2at6native12_GLOBAL__N_124unique_dim_cuda_templateIlEESt5tupleIJNSF_6TensorESK_SK_EERKSK_lbbbEUlllE0_EEPmJS9_EEE10hipError_tPvRmT3_T4_T5_T6_T7_T9_mT8_P12ihipStream_tbDpT10_ENKUlT_T0_E_clISt17integral_constantIbLb1EES1A_EEDaS15_S16_EUlS15_E_NS1_11comp_targetILNS1_3genE4ELNS1_11target_archE910ELNS1_3gpuE8ELNS1_3repE0EEENS1_30default_config_static_selectorELNS0_4arch9wavefront6targetE1EEEvT1_
	.p2align	8
	.type	_ZN7rocprim17ROCPRIM_400000_NS6detail17trampoline_kernelINS0_14default_configENS1_25partition_config_selectorILNS1_17partition_subalgoE9EllbEEZZNS1_14partition_implILS5_9ELb0ES3_jPlS8_PNS0_10empty_typeENS0_5tupleIJS8_S9_EEENSB_IJS8_SA_EEENS0_18inequality_wrapperIZN2at6native12_GLOBAL__N_124unique_dim_cuda_templateIlEESt5tupleIJNSF_6TensorESK_SK_EERKSK_lbbbEUlllE0_EEPmJS9_EEE10hipError_tPvRmT3_T4_T5_T6_T7_T9_mT8_P12ihipStream_tbDpT10_ENKUlT_T0_E_clISt17integral_constantIbLb1EES1A_EEDaS15_S16_EUlS15_E_NS1_11comp_targetILNS1_3genE4ELNS1_11target_archE910ELNS1_3gpuE8ELNS1_3repE0EEENS1_30default_config_static_selectorELNS0_4arch9wavefront6targetE1EEEvT1_,@function
_ZN7rocprim17ROCPRIM_400000_NS6detail17trampoline_kernelINS0_14default_configENS1_25partition_config_selectorILNS1_17partition_subalgoE9EllbEEZZNS1_14partition_implILS5_9ELb0ES3_jPlS8_PNS0_10empty_typeENS0_5tupleIJS8_S9_EEENSB_IJS8_SA_EEENS0_18inequality_wrapperIZN2at6native12_GLOBAL__N_124unique_dim_cuda_templateIlEESt5tupleIJNSF_6TensorESK_SK_EERKSK_lbbbEUlllE0_EEPmJS9_EEE10hipError_tPvRmT3_T4_T5_T6_T7_T9_mT8_P12ihipStream_tbDpT10_ENKUlT_T0_E_clISt17integral_constantIbLb1EES1A_EEDaS15_S16_EUlS15_E_NS1_11comp_targetILNS1_3genE4ELNS1_11target_archE910ELNS1_3gpuE8ELNS1_3repE0EEENS1_30default_config_static_selectorELNS0_4arch9wavefront6targetE1EEEvT1_: ; @_ZN7rocprim17ROCPRIM_400000_NS6detail17trampoline_kernelINS0_14default_configENS1_25partition_config_selectorILNS1_17partition_subalgoE9EllbEEZZNS1_14partition_implILS5_9ELb0ES3_jPlS8_PNS0_10empty_typeENS0_5tupleIJS8_S9_EEENSB_IJS8_SA_EEENS0_18inequality_wrapperIZN2at6native12_GLOBAL__N_124unique_dim_cuda_templateIlEESt5tupleIJNSF_6TensorESK_SK_EERKSK_lbbbEUlllE0_EEPmJS9_EEE10hipError_tPvRmT3_T4_T5_T6_T7_T9_mT8_P12ihipStream_tbDpT10_ENKUlT_T0_E_clISt17integral_constantIbLb1EES1A_EEDaS15_S16_EUlS15_E_NS1_11comp_targetILNS1_3genE4ELNS1_11target_archE910ELNS1_3gpuE8ELNS1_3repE0EEENS1_30default_config_static_selectorELNS0_4arch9wavefront6targetE1EEEvT1_
; %bb.0:
	.section	.rodata,"a",@progbits
	.p2align	6, 0x0
	.amdhsa_kernel _ZN7rocprim17ROCPRIM_400000_NS6detail17trampoline_kernelINS0_14default_configENS1_25partition_config_selectorILNS1_17partition_subalgoE9EllbEEZZNS1_14partition_implILS5_9ELb0ES3_jPlS8_PNS0_10empty_typeENS0_5tupleIJS8_S9_EEENSB_IJS8_SA_EEENS0_18inequality_wrapperIZN2at6native12_GLOBAL__N_124unique_dim_cuda_templateIlEESt5tupleIJNSF_6TensorESK_SK_EERKSK_lbbbEUlllE0_EEPmJS9_EEE10hipError_tPvRmT3_T4_T5_T6_T7_T9_mT8_P12ihipStream_tbDpT10_ENKUlT_T0_E_clISt17integral_constantIbLb1EES1A_EEDaS15_S16_EUlS15_E_NS1_11comp_targetILNS1_3genE4ELNS1_11target_archE910ELNS1_3gpuE8ELNS1_3repE0EEENS1_30default_config_static_selectorELNS0_4arch9wavefront6targetE1EEEvT1_
		.amdhsa_group_segment_fixed_size 0
		.amdhsa_private_segment_fixed_size 0
		.amdhsa_kernarg_size 136
		.amdhsa_user_sgpr_count 2
		.amdhsa_user_sgpr_dispatch_ptr 0
		.amdhsa_user_sgpr_queue_ptr 0
		.amdhsa_user_sgpr_kernarg_segment_ptr 1
		.amdhsa_user_sgpr_dispatch_id 0
		.amdhsa_user_sgpr_kernarg_preload_length 0
		.amdhsa_user_sgpr_kernarg_preload_offset 0
		.amdhsa_user_sgpr_private_segment_size 0
		.amdhsa_uses_dynamic_stack 0
		.amdhsa_enable_private_segment 0
		.amdhsa_system_sgpr_workgroup_id_x 1
		.amdhsa_system_sgpr_workgroup_id_y 0
		.amdhsa_system_sgpr_workgroup_id_z 0
		.amdhsa_system_sgpr_workgroup_info 0
		.amdhsa_system_vgpr_workitem_id 0
		.amdhsa_next_free_vgpr 1
		.amdhsa_next_free_sgpr 0
		.amdhsa_accum_offset 4
		.amdhsa_reserve_vcc 0
		.amdhsa_float_round_mode_32 0
		.amdhsa_float_round_mode_16_64 0
		.amdhsa_float_denorm_mode_32 3
		.amdhsa_float_denorm_mode_16_64 3
		.amdhsa_dx10_clamp 1
		.amdhsa_ieee_mode 1
		.amdhsa_fp16_overflow 0
		.amdhsa_tg_split 0
		.amdhsa_exception_fp_ieee_invalid_op 0
		.amdhsa_exception_fp_denorm_src 0
		.amdhsa_exception_fp_ieee_div_zero 0
		.amdhsa_exception_fp_ieee_overflow 0
		.amdhsa_exception_fp_ieee_underflow 0
		.amdhsa_exception_fp_ieee_inexact 0
		.amdhsa_exception_int_div_zero 0
	.end_amdhsa_kernel
	.section	.text._ZN7rocprim17ROCPRIM_400000_NS6detail17trampoline_kernelINS0_14default_configENS1_25partition_config_selectorILNS1_17partition_subalgoE9EllbEEZZNS1_14partition_implILS5_9ELb0ES3_jPlS8_PNS0_10empty_typeENS0_5tupleIJS8_S9_EEENSB_IJS8_SA_EEENS0_18inequality_wrapperIZN2at6native12_GLOBAL__N_124unique_dim_cuda_templateIlEESt5tupleIJNSF_6TensorESK_SK_EERKSK_lbbbEUlllE0_EEPmJS9_EEE10hipError_tPvRmT3_T4_T5_T6_T7_T9_mT8_P12ihipStream_tbDpT10_ENKUlT_T0_E_clISt17integral_constantIbLb1EES1A_EEDaS15_S16_EUlS15_E_NS1_11comp_targetILNS1_3genE4ELNS1_11target_archE910ELNS1_3gpuE8ELNS1_3repE0EEENS1_30default_config_static_selectorELNS0_4arch9wavefront6targetE1EEEvT1_,"axG",@progbits,_ZN7rocprim17ROCPRIM_400000_NS6detail17trampoline_kernelINS0_14default_configENS1_25partition_config_selectorILNS1_17partition_subalgoE9EllbEEZZNS1_14partition_implILS5_9ELb0ES3_jPlS8_PNS0_10empty_typeENS0_5tupleIJS8_S9_EEENSB_IJS8_SA_EEENS0_18inequality_wrapperIZN2at6native12_GLOBAL__N_124unique_dim_cuda_templateIlEESt5tupleIJNSF_6TensorESK_SK_EERKSK_lbbbEUlllE0_EEPmJS9_EEE10hipError_tPvRmT3_T4_T5_T6_T7_T9_mT8_P12ihipStream_tbDpT10_ENKUlT_T0_E_clISt17integral_constantIbLb1EES1A_EEDaS15_S16_EUlS15_E_NS1_11comp_targetILNS1_3genE4ELNS1_11target_archE910ELNS1_3gpuE8ELNS1_3repE0EEENS1_30default_config_static_selectorELNS0_4arch9wavefront6targetE1EEEvT1_,comdat
.Lfunc_end609:
	.size	_ZN7rocprim17ROCPRIM_400000_NS6detail17trampoline_kernelINS0_14default_configENS1_25partition_config_selectorILNS1_17partition_subalgoE9EllbEEZZNS1_14partition_implILS5_9ELb0ES3_jPlS8_PNS0_10empty_typeENS0_5tupleIJS8_S9_EEENSB_IJS8_SA_EEENS0_18inequality_wrapperIZN2at6native12_GLOBAL__N_124unique_dim_cuda_templateIlEESt5tupleIJNSF_6TensorESK_SK_EERKSK_lbbbEUlllE0_EEPmJS9_EEE10hipError_tPvRmT3_T4_T5_T6_T7_T9_mT8_P12ihipStream_tbDpT10_ENKUlT_T0_E_clISt17integral_constantIbLb1EES1A_EEDaS15_S16_EUlS15_E_NS1_11comp_targetILNS1_3genE4ELNS1_11target_archE910ELNS1_3gpuE8ELNS1_3repE0EEENS1_30default_config_static_selectorELNS0_4arch9wavefront6targetE1EEEvT1_, .Lfunc_end609-_ZN7rocprim17ROCPRIM_400000_NS6detail17trampoline_kernelINS0_14default_configENS1_25partition_config_selectorILNS1_17partition_subalgoE9EllbEEZZNS1_14partition_implILS5_9ELb0ES3_jPlS8_PNS0_10empty_typeENS0_5tupleIJS8_S9_EEENSB_IJS8_SA_EEENS0_18inequality_wrapperIZN2at6native12_GLOBAL__N_124unique_dim_cuda_templateIlEESt5tupleIJNSF_6TensorESK_SK_EERKSK_lbbbEUlllE0_EEPmJS9_EEE10hipError_tPvRmT3_T4_T5_T6_T7_T9_mT8_P12ihipStream_tbDpT10_ENKUlT_T0_E_clISt17integral_constantIbLb1EES1A_EEDaS15_S16_EUlS15_E_NS1_11comp_targetILNS1_3genE4ELNS1_11target_archE910ELNS1_3gpuE8ELNS1_3repE0EEENS1_30default_config_static_selectorELNS0_4arch9wavefront6targetE1EEEvT1_
                                        ; -- End function
	.section	.AMDGPU.csdata,"",@progbits
; Kernel info:
; codeLenInByte = 0
; NumSgprs: 6
; NumVgprs: 0
; NumAgprs: 0
; TotalNumVgprs: 0
; ScratchSize: 0
; MemoryBound: 0
; FloatMode: 240
; IeeeMode: 1
; LDSByteSize: 0 bytes/workgroup (compile time only)
; SGPRBlocks: 0
; VGPRBlocks: 0
; NumSGPRsForWavesPerEU: 6
; NumVGPRsForWavesPerEU: 1
; AccumOffset: 4
; Occupancy: 8
; WaveLimiterHint : 0
; COMPUTE_PGM_RSRC2:SCRATCH_EN: 0
; COMPUTE_PGM_RSRC2:USER_SGPR: 2
; COMPUTE_PGM_RSRC2:TRAP_HANDLER: 0
; COMPUTE_PGM_RSRC2:TGID_X_EN: 1
; COMPUTE_PGM_RSRC2:TGID_Y_EN: 0
; COMPUTE_PGM_RSRC2:TGID_Z_EN: 0
; COMPUTE_PGM_RSRC2:TIDIG_COMP_CNT: 0
; COMPUTE_PGM_RSRC3_GFX90A:ACCUM_OFFSET: 0
; COMPUTE_PGM_RSRC3_GFX90A:TG_SPLIT: 0
	.section	.text._ZN7rocprim17ROCPRIM_400000_NS6detail17trampoline_kernelINS0_14default_configENS1_25partition_config_selectorILNS1_17partition_subalgoE9EllbEEZZNS1_14partition_implILS5_9ELb0ES3_jPlS8_PNS0_10empty_typeENS0_5tupleIJS8_S9_EEENSB_IJS8_SA_EEENS0_18inequality_wrapperIZN2at6native12_GLOBAL__N_124unique_dim_cuda_templateIlEESt5tupleIJNSF_6TensorESK_SK_EERKSK_lbbbEUlllE0_EEPmJS9_EEE10hipError_tPvRmT3_T4_T5_T6_T7_T9_mT8_P12ihipStream_tbDpT10_ENKUlT_T0_E_clISt17integral_constantIbLb1EES1A_EEDaS15_S16_EUlS15_E_NS1_11comp_targetILNS1_3genE3ELNS1_11target_archE908ELNS1_3gpuE7ELNS1_3repE0EEENS1_30default_config_static_selectorELNS0_4arch9wavefront6targetE1EEEvT1_,"axG",@progbits,_ZN7rocprim17ROCPRIM_400000_NS6detail17trampoline_kernelINS0_14default_configENS1_25partition_config_selectorILNS1_17partition_subalgoE9EllbEEZZNS1_14partition_implILS5_9ELb0ES3_jPlS8_PNS0_10empty_typeENS0_5tupleIJS8_S9_EEENSB_IJS8_SA_EEENS0_18inequality_wrapperIZN2at6native12_GLOBAL__N_124unique_dim_cuda_templateIlEESt5tupleIJNSF_6TensorESK_SK_EERKSK_lbbbEUlllE0_EEPmJS9_EEE10hipError_tPvRmT3_T4_T5_T6_T7_T9_mT8_P12ihipStream_tbDpT10_ENKUlT_T0_E_clISt17integral_constantIbLb1EES1A_EEDaS15_S16_EUlS15_E_NS1_11comp_targetILNS1_3genE3ELNS1_11target_archE908ELNS1_3gpuE7ELNS1_3repE0EEENS1_30default_config_static_selectorELNS0_4arch9wavefront6targetE1EEEvT1_,comdat
	.globl	_ZN7rocprim17ROCPRIM_400000_NS6detail17trampoline_kernelINS0_14default_configENS1_25partition_config_selectorILNS1_17partition_subalgoE9EllbEEZZNS1_14partition_implILS5_9ELb0ES3_jPlS8_PNS0_10empty_typeENS0_5tupleIJS8_S9_EEENSB_IJS8_SA_EEENS0_18inequality_wrapperIZN2at6native12_GLOBAL__N_124unique_dim_cuda_templateIlEESt5tupleIJNSF_6TensorESK_SK_EERKSK_lbbbEUlllE0_EEPmJS9_EEE10hipError_tPvRmT3_T4_T5_T6_T7_T9_mT8_P12ihipStream_tbDpT10_ENKUlT_T0_E_clISt17integral_constantIbLb1EES1A_EEDaS15_S16_EUlS15_E_NS1_11comp_targetILNS1_3genE3ELNS1_11target_archE908ELNS1_3gpuE7ELNS1_3repE0EEENS1_30default_config_static_selectorELNS0_4arch9wavefront6targetE1EEEvT1_ ; -- Begin function _ZN7rocprim17ROCPRIM_400000_NS6detail17trampoline_kernelINS0_14default_configENS1_25partition_config_selectorILNS1_17partition_subalgoE9EllbEEZZNS1_14partition_implILS5_9ELb0ES3_jPlS8_PNS0_10empty_typeENS0_5tupleIJS8_S9_EEENSB_IJS8_SA_EEENS0_18inequality_wrapperIZN2at6native12_GLOBAL__N_124unique_dim_cuda_templateIlEESt5tupleIJNSF_6TensorESK_SK_EERKSK_lbbbEUlllE0_EEPmJS9_EEE10hipError_tPvRmT3_T4_T5_T6_T7_T9_mT8_P12ihipStream_tbDpT10_ENKUlT_T0_E_clISt17integral_constantIbLb1EES1A_EEDaS15_S16_EUlS15_E_NS1_11comp_targetILNS1_3genE3ELNS1_11target_archE908ELNS1_3gpuE7ELNS1_3repE0EEENS1_30default_config_static_selectorELNS0_4arch9wavefront6targetE1EEEvT1_
	.p2align	8
	.type	_ZN7rocprim17ROCPRIM_400000_NS6detail17trampoline_kernelINS0_14default_configENS1_25partition_config_selectorILNS1_17partition_subalgoE9EllbEEZZNS1_14partition_implILS5_9ELb0ES3_jPlS8_PNS0_10empty_typeENS0_5tupleIJS8_S9_EEENSB_IJS8_SA_EEENS0_18inequality_wrapperIZN2at6native12_GLOBAL__N_124unique_dim_cuda_templateIlEESt5tupleIJNSF_6TensorESK_SK_EERKSK_lbbbEUlllE0_EEPmJS9_EEE10hipError_tPvRmT3_T4_T5_T6_T7_T9_mT8_P12ihipStream_tbDpT10_ENKUlT_T0_E_clISt17integral_constantIbLb1EES1A_EEDaS15_S16_EUlS15_E_NS1_11comp_targetILNS1_3genE3ELNS1_11target_archE908ELNS1_3gpuE7ELNS1_3repE0EEENS1_30default_config_static_selectorELNS0_4arch9wavefront6targetE1EEEvT1_,@function
_ZN7rocprim17ROCPRIM_400000_NS6detail17trampoline_kernelINS0_14default_configENS1_25partition_config_selectorILNS1_17partition_subalgoE9EllbEEZZNS1_14partition_implILS5_9ELb0ES3_jPlS8_PNS0_10empty_typeENS0_5tupleIJS8_S9_EEENSB_IJS8_SA_EEENS0_18inequality_wrapperIZN2at6native12_GLOBAL__N_124unique_dim_cuda_templateIlEESt5tupleIJNSF_6TensorESK_SK_EERKSK_lbbbEUlllE0_EEPmJS9_EEE10hipError_tPvRmT3_T4_T5_T6_T7_T9_mT8_P12ihipStream_tbDpT10_ENKUlT_T0_E_clISt17integral_constantIbLb1EES1A_EEDaS15_S16_EUlS15_E_NS1_11comp_targetILNS1_3genE3ELNS1_11target_archE908ELNS1_3gpuE7ELNS1_3repE0EEENS1_30default_config_static_selectorELNS0_4arch9wavefront6targetE1EEEvT1_: ; @_ZN7rocprim17ROCPRIM_400000_NS6detail17trampoline_kernelINS0_14default_configENS1_25partition_config_selectorILNS1_17partition_subalgoE9EllbEEZZNS1_14partition_implILS5_9ELb0ES3_jPlS8_PNS0_10empty_typeENS0_5tupleIJS8_S9_EEENSB_IJS8_SA_EEENS0_18inequality_wrapperIZN2at6native12_GLOBAL__N_124unique_dim_cuda_templateIlEESt5tupleIJNSF_6TensorESK_SK_EERKSK_lbbbEUlllE0_EEPmJS9_EEE10hipError_tPvRmT3_T4_T5_T6_T7_T9_mT8_P12ihipStream_tbDpT10_ENKUlT_T0_E_clISt17integral_constantIbLb1EES1A_EEDaS15_S16_EUlS15_E_NS1_11comp_targetILNS1_3genE3ELNS1_11target_archE908ELNS1_3gpuE7ELNS1_3repE0EEENS1_30default_config_static_selectorELNS0_4arch9wavefront6targetE1EEEvT1_
; %bb.0:
	.section	.rodata,"a",@progbits
	.p2align	6, 0x0
	.amdhsa_kernel _ZN7rocprim17ROCPRIM_400000_NS6detail17trampoline_kernelINS0_14default_configENS1_25partition_config_selectorILNS1_17partition_subalgoE9EllbEEZZNS1_14partition_implILS5_9ELb0ES3_jPlS8_PNS0_10empty_typeENS0_5tupleIJS8_S9_EEENSB_IJS8_SA_EEENS0_18inequality_wrapperIZN2at6native12_GLOBAL__N_124unique_dim_cuda_templateIlEESt5tupleIJNSF_6TensorESK_SK_EERKSK_lbbbEUlllE0_EEPmJS9_EEE10hipError_tPvRmT3_T4_T5_T6_T7_T9_mT8_P12ihipStream_tbDpT10_ENKUlT_T0_E_clISt17integral_constantIbLb1EES1A_EEDaS15_S16_EUlS15_E_NS1_11comp_targetILNS1_3genE3ELNS1_11target_archE908ELNS1_3gpuE7ELNS1_3repE0EEENS1_30default_config_static_selectorELNS0_4arch9wavefront6targetE1EEEvT1_
		.amdhsa_group_segment_fixed_size 0
		.amdhsa_private_segment_fixed_size 0
		.amdhsa_kernarg_size 136
		.amdhsa_user_sgpr_count 2
		.amdhsa_user_sgpr_dispatch_ptr 0
		.amdhsa_user_sgpr_queue_ptr 0
		.amdhsa_user_sgpr_kernarg_segment_ptr 1
		.amdhsa_user_sgpr_dispatch_id 0
		.amdhsa_user_sgpr_kernarg_preload_length 0
		.amdhsa_user_sgpr_kernarg_preload_offset 0
		.amdhsa_user_sgpr_private_segment_size 0
		.amdhsa_uses_dynamic_stack 0
		.amdhsa_enable_private_segment 0
		.amdhsa_system_sgpr_workgroup_id_x 1
		.amdhsa_system_sgpr_workgroup_id_y 0
		.amdhsa_system_sgpr_workgroup_id_z 0
		.amdhsa_system_sgpr_workgroup_info 0
		.amdhsa_system_vgpr_workitem_id 0
		.amdhsa_next_free_vgpr 1
		.amdhsa_next_free_sgpr 0
		.amdhsa_accum_offset 4
		.amdhsa_reserve_vcc 0
		.amdhsa_float_round_mode_32 0
		.amdhsa_float_round_mode_16_64 0
		.amdhsa_float_denorm_mode_32 3
		.amdhsa_float_denorm_mode_16_64 3
		.amdhsa_dx10_clamp 1
		.amdhsa_ieee_mode 1
		.amdhsa_fp16_overflow 0
		.amdhsa_tg_split 0
		.amdhsa_exception_fp_ieee_invalid_op 0
		.amdhsa_exception_fp_denorm_src 0
		.amdhsa_exception_fp_ieee_div_zero 0
		.amdhsa_exception_fp_ieee_overflow 0
		.amdhsa_exception_fp_ieee_underflow 0
		.amdhsa_exception_fp_ieee_inexact 0
		.amdhsa_exception_int_div_zero 0
	.end_amdhsa_kernel
	.section	.text._ZN7rocprim17ROCPRIM_400000_NS6detail17trampoline_kernelINS0_14default_configENS1_25partition_config_selectorILNS1_17partition_subalgoE9EllbEEZZNS1_14partition_implILS5_9ELb0ES3_jPlS8_PNS0_10empty_typeENS0_5tupleIJS8_S9_EEENSB_IJS8_SA_EEENS0_18inequality_wrapperIZN2at6native12_GLOBAL__N_124unique_dim_cuda_templateIlEESt5tupleIJNSF_6TensorESK_SK_EERKSK_lbbbEUlllE0_EEPmJS9_EEE10hipError_tPvRmT3_T4_T5_T6_T7_T9_mT8_P12ihipStream_tbDpT10_ENKUlT_T0_E_clISt17integral_constantIbLb1EES1A_EEDaS15_S16_EUlS15_E_NS1_11comp_targetILNS1_3genE3ELNS1_11target_archE908ELNS1_3gpuE7ELNS1_3repE0EEENS1_30default_config_static_selectorELNS0_4arch9wavefront6targetE1EEEvT1_,"axG",@progbits,_ZN7rocprim17ROCPRIM_400000_NS6detail17trampoline_kernelINS0_14default_configENS1_25partition_config_selectorILNS1_17partition_subalgoE9EllbEEZZNS1_14partition_implILS5_9ELb0ES3_jPlS8_PNS0_10empty_typeENS0_5tupleIJS8_S9_EEENSB_IJS8_SA_EEENS0_18inequality_wrapperIZN2at6native12_GLOBAL__N_124unique_dim_cuda_templateIlEESt5tupleIJNSF_6TensorESK_SK_EERKSK_lbbbEUlllE0_EEPmJS9_EEE10hipError_tPvRmT3_T4_T5_T6_T7_T9_mT8_P12ihipStream_tbDpT10_ENKUlT_T0_E_clISt17integral_constantIbLb1EES1A_EEDaS15_S16_EUlS15_E_NS1_11comp_targetILNS1_3genE3ELNS1_11target_archE908ELNS1_3gpuE7ELNS1_3repE0EEENS1_30default_config_static_selectorELNS0_4arch9wavefront6targetE1EEEvT1_,comdat
.Lfunc_end610:
	.size	_ZN7rocprim17ROCPRIM_400000_NS6detail17trampoline_kernelINS0_14default_configENS1_25partition_config_selectorILNS1_17partition_subalgoE9EllbEEZZNS1_14partition_implILS5_9ELb0ES3_jPlS8_PNS0_10empty_typeENS0_5tupleIJS8_S9_EEENSB_IJS8_SA_EEENS0_18inequality_wrapperIZN2at6native12_GLOBAL__N_124unique_dim_cuda_templateIlEESt5tupleIJNSF_6TensorESK_SK_EERKSK_lbbbEUlllE0_EEPmJS9_EEE10hipError_tPvRmT3_T4_T5_T6_T7_T9_mT8_P12ihipStream_tbDpT10_ENKUlT_T0_E_clISt17integral_constantIbLb1EES1A_EEDaS15_S16_EUlS15_E_NS1_11comp_targetILNS1_3genE3ELNS1_11target_archE908ELNS1_3gpuE7ELNS1_3repE0EEENS1_30default_config_static_selectorELNS0_4arch9wavefront6targetE1EEEvT1_, .Lfunc_end610-_ZN7rocprim17ROCPRIM_400000_NS6detail17trampoline_kernelINS0_14default_configENS1_25partition_config_selectorILNS1_17partition_subalgoE9EllbEEZZNS1_14partition_implILS5_9ELb0ES3_jPlS8_PNS0_10empty_typeENS0_5tupleIJS8_S9_EEENSB_IJS8_SA_EEENS0_18inequality_wrapperIZN2at6native12_GLOBAL__N_124unique_dim_cuda_templateIlEESt5tupleIJNSF_6TensorESK_SK_EERKSK_lbbbEUlllE0_EEPmJS9_EEE10hipError_tPvRmT3_T4_T5_T6_T7_T9_mT8_P12ihipStream_tbDpT10_ENKUlT_T0_E_clISt17integral_constantIbLb1EES1A_EEDaS15_S16_EUlS15_E_NS1_11comp_targetILNS1_3genE3ELNS1_11target_archE908ELNS1_3gpuE7ELNS1_3repE0EEENS1_30default_config_static_selectorELNS0_4arch9wavefront6targetE1EEEvT1_
                                        ; -- End function
	.section	.AMDGPU.csdata,"",@progbits
; Kernel info:
; codeLenInByte = 0
; NumSgprs: 6
; NumVgprs: 0
; NumAgprs: 0
; TotalNumVgprs: 0
; ScratchSize: 0
; MemoryBound: 0
; FloatMode: 240
; IeeeMode: 1
; LDSByteSize: 0 bytes/workgroup (compile time only)
; SGPRBlocks: 0
; VGPRBlocks: 0
; NumSGPRsForWavesPerEU: 6
; NumVGPRsForWavesPerEU: 1
; AccumOffset: 4
; Occupancy: 8
; WaveLimiterHint : 0
; COMPUTE_PGM_RSRC2:SCRATCH_EN: 0
; COMPUTE_PGM_RSRC2:USER_SGPR: 2
; COMPUTE_PGM_RSRC2:TRAP_HANDLER: 0
; COMPUTE_PGM_RSRC2:TGID_X_EN: 1
; COMPUTE_PGM_RSRC2:TGID_Y_EN: 0
; COMPUTE_PGM_RSRC2:TGID_Z_EN: 0
; COMPUTE_PGM_RSRC2:TIDIG_COMP_CNT: 0
; COMPUTE_PGM_RSRC3_GFX90A:ACCUM_OFFSET: 0
; COMPUTE_PGM_RSRC3_GFX90A:TG_SPLIT: 0
	.section	.text._ZN7rocprim17ROCPRIM_400000_NS6detail17trampoline_kernelINS0_14default_configENS1_25partition_config_selectorILNS1_17partition_subalgoE9EllbEEZZNS1_14partition_implILS5_9ELb0ES3_jPlS8_PNS0_10empty_typeENS0_5tupleIJS8_S9_EEENSB_IJS8_SA_EEENS0_18inequality_wrapperIZN2at6native12_GLOBAL__N_124unique_dim_cuda_templateIlEESt5tupleIJNSF_6TensorESK_SK_EERKSK_lbbbEUlllE0_EEPmJS9_EEE10hipError_tPvRmT3_T4_T5_T6_T7_T9_mT8_P12ihipStream_tbDpT10_ENKUlT_T0_E_clISt17integral_constantIbLb1EES1A_EEDaS15_S16_EUlS15_E_NS1_11comp_targetILNS1_3genE2ELNS1_11target_archE906ELNS1_3gpuE6ELNS1_3repE0EEENS1_30default_config_static_selectorELNS0_4arch9wavefront6targetE1EEEvT1_,"axG",@progbits,_ZN7rocprim17ROCPRIM_400000_NS6detail17trampoline_kernelINS0_14default_configENS1_25partition_config_selectorILNS1_17partition_subalgoE9EllbEEZZNS1_14partition_implILS5_9ELb0ES3_jPlS8_PNS0_10empty_typeENS0_5tupleIJS8_S9_EEENSB_IJS8_SA_EEENS0_18inequality_wrapperIZN2at6native12_GLOBAL__N_124unique_dim_cuda_templateIlEESt5tupleIJNSF_6TensorESK_SK_EERKSK_lbbbEUlllE0_EEPmJS9_EEE10hipError_tPvRmT3_T4_T5_T6_T7_T9_mT8_P12ihipStream_tbDpT10_ENKUlT_T0_E_clISt17integral_constantIbLb1EES1A_EEDaS15_S16_EUlS15_E_NS1_11comp_targetILNS1_3genE2ELNS1_11target_archE906ELNS1_3gpuE6ELNS1_3repE0EEENS1_30default_config_static_selectorELNS0_4arch9wavefront6targetE1EEEvT1_,comdat
	.globl	_ZN7rocprim17ROCPRIM_400000_NS6detail17trampoline_kernelINS0_14default_configENS1_25partition_config_selectorILNS1_17partition_subalgoE9EllbEEZZNS1_14partition_implILS5_9ELb0ES3_jPlS8_PNS0_10empty_typeENS0_5tupleIJS8_S9_EEENSB_IJS8_SA_EEENS0_18inequality_wrapperIZN2at6native12_GLOBAL__N_124unique_dim_cuda_templateIlEESt5tupleIJNSF_6TensorESK_SK_EERKSK_lbbbEUlllE0_EEPmJS9_EEE10hipError_tPvRmT3_T4_T5_T6_T7_T9_mT8_P12ihipStream_tbDpT10_ENKUlT_T0_E_clISt17integral_constantIbLb1EES1A_EEDaS15_S16_EUlS15_E_NS1_11comp_targetILNS1_3genE2ELNS1_11target_archE906ELNS1_3gpuE6ELNS1_3repE0EEENS1_30default_config_static_selectorELNS0_4arch9wavefront6targetE1EEEvT1_ ; -- Begin function _ZN7rocprim17ROCPRIM_400000_NS6detail17trampoline_kernelINS0_14default_configENS1_25partition_config_selectorILNS1_17partition_subalgoE9EllbEEZZNS1_14partition_implILS5_9ELb0ES3_jPlS8_PNS0_10empty_typeENS0_5tupleIJS8_S9_EEENSB_IJS8_SA_EEENS0_18inequality_wrapperIZN2at6native12_GLOBAL__N_124unique_dim_cuda_templateIlEESt5tupleIJNSF_6TensorESK_SK_EERKSK_lbbbEUlllE0_EEPmJS9_EEE10hipError_tPvRmT3_T4_T5_T6_T7_T9_mT8_P12ihipStream_tbDpT10_ENKUlT_T0_E_clISt17integral_constantIbLb1EES1A_EEDaS15_S16_EUlS15_E_NS1_11comp_targetILNS1_3genE2ELNS1_11target_archE906ELNS1_3gpuE6ELNS1_3repE0EEENS1_30default_config_static_selectorELNS0_4arch9wavefront6targetE1EEEvT1_
	.p2align	8
	.type	_ZN7rocprim17ROCPRIM_400000_NS6detail17trampoline_kernelINS0_14default_configENS1_25partition_config_selectorILNS1_17partition_subalgoE9EllbEEZZNS1_14partition_implILS5_9ELb0ES3_jPlS8_PNS0_10empty_typeENS0_5tupleIJS8_S9_EEENSB_IJS8_SA_EEENS0_18inequality_wrapperIZN2at6native12_GLOBAL__N_124unique_dim_cuda_templateIlEESt5tupleIJNSF_6TensorESK_SK_EERKSK_lbbbEUlllE0_EEPmJS9_EEE10hipError_tPvRmT3_T4_T5_T6_T7_T9_mT8_P12ihipStream_tbDpT10_ENKUlT_T0_E_clISt17integral_constantIbLb1EES1A_EEDaS15_S16_EUlS15_E_NS1_11comp_targetILNS1_3genE2ELNS1_11target_archE906ELNS1_3gpuE6ELNS1_3repE0EEENS1_30default_config_static_selectorELNS0_4arch9wavefront6targetE1EEEvT1_,@function
_ZN7rocprim17ROCPRIM_400000_NS6detail17trampoline_kernelINS0_14default_configENS1_25partition_config_selectorILNS1_17partition_subalgoE9EllbEEZZNS1_14partition_implILS5_9ELb0ES3_jPlS8_PNS0_10empty_typeENS0_5tupleIJS8_S9_EEENSB_IJS8_SA_EEENS0_18inequality_wrapperIZN2at6native12_GLOBAL__N_124unique_dim_cuda_templateIlEESt5tupleIJNSF_6TensorESK_SK_EERKSK_lbbbEUlllE0_EEPmJS9_EEE10hipError_tPvRmT3_T4_T5_T6_T7_T9_mT8_P12ihipStream_tbDpT10_ENKUlT_T0_E_clISt17integral_constantIbLb1EES1A_EEDaS15_S16_EUlS15_E_NS1_11comp_targetILNS1_3genE2ELNS1_11target_archE906ELNS1_3gpuE6ELNS1_3repE0EEENS1_30default_config_static_selectorELNS0_4arch9wavefront6targetE1EEEvT1_: ; @_ZN7rocprim17ROCPRIM_400000_NS6detail17trampoline_kernelINS0_14default_configENS1_25partition_config_selectorILNS1_17partition_subalgoE9EllbEEZZNS1_14partition_implILS5_9ELb0ES3_jPlS8_PNS0_10empty_typeENS0_5tupleIJS8_S9_EEENSB_IJS8_SA_EEENS0_18inequality_wrapperIZN2at6native12_GLOBAL__N_124unique_dim_cuda_templateIlEESt5tupleIJNSF_6TensorESK_SK_EERKSK_lbbbEUlllE0_EEPmJS9_EEE10hipError_tPvRmT3_T4_T5_T6_T7_T9_mT8_P12ihipStream_tbDpT10_ENKUlT_T0_E_clISt17integral_constantIbLb1EES1A_EEDaS15_S16_EUlS15_E_NS1_11comp_targetILNS1_3genE2ELNS1_11target_archE906ELNS1_3gpuE6ELNS1_3repE0EEENS1_30default_config_static_selectorELNS0_4arch9wavefront6targetE1EEEvT1_
; %bb.0:
	.section	.rodata,"a",@progbits
	.p2align	6, 0x0
	.amdhsa_kernel _ZN7rocprim17ROCPRIM_400000_NS6detail17trampoline_kernelINS0_14default_configENS1_25partition_config_selectorILNS1_17partition_subalgoE9EllbEEZZNS1_14partition_implILS5_9ELb0ES3_jPlS8_PNS0_10empty_typeENS0_5tupleIJS8_S9_EEENSB_IJS8_SA_EEENS0_18inequality_wrapperIZN2at6native12_GLOBAL__N_124unique_dim_cuda_templateIlEESt5tupleIJNSF_6TensorESK_SK_EERKSK_lbbbEUlllE0_EEPmJS9_EEE10hipError_tPvRmT3_T4_T5_T6_T7_T9_mT8_P12ihipStream_tbDpT10_ENKUlT_T0_E_clISt17integral_constantIbLb1EES1A_EEDaS15_S16_EUlS15_E_NS1_11comp_targetILNS1_3genE2ELNS1_11target_archE906ELNS1_3gpuE6ELNS1_3repE0EEENS1_30default_config_static_selectorELNS0_4arch9wavefront6targetE1EEEvT1_
		.amdhsa_group_segment_fixed_size 0
		.amdhsa_private_segment_fixed_size 0
		.amdhsa_kernarg_size 136
		.amdhsa_user_sgpr_count 2
		.amdhsa_user_sgpr_dispatch_ptr 0
		.amdhsa_user_sgpr_queue_ptr 0
		.amdhsa_user_sgpr_kernarg_segment_ptr 1
		.amdhsa_user_sgpr_dispatch_id 0
		.amdhsa_user_sgpr_kernarg_preload_length 0
		.amdhsa_user_sgpr_kernarg_preload_offset 0
		.amdhsa_user_sgpr_private_segment_size 0
		.amdhsa_uses_dynamic_stack 0
		.amdhsa_enable_private_segment 0
		.amdhsa_system_sgpr_workgroup_id_x 1
		.amdhsa_system_sgpr_workgroup_id_y 0
		.amdhsa_system_sgpr_workgroup_id_z 0
		.amdhsa_system_sgpr_workgroup_info 0
		.amdhsa_system_vgpr_workitem_id 0
		.amdhsa_next_free_vgpr 1
		.amdhsa_next_free_sgpr 0
		.amdhsa_accum_offset 4
		.amdhsa_reserve_vcc 0
		.amdhsa_float_round_mode_32 0
		.amdhsa_float_round_mode_16_64 0
		.amdhsa_float_denorm_mode_32 3
		.amdhsa_float_denorm_mode_16_64 3
		.amdhsa_dx10_clamp 1
		.amdhsa_ieee_mode 1
		.amdhsa_fp16_overflow 0
		.amdhsa_tg_split 0
		.amdhsa_exception_fp_ieee_invalid_op 0
		.amdhsa_exception_fp_denorm_src 0
		.amdhsa_exception_fp_ieee_div_zero 0
		.amdhsa_exception_fp_ieee_overflow 0
		.amdhsa_exception_fp_ieee_underflow 0
		.amdhsa_exception_fp_ieee_inexact 0
		.amdhsa_exception_int_div_zero 0
	.end_amdhsa_kernel
	.section	.text._ZN7rocprim17ROCPRIM_400000_NS6detail17trampoline_kernelINS0_14default_configENS1_25partition_config_selectorILNS1_17partition_subalgoE9EllbEEZZNS1_14partition_implILS5_9ELb0ES3_jPlS8_PNS0_10empty_typeENS0_5tupleIJS8_S9_EEENSB_IJS8_SA_EEENS0_18inequality_wrapperIZN2at6native12_GLOBAL__N_124unique_dim_cuda_templateIlEESt5tupleIJNSF_6TensorESK_SK_EERKSK_lbbbEUlllE0_EEPmJS9_EEE10hipError_tPvRmT3_T4_T5_T6_T7_T9_mT8_P12ihipStream_tbDpT10_ENKUlT_T0_E_clISt17integral_constantIbLb1EES1A_EEDaS15_S16_EUlS15_E_NS1_11comp_targetILNS1_3genE2ELNS1_11target_archE906ELNS1_3gpuE6ELNS1_3repE0EEENS1_30default_config_static_selectorELNS0_4arch9wavefront6targetE1EEEvT1_,"axG",@progbits,_ZN7rocprim17ROCPRIM_400000_NS6detail17trampoline_kernelINS0_14default_configENS1_25partition_config_selectorILNS1_17partition_subalgoE9EllbEEZZNS1_14partition_implILS5_9ELb0ES3_jPlS8_PNS0_10empty_typeENS0_5tupleIJS8_S9_EEENSB_IJS8_SA_EEENS0_18inequality_wrapperIZN2at6native12_GLOBAL__N_124unique_dim_cuda_templateIlEESt5tupleIJNSF_6TensorESK_SK_EERKSK_lbbbEUlllE0_EEPmJS9_EEE10hipError_tPvRmT3_T4_T5_T6_T7_T9_mT8_P12ihipStream_tbDpT10_ENKUlT_T0_E_clISt17integral_constantIbLb1EES1A_EEDaS15_S16_EUlS15_E_NS1_11comp_targetILNS1_3genE2ELNS1_11target_archE906ELNS1_3gpuE6ELNS1_3repE0EEENS1_30default_config_static_selectorELNS0_4arch9wavefront6targetE1EEEvT1_,comdat
.Lfunc_end611:
	.size	_ZN7rocprim17ROCPRIM_400000_NS6detail17trampoline_kernelINS0_14default_configENS1_25partition_config_selectorILNS1_17partition_subalgoE9EllbEEZZNS1_14partition_implILS5_9ELb0ES3_jPlS8_PNS0_10empty_typeENS0_5tupleIJS8_S9_EEENSB_IJS8_SA_EEENS0_18inequality_wrapperIZN2at6native12_GLOBAL__N_124unique_dim_cuda_templateIlEESt5tupleIJNSF_6TensorESK_SK_EERKSK_lbbbEUlllE0_EEPmJS9_EEE10hipError_tPvRmT3_T4_T5_T6_T7_T9_mT8_P12ihipStream_tbDpT10_ENKUlT_T0_E_clISt17integral_constantIbLb1EES1A_EEDaS15_S16_EUlS15_E_NS1_11comp_targetILNS1_3genE2ELNS1_11target_archE906ELNS1_3gpuE6ELNS1_3repE0EEENS1_30default_config_static_selectorELNS0_4arch9wavefront6targetE1EEEvT1_, .Lfunc_end611-_ZN7rocprim17ROCPRIM_400000_NS6detail17trampoline_kernelINS0_14default_configENS1_25partition_config_selectorILNS1_17partition_subalgoE9EllbEEZZNS1_14partition_implILS5_9ELb0ES3_jPlS8_PNS0_10empty_typeENS0_5tupleIJS8_S9_EEENSB_IJS8_SA_EEENS0_18inequality_wrapperIZN2at6native12_GLOBAL__N_124unique_dim_cuda_templateIlEESt5tupleIJNSF_6TensorESK_SK_EERKSK_lbbbEUlllE0_EEPmJS9_EEE10hipError_tPvRmT3_T4_T5_T6_T7_T9_mT8_P12ihipStream_tbDpT10_ENKUlT_T0_E_clISt17integral_constantIbLb1EES1A_EEDaS15_S16_EUlS15_E_NS1_11comp_targetILNS1_3genE2ELNS1_11target_archE906ELNS1_3gpuE6ELNS1_3repE0EEENS1_30default_config_static_selectorELNS0_4arch9wavefront6targetE1EEEvT1_
                                        ; -- End function
	.section	.AMDGPU.csdata,"",@progbits
; Kernel info:
; codeLenInByte = 0
; NumSgprs: 6
; NumVgprs: 0
; NumAgprs: 0
; TotalNumVgprs: 0
; ScratchSize: 0
; MemoryBound: 0
; FloatMode: 240
; IeeeMode: 1
; LDSByteSize: 0 bytes/workgroup (compile time only)
; SGPRBlocks: 0
; VGPRBlocks: 0
; NumSGPRsForWavesPerEU: 6
; NumVGPRsForWavesPerEU: 1
; AccumOffset: 4
; Occupancy: 8
; WaveLimiterHint : 0
; COMPUTE_PGM_RSRC2:SCRATCH_EN: 0
; COMPUTE_PGM_RSRC2:USER_SGPR: 2
; COMPUTE_PGM_RSRC2:TRAP_HANDLER: 0
; COMPUTE_PGM_RSRC2:TGID_X_EN: 1
; COMPUTE_PGM_RSRC2:TGID_Y_EN: 0
; COMPUTE_PGM_RSRC2:TGID_Z_EN: 0
; COMPUTE_PGM_RSRC2:TIDIG_COMP_CNT: 0
; COMPUTE_PGM_RSRC3_GFX90A:ACCUM_OFFSET: 0
; COMPUTE_PGM_RSRC3_GFX90A:TG_SPLIT: 0
	.section	.text._ZN7rocprim17ROCPRIM_400000_NS6detail17trampoline_kernelINS0_14default_configENS1_25partition_config_selectorILNS1_17partition_subalgoE9EllbEEZZNS1_14partition_implILS5_9ELb0ES3_jPlS8_PNS0_10empty_typeENS0_5tupleIJS8_S9_EEENSB_IJS8_SA_EEENS0_18inequality_wrapperIZN2at6native12_GLOBAL__N_124unique_dim_cuda_templateIlEESt5tupleIJNSF_6TensorESK_SK_EERKSK_lbbbEUlllE0_EEPmJS9_EEE10hipError_tPvRmT3_T4_T5_T6_T7_T9_mT8_P12ihipStream_tbDpT10_ENKUlT_T0_E_clISt17integral_constantIbLb1EES1A_EEDaS15_S16_EUlS15_E_NS1_11comp_targetILNS1_3genE10ELNS1_11target_archE1200ELNS1_3gpuE4ELNS1_3repE0EEENS1_30default_config_static_selectorELNS0_4arch9wavefront6targetE1EEEvT1_,"axG",@progbits,_ZN7rocprim17ROCPRIM_400000_NS6detail17trampoline_kernelINS0_14default_configENS1_25partition_config_selectorILNS1_17partition_subalgoE9EllbEEZZNS1_14partition_implILS5_9ELb0ES3_jPlS8_PNS0_10empty_typeENS0_5tupleIJS8_S9_EEENSB_IJS8_SA_EEENS0_18inequality_wrapperIZN2at6native12_GLOBAL__N_124unique_dim_cuda_templateIlEESt5tupleIJNSF_6TensorESK_SK_EERKSK_lbbbEUlllE0_EEPmJS9_EEE10hipError_tPvRmT3_T4_T5_T6_T7_T9_mT8_P12ihipStream_tbDpT10_ENKUlT_T0_E_clISt17integral_constantIbLb1EES1A_EEDaS15_S16_EUlS15_E_NS1_11comp_targetILNS1_3genE10ELNS1_11target_archE1200ELNS1_3gpuE4ELNS1_3repE0EEENS1_30default_config_static_selectorELNS0_4arch9wavefront6targetE1EEEvT1_,comdat
	.globl	_ZN7rocprim17ROCPRIM_400000_NS6detail17trampoline_kernelINS0_14default_configENS1_25partition_config_selectorILNS1_17partition_subalgoE9EllbEEZZNS1_14partition_implILS5_9ELb0ES3_jPlS8_PNS0_10empty_typeENS0_5tupleIJS8_S9_EEENSB_IJS8_SA_EEENS0_18inequality_wrapperIZN2at6native12_GLOBAL__N_124unique_dim_cuda_templateIlEESt5tupleIJNSF_6TensorESK_SK_EERKSK_lbbbEUlllE0_EEPmJS9_EEE10hipError_tPvRmT3_T4_T5_T6_T7_T9_mT8_P12ihipStream_tbDpT10_ENKUlT_T0_E_clISt17integral_constantIbLb1EES1A_EEDaS15_S16_EUlS15_E_NS1_11comp_targetILNS1_3genE10ELNS1_11target_archE1200ELNS1_3gpuE4ELNS1_3repE0EEENS1_30default_config_static_selectorELNS0_4arch9wavefront6targetE1EEEvT1_ ; -- Begin function _ZN7rocprim17ROCPRIM_400000_NS6detail17trampoline_kernelINS0_14default_configENS1_25partition_config_selectorILNS1_17partition_subalgoE9EllbEEZZNS1_14partition_implILS5_9ELb0ES3_jPlS8_PNS0_10empty_typeENS0_5tupleIJS8_S9_EEENSB_IJS8_SA_EEENS0_18inequality_wrapperIZN2at6native12_GLOBAL__N_124unique_dim_cuda_templateIlEESt5tupleIJNSF_6TensorESK_SK_EERKSK_lbbbEUlllE0_EEPmJS9_EEE10hipError_tPvRmT3_T4_T5_T6_T7_T9_mT8_P12ihipStream_tbDpT10_ENKUlT_T0_E_clISt17integral_constantIbLb1EES1A_EEDaS15_S16_EUlS15_E_NS1_11comp_targetILNS1_3genE10ELNS1_11target_archE1200ELNS1_3gpuE4ELNS1_3repE0EEENS1_30default_config_static_selectorELNS0_4arch9wavefront6targetE1EEEvT1_
	.p2align	8
	.type	_ZN7rocprim17ROCPRIM_400000_NS6detail17trampoline_kernelINS0_14default_configENS1_25partition_config_selectorILNS1_17partition_subalgoE9EllbEEZZNS1_14partition_implILS5_9ELb0ES3_jPlS8_PNS0_10empty_typeENS0_5tupleIJS8_S9_EEENSB_IJS8_SA_EEENS0_18inequality_wrapperIZN2at6native12_GLOBAL__N_124unique_dim_cuda_templateIlEESt5tupleIJNSF_6TensorESK_SK_EERKSK_lbbbEUlllE0_EEPmJS9_EEE10hipError_tPvRmT3_T4_T5_T6_T7_T9_mT8_P12ihipStream_tbDpT10_ENKUlT_T0_E_clISt17integral_constantIbLb1EES1A_EEDaS15_S16_EUlS15_E_NS1_11comp_targetILNS1_3genE10ELNS1_11target_archE1200ELNS1_3gpuE4ELNS1_3repE0EEENS1_30default_config_static_selectorELNS0_4arch9wavefront6targetE1EEEvT1_,@function
_ZN7rocprim17ROCPRIM_400000_NS6detail17trampoline_kernelINS0_14default_configENS1_25partition_config_selectorILNS1_17partition_subalgoE9EllbEEZZNS1_14partition_implILS5_9ELb0ES3_jPlS8_PNS0_10empty_typeENS0_5tupleIJS8_S9_EEENSB_IJS8_SA_EEENS0_18inequality_wrapperIZN2at6native12_GLOBAL__N_124unique_dim_cuda_templateIlEESt5tupleIJNSF_6TensorESK_SK_EERKSK_lbbbEUlllE0_EEPmJS9_EEE10hipError_tPvRmT3_T4_T5_T6_T7_T9_mT8_P12ihipStream_tbDpT10_ENKUlT_T0_E_clISt17integral_constantIbLb1EES1A_EEDaS15_S16_EUlS15_E_NS1_11comp_targetILNS1_3genE10ELNS1_11target_archE1200ELNS1_3gpuE4ELNS1_3repE0EEENS1_30default_config_static_selectorELNS0_4arch9wavefront6targetE1EEEvT1_: ; @_ZN7rocprim17ROCPRIM_400000_NS6detail17trampoline_kernelINS0_14default_configENS1_25partition_config_selectorILNS1_17partition_subalgoE9EllbEEZZNS1_14partition_implILS5_9ELb0ES3_jPlS8_PNS0_10empty_typeENS0_5tupleIJS8_S9_EEENSB_IJS8_SA_EEENS0_18inequality_wrapperIZN2at6native12_GLOBAL__N_124unique_dim_cuda_templateIlEESt5tupleIJNSF_6TensorESK_SK_EERKSK_lbbbEUlllE0_EEPmJS9_EEE10hipError_tPvRmT3_T4_T5_T6_T7_T9_mT8_P12ihipStream_tbDpT10_ENKUlT_T0_E_clISt17integral_constantIbLb1EES1A_EEDaS15_S16_EUlS15_E_NS1_11comp_targetILNS1_3genE10ELNS1_11target_archE1200ELNS1_3gpuE4ELNS1_3repE0EEENS1_30default_config_static_selectorELNS0_4arch9wavefront6targetE1EEEvT1_
; %bb.0:
	.section	.rodata,"a",@progbits
	.p2align	6, 0x0
	.amdhsa_kernel _ZN7rocprim17ROCPRIM_400000_NS6detail17trampoline_kernelINS0_14default_configENS1_25partition_config_selectorILNS1_17partition_subalgoE9EllbEEZZNS1_14partition_implILS5_9ELb0ES3_jPlS8_PNS0_10empty_typeENS0_5tupleIJS8_S9_EEENSB_IJS8_SA_EEENS0_18inequality_wrapperIZN2at6native12_GLOBAL__N_124unique_dim_cuda_templateIlEESt5tupleIJNSF_6TensorESK_SK_EERKSK_lbbbEUlllE0_EEPmJS9_EEE10hipError_tPvRmT3_T4_T5_T6_T7_T9_mT8_P12ihipStream_tbDpT10_ENKUlT_T0_E_clISt17integral_constantIbLb1EES1A_EEDaS15_S16_EUlS15_E_NS1_11comp_targetILNS1_3genE10ELNS1_11target_archE1200ELNS1_3gpuE4ELNS1_3repE0EEENS1_30default_config_static_selectorELNS0_4arch9wavefront6targetE1EEEvT1_
		.amdhsa_group_segment_fixed_size 0
		.amdhsa_private_segment_fixed_size 0
		.amdhsa_kernarg_size 136
		.amdhsa_user_sgpr_count 2
		.amdhsa_user_sgpr_dispatch_ptr 0
		.amdhsa_user_sgpr_queue_ptr 0
		.amdhsa_user_sgpr_kernarg_segment_ptr 1
		.amdhsa_user_sgpr_dispatch_id 0
		.amdhsa_user_sgpr_kernarg_preload_length 0
		.amdhsa_user_sgpr_kernarg_preload_offset 0
		.amdhsa_user_sgpr_private_segment_size 0
		.amdhsa_uses_dynamic_stack 0
		.amdhsa_enable_private_segment 0
		.amdhsa_system_sgpr_workgroup_id_x 1
		.amdhsa_system_sgpr_workgroup_id_y 0
		.amdhsa_system_sgpr_workgroup_id_z 0
		.amdhsa_system_sgpr_workgroup_info 0
		.amdhsa_system_vgpr_workitem_id 0
		.amdhsa_next_free_vgpr 1
		.amdhsa_next_free_sgpr 0
		.amdhsa_accum_offset 4
		.amdhsa_reserve_vcc 0
		.amdhsa_float_round_mode_32 0
		.amdhsa_float_round_mode_16_64 0
		.amdhsa_float_denorm_mode_32 3
		.amdhsa_float_denorm_mode_16_64 3
		.amdhsa_dx10_clamp 1
		.amdhsa_ieee_mode 1
		.amdhsa_fp16_overflow 0
		.amdhsa_tg_split 0
		.amdhsa_exception_fp_ieee_invalid_op 0
		.amdhsa_exception_fp_denorm_src 0
		.amdhsa_exception_fp_ieee_div_zero 0
		.amdhsa_exception_fp_ieee_overflow 0
		.amdhsa_exception_fp_ieee_underflow 0
		.amdhsa_exception_fp_ieee_inexact 0
		.amdhsa_exception_int_div_zero 0
	.end_amdhsa_kernel
	.section	.text._ZN7rocprim17ROCPRIM_400000_NS6detail17trampoline_kernelINS0_14default_configENS1_25partition_config_selectorILNS1_17partition_subalgoE9EllbEEZZNS1_14partition_implILS5_9ELb0ES3_jPlS8_PNS0_10empty_typeENS0_5tupleIJS8_S9_EEENSB_IJS8_SA_EEENS0_18inequality_wrapperIZN2at6native12_GLOBAL__N_124unique_dim_cuda_templateIlEESt5tupleIJNSF_6TensorESK_SK_EERKSK_lbbbEUlllE0_EEPmJS9_EEE10hipError_tPvRmT3_T4_T5_T6_T7_T9_mT8_P12ihipStream_tbDpT10_ENKUlT_T0_E_clISt17integral_constantIbLb1EES1A_EEDaS15_S16_EUlS15_E_NS1_11comp_targetILNS1_3genE10ELNS1_11target_archE1200ELNS1_3gpuE4ELNS1_3repE0EEENS1_30default_config_static_selectorELNS0_4arch9wavefront6targetE1EEEvT1_,"axG",@progbits,_ZN7rocprim17ROCPRIM_400000_NS6detail17trampoline_kernelINS0_14default_configENS1_25partition_config_selectorILNS1_17partition_subalgoE9EllbEEZZNS1_14partition_implILS5_9ELb0ES3_jPlS8_PNS0_10empty_typeENS0_5tupleIJS8_S9_EEENSB_IJS8_SA_EEENS0_18inequality_wrapperIZN2at6native12_GLOBAL__N_124unique_dim_cuda_templateIlEESt5tupleIJNSF_6TensorESK_SK_EERKSK_lbbbEUlllE0_EEPmJS9_EEE10hipError_tPvRmT3_T4_T5_T6_T7_T9_mT8_P12ihipStream_tbDpT10_ENKUlT_T0_E_clISt17integral_constantIbLb1EES1A_EEDaS15_S16_EUlS15_E_NS1_11comp_targetILNS1_3genE10ELNS1_11target_archE1200ELNS1_3gpuE4ELNS1_3repE0EEENS1_30default_config_static_selectorELNS0_4arch9wavefront6targetE1EEEvT1_,comdat
.Lfunc_end612:
	.size	_ZN7rocprim17ROCPRIM_400000_NS6detail17trampoline_kernelINS0_14default_configENS1_25partition_config_selectorILNS1_17partition_subalgoE9EllbEEZZNS1_14partition_implILS5_9ELb0ES3_jPlS8_PNS0_10empty_typeENS0_5tupleIJS8_S9_EEENSB_IJS8_SA_EEENS0_18inequality_wrapperIZN2at6native12_GLOBAL__N_124unique_dim_cuda_templateIlEESt5tupleIJNSF_6TensorESK_SK_EERKSK_lbbbEUlllE0_EEPmJS9_EEE10hipError_tPvRmT3_T4_T5_T6_T7_T9_mT8_P12ihipStream_tbDpT10_ENKUlT_T0_E_clISt17integral_constantIbLb1EES1A_EEDaS15_S16_EUlS15_E_NS1_11comp_targetILNS1_3genE10ELNS1_11target_archE1200ELNS1_3gpuE4ELNS1_3repE0EEENS1_30default_config_static_selectorELNS0_4arch9wavefront6targetE1EEEvT1_, .Lfunc_end612-_ZN7rocprim17ROCPRIM_400000_NS6detail17trampoline_kernelINS0_14default_configENS1_25partition_config_selectorILNS1_17partition_subalgoE9EllbEEZZNS1_14partition_implILS5_9ELb0ES3_jPlS8_PNS0_10empty_typeENS0_5tupleIJS8_S9_EEENSB_IJS8_SA_EEENS0_18inequality_wrapperIZN2at6native12_GLOBAL__N_124unique_dim_cuda_templateIlEESt5tupleIJNSF_6TensorESK_SK_EERKSK_lbbbEUlllE0_EEPmJS9_EEE10hipError_tPvRmT3_T4_T5_T6_T7_T9_mT8_P12ihipStream_tbDpT10_ENKUlT_T0_E_clISt17integral_constantIbLb1EES1A_EEDaS15_S16_EUlS15_E_NS1_11comp_targetILNS1_3genE10ELNS1_11target_archE1200ELNS1_3gpuE4ELNS1_3repE0EEENS1_30default_config_static_selectorELNS0_4arch9wavefront6targetE1EEEvT1_
                                        ; -- End function
	.section	.AMDGPU.csdata,"",@progbits
; Kernel info:
; codeLenInByte = 0
; NumSgprs: 6
; NumVgprs: 0
; NumAgprs: 0
; TotalNumVgprs: 0
; ScratchSize: 0
; MemoryBound: 0
; FloatMode: 240
; IeeeMode: 1
; LDSByteSize: 0 bytes/workgroup (compile time only)
; SGPRBlocks: 0
; VGPRBlocks: 0
; NumSGPRsForWavesPerEU: 6
; NumVGPRsForWavesPerEU: 1
; AccumOffset: 4
; Occupancy: 8
; WaveLimiterHint : 0
; COMPUTE_PGM_RSRC2:SCRATCH_EN: 0
; COMPUTE_PGM_RSRC2:USER_SGPR: 2
; COMPUTE_PGM_RSRC2:TRAP_HANDLER: 0
; COMPUTE_PGM_RSRC2:TGID_X_EN: 1
; COMPUTE_PGM_RSRC2:TGID_Y_EN: 0
; COMPUTE_PGM_RSRC2:TGID_Z_EN: 0
; COMPUTE_PGM_RSRC2:TIDIG_COMP_CNT: 0
; COMPUTE_PGM_RSRC3_GFX90A:ACCUM_OFFSET: 0
; COMPUTE_PGM_RSRC3_GFX90A:TG_SPLIT: 0
	.section	.text._ZN7rocprim17ROCPRIM_400000_NS6detail17trampoline_kernelINS0_14default_configENS1_25partition_config_selectorILNS1_17partition_subalgoE9EllbEEZZNS1_14partition_implILS5_9ELb0ES3_jPlS8_PNS0_10empty_typeENS0_5tupleIJS8_S9_EEENSB_IJS8_SA_EEENS0_18inequality_wrapperIZN2at6native12_GLOBAL__N_124unique_dim_cuda_templateIlEESt5tupleIJNSF_6TensorESK_SK_EERKSK_lbbbEUlllE0_EEPmJS9_EEE10hipError_tPvRmT3_T4_T5_T6_T7_T9_mT8_P12ihipStream_tbDpT10_ENKUlT_T0_E_clISt17integral_constantIbLb1EES1A_EEDaS15_S16_EUlS15_E_NS1_11comp_targetILNS1_3genE9ELNS1_11target_archE1100ELNS1_3gpuE3ELNS1_3repE0EEENS1_30default_config_static_selectorELNS0_4arch9wavefront6targetE1EEEvT1_,"axG",@progbits,_ZN7rocprim17ROCPRIM_400000_NS6detail17trampoline_kernelINS0_14default_configENS1_25partition_config_selectorILNS1_17partition_subalgoE9EllbEEZZNS1_14partition_implILS5_9ELb0ES3_jPlS8_PNS0_10empty_typeENS0_5tupleIJS8_S9_EEENSB_IJS8_SA_EEENS0_18inequality_wrapperIZN2at6native12_GLOBAL__N_124unique_dim_cuda_templateIlEESt5tupleIJNSF_6TensorESK_SK_EERKSK_lbbbEUlllE0_EEPmJS9_EEE10hipError_tPvRmT3_T4_T5_T6_T7_T9_mT8_P12ihipStream_tbDpT10_ENKUlT_T0_E_clISt17integral_constantIbLb1EES1A_EEDaS15_S16_EUlS15_E_NS1_11comp_targetILNS1_3genE9ELNS1_11target_archE1100ELNS1_3gpuE3ELNS1_3repE0EEENS1_30default_config_static_selectorELNS0_4arch9wavefront6targetE1EEEvT1_,comdat
	.globl	_ZN7rocprim17ROCPRIM_400000_NS6detail17trampoline_kernelINS0_14default_configENS1_25partition_config_selectorILNS1_17partition_subalgoE9EllbEEZZNS1_14partition_implILS5_9ELb0ES3_jPlS8_PNS0_10empty_typeENS0_5tupleIJS8_S9_EEENSB_IJS8_SA_EEENS0_18inequality_wrapperIZN2at6native12_GLOBAL__N_124unique_dim_cuda_templateIlEESt5tupleIJNSF_6TensorESK_SK_EERKSK_lbbbEUlllE0_EEPmJS9_EEE10hipError_tPvRmT3_T4_T5_T6_T7_T9_mT8_P12ihipStream_tbDpT10_ENKUlT_T0_E_clISt17integral_constantIbLb1EES1A_EEDaS15_S16_EUlS15_E_NS1_11comp_targetILNS1_3genE9ELNS1_11target_archE1100ELNS1_3gpuE3ELNS1_3repE0EEENS1_30default_config_static_selectorELNS0_4arch9wavefront6targetE1EEEvT1_ ; -- Begin function _ZN7rocprim17ROCPRIM_400000_NS6detail17trampoline_kernelINS0_14default_configENS1_25partition_config_selectorILNS1_17partition_subalgoE9EllbEEZZNS1_14partition_implILS5_9ELb0ES3_jPlS8_PNS0_10empty_typeENS0_5tupleIJS8_S9_EEENSB_IJS8_SA_EEENS0_18inequality_wrapperIZN2at6native12_GLOBAL__N_124unique_dim_cuda_templateIlEESt5tupleIJNSF_6TensorESK_SK_EERKSK_lbbbEUlllE0_EEPmJS9_EEE10hipError_tPvRmT3_T4_T5_T6_T7_T9_mT8_P12ihipStream_tbDpT10_ENKUlT_T0_E_clISt17integral_constantIbLb1EES1A_EEDaS15_S16_EUlS15_E_NS1_11comp_targetILNS1_3genE9ELNS1_11target_archE1100ELNS1_3gpuE3ELNS1_3repE0EEENS1_30default_config_static_selectorELNS0_4arch9wavefront6targetE1EEEvT1_
	.p2align	8
	.type	_ZN7rocprim17ROCPRIM_400000_NS6detail17trampoline_kernelINS0_14default_configENS1_25partition_config_selectorILNS1_17partition_subalgoE9EllbEEZZNS1_14partition_implILS5_9ELb0ES3_jPlS8_PNS0_10empty_typeENS0_5tupleIJS8_S9_EEENSB_IJS8_SA_EEENS0_18inequality_wrapperIZN2at6native12_GLOBAL__N_124unique_dim_cuda_templateIlEESt5tupleIJNSF_6TensorESK_SK_EERKSK_lbbbEUlllE0_EEPmJS9_EEE10hipError_tPvRmT3_T4_T5_T6_T7_T9_mT8_P12ihipStream_tbDpT10_ENKUlT_T0_E_clISt17integral_constantIbLb1EES1A_EEDaS15_S16_EUlS15_E_NS1_11comp_targetILNS1_3genE9ELNS1_11target_archE1100ELNS1_3gpuE3ELNS1_3repE0EEENS1_30default_config_static_selectorELNS0_4arch9wavefront6targetE1EEEvT1_,@function
_ZN7rocprim17ROCPRIM_400000_NS6detail17trampoline_kernelINS0_14default_configENS1_25partition_config_selectorILNS1_17partition_subalgoE9EllbEEZZNS1_14partition_implILS5_9ELb0ES3_jPlS8_PNS0_10empty_typeENS0_5tupleIJS8_S9_EEENSB_IJS8_SA_EEENS0_18inequality_wrapperIZN2at6native12_GLOBAL__N_124unique_dim_cuda_templateIlEESt5tupleIJNSF_6TensorESK_SK_EERKSK_lbbbEUlllE0_EEPmJS9_EEE10hipError_tPvRmT3_T4_T5_T6_T7_T9_mT8_P12ihipStream_tbDpT10_ENKUlT_T0_E_clISt17integral_constantIbLb1EES1A_EEDaS15_S16_EUlS15_E_NS1_11comp_targetILNS1_3genE9ELNS1_11target_archE1100ELNS1_3gpuE3ELNS1_3repE0EEENS1_30default_config_static_selectorELNS0_4arch9wavefront6targetE1EEEvT1_: ; @_ZN7rocprim17ROCPRIM_400000_NS6detail17trampoline_kernelINS0_14default_configENS1_25partition_config_selectorILNS1_17partition_subalgoE9EllbEEZZNS1_14partition_implILS5_9ELb0ES3_jPlS8_PNS0_10empty_typeENS0_5tupleIJS8_S9_EEENSB_IJS8_SA_EEENS0_18inequality_wrapperIZN2at6native12_GLOBAL__N_124unique_dim_cuda_templateIlEESt5tupleIJNSF_6TensorESK_SK_EERKSK_lbbbEUlllE0_EEPmJS9_EEE10hipError_tPvRmT3_T4_T5_T6_T7_T9_mT8_P12ihipStream_tbDpT10_ENKUlT_T0_E_clISt17integral_constantIbLb1EES1A_EEDaS15_S16_EUlS15_E_NS1_11comp_targetILNS1_3genE9ELNS1_11target_archE1100ELNS1_3gpuE3ELNS1_3repE0EEENS1_30default_config_static_selectorELNS0_4arch9wavefront6targetE1EEEvT1_
; %bb.0:
	.section	.rodata,"a",@progbits
	.p2align	6, 0x0
	.amdhsa_kernel _ZN7rocprim17ROCPRIM_400000_NS6detail17trampoline_kernelINS0_14default_configENS1_25partition_config_selectorILNS1_17partition_subalgoE9EllbEEZZNS1_14partition_implILS5_9ELb0ES3_jPlS8_PNS0_10empty_typeENS0_5tupleIJS8_S9_EEENSB_IJS8_SA_EEENS0_18inequality_wrapperIZN2at6native12_GLOBAL__N_124unique_dim_cuda_templateIlEESt5tupleIJNSF_6TensorESK_SK_EERKSK_lbbbEUlllE0_EEPmJS9_EEE10hipError_tPvRmT3_T4_T5_T6_T7_T9_mT8_P12ihipStream_tbDpT10_ENKUlT_T0_E_clISt17integral_constantIbLb1EES1A_EEDaS15_S16_EUlS15_E_NS1_11comp_targetILNS1_3genE9ELNS1_11target_archE1100ELNS1_3gpuE3ELNS1_3repE0EEENS1_30default_config_static_selectorELNS0_4arch9wavefront6targetE1EEEvT1_
		.amdhsa_group_segment_fixed_size 0
		.amdhsa_private_segment_fixed_size 0
		.amdhsa_kernarg_size 136
		.amdhsa_user_sgpr_count 2
		.amdhsa_user_sgpr_dispatch_ptr 0
		.amdhsa_user_sgpr_queue_ptr 0
		.amdhsa_user_sgpr_kernarg_segment_ptr 1
		.amdhsa_user_sgpr_dispatch_id 0
		.amdhsa_user_sgpr_kernarg_preload_length 0
		.amdhsa_user_sgpr_kernarg_preload_offset 0
		.amdhsa_user_sgpr_private_segment_size 0
		.amdhsa_uses_dynamic_stack 0
		.amdhsa_enable_private_segment 0
		.amdhsa_system_sgpr_workgroup_id_x 1
		.amdhsa_system_sgpr_workgroup_id_y 0
		.amdhsa_system_sgpr_workgroup_id_z 0
		.amdhsa_system_sgpr_workgroup_info 0
		.amdhsa_system_vgpr_workitem_id 0
		.amdhsa_next_free_vgpr 1
		.amdhsa_next_free_sgpr 0
		.amdhsa_accum_offset 4
		.amdhsa_reserve_vcc 0
		.amdhsa_float_round_mode_32 0
		.amdhsa_float_round_mode_16_64 0
		.amdhsa_float_denorm_mode_32 3
		.amdhsa_float_denorm_mode_16_64 3
		.amdhsa_dx10_clamp 1
		.amdhsa_ieee_mode 1
		.amdhsa_fp16_overflow 0
		.amdhsa_tg_split 0
		.amdhsa_exception_fp_ieee_invalid_op 0
		.amdhsa_exception_fp_denorm_src 0
		.amdhsa_exception_fp_ieee_div_zero 0
		.amdhsa_exception_fp_ieee_overflow 0
		.amdhsa_exception_fp_ieee_underflow 0
		.amdhsa_exception_fp_ieee_inexact 0
		.amdhsa_exception_int_div_zero 0
	.end_amdhsa_kernel
	.section	.text._ZN7rocprim17ROCPRIM_400000_NS6detail17trampoline_kernelINS0_14default_configENS1_25partition_config_selectorILNS1_17partition_subalgoE9EllbEEZZNS1_14partition_implILS5_9ELb0ES3_jPlS8_PNS0_10empty_typeENS0_5tupleIJS8_S9_EEENSB_IJS8_SA_EEENS0_18inequality_wrapperIZN2at6native12_GLOBAL__N_124unique_dim_cuda_templateIlEESt5tupleIJNSF_6TensorESK_SK_EERKSK_lbbbEUlllE0_EEPmJS9_EEE10hipError_tPvRmT3_T4_T5_T6_T7_T9_mT8_P12ihipStream_tbDpT10_ENKUlT_T0_E_clISt17integral_constantIbLb1EES1A_EEDaS15_S16_EUlS15_E_NS1_11comp_targetILNS1_3genE9ELNS1_11target_archE1100ELNS1_3gpuE3ELNS1_3repE0EEENS1_30default_config_static_selectorELNS0_4arch9wavefront6targetE1EEEvT1_,"axG",@progbits,_ZN7rocprim17ROCPRIM_400000_NS6detail17trampoline_kernelINS0_14default_configENS1_25partition_config_selectorILNS1_17partition_subalgoE9EllbEEZZNS1_14partition_implILS5_9ELb0ES3_jPlS8_PNS0_10empty_typeENS0_5tupleIJS8_S9_EEENSB_IJS8_SA_EEENS0_18inequality_wrapperIZN2at6native12_GLOBAL__N_124unique_dim_cuda_templateIlEESt5tupleIJNSF_6TensorESK_SK_EERKSK_lbbbEUlllE0_EEPmJS9_EEE10hipError_tPvRmT3_T4_T5_T6_T7_T9_mT8_P12ihipStream_tbDpT10_ENKUlT_T0_E_clISt17integral_constantIbLb1EES1A_EEDaS15_S16_EUlS15_E_NS1_11comp_targetILNS1_3genE9ELNS1_11target_archE1100ELNS1_3gpuE3ELNS1_3repE0EEENS1_30default_config_static_selectorELNS0_4arch9wavefront6targetE1EEEvT1_,comdat
.Lfunc_end613:
	.size	_ZN7rocprim17ROCPRIM_400000_NS6detail17trampoline_kernelINS0_14default_configENS1_25partition_config_selectorILNS1_17partition_subalgoE9EllbEEZZNS1_14partition_implILS5_9ELb0ES3_jPlS8_PNS0_10empty_typeENS0_5tupleIJS8_S9_EEENSB_IJS8_SA_EEENS0_18inequality_wrapperIZN2at6native12_GLOBAL__N_124unique_dim_cuda_templateIlEESt5tupleIJNSF_6TensorESK_SK_EERKSK_lbbbEUlllE0_EEPmJS9_EEE10hipError_tPvRmT3_T4_T5_T6_T7_T9_mT8_P12ihipStream_tbDpT10_ENKUlT_T0_E_clISt17integral_constantIbLb1EES1A_EEDaS15_S16_EUlS15_E_NS1_11comp_targetILNS1_3genE9ELNS1_11target_archE1100ELNS1_3gpuE3ELNS1_3repE0EEENS1_30default_config_static_selectorELNS0_4arch9wavefront6targetE1EEEvT1_, .Lfunc_end613-_ZN7rocprim17ROCPRIM_400000_NS6detail17trampoline_kernelINS0_14default_configENS1_25partition_config_selectorILNS1_17partition_subalgoE9EllbEEZZNS1_14partition_implILS5_9ELb0ES3_jPlS8_PNS0_10empty_typeENS0_5tupleIJS8_S9_EEENSB_IJS8_SA_EEENS0_18inequality_wrapperIZN2at6native12_GLOBAL__N_124unique_dim_cuda_templateIlEESt5tupleIJNSF_6TensorESK_SK_EERKSK_lbbbEUlllE0_EEPmJS9_EEE10hipError_tPvRmT3_T4_T5_T6_T7_T9_mT8_P12ihipStream_tbDpT10_ENKUlT_T0_E_clISt17integral_constantIbLb1EES1A_EEDaS15_S16_EUlS15_E_NS1_11comp_targetILNS1_3genE9ELNS1_11target_archE1100ELNS1_3gpuE3ELNS1_3repE0EEENS1_30default_config_static_selectorELNS0_4arch9wavefront6targetE1EEEvT1_
                                        ; -- End function
	.section	.AMDGPU.csdata,"",@progbits
; Kernel info:
; codeLenInByte = 0
; NumSgprs: 6
; NumVgprs: 0
; NumAgprs: 0
; TotalNumVgprs: 0
; ScratchSize: 0
; MemoryBound: 0
; FloatMode: 240
; IeeeMode: 1
; LDSByteSize: 0 bytes/workgroup (compile time only)
; SGPRBlocks: 0
; VGPRBlocks: 0
; NumSGPRsForWavesPerEU: 6
; NumVGPRsForWavesPerEU: 1
; AccumOffset: 4
; Occupancy: 8
; WaveLimiterHint : 0
; COMPUTE_PGM_RSRC2:SCRATCH_EN: 0
; COMPUTE_PGM_RSRC2:USER_SGPR: 2
; COMPUTE_PGM_RSRC2:TRAP_HANDLER: 0
; COMPUTE_PGM_RSRC2:TGID_X_EN: 1
; COMPUTE_PGM_RSRC2:TGID_Y_EN: 0
; COMPUTE_PGM_RSRC2:TGID_Z_EN: 0
; COMPUTE_PGM_RSRC2:TIDIG_COMP_CNT: 0
; COMPUTE_PGM_RSRC3_GFX90A:ACCUM_OFFSET: 0
; COMPUTE_PGM_RSRC3_GFX90A:TG_SPLIT: 0
	.section	.text._ZN7rocprim17ROCPRIM_400000_NS6detail17trampoline_kernelINS0_14default_configENS1_25partition_config_selectorILNS1_17partition_subalgoE9EllbEEZZNS1_14partition_implILS5_9ELb0ES3_jPlS8_PNS0_10empty_typeENS0_5tupleIJS8_S9_EEENSB_IJS8_SA_EEENS0_18inequality_wrapperIZN2at6native12_GLOBAL__N_124unique_dim_cuda_templateIlEESt5tupleIJNSF_6TensorESK_SK_EERKSK_lbbbEUlllE0_EEPmJS9_EEE10hipError_tPvRmT3_T4_T5_T6_T7_T9_mT8_P12ihipStream_tbDpT10_ENKUlT_T0_E_clISt17integral_constantIbLb1EES1A_EEDaS15_S16_EUlS15_E_NS1_11comp_targetILNS1_3genE8ELNS1_11target_archE1030ELNS1_3gpuE2ELNS1_3repE0EEENS1_30default_config_static_selectorELNS0_4arch9wavefront6targetE1EEEvT1_,"axG",@progbits,_ZN7rocprim17ROCPRIM_400000_NS6detail17trampoline_kernelINS0_14default_configENS1_25partition_config_selectorILNS1_17partition_subalgoE9EllbEEZZNS1_14partition_implILS5_9ELb0ES3_jPlS8_PNS0_10empty_typeENS0_5tupleIJS8_S9_EEENSB_IJS8_SA_EEENS0_18inequality_wrapperIZN2at6native12_GLOBAL__N_124unique_dim_cuda_templateIlEESt5tupleIJNSF_6TensorESK_SK_EERKSK_lbbbEUlllE0_EEPmJS9_EEE10hipError_tPvRmT3_T4_T5_T6_T7_T9_mT8_P12ihipStream_tbDpT10_ENKUlT_T0_E_clISt17integral_constantIbLb1EES1A_EEDaS15_S16_EUlS15_E_NS1_11comp_targetILNS1_3genE8ELNS1_11target_archE1030ELNS1_3gpuE2ELNS1_3repE0EEENS1_30default_config_static_selectorELNS0_4arch9wavefront6targetE1EEEvT1_,comdat
	.globl	_ZN7rocprim17ROCPRIM_400000_NS6detail17trampoline_kernelINS0_14default_configENS1_25partition_config_selectorILNS1_17partition_subalgoE9EllbEEZZNS1_14partition_implILS5_9ELb0ES3_jPlS8_PNS0_10empty_typeENS0_5tupleIJS8_S9_EEENSB_IJS8_SA_EEENS0_18inequality_wrapperIZN2at6native12_GLOBAL__N_124unique_dim_cuda_templateIlEESt5tupleIJNSF_6TensorESK_SK_EERKSK_lbbbEUlllE0_EEPmJS9_EEE10hipError_tPvRmT3_T4_T5_T6_T7_T9_mT8_P12ihipStream_tbDpT10_ENKUlT_T0_E_clISt17integral_constantIbLb1EES1A_EEDaS15_S16_EUlS15_E_NS1_11comp_targetILNS1_3genE8ELNS1_11target_archE1030ELNS1_3gpuE2ELNS1_3repE0EEENS1_30default_config_static_selectorELNS0_4arch9wavefront6targetE1EEEvT1_ ; -- Begin function _ZN7rocprim17ROCPRIM_400000_NS6detail17trampoline_kernelINS0_14default_configENS1_25partition_config_selectorILNS1_17partition_subalgoE9EllbEEZZNS1_14partition_implILS5_9ELb0ES3_jPlS8_PNS0_10empty_typeENS0_5tupleIJS8_S9_EEENSB_IJS8_SA_EEENS0_18inequality_wrapperIZN2at6native12_GLOBAL__N_124unique_dim_cuda_templateIlEESt5tupleIJNSF_6TensorESK_SK_EERKSK_lbbbEUlllE0_EEPmJS9_EEE10hipError_tPvRmT3_T4_T5_T6_T7_T9_mT8_P12ihipStream_tbDpT10_ENKUlT_T0_E_clISt17integral_constantIbLb1EES1A_EEDaS15_S16_EUlS15_E_NS1_11comp_targetILNS1_3genE8ELNS1_11target_archE1030ELNS1_3gpuE2ELNS1_3repE0EEENS1_30default_config_static_selectorELNS0_4arch9wavefront6targetE1EEEvT1_
	.p2align	8
	.type	_ZN7rocprim17ROCPRIM_400000_NS6detail17trampoline_kernelINS0_14default_configENS1_25partition_config_selectorILNS1_17partition_subalgoE9EllbEEZZNS1_14partition_implILS5_9ELb0ES3_jPlS8_PNS0_10empty_typeENS0_5tupleIJS8_S9_EEENSB_IJS8_SA_EEENS0_18inequality_wrapperIZN2at6native12_GLOBAL__N_124unique_dim_cuda_templateIlEESt5tupleIJNSF_6TensorESK_SK_EERKSK_lbbbEUlllE0_EEPmJS9_EEE10hipError_tPvRmT3_T4_T5_T6_T7_T9_mT8_P12ihipStream_tbDpT10_ENKUlT_T0_E_clISt17integral_constantIbLb1EES1A_EEDaS15_S16_EUlS15_E_NS1_11comp_targetILNS1_3genE8ELNS1_11target_archE1030ELNS1_3gpuE2ELNS1_3repE0EEENS1_30default_config_static_selectorELNS0_4arch9wavefront6targetE1EEEvT1_,@function
_ZN7rocprim17ROCPRIM_400000_NS6detail17trampoline_kernelINS0_14default_configENS1_25partition_config_selectorILNS1_17partition_subalgoE9EllbEEZZNS1_14partition_implILS5_9ELb0ES3_jPlS8_PNS0_10empty_typeENS0_5tupleIJS8_S9_EEENSB_IJS8_SA_EEENS0_18inequality_wrapperIZN2at6native12_GLOBAL__N_124unique_dim_cuda_templateIlEESt5tupleIJNSF_6TensorESK_SK_EERKSK_lbbbEUlllE0_EEPmJS9_EEE10hipError_tPvRmT3_T4_T5_T6_T7_T9_mT8_P12ihipStream_tbDpT10_ENKUlT_T0_E_clISt17integral_constantIbLb1EES1A_EEDaS15_S16_EUlS15_E_NS1_11comp_targetILNS1_3genE8ELNS1_11target_archE1030ELNS1_3gpuE2ELNS1_3repE0EEENS1_30default_config_static_selectorELNS0_4arch9wavefront6targetE1EEEvT1_: ; @_ZN7rocprim17ROCPRIM_400000_NS6detail17trampoline_kernelINS0_14default_configENS1_25partition_config_selectorILNS1_17partition_subalgoE9EllbEEZZNS1_14partition_implILS5_9ELb0ES3_jPlS8_PNS0_10empty_typeENS0_5tupleIJS8_S9_EEENSB_IJS8_SA_EEENS0_18inequality_wrapperIZN2at6native12_GLOBAL__N_124unique_dim_cuda_templateIlEESt5tupleIJNSF_6TensorESK_SK_EERKSK_lbbbEUlllE0_EEPmJS9_EEE10hipError_tPvRmT3_T4_T5_T6_T7_T9_mT8_P12ihipStream_tbDpT10_ENKUlT_T0_E_clISt17integral_constantIbLb1EES1A_EEDaS15_S16_EUlS15_E_NS1_11comp_targetILNS1_3genE8ELNS1_11target_archE1030ELNS1_3gpuE2ELNS1_3repE0EEENS1_30default_config_static_selectorELNS0_4arch9wavefront6targetE1EEEvT1_
; %bb.0:
	.section	.rodata,"a",@progbits
	.p2align	6, 0x0
	.amdhsa_kernel _ZN7rocprim17ROCPRIM_400000_NS6detail17trampoline_kernelINS0_14default_configENS1_25partition_config_selectorILNS1_17partition_subalgoE9EllbEEZZNS1_14partition_implILS5_9ELb0ES3_jPlS8_PNS0_10empty_typeENS0_5tupleIJS8_S9_EEENSB_IJS8_SA_EEENS0_18inequality_wrapperIZN2at6native12_GLOBAL__N_124unique_dim_cuda_templateIlEESt5tupleIJNSF_6TensorESK_SK_EERKSK_lbbbEUlllE0_EEPmJS9_EEE10hipError_tPvRmT3_T4_T5_T6_T7_T9_mT8_P12ihipStream_tbDpT10_ENKUlT_T0_E_clISt17integral_constantIbLb1EES1A_EEDaS15_S16_EUlS15_E_NS1_11comp_targetILNS1_3genE8ELNS1_11target_archE1030ELNS1_3gpuE2ELNS1_3repE0EEENS1_30default_config_static_selectorELNS0_4arch9wavefront6targetE1EEEvT1_
		.amdhsa_group_segment_fixed_size 0
		.amdhsa_private_segment_fixed_size 0
		.amdhsa_kernarg_size 136
		.amdhsa_user_sgpr_count 2
		.amdhsa_user_sgpr_dispatch_ptr 0
		.amdhsa_user_sgpr_queue_ptr 0
		.amdhsa_user_sgpr_kernarg_segment_ptr 1
		.amdhsa_user_sgpr_dispatch_id 0
		.amdhsa_user_sgpr_kernarg_preload_length 0
		.amdhsa_user_sgpr_kernarg_preload_offset 0
		.amdhsa_user_sgpr_private_segment_size 0
		.amdhsa_uses_dynamic_stack 0
		.amdhsa_enable_private_segment 0
		.amdhsa_system_sgpr_workgroup_id_x 1
		.amdhsa_system_sgpr_workgroup_id_y 0
		.amdhsa_system_sgpr_workgroup_id_z 0
		.amdhsa_system_sgpr_workgroup_info 0
		.amdhsa_system_vgpr_workitem_id 0
		.amdhsa_next_free_vgpr 1
		.amdhsa_next_free_sgpr 0
		.amdhsa_accum_offset 4
		.amdhsa_reserve_vcc 0
		.amdhsa_float_round_mode_32 0
		.amdhsa_float_round_mode_16_64 0
		.amdhsa_float_denorm_mode_32 3
		.amdhsa_float_denorm_mode_16_64 3
		.amdhsa_dx10_clamp 1
		.amdhsa_ieee_mode 1
		.amdhsa_fp16_overflow 0
		.amdhsa_tg_split 0
		.amdhsa_exception_fp_ieee_invalid_op 0
		.amdhsa_exception_fp_denorm_src 0
		.amdhsa_exception_fp_ieee_div_zero 0
		.amdhsa_exception_fp_ieee_overflow 0
		.amdhsa_exception_fp_ieee_underflow 0
		.amdhsa_exception_fp_ieee_inexact 0
		.amdhsa_exception_int_div_zero 0
	.end_amdhsa_kernel
	.section	.text._ZN7rocprim17ROCPRIM_400000_NS6detail17trampoline_kernelINS0_14default_configENS1_25partition_config_selectorILNS1_17partition_subalgoE9EllbEEZZNS1_14partition_implILS5_9ELb0ES3_jPlS8_PNS0_10empty_typeENS0_5tupleIJS8_S9_EEENSB_IJS8_SA_EEENS0_18inequality_wrapperIZN2at6native12_GLOBAL__N_124unique_dim_cuda_templateIlEESt5tupleIJNSF_6TensorESK_SK_EERKSK_lbbbEUlllE0_EEPmJS9_EEE10hipError_tPvRmT3_T4_T5_T6_T7_T9_mT8_P12ihipStream_tbDpT10_ENKUlT_T0_E_clISt17integral_constantIbLb1EES1A_EEDaS15_S16_EUlS15_E_NS1_11comp_targetILNS1_3genE8ELNS1_11target_archE1030ELNS1_3gpuE2ELNS1_3repE0EEENS1_30default_config_static_selectorELNS0_4arch9wavefront6targetE1EEEvT1_,"axG",@progbits,_ZN7rocprim17ROCPRIM_400000_NS6detail17trampoline_kernelINS0_14default_configENS1_25partition_config_selectorILNS1_17partition_subalgoE9EllbEEZZNS1_14partition_implILS5_9ELb0ES3_jPlS8_PNS0_10empty_typeENS0_5tupleIJS8_S9_EEENSB_IJS8_SA_EEENS0_18inequality_wrapperIZN2at6native12_GLOBAL__N_124unique_dim_cuda_templateIlEESt5tupleIJNSF_6TensorESK_SK_EERKSK_lbbbEUlllE0_EEPmJS9_EEE10hipError_tPvRmT3_T4_T5_T6_T7_T9_mT8_P12ihipStream_tbDpT10_ENKUlT_T0_E_clISt17integral_constantIbLb1EES1A_EEDaS15_S16_EUlS15_E_NS1_11comp_targetILNS1_3genE8ELNS1_11target_archE1030ELNS1_3gpuE2ELNS1_3repE0EEENS1_30default_config_static_selectorELNS0_4arch9wavefront6targetE1EEEvT1_,comdat
.Lfunc_end614:
	.size	_ZN7rocprim17ROCPRIM_400000_NS6detail17trampoline_kernelINS0_14default_configENS1_25partition_config_selectorILNS1_17partition_subalgoE9EllbEEZZNS1_14partition_implILS5_9ELb0ES3_jPlS8_PNS0_10empty_typeENS0_5tupleIJS8_S9_EEENSB_IJS8_SA_EEENS0_18inequality_wrapperIZN2at6native12_GLOBAL__N_124unique_dim_cuda_templateIlEESt5tupleIJNSF_6TensorESK_SK_EERKSK_lbbbEUlllE0_EEPmJS9_EEE10hipError_tPvRmT3_T4_T5_T6_T7_T9_mT8_P12ihipStream_tbDpT10_ENKUlT_T0_E_clISt17integral_constantIbLb1EES1A_EEDaS15_S16_EUlS15_E_NS1_11comp_targetILNS1_3genE8ELNS1_11target_archE1030ELNS1_3gpuE2ELNS1_3repE0EEENS1_30default_config_static_selectorELNS0_4arch9wavefront6targetE1EEEvT1_, .Lfunc_end614-_ZN7rocprim17ROCPRIM_400000_NS6detail17trampoline_kernelINS0_14default_configENS1_25partition_config_selectorILNS1_17partition_subalgoE9EllbEEZZNS1_14partition_implILS5_9ELb0ES3_jPlS8_PNS0_10empty_typeENS0_5tupleIJS8_S9_EEENSB_IJS8_SA_EEENS0_18inequality_wrapperIZN2at6native12_GLOBAL__N_124unique_dim_cuda_templateIlEESt5tupleIJNSF_6TensorESK_SK_EERKSK_lbbbEUlllE0_EEPmJS9_EEE10hipError_tPvRmT3_T4_T5_T6_T7_T9_mT8_P12ihipStream_tbDpT10_ENKUlT_T0_E_clISt17integral_constantIbLb1EES1A_EEDaS15_S16_EUlS15_E_NS1_11comp_targetILNS1_3genE8ELNS1_11target_archE1030ELNS1_3gpuE2ELNS1_3repE0EEENS1_30default_config_static_selectorELNS0_4arch9wavefront6targetE1EEEvT1_
                                        ; -- End function
	.section	.AMDGPU.csdata,"",@progbits
; Kernel info:
; codeLenInByte = 0
; NumSgprs: 6
; NumVgprs: 0
; NumAgprs: 0
; TotalNumVgprs: 0
; ScratchSize: 0
; MemoryBound: 0
; FloatMode: 240
; IeeeMode: 1
; LDSByteSize: 0 bytes/workgroup (compile time only)
; SGPRBlocks: 0
; VGPRBlocks: 0
; NumSGPRsForWavesPerEU: 6
; NumVGPRsForWavesPerEU: 1
; AccumOffset: 4
; Occupancy: 8
; WaveLimiterHint : 0
; COMPUTE_PGM_RSRC2:SCRATCH_EN: 0
; COMPUTE_PGM_RSRC2:USER_SGPR: 2
; COMPUTE_PGM_RSRC2:TRAP_HANDLER: 0
; COMPUTE_PGM_RSRC2:TGID_X_EN: 1
; COMPUTE_PGM_RSRC2:TGID_Y_EN: 0
; COMPUTE_PGM_RSRC2:TGID_Z_EN: 0
; COMPUTE_PGM_RSRC2:TIDIG_COMP_CNT: 0
; COMPUTE_PGM_RSRC3_GFX90A:ACCUM_OFFSET: 0
; COMPUTE_PGM_RSRC3_GFX90A:TG_SPLIT: 0
	.section	.text._ZN7rocprim17ROCPRIM_400000_NS6detail17trampoline_kernelINS0_14default_configENS1_25partition_config_selectorILNS1_17partition_subalgoE9EllbEEZZNS1_14partition_implILS5_9ELb0ES3_jPlS8_PNS0_10empty_typeENS0_5tupleIJS8_S9_EEENSB_IJS8_SA_EEENS0_18inequality_wrapperIZN2at6native12_GLOBAL__N_124unique_dim_cuda_templateIlEESt5tupleIJNSF_6TensorESK_SK_EERKSK_lbbbEUlllE0_EEPmJS9_EEE10hipError_tPvRmT3_T4_T5_T6_T7_T9_mT8_P12ihipStream_tbDpT10_ENKUlT_T0_E_clISt17integral_constantIbLb1EES19_IbLb0EEEEDaS15_S16_EUlS15_E_NS1_11comp_targetILNS1_3genE0ELNS1_11target_archE4294967295ELNS1_3gpuE0ELNS1_3repE0EEENS1_30default_config_static_selectorELNS0_4arch9wavefront6targetE1EEEvT1_,"axG",@progbits,_ZN7rocprim17ROCPRIM_400000_NS6detail17trampoline_kernelINS0_14default_configENS1_25partition_config_selectorILNS1_17partition_subalgoE9EllbEEZZNS1_14partition_implILS5_9ELb0ES3_jPlS8_PNS0_10empty_typeENS0_5tupleIJS8_S9_EEENSB_IJS8_SA_EEENS0_18inequality_wrapperIZN2at6native12_GLOBAL__N_124unique_dim_cuda_templateIlEESt5tupleIJNSF_6TensorESK_SK_EERKSK_lbbbEUlllE0_EEPmJS9_EEE10hipError_tPvRmT3_T4_T5_T6_T7_T9_mT8_P12ihipStream_tbDpT10_ENKUlT_T0_E_clISt17integral_constantIbLb1EES19_IbLb0EEEEDaS15_S16_EUlS15_E_NS1_11comp_targetILNS1_3genE0ELNS1_11target_archE4294967295ELNS1_3gpuE0ELNS1_3repE0EEENS1_30default_config_static_selectorELNS0_4arch9wavefront6targetE1EEEvT1_,comdat
	.globl	_ZN7rocprim17ROCPRIM_400000_NS6detail17trampoline_kernelINS0_14default_configENS1_25partition_config_selectorILNS1_17partition_subalgoE9EllbEEZZNS1_14partition_implILS5_9ELb0ES3_jPlS8_PNS0_10empty_typeENS0_5tupleIJS8_S9_EEENSB_IJS8_SA_EEENS0_18inequality_wrapperIZN2at6native12_GLOBAL__N_124unique_dim_cuda_templateIlEESt5tupleIJNSF_6TensorESK_SK_EERKSK_lbbbEUlllE0_EEPmJS9_EEE10hipError_tPvRmT3_T4_T5_T6_T7_T9_mT8_P12ihipStream_tbDpT10_ENKUlT_T0_E_clISt17integral_constantIbLb1EES19_IbLb0EEEEDaS15_S16_EUlS15_E_NS1_11comp_targetILNS1_3genE0ELNS1_11target_archE4294967295ELNS1_3gpuE0ELNS1_3repE0EEENS1_30default_config_static_selectorELNS0_4arch9wavefront6targetE1EEEvT1_ ; -- Begin function _ZN7rocprim17ROCPRIM_400000_NS6detail17trampoline_kernelINS0_14default_configENS1_25partition_config_selectorILNS1_17partition_subalgoE9EllbEEZZNS1_14partition_implILS5_9ELb0ES3_jPlS8_PNS0_10empty_typeENS0_5tupleIJS8_S9_EEENSB_IJS8_SA_EEENS0_18inequality_wrapperIZN2at6native12_GLOBAL__N_124unique_dim_cuda_templateIlEESt5tupleIJNSF_6TensorESK_SK_EERKSK_lbbbEUlllE0_EEPmJS9_EEE10hipError_tPvRmT3_T4_T5_T6_T7_T9_mT8_P12ihipStream_tbDpT10_ENKUlT_T0_E_clISt17integral_constantIbLb1EES19_IbLb0EEEEDaS15_S16_EUlS15_E_NS1_11comp_targetILNS1_3genE0ELNS1_11target_archE4294967295ELNS1_3gpuE0ELNS1_3repE0EEENS1_30default_config_static_selectorELNS0_4arch9wavefront6targetE1EEEvT1_
	.p2align	8
	.type	_ZN7rocprim17ROCPRIM_400000_NS6detail17trampoline_kernelINS0_14default_configENS1_25partition_config_selectorILNS1_17partition_subalgoE9EllbEEZZNS1_14partition_implILS5_9ELb0ES3_jPlS8_PNS0_10empty_typeENS0_5tupleIJS8_S9_EEENSB_IJS8_SA_EEENS0_18inequality_wrapperIZN2at6native12_GLOBAL__N_124unique_dim_cuda_templateIlEESt5tupleIJNSF_6TensorESK_SK_EERKSK_lbbbEUlllE0_EEPmJS9_EEE10hipError_tPvRmT3_T4_T5_T6_T7_T9_mT8_P12ihipStream_tbDpT10_ENKUlT_T0_E_clISt17integral_constantIbLb1EES19_IbLb0EEEEDaS15_S16_EUlS15_E_NS1_11comp_targetILNS1_3genE0ELNS1_11target_archE4294967295ELNS1_3gpuE0ELNS1_3repE0EEENS1_30default_config_static_selectorELNS0_4arch9wavefront6targetE1EEEvT1_,@function
_ZN7rocprim17ROCPRIM_400000_NS6detail17trampoline_kernelINS0_14default_configENS1_25partition_config_selectorILNS1_17partition_subalgoE9EllbEEZZNS1_14partition_implILS5_9ELb0ES3_jPlS8_PNS0_10empty_typeENS0_5tupleIJS8_S9_EEENSB_IJS8_SA_EEENS0_18inequality_wrapperIZN2at6native12_GLOBAL__N_124unique_dim_cuda_templateIlEESt5tupleIJNSF_6TensorESK_SK_EERKSK_lbbbEUlllE0_EEPmJS9_EEE10hipError_tPvRmT3_T4_T5_T6_T7_T9_mT8_P12ihipStream_tbDpT10_ENKUlT_T0_E_clISt17integral_constantIbLb1EES19_IbLb0EEEEDaS15_S16_EUlS15_E_NS1_11comp_targetILNS1_3genE0ELNS1_11target_archE4294967295ELNS1_3gpuE0ELNS1_3repE0EEENS1_30default_config_static_selectorELNS0_4arch9wavefront6targetE1EEEvT1_: ; @_ZN7rocprim17ROCPRIM_400000_NS6detail17trampoline_kernelINS0_14default_configENS1_25partition_config_selectorILNS1_17partition_subalgoE9EllbEEZZNS1_14partition_implILS5_9ELb0ES3_jPlS8_PNS0_10empty_typeENS0_5tupleIJS8_S9_EEENSB_IJS8_SA_EEENS0_18inequality_wrapperIZN2at6native12_GLOBAL__N_124unique_dim_cuda_templateIlEESt5tupleIJNSF_6TensorESK_SK_EERKSK_lbbbEUlllE0_EEPmJS9_EEE10hipError_tPvRmT3_T4_T5_T6_T7_T9_mT8_P12ihipStream_tbDpT10_ENKUlT_T0_E_clISt17integral_constantIbLb1EES19_IbLb0EEEEDaS15_S16_EUlS15_E_NS1_11comp_targetILNS1_3genE0ELNS1_11target_archE4294967295ELNS1_3gpuE0ELNS1_3repE0EEENS1_30default_config_static_selectorELNS0_4arch9wavefront6targetE1EEEvT1_
; %bb.0:
	.section	.rodata,"a",@progbits
	.p2align	6, 0x0
	.amdhsa_kernel _ZN7rocprim17ROCPRIM_400000_NS6detail17trampoline_kernelINS0_14default_configENS1_25partition_config_selectorILNS1_17partition_subalgoE9EllbEEZZNS1_14partition_implILS5_9ELb0ES3_jPlS8_PNS0_10empty_typeENS0_5tupleIJS8_S9_EEENSB_IJS8_SA_EEENS0_18inequality_wrapperIZN2at6native12_GLOBAL__N_124unique_dim_cuda_templateIlEESt5tupleIJNSF_6TensorESK_SK_EERKSK_lbbbEUlllE0_EEPmJS9_EEE10hipError_tPvRmT3_T4_T5_T6_T7_T9_mT8_P12ihipStream_tbDpT10_ENKUlT_T0_E_clISt17integral_constantIbLb1EES19_IbLb0EEEEDaS15_S16_EUlS15_E_NS1_11comp_targetILNS1_3genE0ELNS1_11target_archE4294967295ELNS1_3gpuE0ELNS1_3repE0EEENS1_30default_config_static_selectorELNS0_4arch9wavefront6targetE1EEEvT1_
		.amdhsa_group_segment_fixed_size 0
		.amdhsa_private_segment_fixed_size 0
		.amdhsa_kernarg_size 120
		.amdhsa_user_sgpr_count 2
		.amdhsa_user_sgpr_dispatch_ptr 0
		.amdhsa_user_sgpr_queue_ptr 0
		.amdhsa_user_sgpr_kernarg_segment_ptr 1
		.amdhsa_user_sgpr_dispatch_id 0
		.amdhsa_user_sgpr_kernarg_preload_length 0
		.amdhsa_user_sgpr_kernarg_preload_offset 0
		.amdhsa_user_sgpr_private_segment_size 0
		.amdhsa_uses_dynamic_stack 0
		.amdhsa_enable_private_segment 0
		.amdhsa_system_sgpr_workgroup_id_x 1
		.amdhsa_system_sgpr_workgroup_id_y 0
		.amdhsa_system_sgpr_workgroup_id_z 0
		.amdhsa_system_sgpr_workgroup_info 0
		.amdhsa_system_vgpr_workitem_id 0
		.amdhsa_next_free_vgpr 1
		.amdhsa_next_free_sgpr 0
		.amdhsa_accum_offset 4
		.amdhsa_reserve_vcc 0
		.amdhsa_float_round_mode_32 0
		.amdhsa_float_round_mode_16_64 0
		.amdhsa_float_denorm_mode_32 3
		.amdhsa_float_denorm_mode_16_64 3
		.amdhsa_dx10_clamp 1
		.amdhsa_ieee_mode 1
		.amdhsa_fp16_overflow 0
		.amdhsa_tg_split 0
		.amdhsa_exception_fp_ieee_invalid_op 0
		.amdhsa_exception_fp_denorm_src 0
		.amdhsa_exception_fp_ieee_div_zero 0
		.amdhsa_exception_fp_ieee_overflow 0
		.amdhsa_exception_fp_ieee_underflow 0
		.amdhsa_exception_fp_ieee_inexact 0
		.amdhsa_exception_int_div_zero 0
	.end_amdhsa_kernel
	.section	.text._ZN7rocprim17ROCPRIM_400000_NS6detail17trampoline_kernelINS0_14default_configENS1_25partition_config_selectorILNS1_17partition_subalgoE9EllbEEZZNS1_14partition_implILS5_9ELb0ES3_jPlS8_PNS0_10empty_typeENS0_5tupleIJS8_S9_EEENSB_IJS8_SA_EEENS0_18inequality_wrapperIZN2at6native12_GLOBAL__N_124unique_dim_cuda_templateIlEESt5tupleIJNSF_6TensorESK_SK_EERKSK_lbbbEUlllE0_EEPmJS9_EEE10hipError_tPvRmT3_T4_T5_T6_T7_T9_mT8_P12ihipStream_tbDpT10_ENKUlT_T0_E_clISt17integral_constantIbLb1EES19_IbLb0EEEEDaS15_S16_EUlS15_E_NS1_11comp_targetILNS1_3genE0ELNS1_11target_archE4294967295ELNS1_3gpuE0ELNS1_3repE0EEENS1_30default_config_static_selectorELNS0_4arch9wavefront6targetE1EEEvT1_,"axG",@progbits,_ZN7rocprim17ROCPRIM_400000_NS6detail17trampoline_kernelINS0_14default_configENS1_25partition_config_selectorILNS1_17partition_subalgoE9EllbEEZZNS1_14partition_implILS5_9ELb0ES3_jPlS8_PNS0_10empty_typeENS0_5tupleIJS8_S9_EEENSB_IJS8_SA_EEENS0_18inequality_wrapperIZN2at6native12_GLOBAL__N_124unique_dim_cuda_templateIlEESt5tupleIJNSF_6TensorESK_SK_EERKSK_lbbbEUlllE0_EEPmJS9_EEE10hipError_tPvRmT3_T4_T5_T6_T7_T9_mT8_P12ihipStream_tbDpT10_ENKUlT_T0_E_clISt17integral_constantIbLb1EES19_IbLb0EEEEDaS15_S16_EUlS15_E_NS1_11comp_targetILNS1_3genE0ELNS1_11target_archE4294967295ELNS1_3gpuE0ELNS1_3repE0EEENS1_30default_config_static_selectorELNS0_4arch9wavefront6targetE1EEEvT1_,comdat
.Lfunc_end615:
	.size	_ZN7rocprim17ROCPRIM_400000_NS6detail17trampoline_kernelINS0_14default_configENS1_25partition_config_selectorILNS1_17partition_subalgoE9EllbEEZZNS1_14partition_implILS5_9ELb0ES3_jPlS8_PNS0_10empty_typeENS0_5tupleIJS8_S9_EEENSB_IJS8_SA_EEENS0_18inequality_wrapperIZN2at6native12_GLOBAL__N_124unique_dim_cuda_templateIlEESt5tupleIJNSF_6TensorESK_SK_EERKSK_lbbbEUlllE0_EEPmJS9_EEE10hipError_tPvRmT3_T4_T5_T6_T7_T9_mT8_P12ihipStream_tbDpT10_ENKUlT_T0_E_clISt17integral_constantIbLb1EES19_IbLb0EEEEDaS15_S16_EUlS15_E_NS1_11comp_targetILNS1_3genE0ELNS1_11target_archE4294967295ELNS1_3gpuE0ELNS1_3repE0EEENS1_30default_config_static_selectorELNS0_4arch9wavefront6targetE1EEEvT1_, .Lfunc_end615-_ZN7rocprim17ROCPRIM_400000_NS6detail17trampoline_kernelINS0_14default_configENS1_25partition_config_selectorILNS1_17partition_subalgoE9EllbEEZZNS1_14partition_implILS5_9ELb0ES3_jPlS8_PNS0_10empty_typeENS0_5tupleIJS8_S9_EEENSB_IJS8_SA_EEENS0_18inequality_wrapperIZN2at6native12_GLOBAL__N_124unique_dim_cuda_templateIlEESt5tupleIJNSF_6TensorESK_SK_EERKSK_lbbbEUlllE0_EEPmJS9_EEE10hipError_tPvRmT3_T4_T5_T6_T7_T9_mT8_P12ihipStream_tbDpT10_ENKUlT_T0_E_clISt17integral_constantIbLb1EES19_IbLb0EEEEDaS15_S16_EUlS15_E_NS1_11comp_targetILNS1_3genE0ELNS1_11target_archE4294967295ELNS1_3gpuE0ELNS1_3repE0EEENS1_30default_config_static_selectorELNS0_4arch9wavefront6targetE1EEEvT1_
                                        ; -- End function
	.section	.AMDGPU.csdata,"",@progbits
; Kernel info:
; codeLenInByte = 0
; NumSgprs: 6
; NumVgprs: 0
; NumAgprs: 0
; TotalNumVgprs: 0
; ScratchSize: 0
; MemoryBound: 0
; FloatMode: 240
; IeeeMode: 1
; LDSByteSize: 0 bytes/workgroup (compile time only)
; SGPRBlocks: 0
; VGPRBlocks: 0
; NumSGPRsForWavesPerEU: 6
; NumVGPRsForWavesPerEU: 1
; AccumOffset: 4
; Occupancy: 8
; WaveLimiterHint : 0
; COMPUTE_PGM_RSRC2:SCRATCH_EN: 0
; COMPUTE_PGM_RSRC2:USER_SGPR: 2
; COMPUTE_PGM_RSRC2:TRAP_HANDLER: 0
; COMPUTE_PGM_RSRC2:TGID_X_EN: 1
; COMPUTE_PGM_RSRC2:TGID_Y_EN: 0
; COMPUTE_PGM_RSRC2:TGID_Z_EN: 0
; COMPUTE_PGM_RSRC2:TIDIG_COMP_CNT: 0
; COMPUTE_PGM_RSRC3_GFX90A:ACCUM_OFFSET: 0
; COMPUTE_PGM_RSRC3_GFX90A:TG_SPLIT: 0
	.section	.text._ZN7rocprim17ROCPRIM_400000_NS6detail17trampoline_kernelINS0_14default_configENS1_25partition_config_selectorILNS1_17partition_subalgoE9EllbEEZZNS1_14partition_implILS5_9ELb0ES3_jPlS8_PNS0_10empty_typeENS0_5tupleIJS8_S9_EEENSB_IJS8_SA_EEENS0_18inequality_wrapperIZN2at6native12_GLOBAL__N_124unique_dim_cuda_templateIlEESt5tupleIJNSF_6TensorESK_SK_EERKSK_lbbbEUlllE0_EEPmJS9_EEE10hipError_tPvRmT3_T4_T5_T6_T7_T9_mT8_P12ihipStream_tbDpT10_ENKUlT_T0_E_clISt17integral_constantIbLb1EES19_IbLb0EEEEDaS15_S16_EUlS15_E_NS1_11comp_targetILNS1_3genE5ELNS1_11target_archE942ELNS1_3gpuE9ELNS1_3repE0EEENS1_30default_config_static_selectorELNS0_4arch9wavefront6targetE1EEEvT1_,"axG",@progbits,_ZN7rocprim17ROCPRIM_400000_NS6detail17trampoline_kernelINS0_14default_configENS1_25partition_config_selectorILNS1_17partition_subalgoE9EllbEEZZNS1_14partition_implILS5_9ELb0ES3_jPlS8_PNS0_10empty_typeENS0_5tupleIJS8_S9_EEENSB_IJS8_SA_EEENS0_18inequality_wrapperIZN2at6native12_GLOBAL__N_124unique_dim_cuda_templateIlEESt5tupleIJNSF_6TensorESK_SK_EERKSK_lbbbEUlllE0_EEPmJS9_EEE10hipError_tPvRmT3_T4_T5_T6_T7_T9_mT8_P12ihipStream_tbDpT10_ENKUlT_T0_E_clISt17integral_constantIbLb1EES19_IbLb0EEEEDaS15_S16_EUlS15_E_NS1_11comp_targetILNS1_3genE5ELNS1_11target_archE942ELNS1_3gpuE9ELNS1_3repE0EEENS1_30default_config_static_selectorELNS0_4arch9wavefront6targetE1EEEvT1_,comdat
	.globl	_ZN7rocprim17ROCPRIM_400000_NS6detail17trampoline_kernelINS0_14default_configENS1_25partition_config_selectorILNS1_17partition_subalgoE9EllbEEZZNS1_14partition_implILS5_9ELb0ES3_jPlS8_PNS0_10empty_typeENS0_5tupleIJS8_S9_EEENSB_IJS8_SA_EEENS0_18inequality_wrapperIZN2at6native12_GLOBAL__N_124unique_dim_cuda_templateIlEESt5tupleIJNSF_6TensorESK_SK_EERKSK_lbbbEUlllE0_EEPmJS9_EEE10hipError_tPvRmT3_T4_T5_T6_T7_T9_mT8_P12ihipStream_tbDpT10_ENKUlT_T0_E_clISt17integral_constantIbLb1EES19_IbLb0EEEEDaS15_S16_EUlS15_E_NS1_11comp_targetILNS1_3genE5ELNS1_11target_archE942ELNS1_3gpuE9ELNS1_3repE0EEENS1_30default_config_static_selectorELNS0_4arch9wavefront6targetE1EEEvT1_ ; -- Begin function _ZN7rocprim17ROCPRIM_400000_NS6detail17trampoline_kernelINS0_14default_configENS1_25partition_config_selectorILNS1_17partition_subalgoE9EllbEEZZNS1_14partition_implILS5_9ELb0ES3_jPlS8_PNS0_10empty_typeENS0_5tupleIJS8_S9_EEENSB_IJS8_SA_EEENS0_18inequality_wrapperIZN2at6native12_GLOBAL__N_124unique_dim_cuda_templateIlEESt5tupleIJNSF_6TensorESK_SK_EERKSK_lbbbEUlllE0_EEPmJS9_EEE10hipError_tPvRmT3_T4_T5_T6_T7_T9_mT8_P12ihipStream_tbDpT10_ENKUlT_T0_E_clISt17integral_constantIbLb1EES19_IbLb0EEEEDaS15_S16_EUlS15_E_NS1_11comp_targetILNS1_3genE5ELNS1_11target_archE942ELNS1_3gpuE9ELNS1_3repE0EEENS1_30default_config_static_selectorELNS0_4arch9wavefront6targetE1EEEvT1_
	.p2align	8
	.type	_ZN7rocprim17ROCPRIM_400000_NS6detail17trampoline_kernelINS0_14default_configENS1_25partition_config_selectorILNS1_17partition_subalgoE9EllbEEZZNS1_14partition_implILS5_9ELb0ES3_jPlS8_PNS0_10empty_typeENS0_5tupleIJS8_S9_EEENSB_IJS8_SA_EEENS0_18inequality_wrapperIZN2at6native12_GLOBAL__N_124unique_dim_cuda_templateIlEESt5tupleIJNSF_6TensorESK_SK_EERKSK_lbbbEUlllE0_EEPmJS9_EEE10hipError_tPvRmT3_T4_T5_T6_T7_T9_mT8_P12ihipStream_tbDpT10_ENKUlT_T0_E_clISt17integral_constantIbLb1EES19_IbLb0EEEEDaS15_S16_EUlS15_E_NS1_11comp_targetILNS1_3genE5ELNS1_11target_archE942ELNS1_3gpuE9ELNS1_3repE0EEENS1_30default_config_static_selectorELNS0_4arch9wavefront6targetE1EEEvT1_,@function
_ZN7rocprim17ROCPRIM_400000_NS6detail17trampoline_kernelINS0_14default_configENS1_25partition_config_selectorILNS1_17partition_subalgoE9EllbEEZZNS1_14partition_implILS5_9ELb0ES3_jPlS8_PNS0_10empty_typeENS0_5tupleIJS8_S9_EEENSB_IJS8_SA_EEENS0_18inequality_wrapperIZN2at6native12_GLOBAL__N_124unique_dim_cuda_templateIlEESt5tupleIJNSF_6TensorESK_SK_EERKSK_lbbbEUlllE0_EEPmJS9_EEE10hipError_tPvRmT3_T4_T5_T6_T7_T9_mT8_P12ihipStream_tbDpT10_ENKUlT_T0_E_clISt17integral_constantIbLb1EES19_IbLb0EEEEDaS15_S16_EUlS15_E_NS1_11comp_targetILNS1_3genE5ELNS1_11target_archE942ELNS1_3gpuE9ELNS1_3repE0EEENS1_30default_config_static_selectorELNS0_4arch9wavefront6targetE1EEEvT1_: ; @_ZN7rocprim17ROCPRIM_400000_NS6detail17trampoline_kernelINS0_14default_configENS1_25partition_config_selectorILNS1_17partition_subalgoE9EllbEEZZNS1_14partition_implILS5_9ELb0ES3_jPlS8_PNS0_10empty_typeENS0_5tupleIJS8_S9_EEENSB_IJS8_SA_EEENS0_18inequality_wrapperIZN2at6native12_GLOBAL__N_124unique_dim_cuda_templateIlEESt5tupleIJNSF_6TensorESK_SK_EERKSK_lbbbEUlllE0_EEPmJS9_EEE10hipError_tPvRmT3_T4_T5_T6_T7_T9_mT8_P12ihipStream_tbDpT10_ENKUlT_T0_E_clISt17integral_constantIbLb1EES19_IbLb0EEEEDaS15_S16_EUlS15_E_NS1_11comp_targetILNS1_3genE5ELNS1_11target_archE942ELNS1_3gpuE9ELNS1_3repE0EEENS1_30default_config_static_selectorELNS0_4arch9wavefront6targetE1EEEvT1_
; %bb.0:
	s_load_dwordx8 s[20:27], s[0:1], 0x40
	s_load_dwordx4 s[4:7], s[0:1], 0x8
	s_load_dwordx2 s[10:11], s[0:1], 0x18
	s_load_dword s3, s[0:1], 0x70
	s_mul_i32 s12, s2, 0xe00
	s_waitcnt lgkmcnt(0)
	v_mov_b32_e32 v2, s24
	s_lshl_b64 s[14:15], s[6:7], 3
	s_add_u32 s18, s4, s14
	s_mul_i32 s4, s3, 0xe00
	s_addc_u32 s19, s5, s15
	s_add_i32 s8, s3, -1
	s_add_i32 s3, s4, s6
	s_sub_i32 s3, s24, s3
	s_addk_i32 s3, 0xe00
	s_add_u32 s4, s6, s4
	s_addc_u32 s5, s7, 0
	v_mov_b32_e32 v3, s25
	s_cmp_eq_u32 s2, s8
	s_load_dwordx2 s[22:23], s[22:23], 0x0
	v_cmp_ge_u64_e32 vcc, s[4:5], v[2:3]
	s_cselect_b64 s[24:25], -1, 0
	s_mov_b32 s13, 0
	s_and_b64 s[8:9], s[24:25], vcc
	s_xor_b64 s[34:35], s[8:9], -1
	s_lshl_b64 s[16:17], s[12:13], 3
	s_add_u32 s12, s18, s16
	s_mov_b64 s[4:5], -1
	s_addc_u32 s13, s19, s17
	s_and_b64 vcc, exec, s[34:35]
	s_cbranch_vccz .LBB616_2
; %bb.1:
	v_lshlrev_b32_e32 v2, 3, v0
	v_mov_b32_e32 v3, 0
	v_lshl_add_u64 v[4:5], s[12:13], 0, v[2:3]
	v_add_co_u32_e32 v8, vcc, 0x1000, v4
	global_load_dwordx2 v[6:7], v2, s[12:13]
	s_nop 0
	v_addc_co_u32_e32 v9, vcc, 0, v5, vcc
	v_add_co_u32_e32 v10, vcc, 0x2000, v4
	s_mov_b64 s[4:5], 0
	s_nop 0
	v_addc_co_u32_e32 v11, vcc, 0, v5, vcc
	v_add_co_u32_e32 v12, vcc, 0x3000, v4
	s_nop 1
	v_addc_co_u32_e32 v13, vcc, 0, v5, vcc
	v_add_co_u32_e32 v14, vcc, 0x4000, v4
	s_nop 1
	v_addc_co_u32_e32 v15, vcc, 0, v5, vcc
	global_load_dwordx2 v[16:17], v[8:9], off
	global_load_dwordx2 v[18:19], v[10:11], off
	;; [unrolled: 1-line block ×4, first 2 shown]
	v_add_co_u32_e32 v8, vcc, 0x5000, v4
	s_nop 1
	v_addc_co_u32_e32 v9, vcc, 0, v5, vcc
	v_add_co_u32_e32 v4, vcc, 0x6000, v4
	global_load_dwordx2 v[8:9], v[8:9], off
	s_nop 0
	v_addc_co_u32_e32 v5, vcc, 0, v5, vcc
	global_load_dwordx2 v[4:5], v[4:5], off
	s_waitcnt vmcnt(5)
	ds_write2st64_b64 v2, v[6:7], v[16:17] offset1:8
	s_waitcnt vmcnt(3)
	ds_write2st64_b64 v2, v[18:19], v[20:21] offset0:16 offset1:24
	s_waitcnt vmcnt(1)
	ds_write2st64_b64 v2, v[22:23], v[8:9] offset0:32 offset1:40
	s_waitcnt vmcnt(0)
	ds_write_b64 v2, v[4:5] offset:24576
	s_waitcnt lgkmcnt(0)
	s_barrier
.LBB616_2:
	s_load_dwordx4 s[28:31], s[0:1], 0x60
	s_andn2_b64 vcc, exec, s[4:5]
	v_cmp_gt_u32_e64 s[4:5], s3, v0
	s_cbranch_vccnz .LBB616_18
; %bb.3:
                                        ; implicit-def: $vgpr2_vgpr3_vgpr4_vgpr5_vgpr6_vgpr7_vgpr8_vgpr9_vgpr10_vgpr11_vgpr12_vgpr13_vgpr14_vgpr15_vgpr16_vgpr17
	s_and_saveexec_b64 s[18:19], s[4:5]
	s_cbranch_execz .LBB616_5
; %bb.4:
	v_lshlrev_b32_e32 v1, 3, v0
	global_load_dwordx2 v[2:3], v1, s[12:13]
.LBB616_5:
	s_or_b64 exec, exec, s[18:19]
	v_or_b32_e32 v1, 0x200, v0
	v_cmp_gt_u32_e32 vcc, s3, v1
	s_and_saveexec_b64 s[4:5], vcc
	s_cbranch_execz .LBB616_7
; %bb.6:
	v_lshlrev_b32_e32 v1, 3, v1
	global_load_dwordx2 v[4:5], v1, s[12:13]
.LBB616_7:
	s_or_b64 exec, exec, s[4:5]
	v_or_b32_e32 v1, 0x400, v0
	v_cmp_gt_u32_e32 vcc, s3, v1
	s_and_saveexec_b64 s[4:5], vcc
	;; [unrolled: 9-line block ×6, first 2 shown]
	s_cbranch_execz .LBB616_17
; %bb.16:
	v_lshlrev_b32_e32 v1, 3, v1
	global_load_dwordx2 v[14:15], v1, s[12:13]
.LBB616_17:
	s_or_b64 exec, exec, s[4:5]
	v_lshlrev_b32_e32 v1, 3, v0
	s_waitcnt vmcnt(0)
	ds_write2st64_b64 v1, v[2:3], v[4:5] offset1:8
	ds_write2st64_b64 v1, v[6:7], v[8:9] offset0:16 offset1:24
	ds_write2st64_b64 v1, v[10:11], v[12:13] offset0:32 offset1:40
	ds_write_b64 v1, v[14:15] offset:24576
	s_waitcnt lgkmcnt(0)
	s_barrier
.LBB616_18:
	v_mul_u32_u24_e32 v1, 7, v0
	v_lshlrev_b32_e32 v44, 3, v1
	s_waitcnt lgkmcnt(0)
	ds_read2_b64 v[22:25], v44 offset1:1
	ds_read2_b64 v[18:21], v44 offset0:2 offset1:3
	ds_read2_b64 v[14:17], v44 offset0:4 offset1:5
	ds_read_b64 v[28:29], v44 offset:48
	s_add_u32 s4, s10, s14
	s_addc_u32 s5, s11, s15
	s_add_u32 s4, s4, s16
	s_addc_u32 s5, s5, s17
	s_mov_b64 s[10:11], -1
	s_and_b64 vcc, exec, s[34:35]
	s_waitcnt lgkmcnt(0)
	s_barrier
	s_cbranch_vccz .LBB616_20
; %bb.19:
	v_lshlrev_b32_e32 v2, 3, v0
	v_mov_b32_e32 v3, 0
	v_lshl_add_u64 v[4:5], s[4:5], 0, v[2:3]
	v_add_co_u32_e32 v8, vcc, 0x1000, v4
	global_load_dwordx2 v[6:7], v2, s[4:5]
	s_nop 0
	v_addc_co_u32_e32 v9, vcc, 0, v5, vcc
	v_add_co_u32_e32 v10, vcc, 0x2000, v4
	s_mov_b64 s[10:11], 0
	s_nop 0
	v_addc_co_u32_e32 v11, vcc, 0, v5, vcc
	v_add_co_u32_e32 v12, vcc, 0x3000, v4
	s_nop 1
	v_addc_co_u32_e32 v13, vcc, 0, v5, vcc
	v_add_co_u32_e32 v26, vcc, 0x4000, v4
	s_nop 1
	v_addc_co_u32_e32 v27, vcc, 0, v5, vcc
	global_load_dwordx2 v[30:31], v[8:9], off
	global_load_dwordx2 v[32:33], v[10:11], off
	;; [unrolled: 1-line block ×4, first 2 shown]
	v_add_co_u32_e32 v8, vcc, 0x5000, v4
	s_nop 1
	v_addc_co_u32_e32 v9, vcc, 0, v5, vcc
	v_add_co_u32_e32 v4, vcc, 0x6000, v4
	global_load_dwordx2 v[8:9], v[8:9], off
	s_nop 0
	v_addc_co_u32_e32 v5, vcc, 0, v5, vcc
	global_load_dwordx2 v[4:5], v[4:5], off
	s_waitcnt vmcnt(5)
	ds_write2st64_b64 v2, v[6:7], v[30:31] offset1:8
	s_waitcnt vmcnt(3)
	ds_write2st64_b64 v2, v[32:33], v[34:35] offset0:16 offset1:24
	s_waitcnt vmcnt(1)
	ds_write2st64_b64 v2, v[36:37], v[8:9] offset0:32 offset1:40
	s_waitcnt vmcnt(0)
	ds_write_b64 v2, v[4:5] offset:24576
	s_waitcnt lgkmcnt(0)
	s_barrier
.LBB616_20:
	s_andn2_b64 vcc, exec, s[10:11]
	s_cbranch_vccnz .LBB616_36
; %bb.21:
	v_cmp_gt_u32_e32 vcc, s3, v0
                                        ; implicit-def: $vgpr2_vgpr3
	s_and_saveexec_b64 s[10:11], vcc
	s_cbranch_execz .LBB616_23
; %bb.22:
	v_lshlrev_b32_e32 v2, 3, v0
	global_load_dwordx2 v[2:3], v2, s[4:5]
.LBB616_23:
	s_or_b64 exec, exec, s[10:11]
	v_or_b32_e32 v6, 0x200, v0
	v_cmp_gt_u32_e32 vcc, s3, v6
                                        ; implicit-def: $vgpr4_vgpr5
	s_and_saveexec_b64 s[10:11], vcc
	s_cbranch_execz .LBB616_25
; %bb.24:
	v_lshlrev_b32_e32 v4, 3, v6
	global_load_dwordx2 v[4:5], v4, s[4:5]
.LBB616_25:
	s_or_b64 exec, exec, s[10:11]
	v_or_b32_e32 v8, 0x400, v0
	v_cmp_gt_u32_e32 vcc, s3, v8
                                        ; implicit-def: $vgpr6_vgpr7
	s_and_saveexec_b64 s[10:11], vcc
	s_cbranch_execz .LBB616_27
; %bb.26:
	v_lshlrev_b32_e32 v6, 3, v8
	global_load_dwordx2 v[6:7], v6, s[4:5]
.LBB616_27:
	s_or_b64 exec, exec, s[10:11]
	v_or_b32_e32 v10, 0x600, v0
	v_cmp_gt_u32_e32 vcc, s3, v10
                                        ; implicit-def: $vgpr8_vgpr9
	s_and_saveexec_b64 s[10:11], vcc
	s_cbranch_execz .LBB616_29
; %bb.28:
	v_lshlrev_b32_e32 v8, 3, v10
	global_load_dwordx2 v[8:9], v8, s[4:5]
.LBB616_29:
	s_or_b64 exec, exec, s[10:11]
	v_or_b32_e32 v12, 0x800, v0
	v_cmp_gt_u32_e32 vcc, s3, v12
                                        ; implicit-def: $vgpr10_vgpr11
	s_and_saveexec_b64 s[10:11], vcc
	s_cbranch_execz .LBB616_31
; %bb.30:
	v_lshlrev_b32_e32 v10, 3, v12
	global_load_dwordx2 v[10:11], v10, s[4:5]
.LBB616_31:
	s_or_b64 exec, exec, s[10:11]
	v_or_b32_e32 v26, 0xa00, v0
	v_cmp_gt_u32_e32 vcc, s3, v26
                                        ; implicit-def: $vgpr12_vgpr13
	s_and_saveexec_b64 s[10:11], vcc
	s_cbranch_execz .LBB616_33
; %bb.32:
	v_lshlrev_b32_e32 v12, 3, v26
	global_load_dwordx2 v[12:13], v12, s[4:5]
.LBB616_33:
	s_or_b64 exec, exec, s[10:11]
	v_or_b32_e32 v30, 0xc00, v0
	v_cmp_gt_u32_e32 vcc, s3, v30
                                        ; implicit-def: $vgpr26_vgpr27
	s_and_saveexec_b64 s[10:11], vcc
	s_cbranch_execz .LBB616_35
; %bb.34:
	v_lshlrev_b32_e32 v26, 3, v30
	global_load_dwordx2 v[26:27], v26, s[4:5]
.LBB616_35:
	s_or_b64 exec, exec, s[10:11]
	s_movk_i32 s4, 0xffd0
	v_mad_i32_i24 v30, v0, s4, v44
	s_waitcnt vmcnt(0)
	ds_write2st64_b64 v30, v[2:3], v[4:5] offset1:8
	ds_write2st64_b64 v30, v[6:7], v[8:9] offset0:16 offset1:24
	ds_write2st64_b64 v30, v[10:11], v[12:13] offset0:32 offset1:40
	ds_write_b64 v30, v[26:27] offset:24576
	s_waitcnt lgkmcnt(0)
	s_barrier
.LBB616_36:
	ds_read2_b64 v[10:13], v44 offset1:1
	ds_read2_b64 v[6:9], v44 offset0:2 offset1:3
	ds_read2_b64 v[2:5], v44 offset0:4 offset1:5
	ds_read_b64 v[26:27], v44 offset:48
	s_cmp_lg_u32 s2, 0
	s_cselect_b64 s[16:17], -1, 0
	s_cmp_lg_u64 s[6:7], 0
	s_cselect_b64 s[4:5], -1, 0
	s_or_b64 s[4:5], s[16:17], s[4:5]
	v_add_u32_e32 v41, 1, v1
	v_add_u32_e32 v38, 2, v1
	;; [unrolled: 1-line block ×6, first 2 shown]
	s_mov_b64 s[10:11], 0
	s_and_b64 vcc, exec, s[4:5]
	v_cmp_gt_i64_e64 s[4:5], s[26:27], 0
	s_waitcnt lgkmcnt(0)
	s_barrier
	s_cbranch_vccz .LBB616_45
; %bb.37:
	s_add_u32 s6, s12, -8
	s_addc_u32 s7, s13, -1
	s_load_dwordx2 s[6:7], s[6:7], 0x0
	v_cndmask_b32_e64 v30, 0, 1, s[4:5]
	v_lshlrev_b32_e32 v45, 3, v0
	s_and_b64 vcc, exec, s[34:35]
	v_cmp_ne_u32_e64 s[4:5], 1, v30
	ds_write_b64 v45, v[28:29]
	s_cbranch_vccz .LBB616_47
; %bb.38:
	v_mul_lo_u32 v32, v17, s26
	v_mul_lo_u32 v33, v16, s27
	v_mad_u64_u32 v[30:31], s[12:13], v16, s26, 0
	v_add3_u32 v31, v31, v33, v32
	s_and_b64 vcc, exec, s[4:5]
	v_lshl_add_u64 v[30:31], v[30:31], 3, s[28:29]
	s_cbranch_vccnz .LBB616_50
; %bb.39:
	v_mul_lo_u32 v34, v29, s26
	v_mul_lo_u32 v35, v28, s27
	v_mad_u64_u32 v[32:33], s[10:11], v28, s26, 0
	v_add3_u32 v33, v33, v35, v34
	v_lshl_add_u64 v[32:33], v[32:33], 3, s[28:29]
	global_load_dwordx2 v[34:35], v[30:31], off
	global_load_dwordx2 v[36:37], v[32:33], off
	s_mov_b64 s[10:11], -1
	s_waitcnt vmcnt(0)
	v_cmp_eq_u64_e32 vcc, v[34:35], v[36:37]
	s_and_saveexec_b64 s[12:13], vcc
	s_cbranch_execz .LBB616_49
; %bb.40:
	s_add_u32 s10, s26, -1
	v_lshl_add_u64 v[32:33], v[32:33], 0, 8
	v_lshl_add_u64 v[34:35], v[30:31], 0, 8
	s_addc_u32 s11, s27, -1
	s_mov_b64 s[14:15], 0
	s_mov_b64 s[36:37], 0
                                        ; implicit-def: $sgpr18_sgpr19
	s_branch .LBB616_43
.LBB616_41:                             ;   in Loop: Header=BB616_43 Depth=1
	global_load_dwordx2 v[36:37], v[34:35], off
	global_load_dwordx2 v[46:47], v[32:33], off
	s_add_u32 s36, s36, 1
	s_addc_u32 s37, s37, 0
	s_andn2_b64 s[18:19], s[18:19], exec
	v_lshl_add_u64 v[32:33], v[32:33], 0, 8
	v_lshl_add_u64 v[34:35], v[34:35], 0, 8
	s_waitcnt vmcnt(0)
	v_cmp_ne_u64_e32 vcc, v[36:37], v[46:47]
	s_and_b64 s[38:39], vcc, exec
	s_or_b64 s[18:19], s[18:19], s[38:39]
.LBB616_42:                             ;   in Loop: Header=BB616_43 Depth=1
	s_and_b64 s[38:39], exec, s[18:19]
	s_or_b64 s[14:15], s[38:39], s[14:15]
	v_mov_b64_e32 v[36:37], s[36:37]
	s_andn2_b64 exec, exec, s[14:15]
	s_cbranch_execz .LBB616_48
.LBB616_43:                             ; =>This Inner Loop Header: Depth=1
	s_or_b64 s[18:19], s[18:19], exec
	s_cmp_eq_u64 s[10:11], s[36:37]
	s_cbranch_scc0 .LBB616_41
; %bb.44:                               ;   in Loop: Header=BB616_43 Depth=1
                                        ; implicit-def: $vgpr32_vgpr33
                                        ; implicit-def: $vgpr34_vgpr35
	s_mov_b64 s[36:37], s[26:27]
	s_branch .LBB616_42
.LBB616_45:
                                        ; implicit-def: $sgpr18_sgpr19
                                        ; implicit-def: $vgpr48
                                        ; implicit-def: $vgpr47
                                        ; implicit-def: $vgpr46
                                        ; implicit-def: $vgpr34
	s_branch .LBB616_188
.LBB616_46:
                                        ; implicit-def: $vgpr30_vgpr31
	s_branch .LBB616_336
.LBB616_47:
                                        ; implicit-def: $sgpr18_sgpr19
                                        ; implicit-def: $vgpr48
                                        ; implicit-def: $vgpr47
                                        ; implicit-def: $vgpr46
                                        ; implicit-def: $vgpr34
	s_cbranch_execnz .LBB616_107
	s_branch .LBB616_187
.LBB616_48:
	s_or_b64 exec, exec, s[14:15]
	v_cmp_gt_i64_e32 vcc, s[26:27], v[36:37]
	s_orn2_b64 s[10:11], vcc, exec
.LBB616_49:
	s_or_b64 exec, exec, s[12:13]
.LBB616_50:
	v_mul_lo_u32 v34, v15, s26
	v_mul_lo_u32 v35, v14, s27
	v_mad_u64_u32 v[32:33], s[12:13], v14, s26, 0
	v_add3_u32 v33, v33, v35, v34
	s_mov_b64 s[12:13], 0
	s_and_b64 vcc, exec, s[4:5]
	v_lshl_add_u64 v[32:33], v[32:33], 3, s[28:29]
	s_mov_b64 s[14:15], 0
	s_cbranch_vccnz .LBB616_59
; %bb.51:
	global_load_dwordx2 v[34:35], v[32:33], off
	global_load_dwordx2 v[36:37], v[30:31], off
	s_mov_b64 s[14:15], -1
	s_waitcnt vmcnt(0)
	v_cmp_eq_u64_e32 vcc, v[34:35], v[36:37]
	s_and_saveexec_b64 s[18:19], vcc
	s_cbranch_execz .LBB616_58
; %bb.52:
	s_add_u32 s14, s26, -1
	v_lshl_add_u64 v[30:31], v[30:31], 0, 8
	v_lshl_add_u64 v[34:35], v[32:33], 0, 8
	s_addc_u32 s15, s27, -1
	s_mov_b64 s[36:37], 0
	s_mov_b64 s[40:41], 0
                                        ; implicit-def: $sgpr38_sgpr39
	s_branch .LBB616_55
.LBB616_53:                             ;   in Loop: Header=BB616_55 Depth=1
	global_load_dwordx2 v[36:37], v[34:35], off
	global_load_dwordx2 v[46:47], v[30:31], off
	s_add_u32 s40, s40, 1
	s_addc_u32 s41, s41, 0
	s_andn2_b64 s[38:39], s[38:39], exec
	v_lshl_add_u64 v[30:31], v[30:31], 0, 8
	v_lshl_add_u64 v[34:35], v[34:35], 0, 8
	s_waitcnt vmcnt(0)
	v_cmp_ne_u64_e32 vcc, v[36:37], v[46:47]
	s_and_b64 s[42:43], vcc, exec
	s_or_b64 s[38:39], s[38:39], s[42:43]
.LBB616_54:                             ;   in Loop: Header=BB616_55 Depth=1
	s_and_b64 s[42:43], exec, s[38:39]
	s_or_b64 s[36:37], s[42:43], s[36:37]
	v_mov_b64_e32 v[36:37], s[40:41]
	s_andn2_b64 exec, exec, s[36:37]
	s_cbranch_execz .LBB616_57
.LBB616_55:                             ; =>This Inner Loop Header: Depth=1
	s_or_b64 s[38:39], s[38:39], exec
	s_cmp_eq_u64 s[14:15], s[40:41]
	s_cbranch_scc0 .LBB616_53
; %bb.56:                               ;   in Loop: Header=BB616_55 Depth=1
                                        ; implicit-def: $vgpr30_vgpr31
                                        ; implicit-def: $vgpr34_vgpr35
	s_mov_b64 s[40:41], s[26:27]
	s_branch .LBB616_54
.LBB616_57:
	s_or_b64 exec, exec, s[36:37]
	v_cmp_gt_i64_e32 vcc, s[26:27], v[36:37]
	s_orn2_b64 s[14:15], vcc, exec
.LBB616_58:
	s_or_b64 exec, exec, s[18:19]
.LBB616_59:
	v_mul_lo_u32 v34, v21, s26
	v_mul_lo_u32 v35, v20, s27
	v_mad_u64_u32 v[30:31], s[18:19], v20, s26, 0
	v_add3_u32 v31, v31, v35, v34
	s_and_b64 vcc, exec, s[4:5]
	v_lshl_add_u64 v[30:31], v[30:31], 3, s[28:29]
	s_cbranch_vccnz .LBB616_68
; %bb.60:
	global_load_dwordx2 v[34:35], v[30:31], off
	global_load_dwordx2 v[36:37], v[32:33], off
	s_mov_b64 s[12:13], -1
	s_waitcnt vmcnt(0)
	v_cmp_eq_u64_e32 vcc, v[34:35], v[36:37]
	s_and_saveexec_b64 s[18:19], vcc
	s_cbranch_execz .LBB616_67
; %bb.61:
	s_add_u32 s12, s26, -1
	v_lshl_add_u64 v[32:33], v[32:33], 0, 8
	v_lshl_add_u64 v[34:35], v[30:31], 0, 8
	s_addc_u32 s13, s27, -1
	s_mov_b64 s[36:37], 0
	s_mov_b64 s[40:41], 0
                                        ; implicit-def: $sgpr38_sgpr39
	s_branch .LBB616_64
.LBB616_62:                             ;   in Loop: Header=BB616_64 Depth=1
	global_load_dwordx2 v[36:37], v[34:35], off
	global_load_dwordx2 v[46:47], v[32:33], off
	s_add_u32 s40, s40, 1
	s_addc_u32 s41, s41, 0
	s_andn2_b64 s[38:39], s[38:39], exec
	v_lshl_add_u64 v[32:33], v[32:33], 0, 8
	v_lshl_add_u64 v[34:35], v[34:35], 0, 8
	s_waitcnt vmcnt(0)
	v_cmp_ne_u64_e32 vcc, v[36:37], v[46:47]
	s_and_b64 s[42:43], vcc, exec
	s_or_b64 s[38:39], s[38:39], s[42:43]
.LBB616_63:                             ;   in Loop: Header=BB616_64 Depth=1
	s_and_b64 s[42:43], exec, s[38:39]
	s_or_b64 s[36:37], s[42:43], s[36:37]
	v_mov_b64_e32 v[36:37], s[40:41]
	s_andn2_b64 exec, exec, s[36:37]
	s_cbranch_execz .LBB616_66
.LBB616_64:                             ; =>This Inner Loop Header: Depth=1
	s_or_b64 s[38:39], s[38:39], exec
	s_cmp_eq_u64 s[12:13], s[40:41]
	s_cbranch_scc0 .LBB616_62
; %bb.65:                               ;   in Loop: Header=BB616_64 Depth=1
                                        ; implicit-def: $vgpr32_vgpr33
                                        ; implicit-def: $vgpr34_vgpr35
	s_mov_b64 s[40:41], s[26:27]
	s_branch .LBB616_63
.LBB616_66:
	s_or_b64 exec, exec, s[36:37]
	v_cmp_gt_i64_e32 vcc, s[26:27], v[36:37]
	s_orn2_b64 s[12:13], vcc, exec
.LBB616_67:
	s_or_b64 exec, exec, s[18:19]
.LBB616_68:
	v_mul_lo_u32 v34, v19, s26
	v_mul_lo_u32 v35, v18, s27
	v_mad_u64_u32 v[32:33], s[18:19], v18, s26, 0
	v_add3_u32 v33, v33, v35, v34
	s_mov_b64 s[18:19], 0
	s_and_b64 vcc, exec, s[4:5]
	v_lshl_add_u64 v[34:35], v[32:33], 3, s[28:29]
	s_mov_b64 s[36:37], 0
	s_cbranch_vccnz .LBB616_77
; %bb.69:
	global_load_dwordx2 v[32:33], v[34:35], off
	global_load_dwordx2 v[36:37], v[30:31], off
	s_mov_b64 s[36:37], -1
	s_waitcnt vmcnt(0)
	v_cmp_eq_u64_e32 vcc, v[32:33], v[36:37]
	s_and_saveexec_b64 s[38:39], vcc
	s_cbranch_execz .LBB616_76
; %bb.70:
	s_add_u32 s36, s26, -1
	v_lshl_add_u64 v[30:31], v[30:31], 0, 8
	v_lshl_add_u64 v[32:33], v[34:35], 0, 8
	s_addc_u32 s37, s27, -1
	s_mov_b64 s[40:41], 0
	s_mov_b64 s[44:45], 0
                                        ; implicit-def: $sgpr42_sgpr43
	s_branch .LBB616_73
.LBB616_71:                             ;   in Loop: Header=BB616_73 Depth=1
	global_load_dwordx2 v[36:37], v[32:33], off
	global_load_dwordx2 v[46:47], v[30:31], off
	s_add_u32 s44, s44, 1
	s_addc_u32 s45, s45, 0
	s_andn2_b64 s[42:43], s[42:43], exec
	v_lshl_add_u64 v[30:31], v[30:31], 0, 8
	v_lshl_add_u64 v[32:33], v[32:33], 0, 8
	s_waitcnt vmcnt(0)
	v_cmp_ne_u64_e32 vcc, v[36:37], v[46:47]
	s_and_b64 s[46:47], vcc, exec
	s_or_b64 s[42:43], s[42:43], s[46:47]
.LBB616_72:                             ;   in Loop: Header=BB616_73 Depth=1
	s_and_b64 s[46:47], exec, s[42:43]
	s_or_b64 s[40:41], s[46:47], s[40:41]
	v_mov_b64_e32 v[36:37], s[44:45]
	s_andn2_b64 exec, exec, s[40:41]
	s_cbranch_execz .LBB616_75
.LBB616_73:                             ; =>This Inner Loop Header: Depth=1
	s_or_b64 s[42:43], s[42:43], exec
	s_cmp_eq_u64 s[36:37], s[44:45]
	s_cbranch_scc0 .LBB616_71
; %bb.74:                               ;   in Loop: Header=BB616_73 Depth=1
                                        ; implicit-def: $vgpr30_vgpr31
                                        ; implicit-def: $vgpr32_vgpr33
	s_mov_b64 s[44:45], s[26:27]
	s_branch .LBB616_72
.LBB616_75:
	s_or_b64 exec, exec, s[40:41]
	v_cmp_gt_i64_e32 vcc, s[26:27], v[36:37]
	s_orn2_b64 s[36:37], vcc, exec
.LBB616_76:
	s_or_b64 exec, exec, s[38:39]
.LBB616_77:
	v_mul_lo_u32 v32, v25, s26
	v_mul_lo_u32 v33, v24, s27
	v_mad_u64_u32 v[30:31], s[38:39], v24, s26, 0
	v_add3_u32 v31, v31, v33, v32
	s_and_b64 vcc, exec, s[4:5]
	v_lshl_add_u64 v[32:33], v[30:31], 3, s[28:29]
	s_cbranch_vccnz .LBB616_86
; %bb.78:
	global_load_dwordx2 v[30:31], v[32:33], off
	global_load_dwordx2 v[36:37], v[34:35], off
	s_mov_b64 s[18:19], -1
	s_waitcnt vmcnt(0)
	v_cmp_eq_u64_e32 vcc, v[30:31], v[36:37]
	s_and_saveexec_b64 s[38:39], vcc
	s_cbranch_execz .LBB616_85
; %bb.79:
	s_add_u32 s18, s26, -1
	v_lshl_add_u64 v[30:31], v[34:35], 0, 8
	v_lshl_add_u64 v[34:35], v[32:33], 0, 8
	s_addc_u32 s19, s27, -1
	s_mov_b64 s[40:41], 0
	s_mov_b64 s[44:45], 0
                                        ; implicit-def: $sgpr42_sgpr43
	s_branch .LBB616_82
.LBB616_80:                             ;   in Loop: Header=BB616_82 Depth=1
	global_load_dwordx2 v[36:37], v[34:35], off
	global_load_dwordx2 v[46:47], v[30:31], off
	s_add_u32 s44, s44, 1
	s_addc_u32 s45, s45, 0
	s_andn2_b64 s[42:43], s[42:43], exec
	v_lshl_add_u64 v[30:31], v[30:31], 0, 8
	v_lshl_add_u64 v[34:35], v[34:35], 0, 8
	s_waitcnt vmcnt(0)
	v_cmp_ne_u64_e32 vcc, v[36:37], v[46:47]
	s_and_b64 s[46:47], vcc, exec
	s_or_b64 s[42:43], s[42:43], s[46:47]
.LBB616_81:                             ;   in Loop: Header=BB616_82 Depth=1
	s_and_b64 s[46:47], exec, s[42:43]
	s_or_b64 s[40:41], s[46:47], s[40:41]
	v_mov_b64_e32 v[36:37], s[44:45]
	s_andn2_b64 exec, exec, s[40:41]
	s_cbranch_execz .LBB616_84
.LBB616_82:                             ; =>This Inner Loop Header: Depth=1
	s_or_b64 s[42:43], s[42:43], exec
	s_cmp_eq_u64 s[18:19], s[44:45]
	s_cbranch_scc0 .LBB616_80
; %bb.83:                               ;   in Loop: Header=BB616_82 Depth=1
                                        ; implicit-def: $vgpr30_vgpr31
                                        ; implicit-def: $vgpr34_vgpr35
	s_mov_b64 s[44:45], s[26:27]
	s_branch .LBB616_81
.LBB616_84:
	s_or_b64 exec, exec, s[40:41]
	v_cmp_gt_i64_e32 vcc, s[26:27], v[36:37]
	s_orn2_b64 s[18:19], vcc, exec
.LBB616_85:
	s_or_b64 exec, exec, s[38:39]
.LBB616_86:
	v_mul_lo_u32 v34, v23, s26
	v_mul_lo_u32 v35, v22, s27
	v_mad_u64_u32 v[30:31], s[38:39], v22, s26, 0
	v_add3_u32 v31, v31, v35, v34
	s_mov_b64 s[40:41], 0
	s_and_b64 vcc, exec, s[4:5]
	v_lshl_add_u64 v[30:31], v[30:31], 3, s[28:29]
	s_cbranch_vccnz .LBB616_95
; %bb.87:
	global_load_dwordx2 v[34:35], v[30:31], off
	global_load_dwordx2 v[36:37], v[32:33], off
	s_mov_b64 s[40:41], -1
	s_waitcnt vmcnt(0)
	v_cmp_eq_u64_e32 vcc, v[34:35], v[36:37]
	s_and_saveexec_b64 s[38:39], vcc
	s_cbranch_execz .LBB616_94
; %bb.88:
	s_add_u32 s40, s26, -1
	v_lshl_add_u64 v[32:33], v[32:33], 0, 8
	v_lshl_add_u64 v[34:35], v[30:31], 0, 8
	s_addc_u32 s41, s27, -1
	s_mov_b64 s[42:43], 0
	s_mov_b64 s[46:47], 0
                                        ; implicit-def: $sgpr44_sgpr45
	s_branch .LBB616_91
.LBB616_89:                             ;   in Loop: Header=BB616_91 Depth=1
	global_load_dwordx2 v[36:37], v[34:35], off
	global_load_dwordx2 v[46:47], v[32:33], off
	s_add_u32 s46, s46, 1
	s_addc_u32 s47, s47, 0
	s_andn2_b64 s[44:45], s[44:45], exec
	v_lshl_add_u64 v[32:33], v[32:33], 0, 8
	v_lshl_add_u64 v[34:35], v[34:35], 0, 8
	s_waitcnt vmcnt(0)
	v_cmp_ne_u64_e32 vcc, v[36:37], v[46:47]
	s_and_b64 s[48:49], vcc, exec
	s_or_b64 s[44:45], s[44:45], s[48:49]
.LBB616_90:                             ;   in Loop: Header=BB616_91 Depth=1
	s_and_b64 s[48:49], exec, s[44:45]
	s_or_b64 s[42:43], s[48:49], s[42:43]
	v_mov_b64_e32 v[36:37], s[46:47]
	s_andn2_b64 exec, exec, s[42:43]
	s_cbranch_execz .LBB616_93
.LBB616_91:                             ; =>This Inner Loop Header: Depth=1
	s_or_b64 s[44:45], s[44:45], exec
	s_cmp_eq_u64 s[40:41], s[46:47]
	s_cbranch_scc0 .LBB616_89
; %bb.92:                               ;   in Loop: Header=BB616_91 Depth=1
                                        ; implicit-def: $vgpr32_vgpr33
                                        ; implicit-def: $vgpr34_vgpr35
	s_mov_b64 s[46:47], s[26:27]
	s_branch .LBB616_90
.LBB616_93:
	s_or_b64 exec, exec, s[42:43]
	v_cmp_gt_i64_e32 vcc, s[26:27], v[36:37]
	s_orn2_b64 s[40:41], vcc, exec
.LBB616_94:
	s_or_b64 exec, exec, s[38:39]
.LBB616_95:
	v_cmp_ne_u32_e32 vcc, 0, v0
	s_waitcnt lgkmcnt(0)
	v_mov_b64_e32 v[32:33], s[6:7]
	s_barrier
	s_and_saveexec_b64 s[38:39], vcc
	s_cbranch_execz .LBB616_97
; %bb.96:
	v_add_u32_e32 v32, -8, v45
	ds_read_b64 v[32:33], v32
.LBB616_97:
	s_or_b64 exec, exec, s[38:39]
	v_cndmask_b32_e64 v35, 0, 1, s[36:37]
	v_cndmask_b32_e64 v34, 0, 1, s[18:19]
	;; [unrolled: 1-line block ×3, first 2 shown]
	v_lshlrev_b16_e32 v35, 8, v35
	v_lshlrev_b16_e32 v36, 8, v36
	v_or_b32_sdwa v37, v34, v35 dst_sel:WORD_1 dst_unused:UNUSED_PAD src0_sel:DWORD src1_sel:DWORD
	s_mov_b64 s[36:37], 0
	s_and_b64 vcc, exec, s[4:5]
	s_mov_b64 s[18:19], 0
	s_cbranch_vccnz .LBB616_106
; %bb.98:
	s_waitcnt lgkmcnt(0)
	v_mul_lo_u32 v34, v33, s26
	v_mul_lo_u32 v35, v32, s27
	v_mad_u64_u32 v[32:33], s[18:19], v32, s26, 0
	v_add3_u32 v33, v33, v35, v34
	v_lshl_add_u64 v[32:33], v[32:33], 3, s[28:29]
	global_load_dwordx2 v[34:35], v[32:33], off
	global_load_dwordx2 v[46:47], v[30:31], off
	s_mov_b64 s[18:19], -1
	s_waitcnt vmcnt(0)
	v_cmp_eq_u64_e32 vcc, v[34:35], v[46:47]
	s_and_saveexec_b64 s[38:39], vcc
	s_cbranch_execz .LBB616_105
; %bb.99:
	s_add_u32 s18, s26, -1
	v_lshl_add_u64 v[30:31], v[30:31], 0, 8
	v_lshl_add_u64 v[32:33], v[32:33], 0, 8
	s_addc_u32 s19, s27, -1
	s_mov_b64 s[40:41], 0
	s_mov_b64 s[44:45], 0
                                        ; implicit-def: $sgpr42_sgpr43
	s_branch .LBB616_102
.LBB616_100:                            ;   in Loop: Header=BB616_102 Depth=1
	global_load_dwordx2 v[34:35], v[32:33], off
	global_load_dwordx2 v[46:47], v[30:31], off
	s_add_u32 s44, s44, 1
	s_addc_u32 s45, s45, 0
	s_andn2_b64 s[42:43], s[42:43], exec
	v_lshl_add_u64 v[30:31], v[30:31], 0, 8
	v_lshl_add_u64 v[32:33], v[32:33], 0, 8
	s_waitcnt vmcnt(0)
	v_cmp_ne_u64_e32 vcc, v[34:35], v[46:47]
	s_and_b64 s[46:47], vcc, exec
	s_or_b64 s[42:43], s[42:43], s[46:47]
.LBB616_101:                            ;   in Loop: Header=BB616_102 Depth=1
	s_and_b64 s[46:47], exec, s[42:43]
	s_or_b64 s[40:41], s[46:47], s[40:41]
	v_mov_b64_e32 v[34:35], s[44:45]
	s_andn2_b64 exec, exec, s[40:41]
	s_cbranch_execz .LBB616_104
.LBB616_102:                            ; =>This Inner Loop Header: Depth=1
	s_or_b64 s[42:43], s[42:43], exec
	s_cmp_eq_u64 s[18:19], s[44:45]
	s_cbranch_scc0 .LBB616_100
; %bb.103:                              ;   in Loop: Header=BB616_102 Depth=1
                                        ; implicit-def: $vgpr30_vgpr31
                                        ; implicit-def: $vgpr32_vgpr33
	s_mov_b64 s[44:45], s[26:27]
	s_branch .LBB616_101
.LBB616_104:
	s_or_b64 exec, exec, s[40:41]
	v_cmp_gt_i64_e32 vcc, s[26:27], v[34:35]
	s_orn2_b64 s[18:19], vcc, exec
.LBB616_105:
	s_or_b64 exec, exec, s[38:39]
.LBB616_106:
	v_cndmask_b32_e64 v46, 0, 1, s[12:13]
	v_cndmask_b32_e64 v47, 0, 1, s[14:15]
	;; [unrolled: 1-line block ×3, first 2 shown]
	v_or_b32_e32 v34, v36, v37
	s_and_b64 vcc, exec, s[36:37]
	s_cbranch_vccz .LBB616_187
.LBB616_107:
	v_cmp_gt_u32_e32 vcc, s3, v40
	s_mov_b64 s[12:13], 0
	s_mov_b64 s[10:11], 0
	s_and_saveexec_b64 s[14:15], vcc
	s_cbranch_execz .LBB616_118
; %bb.108:
	s_and_b64 vcc, exec, s[4:5]
	s_mov_b64 s[18:19], 0
	s_cbranch_vccnz .LBB616_117
; %bb.109:
	s_waitcnt lgkmcnt(0)
	v_mul_lo_u32 v32, v17, s26
	v_mul_lo_u32 v33, v16, s27
	v_mad_u64_u32 v[30:31], s[10:11], v16, s26, 0
	v_add3_u32 v31, v31, v33, v32
	v_mul_lo_u32 v32, v29, s26
	v_mul_lo_u32 v33, v28, s27
	v_mad_u64_u32 v[34:35], s[10:11], v28, s26, 0
	v_add3_u32 v35, v35, v33, v32
	v_lshl_add_u64 v[32:33], v[30:31], 3, s[28:29]
	v_lshl_add_u64 v[30:31], v[34:35], 3, s[28:29]
	global_load_dwordx2 v[34:35], v[32:33], off
	global_load_dwordx2 v[36:37], v[30:31], off
	s_mov_b64 s[18:19], -1
	s_waitcnt vmcnt(0)
	v_cmp_eq_u64_e32 vcc, v[34:35], v[36:37]
	s_and_saveexec_b64 s[10:11], vcc
	s_cbranch_execz .LBB616_116
; %bb.110:
	s_add_u32 s18, s26, -1
	v_lshl_add_u64 v[30:31], v[30:31], 0, 8
	v_lshl_add_u64 v[32:33], v[32:33], 0, 8
	s_addc_u32 s19, s27, -1
	s_mov_b64 s[36:37], 0
	s_mov_b64 s[40:41], 0
                                        ; implicit-def: $sgpr38_sgpr39
	s_branch .LBB616_113
.LBB616_111:                            ;   in Loop: Header=BB616_113 Depth=1
	global_load_dwordx2 v[34:35], v[32:33], off
	global_load_dwordx2 v[36:37], v[30:31], off
	s_add_u32 s40, s40, 1
	s_addc_u32 s41, s41, 0
	s_andn2_b64 s[38:39], s[38:39], exec
	v_lshl_add_u64 v[30:31], v[30:31], 0, 8
	v_lshl_add_u64 v[32:33], v[32:33], 0, 8
	s_waitcnt vmcnt(0)
	v_cmp_ne_u64_e32 vcc, v[34:35], v[36:37]
	s_and_b64 s[42:43], vcc, exec
	s_or_b64 s[38:39], s[38:39], s[42:43]
.LBB616_112:                            ;   in Loop: Header=BB616_113 Depth=1
	s_and_b64 s[42:43], exec, s[38:39]
	s_or_b64 s[36:37], s[42:43], s[36:37]
	v_mov_b64_e32 v[34:35], s[40:41]
	s_andn2_b64 exec, exec, s[36:37]
	s_cbranch_execz .LBB616_115
.LBB616_113:                            ; =>This Inner Loop Header: Depth=1
	s_or_b64 s[38:39], s[38:39], exec
	s_cmp_eq_u64 s[18:19], s[40:41]
	s_cbranch_scc0 .LBB616_111
; %bb.114:                              ;   in Loop: Header=BB616_113 Depth=1
                                        ; implicit-def: $vgpr30_vgpr31
                                        ; implicit-def: $vgpr32_vgpr33
	s_mov_b64 s[40:41], s[26:27]
	s_branch .LBB616_112
.LBB616_115:
	s_or_b64 exec, exec, s[36:37]
	v_cmp_gt_i64_e32 vcc, s[26:27], v[34:35]
	s_orn2_b64 s[18:19], vcc, exec
.LBB616_116:
	s_or_b64 exec, exec, s[10:11]
.LBB616_117:
	s_and_b64 s[10:11], s[18:19], exec
.LBB616_118:
	s_or_b64 exec, exec, s[14:15]
	v_cmp_gt_u32_e32 vcc, s3, v43
	s_and_saveexec_b64 s[14:15], vcc
	s_cbranch_execz .LBB616_129
; %bb.119:
	s_and_b64 vcc, exec, s[4:5]
	s_mov_b64 s[18:19], 0
	s_cbranch_vccnz .LBB616_128
; %bb.120:
	s_waitcnt lgkmcnt(0)
	v_mul_lo_u32 v32, v15, s26
	v_mul_lo_u32 v33, v14, s27
	v_mad_u64_u32 v[30:31], s[12:13], v14, s26, 0
	v_add3_u32 v31, v31, v33, v32
	v_mul_lo_u32 v32, v17, s26
	v_mul_lo_u32 v33, v16, s27
	v_mad_u64_u32 v[34:35], s[12:13], v16, s26, 0
	v_add3_u32 v35, v35, v33, v32
	v_lshl_add_u64 v[32:33], v[30:31], 3, s[28:29]
	v_lshl_add_u64 v[30:31], v[34:35], 3, s[28:29]
	global_load_dwordx2 v[34:35], v[32:33], off
	global_load_dwordx2 v[36:37], v[30:31], off
	s_mov_b64 s[18:19], -1
	s_waitcnt vmcnt(0)
	v_cmp_eq_u64_e32 vcc, v[34:35], v[36:37]
	s_and_saveexec_b64 s[12:13], vcc
	s_cbranch_execz .LBB616_127
; %bb.121:
	s_add_u32 s18, s26, -1
	v_lshl_add_u64 v[30:31], v[30:31], 0, 8
	v_lshl_add_u64 v[32:33], v[32:33], 0, 8
	s_addc_u32 s19, s27, -1
	s_mov_b64 s[36:37], 0
	s_mov_b64 s[40:41], 0
                                        ; implicit-def: $sgpr38_sgpr39
	s_branch .LBB616_124
.LBB616_122:                            ;   in Loop: Header=BB616_124 Depth=1
	global_load_dwordx2 v[34:35], v[32:33], off
	global_load_dwordx2 v[36:37], v[30:31], off
	s_add_u32 s40, s40, 1
	s_addc_u32 s41, s41, 0
	s_andn2_b64 s[38:39], s[38:39], exec
	v_lshl_add_u64 v[30:31], v[30:31], 0, 8
	v_lshl_add_u64 v[32:33], v[32:33], 0, 8
	s_waitcnt vmcnt(0)
	v_cmp_ne_u64_e32 vcc, v[34:35], v[36:37]
	s_and_b64 s[42:43], vcc, exec
	s_or_b64 s[38:39], s[38:39], s[42:43]
.LBB616_123:                            ;   in Loop: Header=BB616_124 Depth=1
	s_and_b64 s[42:43], exec, s[38:39]
	s_or_b64 s[36:37], s[42:43], s[36:37]
	v_mov_b64_e32 v[34:35], s[40:41]
	s_andn2_b64 exec, exec, s[36:37]
	s_cbranch_execz .LBB616_126
.LBB616_124:                            ; =>This Inner Loop Header: Depth=1
	s_or_b64 s[38:39], s[38:39], exec
	s_cmp_eq_u64 s[18:19], s[40:41]
	s_cbranch_scc0 .LBB616_122
; %bb.125:                              ;   in Loop: Header=BB616_124 Depth=1
                                        ; implicit-def: $vgpr30_vgpr31
                                        ; implicit-def: $vgpr32_vgpr33
	s_mov_b64 s[40:41], s[26:27]
	s_branch .LBB616_123
.LBB616_126:
	s_or_b64 exec, exec, s[36:37]
	v_cmp_gt_i64_e32 vcc, s[26:27], v[34:35]
	s_orn2_b64 s[18:19], vcc, exec
.LBB616_127:
	s_or_b64 exec, exec, s[12:13]
.LBB616_128:
	s_and_b64 s[12:13], s[18:19], exec
.LBB616_129:
	s_or_b64 exec, exec, s[14:15]
	v_cmp_gt_u32_e32 vcc, s3, v39
	s_mov_b64 s[18:19], 0
	s_mov_b64 s[14:15], 0
	s_and_saveexec_b64 s[36:37], vcc
	s_cbranch_execz .LBB616_140
; %bb.130:
	s_and_b64 vcc, exec, s[4:5]
	s_mov_b64 s[38:39], 0
	s_cbranch_vccnz .LBB616_139
; %bb.131:
	s_waitcnt lgkmcnt(0)
	v_mul_lo_u32 v32, v21, s26
	v_mul_lo_u32 v33, v20, s27
	v_mad_u64_u32 v[30:31], s[14:15], v20, s26, 0
	v_add3_u32 v31, v31, v33, v32
	v_mul_lo_u32 v32, v15, s26
	v_mul_lo_u32 v33, v14, s27
	v_mad_u64_u32 v[34:35], s[14:15], v14, s26, 0
	v_add3_u32 v35, v35, v33, v32
	v_lshl_add_u64 v[32:33], v[30:31], 3, s[28:29]
	v_lshl_add_u64 v[30:31], v[34:35], 3, s[28:29]
	global_load_dwordx2 v[34:35], v[32:33], off
	global_load_dwordx2 v[36:37], v[30:31], off
	s_mov_b64 s[38:39], -1
	s_waitcnt vmcnt(0)
	v_cmp_eq_u64_e32 vcc, v[34:35], v[36:37]
	s_and_saveexec_b64 s[14:15], vcc
	s_cbranch_execz .LBB616_138
; %bb.132:
	s_add_u32 s38, s26, -1
	v_lshl_add_u64 v[30:31], v[30:31], 0, 8
	v_lshl_add_u64 v[32:33], v[32:33], 0, 8
	s_addc_u32 s39, s27, -1
	s_mov_b64 s[40:41], 0
	s_mov_b64 s[44:45], 0
                                        ; implicit-def: $sgpr42_sgpr43
	s_branch .LBB616_135
.LBB616_133:                            ;   in Loop: Header=BB616_135 Depth=1
	global_load_dwordx2 v[34:35], v[32:33], off
	global_load_dwordx2 v[36:37], v[30:31], off
	s_add_u32 s44, s44, 1
	s_addc_u32 s45, s45, 0
	s_andn2_b64 s[42:43], s[42:43], exec
	v_lshl_add_u64 v[30:31], v[30:31], 0, 8
	v_lshl_add_u64 v[32:33], v[32:33], 0, 8
	s_waitcnt vmcnt(0)
	v_cmp_ne_u64_e32 vcc, v[34:35], v[36:37]
	s_and_b64 s[46:47], vcc, exec
	s_or_b64 s[42:43], s[42:43], s[46:47]
.LBB616_134:                            ;   in Loop: Header=BB616_135 Depth=1
	s_and_b64 s[46:47], exec, s[42:43]
	s_or_b64 s[40:41], s[46:47], s[40:41]
	v_mov_b64_e32 v[34:35], s[44:45]
	s_andn2_b64 exec, exec, s[40:41]
	s_cbranch_execz .LBB616_137
.LBB616_135:                            ; =>This Inner Loop Header: Depth=1
	s_or_b64 s[42:43], s[42:43], exec
	s_cmp_eq_u64 s[38:39], s[44:45]
	s_cbranch_scc0 .LBB616_133
; %bb.136:                              ;   in Loop: Header=BB616_135 Depth=1
                                        ; implicit-def: $vgpr30_vgpr31
                                        ; implicit-def: $vgpr32_vgpr33
	s_mov_b64 s[44:45], s[26:27]
	s_branch .LBB616_134
.LBB616_137:
	s_or_b64 exec, exec, s[40:41]
	v_cmp_gt_i64_e32 vcc, s[26:27], v[34:35]
	s_orn2_b64 s[38:39], vcc, exec
.LBB616_138:
	s_or_b64 exec, exec, s[14:15]
.LBB616_139:
	s_and_b64 s[14:15], s[38:39], exec
.LBB616_140:
	s_or_b64 exec, exec, s[36:37]
	v_cmp_gt_u32_e32 vcc, s3, v42
	s_and_saveexec_b64 s[36:37], vcc
	s_cbranch_execz .LBB616_151
; %bb.141:
	s_and_b64 vcc, exec, s[4:5]
	s_mov_b64 s[38:39], 0
	s_cbranch_vccnz .LBB616_150
; %bb.142:
	s_waitcnt lgkmcnt(0)
	v_mul_lo_u32 v32, v19, s26
	v_mul_lo_u32 v33, v18, s27
	v_mad_u64_u32 v[30:31], s[18:19], v18, s26, 0
	v_add3_u32 v31, v31, v33, v32
	v_mul_lo_u32 v32, v21, s26
	v_mul_lo_u32 v33, v20, s27
	v_mad_u64_u32 v[34:35], s[18:19], v20, s26, 0
	v_add3_u32 v35, v35, v33, v32
	v_lshl_add_u64 v[32:33], v[30:31], 3, s[28:29]
	v_lshl_add_u64 v[30:31], v[34:35], 3, s[28:29]
	global_load_dwordx2 v[34:35], v[32:33], off
	global_load_dwordx2 v[36:37], v[30:31], off
	s_mov_b64 s[38:39], -1
	s_waitcnt vmcnt(0)
	v_cmp_eq_u64_e32 vcc, v[34:35], v[36:37]
	s_and_saveexec_b64 s[18:19], vcc
	s_cbranch_execz .LBB616_149
; %bb.143:
	s_add_u32 s38, s26, -1
	v_lshl_add_u64 v[30:31], v[30:31], 0, 8
	v_lshl_add_u64 v[32:33], v[32:33], 0, 8
	s_addc_u32 s39, s27, -1
	s_mov_b64 s[40:41], 0
	s_mov_b64 s[44:45], 0
                                        ; implicit-def: $sgpr42_sgpr43
	s_branch .LBB616_146
.LBB616_144:                            ;   in Loop: Header=BB616_146 Depth=1
	global_load_dwordx2 v[34:35], v[32:33], off
	global_load_dwordx2 v[36:37], v[30:31], off
	s_add_u32 s44, s44, 1
	s_addc_u32 s45, s45, 0
	s_andn2_b64 s[42:43], s[42:43], exec
	v_lshl_add_u64 v[30:31], v[30:31], 0, 8
	v_lshl_add_u64 v[32:33], v[32:33], 0, 8
	s_waitcnt vmcnt(0)
	v_cmp_ne_u64_e32 vcc, v[34:35], v[36:37]
	s_and_b64 s[46:47], vcc, exec
	s_or_b64 s[42:43], s[42:43], s[46:47]
.LBB616_145:                            ;   in Loop: Header=BB616_146 Depth=1
	s_and_b64 s[46:47], exec, s[42:43]
	s_or_b64 s[40:41], s[46:47], s[40:41]
	v_mov_b64_e32 v[34:35], s[44:45]
	s_andn2_b64 exec, exec, s[40:41]
	s_cbranch_execz .LBB616_148
.LBB616_146:                            ; =>This Inner Loop Header: Depth=1
	s_or_b64 s[42:43], s[42:43], exec
	s_cmp_eq_u64 s[38:39], s[44:45]
	s_cbranch_scc0 .LBB616_144
; %bb.147:                              ;   in Loop: Header=BB616_146 Depth=1
                                        ; implicit-def: $vgpr30_vgpr31
                                        ; implicit-def: $vgpr32_vgpr33
	s_mov_b64 s[44:45], s[26:27]
	s_branch .LBB616_145
.LBB616_148:
	s_or_b64 exec, exec, s[40:41]
	v_cmp_gt_i64_e32 vcc, s[26:27], v[34:35]
	s_orn2_b64 s[38:39], vcc, exec
.LBB616_149:
	s_or_b64 exec, exec, s[18:19]
.LBB616_150:
	s_and_b64 s[18:19], s[38:39], exec
.LBB616_151:
	s_or_b64 exec, exec, s[36:37]
	v_cmp_gt_u32_e32 vcc, s3, v38
	s_mov_b64 s[36:37], 0
	s_mov_b64 s[38:39], 0
	s_and_saveexec_b64 s[40:41], vcc
	s_cbranch_execz .LBB616_162
; %bb.152:
	s_and_b64 vcc, exec, s[4:5]
	s_mov_b64 s[42:43], 0
	s_cbranch_vccnz .LBB616_161
; %bb.153:
	s_waitcnt lgkmcnt(0)
	v_mul_lo_u32 v32, v25, s26
	v_mul_lo_u32 v33, v24, s27
	v_mad_u64_u32 v[30:31], s[38:39], v24, s26, 0
	v_add3_u32 v31, v31, v33, v32
	v_mul_lo_u32 v32, v19, s26
	v_mul_lo_u32 v33, v18, s27
	v_mad_u64_u32 v[34:35], s[38:39], v18, s26, 0
	v_add3_u32 v35, v35, v33, v32
	v_lshl_add_u64 v[32:33], v[30:31], 3, s[28:29]
	v_lshl_add_u64 v[30:31], v[34:35], 3, s[28:29]
	global_load_dwordx2 v[34:35], v[32:33], off
	global_load_dwordx2 v[36:37], v[30:31], off
	s_mov_b64 s[42:43], -1
	s_waitcnt vmcnt(0)
	v_cmp_eq_u64_e32 vcc, v[34:35], v[36:37]
	s_and_saveexec_b64 s[38:39], vcc
	s_cbranch_execz .LBB616_160
; %bb.154:
	s_add_u32 s42, s26, -1
	v_lshl_add_u64 v[30:31], v[30:31], 0, 8
	v_lshl_add_u64 v[32:33], v[32:33], 0, 8
	s_addc_u32 s43, s27, -1
	s_mov_b64 s[44:45], 0
	s_mov_b64 s[48:49], 0
                                        ; implicit-def: $sgpr46_sgpr47
	s_branch .LBB616_157
.LBB616_155:                            ;   in Loop: Header=BB616_157 Depth=1
	global_load_dwordx2 v[34:35], v[32:33], off
	global_load_dwordx2 v[36:37], v[30:31], off
	s_add_u32 s48, s48, 1
	s_addc_u32 s49, s49, 0
	s_andn2_b64 s[46:47], s[46:47], exec
	v_lshl_add_u64 v[30:31], v[30:31], 0, 8
	v_lshl_add_u64 v[32:33], v[32:33], 0, 8
	s_waitcnt vmcnt(0)
	v_cmp_ne_u64_e32 vcc, v[34:35], v[36:37]
	s_and_b64 s[50:51], vcc, exec
	s_or_b64 s[46:47], s[46:47], s[50:51]
.LBB616_156:                            ;   in Loop: Header=BB616_157 Depth=1
	s_and_b64 s[50:51], exec, s[46:47]
	s_or_b64 s[44:45], s[50:51], s[44:45]
	v_mov_b64_e32 v[34:35], s[48:49]
	s_andn2_b64 exec, exec, s[44:45]
	s_cbranch_execz .LBB616_159
.LBB616_157:                            ; =>This Inner Loop Header: Depth=1
	s_or_b64 s[46:47], s[46:47], exec
	s_cmp_eq_u64 s[42:43], s[48:49]
	s_cbranch_scc0 .LBB616_155
; %bb.158:                              ;   in Loop: Header=BB616_157 Depth=1
                                        ; implicit-def: $vgpr30_vgpr31
                                        ; implicit-def: $vgpr32_vgpr33
	s_mov_b64 s[48:49], s[26:27]
	s_branch .LBB616_156
.LBB616_159:
	s_or_b64 exec, exec, s[44:45]
	v_cmp_gt_i64_e32 vcc, s[26:27], v[34:35]
	s_orn2_b64 s[42:43], vcc, exec
.LBB616_160:
	s_or_b64 exec, exec, s[38:39]
.LBB616_161:
	s_and_b64 s[38:39], s[42:43], exec
.LBB616_162:
	s_or_b64 exec, exec, s[40:41]
	v_cmp_gt_u32_e32 vcc, s3, v41
	s_and_saveexec_b64 s[40:41], vcc
	s_cbranch_execz .LBB616_173
; %bb.163:
	s_and_b64 vcc, exec, s[4:5]
	s_mov_b64 s[42:43], 0
	s_cbranch_vccnz .LBB616_172
; %bb.164:
	s_waitcnt lgkmcnt(0)
	v_mul_lo_u32 v32, v23, s26
	v_mul_lo_u32 v33, v22, s27
	v_mad_u64_u32 v[30:31], s[36:37], v22, s26, 0
	v_add3_u32 v31, v31, v33, v32
	v_mul_lo_u32 v32, v25, s26
	v_mul_lo_u32 v33, v24, s27
	v_mad_u64_u32 v[34:35], s[36:37], v24, s26, 0
	v_add3_u32 v35, v35, v33, v32
	v_lshl_add_u64 v[32:33], v[30:31], 3, s[28:29]
	v_lshl_add_u64 v[30:31], v[34:35], 3, s[28:29]
	global_load_dwordx2 v[34:35], v[32:33], off
	global_load_dwordx2 v[36:37], v[30:31], off
	s_mov_b64 s[42:43], -1
	s_waitcnt vmcnt(0)
	v_cmp_eq_u64_e32 vcc, v[34:35], v[36:37]
	s_and_saveexec_b64 s[36:37], vcc
	s_cbranch_execz .LBB616_171
; %bb.165:
	s_add_u32 s42, s26, -1
	v_lshl_add_u64 v[30:31], v[30:31], 0, 8
	v_lshl_add_u64 v[32:33], v[32:33], 0, 8
	s_addc_u32 s43, s27, -1
	s_mov_b64 s[44:45], 0
	s_mov_b64 s[48:49], 0
                                        ; implicit-def: $sgpr46_sgpr47
	s_branch .LBB616_168
.LBB616_166:                            ;   in Loop: Header=BB616_168 Depth=1
	global_load_dwordx2 v[34:35], v[32:33], off
	global_load_dwordx2 v[36:37], v[30:31], off
	s_add_u32 s48, s48, 1
	s_addc_u32 s49, s49, 0
	s_andn2_b64 s[46:47], s[46:47], exec
	v_lshl_add_u64 v[30:31], v[30:31], 0, 8
	v_lshl_add_u64 v[32:33], v[32:33], 0, 8
	s_waitcnt vmcnt(0)
	v_cmp_ne_u64_e32 vcc, v[34:35], v[36:37]
	s_and_b64 s[50:51], vcc, exec
	s_or_b64 s[46:47], s[46:47], s[50:51]
.LBB616_167:                            ;   in Loop: Header=BB616_168 Depth=1
	s_and_b64 s[50:51], exec, s[46:47]
	s_or_b64 s[44:45], s[50:51], s[44:45]
	v_mov_b64_e32 v[34:35], s[48:49]
	s_andn2_b64 exec, exec, s[44:45]
	s_cbranch_execz .LBB616_170
.LBB616_168:                            ; =>This Inner Loop Header: Depth=1
	s_or_b64 s[46:47], s[46:47], exec
	s_cmp_eq_u64 s[42:43], s[48:49]
	s_cbranch_scc0 .LBB616_166
; %bb.169:                              ;   in Loop: Header=BB616_168 Depth=1
                                        ; implicit-def: $vgpr30_vgpr31
                                        ; implicit-def: $vgpr32_vgpr33
	s_mov_b64 s[48:49], s[26:27]
	s_branch .LBB616_167
.LBB616_170:
	s_or_b64 exec, exec, s[44:45]
	v_cmp_gt_i64_e32 vcc, s[26:27], v[34:35]
	s_orn2_b64 s[42:43], vcc, exec
.LBB616_171:
	s_or_b64 exec, exec, s[36:37]
.LBB616_172:
	s_and_b64 s[36:37], s[42:43], exec
.LBB616_173:
	s_or_b64 exec, exec, s[40:41]
	v_cmp_ne_u32_e32 vcc, 0, v0
	s_waitcnt lgkmcnt(0)
	v_mov_b64_e32 v[30:31], s[6:7]
	s_barrier
	s_and_saveexec_b64 s[6:7], vcc
	s_cbranch_execz .LBB616_175
; %bb.174:
	v_add_u32_e32 v30, -8, v45
	ds_read_b64 v[30:31], v30
.LBB616_175:
	s_or_b64 exec, exec, s[6:7]
	v_cndmask_b32_e64 v33, 0, 1, s[18:19]
	v_cndmask_b32_e64 v32, 0, 1, s[38:39]
	;; [unrolled: 1-line block ×3, first 2 shown]
	v_lshlrev_b16_e32 v33, 8, v33
	v_cmp_gt_u32_e32 vcc, s3, v1
	v_lshlrev_b16_e32 v36, 8, v34
	v_or_b32_sdwa v37, v32, v33 dst_sel:WORD_1 dst_unused:UNUSED_PAD src0_sel:DWORD src1_sel:DWORD
	s_mov_b64 s[18:19], 0
	s_and_saveexec_b64 s[6:7], vcc
	s_cbranch_execz .LBB616_186
; %bb.176:
	s_and_b64 vcc, exec, s[4:5]
	s_cbranch_vccnz .LBB616_185
; %bb.177:
	s_waitcnt lgkmcnt(0)
	v_mul_lo_u32 v32, v31, s26
	v_mul_lo_u32 v33, v30, s27
	v_mad_u64_u32 v[30:31], s[4:5], v30, s26, 0
	v_add3_u32 v31, v31, v33, v32
	v_mul_lo_u32 v32, v23, s26
	v_mul_lo_u32 v33, v22, s27
	v_mad_u64_u32 v[34:35], s[4:5], v22, s26, 0
	v_add3_u32 v35, v35, v33, v32
	v_lshl_add_u64 v[32:33], v[30:31], 3, s[28:29]
	v_lshl_add_u64 v[30:31], v[34:35], 3, s[28:29]
	global_load_dwordx2 v[34:35], v[32:33], off
	global_load_dwordx2 v[46:47], v[30:31], off
	s_mov_b64 s[18:19], -1
	s_waitcnt vmcnt(0)
	v_cmp_eq_u64_e32 vcc, v[34:35], v[46:47]
	s_and_saveexec_b64 s[4:5], vcc
	s_cbranch_execz .LBB616_184
; %bb.178:
	s_add_u32 s18, s26, -1
	v_lshl_add_u64 v[30:31], v[30:31], 0, 8
	v_lshl_add_u64 v[32:33], v[32:33], 0, 8
	s_addc_u32 s19, s27, -1
	s_mov_b64 s[36:37], 0
	s_mov_b64 s[40:41], 0
                                        ; implicit-def: $sgpr38_sgpr39
	s_branch .LBB616_181
.LBB616_179:                            ;   in Loop: Header=BB616_181 Depth=1
	global_load_dwordx2 v[34:35], v[32:33], off
	global_load_dwordx2 v[46:47], v[30:31], off
	s_add_u32 s40, s40, 1
	s_addc_u32 s41, s41, 0
	s_andn2_b64 s[38:39], s[38:39], exec
	v_lshl_add_u64 v[30:31], v[30:31], 0, 8
	v_lshl_add_u64 v[32:33], v[32:33], 0, 8
	s_waitcnt vmcnt(0)
	v_cmp_ne_u64_e32 vcc, v[34:35], v[46:47]
	s_and_b64 s[42:43], vcc, exec
	s_or_b64 s[38:39], s[38:39], s[42:43]
.LBB616_180:                            ;   in Loop: Header=BB616_181 Depth=1
	s_and_b64 s[42:43], exec, s[38:39]
	s_or_b64 s[36:37], s[42:43], s[36:37]
	v_mov_b64_e32 v[34:35], s[40:41]
	s_andn2_b64 exec, exec, s[36:37]
	s_cbranch_execz .LBB616_183
.LBB616_181:                            ; =>This Inner Loop Header: Depth=1
	s_or_b64 s[38:39], s[38:39], exec
	s_cmp_eq_u64 s[18:19], s[40:41]
	s_cbranch_scc0 .LBB616_179
; %bb.182:                              ;   in Loop: Header=BB616_181 Depth=1
                                        ; implicit-def: $vgpr30_vgpr31
                                        ; implicit-def: $vgpr32_vgpr33
	s_mov_b64 s[40:41], s[26:27]
	s_branch .LBB616_180
.LBB616_183:
	s_or_b64 exec, exec, s[36:37]
	v_cmp_gt_i64_e32 vcc, s[26:27], v[34:35]
	s_orn2_b64 s[18:19], vcc, exec
.LBB616_184:
	s_or_b64 exec, exec, s[4:5]
.LBB616_185:
	s_and_b64 s[18:19], s[18:19], exec
.LBB616_186:
	s_or_b64 exec, exec, s[6:7]
	v_cndmask_b32_e64 v46, 0, 1, s[14:15]
	v_cndmask_b32_e64 v47, 0, 1, s[12:13]
	;; [unrolled: 1-line block ×3, first 2 shown]
	v_or_b32_e32 v34, v36, v37
.LBB616_187:
	s_mov_b64 s[10:11], -1
	s_cbranch_execnz .LBB616_46
.LBB616_188:
	s_movk_i32 s4, 0xffd0
	v_mad_i32_i24 v44, v0, s4, v44
	s_mov_b64 s[12:13], 0
	s_waitcnt lgkmcnt(0)
	v_cmp_gt_i64_e64 s[6:7], s[26:27], 0
	s_and_b64 vcc, exec, s[34:35]
	ds_write_b64 v44, v[28:29]
	s_cbranch_vccz .LBB616_196
; %bb.189:
	v_mul_lo_u32 v32, v17, s26
	v_mul_lo_u32 v33, v16, s27
	v_mad_u64_u32 v[30:31], s[4:5], v16, s26, 0
	v_add3_u32 v31, v31, v33, v32
	v_cndmask_b32_e64 v32, 0, 1, s[6:7]
	v_cmp_ne_u32_e64 s[4:5], 1, v32
	s_andn2_b64 vcc, exec, s[6:7]
	v_lshl_add_u64 v[30:31], v[30:31], 3, s[28:29]
	s_cbranch_vccnz .LBB616_199
; %bb.190:
	v_mul_lo_u32 v34, v29, s26
	v_mul_lo_u32 v35, v28, s27
	v_mad_u64_u32 v[32:33], s[12:13], v28, s26, 0
	v_add3_u32 v33, v33, v35, v34
	v_lshl_add_u64 v[32:33], v[32:33], 3, s[28:29]
	global_load_dwordx2 v[34:35], v[30:31], off
	global_load_dwordx2 v[36:37], v[32:33], off
	s_mov_b64 s[12:13], -1
	s_waitcnt vmcnt(0)
	v_cmp_eq_u64_e32 vcc, v[34:35], v[36:37]
	s_and_saveexec_b64 s[14:15], vcc
	s_cbranch_execz .LBB616_198
; %bb.191:
	s_add_u32 s12, s26, -1
	v_lshl_add_u64 v[32:33], v[32:33], 0, 8
	v_lshl_add_u64 v[34:35], v[30:31], 0, 8
	s_addc_u32 s13, s27, -1
	s_mov_b64 s[18:19], 0
	s_mov_b64 s[38:39], 0
                                        ; implicit-def: $sgpr36_sgpr37
	s_branch .LBB616_194
.LBB616_192:                            ;   in Loop: Header=BB616_194 Depth=1
	global_load_dwordx2 v[36:37], v[34:35], off
	global_load_dwordx2 v[46:47], v[32:33], off
	s_add_u32 s38, s38, 1
	s_addc_u32 s39, s39, 0
	s_andn2_b64 s[36:37], s[36:37], exec
	v_lshl_add_u64 v[32:33], v[32:33], 0, 8
	v_lshl_add_u64 v[34:35], v[34:35], 0, 8
	s_waitcnt vmcnt(0)
	v_cmp_ne_u64_e32 vcc, v[36:37], v[46:47]
	s_and_b64 s[40:41], vcc, exec
	s_or_b64 s[36:37], s[36:37], s[40:41]
.LBB616_193:                            ;   in Loop: Header=BB616_194 Depth=1
	s_and_b64 s[40:41], exec, s[36:37]
	s_or_b64 s[18:19], s[40:41], s[18:19]
	v_mov_b64_e32 v[36:37], s[38:39]
	s_andn2_b64 exec, exec, s[18:19]
	s_cbranch_execz .LBB616_197
.LBB616_194:                            ; =>This Inner Loop Header: Depth=1
	s_or_b64 s[36:37], s[36:37], exec
	s_cmp_eq_u64 s[12:13], s[38:39]
	s_cbranch_scc0 .LBB616_192
; %bb.195:                              ;   in Loop: Header=BB616_194 Depth=1
                                        ; implicit-def: $vgpr32_vgpr33
                                        ; implicit-def: $vgpr34_vgpr35
	s_mov_b64 s[38:39], s[26:27]
	s_branch .LBB616_193
.LBB616_196:
                                        ; implicit-def: $sgpr18_sgpr19
                                        ; implicit-def: $vgpr48
                                        ; implicit-def: $vgpr47
                                        ; implicit-def: $vgpr46
                                        ; implicit-def: $vgpr34
                                        ; implicit-def: $vgpr30_vgpr31
	s_cbranch_execnz .LBB616_256
	s_branch .LBB616_336
.LBB616_197:
	s_or_b64 exec, exec, s[18:19]
	v_cmp_gt_i64_e32 vcc, s[26:27], v[36:37]
	s_orn2_b64 s[12:13], vcc, exec
.LBB616_198:
	s_or_b64 exec, exec, s[14:15]
.LBB616_199:
	v_mul_lo_u32 v34, v15, s26
	v_mul_lo_u32 v35, v14, s27
	v_mad_u64_u32 v[32:33], s[14:15], v14, s26, 0
	v_add3_u32 v33, v33, v35, v34
	s_mov_b64 s[14:15], 0
	s_and_b64 vcc, exec, s[4:5]
	v_lshl_add_u64 v[32:33], v[32:33], 3, s[28:29]
	s_mov_b64 s[18:19], 0
	s_cbranch_vccnz .LBB616_208
; %bb.200:
	global_load_dwordx2 v[34:35], v[32:33], off
	global_load_dwordx2 v[36:37], v[30:31], off
	s_mov_b64 s[18:19], -1
	s_waitcnt vmcnt(0)
	v_cmp_eq_u64_e32 vcc, v[34:35], v[36:37]
	s_and_saveexec_b64 s[36:37], vcc
	s_cbranch_execz .LBB616_207
; %bb.201:
	s_add_u32 s18, s26, -1
	v_lshl_add_u64 v[30:31], v[30:31], 0, 8
	v_lshl_add_u64 v[34:35], v[32:33], 0, 8
	s_addc_u32 s19, s27, -1
	s_mov_b64 s[38:39], 0
	s_mov_b64 s[42:43], 0
                                        ; implicit-def: $sgpr40_sgpr41
	s_branch .LBB616_204
.LBB616_202:                            ;   in Loop: Header=BB616_204 Depth=1
	global_load_dwordx2 v[36:37], v[34:35], off
	global_load_dwordx2 v[46:47], v[30:31], off
	s_add_u32 s42, s42, 1
	s_addc_u32 s43, s43, 0
	s_andn2_b64 s[40:41], s[40:41], exec
	v_lshl_add_u64 v[30:31], v[30:31], 0, 8
	v_lshl_add_u64 v[34:35], v[34:35], 0, 8
	s_waitcnt vmcnt(0)
	v_cmp_ne_u64_e32 vcc, v[36:37], v[46:47]
	s_and_b64 s[44:45], vcc, exec
	s_or_b64 s[40:41], s[40:41], s[44:45]
.LBB616_203:                            ;   in Loop: Header=BB616_204 Depth=1
	s_and_b64 s[44:45], exec, s[40:41]
	s_or_b64 s[38:39], s[44:45], s[38:39]
	v_mov_b64_e32 v[36:37], s[42:43]
	s_andn2_b64 exec, exec, s[38:39]
	s_cbranch_execz .LBB616_206
.LBB616_204:                            ; =>This Inner Loop Header: Depth=1
	s_or_b64 s[40:41], s[40:41], exec
	s_cmp_eq_u64 s[18:19], s[42:43]
	s_cbranch_scc0 .LBB616_202
; %bb.205:                              ;   in Loop: Header=BB616_204 Depth=1
                                        ; implicit-def: $vgpr30_vgpr31
                                        ; implicit-def: $vgpr34_vgpr35
	s_mov_b64 s[42:43], s[26:27]
	s_branch .LBB616_203
.LBB616_206:
	s_or_b64 exec, exec, s[38:39]
	v_cmp_gt_i64_e32 vcc, s[26:27], v[36:37]
	s_orn2_b64 s[18:19], vcc, exec
.LBB616_207:
	s_or_b64 exec, exec, s[36:37]
.LBB616_208:
	v_mul_lo_u32 v34, v21, s26
	v_mul_lo_u32 v35, v20, s27
	v_mad_u64_u32 v[30:31], s[36:37], v20, s26, 0
	v_add3_u32 v31, v31, v35, v34
	s_and_b64 vcc, exec, s[4:5]
	v_lshl_add_u64 v[30:31], v[30:31], 3, s[28:29]
	s_cbranch_vccnz .LBB616_217
; %bb.209:
	global_load_dwordx2 v[34:35], v[30:31], off
	global_load_dwordx2 v[36:37], v[32:33], off
	s_mov_b64 s[14:15], -1
	s_waitcnt vmcnt(0)
	v_cmp_eq_u64_e32 vcc, v[34:35], v[36:37]
	s_and_saveexec_b64 s[36:37], vcc
	s_cbranch_execz .LBB616_216
; %bb.210:
	s_add_u32 s14, s26, -1
	v_lshl_add_u64 v[32:33], v[32:33], 0, 8
	v_lshl_add_u64 v[34:35], v[30:31], 0, 8
	s_addc_u32 s15, s27, -1
	s_mov_b64 s[38:39], 0
	s_mov_b64 s[42:43], 0
                                        ; implicit-def: $sgpr40_sgpr41
	s_branch .LBB616_213
.LBB616_211:                            ;   in Loop: Header=BB616_213 Depth=1
	global_load_dwordx2 v[36:37], v[34:35], off
	global_load_dwordx2 v[46:47], v[32:33], off
	s_add_u32 s42, s42, 1
	s_addc_u32 s43, s43, 0
	s_andn2_b64 s[40:41], s[40:41], exec
	v_lshl_add_u64 v[32:33], v[32:33], 0, 8
	v_lshl_add_u64 v[34:35], v[34:35], 0, 8
	s_waitcnt vmcnt(0)
	v_cmp_ne_u64_e32 vcc, v[36:37], v[46:47]
	s_and_b64 s[44:45], vcc, exec
	s_or_b64 s[40:41], s[40:41], s[44:45]
.LBB616_212:                            ;   in Loop: Header=BB616_213 Depth=1
	s_and_b64 s[44:45], exec, s[40:41]
	s_or_b64 s[38:39], s[44:45], s[38:39]
	v_mov_b64_e32 v[36:37], s[42:43]
	s_andn2_b64 exec, exec, s[38:39]
	s_cbranch_execz .LBB616_215
.LBB616_213:                            ; =>This Inner Loop Header: Depth=1
	s_or_b64 s[40:41], s[40:41], exec
	s_cmp_eq_u64 s[14:15], s[42:43]
	s_cbranch_scc0 .LBB616_211
; %bb.214:                              ;   in Loop: Header=BB616_213 Depth=1
                                        ; implicit-def: $vgpr32_vgpr33
                                        ; implicit-def: $vgpr34_vgpr35
	s_mov_b64 s[42:43], s[26:27]
	s_branch .LBB616_212
.LBB616_215:
	s_or_b64 exec, exec, s[38:39]
	v_cmp_gt_i64_e32 vcc, s[26:27], v[36:37]
	s_orn2_b64 s[14:15], vcc, exec
.LBB616_216:
	s_or_b64 exec, exec, s[36:37]
.LBB616_217:
	v_mul_lo_u32 v34, v19, s26
	v_mul_lo_u32 v35, v18, s27
	v_mad_u64_u32 v[32:33], s[36:37], v18, s26, 0
	v_add3_u32 v33, v33, v35, v34
	s_mov_b64 s[36:37], 0
	s_and_b64 vcc, exec, s[4:5]
	v_lshl_add_u64 v[32:33], v[32:33], 3, s[28:29]
	s_mov_b64 s[38:39], 0
	s_cbranch_vccnz .LBB616_226
; %bb.218:
	global_load_dwordx2 v[34:35], v[32:33], off
	global_load_dwordx2 v[36:37], v[30:31], off
	s_mov_b64 s[38:39], -1
	s_waitcnt vmcnt(0)
	v_cmp_eq_u64_e32 vcc, v[34:35], v[36:37]
	s_and_saveexec_b64 s[40:41], vcc
	s_cbranch_execz .LBB616_225
; %bb.219:
	s_add_u32 s38, s26, -1
	v_lshl_add_u64 v[30:31], v[30:31], 0, 8
	v_lshl_add_u64 v[34:35], v[32:33], 0, 8
	s_addc_u32 s39, s27, -1
	s_mov_b64 s[42:43], 0
	s_mov_b64 s[46:47], 0
                                        ; implicit-def: $sgpr44_sgpr45
	s_branch .LBB616_222
.LBB616_220:                            ;   in Loop: Header=BB616_222 Depth=1
	global_load_dwordx2 v[36:37], v[34:35], off
	global_load_dwordx2 v[46:47], v[30:31], off
	s_add_u32 s46, s46, 1
	s_addc_u32 s47, s47, 0
	s_andn2_b64 s[44:45], s[44:45], exec
	v_lshl_add_u64 v[30:31], v[30:31], 0, 8
	v_lshl_add_u64 v[34:35], v[34:35], 0, 8
	s_waitcnt vmcnt(0)
	v_cmp_ne_u64_e32 vcc, v[36:37], v[46:47]
	s_and_b64 s[48:49], vcc, exec
	s_or_b64 s[44:45], s[44:45], s[48:49]
.LBB616_221:                            ;   in Loop: Header=BB616_222 Depth=1
	s_and_b64 s[48:49], exec, s[44:45]
	s_or_b64 s[42:43], s[48:49], s[42:43]
	v_mov_b64_e32 v[36:37], s[46:47]
	s_andn2_b64 exec, exec, s[42:43]
	s_cbranch_execz .LBB616_224
.LBB616_222:                            ; =>This Inner Loop Header: Depth=1
	s_or_b64 s[44:45], s[44:45], exec
	s_cmp_eq_u64 s[38:39], s[46:47]
	s_cbranch_scc0 .LBB616_220
; %bb.223:                              ;   in Loop: Header=BB616_222 Depth=1
                                        ; implicit-def: $vgpr30_vgpr31
                                        ; implicit-def: $vgpr34_vgpr35
	s_mov_b64 s[46:47], s[26:27]
	s_branch .LBB616_221
.LBB616_224:
	s_or_b64 exec, exec, s[42:43]
	v_cmp_gt_i64_e32 vcc, s[26:27], v[36:37]
	s_orn2_b64 s[38:39], vcc, exec
.LBB616_225:
	s_or_b64 exec, exec, s[40:41]
.LBB616_226:
	v_mul_lo_u32 v34, v25, s26
	v_mul_lo_u32 v35, v24, s27
	v_mad_u64_u32 v[30:31], s[40:41], v24, s26, 0
	v_add3_u32 v31, v31, v35, v34
	s_and_b64 vcc, exec, s[4:5]
	v_lshl_add_u64 v[30:31], v[30:31], 3, s[28:29]
	s_cbranch_vccnz .LBB616_235
; %bb.227:
	global_load_dwordx2 v[34:35], v[30:31], off
	global_load_dwordx2 v[36:37], v[32:33], off
	s_mov_b64 s[36:37], -1
	s_waitcnt vmcnt(0)
	v_cmp_eq_u64_e32 vcc, v[34:35], v[36:37]
	s_and_saveexec_b64 s[40:41], vcc
	s_cbranch_execz .LBB616_234
; %bb.228:
	s_add_u32 s36, s26, -1
	v_lshl_add_u64 v[32:33], v[32:33], 0, 8
	v_lshl_add_u64 v[34:35], v[30:31], 0, 8
	s_addc_u32 s37, s27, -1
	s_mov_b64 s[42:43], 0
	s_mov_b64 s[46:47], 0
                                        ; implicit-def: $sgpr44_sgpr45
	s_branch .LBB616_231
.LBB616_229:                            ;   in Loop: Header=BB616_231 Depth=1
	global_load_dwordx2 v[36:37], v[34:35], off
	global_load_dwordx2 v[46:47], v[32:33], off
	s_add_u32 s46, s46, 1
	s_addc_u32 s47, s47, 0
	s_andn2_b64 s[44:45], s[44:45], exec
	v_lshl_add_u64 v[32:33], v[32:33], 0, 8
	v_lshl_add_u64 v[34:35], v[34:35], 0, 8
	s_waitcnt vmcnt(0)
	v_cmp_ne_u64_e32 vcc, v[36:37], v[46:47]
	s_and_b64 s[48:49], vcc, exec
	s_or_b64 s[44:45], s[44:45], s[48:49]
.LBB616_230:                            ;   in Loop: Header=BB616_231 Depth=1
	s_and_b64 s[48:49], exec, s[44:45]
	s_or_b64 s[42:43], s[48:49], s[42:43]
	v_mov_b64_e32 v[36:37], s[46:47]
	s_andn2_b64 exec, exec, s[42:43]
	s_cbranch_execz .LBB616_233
.LBB616_231:                            ; =>This Inner Loop Header: Depth=1
	s_or_b64 s[44:45], s[44:45], exec
	s_cmp_eq_u64 s[36:37], s[46:47]
	s_cbranch_scc0 .LBB616_229
; %bb.232:                              ;   in Loop: Header=BB616_231 Depth=1
                                        ; implicit-def: $vgpr32_vgpr33
                                        ; implicit-def: $vgpr34_vgpr35
	s_mov_b64 s[46:47], s[26:27]
	s_branch .LBB616_230
.LBB616_233:
	s_or_b64 exec, exec, s[42:43]
	v_cmp_gt_i64_e32 vcc, s[26:27], v[36:37]
	s_orn2_b64 s[36:37], vcc, exec
.LBB616_234:
	s_or_b64 exec, exec, s[40:41]
.LBB616_235:
	v_mul_lo_u32 v34, v23, s26
	v_mul_lo_u32 v35, v22, s27
	v_mad_u64_u32 v[32:33], s[40:41], v22, s26, 0
	v_add3_u32 v33, v33, v35, v34
	s_and_b64 vcc, exec, s[4:5]
	s_mov_b64 s[42:43], 0
	s_cbranch_vccnz .LBB616_244
; %bb.236:
	v_lshl_add_u64 v[34:35], v[32:33], 3, s[28:29]
	global_load_dwordx2 v[36:37], v[34:35], off
	global_load_dwordx2 v[46:47], v[30:31], off
	s_mov_b64 s[42:43], -1
	s_waitcnt vmcnt(0)
	v_cmp_eq_u64_e32 vcc, v[36:37], v[46:47]
	s_and_saveexec_b64 s[40:41], vcc
	s_cbranch_execz .LBB616_243
; %bb.237:
	s_add_u32 s42, s26, -1
	v_lshl_add_u64 v[30:31], v[30:31], 0, 8
	v_lshl_add_u64 v[34:35], v[34:35], 0, 8
	s_addc_u32 s43, s27, -1
	s_mov_b64 s[44:45], 0
	s_mov_b64 s[48:49], 0
                                        ; implicit-def: $sgpr46_sgpr47
	s_branch .LBB616_240
.LBB616_238:                            ;   in Loop: Header=BB616_240 Depth=1
	global_load_dwordx2 v[36:37], v[34:35], off
	global_load_dwordx2 v[46:47], v[30:31], off
	s_add_u32 s48, s48, 1
	s_addc_u32 s49, s49, 0
	s_andn2_b64 s[46:47], s[46:47], exec
	v_lshl_add_u64 v[30:31], v[30:31], 0, 8
	v_lshl_add_u64 v[34:35], v[34:35], 0, 8
	s_waitcnt vmcnt(0)
	v_cmp_ne_u64_e32 vcc, v[36:37], v[46:47]
	s_and_b64 s[50:51], vcc, exec
	s_or_b64 s[46:47], s[46:47], s[50:51]
.LBB616_239:                            ;   in Loop: Header=BB616_240 Depth=1
	s_and_b64 s[50:51], exec, s[46:47]
	s_or_b64 s[44:45], s[50:51], s[44:45]
	v_mov_b64_e32 v[36:37], s[48:49]
	s_andn2_b64 exec, exec, s[44:45]
	s_cbranch_execz .LBB616_242
.LBB616_240:                            ; =>This Inner Loop Header: Depth=1
	s_or_b64 s[46:47], s[46:47], exec
	s_cmp_eq_u64 s[42:43], s[48:49]
	s_cbranch_scc0 .LBB616_238
; %bb.241:                              ;   in Loop: Header=BB616_240 Depth=1
                                        ; implicit-def: $vgpr30_vgpr31
                                        ; implicit-def: $vgpr34_vgpr35
	s_mov_b64 s[48:49], s[26:27]
	s_branch .LBB616_239
.LBB616_242:
	s_or_b64 exec, exec, s[44:45]
	v_cmp_gt_i64_e32 vcc, s[26:27], v[36:37]
	s_orn2_b64 s[42:43], vcc, exec
.LBB616_243:
	s_or_b64 exec, exec, s[40:41]
.LBB616_244:
	v_cndmask_b32_e64 v31, 0, 1, s[38:39]
	v_cndmask_b32_e64 v30, 0, 1, s[36:37]
	;; [unrolled: 1-line block ×3, first 2 shown]
	v_lshlrev_b16_e32 v31, 8, v31
	v_cndmask_b32_e64 v46, 0, 1, s[14:15]
	v_cndmask_b32_e64 v34, 0, 1, s[42:43]
	v_or_b32_sdwa v30, v30, v31 dst_sel:WORD_1 dst_unused:UNUSED_PAD src0_sel:DWORD src1_sel:DWORD
	v_lshlrev_b16_e32 v31, 8, v47
	v_lshlrev_b16_e32 v34, 8, v34
	v_or_b32_e32 v31, v46, v31
	v_or_b32_e32 v34, 1, v34
	v_and_b32_e32 v31, 0xffff, v31
	v_cndmask_b32_e64 v48, 0, 1, s[12:13]
	v_or_b32_sdwa v30, v34, v30 dst_sel:DWORD dst_unused:UNUSED_PAD src0_sel:WORD_0 src1_sel:DWORD
	v_lshl_or_b32 v31, v48, 16, v31
	v_cmp_ne_u32_e32 vcc, 0, v0
	s_waitcnt lgkmcnt(0)
	s_barrier
	s_waitcnt lgkmcnt(0)
                                        ; implicit-def: $sgpr18_sgpr19
                                        ; implicit-def: $vgpr34
	s_and_saveexec_b64 s[12:13], vcc
	s_xor_b64 s[12:13], exec, s[12:13]
	s_cbranch_execz .LBB616_255
; %bb.245:
	s_mov_b32 s33, 0x3020104
	s_and_b64 vcc, exec, s[4:5]
	s_mov_b64 s[14:15], 0
	s_cbranch_vccnz .LBB616_254
; %bb.246:
	v_add_u32_e32 v31, -8, v44
	ds_read_b64 v[34:35], v31
	v_lshl_add_u64 v[32:33], v[32:33], 3, s[28:29]
	s_mov_b64 s[14:15], -1
	s_waitcnt lgkmcnt(0)
	v_mul_lo_u32 v31, v35, s26
	v_mul_lo_u32 v36, v34, s27
	v_mad_u64_u32 v[34:35], s[4:5], v34, s26, 0
	v_add3_u32 v35, v35, v36, v31
	v_lshl_add_u64 v[34:35], v[34:35], 3, s[28:29]
	global_load_dwordx2 v[36:37], v[34:35], off
	global_load_dwordx2 v[50:51], v[32:33], off
	s_waitcnt vmcnt(0)
	v_cmp_eq_u64_e32 vcc, v[36:37], v[50:51]
	s_and_saveexec_b64 s[4:5], vcc
	s_cbranch_execz .LBB616_253
; %bb.247:
	s_add_u32 s14, s26, -1
	v_lshl_add_u64 v[32:33], v[32:33], 0, 8
	v_lshl_add_u64 v[34:35], v[34:35], 0, 8
	s_addc_u32 s15, s27, -1
	s_mov_b64 s[18:19], 0
	s_mov_b64 s[38:39], 0
                                        ; implicit-def: $sgpr36_sgpr37
	s_branch .LBB616_250
.LBB616_248:                            ;   in Loop: Header=BB616_250 Depth=1
	global_load_dwordx2 v[36:37], v[34:35], off
	global_load_dwordx2 v[50:51], v[32:33], off
	s_add_u32 s38, s38, 1
	s_addc_u32 s39, s39, 0
	s_andn2_b64 s[36:37], s[36:37], exec
	v_lshl_add_u64 v[32:33], v[32:33], 0, 8
	v_lshl_add_u64 v[34:35], v[34:35], 0, 8
	s_waitcnt vmcnt(0)
	v_cmp_ne_u64_e32 vcc, v[36:37], v[50:51]
	s_and_b64 s[40:41], vcc, exec
	s_or_b64 s[36:37], s[36:37], s[40:41]
.LBB616_249:                            ;   in Loop: Header=BB616_250 Depth=1
	s_and_b64 s[40:41], exec, s[36:37]
	s_or_b64 s[18:19], s[40:41], s[18:19]
	v_mov_b64_e32 v[36:37], s[38:39]
	s_andn2_b64 exec, exec, s[18:19]
	s_cbranch_execz .LBB616_252
.LBB616_250:                            ; =>This Inner Loop Header: Depth=1
	s_or_b64 s[36:37], s[36:37], exec
	s_cmp_eq_u64 s[14:15], s[38:39]
	s_cbranch_scc0 .LBB616_248
; %bb.251:                              ;   in Loop: Header=BB616_250 Depth=1
                                        ; implicit-def: $vgpr32_vgpr33
                                        ; implicit-def: $vgpr34_vgpr35
	s_mov_b64 s[38:39], s[26:27]
	s_branch .LBB616_249
.LBB616_252:
	s_or_b64 exec, exec, s[18:19]
	v_cmp_gt_i64_e32 vcc, s[26:27], v[36:37]
	s_orn2_b64 s[14:15], vcc, exec
.LBB616_253:
	s_or_b64 exec, exec, s[4:5]
.LBB616_254:
	v_perm_b32 v34, v30, v30, s33
	s_and_b64 s[18:19], s[14:15], exec
	s_or_b64 s[10:11], s[10:11], exec
                                        ; implicit-def: $vgpr30_vgpr31
.LBB616_255:
	s_or_b64 exec, exec, s[12:13]
	s_branch .LBB616_336
.LBB616_256:
	v_cmp_gt_u32_e32 vcc, s3, v40
	s_mov_b64 s[12:13], 0
	s_mov_b64 s[4:5], 0
	s_and_saveexec_b64 s[14:15], vcc
	s_cbranch_execz .LBB616_267
; %bb.257:
	s_andn2_b64 vcc, exec, s[6:7]
	s_mov_b64 s[18:19], 0
	s_cbranch_vccnz .LBB616_266
; %bb.258:
	v_mul_lo_u32 v32, v17, s26
	v_mul_lo_u32 v33, v16, s27
	v_mad_u64_u32 v[30:31], s[4:5], v16, s26, 0
	v_add3_u32 v31, v31, v33, v32
	v_mul_lo_u32 v32, v29, s26
	v_mul_lo_u32 v33, v28, s27
	v_mad_u64_u32 v[34:35], s[4:5], v28, s26, 0
	v_add3_u32 v35, v35, v33, v32
	v_lshl_add_u64 v[32:33], v[30:31], 3, s[28:29]
	v_lshl_add_u64 v[30:31], v[34:35], 3, s[28:29]
	global_load_dwordx2 v[34:35], v[32:33], off
	global_load_dwordx2 v[36:37], v[30:31], off
	s_mov_b64 s[18:19], -1
	s_waitcnt vmcnt(0)
	v_cmp_eq_u64_e32 vcc, v[34:35], v[36:37]
	s_and_saveexec_b64 s[4:5], vcc
	s_cbranch_execz .LBB616_265
; %bb.259:
	s_add_u32 s18, s26, -1
	v_lshl_add_u64 v[30:31], v[30:31], 0, 8
	v_lshl_add_u64 v[32:33], v[32:33], 0, 8
	s_addc_u32 s19, s27, -1
	s_mov_b64 s[36:37], 0
	s_mov_b64 s[40:41], 0
                                        ; implicit-def: $sgpr38_sgpr39
	s_branch .LBB616_262
.LBB616_260:                            ;   in Loop: Header=BB616_262 Depth=1
	global_load_dwordx2 v[34:35], v[32:33], off
	global_load_dwordx2 v[36:37], v[30:31], off
	s_add_u32 s40, s40, 1
	s_addc_u32 s41, s41, 0
	s_andn2_b64 s[38:39], s[38:39], exec
	v_lshl_add_u64 v[30:31], v[30:31], 0, 8
	v_lshl_add_u64 v[32:33], v[32:33], 0, 8
	s_waitcnt vmcnt(0)
	v_cmp_ne_u64_e32 vcc, v[34:35], v[36:37]
	s_and_b64 s[42:43], vcc, exec
	s_or_b64 s[38:39], s[38:39], s[42:43]
.LBB616_261:                            ;   in Loop: Header=BB616_262 Depth=1
	s_and_b64 s[42:43], exec, s[38:39]
	s_or_b64 s[36:37], s[42:43], s[36:37]
	v_mov_b64_e32 v[34:35], s[40:41]
	s_andn2_b64 exec, exec, s[36:37]
	s_cbranch_execz .LBB616_264
.LBB616_262:                            ; =>This Inner Loop Header: Depth=1
	s_or_b64 s[38:39], s[38:39], exec
	s_cmp_eq_u64 s[18:19], s[40:41]
	s_cbranch_scc0 .LBB616_260
; %bb.263:                              ;   in Loop: Header=BB616_262 Depth=1
                                        ; implicit-def: $vgpr30_vgpr31
                                        ; implicit-def: $vgpr32_vgpr33
	s_mov_b64 s[40:41], s[26:27]
	s_branch .LBB616_261
.LBB616_264:
	s_or_b64 exec, exec, s[36:37]
	v_cmp_gt_i64_e32 vcc, s[26:27], v[34:35]
	s_orn2_b64 s[18:19], vcc, exec
.LBB616_265:
	s_or_b64 exec, exec, s[4:5]
.LBB616_266:
	s_and_b64 s[4:5], s[18:19], exec
.LBB616_267:
	s_or_b64 exec, exec, s[14:15]
	v_cmp_gt_u32_e32 vcc, s3, v43
	s_and_saveexec_b64 s[14:15], vcc
	s_cbranch_execz .LBB616_278
; %bb.268:
	s_andn2_b64 vcc, exec, s[6:7]
	s_mov_b64 s[18:19], 0
	s_cbranch_vccnz .LBB616_277
; %bb.269:
	v_mul_lo_u32 v32, v15, s26
	v_mul_lo_u32 v33, v14, s27
	v_mad_u64_u32 v[30:31], s[12:13], v14, s26, 0
	v_add3_u32 v31, v31, v33, v32
	v_mul_lo_u32 v32, v17, s26
	v_mul_lo_u32 v33, v16, s27
	v_mad_u64_u32 v[34:35], s[12:13], v16, s26, 0
	v_add3_u32 v35, v35, v33, v32
	v_lshl_add_u64 v[32:33], v[30:31], 3, s[28:29]
	v_lshl_add_u64 v[30:31], v[34:35], 3, s[28:29]
	global_load_dwordx2 v[34:35], v[32:33], off
	global_load_dwordx2 v[36:37], v[30:31], off
	s_mov_b64 s[18:19], -1
	s_waitcnt vmcnt(0)
	v_cmp_eq_u64_e32 vcc, v[34:35], v[36:37]
	s_and_saveexec_b64 s[12:13], vcc
	s_cbranch_execz .LBB616_276
; %bb.270:
	s_add_u32 s18, s26, -1
	v_lshl_add_u64 v[30:31], v[30:31], 0, 8
	v_lshl_add_u64 v[32:33], v[32:33], 0, 8
	s_addc_u32 s19, s27, -1
	s_mov_b64 s[36:37], 0
	s_mov_b64 s[40:41], 0
                                        ; implicit-def: $sgpr38_sgpr39
	s_branch .LBB616_273
.LBB616_271:                            ;   in Loop: Header=BB616_273 Depth=1
	global_load_dwordx2 v[34:35], v[32:33], off
	global_load_dwordx2 v[36:37], v[30:31], off
	s_add_u32 s40, s40, 1
	s_addc_u32 s41, s41, 0
	s_andn2_b64 s[38:39], s[38:39], exec
	v_lshl_add_u64 v[30:31], v[30:31], 0, 8
	v_lshl_add_u64 v[32:33], v[32:33], 0, 8
	s_waitcnt vmcnt(0)
	v_cmp_ne_u64_e32 vcc, v[34:35], v[36:37]
	s_and_b64 s[42:43], vcc, exec
	s_or_b64 s[38:39], s[38:39], s[42:43]
.LBB616_272:                            ;   in Loop: Header=BB616_273 Depth=1
	s_and_b64 s[42:43], exec, s[38:39]
	s_or_b64 s[36:37], s[42:43], s[36:37]
	v_mov_b64_e32 v[34:35], s[40:41]
	s_andn2_b64 exec, exec, s[36:37]
	s_cbranch_execz .LBB616_275
.LBB616_273:                            ; =>This Inner Loop Header: Depth=1
	s_or_b64 s[38:39], s[38:39], exec
	s_cmp_eq_u64 s[18:19], s[40:41]
	s_cbranch_scc0 .LBB616_271
; %bb.274:                              ;   in Loop: Header=BB616_273 Depth=1
                                        ; implicit-def: $vgpr30_vgpr31
                                        ; implicit-def: $vgpr32_vgpr33
	s_mov_b64 s[40:41], s[26:27]
	s_branch .LBB616_272
.LBB616_275:
	s_or_b64 exec, exec, s[36:37]
	v_cmp_gt_i64_e32 vcc, s[26:27], v[34:35]
	s_orn2_b64 s[18:19], vcc, exec
.LBB616_276:
	s_or_b64 exec, exec, s[12:13]
.LBB616_277:
	s_and_b64 s[12:13], s[18:19], exec
.LBB616_278:
	s_or_b64 exec, exec, s[14:15]
	v_cmp_gt_u32_e32 vcc, s3, v39
	s_mov_b64 s[18:19], 0
	s_mov_b64 s[14:15], 0
	s_and_saveexec_b64 s[36:37], vcc
	s_cbranch_execz .LBB616_289
; %bb.279:
	s_andn2_b64 vcc, exec, s[6:7]
	s_mov_b64 s[38:39], 0
	s_cbranch_vccnz .LBB616_288
; %bb.280:
	v_mul_lo_u32 v32, v21, s26
	v_mul_lo_u32 v33, v20, s27
	v_mad_u64_u32 v[30:31], s[14:15], v20, s26, 0
	v_add3_u32 v31, v31, v33, v32
	v_mul_lo_u32 v32, v15, s26
	v_mul_lo_u32 v33, v14, s27
	v_mad_u64_u32 v[34:35], s[14:15], v14, s26, 0
	v_add3_u32 v35, v35, v33, v32
	v_lshl_add_u64 v[32:33], v[30:31], 3, s[28:29]
	v_lshl_add_u64 v[30:31], v[34:35], 3, s[28:29]
	global_load_dwordx2 v[34:35], v[32:33], off
	global_load_dwordx2 v[36:37], v[30:31], off
	s_mov_b64 s[38:39], -1
	s_waitcnt vmcnt(0)
	v_cmp_eq_u64_e32 vcc, v[34:35], v[36:37]
	s_and_saveexec_b64 s[14:15], vcc
	s_cbranch_execz .LBB616_287
; %bb.281:
	s_add_u32 s38, s26, -1
	v_lshl_add_u64 v[30:31], v[30:31], 0, 8
	v_lshl_add_u64 v[32:33], v[32:33], 0, 8
	s_addc_u32 s39, s27, -1
	s_mov_b64 s[40:41], 0
	s_mov_b64 s[44:45], 0
                                        ; implicit-def: $sgpr42_sgpr43
	s_branch .LBB616_284
.LBB616_282:                            ;   in Loop: Header=BB616_284 Depth=1
	global_load_dwordx2 v[34:35], v[32:33], off
	global_load_dwordx2 v[36:37], v[30:31], off
	s_add_u32 s44, s44, 1
	s_addc_u32 s45, s45, 0
	s_andn2_b64 s[42:43], s[42:43], exec
	v_lshl_add_u64 v[30:31], v[30:31], 0, 8
	v_lshl_add_u64 v[32:33], v[32:33], 0, 8
	s_waitcnt vmcnt(0)
	v_cmp_ne_u64_e32 vcc, v[34:35], v[36:37]
	s_and_b64 s[46:47], vcc, exec
	s_or_b64 s[42:43], s[42:43], s[46:47]
.LBB616_283:                            ;   in Loop: Header=BB616_284 Depth=1
	s_and_b64 s[46:47], exec, s[42:43]
	s_or_b64 s[40:41], s[46:47], s[40:41]
	v_mov_b64_e32 v[34:35], s[44:45]
	s_andn2_b64 exec, exec, s[40:41]
	s_cbranch_execz .LBB616_286
.LBB616_284:                            ; =>This Inner Loop Header: Depth=1
	s_or_b64 s[42:43], s[42:43], exec
	s_cmp_eq_u64 s[38:39], s[44:45]
	s_cbranch_scc0 .LBB616_282
; %bb.285:                              ;   in Loop: Header=BB616_284 Depth=1
                                        ; implicit-def: $vgpr30_vgpr31
                                        ; implicit-def: $vgpr32_vgpr33
	s_mov_b64 s[44:45], s[26:27]
	s_branch .LBB616_283
.LBB616_286:
	s_or_b64 exec, exec, s[40:41]
	v_cmp_gt_i64_e32 vcc, s[26:27], v[34:35]
	s_orn2_b64 s[38:39], vcc, exec
.LBB616_287:
	s_or_b64 exec, exec, s[14:15]
.LBB616_288:
	s_and_b64 s[14:15], s[38:39], exec
.LBB616_289:
	s_or_b64 exec, exec, s[36:37]
	v_cmp_gt_u32_e32 vcc, s3, v42
	s_and_saveexec_b64 s[36:37], vcc
	s_cbranch_execz .LBB616_300
; %bb.290:
	s_andn2_b64 vcc, exec, s[6:7]
	s_mov_b64 s[38:39], 0
	s_cbranch_vccnz .LBB616_299
; %bb.291:
	v_mul_lo_u32 v32, v19, s26
	v_mul_lo_u32 v33, v18, s27
	v_mad_u64_u32 v[30:31], s[18:19], v18, s26, 0
	v_add3_u32 v31, v31, v33, v32
	v_mul_lo_u32 v32, v21, s26
	v_mul_lo_u32 v33, v20, s27
	v_mad_u64_u32 v[34:35], s[18:19], v20, s26, 0
	v_add3_u32 v35, v35, v33, v32
	v_lshl_add_u64 v[32:33], v[30:31], 3, s[28:29]
	v_lshl_add_u64 v[30:31], v[34:35], 3, s[28:29]
	global_load_dwordx2 v[34:35], v[32:33], off
	global_load_dwordx2 v[36:37], v[30:31], off
	s_mov_b64 s[38:39], -1
	s_waitcnt vmcnt(0)
	v_cmp_eq_u64_e32 vcc, v[34:35], v[36:37]
	s_and_saveexec_b64 s[18:19], vcc
	s_cbranch_execz .LBB616_298
; %bb.292:
	s_add_u32 s38, s26, -1
	v_lshl_add_u64 v[30:31], v[30:31], 0, 8
	v_lshl_add_u64 v[32:33], v[32:33], 0, 8
	s_addc_u32 s39, s27, -1
	s_mov_b64 s[40:41], 0
	s_mov_b64 s[44:45], 0
                                        ; implicit-def: $sgpr42_sgpr43
	s_branch .LBB616_295
.LBB616_293:                            ;   in Loop: Header=BB616_295 Depth=1
	global_load_dwordx2 v[34:35], v[32:33], off
	global_load_dwordx2 v[36:37], v[30:31], off
	s_add_u32 s44, s44, 1
	s_addc_u32 s45, s45, 0
	s_andn2_b64 s[42:43], s[42:43], exec
	v_lshl_add_u64 v[30:31], v[30:31], 0, 8
	v_lshl_add_u64 v[32:33], v[32:33], 0, 8
	s_waitcnt vmcnt(0)
	v_cmp_ne_u64_e32 vcc, v[34:35], v[36:37]
	s_and_b64 s[46:47], vcc, exec
	s_or_b64 s[42:43], s[42:43], s[46:47]
.LBB616_294:                            ;   in Loop: Header=BB616_295 Depth=1
	s_and_b64 s[46:47], exec, s[42:43]
	s_or_b64 s[40:41], s[46:47], s[40:41]
	v_mov_b64_e32 v[34:35], s[44:45]
	s_andn2_b64 exec, exec, s[40:41]
	s_cbranch_execz .LBB616_297
.LBB616_295:                            ; =>This Inner Loop Header: Depth=1
	s_or_b64 s[42:43], s[42:43], exec
	s_cmp_eq_u64 s[38:39], s[44:45]
	s_cbranch_scc0 .LBB616_293
; %bb.296:                              ;   in Loop: Header=BB616_295 Depth=1
                                        ; implicit-def: $vgpr30_vgpr31
                                        ; implicit-def: $vgpr32_vgpr33
	s_mov_b64 s[44:45], s[26:27]
	s_branch .LBB616_294
.LBB616_297:
	s_or_b64 exec, exec, s[40:41]
	v_cmp_gt_i64_e32 vcc, s[26:27], v[34:35]
	s_orn2_b64 s[38:39], vcc, exec
.LBB616_298:
	s_or_b64 exec, exec, s[18:19]
.LBB616_299:
	s_and_b64 s[18:19], s[38:39], exec
.LBB616_300:
	s_or_b64 exec, exec, s[36:37]
	v_cmp_gt_u32_e32 vcc, s3, v38
	s_mov_b64 s[36:37], 0
	s_mov_b64 s[38:39], 0
	s_and_saveexec_b64 s[40:41], vcc
	s_cbranch_execz .LBB616_311
; %bb.301:
	s_andn2_b64 vcc, exec, s[6:7]
	s_mov_b64 s[42:43], 0
	s_cbranch_vccnz .LBB616_310
; %bb.302:
	v_mul_lo_u32 v32, v25, s26
	v_mul_lo_u32 v33, v24, s27
	v_mad_u64_u32 v[30:31], s[38:39], v24, s26, 0
	v_add3_u32 v31, v31, v33, v32
	v_mul_lo_u32 v32, v19, s26
	v_mul_lo_u32 v33, v18, s27
	v_mad_u64_u32 v[34:35], s[38:39], v18, s26, 0
	v_add3_u32 v35, v35, v33, v32
	v_lshl_add_u64 v[32:33], v[30:31], 3, s[28:29]
	v_lshl_add_u64 v[30:31], v[34:35], 3, s[28:29]
	global_load_dwordx2 v[34:35], v[32:33], off
	global_load_dwordx2 v[36:37], v[30:31], off
	s_mov_b64 s[42:43], -1
	s_waitcnt vmcnt(0)
	v_cmp_eq_u64_e32 vcc, v[34:35], v[36:37]
	s_and_saveexec_b64 s[38:39], vcc
	s_cbranch_execz .LBB616_309
; %bb.303:
	s_add_u32 s42, s26, -1
	v_lshl_add_u64 v[30:31], v[30:31], 0, 8
	v_lshl_add_u64 v[32:33], v[32:33], 0, 8
	s_addc_u32 s43, s27, -1
	s_mov_b64 s[44:45], 0
	s_mov_b64 s[48:49], 0
                                        ; implicit-def: $sgpr46_sgpr47
	s_branch .LBB616_306
.LBB616_304:                            ;   in Loop: Header=BB616_306 Depth=1
	global_load_dwordx2 v[34:35], v[32:33], off
	global_load_dwordx2 v[36:37], v[30:31], off
	s_add_u32 s48, s48, 1
	s_addc_u32 s49, s49, 0
	s_andn2_b64 s[46:47], s[46:47], exec
	v_lshl_add_u64 v[30:31], v[30:31], 0, 8
	v_lshl_add_u64 v[32:33], v[32:33], 0, 8
	s_waitcnt vmcnt(0)
	v_cmp_ne_u64_e32 vcc, v[34:35], v[36:37]
	s_and_b64 s[50:51], vcc, exec
	s_or_b64 s[46:47], s[46:47], s[50:51]
.LBB616_305:                            ;   in Loop: Header=BB616_306 Depth=1
	s_and_b64 s[50:51], exec, s[46:47]
	s_or_b64 s[44:45], s[50:51], s[44:45]
	v_mov_b64_e32 v[34:35], s[48:49]
	s_andn2_b64 exec, exec, s[44:45]
	s_cbranch_execz .LBB616_308
.LBB616_306:                            ; =>This Inner Loop Header: Depth=1
	s_or_b64 s[46:47], s[46:47], exec
	s_cmp_eq_u64 s[42:43], s[48:49]
	s_cbranch_scc0 .LBB616_304
; %bb.307:                              ;   in Loop: Header=BB616_306 Depth=1
                                        ; implicit-def: $vgpr30_vgpr31
                                        ; implicit-def: $vgpr32_vgpr33
	s_mov_b64 s[48:49], s[26:27]
	s_branch .LBB616_305
.LBB616_308:
	s_or_b64 exec, exec, s[44:45]
	v_cmp_gt_i64_e32 vcc, s[26:27], v[34:35]
	s_orn2_b64 s[42:43], vcc, exec
.LBB616_309:
	s_or_b64 exec, exec, s[38:39]
.LBB616_310:
	s_and_b64 s[38:39], s[42:43], exec
.LBB616_311:
	s_or_b64 exec, exec, s[40:41]
	v_cmp_gt_u32_e32 vcc, s3, v41
	s_and_saveexec_b64 s[40:41], vcc
	s_cbranch_execz .LBB616_322
; %bb.312:
	s_andn2_b64 vcc, exec, s[6:7]
	s_mov_b64 s[42:43], 0
	s_cbranch_vccnz .LBB616_321
; %bb.313:
	v_mul_lo_u32 v32, v23, s26
	v_mul_lo_u32 v33, v22, s27
	v_mad_u64_u32 v[30:31], s[36:37], v22, s26, 0
	v_add3_u32 v31, v31, v33, v32
	v_mul_lo_u32 v32, v25, s26
	v_mul_lo_u32 v33, v24, s27
	v_mad_u64_u32 v[34:35], s[36:37], v24, s26, 0
	v_add3_u32 v35, v35, v33, v32
	v_lshl_add_u64 v[32:33], v[30:31], 3, s[28:29]
	v_lshl_add_u64 v[30:31], v[34:35], 3, s[28:29]
	global_load_dwordx2 v[34:35], v[32:33], off
	global_load_dwordx2 v[36:37], v[30:31], off
	s_mov_b64 s[42:43], -1
	s_waitcnt vmcnt(0)
	v_cmp_eq_u64_e32 vcc, v[34:35], v[36:37]
	s_and_saveexec_b64 s[36:37], vcc
	s_cbranch_execz .LBB616_320
; %bb.314:
	s_add_u32 s42, s26, -1
	v_lshl_add_u64 v[30:31], v[30:31], 0, 8
	v_lshl_add_u64 v[32:33], v[32:33], 0, 8
	s_addc_u32 s43, s27, -1
	s_mov_b64 s[44:45], 0
	s_mov_b64 s[48:49], 0
                                        ; implicit-def: $sgpr46_sgpr47
	s_branch .LBB616_317
.LBB616_315:                            ;   in Loop: Header=BB616_317 Depth=1
	global_load_dwordx2 v[34:35], v[32:33], off
	global_load_dwordx2 v[36:37], v[30:31], off
	s_add_u32 s48, s48, 1
	s_addc_u32 s49, s49, 0
	s_andn2_b64 s[46:47], s[46:47], exec
	v_lshl_add_u64 v[30:31], v[30:31], 0, 8
	v_lshl_add_u64 v[32:33], v[32:33], 0, 8
	s_waitcnt vmcnt(0)
	v_cmp_ne_u64_e32 vcc, v[34:35], v[36:37]
	s_and_b64 s[50:51], vcc, exec
	s_or_b64 s[46:47], s[46:47], s[50:51]
.LBB616_316:                            ;   in Loop: Header=BB616_317 Depth=1
	s_and_b64 s[50:51], exec, s[46:47]
	s_or_b64 s[44:45], s[50:51], s[44:45]
	v_mov_b64_e32 v[34:35], s[48:49]
	s_andn2_b64 exec, exec, s[44:45]
	s_cbranch_execz .LBB616_319
.LBB616_317:                            ; =>This Inner Loop Header: Depth=1
	s_or_b64 s[46:47], s[46:47], exec
	s_cmp_eq_u64 s[42:43], s[48:49]
	s_cbranch_scc0 .LBB616_315
; %bb.318:                              ;   in Loop: Header=BB616_317 Depth=1
                                        ; implicit-def: $vgpr30_vgpr31
                                        ; implicit-def: $vgpr32_vgpr33
	s_mov_b64 s[48:49], s[26:27]
	s_branch .LBB616_316
.LBB616_319:
	s_or_b64 exec, exec, s[44:45]
	v_cmp_gt_i64_e32 vcc, s[26:27], v[34:35]
	s_orn2_b64 s[42:43], vcc, exec
.LBB616_320:
	s_or_b64 exec, exec, s[36:37]
.LBB616_321:
	s_and_b64 s[36:37], s[42:43], exec
.LBB616_322:
	s_or_b64 exec, exec, s[40:41]
	v_cndmask_b32_e64 v31, 0, 1, s[18:19]
	v_cndmask_b32_e64 v30, 0, 1, s[38:39]
	;; [unrolled: 1-line block ×3, first 2 shown]
	v_lshlrev_b16_e32 v31, 8, v31
	v_cndmask_b32_e64 v46, 0, 1, s[14:15]
	v_cndmask_b32_e64 v32, 0, 1, s[36:37]
	v_or_b32_sdwa v30, v30, v31 dst_sel:WORD_1 dst_unused:UNUSED_PAD src0_sel:DWORD src1_sel:DWORD
	v_lshlrev_b16_e32 v31, 8, v47
	v_lshlrev_b16_e32 v32, 8, v32
	v_or_b32_e32 v31, v46, v31
	v_or_b32_e32 v32, 1, v32
	v_and_b32_e32 v31, 0xffff, v31
	v_cndmask_b32_e64 v48, 0, 1, s[4:5]
	v_or_b32_sdwa v30, v32, v30 dst_sel:DWORD dst_unused:UNUSED_PAD src0_sel:WORD_0 src1_sel:DWORD
	v_lshl_or_b32 v31, v48, 16, v31
	v_cmp_ne_u32_e32 vcc, 0, v0
	s_waitcnt lgkmcnt(0)
	s_barrier
	s_waitcnt lgkmcnt(0)
                                        ; implicit-def: $sgpr18_sgpr19
                                        ; implicit-def: $vgpr34
	s_and_saveexec_b64 s[4:5], vcc
	s_cbranch_execz .LBB616_335
; %bb.323:
	v_cmp_gt_u32_e32 vcc, s3, v1
	s_mov_b32 s33, 0x3020104
	s_mov_b64 s[14:15], 0
	s_and_saveexec_b64 s[12:13], vcc
	s_cbranch_execz .LBB616_334
; %bb.324:
	s_andn2_b64 vcc, exec, s[6:7]
	s_cbranch_vccnz .LBB616_333
; %bb.325:
	v_add_u32_e32 v31, -8, v44
	ds_read_b64 v[32:33], v31
	v_mul_lo_u32 v31, v23, s26
	v_mad_u64_u32 v[36:37], s[6:7], v22, s26, 0
	s_mov_b64 s[14:15], -1
	s_waitcnt lgkmcnt(0)
	v_mul_lo_u32 v34, v33, s26
	v_mul_lo_u32 v35, v32, s27
	v_mad_u64_u32 v[32:33], s[6:7], v32, s26, 0
	v_add3_u32 v33, v33, v35, v34
	v_mul_lo_u32 v34, v22, s27
	v_add3_u32 v37, v37, v34, v31
	v_lshl_add_u64 v[34:35], v[32:33], 3, s[28:29]
	v_lshl_add_u64 v[32:33], v[36:37], 3, s[28:29]
	global_load_dwordx2 v[36:37], v[34:35], off
	global_load_dwordx2 v[44:45], v[32:33], off
	s_waitcnt vmcnt(0)
	v_cmp_eq_u64_e32 vcc, v[36:37], v[44:45]
	s_and_saveexec_b64 s[6:7], vcc
	s_cbranch_execz .LBB616_332
; %bb.326:
	s_add_u32 s14, s26, -1
	v_lshl_add_u64 v[32:33], v[32:33], 0, 8
	v_lshl_add_u64 v[34:35], v[34:35], 0, 8
	s_addc_u32 s15, s27, -1
	s_mov_b64 s[18:19], 0
	s_mov_b64 s[36:37], 0
                                        ; implicit-def: $sgpr28_sgpr29
	s_branch .LBB616_329
.LBB616_327:                            ;   in Loop: Header=BB616_329 Depth=1
	global_load_dwordx2 v[36:37], v[34:35], off
	global_load_dwordx2 v[44:45], v[32:33], off
	s_add_u32 s36, s36, 1
	s_addc_u32 s37, s37, 0
	s_andn2_b64 s[28:29], s[28:29], exec
	v_lshl_add_u64 v[32:33], v[32:33], 0, 8
	v_lshl_add_u64 v[34:35], v[34:35], 0, 8
	s_waitcnt vmcnt(0)
	v_cmp_ne_u64_e32 vcc, v[36:37], v[44:45]
	s_and_b64 s[38:39], vcc, exec
	s_or_b64 s[28:29], s[28:29], s[38:39]
.LBB616_328:                            ;   in Loop: Header=BB616_329 Depth=1
	s_and_b64 s[38:39], exec, s[28:29]
	s_or_b64 s[18:19], s[38:39], s[18:19]
	v_mov_b64_e32 v[36:37], s[36:37]
	s_andn2_b64 exec, exec, s[18:19]
	s_cbranch_execz .LBB616_331
.LBB616_329:                            ; =>This Inner Loop Header: Depth=1
	s_or_b64 s[28:29], s[28:29], exec
	s_cmp_eq_u64 s[14:15], s[36:37]
	s_cbranch_scc0 .LBB616_327
; %bb.330:                              ;   in Loop: Header=BB616_329 Depth=1
                                        ; implicit-def: $vgpr32_vgpr33
                                        ; implicit-def: $vgpr34_vgpr35
	s_mov_b64 s[36:37], s[26:27]
	s_branch .LBB616_328
.LBB616_331:
	s_or_b64 exec, exec, s[18:19]
	v_cmp_gt_i64_e32 vcc, s[26:27], v[36:37]
	s_orn2_b64 s[14:15], vcc, exec
.LBB616_332:
	s_or_b64 exec, exec, s[6:7]
.LBB616_333:
	s_and_b64 s[14:15], s[14:15], exec
.LBB616_334:
	s_or_b64 exec, exec, s[12:13]
	v_perm_b32 v34, v30, v30, s33
	s_and_b64 s[18:19], s[14:15], exec
	s_or_b64 s[10:11], s[10:11], exec
                                        ; implicit-def: $vgpr30_vgpr31
.LBB616_335:
	s_or_b64 exec, exec, s[4:5]
.LBB616_336:
	s_and_saveexec_b64 s[4:5], s[10:11]
	s_cbranch_execz .LBB616_338
; %bb.337:
	s_waitcnt lgkmcnt(0)
	v_lshlrev_b16_e32 v31, 8, v47
	v_and_b32_e32 v32, 0xff, v48
	v_or_b32_sdwa v31, v46, v31 dst_sel:DWORD dst_unused:UNUSED_PAD src0_sel:BYTE_0 src1_sel:DWORD
	v_lshlrev_b32_e32 v32, 16, v32
	s_movk_i32 s6, 0xff
	v_or_b32_sdwa v31, v31, v32 dst_sel:DWORD dst_unused:UNUSED_PAD src0_sel:WORD_0 src1_sel:DWORD
	v_lshrrev_b32_e32 v32, 24, v34
	v_lshlrev_b16_e32 v32, 8, v32
	v_and_b32_sdwa v33, v34, s6 dst_sel:DWORD dst_unused:UNUSED_PAD src0_sel:WORD_1 src1_sel:DWORD
	v_or_b32_sdwa v32, v33, v32 dst_sel:WORD_1 dst_unused:UNUSED_PAD src0_sel:DWORD src1_sel:DWORD
	v_mov_b32_e32 v33, 8
	v_cndmask_b32_e64 v30, 0, 1, s[18:19]
	v_lshrrev_b32_sdwa v33, v33, v34 dst_sel:BYTE_1 dst_unused:UNUSED_PAD src0_sel:DWORD src1_sel:DWORD
	s_nop 0
	v_or_b32_e32 v30, v30, v33
	v_or_b32_sdwa v30, v30, v32 dst_sel:DWORD dst_unused:UNUSED_PAD src0_sel:WORD_0 src1_sel:DWORD
.LBB616_338:
	s_or_b64 exec, exec, s[4:5]
	s_andn2_b64 vcc, exec, s[8:9]
	s_cbranch_vccnz .LBB616_340
; %bb.339:
	s_waitcnt lgkmcnt(0)
	v_and_b32_e32 v32, 0xffff0000, v30
	v_cmp_gt_u32_e32 vcc, s3, v1
	s_mov_b32 s4, 0x40c0100
	s_nop 0
	v_cndmask_b32_e32 v1, v32, v30, vcc
	v_and_b32_e32 v1, 0xffff00ff, v1
	v_cmp_gt_u32_e32 vcc, s3, v41
	s_nop 1
	v_cndmask_b32_e32 v1, v1, v30, vcc
	v_lshrrev_b32_e32 v32, 24, v1
	v_perm_b32 v1, v32, v1, s4
	v_cmp_gt_u32_e32 vcc, s3, v38
	v_and_b32_e32 v32, 0xffffff00, v31
	s_nop 0
	v_cndmask_b32_e32 v1, v1, v30, vcc
	v_and_b32_e32 v1, 0xffffff, v1
	v_cmp_gt_u32_e32 vcc, s3, v42
	s_nop 1
	v_cndmask_b32_e32 v1, v1, v30, vcc
	v_cmp_gt_u32_e32 vcc, s3, v39
	s_nop 1
	v_cndmask_b32_e32 v32, v32, v31, vcc
	v_and_b32_e32 v32, 0xffff00ff, v32
	v_cndmask_b32_e32 v1, v1, v30, vcc
	v_cmp_gt_u32_e32 vcc, s3, v43
	s_nop 1
	v_cndmask_b32_e32 v32, v32, v31, vcc
	v_lshrrev_b32_e32 v33, 24, v32
	v_cndmask_b32_e32 v1, v1, v30, vcc
	v_perm_b32 v32, v33, v32, s4
	v_cmp_gt_u32_e32 vcc, s3, v40
	s_mov_b32 s3, 0x3020104
	s_nop 0
	v_cndmask_b32_e32 v1, v1, v30, vcc
	v_cndmask_b32_e32 v30, v32, v31, vcc
	v_mov_b32_e32 v31, 8
	v_lshrrev_b32_sdwa v31, v31, v30 dst_sel:BYTE_1 dst_unused:UNUSED_PAD src0_sel:DWORD src1_sel:DWORD
	s_nop 0
	v_or_b32_sdwa v31, v30, v31 dst_sel:DWORD dst_unused:UNUSED_PAD src0_sel:BYTE_0 src1_sel:DWORD
	v_and_b32_e32 v31, 0xffff, v31
	v_bfe_u32 v30, v30, 16, 8
	v_lshl_or_b32 v31, v30, 16, v31
	v_perm_b32 v30, v1, v1, s3
.LBB616_340:
	s_waitcnt lgkmcnt(0)
	v_and_b32_e32 v1, 0xff, v30
	v_bfe_u32 v43, v30, 8, 8
	v_bfe_u32 v45, v30, 16, 8
	v_alignbit_b32 v32, v31, v30, 24
	v_and_b32_e32 v47, 0xff, v32
	v_and_b32_e32 v48, 0xff, v31
	v_add3_u32 v33, v43, v1, v45
	v_bfe_u32 v49, v31, 8, 8
	v_bfe_u32 v32, v31, 16, 8
	v_add3_u32 v33, v33, v47, v48
	v_add3_u32 v52, v33, v49, v32
	v_mbcnt_lo_u32_b32 v32, -1, 0
	v_mbcnt_hi_u32_b32 v50, -1, v32
	v_and_b32_e32 v32, 15, v50
	v_cmp_eq_u32_e64 s[14:15], 0, v32
	v_cmp_lt_u32_e64 s[12:13], 1, v32
	v_cmp_lt_u32_e64 s[10:11], 3, v32
	v_cmp_lt_u32_e64 s[8:9], 7, v32
	v_and_b32_e32 v32, 16, v50
	v_cmp_eq_u32_e64 s[6:7], 0, v32
	v_or_b32_e32 v32, 63, v0
	v_cmp_lt_u32_e64 s[18:19], 31, v50
	v_lshrrev_b32_e32 v51, 6, v0
	v_cmp_eq_u32_e64 s[4:5], v32, v0
	s_and_b64 vcc, exec, s[16:17]
	s_barrier
	s_cbranch_vccz .LBB616_371
; %bb.341:
	v_mov_b32_dpp v32, v52 row_shr:1 row_mask:0xf bank_mask:0xf
	v_cndmask_b32_e64 v32, v32, 0, s[14:15]
	v_add_u32_e32 v32, v32, v52
	s_nop 1
	v_mov_b32_dpp v33, v32 row_shr:2 row_mask:0xf bank_mask:0xf
	v_cndmask_b32_e64 v33, 0, v33, s[12:13]
	v_add_u32_e32 v32, v32, v33
	s_nop 1
	;; [unrolled: 4-line block ×4, first 2 shown]
	v_mov_b32_dpp v33, v32 row_bcast:15 row_mask:0xf bank_mask:0xf
	v_cndmask_b32_e64 v33, v33, 0, s[6:7]
	v_add_u32_e32 v32, v32, v33
	s_nop 1
	v_mov_b32_dpp v33, v32 row_bcast:31 row_mask:0xf bank_mask:0xf
	v_cndmask_b32_e64 v33, 0, v33, s[18:19]
	v_add_u32_e32 v32, v32, v33
	s_and_saveexec_b64 s[16:17], s[4:5]
	s_cbranch_execz .LBB616_343
; %bb.342:
	v_lshlrev_b32_e32 v33, 2, v51
	ds_write_b32 v33, v32
.LBB616_343:
	s_or_b64 exec, exec, s[16:17]
	v_cmp_gt_u32_e32 vcc, 8, v0
	s_waitcnt lgkmcnt(0)
	s_barrier
	s_and_saveexec_b64 s[16:17], vcc
	s_cbranch_execz .LBB616_345
; %bb.344:
	v_lshlrev_b32_e32 v33, 2, v0
	ds_read_b32 v34, v33
	v_and_b32_e32 v35, 7, v50
	v_cmp_ne_u32_e32 vcc, 0, v35
	s_waitcnt lgkmcnt(0)
	v_mov_b32_dpp v36, v34 row_shr:1 row_mask:0xf bank_mask:0xf
	v_cndmask_b32_e32 v36, 0, v36, vcc
	v_add_u32_e32 v34, v36, v34
	v_cmp_lt_u32_e32 vcc, 1, v35
	s_nop 0
	v_mov_b32_dpp v36, v34 row_shr:2 row_mask:0xf bank_mask:0xf
	v_cndmask_b32_e32 v36, 0, v36, vcc
	v_add_u32_e32 v34, v34, v36
	v_cmp_lt_u32_e32 vcc, 3, v35
	s_nop 0
	v_mov_b32_dpp v36, v34 row_shr:4 row_mask:0xf bank_mask:0xf
	v_cndmask_b32_e32 v35, 0, v36, vcc
	v_add_u32_e32 v34, v34, v35
	ds_write_b32 v33, v34
.LBB616_345:
	s_or_b64 exec, exec, s[16:17]
	v_cmp_gt_u32_e32 vcc, 64, v0
	v_cmp_lt_u32_e64 s[16:17], 63, v0
	s_waitcnt lgkmcnt(0)
	s_barrier
	s_waitcnt lgkmcnt(0)
                                        ; implicit-def: $vgpr42
	s_and_saveexec_b64 s[26:27], s[16:17]
	s_cbranch_execz .LBB616_347
; %bb.346:
	v_lshl_add_u32 v33, v51, 2, -4
	ds_read_b32 v42, v33
	s_waitcnt lgkmcnt(0)
	v_add_u32_e32 v32, v42, v32
.LBB616_347:
	s_or_b64 exec, exec, s[26:27]
	v_add_u32_e32 v33, -1, v50
	v_and_b32_e32 v34, 64, v50
	v_cmp_lt_i32_e64 s[16:17], v33, v34
	s_nop 1
	v_cndmask_b32_e64 v33, v33, v50, s[16:17]
	v_lshlrev_b32_e32 v33, 2, v33
	ds_bpermute_b32 v44, v33, v32
	v_cmp_eq_u32_e64 s[16:17], 0, v50
	s_and_saveexec_b64 s[26:27], vcc
	s_cbranch_execz .LBB616_370
; %bb.348:
	v_mov_b32_e32 v41, 0
	ds_read_b32 v32, v41 offset:28
	s_and_saveexec_b64 s[28:29], s[16:17]
	s_cbranch_execz .LBB616_350
; %bb.349:
	s_add_i32 s36, s2, 64
	s_mov_b32 s37, 0
	s_lshl_b64 s[36:37], s[36:37], 3
	s_add_u32 s36, s30, s36
	v_mov_b32_e32 v33, 1
	s_addc_u32 s37, s31, s37
	s_waitcnt lgkmcnt(0)
	global_store_dwordx2 v41, v[32:33], s[36:37] sc1
.LBB616_350:
	s_or_b64 exec, exec, s[28:29]
	v_xad_u32 v34, v50, -1, s2
	v_add_u32_e32 v40, 64, v34
	v_lshl_add_u64 v[36:37], v[40:41], 3, s[30:31]
	global_load_dwordx2 v[38:39], v[36:37], off sc1
	s_waitcnt vmcnt(0)
	v_cmp_eq_u16_sdwa s[36:37], v39, v41 src0_sel:BYTE_0 src1_sel:DWORD
	s_and_saveexec_b64 s[28:29], s[36:37]
	s_cbranch_execz .LBB616_356
; %bb.351:
	s_mov_b32 s3, 1
	s_mov_b64 s[36:37], 0
	v_mov_b32_e32 v33, 0
.LBB616_352:                            ; =>This Loop Header: Depth=1
                                        ;     Child Loop BB616_353 Depth 2
	s_max_u32 s33, s3, 1
.LBB616_353:                            ;   Parent Loop BB616_352 Depth=1
                                        ; =>  This Inner Loop Header: Depth=2
	s_add_i32 s33, s33, -1
	s_cmp_eq_u32 s33, 0
	s_sleep 1
	s_cbranch_scc0 .LBB616_353
; %bb.354:                              ;   in Loop: Header=BB616_352 Depth=1
	global_load_dwordx2 v[38:39], v[36:37], off sc1
	s_cmp_lt_u32 s3, 32
	s_cselect_b64 s[38:39], -1, 0
	s_cmp_lg_u64 s[38:39], 0
	s_addc_u32 s3, s3, 0
	s_waitcnt vmcnt(0)
	v_cmp_ne_u16_sdwa s[38:39], v39, v33 src0_sel:BYTE_0 src1_sel:DWORD
	s_or_b64 s[36:37], s[38:39], s[36:37]
	s_andn2_b64 exec, exec, s[36:37]
	s_cbranch_execnz .LBB616_352
; %bb.355:
	s_or_b64 exec, exec, s[36:37]
.LBB616_356:
	s_or_b64 exec, exec, s[28:29]
	v_and_b32_e32 v46, 63, v50
	v_mov_b32_e32 v33, 2
	v_cmp_ne_u32_e32 vcc, 63, v46
	v_cmp_eq_u16_sdwa s[28:29], v39, v33 src0_sel:BYTE_0 src1_sel:DWORD
	v_lshlrev_b64 v[36:37], v50, -1
	v_addc_co_u32_e32 v41, vcc, 0, v50, vcc
	v_and_b32_e32 v35, s29, v37
	v_lshlrev_b32_e32 v53, 2, v41
	v_or_b32_e32 v35, 0x80000000, v35
	ds_bpermute_b32 v41, v53, v38
	v_and_b32_e32 v40, s28, v36
	v_ffbl_b32_e32 v35, v35
	v_add_u32_e32 v35, 32, v35
	v_ffbl_b32_e32 v40, v40
	v_min_u32_e32 v35, v40, v35
	v_cmp_lt_u32_e32 vcc, v46, v35
	v_add_u32_e32 v55, 2, v46
	v_add_u32_e32 v57, 4, v46
	s_waitcnt lgkmcnt(0)
	v_cndmask_b32_e32 v40, 0, v41, vcc
	v_cmp_gt_u32_e32 vcc, 62, v46
	v_add_u32_e32 v38, v40, v38
	v_add_u32_e32 v59, 8, v46
	v_cndmask_b32_e64 v40, 0, 1, vcc
	v_lshlrev_b32_e32 v40, 1, v40
	v_add_lshl_u32 v54, v40, v50, 2
	ds_bpermute_b32 v40, v54, v38
	v_cmp_le_u32_e32 vcc, v55, v35
	v_add_u32_e32 v62, 16, v46
	v_add_u32_e32 v64, 32, v46
	s_waitcnt lgkmcnt(0)
	v_cndmask_b32_e32 v40, 0, v40, vcc
	v_cmp_gt_u32_e32 vcc, 60, v46
	v_add_u32_e32 v38, v38, v40
	s_nop 0
	v_cndmask_b32_e64 v40, 0, 1, vcc
	v_lshlrev_b32_e32 v40, 2, v40
	v_add_lshl_u32 v56, v40, v50, 2
	ds_bpermute_b32 v40, v56, v38
	v_cmp_le_u32_e32 vcc, v57, v35
	s_waitcnt lgkmcnt(0)
	s_nop 0
	v_cndmask_b32_e32 v40, 0, v40, vcc
	v_cmp_gt_u32_e32 vcc, 56, v46
	v_add_u32_e32 v38, v38, v40
	s_nop 0
	v_cndmask_b32_e64 v40, 0, 1, vcc
	v_lshlrev_b32_e32 v40, 3, v40
	v_add_lshl_u32 v58, v40, v50, 2
	ds_bpermute_b32 v40, v58, v38
	v_cmp_le_u32_e32 vcc, v59, v35
	s_waitcnt lgkmcnt(0)
	s_nop 0
	;; [unrolled: 11-line block ×4, first 2 shown]
	v_cndmask_b32_e32 v35, 0, v40, vcc
	v_add_u32_e32 v38, v38, v35
	v_mov_b32_e32 v35, 0
	s_branch .LBB616_358
.LBB616_357:                            ;   in Loop: Header=BB616_358 Depth=1
	s_or_b64 exec, exec, s[28:29]
	v_cmp_eq_u16_sdwa s[28:29], v39, v33 src0_sel:BYTE_0 src1_sel:DWORD
	ds_bpermute_b32 v65, v53, v38
	v_subrev_u32_e32 v34, 64, v34
	v_and_b32_e32 v40, s29, v37
	v_or_b32_e32 v40, 0x80000000, v40
	v_and_b32_e32 v41, s28, v36
	v_ffbl_b32_e32 v40, v40
	v_add_u32_e32 v40, 32, v40
	v_ffbl_b32_e32 v41, v41
	v_min_u32_e32 v40, v41, v40
	v_cmp_lt_u32_e32 vcc, v46, v40
	s_waitcnt lgkmcnt(0)
	s_nop 0
	v_cndmask_b32_e32 v41, 0, v65, vcc
	v_add_u32_e32 v38, v41, v38
	ds_bpermute_b32 v41, v54, v38
	v_cmp_le_u32_e32 vcc, v55, v40
	s_waitcnt lgkmcnt(0)
	s_nop 0
	v_cndmask_b32_e32 v41, 0, v41, vcc
	v_add_u32_e32 v38, v38, v41
	ds_bpermute_b32 v41, v56, v38
	v_cmp_le_u32_e32 vcc, v57, v40
	;; [unrolled: 6-line block ×5, first 2 shown]
	s_waitcnt lgkmcnt(0)
	s_nop 0
	v_cndmask_b32_e32 v40, 0, v41, vcc
	v_add3_u32 v38, v40, v60, v38
.LBB616_358:                            ; =>This Loop Header: Depth=1
                                        ;     Child Loop BB616_361 Depth 2
                                        ;       Child Loop BB616_362 Depth 3
	v_cmp_ne_u16_sdwa s[28:29], v39, v33 src0_sel:BYTE_0 src1_sel:DWORD
	v_mov_b32_e32 v60, v38
	s_nop 0
	v_cndmask_b32_e64 v39, 0, 1, s[28:29]
	;;#ASMSTART
	;;#ASMEND
	s_nop 0
	v_cmp_ne_u32_e32 vcc, 0, v39
	s_cmp_lg_u64 vcc, exec
	s_cbranch_scc1 .LBB616_365
; %bb.359:                              ;   in Loop: Header=BB616_358 Depth=1
	v_lshl_add_u64 v[40:41], v[34:35], 3, s[30:31]
	global_load_dwordx2 v[38:39], v[40:41], off sc1
	s_waitcnt vmcnt(0)
	v_cmp_eq_u16_sdwa s[36:37], v39, v35 src0_sel:BYTE_0 src1_sel:DWORD
	s_and_saveexec_b64 s[28:29], s[36:37]
	s_cbranch_execz .LBB616_357
; %bb.360:                              ;   in Loop: Header=BB616_358 Depth=1
	s_mov_b32 s3, 1
	s_mov_b64 s[36:37], 0
.LBB616_361:                            ;   Parent Loop BB616_358 Depth=1
                                        ; =>  This Loop Header: Depth=2
                                        ;       Child Loop BB616_362 Depth 3
	s_max_u32 s33, s3, 1
.LBB616_362:                            ;   Parent Loop BB616_358 Depth=1
                                        ;     Parent Loop BB616_361 Depth=2
                                        ; =>    This Inner Loop Header: Depth=3
	s_add_i32 s33, s33, -1
	s_cmp_eq_u32 s33, 0
	s_sleep 1
	s_cbranch_scc0 .LBB616_362
; %bb.363:                              ;   in Loop: Header=BB616_361 Depth=2
	global_load_dwordx2 v[38:39], v[40:41], off sc1
	s_cmp_lt_u32 s3, 32
	s_cselect_b64 s[38:39], -1, 0
	s_cmp_lg_u64 s[38:39], 0
	s_addc_u32 s3, s3, 0
	s_waitcnt vmcnt(0)
	v_cmp_ne_u16_sdwa s[38:39], v39, v35 src0_sel:BYTE_0 src1_sel:DWORD
	s_or_b64 s[36:37], s[38:39], s[36:37]
	s_andn2_b64 exec, exec, s[36:37]
	s_cbranch_execnz .LBB616_361
; %bb.364:                              ;   in Loop: Header=BB616_358 Depth=1
	s_or_b64 exec, exec, s[36:37]
	s_branch .LBB616_357
.LBB616_365:                            ;   in Loop: Header=BB616_358 Depth=1
                                        ; implicit-def: $vgpr38
                                        ; implicit-def: $vgpr39
	s_cbranch_execz .LBB616_358
; %bb.366:
	s_and_saveexec_b64 s[28:29], s[16:17]
	s_cbranch_execz .LBB616_368
; %bb.367:
	s_add_i32 s2, s2, 64
	s_mov_b32 s3, 0
	s_lshl_b64 s[2:3], s[2:3], 3
	s_add_u32 s2, s30, s2
	v_add_u32_e32 v34, v60, v32
	v_mov_b32_e32 v35, 2
	s_addc_u32 s3, s31, s3
	v_mov_b32_e32 v33, 0
	global_store_dwordx2 v33, v[34:35], s[2:3] sc1
	s_movk_i32 s2, 0x7000
	v_add_u32_e64 v33, s2, 0
	ds_write2_b32 v33, v32, v60 offset1:2
.LBB616_368:
	s_or_b64 exec, exec, s[28:29]
	v_cmp_eq_u32_e32 vcc, 0, v0
	s_and_b64 exec, exec, vcc
	s_cbranch_execz .LBB616_370
; %bb.369:
	v_mov_b32_e32 v32, 0
	ds_write_b32 v32, v60 offset:28
.LBB616_370:
	s_or_b64 exec, exec, s[26:27]
	v_mov_b32_e32 v32, 0
	s_waitcnt lgkmcnt(0)
	s_barrier
	ds_read_b32 v32, v32 offset:28
	v_cndmask_b32_e64 v33, v44, v42, s[16:17]
	v_cmp_ne_u32_e32 vcc, 0, v0
	s_movk_i32 s2, 0x7000
	s_waitcnt lgkmcnt(0)
	v_cndmask_b32_e32 v33, 0, v33, vcc
	v_add_u32_e32 v46, v32, v33
	v_add_u32_e64 v32, s2, 0
	v_add_u32_e32 v44, v46, v1
	s_barrier
	ds_read2_b32 v[32:33], v32 offset1:2
	v_add_u32_e32 v42, v44, v43
	v_add_u32_e32 v40, v42, v45
	;; [unrolled: 1-line block ×5, first 2 shown]
	s_waitcnt lgkmcnt(0)
	v_readfirstlane_b32 s26, v32
	v_readfirstlane_b32 s16, v33
	v_lshrrev_b64 v[32:33], 24, v[30:31]
	s_branch .LBB616_381
.LBB616_371:
                                        ; implicit-def: $vgpr34
                                        ; implicit-def: $vgpr36
                                        ; implicit-def: $vgpr38
                                        ; implicit-def: $vgpr40
                                        ; implicit-def: $vgpr42
                                        ; implicit-def: $vgpr44
                                        ; implicit-def: $vgpr46
                                        ; implicit-def: $sgpr16
                                        ; implicit-def: $sgpr26
	v_lshrrev_b64 v[32:33], 24, v[30:31]
	s_cbranch_execz .LBB616_381
; %bb.372:
	s_nop 0
	v_mov_b32_dpp v33, v52 row_shr:1 row_mask:0xf bank_mask:0xf
	v_cndmask_b32_e64 v33, v33, 0, s[14:15]
	v_add_u32_e32 v33, v33, v52
	s_nop 1
	v_mov_b32_dpp v34, v33 row_shr:2 row_mask:0xf bank_mask:0xf
	v_cndmask_b32_e64 v34, 0, v34, s[12:13]
	v_add_u32_e32 v33, v33, v34
	;; [unrolled: 4-line block ×4, first 2 shown]
	s_nop 1
	v_mov_b32_dpp v34, v33 row_bcast:15 row_mask:0xf bank_mask:0xf
	v_cndmask_b32_e64 v34, v34, 0, s[6:7]
	v_add_u32_e32 v33, v33, v34
	s_nop 1
	v_mov_b32_dpp v34, v33 row_bcast:31 row_mask:0xf bank_mask:0xf
	v_cndmask_b32_e64 v34, 0, v34, s[18:19]
	v_add_u32_e32 v33, v33, v34
	s_and_saveexec_b64 s[2:3], s[4:5]
	s_cbranch_execz .LBB616_374
; %bb.373:
	v_lshlrev_b32_e32 v34, 2, v51
	ds_write_b32 v34, v33
.LBB616_374:
	s_or_b64 exec, exec, s[2:3]
	v_cmp_gt_u32_e32 vcc, 8, v0
	s_waitcnt lgkmcnt(0)
	s_barrier
	s_and_saveexec_b64 s[2:3], vcc
	s_cbranch_execz .LBB616_376
; %bb.375:
	v_lshlrev_b32_e32 v34, 2, v0
	ds_read_b32 v35, v34
	v_and_b32_e32 v36, 7, v50
	v_cmp_ne_u32_e32 vcc, 0, v36
	s_waitcnt lgkmcnt(0)
	v_mov_b32_dpp v37, v35 row_shr:1 row_mask:0xf bank_mask:0xf
	v_cndmask_b32_e32 v37, 0, v37, vcc
	v_add_u32_e32 v35, v37, v35
	v_cmp_lt_u32_e32 vcc, 1, v36
	s_nop 0
	v_mov_b32_dpp v37, v35 row_shr:2 row_mask:0xf bank_mask:0xf
	v_cndmask_b32_e32 v37, 0, v37, vcc
	v_add_u32_e32 v35, v35, v37
	v_cmp_lt_u32_e32 vcc, 3, v36
	s_nop 0
	v_mov_b32_dpp v37, v35 row_shr:4 row_mask:0xf bank_mask:0xf
	v_cndmask_b32_e32 v36, 0, v37, vcc
	v_add_u32_e32 v35, v35, v36
	ds_write_b32 v34, v35
.LBB616_376:
	s_or_b64 exec, exec, s[2:3]
	v_cmp_lt_u32_e32 vcc, 63, v0
	v_mov_b32_e32 v35, 0
	v_mov_b32_e32 v34, 0
	s_waitcnt lgkmcnt(0)
	s_barrier
	s_and_saveexec_b64 s[2:3], vcc
	s_cbranch_execz .LBB616_378
; %bb.377:
	v_lshl_add_u32 v34, v51, 2, -4
	ds_read_b32 v34, v34
.LBB616_378:
	s_or_b64 exec, exec, s[2:3]
	v_add_u32_e32 v36, -1, v50
	v_and_b32_e32 v37, 64, v50
	v_cmp_lt_i32_e32 vcc, v36, v37
	s_waitcnt lgkmcnt(0)
	v_add_u32_e32 v33, v34, v33
	ds_read_b32 v35, v35 offset:28
	v_cndmask_b32_e32 v36, v36, v50, vcc
	v_lshlrev_b32_e32 v36, 2, v36
	ds_bpermute_b32 v33, v36, v33
	s_mov_b32 s16, 0
	v_cmp_eq_u32_e32 vcc, 0, v0
	s_waitcnt lgkmcnt(1)
	v_readfirstlane_b32 s26, v35
	s_and_saveexec_b64 s[2:3], vcc
	s_cbranch_execz .LBB616_380
; %bb.379:
	v_mov_b32_e32 v35, 0
	v_mov_b32_e32 v36, s26
	;; [unrolled: 1-line block ×3, first 2 shown]
	global_store_dwordx2 v35, v[36:37], s[30:31] offset:512 sc1
.LBB616_380:
	s_or_b64 exec, exec, s[2:3]
	v_cmp_eq_u32_e64 s[2:3], 0, v50
	s_waitcnt lgkmcnt(0)
	s_barrier
	v_cndmask_b32_e64 v33, v33, v34, s[2:3]
	v_cndmask_b32_e64 v46, v33, 0, vcc
	v_add_u32_e32 v44, v46, v1
	v_add_u32_e32 v42, v44, v43
	v_add_u32_e32 v40, v42, v45
	v_add_u32_e32 v38, v40, v47
	v_add_u32_e32 v36, v38, v48
	v_add_u32_e32 v34, v36, v49
.LBB616_381:
	s_load_dwordx4 s[4:7], s[0:1], 0x28
	s_cmpk_lt_u32 s26, 0x201
	s_cselect_b64 s[2:3], -1, 0
	v_lshrrev_b32_e32 v33, 8, v30
	v_lshrrev_b32_e32 v1, 8, v31
	s_mov_b64 s[0:1], -1
	s_and_b64 vcc, exec, s[2:3]
	s_cbranch_vccz .LBB616_404
; %bb.382:
	s_add_i32 s8, s16, s26
	v_cmp_gt_u32_e32 vcc, s8, v46
	s_or_b64 s[10:11], s[34:35], vcc
	s_and_saveexec_b64 s[0:1], s[10:11]
	s_cbranch_execz .LBB616_385
; %bb.383:
	v_and_b32_e32 v35, 1, v30
	v_cmp_eq_u32_e32 vcc, 1, v35
	s_and_b64 exec, exec, vcc
	s_cbranch_execz .LBB616_385
; %bb.384:
	s_lshl_b64 s[10:11], s[22:23], 3
	s_waitcnt lgkmcnt(0)
	s_add_u32 s10, s4, s10
	s_addc_u32 s11, s5, s11
	v_mov_b32_e32 v47, 0
	v_lshl_add_u64 v[48:49], v[46:47], 3, s[10:11]
	global_store_dwordx2 v[48:49], v[22:23], off
.LBB616_385:
	s_or_b64 exec, exec, s[0:1]
	v_cmp_gt_u32_e32 vcc, s8, v44
	s_or_b64 s[10:11], s[34:35], vcc
	s_and_saveexec_b64 s[0:1], s[10:11]
	s_cbranch_execz .LBB616_388
; %bb.386:
	v_and_b32_e32 v35, 1, v33
	v_cmp_eq_u32_e32 vcc, 1, v35
	s_and_b64 exec, exec, vcc
	s_cbranch_execz .LBB616_388
; %bb.387:
	s_lshl_b64 s[10:11], s[22:23], 3
	s_waitcnt lgkmcnt(0)
	s_add_u32 s10, s4, s10
	s_addc_u32 s11, s5, s11
	v_mov_b32_e32 v45, 0
	v_lshl_add_u64 v[48:49], v[44:45], 3, s[10:11]
	global_store_dwordx2 v[48:49], v[24:25], off
.LBB616_388:
	s_or_b64 exec, exec, s[0:1]
	v_cmp_gt_u32_e32 vcc, s8, v42
	s_or_b64 s[10:11], s[34:35], vcc
	s_and_saveexec_b64 s[0:1], s[10:11]
	s_cbranch_execz .LBB616_391
; %bb.389:
	v_mov_b32_e32 v35, 1
	v_and_b32_sdwa v35, v35, v30 dst_sel:DWORD dst_unused:UNUSED_PAD src0_sel:DWORD src1_sel:WORD_1
	v_cmp_eq_u32_e32 vcc, 1, v35
	s_and_b64 exec, exec, vcc
	s_cbranch_execz .LBB616_391
; %bb.390:
	s_lshl_b64 s[10:11], s[22:23], 3
	s_waitcnt lgkmcnt(0)
	s_add_u32 s10, s4, s10
	s_addc_u32 s11, s5, s11
	v_mov_b32_e32 v43, 0
	v_lshl_add_u64 v[48:49], v[42:43], 3, s[10:11]
	global_store_dwordx2 v[48:49], v[18:19], off
.LBB616_391:
	s_or_b64 exec, exec, s[0:1]
	v_cmp_gt_u32_e32 vcc, s8, v40
	s_or_b64 s[10:11], s[34:35], vcc
	s_and_saveexec_b64 s[0:1], s[10:11]
	s_cbranch_execz .LBB616_394
; %bb.392:
	v_and_b32_e32 v35, 1, v32
	v_cmp_eq_u32_e32 vcc, 1, v35
	s_and_b64 exec, exec, vcc
	s_cbranch_execz .LBB616_394
; %bb.393:
	s_lshl_b64 s[10:11], s[22:23], 3
	s_waitcnt lgkmcnt(0)
	s_add_u32 s10, s4, s10
	s_addc_u32 s11, s5, s11
	v_mov_b32_e32 v41, 0
	v_lshl_add_u64 v[48:49], v[40:41], 3, s[10:11]
	global_store_dwordx2 v[48:49], v[20:21], off
.LBB616_394:
	s_or_b64 exec, exec, s[0:1]
	v_cmp_gt_u32_e32 vcc, s8, v38
	s_or_b64 s[10:11], s[34:35], vcc
	s_and_saveexec_b64 s[0:1], s[10:11]
	s_cbranch_execz .LBB616_397
; %bb.395:
	v_and_b32_e32 v35, 1, v31
	v_cmp_eq_u32_e32 vcc, 1, v35
	s_and_b64 exec, exec, vcc
	s_cbranch_execz .LBB616_397
; %bb.396:
	s_lshl_b64 s[10:11], s[22:23], 3
	s_waitcnt lgkmcnt(0)
	s_add_u32 s10, s4, s10
	s_addc_u32 s11, s5, s11
	v_mov_b32_e32 v39, 0
	v_lshl_add_u64 v[48:49], v[38:39], 3, s[10:11]
	global_store_dwordx2 v[48:49], v[14:15], off
.LBB616_397:
	;; [unrolled: 19-line block ×3, first 2 shown]
	s_or_b64 exec, exec, s[0:1]
	v_cmp_gt_u32_e32 vcc, s8, v34
	s_or_b64 s[8:9], s[34:35], vcc
	s_and_saveexec_b64 s[0:1], s[8:9]
	s_cbranch_execz .LBB616_403
; %bb.401:
	v_mov_b32_e32 v35, 1
	v_and_b32_sdwa v35, v35, v31 dst_sel:DWORD dst_unused:UNUSED_PAD src0_sel:DWORD src1_sel:WORD_1
	v_cmp_eq_u32_e32 vcc, 1, v35
	s_and_b64 exec, exec, vcc
	s_cbranch_execz .LBB616_403
; %bb.402:
	s_lshl_b64 s[8:9], s[22:23], 3
	s_waitcnt lgkmcnt(0)
	s_add_u32 s8, s4, s8
	s_addc_u32 s9, s5, s9
	v_mov_b32_e32 v35, 0
	v_lshl_add_u64 v[48:49], v[34:35], 3, s[8:9]
	global_store_dwordx2 v[48:49], v[28:29], off
.LBB616_403:
	s_or_b64 exec, exec, s[0:1]
	s_mov_b64 s[0:1], 0
.LBB616_404:
	v_and_b32_e32 v48, 1, v30
	s_and_b64 vcc, exec, s[0:1]
	v_cmp_eq_u32_e64 s[0:1], 1, v48
	s_cbranch_vccz .LBB616_423
; %bb.405:
	s_and_saveexec_b64 s[8:9], s[0:1]
	s_cbranch_execz .LBB616_407
; %bb.406:
	v_subrev_u32_e32 v35, s16, v46
	v_lshlrev_b32_e32 v35, 3, v35
	ds_write_b64 v35, v[22:23]
.LBB616_407:
	s_or_b64 exec, exec, s[8:9]
	v_and_b32_e32 v22, 1, v33
	v_cmp_eq_u32_e32 vcc, 1, v22
	s_and_saveexec_b64 s[0:1], vcc
	s_cbranch_execz .LBB616_409
; %bb.408:
	v_subrev_u32_e32 v22, s16, v44
	v_lshlrev_b32_e32 v22, 3, v22
	ds_write_b64 v22, v[24:25]
.LBB616_409:
	s_or_b64 exec, exec, s[0:1]
	v_mov_b32_e32 v22, 1
	v_and_b32_sdwa v22, v22, v30 dst_sel:DWORD dst_unused:UNUSED_PAD src0_sel:DWORD src1_sel:WORD_1
	v_cmp_eq_u32_e32 vcc, 1, v22
	s_and_saveexec_b64 s[0:1], vcc
	s_cbranch_execz .LBB616_411
; %bb.410:
	v_subrev_u32_e32 v22, s16, v42
	v_lshlrev_b32_e32 v22, 3, v22
	ds_write_b64 v22, v[18:19]
.LBB616_411:
	s_or_b64 exec, exec, s[0:1]
	v_and_b32_e32 v18, 1, v32
	v_cmp_eq_u32_e32 vcc, 1, v18
	s_and_saveexec_b64 s[0:1], vcc
	s_cbranch_execz .LBB616_413
; %bb.412:
	v_subrev_u32_e32 v18, s16, v40
	v_lshlrev_b32_e32 v18, 3, v18
	ds_write_b64 v18, v[20:21]
.LBB616_413:
	s_or_b64 exec, exec, s[0:1]
	v_and_b32_e32 v18, 1, v31
	;; [unrolled: 10-line block ×3, first 2 shown]
	v_cmp_eq_u32_e32 vcc, 1, v14
	s_and_saveexec_b64 s[0:1], vcc
	s_cbranch_execz .LBB616_417
; %bb.416:
	v_subrev_u32_e32 v14, s16, v36
	v_lshlrev_b32_e32 v14, 3, v14
	ds_write_b64 v14, v[16:17]
.LBB616_417:
	s_or_b64 exec, exec, s[0:1]
	v_mov_b32_e32 v14, 1
	v_and_b32_sdwa v14, v14, v31 dst_sel:DWORD dst_unused:UNUSED_PAD src0_sel:DWORD src1_sel:WORD_1
	v_cmp_eq_u32_e32 vcc, 1, v14
	s_and_saveexec_b64 s[0:1], vcc
	s_cbranch_execz .LBB616_419
; %bb.418:
	v_subrev_u32_e32 v14, s16, v34
	v_lshlrev_b32_e32 v14, 3, v14
	ds_write_b64 v14, v[28:29]
.LBB616_419:
	s_or_b64 exec, exec, s[0:1]
	v_cmp_gt_u32_e32 vcc, s26, v0
	s_waitcnt lgkmcnt(0)
	s_barrier
	s_and_saveexec_b64 s[0:1], vcc
	s_cbranch_execz .LBB616_422
; %bb.420:
	s_mov_b32 s17, 0
	s_lshl_b64 s[8:9], s[22:23], 3
	s_lshl_b64 s[10:11], s[16:17], 3
	s_add_u32 s8, s8, s10
	s_addc_u32 s9, s9, s11
	s_add_u32 s4, s4, s8
	v_lshlrev_b32_e32 v14, 3, v0
	v_mov_b32_e32 v15, 0
	s_addc_u32 s5, s5, s9
	v_lshl_add_u64 v[16:17], s[4:5], 0, v[14:15]
	s_mov_b64 s[4:5], 0
	s_mov_b64 s[8:9], 0x1000
	v_mov_b32_e32 v15, v0
.LBB616_421:                            ; =>This Inner Loop Header: Depth=1
	ds_read_b64 v[18:19], v14
	v_add_u32_e32 v15, 0x200, v15
	v_cmp_le_u32_e32 vcc, s26, v15
	v_add_u32_e32 v14, 0x1000, v14
	s_or_b64 s[4:5], vcc, s[4:5]
	s_waitcnt lgkmcnt(0)
	global_store_dwordx2 v[16:17], v[18:19], off
	v_lshl_add_u64 v[16:17], v[16:17], 0, s[8:9]
	s_andn2_b64 exec, exec, s[4:5]
	s_cbranch_execnz .LBB616_421
.LBB616_422:
	s_or_b64 exec, exec, s[0:1]
.LBB616_423:
	s_mov_b64 s[0:1], -1
	s_and_b64 vcc, exec, s[2:3]
	s_waitcnt lgkmcnt(0)
	s_barrier
	s_cbranch_vccnz .LBB616_427
; %bb.424:
	s_and_b64 vcc, exec, s[0:1]
	s_cbranch_vccnz .LBB616_449
.LBB616_425:
	v_cmp_eq_u32_e32 vcc, 0, v0
	s_and_b64 s[0:1], vcc, s[24:25]
	s_and_saveexec_b64 s[2:3], s[0:1]
	s_cbranch_execnz .LBB616_467
.LBB616_426:
	s_endpgm
.LBB616_427:
	s_add_i32 s2, s16, s26
	v_cmp_gt_u32_e32 vcc, s2, v46
	s_or_b64 s[4:5], s[34:35], vcc
	s_and_saveexec_b64 s[0:1], s[4:5]
	s_cbranch_execz .LBB616_430
; %bb.428:
	v_cmp_eq_u32_e32 vcc, 1, v48
	s_and_b64 exec, exec, vcc
	s_cbranch_execz .LBB616_430
; %bb.429:
	s_lshl_b64 s[4:5], s[22:23], 3
	s_add_u32 s4, s6, s4
	s_addc_u32 s5, s7, s5
	v_mov_b32_e32 v47, 0
	v_lshl_add_u64 v[14:15], v[46:47], 3, s[4:5]
	global_store_dwordx2 v[14:15], v[10:11], off
.LBB616_430:
	s_or_b64 exec, exec, s[0:1]
	v_cmp_gt_u32_e32 vcc, s2, v44
	s_or_b64 s[4:5], s[34:35], vcc
	s_and_saveexec_b64 s[0:1], s[4:5]
	s_cbranch_execz .LBB616_433
; %bb.431:
	v_and_b32_e32 v14, 1, v33
	v_cmp_eq_u32_e32 vcc, 1, v14
	s_and_b64 exec, exec, vcc
	s_cbranch_execz .LBB616_433
; %bb.432:
	s_lshl_b64 s[4:5], s[22:23], 3
	s_add_u32 s4, s6, s4
	s_addc_u32 s5, s7, s5
	v_mov_b32_e32 v45, 0
	v_lshl_add_u64 v[14:15], v[44:45], 3, s[4:5]
	global_store_dwordx2 v[14:15], v[12:13], off
.LBB616_433:
	s_or_b64 exec, exec, s[0:1]
	v_cmp_gt_u32_e32 vcc, s2, v42
	s_or_b64 s[4:5], s[34:35], vcc
	s_and_saveexec_b64 s[0:1], s[4:5]
	s_cbranch_execz .LBB616_436
; %bb.434:
	v_mov_b32_e32 v14, 1
	v_and_b32_sdwa v14, v14, v30 dst_sel:DWORD dst_unused:UNUSED_PAD src0_sel:DWORD src1_sel:WORD_1
	v_cmp_eq_u32_e32 vcc, 1, v14
	s_and_b64 exec, exec, vcc
	s_cbranch_execz .LBB616_436
; %bb.435:
	s_lshl_b64 s[4:5], s[22:23], 3
	s_add_u32 s4, s6, s4
	s_addc_u32 s5, s7, s5
	v_mov_b32_e32 v43, 0
	v_lshl_add_u64 v[14:15], v[42:43], 3, s[4:5]
	global_store_dwordx2 v[14:15], v[6:7], off
.LBB616_436:
	s_or_b64 exec, exec, s[0:1]
	v_cmp_gt_u32_e32 vcc, s2, v40
	s_or_b64 s[4:5], s[34:35], vcc
	s_and_saveexec_b64 s[0:1], s[4:5]
	s_cbranch_execz .LBB616_439
; %bb.437:
	v_and_b32_e32 v14, 1, v32
	v_cmp_eq_u32_e32 vcc, 1, v14
	s_and_b64 exec, exec, vcc
	s_cbranch_execz .LBB616_439
; %bb.438:
	s_lshl_b64 s[4:5], s[22:23], 3
	s_add_u32 s4, s6, s4
	s_addc_u32 s5, s7, s5
	v_mov_b32_e32 v41, 0
	v_lshl_add_u64 v[14:15], v[40:41], 3, s[4:5]
	global_store_dwordx2 v[14:15], v[8:9], off
.LBB616_439:
	s_or_b64 exec, exec, s[0:1]
	v_cmp_gt_u32_e32 vcc, s2, v38
	s_or_b64 s[4:5], s[34:35], vcc
	s_and_saveexec_b64 s[0:1], s[4:5]
	s_cbranch_execz .LBB616_442
; %bb.440:
	v_and_b32_e32 v14, 1, v31
	v_cmp_eq_u32_e32 vcc, 1, v14
	s_and_b64 exec, exec, vcc
	s_cbranch_execz .LBB616_442
; %bb.441:
	s_lshl_b64 s[4:5], s[22:23], 3
	s_add_u32 s4, s6, s4
	s_addc_u32 s5, s7, s5
	v_mov_b32_e32 v39, 0
	v_lshl_add_u64 v[14:15], v[38:39], 3, s[4:5]
	global_store_dwordx2 v[14:15], v[2:3], off
.LBB616_442:
	;; [unrolled: 18-line block ×3, first 2 shown]
	s_or_b64 exec, exec, s[0:1]
	v_cmp_gt_u32_e32 vcc, s2, v34
	s_or_b64 s[2:3], s[34:35], vcc
	s_and_saveexec_b64 s[0:1], s[2:3]
	s_cbranch_execz .LBB616_448
; %bb.446:
	v_mov_b32_e32 v14, 1
	v_and_b32_sdwa v14, v14, v31 dst_sel:DWORD dst_unused:UNUSED_PAD src0_sel:DWORD src1_sel:WORD_1
	v_cmp_eq_u32_e32 vcc, 1, v14
	s_and_b64 exec, exec, vcc
	s_cbranch_execz .LBB616_448
; %bb.447:
	s_lshl_b64 s[2:3], s[22:23], 3
	s_add_u32 s2, s6, s2
	s_addc_u32 s3, s7, s3
	v_mov_b32_e32 v35, 0
	v_lshl_add_u64 v[14:15], v[34:35], 3, s[2:3]
	global_store_dwordx2 v[14:15], v[26:27], off
.LBB616_448:
	s_or_b64 exec, exec, s[0:1]
	s_branch .LBB616_425
.LBB616_449:
	v_cmp_eq_u32_e32 vcc, 1, v48
	s_and_saveexec_b64 s[0:1], vcc
	s_cbranch_execz .LBB616_451
; %bb.450:
	v_subrev_u32_e32 v14, s16, v46
	v_lshlrev_b32_e32 v14, 3, v14
	ds_write_b64 v14, v[10:11]
.LBB616_451:
	s_or_b64 exec, exec, s[0:1]
	v_and_b32_e32 v10, 1, v33
	v_cmp_eq_u32_e32 vcc, 1, v10
	s_and_saveexec_b64 s[0:1], vcc
	s_cbranch_execz .LBB616_453
; %bb.452:
	v_subrev_u32_e32 v10, s16, v44
	v_lshlrev_b32_e32 v10, 3, v10
	ds_write_b64 v10, v[12:13]
.LBB616_453:
	s_or_b64 exec, exec, s[0:1]
	v_mov_b32_e32 v10, 1
	v_and_b32_sdwa v10, v10, v30 dst_sel:DWORD dst_unused:UNUSED_PAD src0_sel:DWORD src1_sel:WORD_1
	v_cmp_eq_u32_e32 vcc, 1, v10
	s_and_saveexec_b64 s[0:1], vcc
	s_cbranch_execz .LBB616_455
; %bb.454:
	v_subrev_u32_e32 v10, s16, v42
	v_lshlrev_b32_e32 v10, 3, v10
	ds_write_b64 v10, v[6:7]
.LBB616_455:
	s_or_b64 exec, exec, s[0:1]
	v_and_b32_e32 v6, 1, v32
	v_cmp_eq_u32_e32 vcc, 1, v6
	s_and_saveexec_b64 s[0:1], vcc
	s_cbranch_execz .LBB616_457
; %bb.456:
	v_subrev_u32_e32 v6, s16, v40
	v_lshlrev_b32_e32 v6, 3, v6
	ds_write_b64 v6, v[8:9]
.LBB616_457:
	s_or_b64 exec, exec, s[0:1]
	v_and_b32_e32 v6, 1, v31
	;; [unrolled: 10-line block ×3, first 2 shown]
	v_cmp_eq_u32_e32 vcc, 1, v1
	s_and_saveexec_b64 s[0:1], vcc
	s_cbranch_execz .LBB616_461
; %bb.460:
	v_subrev_u32_e32 v1, s16, v36
	v_lshlrev_b32_e32 v1, 3, v1
	ds_write_b64 v1, v[4:5]
.LBB616_461:
	s_or_b64 exec, exec, s[0:1]
	v_mov_b32_e32 v1, 1
	v_and_b32_sdwa v1, v1, v31 dst_sel:DWORD dst_unused:UNUSED_PAD src0_sel:DWORD src1_sel:WORD_1
	v_cmp_eq_u32_e32 vcc, 1, v1
	s_and_saveexec_b64 s[0:1], vcc
	s_cbranch_execz .LBB616_463
; %bb.462:
	v_subrev_u32_e32 v1, s16, v34
	v_lshlrev_b32_e32 v1, 3, v1
	ds_write_b64 v1, v[26:27]
.LBB616_463:
	s_or_b64 exec, exec, s[0:1]
	v_cmp_gt_u32_e32 vcc, s26, v0
	s_waitcnt lgkmcnt(0)
	s_barrier
	s_and_saveexec_b64 s[0:1], vcc
	s_cbranch_execz .LBB616_466
; %bb.464:
	s_mov_b32 s17, 0
	s_lshl_b64 s[2:3], s[22:23], 3
	s_lshl_b64 s[4:5], s[16:17], 3
	s_add_u32 s2, s2, s4
	s_addc_u32 s3, s3, s5
	s_add_u32 s2, s6, s2
	v_lshlrev_b32_e32 v2, 3, v0
	v_mov_b32_e32 v3, 0
	s_addc_u32 s3, s7, s3
	v_lshl_add_u64 v[4:5], s[2:3], 0, v[2:3]
	s_mov_b64 s[2:3], 0
	s_mov_b64 s[4:5], 0x1000
	v_mov_b32_e32 v1, v0
.LBB616_465:                            ; =>This Inner Loop Header: Depth=1
	ds_read_b64 v[6:7], v2
	v_add_u32_e32 v1, 0x200, v1
	v_cmp_le_u32_e32 vcc, s26, v1
	v_add_u32_e32 v2, 0x1000, v2
	s_or_b64 s[2:3], vcc, s[2:3]
	s_waitcnt lgkmcnt(0)
	global_store_dwordx2 v[4:5], v[6:7], off
	v_lshl_add_u64 v[4:5], v[4:5], 0, s[4:5]
	s_andn2_b64 exec, exec, s[2:3]
	s_cbranch_execnz .LBB616_465
.LBB616_466:
	s_or_b64 exec, exec, s[0:1]
	v_cmp_eq_u32_e32 vcc, 0, v0
	s_and_b64 s[0:1], vcc, s[24:25]
	s_and_saveexec_b64 s[2:3], s[0:1]
	s_cbranch_execz .LBB616_426
.LBB616_467:
	s_add_u32 s0, s22, s26
	s_addc_u32 s1, s23, 0
	s_add_u32 s0, s0, s16
	s_addc_u32 s1, s1, 0
	v_mov_b32_e32 v2, 0
	v_mov_b64_e32 v[0:1], s[0:1]
	global_store_dwordx2 v2, v[0:1], s[20:21]
	s_endpgm
	.section	.rodata,"a",@progbits
	.p2align	6, 0x0
	.amdhsa_kernel _ZN7rocprim17ROCPRIM_400000_NS6detail17trampoline_kernelINS0_14default_configENS1_25partition_config_selectorILNS1_17partition_subalgoE9EllbEEZZNS1_14partition_implILS5_9ELb0ES3_jPlS8_PNS0_10empty_typeENS0_5tupleIJS8_S9_EEENSB_IJS8_SA_EEENS0_18inequality_wrapperIZN2at6native12_GLOBAL__N_124unique_dim_cuda_templateIlEESt5tupleIJNSF_6TensorESK_SK_EERKSK_lbbbEUlllE0_EEPmJS9_EEE10hipError_tPvRmT3_T4_T5_T6_T7_T9_mT8_P12ihipStream_tbDpT10_ENKUlT_T0_E_clISt17integral_constantIbLb1EES19_IbLb0EEEEDaS15_S16_EUlS15_E_NS1_11comp_targetILNS1_3genE5ELNS1_11target_archE942ELNS1_3gpuE9ELNS1_3repE0EEENS1_30default_config_static_selectorELNS0_4arch9wavefront6targetE1EEEvT1_
		.amdhsa_group_segment_fixed_size 28684
		.amdhsa_private_segment_fixed_size 0
		.amdhsa_kernarg_size 120
		.amdhsa_user_sgpr_count 2
		.amdhsa_user_sgpr_dispatch_ptr 0
		.amdhsa_user_sgpr_queue_ptr 0
		.amdhsa_user_sgpr_kernarg_segment_ptr 1
		.amdhsa_user_sgpr_dispatch_id 0
		.amdhsa_user_sgpr_kernarg_preload_length 0
		.amdhsa_user_sgpr_kernarg_preload_offset 0
		.amdhsa_user_sgpr_private_segment_size 0
		.amdhsa_uses_dynamic_stack 0
		.amdhsa_enable_private_segment 0
		.amdhsa_system_sgpr_workgroup_id_x 1
		.amdhsa_system_sgpr_workgroup_id_y 0
		.amdhsa_system_sgpr_workgroup_id_z 0
		.amdhsa_system_sgpr_workgroup_info 0
		.amdhsa_system_vgpr_workitem_id 0
		.amdhsa_next_free_vgpr 66
		.amdhsa_next_free_sgpr 52
		.amdhsa_accum_offset 68
		.amdhsa_reserve_vcc 1
		.amdhsa_float_round_mode_32 0
		.amdhsa_float_round_mode_16_64 0
		.amdhsa_float_denorm_mode_32 3
		.amdhsa_float_denorm_mode_16_64 3
		.amdhsa_dx10_clamp 1
		.amdhsa_ieee_mode 1
		.amdhsa_fp16_overflow 0
		.amdhsa_tg_split 0
		.amdhsa_exception_fp_ieee_invalid_op 0
		.amdhsa_exception_fp_denorm_src 0
		.amdhsa_exception_fp_ieee_div_zero 0
		.amdhsa_exception_fp_ieee_overflow 0
		.amdhsa_exception_fp_ieee_underflow 0
		.amdhsa_exception_fp_ieee_inexact 0
		.amdhsa_exception_int_div_zero 0
	.end_amdhsa_kernel
	.section	.text._ZN7rocprim17ROCPRIM_400000_NS6detail17trampoline_kernelINS0_14default_configENS1_25partition_config_selectorILNS1_17partition_subalgoE9EllbEEZZNS1_14partition_implILS5_9ELb0ES3_jPlS8_PNS0_10empty_typeENS0_5tupleIJS8_S9_EEENSB_IJS8_SA_EEENS0_18inequality_wrapperIZN2at6native12_GLOBAL__N_124unique_dim_cuda_templateIlEESt5tupleIJNSF_6TensorESK_SK_EERKSK_lbbbEUlllE0_EEPmJS9_EEE10hipError_tPvRmT3_T4_T5_T6_T7_T9_mT8_P12ihipStream_tbDpT10_ENKUlT_T0_E_clISt17integral_constantIbLb1EES19_IbLb0EEEEDaS15_S16_EUlS15_E_NS1_11comp_targetILNS1_3genE5ELNS1_11target_archE942ELNS1_3gpuE9ELNS1_3repE0EEENS1_30default_config_static_selectorELNS0_4arch9wavefront6targetE1EEEvT1_,"axG",@progbits,_ZN7rocprim17ROCPRIM_400000_NS6detail17trampoline_kernelINS0_14default_configENS1_25partition_config_selectorILNS1_17partition_subalgoE9EllbEEZZNS1_14partition_implILS5_9ELb0ES3_jPlS8_PNS0_10empty_typeENS0_5tupleIJS8_S9_EEENSB_IJS8_SA_EEENS0_18inequality_wrapperIZN2at6native12_GLOBAL__N_124unique_dim_cuda_templateIlEESt5tupleIJNSF_6TensorESK_SK_EERKSK_lbbbEUlllE0_EEPmJS9_EEE10hipError_tPvRmT3_T4_T5_T6_T7_T9_mT8_P12ihipStream_tbDpT10_ENKUlT_T0_E_clISt17integral_constantIbLb1EES19_IbLb0EEEEDaS15_S16_EUlS15_E_NS1_11comp_targetILNS1_3genE5ELNS1_11target_archE942ELNS1_3gpuE9ELNS1_3repE0EEENS1_30default_config_static_selectorELNS0_4arch9wavefront6targetE1EEEvT1_,comdat
.Lfunc_end616:
	.size	_ZN7rocprim17ROCPRIM_400000_NS6detail17trampoline_kernelINS0_14default_configENS1_25partition_config_selectorILNS1_17partition_subalgoE9EllbEEZZNS1_14partition_implILS5_9ELb0ES3_jPlS8_PNS0_10empty_typeENS0_5tupleIJS8_S9_EEENSB_IJS8_SA_EEENS0_18inequality_wrapperIZN2at6native12_GLOBAL__N_124unique_dim_cuda_templateIlEESt5tupleIJNSF_6TensorESK_SK_EERKSK_lbbbEUlllE0_EEPmJS9_EEE10hipError_tPvRmT3_T4_T5_T6_T7_T9_mT8_P12ihipStream_tbDpT10_ENKUlT_T0_E_clISt17integral_constantIbLb1EES19_IbLb0EEEEDaS15_S16_EUlS15_E_NS1_11comp_targetILNS1_3genE5ELNS1_11target_archE942ELNS1_3gpuE9ELNS1_3repE0EEENS1_30default_config_static_selectorELNS0_4arch9wavefront6targetE1EEEvT1_, .Lfunc_end616-_ZN7rocprim17ROCPRIM_400000_NS6detail17trampoline_kernelINS0_14default_configENS1_25partition_config_selectorILNS1_17partition_subalgoE9EllbEEZZNS1_14partition_implILS5_9ELb0ES3_jPlS8_PNS0_10empty_typeENS0_5tupleIJS8_S9_EEENSB_IJS8_SA_EEENS0_18inequality_wrapperIZN2at6native12_GLOBAL__N_124unique_dim_cuda_templateIlEESt5tupleIJNSF_6TensorESK_SK_EERKSK_lbbbEUlllE0_EEPmJS9_EEE10hipError_tPvRmT3_T4_T5_T6_T7_T9_mT8_P12ihipStream_tbDpT10_ENKUlT_T0_E_clISt17integral_constantIbLb1EES19_IbLb0EEEEDaS15_S16_EUlS15_E_NS1_11comp_targetILNS1_3genE5ELNS1_11target_archE942ELNS1_3gpuE9ELNS1_3repE0EEENS1_30default_config_static_selectorELNS0_4arch9wavefront6targetE1EEEvT1_
                                        ; -- End function
	.section	.AMDGPU.csdata,"",@progbits
; Kernel info:
; codeLenInByte = 14472
; NumSgprs: 58
; NumVgprs: 66
; NumAgprs: 0
; TotalNumVgprs: 66
; ScratchSize: 0
; MemoryBound: 1
; FloatMode: 240
; IeeeMode: 1
; LDSByteSize: 28684 bytes/workgroup (compile time only)
; SGPRBlocks: 7
; VGPRBlocks: 8
; NumSGPRsForWavesPerEU: 58
; NumVGPRsForWavesPerEU: 66
; AccumOffset: 68
; Occupancy: 4
; WaveLimiterHint : 1
; COMPUTE_PGM_RSRC2:SCRATCH_EN: 0
; COMPUTE_PGM_RSRC2:USER_SGPR: 2
; COMPUTE_PGM_RSRC2:TRAP_HANDLER: 0
; COMPUTE_PGM_RSRC2:TGID_X_EN: 1
; COMPUTE_PGM_RSRC2:TGID_Y_EN: 0
; COMPUTE_PGM_RSRC2:TGID_Z_EN: 0
; COMPUTE_PGM_RSRC2:TIDIG_COMP_CNT: 0
; COMPUTE_PGM_RSRC3_GFX90A:ACCUM_OFFSET: 16
; COMPUTE_PGM_RSRC3_GFX90A:TG_SPLIT: 0
	.section	.text._ZN7rocprim17ROCPRIM_400000_NS6detail17trampoline_kernelINS0_14default_configENS1_25partition_config_selectorILNS1_17partition_subalgoE9EllbEEZZNS1_14partition_implILS5_9ELb0ES3_jPlS8_PNS0_10empty_typeENS0_5tupleIJS8_S9_EEENSB_IJS8_SA_EEENS0_18inequality_wrapperIZN2at6native12_GLOBAL__N_124unique_dim_cuda_templateIlEESt5tupleIJNSF_6TensorESK_SK_EERKSK_lbbbEUlllE0_EEPmJS9_EEE10hipError_tPvRmT3_T4_T5_T6_T7_T9_mT8_P12ihipStream_tbDpT10_ENKUlT_T0_E_clISt17integral_constantIbLb1EES19_IbLb0EEEEDaS15_S16_EUlS15_E_NS1_11comp_targetILNS1_3genE4ELNS1_11target_archE910ELNS1_3gpuE8ELNS1_3repE0EEENS1_30default_config_static_selectorELNS0_4arch9wavefront6targetE1EEEvT1_,"axG",@progbits,_ZN7rocprim17ROCPRIM_400000_NS6detail17trampoline_kernelINS0_14default_configENS1_25partition_config_selectorILNS1_17partition_subalgoE9EllbEEZZNS1_14partition_implILS5_9ELb0ES3_jPlS8_PNS0_10empty_typeENS0_5tupleIJS8_S9_EEENSB_IJS8_SA_EEENS0_18inequality_wrapperIZN2at6native12_GLOBAL__N_124unique_dim_cuda_templateIlEESt5tupleIJNSF_6TensorESK_SK_EERKSK_lbbbEUlllE0_EEPmJS9_EEE10hipError_tPvRmT3_T4_T5_T6_T7_T9_mT8_P12ihipStream_tbDpT10_ENKUlT_T0_E_clISt17integral_constantIbLb1EES19_IbLb0EEEEDaS15_S16_EUlS15_E_NS1_11comp_targetILNS1_3genE4ELNS1_11target_archE910ELNS1_3gpuE8ELNS1_3repE0EEENS1_30default_config_static_selectorELNS0_4arch9wavefront6targetE1EEEvT1_,comdat
	.globl	_ZN7rocprim17ROCPRIM_400000_NS6detail17trampoline_kernelINS0_14default_configENS1_25partition_config_selectorILNS1_17partition_subalgoE9EllbEEZZNS1_14partition_implILS5_9ELb0ES3_jPlS8_PNS0_10empty_typeENS0_5tupleIJS8_S9_EEENSB_IJS8_SA_EEENS0_18inequality_wrapperIZN2at6native12_GLOBAL__N_124unique_dim_cuda_templateIlEESt5tupleIJNSF_6TensorESK_SK_EERKSK_lbbbEUlllE0_EEPmJS9_EEE10hipError_tPvRmT3_T4_T5_T6_T7_T9_mT8_P12ihipStream_tbDpT10_ENKUlT_T0_E_clISt17integral_constantIbLb1EES19_IbLb0EEEEDaS15_S16_EUlS15_E_NS1_11comp_targetILNS1_3genE4ELNS1_11target_archE910ELNS1_3gpuE8ELNS1_3repE0EEENS1_30default_config_static_selectorELNS0_4arch9wavefront6targetE1EEEvT1_ ; -- Begin function _ZN7rocprim17ROCPRIM_400000_NS6detail17trampoline_kernelINS0_14default_configENS1_25partition_config_selectorILNS1_17partition_subalgoE9EllbEEZZNS1_14partition_implILS5_9ELb0ES3_jPlS8_PNS0_10empty_typeENS0_5tupleIJS8_S9_EEENSB_IJS8_SA_EEENS0_18inequality_wrapperIZN2at6native12_GLOBAL__N_124unique_dim_cuda_templateIlEESt5tupleIJNSF_6TensorESK_SK_EERKSK_lbbbEUlllE0_EEPmJS9_EEE10hipError_tPvRmT3_T4_T5_T6_T7_T9_mT8_P12ihipStream_tbDpT10_ENKUlT_T0_E_clISt17integral_constantIbLb1EES19_IbLb0EEEEDaS15_S16_EUlS15_E_NS1_11comp_targetILNS1_3genE4ELNS1_11target_archE910ELNS1_3gpuE8ELNS1_3repE0EEENS1_30default_config_static_selectorELNS0_4arch9wavefront6targetE1EEEvT1_
	.p2align	8
	.type	_ZN7rocprim17ROCPRIM_400000_NS6detail17trampoline_kernelINS0_14default_configENS1_25partition_config_selectorILNS1_17partition_subalgoE9EllbEEZZNS1_14partition_implILS5_9ELb0ES3_jPlS8_PNS0_10empty_typeENS0_5tupleIJS8_S9_EEENSB_IJS8_SA_EEENS0_18inequality_wrapperIZN2at6native12_GLOBAL__N_124unique_dim_cuda_templateIlEESt5tupleIJNSF_6TensorESK_SK_EERKSK_lbbbEUlllE0_EEPmJS9_EEE10hipError_tPvRmT3_T4_T5_T6_T7_T9_mT8_P12ihipStream_tbDpT10_ENKUlT_T0_E_clISt17integral_constantIbLb1EES19_IbLb0EEEEDaS15_S16_EUlS15_E_NS1_11comp_targetILNS1_3genE4ELNS1_11target_archE910ELNS1_3gpuE8ELNS1_3repE0EEENS1_30default_config_static_selectorELNS0_4arch9wavefront6targetE1EEEvT1_,@function
_ZN7rocprim17ROCPRIM_400000_NS6detail17trampoline_kernelINS0_14default_configENS1_25partition_config_selectorILNS1_17partition_subalgoE9EllbEEZZNS1_14partition_implILS5_9ELb0ES3_jPlS8_PNS0_10empty_typeENS0_5tupleIJS8_S9_EEENSB_IJS8_SA_EEENS0_18inequality_wrapperIZN2at6native12_GLOBAL__N_124unique_dim_cuda_templateIlEESt5tupleIJNSF_6TensorESK_SK_EERKSK_lbbbEUlllE0_EEPmJS9_EEE10hipError_tPvRmT3_T4_T5_T6_T7_T9_mT8_P12ihipStream_tbDpT10_ENKUlT_T0_E_clISt17integral_constantIbLb1EES19_IbLb0EEEEDaS15_S16_EUlS15_E_NS1_11comp_targetILNS1_3genE4ELNS1_11target_archE910ELNS1_3gpuE8ELNS1_3repE0EEENS1_30default_config_static_selectorELNS0_4arch9wavefront6targetE1EEEvT1_: ; @_ZN7rocprim17ROCPRIM_400000_NS6detail17trampoline_kernelINS0_14default_configENS1_25partition_config_selectorILNS1_17partition_subalgoE9EllbEEZZNS1_14partition_implILS5_9ELb0ES3_jPlS8_PNS0_10empty_typeENS0_5tupleIJS8_S9_EEENSB_IJS8_SA_EEENS0_18inequality_wrapperIZN2at6native12_GLOBAL__N_124unique_dim_cuda_templateIlEESt5tupleIJNSF_6TensorESK_SK_EERKSK_lbbbEUlllE0_EEPmJS9_EEE10hipError_tPvRmT3_T4_T5_T6_T7_T9_mT8_P12ihipStream_tbDpT10_ENKUlT_T0_E_clISt17integral_constantIbLb1EES19_IbLb0EEEEDaS15_S16_EUlS15_E_NS1_11comp_targetILNS1_3genE4ELNS1_11target_archE910ELNS1_3gpuE8ELNS1_3repE0EEENS1_30default_config_static_selectorELNS0_4arch9wavefront6targetE1EEEvT1_
; %bb.0:
	.section	.rodata,"a",@progbits
	.p2align	6, 0x0
	.amdhsa_kernel _ZN7rocprim17ROCPRIM_400000_NS6detail17trampoline_kernelINS0_14default_configENS1_25partition_config_selectorILNS1_17partition_subalgoE9EllbEEZZNS1_14partition_implILS5_9ELb0ES3_jPlS8_PNS0_10empty_typeENS0_5tupleIJS8_S9_EEENSB_IJS8_SA_EEENS0_18inequality_wrapperIZN2at6native12_GLOBAL__N_124unique_dim_cuda_templateIlEESt5tupleIJNSF_6TensorESK_SK_EERKSK_lbbbEUlllE0_EEPmJS9_EEE10hipError_tPvRmT3_T4_T5_T6_T7_T9_mT8_P12ihipStream_tbDpT10_ENKUlT_T0_E_clISt17integral_constantIbLb1EES19_IbLb0EEEEDaS15_S16_EUlS15_E_NS1_11comp_targetILNS1_3genE4ELNS1_11target_archE910ELNS1_3gpuE8ELNS1_3repE0EEENS1_30default_config_static_selectorELNS0_4arch9wavefront6targetE1EEEvT1_
		.amdhsa_group_segment_fixed_size 0
		.amdhsa_private_segment_fixed_size 0
		.amdhsa_kernarg_size 120
		.amdhsa_user_sgpr_count 2
		.amdhsa_user_sgpr_dispatch_ptr 0
		.amdhsa_user_sgpr_queue_ptr 0
		.amdhsa_user_sgpr_kernarg_segment_ptr 1
		.amdhsa_user_sgpr_dispatch_id 0
		.amdhsa_user_sgpr_kernarg_preload_length 0
		.amdhsa_user_sgpr_kernarg_preload_offset 0
		.amdhsa_user_sgpr_private_segment_size 0
		.amdhsa_uses_dynamic_stack 0
		.amdhsa_enable_private_segment 0
		.amdhsa_system_sgpr_workgroup_id_x 1
		.amdhsa_system_sgpr_workgroup_id_y 0
		.amdhsa_system_sgpr_workgroup_id_z 0
		.amdhsa_system_sgpr_workgroup_info 0
		.amdhsa_system_vgpr_workitem_id 0
		.amdhsa_next_free_vgpr 1
		.amdhsa_next_free_sgpr 0
		.amdhsa_accum_offset 4
		.amdhsa_reserve_vcc 0
		.amdhsa_float_round_mode_32 0
		.amdhsa_float_round_mode_16_64 0
		.amdhsa_float_denorm_mode_32 3
		.amdhsa_float_denorm_mode_16_64 3
		.amdhsa_dx10_clamp 1
		.amdhsa_ieee_mode 1
		.amdhsa_fp16_overflow 0
		.amdhsa_tg_split 0
		.amdhsa_exception_fp_ieee_invalid_op 0
		.amdhsa_exception_fp_denorm_src 0
		.amdhsa_exception_fp_ieee_div_zero 0
		.amdhsa_exception_fp_ieee_overflow 0
		.amdhsa_exception_fp_ieee_underflow 0
		.amdhsa_exception_fp_ieee_inexact 0
		.amdhsa_exception_int_div_zero 0
	.end_amdhsa_kernel
	.section	.text._ZN7rocprim17ROCPRIM_400000_NS6detail17trampoline_kernelINS0_14default_configENS1_25partition_config_selectorILNS1_17partition_subalgoE9EllbEEZZNS1_14partition_implILS5_9ELb0ES3_jPlS8_PNS0_10empty_typeENS0_5tupleIJS8_S9_EEENSB_IJS8_SA_EEENS0_18inequality_wrapperIZN2at6native12_GLOBAL__N_124unique_dim_cuda_templateIlEESt5tupleIJNSF_6TensorESK_SK_EERKSK_lbbbEUlllE0_EEPmJS9_EEE10hipError_tPvRmT3_T4_T5_T6_T7_T9_mT8_P12ihipStream_tbDpT10_ENKUlT_T0_E_clISt17integral_constantIbLb1EES19_IbLb0EEEEDaS15_S16_EUlS15_E_NS1_11comp_targetILNS1_3genE4ELNS1_11target_archE910ELNS1_3gpuE8ELNS1_3repE0EEENS1_30default_config_static_selectorELNS0_4arch9wavefront6targetE1EEEvT1_,"axG",@progbits,_ZN7rocprim17ROCPRIM_400000_NS6detail17trampoline_kernelINS0_14default_configENS1_25partition_config_selectorILNS1_17partition_subalgoE9EllbEEZZNS1_14partition_implILS5_9ELb0ES3_jPlS8_PNS0_10empty_typeENS0_5tupleIJS8_S9_EEENSB_IJS8_SA_EEENS0_18inequality_wrapperIZN2at6native12_GLOBAL__N_124unique_dim_cuda_templateIlEESt5tupleIJNSF_6TensorESK_SK_EERKSK_lbbbEUlllE0_EEPmJS9_EEE10hipError_tPvRmT3_T4_T5_T6_T7_T9_mT8_P12ihipStream_tbDpT10_ENKUlT_T0_E_clISt17integral_constantIbLb1EES19_IbLb0EEEEDaS15_S16_EUlS15_E_NS1_11comp_targetILNS1_3genE4ELNS1_11target_archE910ELNS1_3gpuE8ELNS1_3repE0EEENS1_30default_config_static_selectorELNS0_4arch9wavefront6targetE1EEEvT1_,comdat
.Lfunc_end617:
	.size	_ZN7rocprim17ROCPRIM_400000_NS6detail17trampoline_kernelINS0_14default_configENS1_25partition_config_selectorILNS1_17partition_subalgoE9EllbEEZZNS1_14partition_implILS5_9ELb0ES3_jPlS8_PNS0_10empty_typeENS0_5tupleIJS8_S9_EEENSB_IJS8_SA_EEENS0_18inequality_wrapperIZN2at6native12_GLOBAL__N_124unique_dim_cuda_templateIlEESt5tupleIJNSF_6TensorESK_SK_EERKSK_lbbbEUlllE0_EEPmJS9_EEE10hipError_tPvRmT3_T4_T5_T6_T7_T9_mT8_P12ihipStream_tbDpT10_ENKUlT_T0_E_clISt17integral_constantIbLb1EES19_IbLb0EEEEDaS15_S16_EUlS15_E_NS1_11comp_targetILNS1_3genE4ELNS1_11target_archE910ELNS1_3gpuE8ELNS1_3repE0EEENS1_30default_config_static_selectorELNS0_4arch9wavefront6targetE1EEEvT1_, .Lfunc_end617-_ZN7rocprim17ROCPRIM_400000_NS6detail17trampoline_kernelINS0_14default_configENS1_25partition_config_selectorILNS1_17partition_subalgoE9EllbEEZZNS1_14partition_implILS5_9ELb0ES3_jPlS8_PNS0_10empty_typeENS0_5tupleIJS8_S9_EEENSB_IJS8_SA_EEENS0_18inequality_wrapperIZN2at6native12_GLOBAL__N_124unique_dim_cuda_templateIlEESt5tupleIJNSF_6TensorESK_SK_EERKSK_lbbbEUlllE0_EEPmJS9_EEE10hipError_tPvRmT3_T4_T5_T6_T7_T9_mT8_P12ihipStream_tbDpT10_ENKUlT_T0_E_clISt17integral_constantIbLb1EES19_IbLb0EEEEDaS15_S16_EUlS15_E_NS1_11comp_targetILNS1_3genE4ELNS1_11target_archE910ELNS1_3gpuE8ELNS1_3repE0EEENS1_30default_config_static_selectorELNS0_4arch9wavefront6targetE1EEEvT1_
                                        ; -- End function
	.section	.AMDGPU.csdata,"",@progbits
; Kernel info:
; codeLenInByte = 0
; NumSgprs: 6
; NumVgprs: 0
; NumAgprs: 0
; TotalNumVgprs: 0
; ScratchSize: 0
; MemoryBound: 0
; FloatMode: 240
; IeeeMode: 1
; LDSByteSize: 0 bytes/workgroup (compile time only)
; SGPRBlocks: 0
; VGPRBlocks: 0
; NumSGPRsForWavesPerEU: 6
; NumVGPRsForWavesPerEU: 1
; AccumOffset: 4
; Occupancy: 8
; WaveLimiterHint : 0
; COMPUTE_PGM_RSRC2:SCRATCH_EN: 0
; COMPUTE_PGM_RSRC2:USER_SGPR: 2
; COMPUTE_PGM_RSRC2:TRAP_HANDLER: 0
; COMPUTE_PGM_RSRC2:TGID_X_EN: 1
; COMPUTE_PGM_RSRC2:TGID_Y_EN: 0
; COMPUTE_PGM_RSRC2:TGID_Z_EN: 0
; COMPUTE_PGM_RSRC2:TIDIG_COMP_CNT: 0
; COMPUTE_PGM_RSRC3_GFX90A:ACCUM_OFFSET: 0
; COMPUTE_PGM_RSRC3_GFX90A:TG_SPLIT: 0
	.section	.text._ZN7rocprim17ROCPRIM_400000_NS6detail17trampoline_kernelINS0_14default_configENS1_25partition_config_selectorILNS1_17partition_subalgoE9EllbEEZZNS1_14partition_implILS5_9ELb0ES3_jPlS8_PNS0_10empty_typeENS0_5tupleIJS8_S9_EEENSB_IJS8_SA_EEENS0_18inequality_wrapperIZN2at6native12_GLOBAL__N_124unique_dim_cuda_templateIlEESt5tupleIJNSF_6TensorESK_SK_EERKSK_lbbbEUlllE0_EEPmJS9_EEE10hipError_tPvRmT3_T4_T5_T6_T7_T9_mT8_P12ihipStream_tbDpT10_ENKUlT_T0_E_clISt17integral_constantIbLb1EES19_IbLb0EEEEDaS15_S16_EUlS15_E_NS1_11comp_targetILNS1_3genE3ELNS1_11target_archE908ELNS1_3gpuE7ELNS1_3repE0EEENS1_30default_config_static_selectorELNS0_4arch9wavefront6targetE1EEEvT1_,"axG",@progbits,_ZN7rocprim17ROCPRIM_400000_NS6detail17trampoline_kernelINS0_14default_configENS1_25partition_config_selectorILNS1_17partition_subalgoE9EllbEEZZNS1_14partition_implILS5_9ELb0ES3_jPlS8_PNS0_10empty_typeENS0_5tupleIJS8_S9_EEENSB_IJS8_SA_EEENS0_18inequality_wrapperIZN2at6native12_GLOBAL__N_124unique_dim_cuda_templateIlEESt5tupleIJNSF_6TensorESK_SK_EERKSK_lbbbEUlllE0_EEPmJS9_EEE10hipError_tPvRmT3_T4_T5_T6_T7_T9_mT8_P12ihipStream_tbDpT10_ENKUlT_T0_E_clISt17integral_constantIbLb1EES19_IbLb0EEEEDaS15_S16_EUlS15_E_NS1_11comp_targetILNS1_3genE3ELNS1_11target_archE908ELNS1_3gpuE7ELNS1_3repE0EEENS1_30default_config_static_selectorELNS0_4arch9wavefront6targetE1EEEvT1_,comdat
	.globl	_ZN7rocprim17ROCPRIM_400000_NS6detail17trampoline_kernelINS0_14default_configENS1_25partition_config_selectorILNS1_17partition_subalgoE9EllbEEZZNS1_14partition_implILS5_9ELb0ES3_jPlS8_PNS0_10empty_typeENS0_5tupleIJS8_S9_EEENSB_IJS8_SA_EEENS0_18inequality_wrapperIZN2at6native12_GLOBAL__N_124unique_dim_cuda_templateIlEESt5tupleIJNSF_6TensorESK_SK_EERKSK_lbbbEUlllE0_EEPmJS9_EEE10hipError_tPvRmT3_T4_T5_T6_T7_T9_mT8_P12ihipStream_tbDpT10_ENKUlT_T0_E_clISt17integral_constantIbLb1EES19_IbLb0EEEEDaS15_S16_EUlS15_E_NS1_11comp_targetILNS1_3genE3ELNS1_11target_archE908ELNS1_3gpuE7ELNS1_3repE0EEENS1_30default_config_static_selectorELNS0_4arch9wavefront6targetE1EEEvT1_ ; -- Begin function _ZN7rocprim17ROCPRIM_400000_NS6detail17trampoline_kernelINS0_14default_configENS1_25partition_config_selectorILNS1_17partition_subalgoE9EllbEEZZNS1_14partition_implILS5_9ELb0ES3_jPlS8_PNS0_10empty_typeENS0_5tupleIJS8_S9_EEENSB_IJS8_SA_EEENS0_18inequality_wrapperIZN2at6native12_GLOBAL__N_124unique_dim_cuda_templateIlEESt5tupleIJNSF_6TensorESK_SK_EERKSK_lbbbEUlllE0_EEPmJS9_EEE10hipError_tPvRmT3_T4_T5_T6_T7_T9_mT8_P12ihipStream_tbDpT10_ENKUlT_T0_E_clISt17integral_constantIbLb1EES19_IbLb0EEEEDaS15_S16_EUlS15_E_NS1_11comp_targetILNS1_3genE3ELNS1_11target_archE908ELNS1_3gpuE7ELNS1_3repE0EEENS1_30default_config_static_selectorELNS0_4arch9wavefront6targetE1EEEvT1_
	.p2align	8
	.type	_ZN7rocprim17ROCPRIM_400000_NS6detail17trampoline_kernelINS0_14default_configENS1_25partition_config_selectorILNS1_17partition_subalgoE9EllbEEZZNS1_14partition_implILS5_9ELb0ES3_jPlS8_PNS0_10empty_typeENS0_5tupleIJS8_S9_EEENSB_IJS8_SA_EEENS0_18inequality_wrapperIZN2at6native12_GLOBAL__N_124unique_dim_cuda_templateIlEESt5tupleIJNSF_6TensorESK_SK_EERKSK_lbbbEUlllE0_EEPmJS9_EEE10hipError_tPvRmT3_T4_T5_T6_T7_T9_mT8_P12ihipStream_tbDpT10_ENKUlT_T0_E_clISt17integral_constantIbLb1EES19_IbLb0EEEEDaS15_S16_EUlS15_E_NS1_11comp_targetILNS1_3genE3ELNS1_11target_archE908ELNS1_3gpuE7ELNS1_3repE0EEENS1_30default_config_static_selectorELNS0_4arch9wavefront6targetE1EEEvT1_,@function
_ZN7rocprim17ROCPRIM_400000_NS6detail17trampoline_kernelINS0_14default_configENS1_25partition_config_selectorILNS1_17partition_subalgoE9EllbEEZZNS1_14partition_implILS5_9ELb0ES3_jPlS8_PNS0_10empty_typeENS0_5tupleIJS8_S9_EEENSB_IJS8_SA_EEENS0_18inequality_wrapperIZN2at6native12_GLOBAL__N_124unique_dim_cuda_templateIlEESt5tupleIJNSF_6TensorESK_SK_EERKSK_lbbbEUlllE0_EEPmJS9_EEE10hipError_tPvRmT3_T4_T5_T6_T7_T9_mT8_P12ihipStream_tbDpT10_ENKUlT_T0_E_clISt17integral_constantIbLb1EES19_IbLb0EEEEDaS15_S16_EUlS15_E_NS1_11comp_targetILNS1_3genE3ELNS1_11target_archE908ELNS1_3gpuE7ELNS1_3repE0EEENS1_30default_config_static_selectorELNS0_4arch9wavefront6targetE1EEEvT1_: ; @_ZN7rocprim17ROCPRIM_400000_NS6detail17trampoline_kernelINS0_14default_configENS1_25partition_config_selectorILNS1_17partition_subalgoE9EllbEEZZNS1_14partition_implILS5_9ELb0ES3_jPlS8_PNS0_10empty_typeENS0_5tupleIJS8_S9_EEENSB_IJS8_SA_EEENS0_18inequality_wrapperIZN2at6native12_GLOBAL__N_124unique_dim_cuda_templateIlEESt5tupleIJNSF_6TensorESK_SK_EERKSK_lbbbEUlllE0_EEPmJS9_EEE10hipError_tPvRmT3_T4_T5_T6_T7_T9_mT8_P12ihipStream_tbDpT10_ENKUlT_T0_E_clISt17integral_constantIbLb1EES19_IbLb0EEEEDaS15_S16_EUlS15_E_NS1_11comp_targetILNS1_3genE3ELNS1_11target_archE908ELNS1_3gpuE7ELNS1_3repE0EEENS1_30default_config_static_selectorELNS0_4arch9wavefront6targetE1EEEvT1_
; %bb.0:
	.section	.rodata,"a",@progbits
	.p2align	6, 0x0
	.amdhsa_kernel _ZN7rocprim17ROCPRIM_400000_NS6detail17trampoline_kernelINS0_14default_configENS1_25partition_config_selectorILNS1_17partition_subalgoE9EllbEEZZNS1_14partition_implILS5_9ELb0ES3_jPlS8_PNS0_10empty_typeENS0_5tupleIJS8_S9_EEENSB_IJS8_SA_EEENS0_18inequality_wrapperIZN2at6native12_GLOBAL__N_124unique_dim_cuda_templateIlEESt5tupleIJNSF_6TensorESK_SK_EERKSK_lbbbEUlllE0_EEPmJS9_EEE10hipError_tPvRmT3_T4_T5_T6_T7_T9_mT8_P12ihipStream_tbDpT10_ENKUlT_T0_E_clISt17integral_constantIbLb1EES19_IbLb0EEEEDaS15_S16_EUlS15_E_NS1_11comp_targetILNS1_3genE3ELNS1_11target_archE908ELNS1_3gpuE7ELNS1_3repE0EEENS1_30default_config_static_selectorELNS0_4arch9wavefront6targetE1EEEvT1_
		.amdhsa_group_segment_fixed_size 0
		.amdhsa_private_segment_fixed_size 0
		.amdhsa_kernarg_size 120
		.amdhsa_user_sgpr_count 2
		.amdhsa_user_sgpr_dispatch_ptr 0
		.amdhsa_user_sgpr_queue_ptr 0
		.amdhsa_user_sgpr_kernarg_segment_ptr 1
		.amdhsa_user_sgpr_dispatch_id 0
		.amdhsa_user_sgpr_kernarg_preload_length 0
		.amdhsa_user_sgpr_kernarg_preload_offset 0
		.amdhsa_user_sgpr_private_segment_size 0
		.amdhsa_uses_dynamic_stack 0
		.amdhsa_enable_private_segment 0
		.amdhsa_system_sgpr_workgroup_id_x 1
		.amdhsa_system_sgpr_workgroup_id_y 0
		.amdhsa_system_sgpr_workgroup_id_z 0
		.amdhsa_system_sgpr_workgroup_info 0
		.amdhsa_system_vgpr_workitem_id 0
		.amdhsa_next_free_vgpr 1
		.amdhsa_next_free_sgpr 0
		.amdhsa_accum_offset 4
		.amdhsa_reserve_vcc 0
		.amdhsa_float_round_mode_32 0
		.amdhsa_float_round_mode_16_64 0
		.amdhsa_float_denorm_mode_32 3
		.amdhsa_float_denorm_mode_16_64 3
		.amdhsa_dx10_clamp 1
		.amdhsa_ieee_mode 1
		.amdhsa_fp16_overflow 0
		.amdhsa_tg_split 0
		.amdhsa_exception_fp_ieee_invalid_op 0
		.amdhsa_exception_fp_denorm_src 0
		.amdhsa_exception_fp_ieee_div_zero 0
		.amdhsa_exception_fp_ieee_overflow 0
		.amdhsa_exception_fp_ieee_underflow 0
		.amdhsa_exception_fp_ieee_inexact 0
		.amdhsa_exception_int_div_zero 0
	.end_amdhsa_kernel
	.section	.text._ZN7rocprim17ROCPRIM_400000_NS6detail17trampoline_kernelINS0_14default_configENS1_25partition_config_selectorILNS1_17partition_subalgoE9EllbEEZZNS1_14partition_implILS5_9ELb0ES3_jPlS8_PNS0_10empty_typeENS0_5tupleIJS8_S9_EEENSB_IJS8_SA_EEENS0_18inequality_wrapperIZN2at6native12_GLOBAL__N_124unique_dim_cuda_templateIlEESt5tupleIJNSF_6TensorESK_SK_EERKSK_lbbbEUlllE0_EEPmJS9_EEE10hipError_tPvRmT3_T4_T5_T6_T7_T9_mT8_P12ihipStream_tbDpT10_ENKUlT_T0_E_clISt17integral_constantIbLb1EES19_IbLb0EEEEDaS15_S16_EUlS15_E_NS1_11comp_targetILNS1_3genE3ELNS1_11target_archE908ELNS1_3gpuE7ELNS1_3repE0EEENS1_30default_config_static_selectorELNS0_4arch9wavefront6targetE1EEEvT1_,"axG",@progbits,_ZN7rocprim17ROCPRIM_400000_NS6detail17trampoline_kernelINS0_14default_configENS1_25partition_config_selectorILNS1_17partition_subalgoE9EllbEEZZNS1_14partition_implILS5_9ELb0ES3_jPlS8_PNS0_10empty_typeENS0_5tupleIJS8_S9_EEENSB_IJS8_SA_EEENS0_18inequality_wrapperIZN2at6native12_GLOBAL__N_124unique_dim_cuda_templateIlEESt5tupleIJNSF_6TensorESK_SK_EERKSK_lbbbEUlllE0_EEPmJS9_EEE10hipError_tPvRmT3_T4_T5_T6_T7_T9_mT8_P12ihipStream_tbDpT10_ENKUlT_T0_E_clISt17integral_constantIbLb1EES19_IbLb0EEEEDaS15_S16_EUlS15_E_NS1_11comp_targetILNS1_3genE3ELNS1_11target_archE908ELNS1_3gpuE7ELNS1_3repE0EEENS1_30default_config_static_selectorELNS0_4arch9wavefront6targetE1EEEvT1_,comdat
.Lfunc_end618:
	.size	_ZN7rocprim17ROCPRIM_400000_NS6detail17trampoline_kernelINS0_14default_configENS1_25partition_config_selectorILNS1_17partition_subalgoE9EllbEEZZNS1_14partition_implILS5_9ELb0ES3_jPlS8_PNS0_10empty_typeENS0_5tupleIJS8_S9_EEENSB_IJS8_SA_EEENS0_18inequality_wrapperIZN2at6native12_GLOBAL__N_124unique_dim_cuda_templateIlEESt5tupleIJNSF_6TensorESK_SK_EERKSK_lbbbEUlllE0_EEPmJS9_EEE10hipError_tPvRmT3_T4_T5_T6_T7_T9_mT8_P12ihipStream_tbDpT10_ENKUlT_T0_E_clISt17integral_constantIbLb1EES19_IbLb0EEEEDaS15_S16_EUlS15_E_NS1_11comp_targetILNS1_3genE3ELNS1_11target_archE908ELNS1_3gpuE7ELNS1_3repE0EEENS1_30default_config_static_selectorELNS0_4arch9wavefront6targetE1EEEvT1_, .Lfunc_end618-_ZN7rocprim17ROCPRIM_400000_NS6detail17trampoline_kernelINS0_14default_configENS1_25partition_config_selectorILNS1_17partition_subalgoE9EllbEEZZNS1_14partition_implILS5_9ELb0ES3_jPlS8_PNS0_10empty_typeENS0_5tupleIJS8_S9_EEENSB_IJS8_SA_EEENS0_18inequality_wrapperIZN2at6native12_GLOBAL__N_124unique_dim_cuda_templateIlEESt5tupleIJNSF_6TensorESK_SK_EERKSK_lbbbEUlllE0_EEPmJS9_EEE10hipError_tPvRmT3_T4_T5_T6_T7_T9_mT8_P12ihipStream_tbDpT10_ENKUlT_T0_E_clISt17integral_constantIbLb1EES19_IbLb0EEEEDaS15_S16_EUlS15_E_NS1_11comp_targetILNS1_3genE3ELNS1_11target_archE908ELNS1_3gpuE7ELNS1_3repE0EEENS1_30default_config_static_selectorELNS0_4arch9wavefront6targetE1EEEvT1_
                                        ; -- End function
	.section	.AMDGPU.csdata,"",@progbits
; Kernel info:
; codeLenInByte = 0
; NumSgprs: 6
; NumVgprs: 0
; NumAgprs: 0
; TotalNumVgprs: 0
; ScratchSize: 0
; MemoryBound: 0
; FloatMode: 240
; IeeeMode: 1
; LDSByteSize: 0 bytes/workgroup (compile time only)
; SGPRBlocks: 0
; VGPRBlocks: 0
; NumSGPRsForWavesPerEU: 6
; NumVGPRsForWavesPerEU: 1
; AccumOffset: 4
; Occupancy: 8
; WaveLimiterHint : 0
; COMPUTE_PGM_RSRC2:SCRATCH_EN: 0
; COMPUTE_PGM_RSRC2:USER_SGPR: 2
; COMPUTE_PGM_RSRC2:TRAP_HANDLER: 0
; COMPUTE_PGM_RSRC2:TGID_X_EN: 1
; COMPUTE_PGM_RSRC2:TGID_Y_EN: 0
; COMPUTE_PGM_RSRC2:TGID_Z_EN: 0
; COMPUTE_PGM_RSRC2:TIDIG_COMP_CNT: 0
; COMPUTE_PGM_RSRC3_GFX90A:ACCUM_OFFSET: 0
; COMPUTE_PGM_RSRC3_GFX90A:TG_SPLIT: 0
	.section	.text._ZN7rocprim17ROCPRIM_400000_NS6detail17trampoline_kernelINS0_14default_configENS1_25partition_config_selectorILNS1_17partition_subalgoE9EllbEEZZNS1_14partition_implILS5_9ELb0ES3_jPlS8_PNS0_10empty_typeENS0_5tupleIJS8_S9_EEENSB_IJS8_SA_EEENS0_18inequality_wrapperIZN2at6native12_GLOBAL__N_124unique_dim_cuda_templateIlEESt5tupleIJNSF_6TensorESK_SK_EERKSK_lbbbEUlllE0_EEPmJS9_EEE10hipError_tPvRmT3_T4_T5_T6_T7_T9_mT8_P12ihipStream_tbDpT10_ENKUlT_T0_E_clISt17integral_constantIbLb1EES19_IbLb0EEEEDaS15_S16_EUlS15_E_NS1_11comp_targetILNS1_3genE2ELNS1_11target_archE906ELNS1_3gpuE6ELNS1_3repE0EEENS1_30default_config_static_selectorELNS0_4arch9wavefront6targetE1EEEvT1_,"axG",@progbits,_ZN7rocprim17ROCPRIM_400000_NS6detail17trampoline_kernelINS0_14default_configENS1_25partition_config_selectorILNS1_17partition_subalgoE9EllbEEZZNS1_14partition_implILS5_9ELb0ES3_jPlS8_PNS0_10empty_typeENS0_5tupleIJS8_S9_EEENSB_IJS8_SA_EEENS0_18inequality_wrapperIZN2at6native12_GLOBAL__N_124unique_dim_cuda_templateIlEESt5tupleIJNSF_6TensorESK_SK_EERKSK_lbbbEUlllE0_EEPmJS9_EEE10hipError_tPvRmT3_T4_T5_T6_T7_T9_mT8_P12ihipStream_tbDpT10_ENKUlT_T0_E_clISt17integral_constantIbLb1EES19_IbLb0EEEEDaS15_S16_EUlS15_E_NS1_11comp_targetILNS1_3genE2ELNS1_11target_archE906ELNS1_3gpuE6ELNS1_3repE0EEENS1_30default_config_static_selectorELNS0_4arch9wavefront6targetE1EEEvT1_,comdat
	.globl	_ZN7rocprim17ROCPRIM_400000_NS6detail17trampoline_kernelINS0_14default_configENS1_25partition_config_selectorILNS1_17partition_subalgoE9EllbEEZZNS1_14partition_implILS5_9ELb0ES3_jPlS8_PNS0_10empty_typeENS0_5tupleIJS8_S9_EEENSB_IJS8_SA_EEENS0_18inequality_wrapperIZN2at6native12_GLOBAL__N_124unique_dim_cuda_templateIlEESt5tupleIJNSF_6TensorESK_SK_EERKSK_lbbbEUlllE0_EEPmJS9_EEE10hipError_tPvRmT3_T4_T5_T6_T7_T9_mT8_P12ihipStream_tbDpT10_ENKUlT_T0_E_clISt17integral_constantIbLb1EES19_IbLb0EEEEDaS15_S16_EUlS15_E_NS1_11comp_targetILNS1_3genE2ELNS1_11target_archE906ELNS1_3gpuE6ELNS1_3repE0EEENS1_30default_config_static_selectorELNS0_4arch9wavefront6targetE1EEEvT1_ ; -- Begin function _ZN7rocprim17ROCPRIM_400000_NS6detail17trampoline_kernelINS0_14default_configENS1_25partition_config_selectorILNS1_17partition_subalgoE9EllbEEZZNS1_14partition_implILS5_9ELb0ES3_jPlS8_PNS0_10empty_typeENS0_5tupleIJS8_S9_EEENSB_IJS8_SA_EEENS0_18inequality_wrapperIZN2at6native12_GLOBAL__N_124unique_dim_cuda_templateIlEESt5tupleIJNSF_6TensorESK_SK_EERKSK_lbbbEUlllE0_EEPmJS9_EEE10hipError_tPvRmT3_T4_T5_T6_T7_T9_mT8_P12ihipStream_tbDpT10_ENKUlT_T0_E_clISt17integral_constantIbLb1EES19_IbLb0EEEEDaS15_S16_EUlS15_E_NS1_11comp_targetILNS1_3genE2ELNS1_11target_archE906ELNS1_3gpuE6ELNS1_3repE0EEENS1_30default_config_static_selectorELNS0_4arch9wavefront6targetE1EEEvT1_
	.p2align	8
	.type	_ZN7rocprim17ROCPRIM_400000_NS6detail17trampoline_kernelINS0_14default_configENS1_25partition_config_selectorILNS1_17partition_subalgoE9EllbEEZZNS1_14partition_implILS5_9ELb0ES3_jPlS8_PNS0_10empty_typeENS0_5tupleIJS8_S9_EEENSB_IJS8_SA_EEENS0_18inequality_wrapperIZN2at6native12_GLOBAL__N_124unique_dim_cuda_templateIlEESt5tupleIJNSF_6TensorESK_SK_EERKSK_lbbbEUlllE0_EEPmJS9_EEE10hipError_tPvRmT3_T4_T5_T6_T7_T9_mT8_P12ihipStream_tbDpT10_ENKUlT_T0_E_clISt17integral_constantIbLb1EES19_IbLb0EEEEDaS15_S16_EUlS15_E_NS1_11comp_targetILNS1_3genE2ELNS1_11target_archE906ELNS1_3gpuE6ELNS1_3repE0EEENS1_30default_config_static_selectorELNS0_4arch9wavefront6targetE1EEEvT1_,@function
_ZN7rocprim17ROCPRIM_400000_NS6detail17trampoline_kernelINS0_14default_configENS1_25partition_config_selectorILNS1_17partition_subalgoE9EllbEEZZNS1_14partition_implILS5_9ELb0ES3_jPlS8_PNS0_10empty_typeENS0_5tupleIJS8_S9_EEENSB_IJS8_SA_EEENS0_18inequality_wrapperIZN2at6native12_GLOBAL__N_124unique_dim_cuda_templateIlEESt5tupleIJNSF_6TensorESK_SK_EERKSK_lbbbEUlllE0_EEPmJS9_EEE10hipError_tPvRmT3_T4_T5_T6_T7_T9_mT8_P12ihipStream_tbDpT10_ENKUlT_T0_E_clISt17integral_constantIbLb1EES19_IbLb0EEEEDaS15_S16_EUlS15_E_NS1_11comp_targetILNS1_3genE2ELNS1_11target_archE906ELNS1_3gpuE6ELNS1_3repE0EEENS1_30default_config_static_selectorELNS0_4arch9wavefront6targetE1EEEvT1_: ; @_ZN7rocprim17ROCPRIM_400000_NS6detail17trampoline_kernelINS0_14default_configENS1_25partition_config_selectorILNS1_17partition_subalgoE9EllbEEZZNS1_14partition_implILS5_9ELb0ES3_jPlS8_PNS0_10empty_typeENS0_5tupleIJS8_S9_EEENSB_IJS8_SA_EEENS0_18inequality_wrapperIZN2at6native12_GLOBAL__N_124unique_dim_cuda_templateIlEESt5tupleIJNSF_6TensorESK_SK_EERKSK_lbbbEUlllE0_EEPmJS9_EEE10hipError_tPvRmT3_T4_T5_T6_T7_T9_mT8_P12ihipStream_tbDpT10_ENKUlT_T0_E_clISt17integral_constantIbLb1EES19_IbLb0EEEEDaS15_S16_EUlS15_E_NS1_11comp_targetILNS1_3genE2ELNS1_11target_archE906ELNS1_3gpuE6ELNS1_3repE0EEENS1_30default_config_static_selectorELNS0_4arch9wavefront6targetE1EEEvT1_
; %bb.0:
	.section	.rodata,"a",@progbits
	.p2align	6, 0x0
	.amdhsa_kernel _ZN7rocprim17ROCPRIM_400000_NS6detail17trampoline_kernelINS0_14default_configENS1_25partition_config_selectorILNS1_17partition_subalgoE9EllbEEZZNS1_14partition_implILS5_9ELb0ES3_jPlS8_PNS0_10empty_typeENS0_5tupleIJS8_S9_EEENSB_IJS8_SA_EEENS0_18inequality_wrapperIZN2at6native12_GLOBAL__N_124unique_dim_cuda_templateIlEESt5tupleIJNSF_6TensorESK_SK_EERKSK_lbbbEUlllE0_EEPmJS9_EEE10hipError_tPvRmT3_T4_T5_T6_T7_T9_mT8_P12ihipStream_tbDpT10_ENKUlT_T0_E_clISt17integral_constantIbLb1EES19_IbLb0EEEEDaS15_S16_EUlS15_E_NS1_11comp_targetILNS1_3genE2ELNS1_11target_archE906ELNS1_3gpuE6ELNS1_3repE0EEENS1_30default_config_static_selectorELNS0_4arch9wavefront6targetE1EEEvT1_
		.amdhsa_group_segment_fixed_size 0
		.amdhsa_private_segment_fixed_size 0
		.amdhsa_kernarg_size 120
		.amdhsa_user_sgpr_count 2
		.amdhsa_user_sgpr_dispatch_ptr 0
		.amdhsa_user_sgpr_queue_ptr 0
		.amdhsa_user_sgpr_kernarg_segment_ptr 1
		.amdhsa_user_sgpr_dispatch_id 0
		.amdhsa_user_sgpr_kernarg_preload_length 0
		.amdhsa_user_sgpr_kernarg_preload_offset 0
		.amdhsa_user_sgpr_private_segment_size 0
		.amdhsa_uses_dynamic_stack 0
		.amdhsa_enable_private_segment 0
		.amdhsa_system_sgpr_workgroup_id_x 1
		.amdhsa_system_sgpr_workgroup_id_y 0
		.amdhsa_system_sgpr_workgroup_id_z 0
		.amdhsa_system_sgpr_workgroup_info 0
		.amdhsa_system_vgpr_workitem_id 0
		.amdhsa_next_free_vgpr 1
		.amdhsa_next_free_sgpr 0
		.amdhsa_accum_offset 4
		.amdhsa_reserve_vcc 0
		.amdhsa_float_round_mode_32 0
		.amdhsa_float_round_mode_16_64 0
		.amdhsa_float_denorm_mode_32 3
		.amdhsa_float_denorm_mode_16_64 3
		.amdhsa_dx10_clamp 1
		.amdhsa_ieee_mode 1
		.amdhsa_fp16_overflow 0
		.amdhsa_tg_split 0
		.amdhsa_exception_fp_ieee_invalid_op 0
		.amdhsa_exception_fp_denorm_src 0
		.amdhsa_exception_fp_ieee_div_zero 0
		.amdhsa_exception_fp_ieee_overflow 0
		.amdhsa_exception_fp_ieee_underflow 0
		.amdhsa_exception_fp_ieee_inexact 0
		.amdhsa_exception_int_div_zero 0
	.end_amdhsa_kernel
	.section	.text._ZN7rocprim17ROCPRIM_400000_NS6detail17trampoline_kernelINS0_14default_configENS1_25partition_config_selectorILNS1_17partition_subalgoE9EllbEEZZNS1_14partition_implILS5_9ELb0ES3_jPlS8_PNS0_10empty_typeENS0_5tupleIJS8_S9_EEENSB_IJS8_SA_EEENS0_18inequality_wrapperIZN2at6native12_GLOBAL__N_124unique_dim_cuda_templateIlEESt5tupleIJNSF_6TensorESK_SK_EERKSK_lbbbEUlllE0_EEPmJS9_EEE10hipError_tPvRmT3_T4_T5_T6_T7_T9_mT8_P12ihipStream_tbDpT10_ENKUlT_T0_E_clISt17integral_constantIbLb1EES19_IbLb0EEEEDaS15_S16_EUlS15_E_NS1_11comp_targetILNS1_3genE2ELNS1_11target_archE906ELNS1_3gpuE6ELNS1_3repE0EEENS1_30default_config_static_selectorELNS0_4arch9wavefront6targetE1EEEvT1_,"axG",@progbits,_ZN7rocprim17ROCPRIM_400000_NS6detail17trampoline_kernelINS0_14default_configENS1_25partition_config_selectorILNS1_17partition_subalgoE9EllbEEZZNS1_14partition_implILS5_9ELb0ES3_jPlS8_PNS0_10empty_typeENS0_5tupleIJS8_S9_EEENSB_IJS8_SA_EEENS0_18inequality_wrapperIZN2at6native12_GLOBAL__N_124unique_dim_cuda_templateIlEESt5tupleIJNSF_6TensorESK_SK_EERKSK_lbbbEUlllE0_EEPmJS9_EEE10hipError_tPvRmT3_T4_T5_T6_T7_T9_mT8_P12ihipStream_tbDpT10_ENKUlT_T0_E_clISt17integral_constantIbLb1EES19_IbLb0EEEEDaS15_S16_EUlS15_E_NS1_11comp_targetILNS1_3genE2ELNS1_11target_archE906ELNS1_3gpuE6ELNS1_3repE0EEENS1_30default_config_static_selectorELNS0_4arch9wavefront6targetE1EEEvT1_,comdat
.Lfunc_end619:
	.size	_ZN7rocprim17ROCPRIM_400000_NS6detail17trampoline_kernelINS0_14default_configENS1_25partition_config_selectorILNS1_17partition_subalgoE9EllbEEZZNS1_14partition_implILS5_9ELb0ES3_jPlS8_PNS0_10empty_typeENS0_5tupleIJS8_S9_EEENSB_IJS8_SA_EEENS0_18inequality_wrapperIZN2at6native12_GLOBAL__N_124unique_dim_cuda_templateIlEESt5tupleIJNSF_6TensorESK_SK_EERKSK_lbbbEUlllE0_EEPmJS9_EEE10hipError_tPvRmT3_T4_T5_T6_T7_T9_mT8_P12ihipStream_tbDpT10_ENKUlT_T0_E_clISt17integral_constantIbLb1EES19_IbLb0EEEEDaS15_S16_EUlS15_E_NS1_11comp_targetILNS1_3genE2ELNS1_11target_archE906ELNS1_3gpuE6ELNS1_3repE0EEENS1_30default_config_static_selectorELNS0_4arch9wavefront6targetE1EEEvT1_, .Lfunc_end619-_ZN7rocprim17ROCPRIM_400000_NS6detail17trampoline_kernelINS0_14default_configENS1_25partition_config_selectorILNS1_17partition_subalgoE9EllbEEZZNS1_14partition_implILS5_9ELb0ES3_jPlS8_PNS0_10empty_typeENS0_5tupleIJS8_S9_EEENSB_IJS8_SA_EEENS0_18inequality_wrapperIZN2at6native12_GLOBAL__N_124unique_dim_cuda_templateIlEESt5tupleIJNSF_6TensorESK_SK_EERKSK_lbbbEUlllE0_EEPmJS9_EEE10hipError_tPvRmT3_T4_T5_T6_T7_T9_mT8_P12ihipStream_tbDpT10_ENKUlT_T0_E_clISt17integral_constantIbLb1EES19_IbLb0EEEEDaS15_S16_EUlS15_E_NS1_11comp_targetILNS1_3genE2ELNS1_11target_archE906ELNS1_3gpuE6ELNS1_3repE0EEENS1_30default_config_static_selectorELNS0_4arch9wavefront6targetE1EEEvT1_
                                        ; -- End function
	.section	.AMDGPU.csdata,"",@progbits
; Kernel info:
; codeLenInByte = 0
; NumSgprs: 6
; NumVgprs: 0
; NumAgprs: 0
; TotalNumVgprs: 0
; ScratchSize: 0
; MemoryBound: 0
; FloatMode: 240
; IeeeMode: 1
; LDSByteSize: 0 bytes/workgroup (compile time only)
; SGPRBlocks: 0
; VGPRBlocks: 0
; NumSGPRsForWavesPerEU: 6
; NumVGPRsForWavesPerEU: 1
; AccumOffset: 4
; Occupancy: 8
; WaveLimiterHint : 0
; COMPUTE_PGM_RSRC2:SCRATCH_EN: 0
; COMPUTE_PGM_RSRC2:USER_SGPR: 2
; COMPUTE_PGM_RSRC2:TRAP_HANDLER: 0
; COMPUTE_PGM_RSRC2:TGID_X_EN: 1
; COMPUTE_PGM_RSRC2:TGID_Y_EN: 0
; COMPUTE_PGM_RSRC2:TGID_Z_EN: 0
; COMPUTE_PGM_RSRC2:TIDIG_COMP_CNT: 0
; COMPUTE_PGM_RSRC3_GFX90A:ACCUM_OFFSET: 0
; COMPUTE_PGM_RSRC3_GFX90A:TG_SPLIT: 0
	.section	.text._ZN7rocprim17ROCPRIM_400000_NS6detail17trampoline_kernelINS0_14default_configENS1_25partition_config_selectorILNS1_17partition_subalgoE9EllbEEZZNS1_14partition_implILS5_9ELb0ES3_jPlS8_PNS0_10empty_typeENS0_5tupleIJS8_S9_EEENSB_IJS8_SA_EEENS0_18inequality_wrapperIZN2at6native12_GLOBAL__N_124unique_dim_cuda_templateIlEESt5tupleIJNSF_6TensorESK_SK_EERKSK_lbbbEUlllE0_EEPmJS9_EEE10hipError_tPvRmT3_T4_T5_T6_T7_T9_mT8_P12ihipStream_tbDpT10_ENKUlT_T0_E_clISt17integral_constantIbLb1EES19_IbLb0EEEEDaS15_S16_EUlS15_E_NS1_11comp_targetILNS1_3genE10ELNS1_11target_archE1200ELNS1_3gpuE4ELNS1_3repE0EEENS1_30default_config_static_selectorELNS0_4arch9wavefront6targetE1EEEvT1_,"axG",@progbits,_ZN7rocprim17ROCPRIM_400000_NS6detail17trampoline_kernelINS0_14default_configENS1_25partition_config_selectorILNS1_17partition_subalgoE9EllbEEZZNS1_14partition_implILS5_9ELb0ES3_jPlS8_PNS0_10empty_typeENS0_5tupleIJS8_S9_EEENSB_IJS8_SA_EEENS0_18inequality_wrapperIZN2at6native12_GLOBAL__N_124unique_dim_cuda_templateIlEESt5tupleIJNSF_6TensorESK_SK_EERKSK_lbbbEUlllE0_EEPmJS9_EEE10hipError_tPvRmT3_T4_T5_T6_T7_T9_mT8_P12ihipStream_tbDpT10_ENKUlT_T0_E_clISt17integral_constantIbLb1EES19_IbLb0EEEEDaS15_S16_EUlS15_E_NS1_11comp_targetILNS1_3genE10ELNS1_11target_archE1200ELNS1_3gpuE4ELNS1_3repE0EEENS1_30default_config_static_selectorELNS0_4arch9wavefront6targetE1EEEvT1_,comdat
	.globl	_ZN7rocprim17ROCPRIM_400000_NS6detail17trampoline_kernelINS0_14default_configENS1_25partition_config_selectorILNS1_17partition_subalgoE9EllbEEZZNS1_14partition_implILS5_9ELb0ES3_jPlS8_PNS0_10empty_typeENS0_5tupleIJS8_S9_EEENSB_IJS8_SA_EEENS0_18inequality_wrapperIZN2at6native12_GLOBAL__N_124unique_dim_cuda_templateIlEESt5tupleIJNSF_6TensorESK_SK_EERKSK_lbbbEUlllE0_EEPmJS9_EEE10hipError_tPvRmT3_T4_T5_T6_T7_T9_mT8_P12ihipStream_tbDpT10_ENKUlT_T0_E_clISt17integral_constantIbLb1EES19_IbLb0EEEEDaS15_S16_EUlS15_E_NS1_11comp_targetILNS1_3genE10ELNS1_11target_archE1200ELNS1_3gpuE4ELNS1_3repE0EEENS1_30default_config_static_selectorELNS0_4arch9wavefront6targetE1EEEvT1_ ; -- Begin function _ZN7rocprim17ROCPRIM_400000_NS6detail17trampoline_kernelINS0_14default_configENS1_25partition_config_selectorILNS1_17partition_subalgoE9EllbEEZZNS1_14partition_implILS5_9ELb0ES3_jPlS8_PNS0_10empty_typeENS0_5tupleIJS8_S9_EEENSB_IJS8_SA_EEENS0_18inequality_wrapperIZN2at6native12_GLOBAL__N_124unique_dim_cuda_templateIlEESt5tupleIJNSF_6TensorESK_SK_EERKSK_lbbbEUlllE0_EEPmJS9_EEE10hipError_tPvRmT3_T4_T5_T6_T7_T9_mT8_P12ihipStream_tbDpT10_ENKUlT_T0_E_clISt17integral_constantIbLb1EES19_IbLb0EEEEDaS15_S16_EUlS15_E_NS1_11comp_targetILNS1_3genE10ELNS1_11target_archE1200ELNS1_3gpuE4ELNS1_3repE0EEENS1_30default_config_static_selectorELNS0_4arch9wavefront6targetE1EEEvT1_
	.p2align	8
	.type	_ZN7rocprim17ROCPRIM_400000_NS6detail17trampoline_kernelINS0_14default_configENS1_25partition_config_selectorILNS1_17partition_subalgoE9EllbEEZZNS1_14partition_implILS5_9ELb0ES3_jPlS8_PNS0_10empty_typeENS0_5tupleIJS8_S9_EEENSB_IJS8_SA_EEENS0_18inequality_wrapperIZN2at6native12_GLOBAL__N_124unique_dim_cuda_templateIlEESt5tupleIJNSF_6TensorESK_SK_EERKSK_lbbbEUlllE0_EEPmJS9_EEE10hipError_tPvRmT3_T4_T5_T6_T7_T9_mT8_P12ihipStream_tbDpT10_ENKUlT_T0_E_clISt17integral_constantIbLb1EES19_IbLb0EEEEDaS15_S16_EUlS15_E_NS1_11comp_targetILNS1_3genE10ELNS1_11target_archE1200ELNS1_3gpuE4ELNS1_3repE0EEENS1_30default_config_static_selectorELNS0_4arch9wavefront6targetE1EEEvT1_,@function
_ZN7rocprim17ROCPRIM_400000_NS6detail17trampoline_kernelINS0_14default_configENS1_25partition_config_selectorILNS1_17partition_subalgoE9EllbEEZZNS1_14partition_implILS5_9ELb0ES3_jPlS8_PNS0_10empty_typeENS0_5tupleIJS8_S9_EEENSB_IJS8_SA_EEENS0_18inequality_wrapperIZN2at6native12_GLOBAL__N_124unique_dim_cuda_templateIlEESt5tupleIJNSF_6TensorESK_SK_EERKSK_lbbbEUlllE0_EEPmJS9_EEE10hipError_tPvRmT3_T4_T5_T6_T7_T9_mT8_P12ihipStream_tbDpT10_ENKUlT_T0_E_clISt17integral_constantIbLb1EES19_IbLb0EEEEDaS15_S16_EUlS15_E_NS1_11comp_targetILNS1_3genE10ELNS1_11target_archE1200ELNS1_3gpuE4ELNS1_3repE0EEENS1_30default_config_static_selectorELNS0_4arch9wavefront6targetE1EEEvT1_: ; @_ZN7rocprim17ROCPRIM_400000_NS6detail17trampoline_kernelINS0_14default_configENS1_25partition_config_selectorILNS1_17partition_subalgoE9EllbEEZZNS1_14partition_implILS5_9ELb0ES3_jPlS8_PNS0_10empty_typeENS0_5tupleIJS8_S9_EEENSB_IJS8_SA_EEENS0_18inequality_wrapperIZN2at6native12_GLOBAL__N_124unique_dim_cuda_templateIlEESt5tupleIJNSF_6TensorESK_SK_EERKSK_lbbbEUlllE0_EEPmJS9_EEE10hipError_tPvRmT3_T4_T5_T6_T7_T9_mT8_P12ihipStream_tbDpT10_ENKUlT_T0_E_clISt17integral_constantIbLb1EES19_IbLb0EEEEDaS15_S16_EUlS15_E_NS1_11comp_targetILNS1_3genE10ELNS1_11target_archE1200ELNS1_3gpuE4ELNS1_3repE0EEENS1_30default_config_static_selectorELNS0_4arch9wavefront6targetE1EEEvT1_
; %bb.0:
	.section	.rodata,"a",@progbits
	.p2align	6, 0x0
	.amdhsa_kernel _ZN7rocprim17ROCPRIM_400000_NS6detail17trampoline_kernelINS0_14default_configENS1_25partition_config_selectorILNS1_17partition_subalgoE9EllbEEZZNS1_14partition_implILS5_9ELb0ES3_jPlS8_PNS0_10empty_typeENS0_5tupleIJS8_S9_EEENSB_IJS8_SA_EEENS0_18inequality_wrapperIZN2at6native12_GLOBAL__N_124unique_dim_cuda_templateIlEESt5tupleIJNSF_6TensorESK_SK_EERKSK_lbbbEUlllE0_EEPmJS9_EEE10hipError_tPvRmT3_T4_T5_T6_T7_T9_mT8_P12ihipStream_tbDpT10_ENKUlT_T0_E_clISt17integral_constantIbLb1EES19_IbLb0EEEEDaS15_S16_EUlS15_E_NS1_11comp_targetILNS1_3genE10ELNS1_11target_archE1200ELNS1_3gpuE4ELNS1_3repE0EEENS1_30default_config_static_selectorELNS0_4arch9wavefront6targetE1EEEvT1_
		.amdhsa_group_segment_fixed_size 0
		.amdhsa_private_segment_fixed_size 0
		.amdhsa_kernarg_size 120
		.amdhsa_user_sgpr_count 2
		.amdhsa_user_sgpr_dispatch_ptr 0
		.amdhsa_user_sgpr_queue_ptr 0
		.amdhsa_user_sgpr_kernarg_segment_ptr 1
		.amdhsa_user_sgpr_dispatch_id 0
		.amdhsa_user_sgpr_kernarg_preload_length 0
		.amdhsa_user_sgpr_kernarg_preload_offset 0
		.amdhsa_user_sgpr_private_segment_size 0
		.amdhsa_uses_dynamic_stack 0
		.amdhsa_enable_private_segment 0
		.amdhsa_system_sgpr_workgroup_id_x 1
		.amdhsa_system_sgpr_workgroup_id_y 0
		.amdhsa_system_sgpr_workgroup_id_z 0
		.amdhsa_system_sgpr_workgroup_info 0
		.amdhsa_system_vgpr_workitem_id 0
		.amdhsa_next_free_vgpr 1
		.amdhsa_next_free_sgpr 0
		.amdhsa_accum_offset 4
		.amdhsa_reserve_vcc 0
		.amdhsa_float_round_mode_32 0
		.amdhsa_float_round_mode_16_64 0
		.amdhsa_float_denorm_mode_32 3
		.amdhsa_float_denorm_mode_16_64 3
		.amdhsa_dx10_clamp 1
		.amdhsa_ieee_mode 1
		.amdhsa_fp16_overflow 0
		.amdhsa_tg_split 0
		.amdhsa_exception_fp_ieee_invalid_op 0
		.amdhsa_exception_fp_denorm_src 0
		.amdhsa_exception_fp_ieee_div_zero 0
		.amdhsa_exception_fp_ieee_overflow 0
		.amdhsa_exception_fp_ieee_underflow 0
		.amdhsa_exception_fp_ieee_inexact 0
		.amdhsa_exception_int_div_zero 0
	.end_amdhsa_kernel
	.section	.text._ZN7rocprim17ROCPRIM_400000_NS6detail17trampoline_kernelINS0_14default_configENS1_25partition_config_selectorILNS1_17partition_subalgoE9EllbEEZZNS1_14partition_implILS5_9ELb0ES3_jPlS8_PNS0_10empty_typeENS0_5tupleIJS8_S9_EEENSB_IJS8_SA_EEENS0_18inequality_wrapperIZN2at6native12_GLOBAL__N_124unique_dim_cuda_templateIlEESt5tupleIJNSF_6TensorESK_SK_EERKSK_lbbbEUlllE0_EEPmJS9_EEE10hipError_tPvRmT3_T4_T5_T6_T7_T9_mT8_P12ihipStream_tbDpT10_ENKUlT_T0_E_clISt17integral_constantIbLb1EES19_IbLb0EEEEDaS15_S16_EUlS15_E_NS1_11comp_targetILNS1_3genE10ELNS1_11target_archE1200ELNS1_3gpuE4ELNS1_3repE0EEENS1_30default_config_static_selectorELNS0_4arch9wavefront6targetE1EEEvT1_,"axG",@progbits,_ZN7rocprim17ROCPRIM_400000_NS6detail17trampoline_kernelINS0_14default_configENS1_25partition_config_selectorILNS1_17partition_subalgoE9EllbEEZZNS1_14partition_implILS5_9ELb0ES3_jPlS8_PNS0_10empty_typeENS0_5tupleIJS8_S9_EEENSB_IJS8_SA_EEENS0_18inequality_wrapperIZN2at6native12_GLOBAL__N_124unique_dim_cuda_templateIlEESt5tupleIJNSF_6TensorESK_SK_EERKSK_lbbbEUlllE0_EEPmJS9_EEE10hipError_tPvRmT3_T4_T5_T6_T7_T9_mT8_P12ihipStream_tbDpT10_ENKUlT_T0_E_clISt17integral_constantIbLb1EES19_IbLb0EEEEDaS15_S16_EUlS15_E_NS1_11comp_targetILNS1_3genE10ELNS1_11target_archE1200ELNS1_3gpuE4ELNS1_3repE0EEENS1_30default_config_static_selectorELNS0_4arch9wavefront6targetE1EEEvT1_,comdat
.Lfunc_end620:
	.size	_ZN7rocprim17ROCPRIM_400000_NS6detail17trampoline_kernelINS0_14default_configENS1_25partition_config_selectorILNS1_17partition_subalgoE9EllbEEZZNS1_14partition_implILS5_9ELb0ES3_jPlS8_PNS0_10empty_typeENS0_5tupleIJS8_S9_EEENSB_IJS8_SA_EEENS0_18inequality_wrapperIZN2at6native12_GLOBAL__N_124unique_dim_cuda_templateIlEESt5tupleIJNSF_6TensorESK_SK_EERKSK_lbbbEUlllE0_EEPmJS9_EEE10hipError_tPvRmT3_T4_T5_T6_T7_T9_mT8_P12ihipStream_tbDpT10_ENKUlT_T0_E_clISt17integral_constantIbLb1EES19_IbLb0EEEEDaS15_S16_EUlS15_E_NS1_11comp_targetILNS1_3genE10ELNS1_11target_archE1200ELNS1_3gpuE4ELNS1_3repE0EEENS1_30default_config_static_selectorELNS0_4arch9wavefront6targetE1EEEvT1_, .Lfunc_end620-_ZN7rocprim17ROCPRIM_400000_NS6detail17trampoline_kernelINS0_14default_configENS1_25partition_config_selectorILNS1_17partition_subalgoE9EllbEEZZNS1_14partition_implILS5_9ELb0ES3_jPlS8_PNS0_10empty_typeENS0_5tupleIJS8_S9_EEENSB_IJS8_SA_EEENS0_18inequality_wrapperIZN2at6native12_GLOBAL__N_124unique_dim_cuda_templateIlEESt5tupleIJNSF_6TensorESK_SK_EERKSK_lbbbEUlllE0_EEPmJS9_EEE10hipError_tPvRmT3_T4_T5_T6_T7_T9_mT8_P12ihipStream_tbDpT10_ENKUlT_T0_E_clISt17integral_constantIbLb1EES19_IbLb0EEEEDaS15_S16_EUlS15_E_NS1_11comp_targetILNS1_3genE10ELNS1_11target_archE1200ELNS1_3gpuE4ELNS1_3repE0EEENS1_30default_config_static_selectorELNS0_4arch9wavefront6targetE1EEEvT1_
                                        ; -- End function
	.section	.AMDGPU.csdata,"",@progbits
; Kernel info:
; codeLenInByte = 0
; NumSgprs: 6
; NumVgprs: 0
; NumAgprs: 0
; TotalNumVgprs: 0
; ScratchSize: 0
; MemoryBound: 0
; FloatMode: 240
; IeeeMode: 1
; LDSByteSize: 0 bytes/workgroup (compile time only)
; SGPRBlocks: 0
; VGPRBlocks: 0
; NumSGPRsForWavesPerEU: 6
; NumVGPRsForWavesPerEU: 1
; AccumOffset: 4
; Occupancy: 8
; WaveLimiterHint : 0
; COMPUTE_PGM_RSRC2:SCRATCH_EN: 0
; COMPUTE_PGM_RSRC2:USER_SGPR: 2
; COMPUTE_PGM_RSRC2:TRAP_HANDLER: 0
; COMPUTE_PGM_RSRC2:TGID_X_EN: 1
; COMPUTE_PGM_RSRC2:TGID_Y_EN: 0
; COMPUTE_PGM_RSRC2:TGID_Z_EN: 0
; COMPUTE_PGM_RSRC2:TIDIG_COMP_CNT: 0
; COMPUTE_PGM_RSRC3_GFX90A:ACCUM_OFFSET: 0
; COMPUTE_PGM_RSRC3_GFX90A:TG_SPLIT: 0
	.section	.text._ZN7rocprim17ROCPRIM_400000_NS6detail17trampoline_kernelINS0_14default_configENS1_25partition_config_selectorILNS1_17partition_subalgoE9EllbEEZZNS1_14partition_implILS5_9ELb0ES3_jPlS8_PNS0_10empty_typeENS0_5tupleIJS8_S9_EEENSB_IJS8_SA_EEENS0_18inequality_wrapperIZN2at6native12_GLOBAL__N_124unique_dim_cuda_templateIlEESt5tupleIJNSF_6TensorESK_SK_EERKSK_lbbbEUlllE0_EEPmJS9_EEE10hipError_tPvRmT3_T4_T5_T6_T7_T9_mT8_P12ihipStream_tbDpT10_ENKUlT_T0_E_clISt17integral_constantIbLb1EES19_IbLb0EEEEDaS15_S16_EUlS15_E_NS1_11comp_targetILNS1_3genE9ELNS1_11target_archE1100ELNS1_3gpuE3ELNS1_3repE0EEENS1_30default_config_static_selectorELNS0_4arch9wavefront6targetE1EEEvT1_,"axG",@progbits,_ZN7rocprim17ROCPRIM_400000_NS6detail17trampoline_kernelINS0_14default_configENS1_25partition_config_selectorILNS1_17partition_subalgoE9EllbEEZZNS1_14partition_implILS5_9ELb0ES3_jPlS8_PNS0_10empty_typeENS0_5tupleIJS8_S9_EEENSB_IJS8_SA_EEENS0_18inequality_wrapperIZN2at6native12_GLOBAL__N_124unique_dim_cuda_templateIlEESt5tupleIJNSF_6TensorESK_SK_EERKSK_lbbbEUlllE0_EEPmJS9_EEE10hipError_tPvRmT3_T4_T5_T6_T7_T9_mT8_P12ihipStream_tbDpT10_ENKUlT_T0_E_clISt17integral_constantIbLb1EES19_IbLb0EEEEDaS15_S16_EUlS15_E_NS1_11comp_targetILNS1_3genE9ELNS1_11target_archE1100ELNS1_3gpuE3ELNS1_3repE0EEENS1_30default_config_static_selectorELNS0_4arch9wavefront6targetE1EEEvT1_,comdat
	.globl	_ZN7rocprim17ROCPRIM_400000_NS6detail17trampoline_kernelINS0_14default_configENS1_25partition_config_selectorILNS1_17partition_subalgoE9EllbEEZZNS1_14partition_implILS5_9ELb0ES3_jPlS8_PNS0_10empty_typeENS0_5tupleIJS8_S9_EEENSB_IJS8_SA_EEENS0_18inequality_wrapperIZN2at6native12_GLOBAL__N_124unique_dim_cuda_templateIlEESt5tupleIJNSF_6TensorESK_SK_EERKSK_lbbbEUlllE0_EEPmJS9_EEE10hipError_tPvRmT3_T4_T5_T6_T7_T9_mT8_P12ihipStream_tbDpT10_ENKUlT_T0_E_clISt17integral_constantIbLb1EES19_IbLb0EEEEDaS15_S16_EUlS15_E_NS1_11comp_targetILNS1_3genE9ELNS1_11target_archE1100ELNS1_3gpuE3ELNS1_3repE0EEENS1_30default_config_static_selectorELNS0_4arch9wavefront6targetE1EEEvT1_ ; -- Begin function _ZN7rocprim17ROCPRIM_400000_NS6detail17trampoline_kernelINS0_14default_configENS1_25partition_config_selectorILNS1_17partition_subalgoE9EllbEEZZNS1_14partition_implILS5_9ELb0ES3_jPlS8_PNS0_10empty_typeENS0_5tupleIJS8_S9_EEENSB_IJS8_SA_EEENS0_18inequality_wrapperIZN2at6native12_GLOBAL__N_124unique_dim_cuda_templateIlEESt5tupleIJNSF_6TensorESK_SK_EERKSK_lbbbEUlllE0_EEPmJS9_EEE10hipError_tPvRmT3_T4_T5_T6_T7_T9_mT8_P12ihipStream_tbDpT10_ENKUlT_T0_E_clISt17integral_constantIbLb1EES19_IbLb0EEEEDaS15_S16_EUlS15_E_NS1_11comp_targetILNS1_3genE9ELNS1_11target_archE1100ELNS1_3gpuE3ELNS1_3repE0EEENS1_30default_config_static_selectorELNS0_4arch9wavefront6targetE1EEEvT1_
	.p2align	8
	.type	_ZN7rocprim17ROCPRIM_400000_NS6detail17trampoline_kernelINS0_14default_configENS1_25partition_config_selectorILNS1_17partition_subalgoE9EllbEEZZNS1_14partition_implILS5_9ELb0ES3_jPlS8_PNS0_10empty_typeENS0_5tupleIJS8_S9_EEENSB_IJS8_SA_EEENS0_18inequality_wrapperIZN2at6native12_GLOBAL__N_124unique_dim_cuda_templateIlEESt5tupleIJNSF_6TensorESK_SK_EERKSK_lbbbEUlllE0_EEPmJS9_EEE10hipError_tPvRmT3_T4_T5_T6_T7_T9_mT8_P12ihipStream_tbDpT10_ENKUlT_T0_E_clISt17integral_constantIbLb1EES19_IbLb0EEEEDaS15_S16_EUlS15_E_NS1_11comp_targetILNS1_3genE9ELNS1_11target_archE1100ELNS1_3gpuE3ELNS1_3repE0EEENS1_30default_config_static_selectorELNS0_4arch9wavefront6targetE1EEEvT1_,@function
_ZN7rocprim17ROCPRIM_400000_NS6detail17trampoline_kernelINS0_14default_configENS1_25partition_config_selectorILNS1_17partition_subalgoE9EllbEEZZNS1_14partition_implILS5_9ELb0ES3_jPlS8_PNS0_10empty_typeENS0_5tupleIJS8_S9_EEENSB_IJS8_SA_EEENS0_18inequality_wrapperIZN2at6native12_GLOBAL__N_124unique_dim_cuda_templateIlEESt5tupleIJNSF_6TensorESK_SK_EERKSK_lbbbEUlllE0_EEPmJS9_EEE10hipError_tPvRmT3_T4_T5_T6_T7_T9_mT8_P12ihipStream_tbDpT10_ENKUlT_T0_E_clISt17integral_constantIbLb1EES19_IbLb0EEEEDaS15_S16_EUlS15_E_NS1_11comp_targetILNS1_3genE9ELNS1_11target_archE1100ELNS1_3gpuE3ELNS1_3repE0EEENS1_30default_config_static_selectorELNS0_4arch9wavefront6targetE1EEEvT1_: ; @_ZN7rocprim17ROCPRIM_400000_NS6detail17trampoline_kernelINS0_14default_configENS1_25partition_config_selectorILNS1_17partition_subalgoE9EllbEEZZNS1_14partition_implILS5_9ELb0ES3_jPlS8_PNS0_10empty_typeENS0_5tupleIJS8_S9_EEENSB_IJS8_SA_EEENS0_18inequality_wrapperIZN2at6native12_GLOBAL__N_124unique_dim_cuda_templateIlEESt5tupleIJNSF_6TensorESK_SK_EERKSK_lbbbEUlllE0_EEPmJS9_EEE10hipError_tPvRmT3_T4_T5_T6_T7_T9_mT8_P12ihipStream_tbDpT10_ENKUlT_T0_E_clISt17integral_constantIbLb1EES19_IbLb0EEEEDaS15_S16_EUlS15_E_NS1_11comp_targetILNS1_3genE9ELNS1_11target_archE1100ELNS1_3gpuE3ELNS1_3repE0EEENS1_30default_config_static_selectorELNS0_4arch9wavefront6targetE1EEEvT1_
; %bb.0:
	.section	.rodata,"a",@progbits
	.p2align	6, 0x0
	.amdhsa_kernel _ZN7rocprim17ROCPRIM_400000_NS6detail17trampoline_kernelINS0_14default_configENS1_25partition_config_selectorILNS1_17partition_subalgoE9EllbEEZZNS1_14partition_implILS5_9ELb0ES3_jPlS8_PNS0_10empty_typeENS0_5tupleIJS8_S9_EEENSB_IJS8_SA_EEENS0_18inequality_wrapperIZN2at6native12_GLOBAL__N_124unique_dim_cuda_templateIlEESt5tupleIJNSF_6TensorESK_SK_EERKSK_lbbbEUlllE0_EEPmJS9_EEE10hipError_tPvRmT3_T4_T5_T6_T7_T9_mT8_P12ihipStream_tbDpT10_ENKUlT_T0_E_clISt17integral_constantIbLb1EES19_IbLb0EEEEDaS15_S16_EUlS15_E_NS1_11comp_targetILNS1_3genE9ELNS1_11target_archE1100ELNS1_3gpuE3ELNS1_3repE0EEENS1_30default_config_static_selectorELNS0_4arch9wavefront6targetE1EEEvT1_
		.amdhsa_group_segment_fixed_size 0
		.amdhsa_private_segment_fixed_size 0
		.amdhsa_kernarg_size 120
		.amdhsa_user_sgpr_count 2
		.amdhsa_user_sgpr_dispatch_ptr 0
		.amdhsa_user_sgpr_queue_ptr 0
		.amdhsa_user_sgpr_kernarg_segment_ptr 1
		.amdhsa_user_sgpr_dispatch_id 0
		.amdhsa_user_sgpr_kernarg_preload_length 0
		.amdhsa_user_sgpr_kernarg_preload_offset 0
		.amdhsa_user_sgpr_private_segment_size 0
		.amdhsa_uses_dynamic_stack 0
		.amdhsa_enable_private_segment 0
		.amdhsa_system_sgpr_workgroup_id_x 1
		.amdhsa_system_sgpr_workgroup_id_y 0
		.amdhsa_system_sgpr_workgroup_id_z 0
		.amdhsa_system_sgpr_workgroup_info 0
		.amdhsa_system_vgpr_workitem_id 0
		.amdhsa_next_free_vgpr 1
		.amdhsa_next_free_sgpr 0
		.amdhsa_accum_offset 4
		.amdhsa_reserve_vcc 0
		.amdhsa_float_round_mode_32 0
		.amdhsa_float_round_mode_16_64 0
		.amdhsa_float_denorm_mode_32 3
		.amdhsa_float_denorm_mode_16_64 3
		.amdhsa_dx10_clamp 1
		.amdhsa_ieee_mode 1
		.amdhsa_fp16_overflow 0
		.amdhsa_tg_split 0
		.amdhsa_exception_fp_ieee_invalid_op 0
		.amdhsa_exception_fp_denorm_src 0
		.amdhsa_exception_fp_ieee_div_zero 0
		.amdhsa_exception_fp_ieee_overflow 0
		.amdhsa_exception_fp_ieee_underflow 0
		.amdhsa_exception_fp_ieee_inexact 0
		.amdhsa_exception_int_div_zero 0
	.end_amdhsa_kernel
	.section	.text._ZN7rocprim17ROCPRIM_400000_NS6detail17trampoline_kernelINS0_14default_configENS1_25partition_config_selectorILNS1_17partition_subalgoE9EllbEEZZNS1_14partition_implILS5_9ELb0ES3_jPlS8_PNS0_10empty_typeENS0_5tupleIJS8_S9_EEENSB_IJS8_SA_EEENS0_18inequality_wrapperIZN2at6native12_GLOBAL__N_124unique_dim_cuda_templateIlEESt5tupleIJNSF_6TensorESK_SK_EERKSK_lbbbEUlllE0_EEPmJS9_EEE10hipError_tPvRmT3_T4_T5_T6_T7_T9_mT8_P12ihipStream_tbDpT10_ENKUlT_T0_E_clISt17integral_constantIbLb1EES19_IbLb0EEEEDaS15_S16_EUlS15_E_NS1_11comp_targetILNS1_3genE9ELNS1_11target_archE1100ELNS1_3gpuE3ELNS1_3repE0EEENS1_30default_config_static_selectorELNS0_4arch9wavefront6targetE1EEEvT1_,"axG",@progbits,_ZN7rocprim17ROCPRIM_400000_NS6detail17trampoline_kernelINS0_14default_configENS1_25partition_config_selectorILNS1_17partition_subalgoE9EllbEEZZNS1_14partition_implILS5_9ELb0ES3_jPlS8_PNS0_10empty_typeENS0_5tupleIJS8_S9_EEENSB_IJS8_SA_EEENS0_18inequality_wrapperIZN2at6native12_GLOBAL__N_124unique_dim_cuda_templateIlEESt5tupleIJNSF_6TensorESK_SK_EERKSK_lbbbEUlllE0_EEPmJS9_EEE10hipError_tPvRmT3_T4_T5_T6_T7_T9_mT8_P12ihipStream_tbDpT10_ENKUlT_T0_E_clISt17integral_constantIbLb1EES19_IbLb0EEEEDaS15_S16_EUlS15_E_NS1_11comp_targetILNS1_3genE9ELNS1_11target_archE1100ELNS1_3gpuE3ELNS1_3repE0EEENS1_30default_config_static_selectorELNS0_4arch9wavefront6targetE1EEEvT1_,comdat
.Lfunc_end621:
	.size	_ZN7rocprim17ROCPRIM_400000_NS6detail17trampoline_kernelINS0_14default_configENS1_25partition_config_selectorILNS1_17partition_subalgoE9EllbEEZZNS1_14partition_implILS5_9ELb0ES3_jPlS8_PNS0_10empty_typeENS0_5tupleIJS8_S9_EEENSB_IJS8_SA_EEENS0_18inequality_wrapperIZN2at6native12_GLOBAL__N_124unique_dim_cuda_templateIlEESt5tupleIJNSF_6TensorESK_SK_EERKSK_lbbbEUlllE0_EEPmJS9_EEE10hipError_tPvRmT3_T4_T5_T6_T7_T9_mT8_P12ihipStream_tbDpT10_ENKUlT_T0_E_clISt17integral_constantIbLb1EES19_IbLb0EEEEDaS15_S16_EUlS15_E_NS1_11comp_targetILNS1_3genE9ELNS1_11target_archE1100ELNS1_3gpuE3ELNS1_3repE0EEENS1_30default_config_static_selectorELNS0_4arch9wavefront6targetE1EEEvT1_, .Lfunc_end621-_ZN7rocprim17ROCPRIM_400000_NS6detail17trampoline_kernelINS0_14default_configENS1_25partition_config_selectorILNS1_17partition_subalgoE9EllbEEZZNS1_14partition_implILS5_9ELb0ES3_jPlS8_PNS0_10empty_typeENS0_5tupleIJS8_S9_EEENSB_IJS8_SA_EEENS0_18inequality_wrapperIZN2at6native12_GLOBAL__N_124unique_dim_cuda_templateIlEESt5tupleIJNSF_6TensorESK_SK_EERKSK_lbbbEUlllE0_EEPmJS9_EEE10hipError_tPvRmT3_T4_T5_T6_T7_T9_mT8_P12ihipStream_tbDpT10_ENKUlT_T0_E_clISt17integral_constantIbLb1EES19_IbLb0EEEEDaS15_S16_EUlS15_E_NS1_11comp_targetILNS1_3genE9ELNS1_11target_archE1100ELNS1_3gpuE3ELNS1_3repE0EEENS1_30default_config_static_selectorELNS0_4arch9wavefront6targetE1EEEvT1_
                                        ; -- End function
	.section	.AMDGPU.csdata,"",@progbits
; Kernel info:
; codeLenInByte = 0
; NumSgprs: 6
; NumVgprs: 0
; NumAgprs: 0
; TotalNumVgprs: 0
; ScratchSize: 0
; MemoryBound: 0
; FloatMode: 240
; IeeeMode: 1
; LDSByteSize: 0 bytes/workgroup (compile time only)
; SGPRBlocks: 0
; VGPRBlocks: 0
; NumSGPRsForWavesPerEU: 6
; NumVGPRsForWavesPerEU: 1
; AccumOffset: 4
; Occupancy: 8
; WaveLimiterHint : 0
; COMPUTE_PGM_RSRC2:SCRATCH_EN: 0
; COMPUTE_PGM_RSRC2:USER_SGPR: 2
; COMPUTE_PGM_RSRC2:TRAP_HANDLER: 0
; COMPUTE_PGM_RSRC2:TGID_X_EN: 1
; COMPUTE_PGM_RSRC2:TGID_Y_EN: 0
; COMPUTE_PGM_RSRC2:TGID_Z_EN: 0
; COMPUTE_PGM_RSRC2:TIDIG_COMP_CNT: 0
; COMPUTE_PGM_RSRC3_GFX90A:ACCUM_OFFSET: 0
; COMPUTE_PGM_RSRC3_GFX90A:TG_SPLIT: 0
	.section	.text._ZN7rocprim17ROCPRIM_400000_NS6detail17trampoline_kernelINS0_14default_configENS1_25partition_config_selectorILNS1_17partition_subalgoE9EllbEEZZNS1_14partition_implILS5_9ELb0ES3_jPlS8_PNS0_10empty_typeENS0_5tupleIJS8_S9_EEENSB_IJS8_SA_EEENS0_18inequality_wrapperIZN2at6native12_GLOBAL__N_124unique_dim_cuda_templateIlEESt5tupleIJNSF_6TensorESK_SK_EERKSK_lbbbEUlllE0_EEPmJS9_EEE10hipError_tPvRmT3_T4_T5_T6_T7_T9_mT8_P12ihipStream_tbDpT10_ENKUlT_T0_E_clISt17integral_constantIbLb1EES19_IbLb0EEEEDaS15_S16_EUlS15_E_NS1_11comp_targetILNS1_3genE8ELNS1_11target_archE1030ELNS1_3gpuE2ELNS1_3repE0EEENS1_30default_config_static_selectorELNS0_4arch9wavefront6targetE1EEEvT1_,"axG",@progbits,_ZN7rocprim17ROCPRIM_400000_NS6detail17trampoline_kernelINS0_14default_configENS1_25partition_config_selectorILNS1_17partition_subalgoE9EllbEEZZNS1_14partition_implILS5_9ELb0ES3_jPlS8_PNS0_10empty_typeENS0_5tupleIJS8_S9_EEENSB_IJS8_SA_EEENS0_18inequality_wrapperIZN2at6native12_GLOBAL__N_124unique_dim_cuda_templateIlEESt5tupleIJNSF_6TensorESK_SK_EERKSK_lbbbEUlllE0_EEPmJS9_EEE10hipError_tPvRmT3_T4_T5_T6_T7_T9_mT8_P12ihipStream_tbDpT10_ENKUlT_T0_E_clISt17integral_constantIbLb1EES19_IbLb0EEEEDaS15_S16_EUlS15_E_NS1_11comp_targetILNS1_3genE8ELNS1_11target_archE1030ELNS1_3gpuE2ELNS1_3repE0EEENS1_30default_config_static_selectorELNS0_4arch9wavefront6targetE1EEEvT1_,comdat
	.globl	_ZN7rocprim17ROCPRIM_400000_NS6detail17trampoline_kernelINS0_14default_configENS1_25partition_config_selectorILNS1_17partition_subalgoE9EllbEEZZNS1_14partition_implILS5_9ELb0ES3_jPlS8_PNS0_10empty_typeENS0_5tupleIJS8_S9_EEENSB_IJS8_SA_EEENS0_18inequality_wrapperIZN2at6native12_GLOBAL__N_124unique_dim_cuda_templateIlEESt5tupleIJNSF_6TensorESK_SK_EERKSK_lbbbEUlllE0_EEPmJS9_EEE10hipError_tPvRmT3_T4_T5_T6_T7_T9_mT8_P12ihipStream_tbDpT10_ENKUlT_T0_E_clISt17integral_constantIbLb1EES19_IbLb0EEEEDaS15_S16_EUlS15_E_NS1_11comp_targetILNS1_3genE8ELNS1_11target_archE1030ELNS1_3gpuE2ELNS1_3repE0EEENS1_30default_config_static_selectorELNS0_4arch9wavefront6targetE1EEEvT1_ ; -- Begin function _ZN7rocprim17ROCPRIM_400000_NS6detail17trampoline_kernelINS0_14default_configENS1_25partition_config_selectorILNS1_17partition_subalgoE9EllbEEZZNS1_14partition_implILS5_9ELb0ES3_jPlS8_PNS0_10empty_typeENS0_5tupleIJS8_S9_EEENSB_IJS8_SA_EEENS0_18inequality_wrapperIZN2at6native12_GLOBAL__N_124unique_dim_cuda_templateIlEESt5tupleIJNSF_6TensorESK_SK_EERKSK_lbbbEUlllE0_EEPmJS9_EEE10hipError_tPvRmT3_T4_T5_T6_T7_T9_mT8_P12ihipStream_tbDpT10_ENKUlT_T0_E_clISt17integral_constantIbLb1EES19_IbLb0EEEEDaS15_S16_EUlS15_E_NS1_11comp_targetILNS1_3genE8ELNS1_11target_archE1030ELNS1_3gpuE2ELNS1_3repE0EEENS1_30default_config_static_selectorELNS0_4arch9wavefront6targetE1EEEvT1_
	.p2align	8
	.type	_ZN7rocprim17ROCPRIM_400000_NS6detail17trampoline_kernelINS0_14default_configENS1_25partition_config_selectorILNS1_17partition_subalgoE9EllbEEZZNS1_14partition_implILS5_9ELb0ES3_jPlS8_PNS0_10empty_typeENS0_5tupleIJS8_S9_EEENSB_IJS8_SA_EEENS0_18inequality_wrapperIZN2at6native12_GLOBAL__N_124unique_dim_cuda_templateIlEESt5tupleIJNSF_6TensorESK_SK_EERKSK_lbbbEUlllE0_EEPmJS9_EEE10hipError_tPvRmT3_T4_T5_T6_T7_T9_mT8_P12ihipStream_tbDpT10_ENKUlT_T0_E_clISt17integral_constantIbLb1EES19_IbLb0EEEEDaS15_S16_EUlS15_E_NS1_11comp_targetILNS1_3genE8ELNS1_11target_archE1030ELNS1_3gpuE2ELNS1_3repE0EEENS1_30default_config_static_selectorELNS0_4arch9wavefront6targetE1EEEvT1_,@function
_ZN7rocprim17ROCPRIM_400000_NS6detail17trampoline_kernelINS0_14default_configENS1_25partition_config_selectorILNS1_17partition_subalgoE9EllbEEZZNS1_14partition_implILS5_9ELb0ES3_jPlS8_PNS0_10empty_typeENS0_5tupleIJS8_S9_EEENSB_IJS8_SA_EEENS0_18inequality_wrapperIZN2at6native12_GLOBAL__N_124unique_dim_cuda_templateIlEESt5tupleIJNSF_6TensorESK_SK_EERKSK_lbbbEUlllE0_EEPmJS9_EEE10hipError_tPvRmT3_T4_T5_T6_T7_T9_mT8_P12ihipStream_tbDpT10_ENKUlT_T0_E_clISt17integral_constantIbLb1EES19_IbLb0EEEEDaS15_S16_EUlS15_E_NS1_11comp_targetILNS1_3genE8ELNS1_11target_archE1030ELNS1_3gpuE2ELNS1_3repE0EEENS1_30default_config_static_selectorELNS0_4arch9wavefront6targetE1EEEvT1_: ; @_ZN7rocprim17ROCPRIM_400000_NS6detail17trampoline_kernelINS0_14default_configENS1_25partition_config_selectorILNS1_17partition_subalgoE9EllbEEZZNS1_14partition_implILS5_9ELb0ES3_jPlS8_PNS0_10empty_typeENS0_5tupleIJS8_S9_EEENSB_IJS8_SA_EEENS0_18inequality_wrapperIZN2at6native12_GLOBAL__N_124unique_dim_cuda_templateIlEESt5tupleIJNSF_6TensorESK_SK_EERKSK_lbbbEUlllE0_EEPmJS9_EEE10hipError_tPvRmT3_T4_T5_T6_T7_T9_mT8_P12ihipStream_tbDpT10_ENKUlT_T0_E_clISt17integral_constantIbLb1EES19_IbLb0EEEEDaS15_S16_EUlS15_E_NS1_11comp_targetILNS1_3genE8ELNS1_11target_archE1030ELNS1_3gpuE2ELNS1_3repE0EEENS1_30default_config_static_selectorELNS0_4arch9wavefront6targetE1EEEvT1_
; %bb.0:
	.section	.rodata,"a",@progbits
	.p2align	6, 0x0
	.amdhsa_kernel _ZN7rocprim17ROCPRIM_400000_NS6detail17trampoline_kernelINS0_14default_configENS1_25partition_config_selectorILNS1_17partition_subalgoE9EllbEEZZNS1_14partition_implILS5_9ELb0ES3_jPlS8_PNS0_10empty_typeENS0_5tupleIJS8_S9_EEENSB_IJS8_SA_EEENS0_18inequality_wrapperIZN2at6native12_GLOBAL__N_124unique_dim_cuda_templateIlEESt5tupleIJNSF_6TensorESK_SK_EERKSK_lbbbEUlllE0_EEPmJS9_EEE10hipError_tPvRmT3_T4_T5_T6_T7_T9_mT8_P12ihipStream_tbDpT10_ENKUlT_T0_E_clISt17integral_constantIbLb1EES19_IbLb0EEEEDaS15_S16_EUlS15_E_NS1_11comp_targetILNS1_3genE8ELNS1_11target_archE1030ELNS1_3gpuE2ELNS1_3repE0EEENS1_30default_config_static_selectorELNS0_4arch9wavefront6targetE1EEEvT1_
		.amdhsa_group_segment_fixed_size 0
		.amdhsa_private_segment_fixed_size 0
		.amdhsa_kernarg_size 120
		.amdhsa_user_sgpr_count 2
		.amdhsa_user_sgpr_dispatch_ptr 0
		.amdhsa_user_sgpr_queue_ptr 0
		.amdhsa_user_sgpr_kernarg_segment_ptr 1
		.amdhsa_user_sgpr_dispatch_id 0
		.amdhsa_user_sgpr_kernarg_preload_length 0
		.amdhsa_user_sgpr_kernarg_preload_offset 0
		.amdhsa_user_sgpr_private_segment_size 0
		.amdhsa_uses_dynamic_stack 0
		.amdhsa_enable_private_segment 0
		.amdhsa_system_sgpr_workgroup_id_x 1
		.amdhsa_system_sgpr_workgroup_id_y 0
		.amdhsa_system_sgpr_workgroup_id_z 0
		.amdhsa_system_sgpr_workgroup_info 0
		.amdhsa_system_vgpr_workitem_id 0
		.amdhsa_next_free_vgpr 1
		.amdhsa_next_free_sgpr 0
		.amdhsa_accum_offset 4
		.amdhsa_reserve_vcc 0
		.amdhsa_float_round_mode_32 0
		.amdhsa_float_round_mode_16_64 0
		.amdhsa_float_denorm_mode_32 3
		.amdhsa_float_denorm_mode_16_64 3
		.amdhsa_dx10_clamp 1
		.amdhsa_ieee_mode 1
		.amdhsa_fp16_overflow 0
		.amdhsa_tg_split 0
		.amdhsa_exception_fp_ieee_invalid_op 0
		.amdhsa_exception_fp_denorm_src 0
		.amdhsa_exception_fp_ieee_div_zero 0
		.amdhsa_exception_fp_ieee_overflow 0
		.amdhsa_exception_fp_ieee_underflow 0
		.amdhsa_exception_fp_ieee_inexact 0
		.amdhsa_exception_int_div_zero 0
	.end_amdhsa_kernel
	.section	.text._ZN7rocprim17ROCPRIM_400000_NS6detail17trampoline_kernelINS0_14default_configENS1_25partition_config_selectorILNS1_17partition_subalgoE9EllbEEZZNS1_14partition_implILS5_9ELb0ES3_jPlS8_PNS0_10empty_typeENS0_5tupleIJS8_S9_EEENSB_IJS8_SA_EEENS0_18inequality_wrapperIZN2at6native12_GLOBAL__N_124unique_dim_cuda_templateIlEESt5tupleIJNSF_6TensorESK_SK_EERKSK_lbbbEUlllE0_EEPmJS9_EEE10hipError_tPvRmT3_T4_T5_T6_T7_T9_mT8_P12ihipStream_tbDpT10_ENKUlT_T0_E_clISt17integral_constantIbLb1EES19_IbLb0EEEEDaS15_S16_EUlS15_E_NS1_11comp_targetILNS1_3genE8ELNS1_11target_archE1030ELNS1_3gpuE2ELNS1_3repE0EEENS1_30default_config_static_selectorELNS0_4arch9wavefront6targetE1EEEvT1_,"axG",@progbits,_ZN7rocprim17ROCPRIM_400000_NS6detail17trampoline_kernelINS0_14default_configENS1_25partition_config_selectorILNS1_17partition_subalgoE9EllbEEZZNS1_14partition_implILS5_9ELb0ES3_jPlS8_PNS0_10empty_typeENS0_5tupleIJS8_S9_EEENSB_IJS8_SA_EEENS0_18inequality_wrapperIZN2at6native12_GLOBAL__N_124unique_dim_cuda_templateIlEESt5tupleIJNSF_6TensorESK_SK_EERKSK_lbbbEUlllE0_EEPmJS9_EEE10hipError_tPvRmT3_T4_T5_T6_T7_T9_mT8_P12ihipStream_tbDpT10_ENKUlT_T0_E_clISt17integral_constantIbLb1EES19_IbLb0EEEEDaS15_S16_EUlS15_E_NS1_11comp_targetILNS1_3genE8ELNS1_11target_archE1030ELNS1_3gpuE2ELNS1_3repE0EEENS1_30default_config_static_selectorELNS0_4arch9wavefront6targetE1EEEvT1_,comdat
.Lfunc_end622:
	.size	_ZN7rocprim17ROCPRIM_400000_NS6detail17trampoline_kernelINS0_14default_configENS1_25partition_config_selectorILNS1_17partition_subalgoE9EllbEEZZNS1_14partition_implILS5_9ELb0ES3_jPlS8_PNS0_10empty_typeENS0_5tupleIJS8_S9_EEENSB_IJS8_SA_EEENS0_18inequality_wrapperIZN2at6native12_GLOBAL__N_124unique_dim_cuda_templateIlEESt5tupleIJNSF_6TensorESK_SK_EERKSK_lbbbEUlllE0_EEPmJS9_EEE10hipError_tPvRmT3_T4_T5_T6_T7_T9_mT8_P12ihipStream_tbDpT10_ENKUlT_T0_E_clISt17integral_constantIbLb1EES19_IbLb0EEEEDaS15_S16_EUlS15_E_NS1_11comp_targetILNS1_3genE8ELNS1_11target_archE1030ELNS1_3gpuE2ELNS1_3repE0EEENS1_30default_config_static_selectorELNS0_4arch9wavefront6targetE1EEEvT1_, .Lfunc_end622-_ZN7rocprim17ROCPRIM_400000_NS6detail17trampoline_kernelINS0_14default_configENS1_25partition_config_selectorILNS1_17partition_subalgoE9EllbEEZZNS1_14partition_implILS5_9ELb0ES3_jPlS8_PNS0_10empty_typeENS0_5tupleIJS8_S9_EEENSB_IJS8_SA_EEENS0_18inequality_wrapperIZN2at6native12_GLOBAL__N_124unique_dim_cuda_templateIlEESt5tupleIJNSF_6TensorESK_SK_EERKSK_lbbbEUlllE0_EEPmJS9_EEE10hipError_tPvRmT3_T4_T5_T6_T7_T9_mT8_P12ihipStream_tbDpT10_ENKUlT_T0_E_clISt17integral_constantIbLb1EES19_IbLb0EEEEDaS15_S16_EUlS15_E_NS1_11comp_targetILNS1_3genE8ELNS1_11target_archE1030ELNS1_3gpuE2ELNS1_3repE0EEENS1_30default_config_static_selectorELNS0_4arch9wavefront6targetE1EEEvT1_
                                        ; -- End function
	.section	.AMDGPU.csdata,"",@progbits
; Kernel info:
; codeLenInByte = 0
; NumSgprs: 6
; NumVgprs: 0
; NumAgprs: 0
; TotalNumVgprs: 0
; ScratchSize: 0
; MemoryBound: 0
; FloatMode: 240
; IeeeMode: 1
; LDSByteSize: 0 bytes/workgroup (compile time only)
; SGPRBlocks: 0
; VGPRBlocks: 0
; NumSGPRsForWavesPerEU: 6
; NumVGPRsForWavesPerEU: 1
; AccumOffset: 4
; Occupancy: 8
; WaveLimiterHint : 0
; COMPUTE_PGM_RSRC2:SCRATCH_EN: 0
; COMPUTE_PGM_RSRC2:USER_SGPR: 2
; COMPUTE_PGM_RSRC2:TRAP_HANDLER: 0
; COMPUTE_PGM_RSRC2:TGID_X_EN: 1
; COMPUTE_PGM_RSRC2:TGID_Y_EN: 0
; COMPUTE_PGM_RSRC2:TGID_Z_EN: 0
; COMPUTE_PGM_RSRC2:TIDIG_COMP_CNT: 0
; COMPUTE_PGM_RSRC3_GFX90A:ACCUM_OFFSET: 0
; COMPUTE_PGM_RSRC3_GFX90A:TG_SPLIT: 0
	.section	.text._ZN7rocprim17ROCPRIM_400000_NS6detail17trampoline_kernelINS0_14default_configENS1_25partition_config_selectorILNS1_17partition_subalgoE9EllbEEZZNS1_14partition_implILS5_9ELb0ES3_jPlS8_PNS0_10empty_typeENS0_5tupleIJS8_S9_EEENSB_IJS8_SA_EEENS0_18inequality_wrapperIZN2at6native12_GLOBAL__N_124unique_dim_cuda_templateIlEESt5tupleIJNSF_6TensorESK_SK_EERKSK_lbbbEUlllE0_EEPmJS9_EEE10hipError_tPvRmT3_T4_T5_T6_T7_T9_mT8_P12ihipStream_tbDpT10_ENKUlT_T0_E_clISt17integral_constantIbLb0EES19_IbLb1EEEEDaS15_S16_EUlS15_E_NS1_11comp_targetILNS1_3genE0ELNS1_11target_archE4294967295ELNS1_3gpuE0ELNS1_3repE0EEENS1_30default_config_static_selectorELNS0_4arch9wavefront6targetE1EEEvT1_,"axG",@progbits,_ZN7rocprim17ROCPRIM_400000_NS6detail17trampoline_kernelINS0_14default_configENS1_25partition_config_selectorILNS1_17partition_subalgoE9EllbEEZZNS1_14partition_implILS5_9ELb0ES3_jPlS8_PNS0_10empty_typeENS0_5tupleIJS8_S9_EEENSB_IJS8_SA_EEENS0_18inequality_wrapperIZN2at6native12_GLOBAL__N_124unique_dim_cuda_templateIlEESt5tupleIJNSF_6TensorESK_SK_EERKSK_lbbbEUlllE0_EEPmJS9_EEE10hipError_tPvRmT3_T4_T5_T6_T7_T9_mT8_P12ihipStream_tbDpT10_ENKUlT_T0_E_clISt17integral_constantIbLb0EES19_IbLb1EEEEDaS15_S16_EUlS15_E_NS1_11comp_targetILNS1_3genE0ELNS1_11target_archE4294967295ELNS1_3gpuE0ELNS1_3repE0EEENS1_30default_config_static_selectorELNS0_4arch9wavefront6targetE1EEEvT1_,comdat
	.globl	_ZN7rocprim17ROCPRIM_400000_NS6detail17trampoline_kernelINS0_14default_configENS1_25partition_config_selectorILNS1_17partition_subalgoE9EllbEEZZNS1_14partition_implILS5_9ELb0ES3_jPlS8_PNS0_10empty_typeENS0_5tupleIJS8_S9_EEENSB_IJS8_SA_EEENS0_18inequality_wrapperIZN2at6native12_GLOBAL__N_124unique_dim_cuda_templateIlEESt5tupleIJNSF_6TensorESK_SK_EERKSK_lbbbEUlllE0_EEPmJS9_EEE10hipError_tPvRmT3_T4_T5_T6_T7_T9_mT8_P12ihipStream_tbDpT10_ENKUlT_T0_E_clISt17integral_constantIbLb0EES19_IbLb1EEEEDaS15_S16_EUlS15_E_NS1_11comp_targetILNS1_3genE0ELNS1_11target_archE4294967295ELNS1_3gpuE0ELNS1_3repE0EEENS1_30default_config_static_selectorELNS0_4arch9wavefront6targetE1EEEvT1_ ; -- Begin function _ZN7rocprim17ROCPRIM_400000_NS6detail17trampoline_kernelINS0_14default_configENS1_25partition_config_selectorILNS1_17partition_subalgoE9EllbEEZZNS1_14partition_implILS5_9ELb0ES3_jPlS8_PNS0_10empty_typeENS0_5tupleIJS8_S9_EEENSB_IJS8_SA_EEENS0_18inequality_wrapperIZN2at6native12_GLOBAL__N_124unique_dim_cuda_templateIlEESt5tupleIJNSF_6TensorESK_SK_EERKSK_lbbbEUlllE0_EEPmJS9_EEE10hipError_tPvRmT3_T4_T5_T6_T7_T9_mT8_P12ihipStream_tbDpT10_ENKUlT_T0_E_clISt17integral_constantIbLb0EES19_IbLb1EEEEDaS15_S16_EUlS15_E_NS1_11comp_targetILNS1_3genE0ELNS1_11target_archE4294967295ELNS1_3gpuE0ELNS1_3repE0EEENS1_30default_config_static_selectorELNS0_4arch9wavefront6targetE1EEEvT1_
	.p2align	8
	.type	_ZN7rocprim17ROCPRIM_400000_NS6detail17trampoline_kernelINS0_14default_configENS1_25partition_config_selectorILNS1_17partition_subalgoE9EllbEEZZNS1_14partition_implILS5_9ELb0ES3_jPlS8_PNS0_10empty_typeENS0_5tupleIJS8_S9_EEENSB_IJS8_SA_EEENS0_18inequality_wrapperIZN2at6native12_GLOBAL__N_124unique_dim_cuda_templateIlEESt5tupleIJNSF_6TensorESK_SK_EERKSK_lbbbEUlllE0_EEPmJS9_EEE10hipError_tPvRmT3_T4_T5_T6_T7_T9_mT8_P12ihipStream_tbDpT10_ENKUlT_T0_E_clISt17integral_constantIbLb0EES19_IbLb1EEEEDaS15_S16_EUlS15_E_NS1_11comp_targetILNS1_3genE0ELNS1_11target_archE4294967295ELNS1_3gpuE0ELNS1_3repE0EEENS1_30default_config_static_selectorELNS0_4arch9wavefront6targetE1EEEvT1_,@function
_ZN7rocprim17ROCPRIM_400000_NS6detail17trampoline_kernelINS0_14default_configENS1_25partition_config_selectorILNS1_17partition_subalgoE9EllbEEZZNS1_14partition_implILS5_9ELb0ES3_jPlS8_PNS0_10empty_typeENS0_5tupleIJS8_S9_EEENSB_IJS8_SA_EEENS0_18inequality_wrapperIZN2at6native12_GLOBAL__N_124unique_dim_cuda_templateIlEESt5tupleIJNSF_6TensorESK_SK_EERKSK_lbbbEUlllE0_EEPmJS9_EEE10hipError_tPvRmT3_T4_T5_T6_T7_T9_mT8_P12ihipStream_tbDpT10_ENKUlT_T0_E_clISt17integral_constantIbLb0EES19_IbLb1EEEEDaS15_S16_EUlS15_E_NS1_11comp_targetILNS1_3genE0ELNS1_11target_archE4294967295ELNS1_3gpuE0ELNS1_3repE0EEENS1_30default_config_static_selectorELNS0_4arch9wavefront6targetE1EEEvT1_: ; @_ZN7rocprim17ROCPRIM_400000_NS6detail17trampoline_kernelINS0_14default_configENS1_25partition_config_selectorILNS1_17partition_subalgoE9EllbEEZZNS1_14partition_implILS5_9ELb0ES3_jPlS8_PNS0_10empty_typeENS0_5tupleIJS8_S9_EEENSB_IJS8_SA_EEENS0_18inequality_wrapperIZN2at6native12_GLOBAL__N_124unique_dim_cuda_templateIlEESt5tupleIJNSF_6TensorESK_SK_EERKSK_lbbbEUlllE0_EEPmJS9_EEE10hipError_tPvRmT3_T4_T5_T6_T7_T9_mT8_P12ihipStream_tbDpT10_ENKUlT_T0_E_clISt17integral_constantIbLb0EES19_IbLb1EEEEDaS15_S16_EUlS15_E_NS1_11comp_targetILNS1_3genE0ELNS1_11target_archE4294967295ELNS1_3gpuE0ELNS1_3repE0EEENS1_30default_config_static_selectorELNS0_4arch9wavefront6targetE1EEEvT1_
; %bb.0:
	.section	.rodata,"a",@progbits
	.p2align	6, 0x0
	.amdhsa_kernel _ZN7rocprim17ROCPRIM_400000_NS6detail17trampoline_kernelINS0_14default_configENS1_25partition_config_selectorILNS1_17partition_subalgoE9EllbEEZZNS1_14partition_implILS5_9ELb0ES3_jPlS8_PNS0_10empty_typeENS0_5tupleIJS8_S9_EEENSB_IJS8_SA_EEENS0_18inequality_wrapperIZN2at6native12_GLOBAL__N_124unique_dim_cuda_templateIlEESt5tupleIJNSF_6TensorESK_SK_EERKSK_lbbbEUlllE0_EEPmJS9_EEE10hipError_tPvRmT3_T4_T5_T6_T7_T9_mT8_P12ihipStream_tbDpT10_ENKUlT_T0_E_clISt17integral_constantIbLb0EES19_IbLb1EEEEDaS15_S16_EUlS15_E_NS1_11comp_targetILNS1_3genE0ELNS1_11target_archE4294967295ELNS1_3gpuE0ELNS1_3repE0EEENS1_30default_config_static_selectorELNS0_4arch9wavefront6targetE1EEEvT1_
		.amdhsa_group_segment_fixed_size 0
		.amdhsa_private_segment_fixed_size 0
		.amdhsa_kernarg_size 136
		.amdhsa_user_sgpr_count 2
		.amdhsa_user_sgpr_dispatch_ptr 0
		.amdhsa_user_sgpr_queue_ptr 0
		.amdhsa_user_sgpr_kernarg_segment_ptr 1
		.amdhsa_user_sgpr_dispatch_id 0
		.amdhsa_user_sgpr_kernarg_preload_length 0
		.amdhsa_user_sgpr_kernarg_preload_offset 0
		.amdhsa_user_sgpr_private_segment_size 0
		.amdhsa_uses_dynamic_stack 0
		.amdhsa_enable_private_segment 0
		.amdhsa_system_sgpr_workgroup_id_x 1
		.amdhsa_system_sgpr_workgroup_id_y 0
		.amdhsa_system_sgpr_workgroup_id_z 0
		.amdhsa_system_sgpr_workgroup_info 0
		.amdhsa_system_vgpr_workitem_id 0
		.amdhsa_next_free_vgpr 1
		.amdhsa_next_free_sgpr 0
		.amdhsa_accum_offset 4
		.amdhsa_reserve_vcc 0
		.amdhsa_float_round_mode_32 0
		.amdhsa_float_round_mode_16_64 0
		.amdhsa_float_denorm_mode_32 3
		.amdhsa_float_denorm_mode_16_64 3
		.amdhsa_dx10_clamp 1
		.amdhsa_ieee_mode 1
		.amdhsa_fp16_overflow 0
		.amdhsa_tg_split 0
		.amdhsa_exception_fp_ieee_invalid_op 0
		.amdhsa_exception_fp_denorm_src 0
		.amdhsa_exception_fp_ieee_div_zero 0
		.amdhsa_exception_fp_ieee_overflow 0
		.amdhsa_exception_fp_ieee_underflow 0
		.amdhsa_exception_fp_ieee_inexact 0
		.amdhsa_exception_int_div_zero 0
	.end_amdhsa_kernel
	.section	.text._ZN7rocprim17ROCPRIM_400000_NS6detail17trampoline_kernelINS0_14default_configENS1_25partition_config_selectorILNS1_17partition_subalgoE9EllbEEZZNS1_14partition_implILS5_9ELb0ES3_jPlS8_PNS0_10empty_typeENS0_5tupleIJS8_S9_EEENSB_IJS8_SA_EEENS0_18inequality_wrapperIZN2at6native12_GLOBAL__N_124unique_dim_cuda_templateIlEESt5tupleIJNSF_6TensorESK_SK_EERKSK_lbbbEUlllE0_EEPmJS9_EEE10hipError_tPvRmT3_T4_T5_T6_T7_T9_mT8_P12ihipStream_tbDpT10_ENKUlT_T0_E_clISt17integral_constantIbLb0EES19_IbLb1EEEEDaS15_S16_EUlS15_E_NS1_11comp_targetILNS1_3genE0ELNS1_11target_archE4294967295ELNS1_3gpuE0ELNS1_3repE0EEENS1_30default_config_static_selectorELNS0_4arch9wavefront6targetE1EEEvT1_,"axG",@progbits,_ZN7rocprim17ROCPRIM_400000_NS6detail17trampoline_kernelINS0_14default_configENS1_25partition_config_selectorILNS1_17partition_subalgoE9EllbEEZZNS1_14partition_implILS5_9ELb0ES3_jPlS8_PNS0_10empty_typeENS0_5tupleIJS8_S9_EEENSB_IJS8_SA_EEENS0_18inequality_wrapperIZN2at6native12_GLOBAL__N_124unique_dim_cuda_templateIlEESt5tupleIJNSF_6TensorESK_SK_EERKSK_lbbbEUlllE0_EEPmJS9_EEE10hipError_tPvRmT3_T4_T5_T6_T7_T9_mT8_P12ihipStream_tbDpT10_ENKUlT_T0_E_clISt17integral_constantIbLb0EES19_IbLb1EEEEDaS15_S16_EUlS15_E_NS1_11comp_targetILNS1_3genE0ELNS1_11target_archE4294967295ELNS1_3gpuE0ELNS1_3repE0EEENS1_30default_config_static_selectorELNS0_4arch9wavefront6targetE1EEEvT1_,comdat
.Lfunc_end623:
	.size	_ZN7rocprim17ROCPRIM_400000_NS6detail17trampoline_kernelINS0_14default_configENS1_25partition_config_selectorILNS1_17partition_subalgoE9EllbEEZZNS1_14partition_implILS5_9ELb0ES3_jPlS8_PNS0_10empty_typeENS0_5tupleIJS8_S9_EEENSB_IJS8_SA_EEENS0_18inequality_wrapperIZN2at6native12_GLOBAL__N_124unique_dim_cuda_templateIlEESt5tupleIJNSF_6TensorESK_SK_EERKSK_lbbbEUlllE0_EEPmJS9_EEE10hipError_tPvRmT3_T4_T5_T6_T7_T9_mT8_P12ihipStream_tbDpT10_ENKUlT_T0_E_clISt17integral_constantIbLb0EES19_IbLb1EEEEDaS15_S16_EUlS15_E_NS1_11comp_targetILNS1_3genE0ELNS1_11target_archE4294967295ELNS1_3gpuE0ELNS1_3repE0EEENS1_30default_config_static_selectorELNS0_4arch9wavefront6targetE1EEEvT1_, .Lfunc_end623-_ZN7rocprim17ROCPRIM_400000_NS6detail17trampoline_kernelINS0_14default_configENS1_25partition_config_selectorILNS1_17partition_subalgoE9EllbEEZZNS1_14partition_implILS5_9ELb0ES3_jPlS8_PNS0_10empty_typeENS0_5tupleIJS8_S9_EEENSB_IJS8_SA_EEENS0_18inequality_wrapperIZN2at6native12_GLOBAL__N_124unique_dim_cuda_templateIlEESt5tupleIJNSF_6TensorESK_SK_EERKSK_lbbbEUlllE0_EEPmJS9_EEE10hipError_tPvRmT3_T4_T5_T6_T7_T9_mT8_P12ihipStream_tbDpT10_ENKUlT_T0_E_clISt17integral_constantIbLb0EES19_IbLb1EEEEDaS15_S16_EUlS15_E_NS1_11comp_targetILNS1_3genE0ELNS1_11target_archE4294967295ELNS1_3gpuE0ELNS1_3repE0EEENS1_30default_config_static_selectorELNS0_4arch9wavefront6targetE1EEEvT1_
                                        ; -- End function
	.section	.AMDGPU.csdata,"",@progbits
; Kernel info:
; codeLenInByte = 0
; NumSgprs: 6
; NumVgprs: 0
; NumAgprs: 0
; TotalNumVgprs: 0
; ScratchSize: 0
; MemoryBound: 0
; FloatMode: 240
; IeeeMode: 1
; LDSByteSize: 0 bytes/workgroup (compile time only)
; SGPRBlocks: 0
; VGPRBlocks: 0
; NumSGPRsForWavesPerEU: 6
; NumVGPRsForWavesPerEU: 1
; AccumOffset: 4
; Occupancy: 8
; WaveLimiterHint : 0
; COMPUTE_PGM_RSRC2:SCRATCH_EN: 0
; COMPUTE_PGM_RSRC2:USER_SGPR: 2
; COMPUTE_PGM_RSRC2:TRAP_HANDLER: 0
; COMPUTE_PGM_RSRC2:TGID_X_EN: 1
; COMPUTE_PGM_RSRC2:TGID_Y_EN: 0
; COMPUTE_PGM_RSRC2:TGID_Z_EN: 0
; COMPUTE_PGM_RSRC2:TIDIG_COMP_CNT: 0
; COMPUTE_PGM_RSRC3_GFX90A:ACCUM_OFFSET: 0
; COMPUTE_PGM_RSRC3_GFX90A:TG_SPLIT: 0
	.section	.text._ZN7rocprim17ROCPRIM_400000_NS6detail17trampoline_kernelINS0_14default_configENS1_25partition_config_selectorILNS1_17partition_subalgoE9EllbEEZZNS1_14partition_implILS5_9ELb0ES3_jPlS8_PNS0_10empty_typeENS0_5tupleIJS8_S9_EEENSB_IJS8_SA_EEENS0_18inequality_wrapperIZN2at6native12_GLOBAL__N_124unique_dim_cuda_templateIlEESt5tupleIJNSF_6TensorESK_SK_EERKSK_lbbbEUlllE0_EEPmJS9_EEE10hipError_tPvRmT3_T4_T5_T6_T7_T9_mT8_P12ihipStream_tbDpT10_ENKUlT_T0_E_clISt17integral_constantIbLb0EES19_IbLb1EEEEDaS15_S16_EUlS15_E_NS1_11comp_targetILNS1_3genE5ELNS1_11target_archE942ELNS1_3gpuE9ELNS1_3repE0EEENS1_30default_config_static_selectorELNS0_4arch9wavefront6targetE1EEEvT1_,"axG",@progbits,_ZN7rocprim17ROCPRIM_400000_NS6detail17trampoline_kernelINS0_14default_configENS1_25partition_config_selectorILNS1_17partition_subalgoE9EllbEEZZNS1_14partition_implILS5_9ELb0ES3_jPlS8_PNS0_10empty_typeENS0_5tupleIJS8_S9_EEENSB_IJS8_SA_EEENS0_18inequality_wrapperIZN2at6native12_GLOBAL__N_124unique_dim_cuda_templateIlEESt5tupleIJNSF_6TensorESK_SK_EERKSK_lbbbEUlllE0_EEPmJS9_EEE10hipError_tPvRmT3_T4_T5_T6_T7_T9_mT8_P12ihipStream_tbDpT10_ENKUlT_T0_E_clISt17integral_constantIbLb0EES19_IbLb1EEEEDaS15_S16_EUlS15_E_NS1_11comp_targetILNS1_3genE5ELNS1_11target_archE942ELNS1_3gpuE9ELNS1_3repE0EEENS1_30default_config_static_selectorELNS0_4arch9wavefront6targetE1EEEvT1_,comdat
	.globl	_ZN7rocprim17ROCPRIM_400000_NS6detail17trampoline_kernelINS0_14default_configENS1_25partition_config_selectorILNS1_17partition_subalgoE9EllbEEZZNS1_14partition_implILS5_9ELb0ES3_jPlS8_PNS0_10empty_typeENS0_5tupleIJS8_S9_EEENSB_IJS8_SA_EEENS0_18inequality_wrapperIZN2at6native12_GLOBAL__N_124unique_dim_cuda_templateIlEESt5tupleIJNSF_6TensorESK_SK_EERKSK_lbbbEUlllE0_EEPmJS9_EEE10hipError_tPvRmT3_T4_T5_T6_T7_T9_mT8_P12ihipStream_tbDpT10_ENKUlT_T0_E_clISt17integral_constantIbLb0EES19_IbLb1EEEEDaS15_S16_EUlS15_E_NS1_11comp_targetILNS1_3genE5ELNS1_11target_archE942ELNS1_3gpuE9ELNS1_3repE0EEENS1_30default_config_static_selectorELNS0_4arch9wavefront6targetE1EEEvT1_ ; -- Begin function _ZN7rocprim17ROCPRIM_400000_NS6detail17trampoline_kernelINS0_14default_configENS1_25partition_config_selectorILNS1_17partition_subalgoE9EllbEEZZNS1_14partition_implILS5_9ELb0ES3_jPlS8_PNS0_10empty_typeENS0_5tupleIJS8_S9_EEENSB_IJS8_SA_EEENS0_18inequality_wrapperIZN2at6native12_GLOBAL__N_124unique_dim_cuda_templateIlEESt5tupleIJNSF_6TensorESK_SK_EERKSK_lbbbEUlllE0_EEPmJS9_EEE10hipError_tPvRmT3_T4_T5_T6_T7_T9_mT8_P12ihipStream_tbDpT10_ENKUlT_T0_E_clISt17integral_constantIbLb0EES19_IbLb1EEEEDaS15_S16_EUlS15_E_NS1_11comp_targetILNS1_3genE5ELNS1_11target_archE942ELNS1_3gpuE9ELNS1_3repE0EEENS1_30default_config_static_selectorELNS0_4arch9wavefront6targetE1EEEvT1_
	.p2align	8
	.type	_ZN7rocprim17ROCPRIM_400000_NS6detail17trampoline_kernelINS0_14default_configENS1_25partition_config_selectorILNS1_17partition_subalgoE9EllbEEZZNS1_14partition_implILS5_9ELb0ES3_jPlS8_PNS0_10empty_typeENS0_5tupleIJS8_S9_EEENSB_IJS8_SA_EEENS0_18inequality_wrapperIZN2at6native12_GLOBAL__N_124unique_dim_cuda_templateIlEESt5tupleIJNSF_6TensorESK_SK_EERKSK_lbbbEUlllE0_EEPmJS9_EEE10hipError_tPvRmT3_T4_T5_T6_T7_T9_mT8_P12ihipStream_tbDpT10_ENKUlT_T0_E_clISt17integral_constantIbLb0EES19_IbLb1EEEEDaS15_S16_EUlS15_E_NS1_11comp_targetILNS1_3genE5ELNS1_11target_archE942ELNS1_3gpuE9ELNS1_3repE0EEENS1_30default_config_static_selectorELNS0_4arch9wavefront6targetE1EEEvT1_,@function
_ZN7rocprim17ROCPRIM_400000_NS6detail17trampoline_kernelINS0_14default_configENS1_25partition_config_selectorILNS1_17partition_subalgoE9EllbEEZZNS1_14partition_implILS5_9ELb0ES3_jPlS8_PNS0_10empty_typeENS0_5tupleIJS8_S9_EEENSB_IJS8_SA_EEENS0_18inequality_wrapperIZN2at6native12_GLOBAL__N_124unique_dim_cuda_templateIlEESt5tupleIJNSF_6TensorESK_SK_EERKSK_lbbbEUlllE0_EEPmJS9_EEE10hipError_tPvRmT3_T4_T5_T6_T7_T9_mT8_P12ihipStream_tbDpT10_ENKUlT_T0_E_clISt17integral_constantIbLb0EES19_IbLb1EEEEDaS15_S16_EUlS15_E_NS1_11comp_targetILNS1_3genE5ELNS1_11target_archE942ELNS1_3gpuE9ELNS1_3repE0EEENS1_30default_config_static_selectorELNS0_4arch9wavefront6targetE1EEEvT1_: ; @_ZN7rocprim17ROCPRIM_400000_NS6detail17trampoline_kernelINS0_14default_configENS1_25partition_config_selectorILNS1_17partition_subalgoE9EllbEEZZNS1_14partition_implILS5_9ELb0ES3_jPlS8_PNS0_10empty_typeENS0_5tupleIJS8_S9_EEENSB_IJS8_SA_EEENS0_18inequality_wrapperIZN2at6native12_GLOBAL__N_124unique_dim_cuda_templateIlEESt5tupleIJNSF_6TensorESK_SK_EERKSK_lbbbEUlllE0_EEPmJS9_EEE10hipError_tPvRmT3_T4_T5_T6_T7_T9_mT8_P12ihipStream_tbDpT10_ENKUlT_T0_E_clISt17integral_constantIbLb0EES19_IbLb1EEEEDaS15_S16_EUlS15_E_NS1_11comp_targetILNS1_3genE5ELNS1_11target_archE942ELNS1_3gpuE9ELNS1_3repE0EEENS1_30default_config_static_selectorELNS0_4arch9wavefront6targetE1EEEvT1_
; %bb.0:
	s_load_dwordx4 s[4:7], s[0:1], 0x8
	s_load_dwordx2 s[10:11], s[0:1], 0x18
	s_load_dwordx8 s[20:27], s[0:1], 0x40
	s_load_dwordx4 s[36:39], s[0:1], 0x60
	v_cmp_ne_u32_e64 s[2:3], 0, v0
	v_cmp_eq_u32_e64 s[18:19], 0, v0
	s_and_saveexec_b64 s[8:9], s[18:19]
	s_cbranch_execz .LBB624_4
; %bb.1:
	s_mov_b64 s[14:15], exec
	v_mbcnt_lo_u32_b32 v1, s14, 0
	v_mbcnt_hi_u32_b32 v1, s15, v1
	v_cmp_eq_u32_e32 vcc, 0, v1
                                        ; implicit-def: $vgpr2
	s_and_saveexec_b64 s[12:13], vcc
	s_cbranch_execz .LBB624_3
; %bb.2:
	s_load_dwordx2 s[16:17], s[0:1], 0x78
	s_bcnt1_i32_b64 s14, s[14:15]
	v_mov_b32_e32 v2, 0
	v_mov_b32_e32 v3, s14
	s_waitcnt lgkmcnt(0)
	global_atomic_add v2, v2, v3, s[16:17] sc0
.LBB624_3:
	s_or_b64 exec, exec, s[12:13]
	s_waitcnt vmcnt(0)
	v_readfirstlane_b32 s12, v2
	v_mov_b32_e32 v2, 0
	s_nop 0
	v_add_u32_e32 v1, s12, v1
	ds_write_b32 v2, v1
.LBB624_4:
	s_or_b64 exec, exec, s[8:9]
	v_mov_b32_e32 v3, 0
	s_load_dwordx4 s[28:31], s[0:1], 0x28
	s_load_dword s8, s[0:1], 0x70
	s_waitcnt lgkmcnt(0)
	s_barrier
	ds_read_b32 v1, v3
	s_waitcnt lgkmcnt(0)
	s_barrier
	global_load_dwordx2 v[4:5], v3, s[22:23]
	s_lshl_b64 s[12:13], s[6:7], 3
	s_mul_i32 s14, s8, 0xe00
	s_add_u32 s16, s4, s12
	s_addc_u32 s17, s5, s13
	s_add_i32 s4, s14, s6
	s_sub_i32 s54, s24, s4
	s_add_i32 s15, s8, -1
	s_addk_i32 s54, 0xe00
	s_add_u32 s4, s6, s14
	v_readfirstlane_b32 s33, v1
	s_addc_u32 s5, s7, 0
	v_mov_b32_e32 v6, s24
	v_mov_b32_e32 v7, s25
	s_cmp_eq_u32 s33, s15
	s_mov_b32 s9, 0
	s_mul_i32 s8, s33, 0xe00
	v_cmp_ge_u64_e32 vcc, s[4:5], v[6:7]
	s_cselect_b64 s[24:25], -1, 0
	s_lshl_b64 s[14:15], s[8:9], 3
	s_and_b64 s[8:9], vcc, s[24:25]
	s_xor_b64 s[34:35], s[8:9], -1
	s_add_u32 s4, s16, s14
	s_mov_b64 s[0:1], -1
	s_addc_u32 s5, s17, s15
	s_and_b64 vcc, exec, s[34:35]
	s_waitcnt vmcnt(0)
	v_readfirstlane_b32 s22, v4
	v_readfirstlane_b32 s23, v5
	s_cbranch_vccz .LBB624_6
; %bb.5:
	v_lshlrev_b32_e32 v2, 3, v0
	v_lshl_add_u64 v[4:5], s[4:5], 0, v[2:3]
	v_add_co_u32_e32 v8, vcc, 0x1000, v4
	global_load_dwordx2 v[6:7], v2, s[4:5]
	s_nop 0
	v_addc_co_u32_e32 v9, vcc, 0, v5, vcc
	v_add_co_u32_e32 v10, vcc, 0x2000, v4
	s_mov_b64 s[0:1], 0
	s_nop 0
	v_addc_co_u32_e32 v11, vcc, 0, v5, vcc
	v_add_co_u32_e32 v12, vcc, 0x3000, v4
	s_nop 1
	v_addc_co_u32_e32 v13, vcc, 0, v5, vcc
	v_add_co_u32_e32 v14, vcc, 0x4000, v4
	s_nop 1
	v_addc_co_u32_e32 v15, vcc, 0, v5, vcc
	global_load_dwordx2 v[16:17], v[8:9], off
	global_load_dwordx2 v[18:19], v[10:11], off
	;; [unrolled: 1-line block ×4, first 2 shown]
	v_add_co_u32_e32 v8, vcc, 0x5000, v4
	s_nop 1
	v_addc_co_u32_e32 v9, vcc, 0, v5, vcc
	v_add_co_u32_e32 v4, vcc, 0x6000, v4
	global_load_dwordx2 v[8:9], v[8:9], off
	s_nop 0
	v_addc_co_u32_e32 v5, vcc, 0, v5, vcc
	global_load_dwordx2 v[4:5], v[4:5], off
	s_waitcnt vmcnt(5)
	ds_write2st64_b64 v2, v[6:7], v[16:17] offset1:8
	s_waitcnt vmcnt(3)
	ds_write2st64_b64 v2, v[18:19], v[20:21] offset0:16 offset1:24
	s_waitcnt vmcnt(1)
	ds_write2st64_b64 v2, v[22:23], v[8:9] offset0:32 offset1:40
	s_waitcnt vmcnt(0)
	ds_write_b64 v2, v[4:5] offset:24576
	s_waitcnt lgkmcnt(0)
	s_barrier
.LBB624_6:
	s_andn2_b64 vcc, exec, s[0:1]
	v_cmp_gt_u32_e64 s[0:1], s54, v0
	s_cbranch_vccnz .LBB624_22
; %bb.7:
                                        ; implicit-def: $vgpr2_vgpr3_vgpr4_vgpr5_vgpr6_vgpr7_vgpr8_vgpr9_vgpr10_vgpr11_vgpr12_vgpr13_vgpr14_vgpr15_vgpr16_vgpr17
	s_and_saveexec_b64 s[16:17], s[0:1]
	s_cbranch_execz .LBB624_9
; %bb.8:
	v_lshlrev_b32_e32 v1, 3, v0
	global_load_dwordx2 v[2:3], v1, s[4:5]
.LBB624_9:
	s_or_b64 exec, exec, s[16:17]
	v_or_b32_e32 v1, 0x200, v0
	v_cmp_gt_u32_e32 vcc, s54, v1
	s_and_saveexec_b64 s[0:1], vcc
	s_cbranch_execz .LBB624_11
; %bb.10:
	v_lshlrev_b32_e32 v1, 3, v1
	global_load_dwordx2 v[4:5], v1, s[4:5]
.LBB624_11:
	s_or_b64 exec, exec, s[0:1]
	v_or_b32_e32 v1, 0x400, v0
	v_cmp_gt_u32_e32 vcc, s54, v1
	s_and_saveexec_b64 s[0:1], vcc
	;; [unrolled: 9-line block ×6, first 2 shown]
	s_cbranch_execz .LBB624_21
; %bb.20:
	v_lshlrev_b32_e32 v1, 3, v1
	global_load_dwordx2 v[14:15], v1, s[4:5]
.LBB624_21:
	s_or_b64 exec, exec, s[0:1]
	v_lshlrev_b32_e32 v1, 3, v0
	s_waitcnt vmcnt(0)
	ds_write2st64_b64 v1, v[2:3], v[4:5] offset1:8
	ds_write2st64_b64 v1, v[6:7], v[8:9] offset0:16 offset1:24
	ds_write2st64_b64 v1, v[10:11], v[12:13] offset0:32 offset1:40
	ds_write_b64 v1, v[14:15] offset:24576
	s_waitcnt lgkmcnt(0)
	s_barrier
.LBB624_22:
	v_mul_u32_u24_e32 v1, 7, v0
	v_lshlrev_b32_e32 v46, 3, v1
	ds_read2_b64 v[22:25], v46 offset1:1
	ds_read2_b64 v[18:21], v46 offset0:2 offset1:3
	ds_read2_b64 v[14:17], v46 offset0:4 offset1:5
	ds_read_b64 v[28:29], v46 offset:48
	s_add_u32 s0, s10, s12
	s_addc_u32 s1, s11, s13
	s_add_u32 s0, s0, s14
	s_addc_u32 s1, s1, s15
	s_mov_b64 s[10:11], -1
	s_and_b64 vcc, exec, s[34:35]
	s_waitcnt lgkmcnt(0)
	s_barrier
	s_cbranch_vccz .LBB624_24
; %bb.23:
	v_lshlrev_b32_e32 v2, 3, v0
	v_mov_b32_e32 v3, 0
	v_lshl_add_u64 v[4:5], s[0:1], 0, v[2:3]
	v_add_co_u32_e32 v8, vcc, 0x1000, v4
	global_load_dwordx2 v[6:7], v2, s[0:1]
	s_nop 0
	v_addc_co_u32_e32 v9, vcc, 0, v5, vcc
	v_add_co_u32_e32 v10, vcc, 0x2000, v4
	s_mov_b64 s[10:11], 0
	s_nop 0
	v_addc_co_u32_e32 v11, vcc, 0, v5, vcc
	v_add_co_u32_e32 v12, vcc, 0x3000, v4
	s_nop 1
	v_addc_co_u32_e32 v13, vcc, 0, v5, vcc
	v_add_co_u32_e32 v26, vcc, 0x4000, v4
	s_nop 1
	v_addc_co_u32_e32 v27, vcc, 0, v5, vcc
	global_load_dwordx2 v[30:31], v[8:9], off
	global_load_dwordx2 v[32:33], v[10:11], off
	;; [unrolled: 1-line block ×4, first 2 shown]
	v_add_co_u32_e32 v8, vcc, 0x5000, v4
	s_nop 1
	v_addc_co_u32_e32 v9, vcc, 0, v5, vcc
	v_add_co_u32_e32 v4, vcc, 0x6000, v4
	global_load_dwordx2 v[8:9], v[8:9], off
	s_nop 0
	v_addc_co_u32_e32 v5, vcc, 0, v5, vcc
	global_load_dwordx2 v[4:5], v[4:5], off
	s_waitcnt vmcnt(5)
	ds_write2st64_b64 v2, v[6:7], v[30:31] offset1:8
	s_waitcnt vmcnt(3)
	ds_write2st64_b64 v2, v[32:33], v[34:35] offset0:16 offset1:24
	s_waitcnt vmcnt(1)
	ds_write2st64_b64 v2, v[36:37], v[8:9] offset0:32 offset1:40
	s_waitcnt vmcnt(0)
	ds_write_b64 v2, v[4:5] offset:24576
	s_waitcnt lgkmcnt(0)
	s_barrier
.LBB624_24:
	s_andn2_b64 vcc, exec, s[10:11]
	s_cbranch_vccnz .LBB624_40
; %bb.25:
	v_cmp_gt_u32_e32 vcc, s54, v0
                                        ; implicit-def: $vgpr2_vgpr3
	s_and_saveexec_b64 s[10:11], vcc
	s_cbranch_execz .LBB624_27
; %bb.26:
	v_lshlrev_b32_e32 v2, 3, v0
	global_load_dwordx2 v[2:3], v2, s[0:1]
.LBB624_27:
	s_or_b64 exec, exec, s[10:11]
	v_or_b32_e32 v6, 0x200, v0
	v_cmp_gt_u32_e32 vcc, s54, v6
                                        ; implicit-def: $vgpr4_vgpr5
	s_and_saveexec_b64 s[10:11], vcc
	s_cbranch_execz .LBB624_29
; %bb.28:
	v_lshlrev_b32_e32 v4, 3, v6
	global_load_dwordx2 v[4:5], v4, s[0:1]
.LBB624_29:
	s_or_b64 exec, exec, s[10:11]
	v_or_b32_e32 v8, 0x400, v0
	v_cmp_gt_u32_e32 vcc, s54, v8
                                        ; implicit-def: $vgpr6_vgpr7
	s_and_saveexec_b64 s[10:11], vcc
	s_cbranch_execz .LBB624_31
; %bb.30:
	v_lshlrev_b32_e32 v6, 3, v8
	global_load_dwordx2 v[6:7], v6, s[0:1]
.LBB624_31:
	s_or_b64 exec, exec, s[10:11]
	v_or_b32_e32 v10, 0x600, v0
	v_cmp_gt_u32_e32 vcc, s54, v10
                                        ; implicit-def: $vgpr8_vgpr9
	s_and_saveexec_b64 s[10:11], vcc
	s_cbranch_execz .LBB624_33
; %bb.32:
	v_lshlrev_b32_e32 v8, 3, v10
	global_load_dwordx2 v[8:9], v8, s[0:1]
.LBB624_33:
	s_or_b64 exec, exec, s[10:11]
	v_or_b32_e32 v12, 0x800, v0
	v_cmp_gt_u32_e32 vcc, s54, v12
                                        ; implicit-def: $vgpr10_vgpr11
	s_and_saveexec_b64 s[10:11], vcc
	s_cbranch_execz .LBB624_35
; %bb.34:
	v_lshlrev_b32_e32 v10, 3, v12
	global_load_dwordx2 v[10:11], v10, s[0:1]
.LBB624_35:
	s_or_b64 exec, exec, s[10:11]
	v_or_b32_e32 v26, 0xa00, v0
	v_cmp_gt_u32_e32 vcc, s54, v26
                                        ; implicit-def: $vgpr12_vgpr13
	s_and_saveexec_b64 s[10:11], vcc
	s_cbranch_execz .LBB624_37
; %bb.36:
	v_lshlrev_b32_e32 v12, 3, v26
	global_load_dwordx2 v[12:13], v12, s[0:1]
.LBB624_37:
	s_or_b64 exec, exec, s[10:11]
	v_or_b32_e32 v30, 0xc00, v0
	v_cmp_gt_u32_e32 vcc, s54, v30
                                        ; implicit-def: $vgpr26_vgpr27
	s_and_saveexec_b64 s[10:11], vcc
	s_cbranch_execz .LBB624_39
; %bb.38:
	v_lshlrev_b32_e32 v26, 3, v30
	global_load_dwordx2 v[26:27], v26, s[0:1]
.LBB624_39:
	s_or_b64 exec, exec, s[10:11]
	s_movk_i32 s0, 0xffd0
	v_mad_i32_i24 v30, v0, s0, v46
	s_waitcnt vmcnt(0)
	ds_write2st64_b64 v30, v[2:3], v[4:5] offset1:8
	ds_write2st64_b64 v30, v[6:7], v[8:9] offset0:16 offset1:24
	ds_write2st64_b64 v30, v[10:11], v[12:13] offset0:32 offset1:40
	ds_write_b64 v30, v[26:27] offset:24576
	s_waitcnt lgkmcnt(0)
	s_barrier
.LBB624_40:
	ds_read2_b64 v[10:13], v46 offset1:1
	ds_read2_b64 v[6:9], v46 offset0:2 offset1:3
	ds_read2_b64 v[2:5], v46 offset0:4 offset1:5
	ds_read_b64 v[26:27], v46 offset:48
	s_cmp_lg_u32 s33, 0
	s_cselect_b64 s[0:1], -1, 0
	s_cmp_lg_u64 s[6:7], 0
	s_cselect_b64 s[6:7], -1, 0
	s_or_b64 s[6:7], s[6:7], s[0:1]
	v_add_u32_e32 v43, 1, v1
	v_add_u32_e32 v40, 2, v1
	;; [unrolled: 1-line block ×6, first 2 shown]
	s_mov_b64 s[10:11], 0
	s_and_b64 vcc, exec, s[6:7]
	v_cmp_gt_i64_e64 s[12:13], s[26:27], 0
	s_waitcnt lgkmcnt(0)
	s_barrier
	s_cbranch_vccz .LBB624_49
; %bb.41:
	v_mov_b32_e32 v30, 0
	global_load_dwordx2 v[30:31], v30, s[4:5] offset:-8
	v_cndmask_b32_e64 v32, 0, 1, s[12:13]
	v_lshlrev_b32_e32 v47, 3, v0
	s_mov_b64 s[6:7], 0
	s_and_b64 vcc, exec, s[34:35]
	v_cmp_ne_u32_e64 s[4:5], 1, v32
	ds_write_b64 v47, v[28:29]
	s_cbranch_vccz .LBB624_51
; %bb.42:
	v_mul_lo_u32 v34, v17, s26
	v_mul_lo_u32 v35, v16, s27
	v_mad_u64_u32 v[32:33], s[10:11], v16, s26, 0
	v_add3_u32 v33, v33, v35, v34
	s_and_b64 vcc, exec, s[4:5]
	v_lshl_add_u64 v[32:33], v[32:33], 3, s[36:37]
	s_cbranch_vccnz .LBB624_54
; %bb.43:
	v_mul_lo_u32 v36, v29, s26
	v_mul_lo_u32 v37, v28, s27
	v_mad_u64_u32 v[34:35], s[6:7], v28, s26, 0
	v_add3_u32 v35, v35, v37, v36
	v_lshl_add_u64 v[34:35], v[34:35], 3, s[36:37]
	global_load_dwordx2 v[36:37], v[32:33], off
	global_load_dwordx2 v[38:39], v[34:35], off
	s_mov_b64 s[6:7], -1
	s_waitcnt vmcnt(0)
	v_cmp_eq_u64_e32 vcc, v[36:37], v[38:39]
	s_and_saveexec_b64 s[10:11], vcc
	s_cbranch_execz .LBB624_53
; %bb.44:
	s_add_u32 s6, s26, -1
	v_lshl_add_u64 v[34:35], v[34:35], 0, 8
	v_lshl_add_u64 v[36:37], v[32:33], 0, 8
	s_addc_u32 s7, s27, -1
	s_mov_b64 s[12:13], 0
	s_mov_b64 s[16:17], 0
                                        ; implicit-def: $sgpr14_sgpr15
	s_branch .LBB624_47
.LBB624_45:                             ;   in Loop: Header=BB624_47 Depth=1
	global_load_dwordx2 v[38:39], v[36:37], off
	global_load_dwordx2 v[48:49], v[34:35], off
	s_add_u32 s16, s16, 1
	s_addc_u32 s17, s17, 0
	s_andn2_b64 s[14:15], s[14:15], exec
	v_lshl_add_u64 v[34:35], v[34:35], 0, 8
	v_lshl_add_u64 v[36:37], v[36:37], 0, 8
	s_waitcnt vmcnt(0)
	v_cmp_ne_u64_e32 vcc, v[38:39], v[48:49]
	s_and_b64 s[40:41], vcc, exec
	s_or_b64 s[14:15], s[14:15], s[40:41]
.LBB624_46:                             ;   in Loop: Header=BB624_47 Depth=1
	s_and_b64 s[40:41], exec, s[14:15]
	s_or_b64 s[12:13], s[40:41], s[12:13]
	v_mov_b64_e32 v[38:39], s[16:17]
	s_andn2_b64 exec, exec, s[12:13]
	s_cbranch_execz .LBB624_52
.LBB624_47:                             ; =>This Inner Loop Header: Depth=1
	s_or_b64 s[14:15], s[14:15], exec
	s_cmp_eq_u64 s[6:7], s[16:17]
	s_cbranch_scc0 .LBB624_45
; %bb.48:                               ;   in Loop: Header=BB624_47 Depth=1
                                        ; implicit-def: $vgpr34_vgpr35
                                        ; implicit-def: $vgpr36_vgpr37
	s_mov_b64 s[16:17], s[26:27]
	s_branch .LBB624_46
.LBB624_49:
                                        ; implicit-def: $sgpr14_sgpr15
                                        ; implicit-def: $vgpr49
                                        ; implicit-def: $vgpr48
                                        ; implicit-def: $vgpr39
                                        ; implicit-def: $vgpr34
	s_branch .LBB624_192
.LBB624_50:
                                        ; implicit-def: $vgpr30_vgpr31
	s_branch .LBB624_340
.LBB624_51:
                                        ; implicit-def: $sgpr14_sgpr15
                                        ; implicit-def: $vgpr49
                                        ; implicit-def: $vgpr48
                                        ; implicit-def: $vgpr39
                                        ; implicit-def: $vgpr34
	s_cbranch_execnz .LBB624_111
	s_branch .LBB624_191
.LBB624_52:
	s_or_b64 exec, exec, s[12:13]
	v_cmp_gt_i64_e32 vcc, s[26:27], v[38:39]
	s_orn2_b64 s[6:7], vcc, exec
.LBB624_53:
	s_or_b64 exec, exec, s[10:11]
.LBB624_54:
	v_mul_lo_u32 v36, v15, s26
	v_mul_lo_u32 v37, v14, s27
	v_mad_u64_u32 v[34:35], s[10:11], v14, s26, 0
	v_add3_u32 v35, v35, v37, v36
	s_mov_b64 s[10:11], 0
	s_and_b64 vcc, exec, s[4:5]
	v_lshl_add_u64 v[34:35], v[34:35], 3, s[36:37]
	s_mov_b64 s[12:13], 0
	s_cbranch_vccnz .LBB624_63
; %bb.55:
	global_load_dwordx2 v[36:37], v[34:35], off
	global_load_dwordx2 v[38:39], v[32:33], off
	s_mov_b64 s[12:13], -1
	s_waitcnt vmcnt(0)
	v_cmp_eq_u64_e32 vcc, v[36:37], v[38:39]
	s_and_saveexec_b64 s[14:15], vcc
	s_cbranch_execz .LBB624_62
; %bb.56:
	s_add_u32 s12, s26, -1
	v_lshl_add_u64 v[32:33], v[32:33], 0, 8
	v_lshl_add_u64 v[36:37], v[34:35], 0, 8
	s_addc_u32 s13, s27, -1
	s_mov_b64 s[16:17], 0
	s_mov_b64 s[42:43], 0
                                        ; implicit-def: $sgpr40_sgpr41
	s_branch .LBB624_59
.LBB624_57:                             ;   in Loop: Header=BB624_59 Depth=1
	global_load_dwordx2 v[38:39], v[36:37], off
	global_load_dwordx2 v[48:49], v[32:33], off
	s_add_u32 s42, s42, 1
	s_addc_u32 s43, s43, 0
	s_andn2_b64 s[40:41], s[40:41], exec
	v_lshl_add_u64 v[32:33], v[32:33], 0, 8
	v_lshl_add_u64 v[36:37], v[36:37], 0, 8
	s_waitcnt vmcnt(0)
	v_cmp_ne_u64_e32 vcc, v[38:39], v[48:49]
	s_and_b64 s[44:45], vcc, exec
	s_or_b64 s[40:41], s[40:41], s[44:45]
.LBB624_58:                             ;   in Loop: Header=BB624_59 Depth=1
	s_and_b64 s[44:45], exec, s[40:41]
	s_or_b64 s[16:17], s[44:45], s[16:17]
	v_mov_b64_e32 v[38:39], s[42:43]
	s_andn2_b64 exec, exec, s[16:17]
	s_cbranch_execz .LBB624_61
.LBB624_59:                             ; =>This Inner Loop Header: Depth=1
	s_or_b64 s[40:41], s[40:41], exec
	s_cmp_eq_u64 s[12:13], s[42:43]
	s_cbranch_scc0 .LBB624_57
; %bb.60:                               ;   in Loop: Header=BB624_59 Depth=1
                                        ; implicit-def: $vgpr32_vgpr33
                                        ; implicit-def: $vgpr36_vgpr37
	s_mov_b64 s[42:43], s[26:27]
	s_branch .LBB624_58
.LBB624_61:
	s_or_b64 exec, exec, s[16:17]
	v_cmp_gt_i64_e32 vcc, s[26:27], v[38:39]
	s_orn2_b64 s[12:13], vcc, exec
.LBB624_62:
	s_or_b64 exec, exec, s[14:15]
.LBB624_63:
	v_mul_lo_u32 v36, v21, s26
	v_mul_lo_u32 v37, v20, s27
	v_mad_u64_u32 v[32:33], s[14:15], v20, s26, 0
	v_add3_u32 v33, v33, v37, v36
	s_and_b64 vcc, exec, s[4:5]
	v_lshl_add_u64 v[32:33], v[32:33], 3, s[36:37]
	s_cbranch_vccnz .LBB624_72
; %bb.64:
	global_load_dwordx2 v[36:37], v[32:33], off
	global_load_dwordx2 v[38:39], v[34:35], off
	s_mov_b64 s[10:11], -1
	s_waitcnt vmcnt(0)
	v_cmp_eq_u64_e32 vcc, v[36:37], v[38:39]
	s_and_saveexec_b64 s[14:15], vcc
	s_cbranch_execz .LBB624_71
; %bb.65:
	s_add_u32 s10, s26, -1
	v_lshl_add_u64 v[34:35], v[34:35], 0, 8
	v_lshl_add_u64 v[36:37], v[32:33], 0, 8
	s_addc_u32 s11, s27, -1
	s_mov_b64 s[16:17], 0
	s_mov_b64 s[42:43], 0
                                        ; implicit-def: $sgpr40_sgpr41
	s_branch .LBB624_68
.LBB624_66:                             ;   in Loop: Header=BB624_68 Depth=1
	global_load_dwordx2 v[38:39], v[36:37], off
	global_load_dwordx2 v[48:49], v[34:35], off
	s_add_u32 s42, s42, 1
	s_addc_u32 s43, s43, 0
	s_andn2_b64 s[40:41], s[40:41], exec
	v_lshl_add_u64 v[34:35], v[34:35], 0, 8
	v_lshl_add_u64 v[36:37], v[36:37], 0, 8
	s_waitcnt vmcnt(0)
	v_cmp_ne_u64_e32 vcc, v[38:39], v[48:49]
	s_and_b64 s[44:45], vcc, exec
	s_or_b64 s[40:41], s[40:41], s[44:45]
.LBB624_67:                             ;   in Loop: Header=BB624_68 Depth=1
	s_and_b64 s[44:45], exec, s[40:41]
	s_or_b64 s[16:17], s[44:45], s[16:17]
	v_mov_b64_e32 v[38:39], s[42:43]
	s_andn2_b64 exec, exec, s[16:17]
	s_cbranch_execz .LBB624_70
.LBB624_68:                             ; =>This Inner Loop Header: Depth=1
	s_or_b64 s[40:41], s[40:41], exec
	s_cmp_eq_u64 s[10:11], s[42:43]
	s_cbranch_scc0 .LBB624_66
; %bb.69:                               ;   in Loop: Header=BB624_68 Depth=1
                                        ; implicit-def: $vgpr34_vgpr35
                                        ; implicit-def: $vgpr36_vgpr37
	s_mov_b64 s[42:43], s[26:27]
	s_branch .LBB624_67
.LBB624_70:
	s_or_b64 exec, exec, s[16:17]
	v_cmp_gt_i64_e32 vcc, s[26:27], v[38:39]
	s_orn2_b64 s[10:11], vcc, exec
.LBB624_71:
	s_or_b64 exec, exec, s[14:15]
.LBB624_72:
	v_mul_lo_u32 v36, v19, s26
	v_mul_lo_u32 v37, v18, s27
	v_mad_u64_u32 v[34:35], s[14:15], v18, s26, 0
	v_add3_u32 v35, v35, v37, v36
	s_mov_b64 s[14:15], 0
	s_and_b64 vcc, exec, s[4:5]
	v_lshl_add_u64 v[36:37], v[34:35], 3, s[36:37]
	s_mov_b64 s[16:17], 0
	s_cbranch_vccnz .LBB624_81
; %bb.73:
	global_load_dwordx2 v[34:35], v[36:37], off
	global_load_dwordx2 v[38:39], v[32:33], off
	s_mov_b64 s[16:17], -1
	s_waitcnt vmcnt(0)
	v_cmp_eq_u64_e32 vcc, v[34:35], v[38:39]
	s_and_saveexec_b64 s[40:41], vcc
	s_cbranch_execz .LBB624_80
; %bb.74:
	s_add_u32 s16, s26, -1
	v_lshl_add_u64 v[32:33], v[32:33], 0, 8
	v_lshl_add_u64 v[34:35], v[36:37], 0, 8
	s_addc_u32 s17, s27, -1
	s_mov_b64 s[42:43], 0
	s_mov_b64 s[46:47], 0
                                        ; implicit-def: $sgpr44_sgpr45
	s_branch .LBB624_77
.LBB624_75:                             ;   in Loop: Header=BB624_77 Depth=1
	global_load_dwordx2 v[38:39], v[34:35], off
	global_load_dwordx2 v[48:49], v[32:33], off
	s_add_u32 s46, s46, 1
	s_addc_u32 s47, s47, 0
	s_andn2_b64 s[44:45], s[44:45], exec
	v_lshl_add_u64 v[32:33], v[32:33], 0, 8
	v_lshl_add_u64 v[34:35], v[34:35], 0, 8
	s_waitcnt vmcnt(0)
	v_cmp_ne_u64_e32 vcc, v[38:39], v[48:49]
	s_and_b64 s[48:49], vcc, exec
	s_or_b64 s[44:45], s[44:45], s[48:49]
.LBB624_76:                             ;   in Loop: Header=BB624_77 Depth=1
	s_and_b64 s[48:49], exec, s[44:45]
	s_or_b64 s[42:43], s[48:49], s[42:43]
	v_mov_b64_e32 v[38:39], s[46:47]
	s_andn2_b64 exec, exec, s[42:43]
	s_cbranch_execz .LBB624_79
.LBB624_77:                             ; =>This Inner Loop Header: Depth=1
	s_or_b64 s[44:45], s[44:45], exec
	s_cmp_eq_u64 s[16:17], s[46:47]
	s_cbranch_scc0 .LBB624_75
; %bb.78:                               ;   in Loop: Header=BB624_77 Depth=1
                                        ; implicit-def: $vgpr32_vgpr33
                                        ; implicit-def: $vgpr34_vgpr35
	s_mov_b64 s[46:47], s[26:27]
	s_branch .LBB624_76
.LBB624_79:
	s_or_b64 exec, exec, s[42:43]
	v_cmp_gt_i64_e32 vcc, s[26:27], v[38:39]
	s_orn2_b64 s[16:17], vcc, exec
.LBB624_80:
	s_or_b64 exec, exec, s[40:41]
.LBB624_81:
	v_mul_lo_u32 v34, v25, s26
	v_mul_lo_u32 v35, v24, s27
	v_mad_u64_u32 v[32:33], s[40:41], v24, s26, 0
	v_add3_u32 v33, v33, v35, v34
	s_and_b64 vcc, exec, s[4:5]
	v_lshl_add_u64 v[34:35], v[32:33], 3, s[36:37]
	s_cbranch_vccnz .LBB624_90
; %bb.82:
	global_load_dwordx2 v[32:33], v[34:35], off
	global_load_dwordx2 v[38:39], v[36:37], off
	s_mov_b64 s[14:15], -1
	s_waitcnt vmcnt(0)
	v_cmp_eq_u64_e32 vcc, v[32:33], v[38:39]
	s_and_saveexec_b64 s[40:41], vcc
	s_cbranch_execz .LBB624_89
; %bb.83:
	s_add_u32 s14, s26, -1
	v_lshl_add_u64 v[32:33], v[36:37], 0, 8
	v_lshl_add_u64 v[36:37], v[34:35], 0, 8
	s_addc_u32 s15, s27, -1
	s_mov_b64 s[42:43], 0
	s_mov_b64 s[46:47], 0
                                        ; implicit-def: $sgpr44_sgpr45
	s_branch .LBB624_86
.LBB624_84:                             ;   in Loop: Header=BB624_86 Depth=1
	global_load_dwordx2 v[38:39], v[36:37], off
	global_load_dwordx2 v[48:49], v[32:33], off
	s_add_u32 s46, s46, 1
	s_addc_u32 s47, s47, 0
	s_andn2_b64 s[44:45], s[44:45], exec
	v_lshl_add_u64 v[32:33], v[32:33], 0, 8
	v_lshl_add_u64 v[36:37], v[36:37], 0, 8
	s_waitcnt vmcnt(0)
	v_cmp_ne_u64_e32 vcc, v[38:39], v[48:49]
	s_and_b64 s[48:49], vcc, exec
	s_or_b64 s[44:45], s[44:45], s[48:49]
.LBB624_85:                             ;   in Loop: Header=BB624_86 Depth=1
	s_and_b64 s[48:49], exec, s[44:45]
	s_or_b64 s[42:43], s[48:49], s[42:43]
	v_mov_b64_e32 v[38:39], s[46:47]
	s_andn2_b64 exec, exec, s[42:43]
	s_cbranch_execz .LBB624_88
.LBB624_86:                             ; =>This Inner Loop Header: Depth=1
	s_or_b64 s[44:45], s[44:45], exec
	s_cmp_eq_u64 s[14:15], s[46:47]
	s_cbranch_scc0 .LBB624_84
; %bb.87:                               ;   in Loop: Header=BB624_86 Depth=1
                                        ; implicit-def: $vgpr32_vgpr33
                                        ; implicit-def: $vgpr36_vgpr37
	s_mov_b64 s[46:47], s[26:27]
	s_branch .LBB624_85
.LBB624_88:
	s_or_b64 exec, exec, s[42:43]
	v_cmp_gt_i64_e32 vcc, s[26:27], v[38:39]
	s_orn2_b64 s[14:15], vcc, exec
.LBB624_89:
	s_or_b64 exec, exec, s[40:41]
.LBB624_90:
	v_mul_lo_u32 v36, v23, s26
	v_mul_lo_u32 v37, v22, s27
	v_mad_u64_u32 v[32:33], s[40:41], v22, s26, 0
	v_add3_u32 v33, v33, v37, v36
	s_mov_b64 s[42:43], 0
	s_and_b64 vcc, exec, s[4:5]
	v_lshl_add_u64 v[32:33], v[32:33], 3, s[36:37]
	s_cbranch_vccnz .LBB624_99
; %bb.91:
	global_load_dwordx2 v[36:37], v[32:33], off
	global_load_dwordx2 v[38:39], v[34:35], off
	s_mov_b64 s[42:43], -1
	s_waitcnt vmcnt(0)
	v_cmp_eq_u64_e32 vcc, v[36:37], v[38:39]
	s_and_saveexec_b64 s[40:41], vcc
	s_cbranch_execz .LBB624_98
; %bb.92:
	s_add_u32 s42, s26, -1
	v_lshl_add_u64 v[34:35], v[34:35], 0, 8
	v_lshl_add_u64 v[36:37], v[32:33], 0, 8
	s_addc_u32 s43, s27, -1
	s_mov_b64 s[44:45], 0
	s_mov_b64 s[48:49], 0
                                        ; implicit-def: $sgpr46_sgpr47
	s_branch .LBB624_95
.LBB624_93:                             ;   in Loop: Header=BB624_95 Depth=1
	global_load_dwordx2 v[38:39], v[36:37], off
	global_load_dwordx2 v[48:49], v[34:35], off
	s_add_u32 s48, s48, 1
	s_addc_u32 s49, s49, 0
	s_andn2_b64 s[46:47], s[46:47], exec
	v_lshl_add_u64 v[34:35], v[34:35], 0, 8
	v_lshl_add_u64 v[36:37], v[36:37], 0, 8
	s_waitcnt vmcnt(0)
	v_cmp_ne_u64_e32 vcc, v[38:39], v[48:49]
	s_and_b64 s[50:51], vcc, exec
	s_or_b64 s[46:47], s[46:47], s[50:51]
.LBB624_94:                             ;   in Loop: Header=BB624_95 Depth=1
	s_and_b64 s[50:51], exec, s[46:47]
	s_or_b64 s[44:45], s[50:51], s[44:45]
	v_mov_b64_e32 v[38:39], s[48:49]
	s_andn2_b64 exec, exec, s[44:45]
	s_cbranch_execz .LBB624_97
.LBB624_95:                             ; =>This Inner Loop Header: Depth=1
	s_or_b64 s[46:47], s[46:47], exec
	s_cmp_eq_u64 s[42:43], s[48:49]
	s_cbranch_scc0 .LBB624_93
; %bb.96:                               ;   in Loop: Header=BB624_95 Depth=1
                                        ; implicit-def: $vgpr34_vgpr35
                                        ; implicit-def: $vgpr36_vgpr37
	s_mov_b64 s[48:49], s[26:27]
	s_branch .LBB624_94
.LBB624_97:
	s_or_b64 exec, exec, s[44:45]
	v_cmp_gt_i64_e32 vcc, s[26:27], v[38:39]
	s_orn2_b64 s[42:43], vcc, exec
.LBB624_98:
	s_or_b64 exec, exec, s[40:41]
.LBB624_99:
	s_waitcnt vmcnt(0)
	v_mov_b64_e32 v[34:35], v[30:31]
	s_waitcnt lgkmcnt(0)
	s_barrier
	s_and_saveexec_b64 s[40:41], s[2:3]
	s_cbranch_execz .LBB624_101
; %bb.100:
	v_add_u32_e32 v34, -8, v47
	ds_read_b64 v[34:35], v34
.LBB624_101:
	s_or_b64 exec, exec, s[40:41]
	v_cndmask_b32_e64 v37, 0, 1, s[16:17]
	v_cndmask_b32_e64 v36, 0, 1, s[14:15]
	;; [unrolled: 1-line block ×3, first 2 shown]
	v_lshlrev_b16_e32 v37, 8, v37
	v_lshlrev_b16_e32 v38, 8, v38
	v_or_b32_sdwa v50, v36, v37 dst_sel:WORD_1 dst_unused:UNUSED_PAD src0_sel:DWORD src1_sel:DWORD
	s_mov_b64 s[16:17], 0
	s_and_b64 vcc, exec, s[4:5]
	s_mov_b64 s[14:15], 0
	s_cbranch_vccnz .LBB624_110
; %bb.102:
	s_waitcnt lgkmcnt(0)
	v_mul_lo_u32 v36, v35, s26
	v_mul_lo_u32 v37, v34, s27
	v_mad_u64_u32 v[34:35], s[14:15], v34, s26, 0
	v_add3_u32 v35, v35, v37, v36
	v_lshl_add_u64 v[34:35], v[34:35], 3, s[36:37]
	global_load_dwordx2 v[36:37], v[34:35], off
	global_load_dwordx2 v[48:49], v[32:33], off
	s_mov_b64 s[14:15], -1
	s_waitcnt vmcnt(0)
	v_cmp_eq_u64_e32 vcc, v[36:37], v[48:49]
	s_and_saveexec_b64 s[40:41], vcc
	s_cbranch_execz .LBB624_109
; %bb.103:
	s_add_u32 s14, s26, -1
	v_lshl_add_u64 v[32:33], v[32:33], 0, 8
	v_lshl_add_u64 v[34:35], v[34:35], 0, 8
	s_addc_u32 s15, s27, -1
	s_mov_b64 s[42:43], 0
	s_mov_b64 s[46:47], 0
                                        ; implicit-def: $sgpr44_sgpr45
	s_branch .LBB624_106
.LBB624_104:                            ;   in Loop: Header=BB624_106 Depth=1
	global_load_dwordx2 v[36:37], v[34:35], off
	global_load_dwordx2 v[48:49], v[32:33], off
	s_add_u32 s46, s46, 1
	s_addc_u32 s47, s47, 0
	s_andn2_b64 s[44:45], s[44:45], exec
	v_lshl_add_u64 v[32:33], v[32:33], 0, 8
	v_lshl_add_u64 v[34:35], v[34:35], 0, 8
	s_waitcnt vmcnt(0)
	v_cmp_ne_u64_e32 vcc, v[36:37], v[48:49]
	s_and_b64 s[48:49], vcc, exec
	s_or_b64 s[44:45], s[44:45], s[48:49]
.LBB624_105:                            ;   in Loop: Header=BB624_106 Depth=1
	s_and_b64 s[48:49], exec, s[44:45]
	s_or_b64 s[42:43], s[48:49], s[42:43]
	v_mov_b64_e32 v[36:37], s[46:47]
	s_andn2_b64 exec, exec, s[42:43]
	s_cbranch_execz .LBB624_108
.LBB624_106:                            ; =>This Inner Loop Header: Depth=1
	s_or_b64 s[44:45], s[44:45], exec
	s_cmp_eq_u64 s[14:15], s[46:47]
	s_cbranch_scc0 .LBB624_104
; %bb.107:                              ;   in Loop: Header=BB624_106 Depth=1
                                        ; implicit-def: $vgpr32_vgpr33
                                        ; implicit-def: $vgpr34_vgpr35
	s_mov_b64 s[46:47], s[26:27]
	s_branch .LBB624_105
.LBB624_108:
	s_or_b64 exec, exec, s[42:43]
	v_cmp_gt_i64_e32 vcc, s[26:27], v[36:37]
	s_orn2_b64 s[14:15], vcc, exec
.LBB624_109:
	s_or_b64 exec, exec, s[40:41]
.LBB624_110:
	v_cndmask_b32_e64 v39, 0, 1, s[10:11]
	v_cndmask_b32_e64 v48, 0, 1, s[12:13]
	;; [unrolled: 1-line block ×3, first 2 shown]
	s_waitcnt lgkmcnt(0)
	v_or_b32_e32 v34, v38, v50
	s_and_b64 vcc, exec, s[16:17]
	s_cbranch_vccz .LBB624_191
.LBB624_111:
	v_cmp_gt_u32_e32 vcc, s54, v42
	s_mov_b64 s[10:11], 0
	s_mov_b64 s[6:7], 0
	s_and_saveexec_b64 s[12:13], vcc
	s_cbranch_execz .LBB624_122
; %bb.112:
	s_and_b64 vcc, exec, s[4:5]
	s_mov_b64 s[14:15], 0
	s_cbranch_vccnz .LBB624_121
; %bb.113:
	v_mul_lo_u32 v34, v17, s26
	v_mul_lo_u32 v35, v16, s27
	v_mad_u64_u32 v[32:33], s[6:7], v16, s26, 0
	v_add3_u32 v33, v33, v35, v34
	v_mul_lo_u32 v34, v29, s26
	v_mul_lo_u32 v35, v28, s27
	v_mad_u64_u32 v[36:37], s[6:7], v28, s26, 0
	v_add3_u32 v37, v37, v35, v34
	v_lshl_add_u64 v[34:35], v[32:33], 3, s[36:37]
	v_lshl_add_u64 v[32:33], v[36:37], 3, s[36:37]
	global_load_dwordx2 v[36:37], v[34:35], off
	global_load_dwordx2 v[38:39], v[32:33], off
	s_mov_b64 s[14:15], -1
	s_waitcnt vmcnt(0)
	v_cmp_eq_u64_e32 vcc, v[36:37], v[38:39]
	s_and_saveexec_b64 s[6:7], vcc
	s_cbranch_execz .LBB624_120
; %bb.114:
	s_add_u32 s14, s26, -1
	v_lshl_add_u64 v[32:33], v[32:33], 0, 8
	v_lshl_add_u64 v[34:35], v[34:35], 0, 8
	s_addc_u32 s15, s27, -1
	s_mov_b64 s[16:17], 0
	s_mov_b64 s[42:43], 0
                                        ; implicit-def: $sgpr40_sgpr41
	s_branch .LBB624_117
.LBB624_115:                            ;   in Loop: Header=BB624_117 Depth=1
	global_load_dwordx2 v[36:37], v[34:35], off
	global_load_dwordx2 v[38:39], v[32:33], off
	s_add_u32 s42, s42, 1
	s_addc_u32 s43, s43, 0
	s_andn2_b64 s[40:41], s[40:41], exec
	v_lshl_add_u64 v[32:33], v[32:33], 0, 8
	v_lshl_add_u64 v[34:35], v[34:35], 0, 8
	s_waitcnt vmcnt(0)
	v_cmp_ne_u64_e32 vcc, v[36:37], v[38:39]
	s_and_b64 s[44:45], vcc, exec
	s_or_b64 s[40:41], s[40:41], s[44:45]
.LBB624_116:                            ;   in Loop: Header=BB624_117 Depth=1
	s_and_b64 s[44:45], exec, s[40:41]
	s_or_b64 s[16:17], s[44:45], s[16:17]
	v_mov_b64_e32 v[36:37], s[42:43]
	s_andn2_b64 exec, exec, s[16:17]
	s_cbranch_execz .LBB624_119
.LBB624_117:                            ; =>This Inner Loop Header: Depth=1
	s_or_b64 s[40:41], s[40:41], exec
	s_cmp_eq_u64 s[14:15], s[42:43]
	s_cbranch_scc0 .LBB624_115
; %bb.118:                              ;   in Loop: Header=BB624_117 Depth=1
                                        ; implicit-def: $vgpr32_vgpr33
                                        ; implicit-def: $vgpr34_vgpr35
	s_mov_b64 s[42:43], s[26:27]
	s_branch .LBB624_116
.LBB624_119:
	s_or_b64 exec, exec, s[16:17]
	v_cmp_gt_i64_e32 vcc, s[26:27], v[36:37]
	s_orn2_b64 s[14:15], vcc, exec
.LBB624_120:
	s_or_b64 exec, exec, s[6:7]
.LBB624_121:
	s_and_b64 s[6:7], s[14:15], exec
.LBB624_122:
	s_or_b64 exec, exec, s[12:13]
	v_cmp_gt_u32_e32 vcc, s54, v45
	s_and_saveexec_b64 s[12:13], vcc
	s_cbranch_execz .LBB624_133
; %bb.123:
	s_and_b64 vcc, exec, s[4:5]
	s_mov_b64 s[14:15], 0
	s_cbranch_vccnz .LBB624_132
; %bb.124:
	v_mul_lo_u32 v34, v15, s26
	v_mul_lo_u32 v35, v14, s27
	v_mad_u64_u32 v[32:33], s[10:11], v14, s26, 0
	v_add3_u32 v33, v33, v35, v34
	v_mul_lo_u32 v34, v17, s26
	v_mul_lo_u32 v35, v16, s27
	v_mad_u64_u32 v[36:37], s[10:11], v16, s26, 0
	v_add3_u32 v37, v37, v35, v34
	v_lshl_add_u64 v[34:35], v[32:33], 3, s[36:37]
	v_lshl_add_u64 v[32:33], v[36:37], 3, s[36:37]
	global_load_dwordx2 v[36:37], v[34:35], off
	global_load_dwordx2 v[38:39], v[32:33], off
	s_mov_b64 s[14:15], -1
	s_waitcnt vmcnt(0)
	v_cmp_eq_u64_e32 vcc, v[36:37], v[38:39]
	s_and_saveexec_b64 s[10:11], vcc
	s_cbranch_execz .LBB624_131
; %bb.125:
	s_add_u32 s14, s26, -1
	v_lshl_add_u64 v[32:33], v[32:33], 0, 8
	v_lshl_add_u64 v[34:35], v[34:35], 0, 8
	s_addc_u32 s15, s27, -1
	s_mov_b64 s[16:17], 0
	s_mov_b64 s[42:43], 0
                                        ; implicit-def: $sgpr40_sgpr41
	s_branch .LBB624_128
.LBB624_126:                            ;   in Loop: Header=BB624_128 Depth=1
	global_load_dwordx2 v[36:37], v[34:35], off
	global_load_dwordx2 v[38:39], v[32:33], off
	s_add_u32 s42, s42, 1
	s_addc_u32 s43, s43, 0
	s_andn2_b64 s[40:41], s[40:41], exec
	v_lshl_add_u64 v[32:33], v[32:33], 0, 8
	v_lshl_add_u64 v[34:35], v[34:35], 0, 8
	s_waitcnt vmcnt(0)
	v_cmp_ne_u64_e32 vcc, v[36:37], v[38:39]
	s_and_b64 s[44:45], vcc, exec
	s_or_b64 s[40:41], s[40:41], s[44:45]
.LBB624_127:                            ;   in Loop: Header=BB624_128 Depth=1
	s_and_b64 s[44:45], exec, s[40:41]
	s_or_b64 s[16:17], s[44:45], s[16:17]
	v_mov_b64_e32 v[36:37], s[42:43]
	s_andn2_b64 exec, exec, s[16:17]
	s_cbranch_execz .LBB624_130
.LBB624_128:                            ; =>This Inner Loop Header: Depth=1
	s_or_b64 s[40:41], s[40:41], exec
	s_cmp_eq_u64 s[14:15], s[42:43]
	s_cbranch_scc0 .LBB624_126
; %bb.129:                              ;   in Loop: Header=BB624_128 Depth=1
                                        ; implicit-def: $vgpr32_vgpr33
                                        ; implicit-def: $vgpr34_vgpr35
	s_mov_b64 s[42:43], s[26:27]
	s_branch .LBB624_127
.LBB624_130:
	s_or_b64 exec, exec, s[16:17]
	v_cmp_gt_i64_e32 vcc, s[26:27], v[36:37]
	s_orn2_b64 s[14:15], vcc, exec
.LBB624_131:
	s_or_b64 exec, exec, s[10:11]
.LBB624_132:
	s_and_b64 s[10:11], s[14:15], exec
.LBB624_133:
	s_or_b64 exec, exec, s[12:13]
	v_cmp_gt_u32_e32 vcc, s54, v41
	s_mov_b64 s[14:15], 0
	s_mov_b64 s[12:13], 0
	s_and_saveexec_b64 s[16:17], vcc
	s_cbranch_execz .LBB624_144
; %bb.134:
	s_and_b64 vcc, exec, s[4:5]
	s_mov_b64 s[40:41], 0
	s_cbranch_vccnz .LBB624_143
; %bb.135:
	v_mul_lo_u32 v34, v21, s26
	v_mul_lo_u32 v35, v20, s27
	v_mad_u64_u32 v[32:33], s[12:13], v20, s26, 0
	v_add3_u32 v33, v33, v35, v34
	v_mul_lo_u32 v34, v15, s26
	v_mul_lo_u32 v35, v14, s27
	v_mad_u64_u32 v[36:37], s[12:13], v14, s26, 0
	v_add3_u32 v37, v37, v35, v34
	v_lshl_add_u64 v[34:35], v[32:33], 3, s[36:37]
	v_lshl_add_u64 v[32:33], v[36:37], 3, s[36:37]
	global_load_dwordx2 v[36:37], v[34:35], off
	global_load_dwordx2 v[38:39], v[32:33], off
	s_mov_b64 s[40:41], -1
	s_waitcnt vmcnt(0)
	v_cmp_eq_u64_e32 vcc, v[36:37], v[38:39]
	s_and_saveexec_b64 s[12:13], vcc
	s_cbranch_execz .LBB624_142
; %bb.136:
	s_add_u32 s40, s26, -1
	v_lshl_add_u64 v[32:33], v[32:33], 0, 8
	v_lshl_add_u64 v[34:35], v[34:35], 0, 8
	s_addc_u32 s41, s27, -1
	s_mov_b64 s[42:43], 0
	s_mov_b64 s[46:47], 0
                                        ; implicit-def: $sgpr44_sgpr45
	s_branch .LBB624_139
.LBB624_137:                            ;   in Loop: Header=BB624_139 Depth=1
	global_load_dwordx2 v[36:37], v[34:35], off
	global_load_dwordx2 v[38:39], v[32:33], off
	s_add_u32 s46, s46, 1
	s_addc_u32 s47, s47, 0
	s_andn2_b64 s[44:45], s[44:45], exec
	v_lshl_add_u64 v[32:33], v[32:33], 0, 8
	v_lshl_add_u64 v[34:35], v[34:35], 0, 8
	s_waitcnt vmcnt(0)
	v_cmp_ne_u64_e32 vcc, v[36:37], v[38:39]
	s_and_b64 s[48:49], vcc, exec
	s_or_b64 s[44:45], s[44:45], s[48:49]
.LBB624_138:                            ;   in Loop: Header=BB624_139 Depth=1
	s_and_b64 s[48:49], exec, s[44:45]
	s_or_b64 s[42:43], s[48:49], s[42:43]
	v_mov_b64_e32 v[36:37], s[46:47]
	s_andn2_b64 exec, exec, s[42:43]
	s_cbranch_execz .LBB624_141
.LBB624_139:                            ; =>This Inner Loop Header: Depth=1
	s_or_b64 s[44:45], s[44:45], exec
	s_cmp_eq_u64 s[40:41], s[46:47]
	s_cbranch_scc0 .LBB624_137
; %bb.140:                              ;   in Loop: Header=BB624_139 Depth=1
                                        ; implicit-def: $vgpr32_vgpr33
                                        ; implicit-def: $vgpr34_vgpr35
	s_mov_b64 s[46:47], s[26:27]
	s_branch .LBB624_138
.LBB624_141:
	s_or_b64 exec, exec, s[42:43]
	v_cmp_gt_i64_e32 vcc, s[26:27], v[36:37]
	s_orn2_b64 s[40:41], vcc, exec
.LBB624_142:
	s_or_b64 exec, exec, s[12:13]
.LBB624_143:
	s_and_b64 s[12:13], s[40:41], exec
.LBB624_144:
	s_or_b64 exec, exec, s[16:17]
	v_cmp_gt_u32_e32 vcc, s54, v44
	s_and_saveexec_b64 s[16:17], vcc
	s_cbranch_execz .LBB624_155
; %bb.145:
	s_and_b64 vcc, exec, s[4:5]
	s_mov_b64 s[40:41], 0
	s_cbranch_vccnz .LBB624_154
; %bb.146:
	v_mul_lo_u32 v34, v19, s26
	v_mul_lo_u32 v35, v18, s27
	v_mad_u64_u32 v[32:33], s[14:15], v18, s26, 0
	v_add3_u32 v33, v33, v35, v34
	v_mul_lo_u32 v34, v21, s26
	v_mul_lo_u32 v35, v20, s27
	v_mad_u64_u32 v[36:37], s[14:15], v20, s26, 0
	v_add3_u32 v37, v37, v35, v34
	v_lshl_add_u64 v[34:35], v[32:33], 3, s[36:37]
	v_lshl_add_u64 v[32:33], v[36:37], 3, s[36:37]
	global_load_dwordx2 v[36:37], v[34:35], off
	global_load_dwordx2 v[38:39], v[32:33], off
	s_mov_b64 s[40:41], -1
	s_waitcnt vmcnt(0)
	v_cmp_eq_u64_e32 vcc, v[36:37], v[38:39]
	s_and_saveexec_b64 s[14:15], vcc
	s_cbranch_execz .LBB624_153
; %bb.147:
	s_add_u32 s40, s26, -1
	v_lshl_add_u64 v[32:33], v[32:33], 0, 8
	v_lshl_add_u64 v[34:35], v[34:35], 0, 8
	s_addc_u32 s41, s27, -1
	s_mov_b64 s[42:43], 0
	s_mov_b64 s[46:47], 0
                                        ; implicit-def: $sgpr44_sgpr45
	s_branch .LBB624_150
.LBB624_148:                            ;   in Loop: Header=BB624_150 Depth=1
	global_load_dwordx2 v[36:37], v[34:35], off
	global_load_dwordx2 v[38:39], v[32:33], off
	s_add_u32 s46, s46, 1
	s_addc_u32 s47, s47, 0
	s_andn2_b64 s[44:45], s[44:45], exec
	v_lshl_add_u64 v[32:33], v[32:33], 0, 8
	v_lshl_add_u64 v[34:35], v[34:35], 0, 8
	s_waitcnt vmcnt(0)
	v_cmp_ne_u64_e32 vcc, v[36:37], v[38:39]
	s_and_b64 s[48:49], vcc, exec
	s_or_b64 s[44:45], s[44:45], s[48:49]
.LBB624_149:                            ;   in Loop: Header=BB624_150 Depth=1
	s_and_b64 s[48:49], exec, s[44:45]
	s_or_b64 s[42:43], s[48:49], s[42:43]
	v_mov_b64_e32 v[36:37], s[46:47]
	s_andn2_b64 exec, exec, s[42:43]
	s_cbranch_execz .LBB624_152
.LBB624_150:                            ; =>This Inner Loop Header: Depth=1
	s_or_b64 s[44:45], s[44:45], exec
	s_cmp_eq_u64 s[40:41], s[46:47]
	s_cbranch_scc0 .LBB624_148
; %bb.151:                              ;   in Loop: Header=BB624_150 Depth=1
                                        ; implicit-def: $vgpr32_vgpr33
                                        ; implicit-def: $vgpr34_vgpr35
	s_mov_b64 s[46:47], s[26:27]
	s_branch .LBB624_149
.LBB624_152:
	s_or_b64 exec, exec, s[42:43]
	v_cmp_gt_i64_e32 vcc, s[26:27], v[36:37]
	s_orn2_b64 s[40:41], vcc, exec
.LBB624_153:
	s_or_b64 exec, exec, s[14:15]
.LBB624_154:
	s_and_b64 s[14:15], s[40:41], exec
.LBB624_155:
	s_or_b64 exec, exec, s[16:17]
	v_cmp_gt_u32_e32 vcc, s54, v40
	s_mov_b64 s[16:17], 0
	s_mov_b64 s[40:41], 0
	s_and_saveexec_b64 s[42:43], vcc
	s_cbranch_execz .LBB624_166
; %bb.156:
	s_and_b64 vcc, exec, s[4:5]
	s_mov_b64 s[44:45], 0
	s_cbranch_vccnz .LBB624_165
; %bb.157:
	v_mul_lo_u32 v34, v25, s26
	v_mul_lo_u32 v35, v24, s27
	v_mad_u64_u32 v[32:33], s[40:41], v24, s26, 0
	v_add3_u32 v33, v33, v35, v34
	v_mul_lo_u32 v34, v19, s26
	v_mul_lo_u32 v35, v18, s27
	v_mad_u64_u32 v[36:37], s[40:41], v18, s26, 0
	v_add3_u32 v37, v37, v35, v34
	v_lshl_add_u64 v[34:35], v[32:33], 3, s[36:37]
	v_lshl_add_u64 v[32:33], v[36:37], 3, s[36:37]
	global_load_dwordx2 v[36:37], v[34:35], off
	global_load_dwordx2 v[38:39], v[32:33], off
	s_mov_b64 s[44:45], -1
	s_waitcnt vmcnt(0)
	v_cmp_eq_u64_e32 vcc, v[36:37], v[38:39]
	s_and_saveexec_b64 s[40:41], vcc
	s_cbranch_execz .LBB624_164
; %bb.158:
	s_add_u32 s44, s26, -1
	v_lshl_add_u64 v[32:33], v[32:33], 0, 8
	v_lshl_add_u64 v[34:35], v[34:35], 0, 8
	s_addc_u32 s45, s27, -1
	s_mov_b64 s[46:47], 0
	s_mov_b64 s[50:51], 0
                                        ; implicit-def: $sgpr48_sgpr49
	s_branch .LBB624_161
.LBB624_159:                            ;   in Loop: Header=BB624_161 Depth=1
	global_load_dwordx2 v[36:37], v[34:35], off
	global_load_dwordx2 v[38:39], v[32:33], off
	s_add_u32 s50, s50, 1
	s_addc_u32 s51, s51, 0
	s_andn2_b64 s[48:49], s[48:49], exec
	v_lshl_add_u64 v[32:33], v[32:33], 0, 8
	v_lshl_add_u64 v[34:35], v[34:35], 0, 8
	s_waitcnt vmcnt(0)
	v_cmp_ne_u64_e32 vcc, v[36:37], v[38:39]
	s_and_b64 s[52:53], vcc, exec
	s_or_b64 s[48:49], s[48:49], s[52:53]
.LBB624_160:                            ;   in Loop: Header=BB624_161 Depth=1
	s_and_b64 s[52:53], exec, s[48:49]
	s_or_b64 s[46:47], s[52:53], s[46:47]
	v_mov_b64_e32 v[36:37], s[50:51]
	s_andn2_b64 exec, exec, s[46:47]
	s_cbranch_execz .LBB624_163
.LBB624_161:                            ; =>This Inner Loop Header: Depth=1
	s_or_b64 s[48:49], s[48:49], exec
	s_cmp_eq_u64 s[44:45], s[50:51]
	s_cbranch_scc0 .LBB624_159
; %bb.162:                              ;   in Loop: Header=BB624_161 Depth=1
                                        ; implicit-def: $vgpr32_vgpr33
                                        ; implicit-def: $vgpr34_vgpr35
	s_mov_b64 s[50:51], s[26:27]
	s_branch .LBB624_160
.LBB624_163:
	s_or_b64 exec, exec, s[46:47]
	v_cmp_gt_i64_e32 vcc, s[26:27], v[36:37]
	s_orn2_b64 s[44:45], vcc, exec
.LBB624_164:
	s_or_b64 exec, exec, s[40:41]
.LBB624_165:
	s_and_b64 s[40:41], s[44:45], exec
.LBB624_166:
	s_or_b64 exec, exec, s[42:43]
	v_cmp_gt_u32_e32 vcc, s54, v43
	s_and_saveexec_b64 s[42:43], vcc
	s_cbranch_execz .LBB624_177
; %bb.167:
	s_and_b64 vcc, exec, s[4:5]
	s_mov_b64 s[44:45], 0
	s_cbranch_vccnz .LBB624_176
; %bb.168:
	v_mul_lo_u32 v34, v23, s26
	v_mul_lo_u32 v35, v22, s27
	v_mad_u64_u32 v[32:33], s[16:17], v22, s26, 0
	v_add3_u32 v33, v33, v35, v34
	v_mul_lo_u32 v34, v25, s26
	v_mul_lo_u32 v35, v24, s27
	v_mad_u64_u32 v[36:37], s[16:17], v24, s26, 0
	v_add3_u32 v37, v37, v35, v34
	v_lshl_add_u64 v[34:35], v[32:33], 3, s[36:37]
	v_lshl_add_u64 v[32:33], v[36:37], 3, s[36:37]
	global_load_dwordx2 v[36:37], v[34:35], off
	global_load_dwordx2 v[38:39], v[32:33], off
	s_mov_b64 s[44:45], -1
	s_waitcnt vmcnt(0)
	v_cmp_eq_u64_e32 vcc, v[36:37], v[38:39]
	s_and_saveexec_b64 s[16:17], vcc
	s_cbranch_execz .LBB624_175
; %bb.169:
	s_add_u32 s44, s26, -1
	v_lshl_add_u64 v[32:33], v[32:33], 0, 8
	v_lshl_add_u64 v[34:35], v[34:35], 0, 8
	s_addc_u32 s45, s27, -1
	s_mov_b64 s[46:47], 0
	s_mov_b64 s[50:51], 0
                                        ; implicit-def: $sgpr48_sgpr49
	s_branch .LBB624_172
.LBB624_170:                            ;   in Loop: Header=BB624_172 Depth=1
	global_load_dwordx2 v[36:37], v[34:35], off
	global_load_dwordx2 v[38:39], v[32:33], off
	s_add_u32 s50, s50, 1
	s_addc_u32 s51, s51, 0
	s_andn2_b64 s[48:49], s[48:49], exec
	v_lshl_add_u64 v[32:33], v[32:33], 0, 8
	v_lshl_add_u64 v[34:35], v[34:35], 0, 8
	s_waitcnt vmcnt(0)
	v_cmp_ne_u64_e32 vcc, v[36:37], v[38:39]
	s_and_b64 s[52:53], vcc, exec
	s_or_b64 s[48:49], s[48:49], s[52:53]
.LBB624_171:                            ;   in Loop: Header=BB624_172 Depth=1
	s_and_b64 s[52:53], exec, s[48:49]
	s_or_b64 s[46:47], s[52:53], s[46:47]
	v_mov_b64_e32 v[36:37], s[50:51]
	s_andn2_b64 exec, exec, s[46:47]
	s_cbranch_execz .LBB624_174
.LBB624_172:                            ; =>This Inner Loop Header: Depth=1
	s_or_b64 s[48:49], s[48:49], exec
	s_cmp_eq_u64 s[44:45], s[50:51]
	s_cbranch_scc0 .LBB624_170
; %bb.173:                              ;   in Loop: Header=BB624_172 Depth=1
                                        ; implicit-def: $vgpr32_vgpr33
                                        ; implicit-def: $vgpr34_vgpr35
	s_mov_b64 s[50:51], s[26:27]
	s_branch .LBB624_171
.LBB624_174:
	s_or_b64 exec, exec, s[46:47]
	v_cmp_gt_i64_e32 vcc, s[26:27], v[36:37]
	s_orn2_b64 s[44:45], vcc, exec
.LBB624_175:
	s_or_b64 exec, exec, s[16:17]
.LBB624_176:
	s_and_b64 s[16:17], s[44:45], exec
.LBB624_177:
	s_or_b64 exec, exec, s[42:43]
	s_waitcnt lgkmcnt(0)
	s_barrier
	s_and_saveexec_b64 s[42:43], s[2:3]
	s_cbranch_execz .LBB624_179
; %bb.178:
	s_waitcnt vmcnt(0)
	v_add_u32_e32 v30, -8, v47
	ds_read_b64 v[30:31], v30
.LBB624_179:
	s_or_b64 exec, exec, s[42:43]
	v_cndmask_b32_e64 v33, 0, 1, s[14:15]
	v_cndmask_b32_e64 v32, 0, 1, s[40:41]
	;; [unrolled: 1-line block ×3, first 2 shown]
	v_lshlrev_b16_e32 v33, 8, v33
	v_cmp_gt_u32_e32 vcc, s54, v1
	v_lshlrev_b16_e32 v36, 8, v34
	v_or_b32_sdwa v37, v32, v33 dst_sel:WORD_1 dst_unused:UNUSED_PAD src0_sel:DWORD src1_sel:DWORD
	s_mov_b64 s[14:15], 0
	s_and_saveexec_b64 s[16:17], vcc
	s_cbranch_execz .LBB624_190
; %bb.180:
	s_and_b64 vcc, exec, s[4:5]
	s_cbranch_vccnz .LBB624_189
; %bb.181:
	s_waitcnt vmcnt(0) lgkmcnt(0)
	v_mul_lo_u32 v32, v31, s26
	v_mul_lo_u32 v33, v30, s27
	v_mad_u64_u32 v[30:31], s[4:5], v30, s26, 0
	v_add3_u32 v31, v31, v33, v32
	v_mul_lo_u32 v32, v23, s26
	v_mul_lo_u32 v33, v22, s27
	v_mad_u64_u32 v[34:35], s[4:5], v22, s26, 0
	v_add3_u32 v35, v35, v33, v32
	v_lshl_add_u64 v[32:33], v[30:31], 3, s[36:37]
	v_lshl_add_u64 v[30:31], v[34:35], 3, s[36:37]
	global_load_dwordx2 v[34:35], v[32:33], off
	global_load_dwordx2 v[38:39], v[30:31], off
	s_mov_b64 s[14:15], -1
	s_waitcnt vmcnt(0)
	v_cmp_eq_u64_e32 vcc, v[34:35], v[38:39]
	s_and_saveexec_b64 s[4:5], vcc
	s_cbranch_execz .LBB624_188
; %bb.182:
	s_add_u32 s14, s26, -1
	v_lshl_add_u64 v[30:31], v[30:31], 0, 8
	v_lshl_add_u64 v[32:33], v[32:33], 0, 8
	s_addc_u32 s15, s27, -1
	s_mov_b64 s[40:41], 0
	s_mov_b64 s[44:45], 0
                                        ; implicit-def: $sgpr42_sgpr43
	s_branch .LBB624_185
.LBB624_183:                            ;   in Loop: Header=BB624_185 Depth=1
	global_load_dwordx2 v[34:35], v[32:33], off
	global_load_dwordx2 v[38:39], v[30:31], off
	s_add_u32 s44, s44, 1
	s_addc_u32 s45, s45, 0
	s_andn2_b64 s[42:43], s[42:43], exec
	v_lshl_add_u64 v[30:31], v[30:31], 0, 8
	v_lshl_add_u64 v[32:33], v[32:33], 0, 8
	s_waitcnt vmcnt(0)
	v_cmp_ne_u64_e32 vcc, v[34:35], v[38:39]
	s_and_b64 s[46:47], vcc, exec
	s_or_b64 s[42:43], s[42:43], s[46:47]
.LBB624_184:                            ;   in Loop: Header=BB624_185 Depth=1
	s_and_b64 s[46:47], exec, s[42:43]
	s_or_b64 s[40:41], s[46:47], s[40:41]
	v_mov_b64_e32 v[34:35], s[44:45]
	s_andn2_b64 exec, exec, s[40:41]
	s_cbranch_execz .LBB624_187
.LBB624_185:                            ; =>This Inner Loop Header: Depth=1
	s_or_b64 s[42:43], s[42:43], exec
	s_cmp_eq_u64 s[14:15], s[44:45]
	s_cbranch_scc0 .LBB624_183
; %bb.186:                              ;   in Loop: Header=BB624_185 Depth=1
                                        ; implicit-def: $vgpr30_vgpr31
                                        ; implicit-def: $vgpr32_vgpr33
	s_mov_b64 s[44:45], s[26:27]
	s_branch .LBB624_184
.LBB624_187:
	s_or_b64 exec, exec, s[40:41]
	v_cmp_gt_i64_e32 vcc, s[26:27], v[34:35]
	s_orn2_b64 s[14:15], vcc, exec
.LBB624_188:
	s_or_b64 exec, exec, s[4:5]
.LBB624_189:
	s_and_b64 s[14:15], s[14:15], exec
.LBB624_190:
	s_or_b64 exec, exec, s[16:17]
	v_cndmask_b32_e64 v39, 0, 1, s[12:13]
	v_cndmask_b32_e64 v48, 0, 1, s[10:11]
	;; [unrolled: 1-line block ×3, first 2 shown]
	v_or_b32_e32 v34, v36, v37
.LBB624_191:
	s_mov_b64 s[10:11], -1
	s_cbranch_execnz .LBB624_50
.LBB624_192:
	s_movk_i32 s4, 0xffd0
	v_mad_i32_i24 v38, v0, s4, v46
	s_mov_b64 s[12:13], 0
	v_cmp_gt_i64_e64 s[6:7], s[26:27], 0
	s_and_b64 vcc, exec, s[34:35]
	ds_write_b64 v38, v[28:29]
	s_cbranch_vccz .LBB624_200
; %bb.193:
	v_mul_lo_u32 v32, v17, s26
	v_mul_lo_u32 v33, v16, s27
	s_waitcnt vmcnt(0) lgkmcnt(1)
	v_mad_u64_u32 v[30:31], s[4:5], v16, s26, 0
	v_add3_u32 v31, v31, v33, v32
	v_cndmask_b32_e64 v32, 0, 1, s[6:7]
	v_cmp_ne_u32_e64 s[4:5], 1, v32
	s_andn2_b64 vcc, exec, s[6:7]
	v_lshl_add_u64 v[30:31], v[30:31], 3, s[36:37]
	s_cbranch_vccnz .LBB624_203
; %bb.194:
	v_mul_lo_u32 v34, v29, s26
	v_mul_lo_u32 v35, v28, s27
	v_mad_u64_u32 v[32:33], s[12:13], v28, s26, 0
	v_add3_u32 v33, v33, v35, v34
	v_lshl_add_u64 v[32:33], v[32:33], 3, s[36:37]
	global_load_dwordx2 v[34:35], v[30:31], off
	global_load_dwordx2 v[36:37], v[32:33], off
	s_mov_b64 s[12:13], -1
	s_waitcnt vmcnt(0)
	v_cmp_eq_u64_e32 vcc, v[34:35], v[36:37]
	s_and_saveexec_b64 s[14:15], vcc
	s_cbranch_execz .LBB624_202
; %bb.195:
	s_add_u32 s12, s26, -1
	v_lshl_add_u64 v[32:33], v[32:33], 0, 8
	v_lshl_add_u64 v[34:35], v[30:31], 0, 8
	s_addc_u32 s13, s27, -1
	s_mov_b64 s[16:17], 0
	s_mov_b64 s[42:43], 0
                                        ; implicit-def: $sgpr40_sgpr41
	s_branch .LBB624_198
.LBB624_196:                            ;   in Loop: Header=BB624_198 Depth=1
	global_load_dwordx2 v[36:37], v[34:35], off
	global_load_dwordx2 v[46:47], v[32:33], off
	s_add_u32 s42, s42, 1
	s_addc_u32 s43, s43, 0
	s_andn2_b64 s[40:41], s[40:41], exec
	v_lshl_add_u64 v[32:33], v[32:33], 0, 8
	v_lshl_add_u64 v[34:35], v[34:35], 0, 8
	s_waitcnt vmcnt(0)
	v_cmp_ne_u64_e32 vcc, v[36:37], v[46:47]
	s_and_b64 s[44:45], vcc, exec
	s_or_b64 s[40:41], s[40:41], s[44:45]
.LBB624_197:                            ;   in Loop: Header=BB624_198 Depth=1
	s_and_b64 s[44:45], exec, s[40:41]
	s_or_b64 s[16:17], s[44:45], s[16:17]
	v_mov_b64_e32 v[36:37], s[42:43]
	s_andn2_b64 exec, exec, s[16:17]
	s_cbranch_execz .LBB624_201
.LBB624_198:                            ; =>This Inner Loop Header: Depth=1
	s_or_b64 s[40:41], s[40:41], exec
	s_cmp_eq_u64 s[12:13], s[42:43]
	s_cbranch_scc0 .LBB624_196
; %bb.199:                              ;   in Loop: Header=BB624_198 Depth=1
                                        ; implicit-def: $vgpr32_vgpr33
                                        ; implicit-def: $vgpr34_vgpr35
	s_mov_b64 s[42:43], s[26:27]
	s_branch .LBB624_197
.LBB624_200:
                                        ; implicit-def: $sgpr14_sgpr15
                                        ; implicit-def: $vgpr49
                                        ; implicit-def: $vgpr48
                                        ; implicit-def: $vgpr39
                                        ; implicit-def: $vgpr34
                                        ; implicit-def: $vgpr30_vgpr31
	s_cbranch_execnz .LBB624_260
	s_branch .LBB624_340
.LBB624_201:
	s_or_b64 exec, exec, s[16:17]
	v_cmp_gt_i64_e32 vcc, s[26:27], v[36:37]
	s_orn2_b64 s[12:13], vcc, exec
.LBB624_202:
	s_or_b64 exec, exec, s[14:15]
.LBB624_203:
	v_mul_lo_u32 v34, v15, s26
	v_mul_lo_u32 v35, v14, s27
	v_mad_u64_u32 v[32:33], s[14:15], v14, s26, 0
	v_add3_u32 v33, v33, v35, v34
	s_mov_b64 s[14:15], 0
	s_and_b64 vcc, exec, s[4:5]
	v_lshl_add_u64 v[32:33], v[32:33], 3, s[36:37]
	s_mov_b64 s[16:17], 0
	s_cbranch_vccnz .LBB624_212
; %bb.204:
	global_load_dwordx2 v[34:35], v[32:33], off
	global_load_dwordx2 v[36:37], v[30:31], off
	s_mov_b64 s[16:17], -1
	s_waitcnt vmcnt(0)
	v_cmp_eq_u64_e32 vcc, v[34:35], v[36:37]
	s_and_saveexec_b64 s[40:41], vcc
	s_cbranch_execz .LBB624_211
; %bb.205:
	s_add_u32 s16, s26, -1
	v_lshl_add_u64 v[30:31], v[30:31], 0, 8
	v_lshl_add_u64 v[34:35], v[32:33], 0, 8
	s_addc_u32 s17, s27, -1
	s_mov_b64 s[42:43], 0
	s_mov_b64 s[46:47], 0
                                        ; implicit-def: $sgpr44_sgpr45
	s_branch .LBB624_208
.LBB624_206:                            ;   in Loop: Header=BB624_208 Depth=1
	global_load_dwordx2 v[36:37], v[34:35], off
	global_load_dwordx2 v[46:47], v[30:31], off
	s_add_u32 s46, s46, 1
	s_addc_u32 s47, s47, 0
	s_andn2_b64 s[44:45], s[44:45], exec
	v_lshl_add_u64 v[30:31], v[30:31], 0, 8
	v_lshl_add_u64 v[34:35], v[34:35], 0, 8
	s_waitcnt vmcnt(0)
	v_cmp_ne_u64_e32 vcc, v[36:37], v[46:47]
	s_and_b64 s[48:49], vcc, exec
	s_or_b64 s[44:45], s[44:45], s[48:49]
.LBB624_207:                            ;   in Loop: Header=BB624_208 Depth=1
	s_and_b64 s[48:49], exec, s[44:45]
	s_or_b64 s[42:43], s[48:49], s[42:43]
	v_mov_b64_e32 v[36:37], s[46:47]
	s_andn2_b64 exec, exec, s[42:43]
	s_cbranch_execz .LBB624_210
.LBB624_208:                            ; =>This Inner Loop Header: Depth=1
	s_or_b64 s[44:45], s[44:45], exec
	s_cmp_eq_u64 s[16:17], s[46:47]
	s_cbranch_scc0 .LBB624_206
; %bb.209:                              ;   in Loop: Header=BB624_208 Depth=1
                                        ; implicit-def: $vgpr30_vgpr31
                                        ; implicit-def: $vgpr34_vgpr35
	s_mov_b64 s[46:47], s[26:27]
	s_branch .LBB624_207
.LBB624_210:
	s_or_b64 exec, exec, s[42:43]
	v_cmp_gt_i64_e32 vcc, s[26:27], v[36:37]
	s_orn2_b64 s[16:17], vcc, exec
.LBB624_211:
	s_or_b64 exec, exec, s[40:41]
.LBB624_212:
	v_mul_lo_u32 v34, v21, s26
	v_mul_lo_u32 v35, v20, s27
	v_mad_u64_u32 v[30:31], s[40:41], v20, s26, 0
	v_add3_u32 v31, v31, v35, v34
	s_and_b64 vcc, exec, s[4:5]
	v_lshl_add_u64 v[30:31], v[30:31], 3, s[36:37]
	s_cbranch_vccnz .LBB624_221
; %bb.213:
	global_load_dwordx2 v[34:35], v[30:31], off
	global_load_dwordx2 v[36:37], v[32:33], off
	s_mov_b64 s[14:15], -1
	s_waitcnt vmcnt(0)
	v_cmp_eq_u64_e32 vcc, v[34:35], v[36:37]
	s_and_saveexec_b64 s[40:41], vcc
	s_cbranch_execz .LBB624_220
; %bb.214:
	s_add_u32 s14, s26, -1
	v_lshl_add_u64 v[32:33], v[32:33], 0, 8
	v_lshl_add_u64 v[34:35], v[30:31], 0, 8
	s_addc_u32 s15, s27, -1
	s_mov_b64 s[42:43], 0
	s_mov_b64 s[46:47], 0
                                        ; implicit-def: $sgpr44_sgpr45
	s_branch .LBB624_217
.LBB624_215:                            ;   in Loop: Header=BB624_217 Depth=1
	global_load_dwordx2 v[36:37], v[34:35], off
	global_load_dwordx2 v[46:47], v[32:33], off
	s_add_u32 s46, s46, 1
	s_addc_u32 s47, s47, 0
	s_andn2_b64 s[44:45], s[44:45], exec
	v_lshl_add_u64 v[32:33], v[32:33], 0, 8
	v_lshl_add_u64 v[34:35], v[34:35], 0, 8
	s_waitcnt vmcnt(0)
	v_cmp_ne_u64_e32 vcc, v[36:37], v[46:47]
	s_and_b64 s[48:49], vcc, exec
	s_or_b64 s[44:45], s[44:45], s[48:49]
.LBB624_216:                            ;   in Loop: Header=BB624_217 Depth=1
	s_and_b64 s[48:49], exec, s[44:45]
	s_or_b64 s[42:43], s[48:49], s[42:43]
	v_mov_b64_e32 v[36:37], s[46:47]
	s_andn2_b64 exec, exec, s[42:43]
	s_cbranch_execz .LBB624_219
.LBB624_217:                            ; =>This Inner Loop Header: Depth=1
	s_or_b64 s[44:45], s[44:45], exec
	s_cmp_eq_u64 s[14:15], s[46:47]
	s_cbranch_scc0 .LBB624_215
; %bb.218:                              ;   in Loop: Header=BB624_217 Depth=1
                                        ; implicit-def: $vgpr32_vgpr33
                                        ; implicit-def: $vgpr34_vgpr35
	s_mov_b64 s[46:47], s[26:27]
	s_branch .LBB624_216
.LBB624_219:
	s_or_b64 exec, exec, s[42:43]
	v_cmp_gt_i64_e32 vcc, s[26:27], v[36:37]
	s_orn2_b64 s[14:15], vcc, exec
.LBB624_220:
	s_or_b64 exec, exec, s[40:41]
.LBB624_221:
	v_mul_lo_u32 v34, v19, s26
	v_mul_lo_u32 v35, v18, s27
	v_mad_u64_u32 v[32:33], s[40:41], v18, s26, 0
	v_add3_u32 v33, v33, v35, v34
	s_mov_b64 s[40:41], 0
	s_and_b64 vcc, exec, s[4:5]
	v_lshl_add_u64 v[32:33], v[32:33], 3, s[36:37]
	s_mov_b64 s[42:43], 0
	s_cbranch_vccnz .LBB624_230
; %bb.222:
	global_load_dwordx2 v[34:35], v[32:33], off
	global_load_dwordx2 v[36:37], v[30:31], off
	s_mov_b64 s[42:43], -1
	s_waitcnt vmcnt(0)
	v_cmp_eq_u64_e32 vcc, v[34:35], v[36:37]
	s_and_saveexec_b64 s[44:45], vcc
	s_cbranch_execz .LBB624_229
; %bb.223:
	s_add_u32 s42, s26, -1
	v_lshl_add_u64 v[30:31], v[30:31], 0, 8
	v_lshl_add_u64 v[34:35], v[32:33], 0, 8
	s_addc_u32 s43, s27, -1
	s_mov_b64 s[46:47], 0
	s_mov_b64 s[50:51], 0
                                        ; implicit-def: $sgpr48_sgpr49
	s_branch .LBB624_226
.LBB624_224:                            ;   in Loop: Header=BB624_226 Depth=1
	global_load_dwordx2 v[36:37], v[34:35], off
	global_load_dwordx2 v[46:47], v[30:31], off
	s_add_u32 s50, s50, 1
	s_addc_u32 s51, s51, 0
	s_andn2_b64 s[48:49], s[48:49], exec
	v_lshl_add_u64 v[30:31], v[30:31], 0, 8
	v_lshl_add_u64 v[34:35], v[34:35], 0, 8
	s_waitcnt vmcnt(0)
	v_cmp_ne_u64_e32 vcc, v[36:37], v[46:47]
	s_and_b64 s[52:53], vcc, exec
	s_or_b64 s[48:49], s[48:49], s[52:53]
.LBB624_225:                            ;   in Loop: Header=BB624_226 Depth=1
	s_and_b64 s[52:53], exec, s[48:49]
	s_or_b64 s[46:47], s[52:53], s[46:47]
	v_mov_b64_e32 v[36:37], s[50:51]
	s_andn2_b64 exec, exec, s[46:47]
	s_cbranch_execz .LBB624_228
.LBB624_226:                            ; =>This Inner Loop Header: Depth=1
	s_or_b64 s[48:49], s[48:49], exec
	s_cmp_eq_u64 s[42:43], s[50:51]
	s_cbranch_scc0 .LBB624_224
; %bb.227:                              ;   in Loop: Header=BB624_226 Depth=1
                                        ; implicit-def: $vgpr30_vgpr31
                                        ; implicit-def: $vgpr34_vgpr35
	s_mov_b64 s[50:51], s[26:27]
	s_branch .LBB624_225
.LBB624_228:
	s_or_b64 exec, exec, s[46:47]
	v_cmp_gt_i64_e32 vcc, s[26:27], v[36:37]
	s_orn2_b64 s[42:43], vcc, exec
.LBB624_229:
	s_or_b64 exec, exec, s[44:45]
.LBB624_230:
	v_mul_lo_u32 v34, v25, s26
	v_mul_lo_u32 v35, v24, s27
	v_mad_u64_u32 v[30:31], s[44:45], v24, s26, 0
	v_add3_u32 v31, v31, v35, v34
	s_and_b64 vcc, exec, s[4:5]
	v_lshl_add_u64 v[30:31], v[30:31], 3, s[36:37]
	s_cbranch_vccnz .LBB624_239
; %bb.231:
	global_load_dwordx2 v[34:35], v[30:31], off
	global_load_dwordx2 v[36:37], v[32:33], off
	s_mov_b64 s[40:41], -1
	s_waitcnt vmcnt(0)
	v_cmp_eq_u64_e32 vcc, v[34:35], v[36:37]
	s_and_saveexec_b64 s[44:45], vcc
	s_cbranch_execz .LBB624_238
; %bb.232:
	s_add_u32 s40, s26, -1
	v_lshl_add_u64 v[32:33], v[32:33], 0, 8
	v_lshl_add_u64 v[34:35], v[30:31], 0, 8
	s_addc_u32 s41, s27, -1
	s_mov_b64 s[46:47], 0
	s_mov_b64 s[50:51], 0
                                        ; implicit-def: $sgpr48_sgpr49
	s_branch .LBB624_235
.LBB624_233:                            ;   in Loop: Header=BB624_235 Depth=1
	global_load_dwordx2 v[36:37], v[34:35], off
	global_load_dwordx2 v[46:47], v[32:33], off
	s_add_u32 s50, s50, 1
	s_addc_u32 s51, s51, 0
	s_andn2_b64 s[48:49], s[48:49], exec
	v_lshl_add_u64 v[32:33], v[32:33], 0, 8
	v_lshl_add_u64 v[34:35], v[34:35], 0, 8
	s_waitcnt vmcnt(0)
	v_cmp_ne_u64_e32 vcc, v[36:37], v[46:47]
	s_and_b64 s[52:53], vcc, exec
	s_or_b64 s[48:49], s[48:49], s[52:53]
.LBB624_234:                            ;   in Loop: Header=BB624_235 Depth=1
	s_and_b64 s[52:53], exec, s[48:49]
	s_or_b64 s[46:47], s[52:53], s[46:47]
	v_mov_b64_e32 v[36:37], s[50:51]
	s_andn2_b64 exec, exec, s[46:47]
	s_cbranch_execz .LBB624_237
.LBB624_235:                            ; =>This Inner Loop Header: Depth=1
	s_or_b64 s[48:49], s[48:49], exec
	s_cmp_eq_u64 s[40:41], s[50:51]
	s_cbranch_scc0 .LBB624_233
; %bb.236:                              ;   in Loop: Header=BB624_235 Depth=1
                                        ; implicit-def: $vgpr32_vgpr33
                                        ; implicit-def: $vgpr34_vgpr35
	s_mov_b64 s[50:51], s[26:27]
	s_branch .LBB624_234
.LBB624_237:
	s_or_b64 exec, exec, s[46:47]
	v_cmp_gt_i64_e32 vcc, s[26:27], v[36:37]
	s_orn2_b64 s[40:41], vcc, exec
.LBB624_238:
	s_or_b64 exec, exec, s[44:45]
.LBB624_239:
	v_mul_lo_u32 v34, v23, s26
	v_mul_lo_u32 v35, v22, s27
	v_mad_u64_u32 v[32:33], s[44:45], v22, s26, 0
	v_add3_u32 v33, v33, v35, v34
	s_and_b64 vcc, exec, s[4:5]
	s_mov_b64 s[46:47], 0
	s_cbranch_vccnz .LBB624_248
; %bb.240:
	v_lshl_add_u64 v[34:35], v[32:33], 3, s[36:37]
	global_load_dwordx2 v[36:37], v[34:35], off
	global_load_dwordx2 v[46:47], v[30:31], off
	s_mov_b64 s[46:47], -1
	s_waitcnt vmcnt(0)
	v_cmp_eq_u64_e32 vcc, v[36:37], v[46:47]
	s_and_saveexec_b64 s[44:45], vcc
	s_cbranch_execz .LBB624_247
; %bb.241:
	s_add_u32 s46, s26, -1
	v_lshl_add_u64 v[30:31], v[30:31], 0, 8
	v_lshl_add_u64 v[34:35], v[34:35], 0, 8
	s_addc_u32 s47, s27, -1
	s_mov_b64 s[48:49], 0
	s_mov_b64 s[52:53], 0
                                        ; implicit-def: $sgpr50_sgpr51
	s_branch .LBB624_244
.LBB624_242:                            ;   in Loop: Header=BB624_244 Depth=1
	global_load_dwordx2 v[36:37], v[34:35], off
	global_load_dwordx2 v[46:47], v[30:31], off
	s_add_u32 s52, s52, 1
	s_addc_u32 s53, s53, 0
	s_andn2_b64 s[50:51], s[50:51], exec
	v_lshl_add_u64 v[30:31], v[30:31], 0, 8
	v_lshl_add_u64 v[34:35], v[34:35], 0, 8
	s_waitcnt vmcnt(0)
	v_cmp_ne_u64_e32 vcc, v[36:37], v[46:47]
	s_and_b64 s[56:57], vcc, exec
	s_or_b64 s[50:51], s[50:51], s[56:57]
.LBB624_243:                            ;   in Loop: Header=BB624_244 Depth=1
	s_and_b64 s[56:57], exec, s[50:51]
	s_or_b64 s[48:49], s[56:57], s[48:49]
	v_mov_b64_e32 v[36:37], s[52:53]
	s_andn2_b64 exec, exec, s[48:49]
	s_cbranch_execz .LBB624_246
.LBB624_244:                            ; =>This Inner Loop Header: Depth=1
	s_or_b64 s[50:51], s[50:51], exec
	s_cmp_eq_u64 s[46:47], s[52:53]
	s_cbranch_scc0 .LBB624_242
; %bb.245:                              ;   in Loop: Header=BB624_244 Depth=1
                                        ; implicit-def: $vgpr30_vgpr31
                                        ; implicit-def: $vgpr34_vgpr35
	s_mov_b64 s[52:53], s[26:27]
	s_branch .LBB624_243
.LBB624_246:
	s_or_b64 exec, exec, s[48:49]
	v_cmp_gt_i64_e32 vcc, s[26:27], v[36:37]
	s_orn2_b64 s[46:47], vcc, exec
.LBB624_247:
	s_or_b64 exec, exec, s[44:45]
.LBB624_248:
	v_cndmask_b32_e64 v31, 0, 1, s[42:43]
	v_cndmask_b32_e64 v30, 0, 1, s[40:41]
	;; [unrolled: 1-line block ×3, first 2 shown]
	v_lshlrev_b16_e32 v31, 8, v31
	v_cndmask_b32_e64 v39, 0, 1, s[14:15]
	v_cndmask_b32_e64 v34, 0, 1, s[46:47]
	v_or_b32_sdwa v30, v30, v31 dst_sel:WORD_1 dst_unused:UNUSED_PAD src0_sel:DWORD src1_sel:DWORD
	v_lshlrev_b16_e32 v31, 8, v48
	v_lshlrev_b16_e32 v34, 8, v34
	v_or_b32_e32 v31, v39, v31
	v_or_b32_e32 v34, 1, v34
	v_and_b32_e32 v31, 0xffff, v31
	v_cndmask_b32_e64 v49, 0, 1, s[12:13]
	v_or_b32_sdwa v30, v34, v30 dst_sel:DWORD dst_unused:UNUSED_PAD src0_sel:WORD_0 src1_sel:DWORD
	v_lshl_or_b32 v31, v49, 16, v31
	s_waitcnt lgkmcnt(0)
	s_barrier
	s_waitcnt lgkmcnt(0)
                                        ; implicit-def: $sgpr14_sgpr15
                                        ; implicit-def: $vgpr34
	s_and_saveexec_b64 s[12:13], s[2:3]
	s_xor_b64 s[12:13], exec, s[12:13]
	s_cbranch_execz .LBB624_259
; %bb.249:
	s_mov_b32 s44, 0x3020104
	s_and_b64 vcc, exec, s[4:5]
	s_mov_b64 s[14:15], 0
	s_cbranch_vccnz .LBB624_258
; %bb.250:
	v_add_u32_e32 v31, -8, v38
	ds_read_b64 v[34:35], v31
	v_lshl_add_u64 v[32:33], v[32:33], 3, s[36:37]
	s_mov_b64 s[14:15], -1
	s_waitcnt lgkmcnt(0)
	v_mul_lo_u32 v31, v35, s26
	v_mul_lo_u32 v36, v34, s27
	v_mad_u64_u32 v[34:35], s[4:5], v34, s26, 0
	v_add3_u32 v35, v35, v36, v31
	v_lshl_add_u64 v[34:35], v[34:35], 3, s[36:37]
	global_load_dwordx2 v[36:37], v[34:35], off
	global_load_dwordx2 v[46:47], v[32:33], off
	s_waitcnt vmcnt(0)
	v_cmp_eq_u64_e32 vcc, v[36:37], v[46:47]
	s_and_saveexec_b64 s[4:5], vcc
	s_cbranch_execz .LBB624_257
; %bb.251:
	s_add_u32 s14, s26, -1
	v_lshl_add_u64 v[32:33], v[32:33], 0, 8
	v_lshl_add_u64 v[34:35], v[34:35], 0, 8
	s_addc_u32 s15, s27, -1
	s_mov_b64 s[16:17], 0
	s_mov_b64 s[42:43], 0
                                        ; implicit-def: $sgpr40_sgpr41
	s_branch .LBB624_254
.LBB624_252:                            ;   in Loop: Header=BB624_254 Depth=1
	global_load_dwordx2 v[36:37], v[34:35], off
	global_load_dwordx2 v[46:47], v[32:33], off
	s_add_u32 s42, s42, 1
	s_addc_u32 s43, s43, 0
	s_andn2_b64 s[40:41], s[40:41], exec
	v_lshl_add_u64 v[32:33], v[32:33], 0, 8
	v_lshl_add_u64 v[34:35], v[34:35], 0, 8
	s_waitcnt vmcnt(0)
	v_cmp_ne_u64_e32 vcc, v[36:37], v[46:47]
	s_and_b64 s[46:47], vcc, exec
	s_or_b64 s[40:41], s[40:41], s[46:47]
.LBB624_253:                            ;   in Loop: Header=BB624_254 Depth=1
	s_and_b64 s[46:47], exec, s[40:41]
	s_or_b64 s[16:17], s[46:47], s[16:17]
	v_mov_b64_e32 v[36:37], s[42:43]
	s_andn2_b64 exec, exec, s[16:17]
	s_cbranch_execz .LBB624_256
.LBB624_254:                            ; =>This Inner Loop Header: Depth=1
	s_or_b64 s[40:41], s[40:41], exec
	s_cmp_eq_u64 s[14:15], s[42:43]
	s_cbranch_scc0 .LBB624_252
; %bb.255:                              ;   in Loop: Header=BB624_254 Depth=1
                                        ; implicit-def: $vgpr32_vgpr33
                                        ; implicit-def: $vgpr34_vgpr35
	s_mov_b64 s[42:43], s[26:27]
	s_branch .LBB624_253
.LBB624_256:
	s_or_b64 exec, exec, s[16:17]
	v_cmp_gt_i64_e32 vcc, s[26:27], v[36:37]
	s_orn2_b64 s[14:15], vcc, exec
.LBB624_257:
	s_or_b64 exec, exec, s[4:5]
.LBB624_258:
	v_perm_b32 v34, v30, v30, s44
	s_and_b64 s[14:15], s[14:15], exec
	s_or_b64 s[10:11], s[10:11], exec
                                        ; implicit-def: $vgpr30_vgpr31
.LBB624_259:
	s_or_b64 exec, exec, s[12:13]
	s_branch .LBB624_340
.LBB624_260:
	v_cmp_gt_u32_e32 vcc, s54, v42
	s_mov_b64 s[12:13], 0
	s_mov_b64 s[4:5], 0
	s_and_saveexec_b64 s[14:15], vcc
	s_cbranch_execz .LBB624_271
; %bb.261:
	s_andn2_b64 vcc, exec, s[6:7]
	s_mov_b64 s[16:17], 0
	s_cbranch_vccnz .LBB624_270
; %bb.262:
	v_mul_lo_u32 v32, v17, s26
	v_mul_lo_u32 v33, v16, s27
	s_waitcnt vmcnt(0) lgkmcnt(1)
	v_mad_u64_u32 v[30:31], s[4:5], v16, s26, 0
	v_add3_u32 v31, v31, v33, v32
	v_mul_lo_u32 v32, v29, s26
	v_mul_lo_u32 v33, v28, s27
	v_mad_u64_u32 v[34:35], s[4:5], v28, s26, 0
	v_add3_u32 v35, v35, v33, v32
	v_lshl_add_u64 v[32:33], v[30:31], 3, s[36:37]
	v_lshl_add_u64 v[30:31], v[34:35], 3, s[36:37]
	global_load_dwordx2 v[34:35], v[32:33], off
	global_load_dwordx2 v[36:37], v[30:31], off
	s_mov_b64 s[16:17], -1
	s_waitcnt vmcnt(0)
	v_cmp_eq_u64_e32 vcc, v[34:35], v[36:37]
	s_and_saveexec_b64 s[4:5], vcc
	s_cbranch_execz .LBB624_269
; %bb.263:
	s_add_u32 s16, s26, -1
	v_lshl_add_u64 v[30:31], v[30:31], 0, 8
	v_lshl_add_u64 v[32:33], v[32:33], 0, 8
	s_addc_u32 s17, s27, -1
	s_mov_b64 s[40:41], 0
	s_mov_b64 s[44:45], 0
                                        ; implicit-def: $sgpr42_sgpr43
	s_branch .LBB624_266
.LBB624_264:                            ;   in Loop: Header=BB624_266 Depth=1
	global_load_dwordx2 v[34:35], v[32:33], off
	global_load_dwordx2 v[36:37], v[30:31], off
	s_add_u32 s44, s44, 1
	s_addc_u32 s45, s45, 0
	s_andn2_b64 s[42:43], s[42:43], exec
	v_lshl_add_u64 v[30:31], v[30:31], 0, 8
	v_lshl_add_u64 v[32:33], v[32:33], 0, 8
	s_waitcnt vmcnt(0)
	v_cmp_ne_u64_e32 vcc, v[34:35], v[36:37]
	s_and_b64 s[46:47], vcc, exec
	s_or_b64 s[42:43], s[42:43], s[46:47]
.LBB624_265:                            ;   in Loop: Header=BB624_266 Depth=1
	s_and_b64 s[46:47], exec, s[42:43]
	s_or_b64 s[40:41], s[46:47], s[40:41]
	v_mov_b64_e32 v[34:35], s[44:45]
	s_andn2_b64 exec, exec, s[40:41]
	s_cbranch_execz .LBB624_268
.LBB624_266:                            ; =>This Inner Loop Header: Depth=1
	s_or_b64 s[42:43], s[42:43], exec
	s_cmp_eq_u64 s[16:17], s[44:45]
	s_cbranch_scc0 .LBB624_264
; %bb.267:                              ;   in Loop: Header=BB624_266 Depth=1
                                        ; implicit-def: $vgpr30_vgpr31
                                        ; implicit-def: $vgpr32_vgpr33
	s_mov_b64 s[44:45], s[26:27]
	s_branch .LBB624_265
.LBB624_268:
	s_or_b64 exec, exec, s[40:41]
	v_cmp_gt_i64_e32 vcc, s[26:27], v[34:35]
	s_orn2_b64 s[16:17], vcc, exec
.LBB624_269:
	s_or_b64 exec, exec, s[4:5]
.LBB624_270:
	s_and_b64 s[4:5], s[16:17], exec
.LBB624_271:
	s_or_b64 exec, exec, s[14:15]
	v_cmp_gt_u32_e32 vcc, s54, v45
	s_and_saveexec_b64 s[14:15], vcc
	s_cbranch_execz .LBB624_282
; %bb.272:
	s_andn2_b64 vcc, exec, s[6:7]
	s_mov_b64 s[16:17], 0
	s_cbranch_vccnz .LBB624_281
; %bb.273:
	v_mul_lo_u32 v32, v15, s26
	v_mul_lo_u32 v33, v14, s27
	s_waitcnt vmcnt(0) lgkmcnt(1)
	v_mad_u64_u32 v[30:31], s[12:13], v14, s26, 0
	v_add3_u32 v31, v31, v33, v32
	v_mul_lo_u32 v32, v17, s26
	v_mul_lo_u32 v33, v16, s27
	v_mad_u64_u32 v[34:35], s[12:13], v16, s26, 0
	v_add3_u32 v35, v35, v33, v32
	v_lshl_add_u64 v[32:33], v[30:31], 3, s[36:37]
	v_lshl_add_u64 v[30:31], v[34:35], 3, s[36:37]
	global_load_dwordx2 v[34:35], v[32:33], off
	global_load_dwordx2 v[36:37], v[30:31], off
	s_mov_b64 s[16:17], -1
	s_waitcnt vmcnt(0)
	v_cmp_eq_u64_e32 vcc, v[34:35], v[36:37]
	s_and_saveexec_b64 s[12:13], vcc
	s_cbranch_execz .LBB624_280
; %bb.274:
	s_add_u32 s16, s26, -1
	v_lshl_add_u64 v[30:31], v[30:31], 0, 8
	v_lshl_add_u64 v[32:33], v[32:33], 0, 8
	s_addc_u32 s17, s27, -1
	s_mov_b64 s[40:41], 0
	s_mov_b64 s[44:45], 0
                                        ; implicit-def: $sgpr42_sgpr43
	s_branch .LBB624_277
.LBB624_275:                            ;   in Loop: Header=BB624_277 Depth=1
	global_load_dwordx2 v[34:35], v[32:33], off
	global_load_dwordx2 v[36:37], v[30:31], off
	s_add_u32 s44, s44, 1
	s_addc_u32 s45, s45, 0
	s_andn2_b64 s[42:43], s[42:43], exec
	v_lshl_add_u64 v[30:31], v[30:31], 0, 8
	v_lshl_add_u64 v[32:33], v[32:33], 0, 8
	s_waitcnt vmcnt(0)
	v_cmp_ne_u64_e32 vcc, v[34:35], v[36:37]
	s_and_b64 s[46:47], vcc, exec
	s_or_b64 s[42:43], s[42:43], s[46:47]
.LBB624_276:                            ;   in Loop: Header=BB624_277 Depth=1
	s_and_b64 s[46:47], exec, s[42:43]
	s_or_b64 s[40:41], s[46:47], s[40:41]
	v_mov_b64_e32 v[34:35], s[44:45]
	s_andn2_b64 exec, exec, s[40:41]
	s_cbranch_execz .LBB624_279
.LBB624_277:                            ; =>This Inner Loop Header: Depth=1
	s_or_b64 s[42:43], s[42:43], exec
	s_cmp_eq_u64 s[16:17], s[44:45]
	s_cbranch_scc0 .LBB624_275
; %bb.278:                              ;   in Loop: Header=BB624_277 Depth=1
                                        ; implicit-def: $vgpr30_vgpr31
                                        ; implicit-def: $vgpr32_vgpr33
	s_mov_b64 s[44:45], s[26:27]
	s_branch .LBB624_276
.LBB624_279:
	s_or_b64 exec, exec, s[40:41]
	v_cmp_gt_i64_e32 vcc, s[26:27], v[34:35]
	s_orn2_b64 s[16:17], vcc, exec
.LBB624_280:
	s_or_b64 exec, exec, s[12:13]
.LBB624_281:
	s_and_b64 s[12:13], s[16:17], exec
.LBB624_282:
	s_or_b64 exec, exec, s[14:15]
	v_cmp_gt_u32_e32 vcc, s54, v41
	s_mov_b64 s[16:17], 0
	s_mov_b64 s[14:15], 0
	s_and_saveexec_b64 s[40:41], vcc
	s_cbranch_execz .LBB624_293
; %bb.283:
	s_andn2_b64 vcc, exec, s[6:7]
	s_mov_b64 s[42:43], 0
	s_cbranch_vccnz .LBB624_292
; %bb.284:
	v_mul_lo_u32 v32, v21, s26
	v_mul_lo_u32 v33, v20, s27
	s_waitcnt vmcnt(0) lgkmcnt(1)
	v_mad_u64_u32 v[30:31], s[14:15], v20, s26, 0
	v_add3_u32 v31, v31, v33, v32
	v_mul_lo_u32 v32, v15, s26
	v_mul_lo_u32 v33, v14, s27
	v_mad_u64_u32 v[34:35], s[14:15], v14, s26, 0
	v_add3_u32 v35, v35, v33, v32
	v_lshl_add_u64 v[32:33], v[30:31], 3, s[36:37]
	v_lshl_add_u64 v[30:31], v[34:35], 3, s[36:37]
	global_load_dwordx2 v[34:35], v[32:33], off
	global_load_dwordx2 v[36:37], v[30:31], off
	s_mov_b64 s[42:43], -1
	s_waitcnt vmcnt(0)
	v_cmp_eq_u64_e32 vcc, v[34:35], v[36:37]
	s_and_saveexec_b64 s[14:15], vcc
	s_cbranch_execz .LBB624_291
; %bb.285:
	s_add_u32 s42, s26, -1
	v_lshl_add_u64 v[30:31], v[30:31], 0, 8
	v_lshl_add_u64 v[32:33], v[32:33], 0, 8
	s_addc_u32 s43, s27, -1
	s_mov_b64 s[44:45], 0
	s_mov_b64 s[48:49], 0
                                        ; implicit-def: $sgpr46_sgpr47
	s_branch .LBB624_288
.LBB624_286:                            ;   in Loop: Header=BB624_288 Depth=1
	global_load_dwordx2 v[34:35], v[32:33], off
	global_load_dwordx2 v[36:37], v[30:31], off
	s_add_u32 s48, s48, 1
	s_addc_u32 s49, s49, 0
	s_andn2_b64 s[46:47], s[46:47], exec
	v_lshl_add_u64 v[30:31], v[30:31], 0, 8
	v_lshl_add_u64 v[32:33], v[32:33], 0, 8
	s_waitcnt vmcnt(0)
	v_cmp_ne_u64_e32 vcc, v[34:35], v[36:37]
	s_and_b64 s[50:51], vcc, exec
	s_or_b64 s[46:47], s[46:47], s[50:51]
.LBB624_287:                            ;   in Loop: Header=BB624_288 Depth=1
	s_and_b64 s[50:51], exec, s[46:47]
	s_or_b64 s[44:45], s[50:51], s[44:45]
	v_mov_b64_e32 v[34:35], s[48:49]
	s_andn2_b64 exec, exec, s[44:45]
	s_cbranch_execz .LBB624_290
.LBB624_288:                            ; =>This Inner Loop Header: Depth=1
	s_or_b64 s[46:47], s[46:47], exec
	s_cmp_eq_u64 s[42:43], s[48:49]
	s_cbranch_scc0 .LBB624_286
; %bb.289:                              ;   in Loop: Header=BB624_288 Depth=1
                                        ; implicit-def: $vgpr30_vgpr31
                                        ; implicit-def: $vgpr32_vgpr33
	s_mov_b64 s[48:49], s[26:27]
	s_branch .LBB624_287
.LBB624_290:
	s_or_b64 exec, exec, s[44:45]
	v_cmp_gt_i64_e32 vcc, s[26:27], v[34:35]
	s_orn2_b64 s[42:43], vcc, exec
.LBB624_291:
	s_or_b64 exec, exec, s[14:15]
.LBB624_292:
	s_and_b64 s[14:15], s[42:43], exec
.LBB624_293:
	s_or_b64 exec, exec, s[40:41]
	v_cmp_gt_u32_e32 vcc, s54, v44
	s_and_saveexec_b64 s[40:41], vcc
	s_cbranch_execz .LBB624_304
; %bb.294:
	s_andn2_b64 vcc, exec, s[6:7]
	s_mov_b64 s[42:43], 0
	s_cbranch_vccnz .LBB624_303
; %bb.295:
	v_mul_lo_u32 v32, v19, s26
	v_mul_lo_u32 v33, v18, s27
	s_waitcnt vmcnt(0) lgkmcnt(1)
	v_mad_u64_u32 v[30:31], s[16:17], v18, s26, 0
	v_add3_u32 v31, v31, v33, v32
	v_mul_lo_u32 v32, v21, s26
	v_mul_lo_u32 v33, v20, s27
	v_mad_u64_u32 v[34:35], s[16:17], v20, s26, 0
	v_add3_u32 v35, v35, v33, v32
	v_lshl_add_u64 v[32:33], v[30:31], 3, s[36:37]
	v_lshl_add_u64 v[30:31], v[34:35], 3, s[36:37]
	global_load_dwordx2 v[34:35], v[32:33], off
	global_load_dwordx2 v[36:37], v[30:31], off
	s_mov_b64 s[42:43], -1
	s_waitcnt vmcnt(0)
	v_cmp_eq_u64_e32 vcc, v[34:35], v[36:37]
	s_and_saveexec_b64 s[16:17], vcc
	s_cbranch_execz .LBB624_302
; %bb.296:
	s_add_u32 s42, s26, -1
	v_lshl_add_u64 v[30:31], v[30:31], 0, 8
	v_lshl_add_u64 v[32:33], v[32:33], 0, 8
	s_addc_u32 s43, s27, -1
	s_mov_b64 s[44:45], 0
	s_mov_b64 s[48:49], 0
                                        ; implicit-def: $sgpr46_sgpr47
	s_branch .LBB624_299
.LBB624_297:                            ;   in Loop: Header=BB624_299 Depth=1
	global_load_dwordx2 v[34:35], v[32:33], off
	global_load_dwordx2 v[36:37], v[30:31], off
	s_add_u32 s48, s48, 1
	s_addc_u32 s49, s49, 0
	s_andn2_b64 s[46:47], s[46:47], exec
	v_lshl_add_u64 v[30:31], v[30:31], 0, 8
	v_lshl_add_u64 v[32:33], v[32:33], 0, 8
	s_waitcnt vmcnt(0)
	v_cmp_ne_u64_e32 vcc, v[34:35], v[36:37]
	s_and_b64 s[50:51], vcc, exec
	s_or_b64 s[46:47], s[46:47], s[50:51]
.LBB624_298:                            ;   in Loop: Header=BB624_299 Depth=1
	s_and_b64 s[50:51], exec, s[46:47]
	s_or_b64 s[44:45], s[50:51], s[44:45]
	v_mov_b64_e32 v[34:35], s[48:49]
	s_andn2_b64 exec, exec, s[44:45]
	s_cbranch_execz .LBB624_301
.LBB624_299:                            ; =>This Inner Loop Header: Depth=1
	s_or_b64 s[46:47], s[46:47], exec
	s_cmp_eq_u64 s[42:43], s[48:49]
	s_cbranch_scc0 .LBB624_297
; %bb.300:                              ;   in Loop: Header=BB624_299 Depth=1
                                        ; implicit-def: $vgpr30_vgpr31
                                        ; implicit-def: $vgpr32_vgpr33
	s_mov_b64 s[48:49], s[26:27]
	s_branch .LBB624_298
.LBB624_301:
	s_or_b64 exec, exec, s[44:45]
	v_cmp_gt_i64_e32 vcc, s[26:27], v[34:35]
	s_orn2_b64 s[42:43], vcc, exec
.LBB624_302:
	s_or_b64 exec, exec, s[16:17]
.LBB624_303:
	s_and_b64 s[16:17], s[42:43], exec
.LBB624_304:
	s_or_b64 exec, exec, s[40:41]
	v_cmp_gt_u32_e32 vcc, s54, v40
	s_mov_b64 s[40:41], 0
	s_mov_b64 s[42:43], 0
	s_and_saveexec_b64 s[44:45], vcc
	s_cbranch_execz .LBB624_315
; %bb.305:
	s_andn2_b64 vcc, exec, s[6:7]
	s_mov_b64 s[46:47], 0
	s_cbranch_vccnz .LBB624_314
; %bb.306:
	v_mul_lo_u32 v32, v25, s26
	v_mul_lo_u32 v33, v24, s27
	s_waitcnt vmcnt(0) lgkmcnt(1)
	v_mad_u64_u32 v[30:31], s[42:43], v24, s26, 0
	v_add3_u32 v31, v31, v33, v32
	v_mul_lo_u32 v32, v19, s26
	v_mul_lo_u32 v33, v18, s27
	v_mad_u64_u32 v[34:35], s[42:43], v18, s26, 0
	v_add3_u32 v35, v35, v33, v32
	v_lshl_add_u64 v[32:33], v[30:31], 3, s[36:37]
	v_lshl_add_u64 v[30:31], v[34:35], 3, s[36:37]
	global_load_dwordx2 v[34:35], v[32:33], off
	global_load_dwordx2 v[36:37], v[30:31], off
	s_mov_b64 s[46:47], -1
	s_waitcnt vmcnt(0)
	v_cmp_eq_u64_e32 vcc, v[34:35], v[36:37]
	s_and_saveexec_b64 s[42:43], vcc
	s_cbranch_execz .LBB624_313
; %bb.307:
	s_add_u32 s46, s26, -1
	v_lshl_add_u64 v[30:31], v[30:31], 0, 8
	v_lshl_add_u64 v[32:33], v[32:33], 0, 8
	s_addc_u32 s47, s27, -1
	s_mov_b64 s[48:49], 0
	s_mov_b64 s[52:53], 0
                                        ; implicit-def: $sgpr50_sgpr51
	s_branch .LBB624_310
.LBB624_308:                            ;   in Loop: Header=BB624_310 Depth=1
	global_load_dwordx2 v[34:35], v[32:33], off
	global_load_dwordx2 v[36:37], v[30:31], off
	s_add_u32 s52, s52, 1
	s_addc_u32 s53, s53, 0
	s_andn2_b64 s[50:51], s[50:51], exec
	v_lshl_add_u64 v[30:31], v[30:31], 0, 8
	v_lshl_add_u64 v[32:33], v[32:33], 0, 8
	s_waitcnt vmcnt(0)
	v_cmp_ne_u64_e32 vcc, v[34:35], v[36:37]
	s_and_b64 s[56:57], vcc, exec
	s_or_b64 s[50:51], s[50:51], s[56:57]
.LBB624_309:                            ;   in Loop: Header=BB624_310 Depth=1
	s_and_b64 s[56:57], exec, s[50:51]
	s_or_b64 s[48:49], s[56:57], s[48:49]
	v_mov_b64_e32 v[34:35], s[52:53]
	s_andn2_b64 exec, exec, s[48:49]
	s_cbranch_execz .LBB624_312
.LBB624_310:                            ; =>This Inner Loop Header: Depth=1
	s_or_b64 s[50:51], s[50:51], exec
	s_cmp_eq_u64 s[46:47], s[52:53]
	s_cbranch_scc0 .LBB624_308
; %bb.311:                              ;   in Loop: Header=BB624_310 Depth=1
                                        ; implicit-def: $vgpr30_vgpr31
                                        ; implicit-def: $vgpr32_vgpr33
	s_mov_b64 s[52:53], s[26:27]
	s_branch .LBB624_309
.LBB624_312:
	s_or_b64 exec, exec, s[48:49]
	v_cmp_gt_i64_e32 vcc, s[26:27], v[34:35]
	s_orn2_b64 s[46:47], vcc, exec
.LBB624_313:
	s_or_b64 exec, exec, s[42:43]
.LBB624_314:
	s_and_b64 s[42:43], s[46:47], exec
.LBB624_315:
	s_or_b64 exec, exec, s[44:45]
	v_cmp_gt_u32_e32 vcc, s54, v43
	s_and_saveexec_b64 s[44:45], vcc
	s_cbranch_execz .LBB624_326
; %bb.316:
	s_andn2_b64 vcc, exec, s[6:7]
	s_mov_b64 s[46:47], 0
	s_cbranch_vccnz .LBB624_325
; %bb.317:
	v_mul_lo_u32 v32, v23, s26
	v_mul_lo_u32 v33, v22, s27
	s_waitcnt vmcnt(0) lgkmcnt(1)
	v_mad_u64_u32 v[30:31], s[40:41], v22, s26, 0
	v_add3_u32 v31, v31, v33, v32
	v_mul_lo_u32 v32, v25, s26
	v_mul_lo_u32 v33, v24, s27
	v_mad_u64_u32 v[34:35], s[40:41], v24, s26, 0
	v_add3_u32 v35, v35, v33, v32
	v_lshl_add_u64 v[32:33], v[30:31], 3, s[36:37]
	v_lshl_add_u64 v[30:31], v[34:35], 3, s[36:37]
	global_load_dwordx2 v[34:35], v[32:33], off
	global_load_dwordx2 v[36:37], v[30:31], off
	s_mov_b64 s[46:47], -1
	s_waitcnt vmcnt(0)
	v_cmp_eq_u64_e32 vcc, v[34:35], v[36:37]
	s_and_saveexec_b64 s[40:41], vcc
	s_cbranch_execz .LBB624_324
; %bb.318:
	s_add_u32 s46, s26, -1
	v_lshl_add_u64 v[30:31], v[30:31], 0, 8
	v_lshl_add_u64 v[32:33], v[32:33], 0, 8
	s_addc_u32 s47, s27, -1
	s_mov_b64 s[48:49], 0
	s_mov_b64 s[52:53], 0
                                        ; implicit-def: $sgpr50_sgpr51
	s_branch .LBB624_321
.LBB624_319:                            ;   in Loop: Header=BB624_321 Depth=1
	global_load_dwordx2 v[34:35], v[32:33], off
	global_load_dwordx2 v[36:37], v[30:31], off
	s_add_u32 s52, s52, 1
	s_addc_u32 s53, s53, 0
	s_andn2_b64 s[50:51], s[50:51], exec
	v_lshl_add_u64 v[30:31], v[30:31], 0, 8
	v_lshl_add_u64 v[32:33], v[32:33], 0, 8
	s_waitcnt vmcnt(0)
	v_cmp_ne_u64_e32 vcc, v[34:35], v[36:37]
	s_and_b64 s[56:57], vcc, exec
	s_or_b64 s[50:51], s[50:51], s[56:57]
.LBB624_320:                            ;   in Loop: Header=BB624_321 Depth=1
	s_and_b64 s[56:57], exec, s[50:51]
	s_or_b64 s[48:49], s[56:57], s[48:49]
	v_mov_b64_e32 v[34:35], s[52:53]
	s_andn2_b64 exec, exec, s[48:49]
	s_cbranch_execz .LBB624_323
.LBB624_321:                            ; =>This Inner Loop Header: Depth=1
	s_or_b64 s[50:51], s[50:51], exec
	s_cmp_eq_u64 s[46:47], s[52:53]
	s_cbranch_scc0 .LBB624_319
; %bb.322:                              ;   in Loop: Header=BB624_321 Depth=1
                                        ; implicit-def: $vgpr30_vgpr31
                                        ; implicit-def: $vgpr32_vgpr33
	s_mov_b64 s[52:53], s[26:27]
	s_branch .LBB624_320
.LBB624_323:
	s_or_b64 exec, exec, s[48:49]
	v_cmp_gt_i64_e32 vcc, s[26:27], v[34:35]
	s_orn2_b64 s[46:47], vcc, exec
.LBB624_324:
	s_or_b64 exec, exec, s[40:41]
.LBB624_325:
	s_and_b64 s[40:41], s[46:47], exec
.LBB624_326:
	s_or_b64 exec, exec, s[44:45]
	s_waitcnt vmcnt(0) lgkmcnt(1)
	v_cndmask_b32_e64 v31, 0, 1, s[16:17]
	v_cndmask_b32_e64 v30, 0, 1, s[42:43]
	;; [unrolled: 1-line block ×3, first 2 shown]
	v_lshlrev_b16_e32 v31, 8, v31
	v_cndmask_b32_e64 v39, 0, 1, s[14:15]
	v_cndmask_b32_e64 v32, 0, 1, s[40:41]
	v_or_b32_sdwa v30, v30, v31 dst_sel:WORD_1 dst_unused:UNUSED_PAD src0_sel:DWORD src1_sel:DWORD
	v_lshlrev_b16_e32 v31, 8, v48
	v_lshlrev_b16_e32 v32, 8, v32
	v_or_b32_e32 v31, v39, v31
	v_or_b32_e32 v32, 1, v32
	v_and_b32_e32 v31, 0xffff, v31
	v_cndmask_b32_e64 v49, 0, 1, s[4:5]
	v_or_b32_sdwa v30, v32, v30 dst_sel:DWORD dst_unused:UNUSED_PAD src0_sel:WORD_0 src1_sel:DWORD
	v_lshl_or_b32 v31, v49, 16, v31
	s_waitcnt lgkmcnt(0)
	s_barrier
	s_waitcnt lgkmcnt(0)
                                        ; implicit-def: $sgpr14_sgpr15
                                        ; implicit-def: $vgpr34
	s_and_saveexec_b64 s[4:5], s[2:3]
	s_cbranch_execz .LBB624_339
; %bb.327:
	v_cmp_gt_u32_e32 vcc, s54, v1
	s_mov_b32 s40, 0x3020104
	s_mov_b64 s[12:13], 0
	s_and_saveexec_b64 s[2:3], vcc
	s_cbranch_execz .LBB624_338
; %bb.328:
	s_andn2_b64 vcc, exec, s[6:7]
	s_cbranch_vccnz .LBB624_337
; %bb.329:
	v_add_u32_e32 v31, -8, v38
	ds_read_b64 v[32:33], v31
	v_mul_lo_u32 v31, v23, s26
	v_mad_u64_u32 v[36:37], s[6:7], v22, s26, 0
	s_mov_b64 s[12:13], -1
	s_waitcnt lgkmcnt(0)
	v_mul_lo_u32 v34, v33, s26
	v_mul_lo_u32 v35, v32, s27
	v_mad_u64_u32 v[32:33], s[6:7], v32, s26, 0
	v_add3_u32 v33, v33, v35, v34
	v_mul_lo_u32 v34, v22, s27
	v_add3_u32 v37, v37, v34, v31
	v_lshl_add_u64 v[34:35], v[32:33], 3, s[36:37]
	v_lshl_add_u64 v[32:33], v[36:37], 3, s[36:37]
	global_load_dwordx2 v[36:37], v[34:35], off
	global_load_dwordx2 v[46:47], v[32:33], off
	s_waitcnt vmcnt(0)
	v_cmp_eq_u64_e32 vcc, v[36:37], v[46:47]
	s_and_saveexec_b64 s[6:7], vcc
	s_cbranch_execz .LBB624_336
; %bb.330:
	s_add_u32 s12, s26, -1
	v_lshl_add_u64 v[32:33], v[32:33], 0, 8
	v_lshl_add_u64 v[34:35], v[34:35], 0, 8
	s_addc_u32 s13, s27, -1
	s_mov_b64 s[14:15], 0
	s_mov_b64 s[36:37], 0
                                        ; implicit-def: $sgpr16_sgpr17
	s_branch .LBB624_333
.LBB624_331:                            ;   in Loop: Header=BB624_333 Depth=1
	global_load_dwordx2 v[36:37], v[34:35], off
	global_load_dwordx2 v[46:47], v[32:33], off
	s_add_u32 s36, s36, 1
	s_addc_u32 s37, s37, 0
	s_andn2_b64 s[16:17], s[16:17], exec
	v_lshl_add_u64 v[32:33], v[32:33], 0, 8
	v_lshl_add_u64 v[34:35], v[34:35], 0, 8
	s_waitcnt vmcnt(0)
	v_cmp_ne_u64_e32 vcc, v[36:37], v[46:47]
	s_and_b64 s[42:43], vcc, exec
	s_or_b64 s[16:17], s[16:17], s[42:43]
.LBB624_332:                            ;   in Loop: Header=BB624_333 Depth=1
	s_and_b64 s[42:43], exec, s[16:17]
	s_or_b64 s[14:15], s[42:43], s[14:15]
	v_mov_b64_e32 v[36:37], s[36:37]
	s_andn2_b64 exec, exec, s[14:15]
	s_cbranch_execz .LBB624_335
.LBB624_333:                            ; =>This Inner Loop Header: Depth=1
	s_or_b64 s[16:17], s[16:17], exec
	s_cmp_eq_u64 s[12:13], s[36:37]
	s_cbranch_scc0 .LBB624_331
; %bb.334:                              ;   in Loop: Header=BB624_333 Depth=1
                                        ; implicit-def: $vgpr32_vgpr33
                                        ; implicit-def: $vgpr34_vgpr35
	s_mov_b64 s[36:37], s[26:27]
	s_branch .LBB624_332
.LBB624_335:
	s_or_b64 exec, exec, s[14:15]
	v_cmp_gt_i64_e32 vcc, s[26:27], v[36:37]
	s_orn2_b64 s[12:13], vcc, exec
.LBB624_336:
	s_or_b64 exec, exec, s[6:7]
.LBB624_337:
	s_and_b64 s[12:13], s[12:13], exec
.LBB624_338:
	s_or_b64 exec, exec, s[2:3]
	v_perm_b32 v34, v30, v30, s40
	s_and_b64 s[14:15], s[12:13], exec
	s_or_b64 s[10:11], s[10:11], exec
                                        ; implicit-def: $vgpr30_vgpr31
.LBB624_339:
	s_or_b64 exec, exec, s[4:5]
.LBB624_340:
	s_and_saveexec_b64 s[2:3], s[10:11]
	s_cbranch_execz .LBB624_342
; %bb.341:
	s_waitcnt vmcnt(0) lgkmcnt(0)
	v_lshlrev_b16_e32 v31, 8, v48
	v_and_b32_e32 v32, 0xff, v49
	v_or_b32_sdwa v31, v39, v31 dst_sel:DWORD dst_unused:UNUSED_PAD src0_sel:BYTE_0 src1_sel:DWORD
	v_lshlrev_b32_e32 v32, 16, v32
	s_movk_i32 s4, 0xff
	v_or_b32_sdwa v31, v31, v32 dst_sel:DWORD dst_unused:UNUSED_PAD src0_sel:WORD_0 src1_sel:DWORD
	v_lshrrev_b32_e32 v32, 24, v34
	v_lshlrev_b16_e32 v32, 8, v32
	v_and_b32_sdwa v33, v34, s4 dst_sel:DWORD dst_unused:UNUSED_PAD src0_sel:WORD_1 src1_sel:DWORD
	v_or_b32_sdwa v32, v33, v32 dst_sel:WORD_1 dst_unused:UNUSED_PAD src0_sel:DWORD src1_sel:DWORD
	v_mov_b32_e32 v33, 8
	v_cndmask_b32_e64 v30, 0, 1, s[14:15]
	v_lshrrev_b32_sdwa v33, v33, v34 dst_sel:BYTE_1 dst_unused:UNUSED_PAD src0_sel:DWORD src1_sel:DWORD
	s_nop 0
	v_or_b32_e32 v30, v30, v33
	v_or_b32_sdwa v30, v30, v32 dst_sel:DWORD dst_unused:UNUSED_PAD src0_sel:WORD_0 src1_sel:DWORD
.LBB624_342:
	s_or_b64 exec, exec, s[2:3]
	s_andn2_b64 vcc, exec, s[8:9]
	s_cbranch_vccnz .LBB624_344
; %bb.343:
	s_waitcnt vmcnt(0) lgkmcnt(0)
	v_and_b32_e32 v32, 0xffff0000, v30
	v_cmp_gt_u32_e32 vcc, s54, v1
	s_mov_b32 s2, 0x40c0100
	s_nop 0
	v_cndmask_b32_e32 v1, v32, v30, vcc
	v_and_b32_e32 v1, 0xffff00ff, v1
	v_cmp_gt_u32_e32 vcc, s54, v43
	s_nop 1
	v_cndmask_b32_e32 v1, v1, v30, vcc
	v_lshrrev_b32_e32 v32, 24, v1
	v_perm_b32 v1, v32, v1, s2
	v_cmp_gt_u32_e32 vcc, s54, v40
	v_and_b32_e32 v32, 0xffffff00, v31
	s_nop 0
	v_cndmask_b32_e32 v1, v1, v30, vcc
	v_and_b32_e32 v1, 0xffffff, v1
	v_cmp_gt_u32_e32 vcc, s54, v44
	s_nop 1
	v_cndmask_b32_e32 v1, v1, v30, vcc
	v_cmp_gt_u32_e32 vcc, s54, v41
	s_nop 1
	v_cndmask_b32_e32 v32, v32, v31, vcc
	v_and_b32_e32 v32, 0xffff00ff, v32
	v_cndmask_b32_e32 v1, v1, v30, vcc
	v_cmp_gt_u32_e32 vcc, s54, v45
	s_nop 1
	v_cndmask_b32_e32 v32, v32, v31, vcc
	v_lshrrev_b32_e32 v33, 24, v32
	v_cndmask_b32_e32 v1, v1, v30, vcc
	v_perm_b32 v32, v33, v32, s2
	v_cmp_gt_u32_e32 vcc, s54, v42
	s_mov_b32 s2, 0x3020104
	s_nop 0
	v_cndmask_b32_e32 v1, v1, v30, vcc
	v_cndmask_b32_e32 v30, v32, v31, vcc
	v_mov_b32_e32 v31, 8
	v_lshrrev_b32_sdwa v31, v31, v30 dst_sel:BYTE_1 dst_unused:UNUSED_PAD src0_sel:DWORD src1_sel:DWORD
	s_nop 0
	v_or_b32_sdwa v31, v30, v31 dst_sel:DWORD dst_unused:UNUSED_PAD src0_sel:BYTE_0 src1_sel:DWORD
	v_and_b32_e32 v31, 0xffff, v31
	v_bfe_u32 v30, v30, 16, 8
	v_lshl_or_b32 v31, v30, 16, v31
	v_perm_b32 v30, v1, v1, s2
.LBB624_344:
	s_waitcnt vmcnt(0) lgkmcnt(0)
	v_and_b32_e32 v1, 0xff, v30
	v_bfe_u32 v43, v30, 8, 8
	v_bfe_u32 v45, v30, 16, 8
	v_alignbit_b32 v32, v31, v30, 24
	v_and_b32_e32 v47, 0xff, v32
	v_and_b32_e32 v48, 0xff, v31
	v_add3_u32 v33, v43, v1, v45
	v_bfe_u32 v49, v31, 8, 8
	v_bfe_u32 v32, v31, 16, 8
	v_add3_u32 v33, v33, v47, v48
	v_add3_u32 v52, v33, v49, v32
	v_mbcnt_lo_u32_b32 v32, -1, 0
	v_mbcnt_hi_u32_b32 v50, -1, v32
	v_and_b32_e32 v32, 15, v50
	v_cmp_eq_u32_e64 s[14:15], 0, v32
	v_cmp_lt_u32_e64 s[12:13], 1, v32
	v_cmp_lt_u32_e64 s[10:11], 3, v32
	;; [unrolled: 1-line block ×3, first 2 shown]
	v_and_b32_e32 v32, 16, v50
	v_cmp_eq_u32_e64 s[6:7], 0, v32
	v_or_b32_e32 v32, 63, v0
	v_cmp_lt_u32_e64 s[2:3], 31, v50
	v_lshrrev_b32_e32 v51, 6, v0
	v_cmp_eq_u32_e64 s[4:5], v32, v0
	s_and_b64 vcc, exec, s[0:1]
	s_barrier
	s_cbranch_vccz .LBB624_371
; %bb.345:
	v_mov_b32_dpp v32, v52 row_shr:1 row_mask:0xf bank_mask:0xf
	v_cndmask_b32_e64 v32, v32, 0, s[14:15]
	v_add_u32_e32 v32, v32, v52
	s_nop 1
	v_mov_b32_dpp v33, v32 row_shr:2 row_mask:0xf bank_mask:0xf
	v_cndmask_b32_e64 v33, 0, v33, s[12:13]
	v_add_u32_e32 v32, v32, v33
	s_nop 1
	;; [unrolled: 4-line block ×4, first 2 shown]
	v_mov_b32_dpp v33, v32 row_bcast:15 row_mask:0xf bank_mask:0xf
	v_cndmask_b32_e64 v33, v33, 0, s[6:7]
	v_add_u32_e32 v32, v32, v33
	s_nop 1
	v_mov_b32_dpp v33, v32 row_bcast:31 row_mask:0xf bank_mask:0xf
	v_cndmask_b32_e64 v33, 0, v33, s[2:3]
	v_add_u32_e32 v32, v32, v33
	s_and_saveexec_b64 s[0:1], s[4:5]
	s_cbranch_execz .LBB624_347
; %bb.346:
	v_lshlrev_b32_e32 v33, 2, v51
	ds_write_b32 v33, v32
.LBB624_347:
	s_or_b64 exec, exec, s[0:1]
	v_cmp_gt_u32_e32 vcc, 8, v0
	s_waitcnt lgkmcnt(0)
	s_barrier
	s_and_saveexec_b64 s[0:1], vcc
	s_cbranch_execz .LBB624_349
; %bb.348:
	v_lshlrev_b32_e32 v33, 2, v0
	ds_read_b32 v34, v33
	v_and_b32_e32 v35, 7, v50
	v_cmp_ne_u32_e32 vcc, 0, v35
	s_waitcnt lgkmcnt(0)
	v_mov_b32_dpp v36, v34 row_shr:1 row_mask:0xf bank_mask:0xf
	v_cndmask_b32_e32 v36, 0, v36, vcc
	v_add_u32_e32 v34, v36, v34
	v_cmp_lt_u32_e32 vcc, 1, v35
	s_nop 0
	v_mov_b32_dpp v36, v34 row_shr:2 row_mask:0xf bank_mask:0xf
	v_cndmask_b32_e32 v36, 0, v36, vcc
	v_add_u32_e32 v34, v34, v36
	v_cmp_lt_u32_e32 vcc, 3, v35
	s_nop 0
	v_mov_b32_dpp v36, v34 row_shr:4 row_mask:0xf bank_mask:0xf
	v_cndmask_b32_e32 v35, 0, v36, vcc
	v_add_u32_e32 v34, v34, v35
	ds_write_b32 v33, v34
.LBB624_349:
	s_or_b64 exec, exec, s[0:1]
	v_cmp_gt_u32_e32 vcc, 64, v0
	v_cmp_lt_u32_e64 s[0:1], 63, v0
	s_waitcnt lgkmcnt(0)
	s_barrier
	s_waitcnt lgkmcnt(0)
                                        ; implicit-def: $vgpr42
	s_and_saveexec_b64 s[16:17], s[0:1]
	s_cbranch_execz .LBB624_351
; %bb.350:
	v_lshl_add_u32 v33, v51, 2, -4
	ds_read_b32 v42, v33
	s_waitcnt lgkmcnt(0)
	v_add_u32_e32 v32, v42, v32
.LBB624_351:
	s_or_b64 exec, exec, s[16:17]
	v_add_u32_e32 v33, -1, v50
	v_and_b32_e32 v34, 64, v50
	v_cmp_lt_i32_e64 s[0:1], v33, v34
	v_cmp_eq_u32_e64 s[16:17], 0, v50
	s_nop 0
	v_cndmask_b32_e64 v33, v33, v50, s[0:1]
	v_lshlrev_b32_e32 v33, 2, v33
	ds_bpermute_b32 v44, v33, v32
	s_and_saveexec_b64 s[0:1], vcc
	s_cbranch_execz .LBB624_370
; %bb.352:
	v_mov_b32_e32 v39, 0
	ds_read_b32 v32, v39 offset:28
	s_and_saveexec_b64 s[26:27], s[16:17]
	s_cbranch_execz .LBB624_354
; %bb.353:
	s_add_i32 s36, s33, 64
	s_mov_b32 s37, 0
	s_lshl_b64 s[36:37], s[36:37], 3
	s_add_u32 s36, s38, s36
	v_mov_b32_e32 v33, 1
	s_addc_u32 s37, s39, s37
	s_waitcnt lgkmcnt(0)
	global_store_dwordx2 v39, v[32:33], s[36:37] sc1
.LBB624_354:
	s_or_b64 exec, exec, s[26:27]
	v_xad_u32 v34, v50, -1, s33
	v_add_u32_e32 v38, 64, v34
	v_lshl_add_u64 v[40:41], v[38:39], 3, s[38:39]
	global_load_dwordx2 v[36:37], v[40:41], off sc1
	s_waitcnt vmcnt(0)
	v_cmp_eq_u16_sdwa s[36:37], v37, v39 src0_sel:BYTE_0 src1_sel:DWORD
	s_and_saveexec_b64 s[26:27], s[36:37]
	s_cbranch_execz .LBB624_358
; %bb.355:
	s_mov_b64 s[36:37], 0
	v_mov_b32_e32 v33, 0
.LBB624_356:                            ; =>This Inner Loop Header: Depth=1
	global_load_dwordx2 v[36:37], v[40:41], off sc1
	s_waitcnt vmcnt(0)
	v_cmp_ne_u16_sdwa s[40:41], v37, v33 src0_sel:BYTE_0 src1_sel:DWORD
	s_or_b64 s[36:37], s[40:41], s[36:37]
	s_andn2_b64 exec, exec, s[36:37]
	s_cbranch_execnz .LBB624_356
; %bb.357:
	s_or_b64 exec, exec, s[36:37]
.LBB624_358:
	s_or_b64 exec, exec, s[26:27]
	v_and_b32_e32 v46, 63, v50
	v_mov_b32_e32 v33, 2
	v_cmp_ne_u32_e32 vcc, 63, v46
	v_cmp_eq_u16_sdwa s[26:27], v37, v33 src0_sel:BYTE_0 src1_sel:DWORD
	v_lshlrev_b64 v[38:39], v50, -1
	v_addc_co_u32_e32 v41, vcc, 0, v50, vcc
	v_and_b32_e32 v35, s27, v39
	v_lshlrev_b32_e32 v53, 2, v41
	v_or_b32_e32 v35, 0x80000000, v35
	ds_bpermute_b32 v41, v53, v36
	v_and_b32_e32 v40, s26, v38
	v_ffbl_b32_e32 v35, v35
	v_add_u32_e32 v35, 32, v35
	v_ffbl_b32_e32 v40, v40
	v_min_u32_e32 v35, v40, v35
	v_cmp_lt_u32_e32 vcc, v46, v35
	v_add_u32_e32 v55, 2, v46
	v_add_u32_e32 v57, 4, v46
	s_waitcnt lgkmcnt(0)
	v_cndmask_b32_e32 v40, 0, v41, vcc
	v_cmp_gt_u32_e32 vcc, 62, v46
	v_add_u32_e32 v36, v40, v36
	v_add_u32_e32 v59, 8, v46
	v_cndmask_b32_e64 v40, 0, 1, vcc
	v_lshlrev_b32_e32 v40, 1, v40
	v_add_lshl_u32 v54, v40, v50, 2
	ds_bpermute_b32 v40, v54, v36
	v_cmp_le_u32_e32 vcc, v55, v35
	v_add_u32_e32 v62, 16, v46
	v_add_u32_e32 v64, 32, v46
	s_waitcnt lgkmcnt(0)
	v_cndmask_b32_e32 v40, 0, v40, vcc
	v_cmp_gt_u32_e32 vcc, 60, v46
	v_add_u32_e32 v36, v36, v40
	s_nop 0
	v_cndmask_b32_e64 v40, 0, 1, vcc
	v_lshlrev_b32_e32 v40, 2, v40
	v_add_lshl_u32 v56, v40, v50, 2
	ds_bpermute_b32 v40, v56, v36
	v_cmp_le_u32_e32 vcc, v57, v35
	s_waitcnt lgkmcnt(0)
	s_nop 0
	v_cndmask_b32_e32 v40, 0, v40, vcc
	v_cmp_gt_u32_e32 vcc, 56, v46
	v_add_u32_e32 v36, v36, v40
	s_nop 0
	v_cndmask_b32_e64 v40, 0, 1, vcc
	v_lshlrev_b32_e32 v40, 3, v40
	v_add_lshl_u32 v58, v40, v50, 2
	ds_bpermute_b32 v40, v58, v36
	v_cmp_le_u32_e32 vcc, v59, v35
	s_waitcnt lgkmcnt(0)
	s_nop 0
	;; [unrolled: 11-line block ×4, first 2 shown]
	v_cndmask_b32_e32 v35, 0, v40, vcc
	v_add_u32_e32 v36, v36, v35
	v_mov_b32_e32 v35, 0
	s_branch .LBB624_360
.LBB624_359:                            ;   in Loop: Header=BB624_360 Depth=1
	s_or_b64 exec, exec, s[26:27]
	v_cmp_eq_u16_sdwa s[26:27], v37, v33 src0_sel:BYTE_0 src1_sel:DWORD
	ds_bpermute_b32 v65, v53, v36
	v_subrev_u32_e32 v34, 64, v34
	v_and_b32_e32 v40, s27, v39
	v_or_b32_e32 v40, 0x80000000, v40
	v_and_b32_e32 v41, s26, v38
	v_ffbl_b32_e32 v40, v40
	v_add_u32_e32 v40, 32, v40
	v_ffbl_b32_e32 v41, v41
	v_min_u32_e32 v40, v41, v40
	v_cmp_lt_u32_e32 vcc, v46, v40
	s_waitcnt lgkmcnt(0)
	s_nop 0
	v_cndmask_b32_e32 v41, 0, v65, vcc
	v_add_u32_e32 v36, v41, v36
	ds_bpermute_b32 v41, v54, v36
	v_cmp_le_u32_e32 vcc, v55, v40
	s_waitcnt lgkmcnt(0)
	s_nop 0
	v_cndmask_b32_e32 v41, 0, v41, vcc
	v_add_u32_e32 v36, v36, v41
	ds_bpermute_b32 v41, v56, v36
	v_cmp_le_u32_e32 vcc, v57, v40
	;; [unrolled: 6-line block ×5, first 2 shown]
	s_waitcnt lgkmcnt(0)
	s_nop 0
	v_cndmask_b32_e32 v40, 0, v41, vcc
	v_add3_u32 v36, v40, v60, v36
.LBB624_360:                            ; =>This Loop Header: Depth=1
                                        ;     Child Loop BB624_363 Depth 2
	v_cmp_ne_u16_sdwa s[26:27], v37, v33 src0_sel:BYTE_0 src1_sel:DWORD
	v_mov_b32_e32 v60, v36
	s_nop 0
	v_cndmask_b32_e64 v37, 0, 1, s[26:27]
	;;#ASMSTART
	;;#ASMEND
	s_nop 0
	v_cmp_ne_u32_e32 vcc, 0, v37
	s_cmp_lg_u64 vcc, exec
	s_cbranch_scc1 .LBB624_365
; %bb.361:                              ;   in Loop: Header=BB624_360 Depth=1
	v_lshl_add_u64 v[40:41], v[34:35], 3, s[38:39]
	global_load_dwordx2 v[36:37], v[40:41], off sc1
	s_waitcnt vmcnt(0)
	v_cmp_eq_u16_sdwa s[36:37], v37, v35 src0_sel:BYTE_0 src1_sel:DWORD
	s_and_saveexec_b64 s[26:27], s[36:37]
	s_cbranch_execz .LBB624_359
; %bb.362:                              ;   in Loop: Header=BB624_360 Depth=1
	s_mov_b64 s[36:37], 0
.LBB624_363:                            ;   Parent Loop BB624_360 Depth=1
                                        ; =>  This Inner Loop Header: Depth=2
	global_load_dwordx2 v[36:37], v[40:41], off sc1
	s_waitcnt vmcnt(0)
	v_cmp_ne_u16_sdwa s[40:41], v37, v35 src0_sel:BYTE_0 src1_sel:DWORD
	s_or_b64 s[36:37], s[40:41], s[36:37]
	s_andn2_b64 exec, exec, s[36:37]
	s_cbranch_execnz .LBB624_363
; %bb.364:                              ;   in Loop: Header=BB624_360 Depth=1
	s_or_b64 exec, exec, s[36:37]
	s_branch .LBB624_359
.LBB624_365:                            ;   in Loop: Header=BB624_360 Depth=1
                                        ; implicit-def: $vgpr36
                                        ; implicit-def: $vgpr37
	s_cbranch_execz .LBB624_360
; %bb.366:
	s_and_saveexec_b64 s[26:27], s[16:17]
	s_cbranch_execz .LBB624_368
; %bb.367:
	s_add_i32 s36, s33, 64
	s_mov_b32 s37, 0
	s_lshl_b64 s[36:37], s[36:37], 3
	s_add_u32 s36, s38, s36
	v_add_u32_e32 v34, v60, v32
	v_mov_b32_e32 v35, 2
	s_addc_u32 s37, s39, s37
	v_mov_b32_e32 v33, 0
	s_movk_i32 s33, 0x7000
	global_store_dwordx2 v33, v[34:35], s[36:37] sc1
	v_add_u32_e64 v33, s33, 0
	ds_write2_b32 v33, v32, v60 offset1:2
.LBB624_368:
	s_or_b64 exec, exec, s[26:27]
	s_and_b64 exec, exec, s[18:19]
	s_cbranch_execz .LBB624_370
; %bb.369:
	v_mov_b32_e32 v32, 0
	ds_write_b32 v32, v60 offset:28
.LBB624_370:
	s_or_b64 exec, exec, s[0:1]
	v_mov_b32_e32 v32, 0
	s_waitcnt lgkmcnt(0)
	s_barrier
	ds_read_b32 v32, v32 offset:28
	v_cndmask_b32_e64 v33, v44, v42, s[16:17]
	v_cndmask_b32_e64 v33, v33, 0, s[18:19]
	s_movk_i32 s0, 0x7000
	s_waitcnt lgkmcnt(0)
	v_add_u32_e32 v46, v32, v33
	v_add_u32_e64 v32, s0, 0
	v_add_u32_e32 v44, v46, v1
	s_barrier
	ds_read2_b32 v[32:33], v32 offset1:2
	v_add_u32_e32 v42, v44, v43
	v_add_u32_e32 v40, v42, v45
	;; [unrolled: 1-line block ×5, first 2 shown]
	s_waitcnt lgkmcnt(0)
	v_readfirstlane_b32 s26, v32
	v_readfirstlane_b32 s16, v33
	v_lshrrev_b64 v[32:33], 24, v[30:31]
	s_branch .LBB624_381
.LBB624_371:
                                        ; implicit-def: $vgpr34
                                        ; implicit-def: $vgpr36
                                        ; implicit-def: $vgpr38
                                        ; implicit-def: $vgpr40
                                        ; implicit-def: $vgpr42
                                        ; implicit-def: $vgpr44
                                        ; implicit-def: $vgpr46
                                        ; implicit-def: $sgpr16
                                        ; implicit-def: $sgpr26
	v_lshrrev_b64 v[32:33], 24, v[30:31]
	s_cbranch_execz .LBB624_381
; %bb.372:
	s_nop 0
	v_mov_b32_dpp v33, v52 row_shr:1 row_mask:0xf bank_mask:0xf
	v_cndmask_b32_e64 v33, v33, 0, s[14:15]
	v_add_u32_e32 v33, v33, v52
	s_nop 1
	v_mov_b32_dpp v34, v33 row_shr:2 row_mask:0xf bank_mask:0xf
	v_cndmask_b32_e64 v34, 0, v34, s[12:13]
	v_add_u32_e32 v33, v33, v34
	;; [unrolled: 4-line block ×4, first 2 shown]
	s_nop 1
	v_mov_b32_dpp v34, v33 row_bcast:15 row_mask:0xf bank_mask:0xf
	v_cndmask_b32_e64 v34, v34, 0, s[6:7]
	v_add_u32_e32 v33, v33, v34
	s_nop 1
	v_mov_b32_dpp v34, v33 row_bcast:31 row_mask:0xf bank_mask:0xf
	v_cndmask_b32_e64 v34, 0, v34, s[2:3]
	v_add_u32_e32 v33, v33, v34
	s_and_saveexec_b64 s[0:1], s[4:5]
	s_cbranch_execz .LBB624_374
; %bb.373:
	v_lshlrev_b32_e32 v34, 2, v51
	ds_write_b32 v34, v33
.LBB624_374:
	s_or_b64 exec, exec, s[0:1]
	v_cmp_gt_u32_e32 vcc, 8, v0
	s_waitcnt lgkmcnt(0)
	s_barrier
	s_and_saveexec_b64 s[0:1], vcc
	s_cbranch_execz .LBB624_376
; %bb.375:
	v_lshlrev_b32_e32 v34, 2, v0
	ds_read_b32 v35, v34
	v_and_b32_e32 v36, 7, v50
	v_cmp_ne_u32_e32 vcc, 0, v36
	s_waitcnt lgkmcnt(0)
	v_mov_b32_dpp v37, v35 row_shr:1 row_mask:0xf bank_mask:0xf
	v_cndmask_b32_e32 v37, 0, v37, vcc
	v_add_u32_e32 v35, v37, v35
	v_cmp_lt_u32_e32 vcc, 1, v36
	s_nop 0
	v_mov_b32_dpp v37, v35 row_shr:2 row_mask:0xf bank_mask:0xf
	v_cndmask_b32_e32 v37, 0, v37, vcc
	v_add_u32_e32 v35, v35, v37
	v_cmp_lt_u32_e32 vcc, 3, v36
	s_nop 0
	v_mov_b32_dpp v37, v35 row_shr:4 row_mask:0xf bank_mask:0xf
	v_cndmask_b32_e32 v36, 0, v37, vcc
	v_add_u32_e32 v35, v35, v36
	ds_write_b32 v34, v35
.LBB624_376:
	s_or_b64 exec, exec, s[0:1]
	v_cmp_lt_u32_e32 vcc, 63, v0
	v_mov_b32_e32 v35, 0
	v_mov_b32_e32 v34, 0
	s_waitcnt lgkmcnt(0)
	s_barrier
	s_and_saveexec_b64 s[0:1], vcc
	s_cbranch_execz .LBB624_378
; %bb.377:
	v_lshl_add_u32 v34, v51, 2, -4
	ds_read_b32 v34, v34
.LBB624_378:
	s_or_b64 exec, exec, s[0:1]
	v_add_u32_e32 v36, -1, v50
	v_and_b32_e32 v37, 64, v50
	v_cmp_lt_i32_e32 vcc, v36, v37
	s_waitcnt lgkmcnt(0)
	v_add_u32_e32 v33, v34, v33
	ds_read_b32 v35, v35 offset:28
	v_cndmask_b32_e32 v36, v36, v50, vcc
	v_lshlrev_b32_e32 v36, 2, v36
	ds_bpermute_b32 v33, v36, v33
	s_waitcnt lgkmcnt(1)
	v_readfirstlane_b32 s26, v35
	s_and_saveexec_b64 s[0:1], s[18:19]
	s_cbranch_execz .LBB624_380
; %bb.379:
	v_mov_b32_e32 v35, 0
	v_mov_b32_e32 v36, s26
	;; [unrolled: 1-line block ×3, first 2 shown]
	global_store_dwordx2 v35, v[36:37], s[38:39] offset:512 sc1
.LBB624_380:
	s_or_b64 exec, exec, s[0:1]
	v_cmp_eq_u32_e32 vcc, 0, v50
	s_mov_b32 s16, 0
	s_waitcnt lgkmcnt(0)
	v_cndmask_b32_e32 v33, v33, v34, vcc
	v_cndmask_b32_e64 v46, v33, 0, s[18:19]
	v_add_u32_e32 v44, v46, v1
	v_add_u32_e32 v42, v44, v43
	;; [unrolled: 1-line block ×6, first 2 shown]
	s_barrier
.LBB624_381:
	s_cmpk_lt_u32 s26, 0x201
	s_cselect_b64 s[2:3], -1, 0
	v_lshrrev_b32_e32 v33, 8, v30
	v_lshrrev_b32_e32 v1, 8, v31
	s_mov_b64 s[0:1], -1
	s_and_b64 vcc, exec, s[2:3]
	s_cbranch_vccz .LBB624_404
; %bb.382:
	s_add_i32 s4, s16, s26
	v_cmp_gt_u32_e32 vcc, s4, v46
	s_or_b64 s[6:7], s[34:35], vcc
	s_and_saveexec_b64 s[0:1], s[6:7]
	s_cbranch_execz .LBB624_385
; %bb.383:
	v_and_b32_e32 v35, 1, v30
	v_cmp_eq_u32_e32 vcc, 1, v35
	s_and_b64 exec, exec, vcc
	s_cbranch_execz .LBB624_385
; %bb.384:
	s_lshl_b64 s[6:7], s[22:23], 3
	s_add_u32 s6, s28, s6
	s_addc_u32 s7, s29, s7
	v_mov_b32_e32 v47, 0
	v_lshl_add_u64 v[48:49], v[46:47], 3, s[6:7]
	global_store_dwordx2 v[48:49], v[22:23], off
.LBB624_385:
	s_or_b64 exec, exec, s[0:1]
	v_cmp_gt_u32_e32 vcc, s4, v44
	s_or_b64 s[6:7], s[34:35], vcc
	s_and_saveexec_b64 s[0:1], s[6:7]
	s_cbranch_execz .LBB624_388
; %bb.386:
	v_and_b32_e32 v35, 1, v33
	v_cmp_eq_u32_e32 vcc, 1, v35
	s_and_b64 exec, exec, vcc
	s_cbranch_execz .LBB624_388
; %bb.387:
	s_lshl_b64 s[6:7], s[22:23], 3
	s_add_u32 s6, s28, s6
	s_addc_u32 s7, s29, s7
	v_mov_b32_e32 v45, 0
	v_lshl_add_u64 v[48:49], v[44:45], 3, s[6:7]
	global_store_dwordx2 v[48:49], v[24:25], off
.LBB624_388:
	s_or_b64 exec, exec, s[0:1]
	v_cmp_gt_u32_e32 vcc, s4, v42
	s_or_b64 s[6:7], s[34:35], vcc
	s_and_saveexec_b64 s[0:1], s[6:7]
	s_cbranch_execz .LBB624_391
; %bb.389:
	v_mov_b32_e32 v35, 1
	v_and_b32_sdwa v35, v35, v30 dst_sel:DWORD dst_unused:UNUSED_PAD src0_sel:DWORD src1_sel:WORD_1
	v_cmp_eq_u32_e32 vcc, 1, v35
	s_and_b64 exec, exec, vcc
	s_cbranch_execz .LBB624_391
; %bb.390:
	s_lshl_b64 s[6:7], s[22:23], 3
	s_add_u32 s6, s28, s6
	s_addc_u32 s7, s29, s7
	v_mov_b32_e32 v43, 0
	v_lshl_add_u64 v[48:49], v[42:43], 3, s[6:7]
	global_store_dwordx2 v[48:49], v[18:19], off
.LBB624_391:
	s_or_b64 exec, exec, s[0:1]
	v_cmp_gt_u32_e32 vcc, s4, v40
	s_or_b64 s[6:7], s[34:35], vcc
	s_and_saveexec_b64 s[0:1], s[6:7]
	s_cbranch_execz .LBB624_394
; %bb.392:
	v_and_b32_e32 v35, 1, v32
	v_cmp_eq_u32_e32 vcc, 1, v35
	s_and_b64 exec, exec, vcc
	s_cbranch_execz .LBB624_394
; %bb.393:
	s_lshl_b64 s[6:7], s[22:23], 3
	s_add_u32 s6, s28, s6
	s_addc_u32 s7, s29, s7
	v_mov_b32_e32 v41, 0
	v_lshl_add_u64 v[48:49], v[40:41], 3, s[6:7]
	global_store_dwordx2 v[48:49], v[20:21], off
.LBB624_394:
	s_or_b64 exec, exec, s[0:1]
	v_cmp_gt_u32_e32 vcc, s4, v38
	s_or_b64 s[6:7], s[34:35], vcc
	s_and_saveexec_b64 s[0:1], s[6:7]
	s_cbranch_execz .LBB624_397
; %bb.395:
	v_and_b32_e32 v35, 1, v31
	v_cmp_eq_u32_e32 vcc, 1, v35
	s_and_b64 exec, exec, vcc
	s_cbranch_execz .LBB624_397
; %bb.396:
	s_lshl_b64 s[6:7], s[22:23], 3
	s_add_u32 s6, s28, s6
	s_addc_u32 s7, s29, s7
	v_mov_b32_e32 v39, 0
	v_lshl_add_u64 v[48:49], v[38:39], 3, s[6:7]
	global_store_dwordx2 v[48:49], v[14:15], off
.LBB624_397:
	;; [unrolled: 18-line block ×3, first 2 shown]
	s_or_b64 exec, exec, s[0:1]
	v_cmp_gt_u32_e32 vcc, s4, v34
	s_or_b64 s[4:5], s[34:35], vcc
	s_and_saveexec_b64 s[0:1], s[4:5]
	s_cbranch_execz .LBB624_403
; %bb.401:
	v_mov_b32_e32 v35, 1
	v_and_b32_sdwa v35, v35, v31 dst_sel:DWORD dst_unused:UNUSED_PAD src0_sel:DWORD src1_sel:WORD_1
	v_cmp_eq_u32_e32 vcc, 1, v35
	s_and_b64 exec, exec, vcc
	s_cbranch_execz .LBB624_403
; %bb.402:
	s_lshl_b64 s[4:5], s[22:23], 3
	s_add_u32 s4, s28, s4
	s_addc_u32 s5, s29, s5
	v_mov_b32_e32 v35, 0
	v_lshl_add_u64 v[48:49], v[34:35], 3, s[4:5]
	global_store_dwordx2 v[48:49], v[28:29], off
.LBB624_403:
	s_or_b64 exec, exec, s[0:1]
	s_mov_b64 s[0:1], 0
.LBB624_404:
	v_and_b32_e32 v48, 1, v30
	s_and_b64 vcc, exec, s[0:1]
	v_cmp_eq_u32_e64 s[0:1], 1, v48
	s_cbranch_vccz .LBB624_423
; %bb.405:
	s_and_saveexec_b64 s[4:5], s[0:1]
	s_cbranch_execz .LBB624_407
; %bb.406:
	v_subrev_u32_e32 v35, s16, v46
	v_lshlrev_b32_e32 v35, 3, v35
	ds_write_b64 v35, v[22:23]
.LBB624_407:
	s_or_b64 exec, exec, s[4:5]
	v_and_b32_e32 v22, 1, v33
	v_cmp_eq_u32_e32 vcc, 1, v22
	s_and_saveexec_b64 s[0:1], vcc
	s_cbranch_execz .LBB624_409
; %bb.408:
	v_subrev_u32_e32 v22, s16, v44
	v_lshlrev_b32_e32 v22, 3, v22
	ds_write_b64 v22, v[24:25]
.LBB624_409:
	s_or_b64 exec, exec, s[0:1]
	v_mov_b32_e32 v22, 1
	v_and_b32_sdwa v22, v22, v30 dst_sel:DWORD dst_unused:UNUSED_PAD src0_sel:DWORD src1_sel:WORD_1
	v_cmp_eq_u32_e32 vcc, 1, v22
	s_and_saveexec_b64 s[0:1], vcc
	s_cbranch_execz .LBB624_411
; %bb.410:
	v_subrev_u32_e32 v22, s16, v42
	v_lshlrev_b32_e32 v22, 3, v22
	ds_write_b64 v22, v[18:19]
.LBB624_411:
	s_or_b64 exec, exec, s[0:1]
	v_and_b32_e32 v18, 1, v32
	v_cmp_eq_u32_e32 vcc, 1, v18
	s_and_saveexec_b64 s[0:1], vcc
	s_cbranch_execz .LBB624_413
; %bb.412:
	v_subrev_u32_e32 v18, s16, v40
	v_lshlrev_b32_e32 v18, 3, v18
	ds_write_b64 v18, v[20:21]
.LBB624_413:
	s_or_b64 exec, exec, s[0:1]
	v_and_b32_e32 v18, 1, v31
	;; [unrolled: 10-line block ×3, first 2 shown]
	v_cmp_eq_u32_e32 vcc, 1, v14
	s_and_saveexec_b64 s[0:1], vcc
	s_cbranch_execz .LBB624_417
; %bb.416:
	v_subrev_u32_e32 v14, s16, v36
	v_lshlrev_b32_e32 v14, 3, v14
	ds_write_b64 v14, v[16:17]
.LBB624_417:
	s_or_b64 exec, exec, s[0:1]
	v_mov_b32_e32 v14, 1
	v_and_b32_sdwa v14, v14, v31 dst_sel:DWORD dst_unused:UNUSED_PAD src0_sel:DWORD src1_sel:WORD_1
	v_cmp_eq_u32_e32 vcc, 1, v14
	s_and_saveexec_b64 s[0:1], vcc
	s_cbranch_execz .LBB624_419
; %bb.418:
	v_subrev_u32_e32 v14, s16, v34
	v_lshlrev_b32_e32 v14, 3, v14
	ds_write_b64 v14, v[28:29]
.LBB624_419:
	s_or_b64 exec, exec, s[0:1]
	v_cmp_gt_u32_e32 vcc, s26, v0
	s_waitcnt lgkmcnt(0)
	s_barrier
	s_and_saveexec_b64 s[0:1], vcc
	s_cbranch_execz .LBB624_422
; %bb.420:
	s_mov_b32 s17, 0
	s_lshl_b64 s[4:5], s[22:23], 3
	s_lshl_b64 s[6:7], s[16:17], 3
	s_add_u32 s4, s4, s6
	s_addc_u32 s5, s5, s7
	s_add_u32 s4, s28, s4
	v_lshlrev_b32_e32 v14, 3, v0
	v_mov_b32_e32 v15, 0
	s_addc_u32 s5, s29, s5
	v_lshl_add_u64 v[16:17], s[4:5], 0, v[14:15]
	s_mov_b64 s[4:5], 0
	s_mov_b64 s[6:7], 0x1000
	v_mov_b32_e32 v15, v0
.LBB624_421:                            ; =>This Inner Loop Header: Depth=1
	ds_read_b64 v[18:19], v14
	v_add_u32_e32 v15, 0x200, v15
	v_cmp_le_u32_e32 vcc, s26, v15
	v_add_u32_e32 v14, 0x1000, v14
	s_or_b64 s[4:5], vcc, s[4:5]
	s_waitcnt lgkmcnt(0)
	global_store_dwordx2 v[16:17], v[18:19], off
	v_lshl_add_u64 v[16:17], v[16:17], 0, s[6:7]
	s_andn2_b64 exec, exec, s[4:5]
	s_cbranch_execnz .LBB624_421
.LBB624_422:
	s_or_b64 exec, exec, s[0:1]
.LBB624_423:
	s_mov_b64 s[0:1], -1
	s_and_b64 vcc, exec, s[2:3]
	s_barrier
	s_cbranch_vccnz .LBB624_427
; %bb.424:
	s_and_b64 vcc, exec, s[0:1]
	s_cbranch_vccnz .LBB624_449
.LBB624_425:
	s_and_b64 s[0:1], s[18:19], s[24:25]
	s_and_saveexec_b64 s[2:3], s[0:1]
	s_cbranch_execnz .LBB624_467
.LBB624_426:
	s_endpgm
.LBB624_427:
	s_add_i32 s2, s16, s26
	v_cmp_gt_u32_e32 vcc, s2, v46
	s_or_b64 s[4:5], s[34:35], vcc
	s_and_saveexec_b64 s[0:1], s[4:5]
	s_cbranch_execz .LBB624_430
; %bb.428:
	v_cmp_eq_u32_e32 vcc, 1, v48
	s_and_b64 exec, exec, vcc
	s_cbranch_execz .LBB624_430
; %bb.429:
	s_lshl_b64 s[4:5], s[22:23], 3
	s_add_u32 s4, s30, s4
	s_addc_u32 s5, s31, s5
	v_mov_b32_e32 v47, 0
	v_lshl_add_u64 v[14:15], v[46:47], 3, s[4:5]
	global_store_dwordx2 v[14:15], v[10:11], off
.LBB624_430:
	s_or_b64 exec, exec, s[0:1]
	v_cmp_gt_u32_e32 vcc, s2, v44
	s_or_b64 s[4:5], s[34:35], vcc
	s_and_saveexec_b64 s[0:1], s[4:5]
	s_cbranch_execz .LBB624_433
; %bb.431:
	v_and_b32_e32 v14, 1, v33
	v_cmp_eq_u32_e32 vcc, 1, v14
	s_and_b64 exec, exec, vcc
	s_cbranch_execz .LBB624_433
; %bb.432:
	s_lshl_b64 s[4:5], s[22:23], 3
	s_add_u32 s4, s30, s4
	s_addc_u32 s5, s31, s5
	v_mov_b32_e32 v45, 0
	v_lshl_add_u64 v[14:15], v[44:45], 3, s[4:5]
	global_store_dwordx2 v[14:15], v[12:13], off
.LBB624_433:
	s_or_b64 exec, exec, s[0:1]
	v_cmp_gt_u32_e32 vcc, s2, v42
	s_or_b64 s[4:5], s[34:35], vcc
	s_and_saveexec_b64 s[0:1], s[4:5]
	s_cbranch_execz .LBB624_436
; %bb.434:
	v_mov_b32_e32 v14, 1
	v_and_b32_sdwa v14, v14, v30 dst_sel:DWORD dst_unused:UNUSED_PAD src0_sel:DWORD src1_sel:WORD_1
	v_cmp_eq_u32_e32 vcc, 1, v14
	s_and_b64 exec, exec, vcc
	s_cbranch_execz .LBB624_436
; %bb.435:
	s_lshl_b64 s[4:5], s[22:23], 3
	s_add_u32 s4, s30, s4
	s_addc_u32 s5, s31, s5
	v_mov_b32_e32 v43, 0
	v_lshl_add_u64 v[14:15], v[42:43], 3, s[4:5]
	global_store_dwordx2 v[14:15], v[6:7], off
.LBB624_436:
	s_or_b64 exec, exec, s[0:1]
	v_cmp_gt_u32_e32 vcc, s2, v40
	s_or_b64 s[4:5], s[34:35], vcc
	s_and_saveexec_b64 s[0:1], s[4:5]
	s_cbranch_execz .LBB624_439
; %bb.437:
	v_and_b32_e32 v14, 1, v32
	v_cmp_eq_u32_e32 vcc, 1, v14
	s_and_b64 exec, exec, vcc
	s_cbranch_execz .LBB624_439
; %bb.438:
	s_lshl_b64 s[4:5], s[22:23], 3
	s_add_u32 s4, s30, s4
	s_addc_u32 s5, s31, s5
	v_mov_b32_e32 v41, 0
	v_lshl_add_u64 v[14:15], v[40:41], 3, s[4:5]
	global_store_dwordx2 v[14:15], v[8:9], off
.LBB624_439:
	s_or_b64 exec, exec, s[0:1]
	v_cmp_gt_u32_e32 vcc, s2, v38
	s_or_b64 s[4:5], s[34:35], vcc
	s_and_saveexec_b64 s[0:1], s[4:5]
	s_cbranch_execz .LBB624_442
; %bb.440:
	v_and_b32_e32 v14, 1, v31
	v_cmp_eq_u32_e32 vcc, 1, v14
	s_and_b64 exec, exec, vcc
	s_cbranch_execz .LBB624_442
; %bb.441:
	s_lshl_b64 s[4:5], s[22:23], 3
	s_add_u32 s4, s30, s4
	s_addc_u32 s5, s31, s5
	v_mov_b32_e32 v39, 0
	v_lshl_add_u64 v[14:15], v[38:39], 3, s[4:5]
	global_store_dwordx2 v[14:15], v[2:3], off
.LBB624_442:
	;; [unrolled: 18-line block ×3, first 2 shown]
	s_or_b64 exec, exec, s[0:1]
	v_cmp_gt_u32_e32 vcc, s2, v34
	s_or_b64 s[2:3], s[34:35], vcc
	s_and_saveexec_b64 s[0:1], s[2:3]
	s_cbranch_execz .LBB624_448
; %bb.446:
	v_mov_b32_e32 v14, 1
	v_and_b32_sdwa v14, v14, v31 dst_sel:DWORD dst_unused:UNUSED_PAD src0_sel:DWORD src1_sel:WORD_1
	v_cmp_eq_u32_e32 vcc, 1, v14
	s_and_b64 exec, exec, vcc
	s_cbranch_execz .LBB624_448
; %bb.447:
	s_lshl_b64 s[2:3], s[22:23], 3
	s_add_u32 s2, s30, s2
	s_addc_u32 s3, s31, s3
	v_mov_b32_e32 v35, 0
	v_lshl_add_u64 v[14:15], v[34:35], 3, s[2:3]
	global_store_dwordx2 v[14:15], v[26:27], off
.LBB624_448:
	s_or_b64 exec, exec, s[0:1]
	s_branch .LBB624_425
.LBB624_449:
	v_cmp_eq_u32_e32 vcc, 1, v48
	s_and_saveexec_b64 s[0:1], vcc
	s_cbranch_execz .LBB624_451
; %bb.450:
	v_subrev_u32_e32 v14, s16, v46
	v_lshlrev_b32_e32 v14, 3, v14
	ds_write_b64 v14, v[10:11]
.LBB624_451:
	s_or_b64 exec, exec, s[0:1]
	v_and_b32_e32 v10, 1, v33
	v_cmp_eq_u32_e32 vcc, 1, v10
	s_and_saveexec_b64 s[0:1], vcc
	s_cbranch_execz .LBB624_453
; %bb.452:
	v_subrev_u32_e32 v10, s16, v44
	v_lshlrev_b32_e32 v10, 3, v10
	ds_write_b64 v10, v[12:13]
.LBB624_453:
	s_or_b64 exec, exec, s[0:1]
	v_mov_b32_e32 v10, 1
	v_and_b32_sdwa v10, v10, v30 dst_sel:DWORD dst_unused:UNUSED_PAD src0_sel:DWORD src1_sel:WORD_1
	v_cmp_eq_u32_e32 vcc, 1, v10
	s_and_saveexec_b64 s[0:1], vcc
	s_cbranch_execz .LBB624_455
; %bb.454:
	v_subrev_u32_e32 v10, s16, v42
	v_lshlrev_b32_e32 v10, 3, v10
	ds_write_b64 v10, v[6:7]
.LBB624_455:
	s_or_b64 exec, exec, s[0:1]
	v_and_b32_e32 v6, 1, v32
	v_cmp_eq_u32_e32 vcc, 1, v6
	s_and_saveexec_b64 s[0:1], vcc
	s_cbranch_execz .LBB624_457
; %bb.456:
	v_subrev_u32_e32 v6, s16, v40
	v_lshlrev_b32_e32 v6, 3, v6
	ds_write_b64 v6, v[8:9]
.LBB624_457:
	s_or_b64 exec, exec, s[0:1]
	v_and_b32_e32 v6, 1, v31
	;; [unrolled: 10-line block ×3, first 2 shown]
	v_cmp_eq_u32_e32 vcc, 1, v1
	s_and_saveexec_b64 s[0:1], vcc
	s_cbranch_execz .LBB624_461
; %bb.460:
	v_subrev_u32_e32 v1, s16, v36
	v_lshlrev_b32_e32 v1, 3, v1
	ds_write_b64 v1, v[4:5]
.LBB624_461:
	s_or_b64 exec, exec, s[0:1]
	v_mov_b32_e32 v1, 1
	v_and_b32_sdwa v1, v1, v31 dst_sel:DWORD dst_unused:UNUSED_PAD src0_sel:DWORD src1_sel:WORD_1
	v_cmp_eq_u32_e32 vcc, 1, v1
	s_and_saveexec_b64 s[0:1], vcc
	s_cbranch_execz .LBB624_463
; %bb.462:
	v_subrev_u32_e32 v1, s16, v34
	v_lshlrev_b32_e32 v1, 3, v1
	ds_write_b64 v1, v[26:27]
.LBB624_463:
	s_or_b64 exec, exec, s[0:1]
	v_cmp_gt_u32_e32 vcc, s26, v0
	s_waitcnt lgkmcnt(0)
	s_barrier
	s_and_saveexec_b64 s[0:1], vcc
	s_cbranch_execz .LBB624_466
; %bb.464:
	s_mov_b32 s17, 0
	s_lshl_b64 s[2:3], s[22:23], 3
	s_lshl_b64 s[4:5], s[16:17], 3
	s_add_u32 s2, s2, s4
	s_addc_u32 s3, s3, s5
	s_add_u32 s2, s30, s2
	v_lshlrev_b32_e32 v2, 3, v0
	v_mov_b32_e32 v3, 0
	s_addc_u32 s3, s31, s3
	v_lshl_add_u64 v[4:5], s[2:3], 0, v[2:3]
	s_mov_b64 s[2:3], 0
	s_mov_b64 s[4:5], 0x1000
.LBB624_465:                            ; =>This Inner Loop Header: Depth=1
	ds_read_b64 v[6:7], v2
	v_add_u32_e32 v0, 0x200, v0
	v_cmp_le_u32_e32 vcc, s26, v0
	v_add_u32_e32 v2, 0x1000, v2
	s_or_b64 s[2:3], vcc, s[2:3]
	s_waitcnt lgkmcnt(0)
	global_store_dwordx2 v[4:5], v[6:7], off
	v_lshl_add_u64 v[4:5], v[4:5], 0, s[4:5]
	s_andn2_b64 exec, exec, s[2:3]
	s_cbranch_execnz .LBB624_465
.LBB624_466:
	s_or_b64 exec, exec, s[0:1]
	s_and_b64 s[0:1], s[18:19], s[24:25]
	s_and_saveexec_b64 s[2:3], s[0:1]
	s_cbranch_execz .LBB624_426
.LBB624_467:
	s_add_u32 s0, s22, s26
	s_addc_u32 s1, s23, 0
	s_add_u32 s0, s0, s16
	s_addc_u32 s1, s1, 0
	v_mov_b32_e32 v2, 0
	v_mov_b64_e32 v[0:1], s[0:1]
	global_store_dwordx2 v2, v[0:1], s[20:21]
	s_endpgm
	.section	.rodata,"a",@progbits
	.p2align	6, 0x0
	.amdhsa_kernel _ZN7rocprim17ROCPRIM_400000_NS6detail17trampoline_kernelINS0_14default_configENS1_25partition_config_selectorILNS1_17partition_subalgoE9EllbEEZZNS1_14partition_implILS5_9ELb0ES3_jPlS8_PNS0_10empty_typeENS0_5tupleIJS8_S9_EEENSB_IJS8_SA_EEENS0_18inequality_wrapperIZN2at6native12_GLOBAL__N_124unique_dim_cuda_templateIlEESt5tupleIJNSF_6TensorESK_SK_EERKSK_lbbbEUlllE0_EEPmJS9_EEE10hipError_tPvRmT3_T4_T5_T6_T7_T9_mT8_P12ihipStream_tbDpT10_ENKUlT_T0_E_clISt17integral_constantIbLb0EES19_IbLb1EEEEDaS15_S16_EUlS15_E_NS1_11comp_targetILNS1_3genE5ELNS1_11target_archE942ELNS1_3gpuE9ELNS1_3repE0EEENS1_30default_config_static_selectorELNS0_4arch9wavefront6targetE1EEEvT1_
		.amdhsa_group_segment_fixed_size 28684
		.amdhsa_private_segment_fixed_size 0
		.amdhsa_kernarg_size 136
		.amdhsa_user_sgpr_count 2
		.amdhsa_user_sgpr_dispatch_ptr 0
		.amdhsa_user_sgpr_queue_ptr 0
		.amdhsa_user_sgpr_kernarg_segment_ptr 1
		.amdhsa_user_sgpr_dispatch_id 0
		.amdhsa_user_sgpr_kernarg_preload_length 0
		.amdhsa_user_sgpr_kernarg_preload_offset 0
		.amdhsa_user_sgpr_private_segment_size 0
		.amdhsa_uses_dynamic_stack 0
		.amdhsa_enable_private_segment 0
		.amdhsa_system_sgpr_workgroup_id_x 1
		.amdhsa_system_sgpr_workgroup_id_y 0
		.amdhsa_system_sgpr_workgroup_id_z 0
		.amdhsa_system_sgpr_workgroup_info 0
		.amdhsa_system_vgpr_workitem_id 0
		.amdhsa_next_free_vgpr 66
		.amdhsa_next_free_sgpr 58
		.amdhsa_accum_offset 68
		.amdhsa_reserve_vcc 1
		.amdhsa_float_round_mode_32 0
		.amdhsa_float_round_mode_16_64 0
		.amdhsa_float_denorm_mode_32 3
		.amdhsa_float_denorm_mode_16_64 3
		.amdhsa_dx10_clamp 1
		.amdhsa_ieee_mode 1
		.amdhsa_fp16_overflow 0
		.amdhsa_tg_split 0
		.amdhsa_exception_fp_ieee_invalid_op 0
		.amdhsa_exception_fp_denorm_src 0
		.amdhsa_exception_fp_ieee_div_zero 0
		.amdhsa_exception_fp_ieee_overflow 0
		.amdhsa_exception_fp_ieee_underflow 0
		.amdhsa_exception_fp_ieee_inexact 0
		.amdhsa_exception_int_div_zero 0
	.end_amdhsa_kernel
	.section	.text._ZN7rocprim17ROCPRIM_400000_NS6detail17trampoline_kernelINS0_14default_configENS1_25partition_config_selectorILNS1_17partition_subalgoE9EllbEEZZNS1_14partition_implILS5_9ELb0ES3_jPlS8_PNS0_10empty_typeENS0_5tupleIJS8_S9_EEENSB_IJS8_SA_EEENS0_18inequality_wrapperIZN2at6native12_GLOBAL__N_124unique_dim_cuda_templateIlEESt5tupleIJNSF_6TensorESK_SK_EERKSK_lbbbEUlllE0_EEPmJS9_EEE10hipError_tPvRmT3_T4_T5_T6_T7_T9_mT8_P12ihipStream_tbDpT10_ENKUlT_T0_E_clISt17integral_constantIbLb0EES19_IbLb1EEEEDaS15_S16_EUlS15_E_NS1_11comp_targetILNS1_3genE5ELNS1_11target_archE942ELNS1_3gpuE9ELNS1_3repE0EEENS1_30default_config_static_selectorELNS0_4arch9wavefront6targetE1EEEvT1_,"axG",@progbits,_ZN7rocprim17ROCPRIM_400000_NS6detail17trampoline_kernelINS0_14default_configENS1_25partition_config_selectorILNS1_17partition_subalgoE9EllbEEZZNS1_14partition_implILS5_9ELb0ES3_jPlS8_PNS0_10empty_typeENS0_5tupleIJS8_S9_EEENSB_IJS8_SA_EEENS0_18inequality_wrapperIZN2at6native12_GLOBAL__N_124unique_dim_cuda_templateIlEESt5tupleIJNSF_6TensorESK_SK_EERKSK_lbbbEUlllE0_EEPmJS9_EEE10hipError_tPvRmT3_T4_T5_T6_T7_T9_mT8_P12ihipStream_tbDpT10_ENKUlT_T0_E_clISt17integral_constantIbLb0EES19_IbLb1EEEEDaS15_S16_EUlS15_E_NS1_11comp_targetILNS1_3genE5ELNS1_11target_archE942ELNS1_3gpuE9ELNS1_3repE0EEENS1_30default_config_static_selectorELNS0_4arch9wavefront6targetE1EEEvT1_,comdat
.Lfunc_end624:
	.size	_ZN7rocprim17ROCPRIM_400000_NS6detail17trampoline_kernelINS0_14default_configENS1_25partition_config_selectorILNS1_17partition_subalgoE9EllbEEZZNS1_14partition_implILS5_9ELb0ES3_jPlS8_PNS0_10empty_typeENS0_5tupleIJS8_S9_EEENSB_IJS8_SA_EEENS0_18inequality_wrapperIZN2at6native12_GLOBAL__N_124unique_dim_cuda_templateIlEESt5tupleIJNSF_6TensorESK_SK_EERKSK_lbbbEUlllE0_EEPmJS9_EEE10hipError_tPvRmT3_T4_T5_T6_T7_T9_mT8_P12ihipStream_tbDpT10_ENKUlT_T0_E_clISt17integral_constantIbLb0EES19_IbLb1EEEEDaS15_S16_EUlS15_E_NS1_11comp_targetILNS1_3genE5ELNS1_11target_archE942ELNS1_3gpuE9ELNS1_3repE0EEENS1_30default_config_static_selectorELNS0_4arch9wavefront6targetE1EEEvT1_, .Lfunc_end624-_ZN7rocprim17ROCPRIM_400000_NS6detail17trampoline_kernelINS0_14default_configENS1_25partition_config_selectorILNS1_17partition_subalgoE9EllbEEZZNS1_14partition_implILS5_9ELb0ES3_jPlS8_PNS0_10empty_typeENS0_5tupleIJS8_S9_EEENSB_IJS8_SA_EEENS0_18inequality_wrapperIZN2at6native12_GLOBAL__N_124unique_dim_cuda_templateIlEESt5tupleIJNSF_6TensorESK_SK_EERKSK_lbbbEUlllE0_EEPmJS9_EEE10hipError_tPvRmT3_T4_T5_T6_T7_T9_mT8_P12ihipStream_tbDpT10_ENKUlT_T0_E_clISt17integral_constantIbLb0EES19_IbLb1EEEEDaS15_S16_EUlS15_E_NS1_11comp_targetILNS1_3genE5ELNS1_11target_archE942ELNS1_3gpuE9ELNS1_3repE0EEENS1_30default_config_static_selectorELNS0_4arch9wavefront6targetE1EEEvT1_
                                        ; -- End function
	.section	.AMDGPU.csdata,"",@progbits
; Kernel info:
; codeLenInByte = 14484
; NumSgprs: 64
; NumVgprs: 66
; NumAgprs: 0
; TotalNumVgprs: 66
; ScratchSize: 0
; MemoryBound: 1
; FloatMode: 240
; IeeeMode: 1
; LDSByteSize: 28684 bytes/workgroup (compile time only)
; SGPRBlocks: 7
; VGPRBlocks: 8
; NumSGPRsForWavesPerEU: 64
; NumVGPRsForWavesPerEU: 66
; AccumOffset: 68
; Occupancy: 4
; WaveLimiterHint : 1
; COMPUTE_PGM_RSRC2:SCRATCH_EN: 0
; COMPUTE_PGM_RSRC2:USER_SGPR: 2
; COMPUTE_PGM_RSRC2:TRAP_HANDLER: 0
; COMPUTE_PGM_RSRC2:TGID_X_EN: 1
; COMPUTE_PGM_RSRC2:TGID_Y_EN: 0
; COMPUTE_PGM_RSRC2:TGID_Z_EN: 0
; COMPUTE_PGM_RSRC2:TIDIG_COMP_CNT: 0
; COMPUTE_PGM_RSRC3_GFX90A:ACCUM_OFFSET: 16
; COMPUTE_PGM_RSRC3_GFX90A:TG_SPLIT: 0
	.section	.text._ZN7rocprim17ROCPRIM_400000_NS6detail17trampoline_kernelINS0_14default_configENS1_25partition_config_selectorILNS1_17partition_subalgoE9EllbEEZZNS1_14partition_implILS5_9ELb0ES3_jPlS8_PNS0_10empty_typeENS0_5tupleIJS8_S9_EEENSB_IJS8_SA_EEENS0_18inequality_wrapperIZN2at6native12_GLOBAL__N_124unique_dim_cuda_templateIlEESt5tupleIJNSF_6TensorESK_SK_EERKSK_lbbbEUlllE0_EEPmJS9_EEE10hipError_tPvRmT3_T4_T5_T6_T7_T9_mT8_P12ihipStream_tbDpT10_ENKUlT_T0_E_clISt17integral_constantIbLb0EES19_IbLb1EEEEDaS15_S16_EUlS15_E_NS1_11comp_targetILNS1_3genE4ELNS1_11target_archE910ELNS1_3gpuE8ELNS1_3repE0EEENS1_30default_config_static_selectorELNS0_4arch9wavefront6targetE1EEEvT1_,"axG",@progbits,_ZN7rocprim17ROCPRIM_400000_NS6detail17trampoline_kernelINS0_14default_configENS1_25partition_config_selectorILNS1_17partition_subalgoE9EllbEEZZNS1_14partition_implILS5_9ELb0ES3_jPlS8_PNS0_10empty_typeENS0_5tupleIJS8_S9_EEENSB_IJS8_SA_EEENS0_18inequality_wrapperIZN2at6native12_GLOBAL__N_124unique_dim_cuda_templateIlEESt5tupleIJNSF_6TensorESK_SK_EERKSK_lbbbEUlllE0_EEPmJS9_EEE10hipError_tPvRmT3_T4_T5_T6_T7_T9_mT8_P12ihipStream_tbDpT10_ENKUlT_T0_E_clISt17integral_constantIbLb0EES19_IbLb1EEEEDaS15_S16_EUlS15_E_NS1_11comp_targetILNS1_3genE4ELNS1_11target_archE910ELNS1_3gpuE8ELNS1_3repE0EEENS1_30default_config_static_selectorELNS0_4arch9wavefront6targetE1EEEvT1_,comdat
	.globl	_ZN7rocprim17ROCPRIM_400000_NS6detail17trampoline_kernelINS0_14default_configENS1_25partition_config_selectorILNS1_17partition_subalgoE9EllbEEZZNS1_14partition_implILS5_9ELb0ES3_jPlS8_PNS0_10empty_typeENS0_5tupleIJS8_S9_EEENSB_IJS8_SA_EEENS0_18inequality_wrapperIZN2at6native12_GLOBAL__N_124unique_dim_cuda_templateIlEESt5tupleIJNSF_6TensorESK_SK_EERKSK_lbbbEUlllE0_EEPmJS9_EEE10hipError_tPvRmT3_T4_T5_T6_T7_T9_mT8_P12ihipStream_tbDpT10_ENKUlT_T0_E_clISt17integral_constantIbLb0EES19_IbLb1EEEEDaS15_S16_EUlS15_E_NS1_11comp_targetILNS1_3genE4ELNS1_11target_archE910ELNS1_3gpuE8ELNS1_3repE0EEENS1_30default_config_static_selectorELNS0_4arch9wavefront6targetE1EEEvT1_ ; -- Begin function _ZN7rocprim17ROCPRIM_400000_NS6detail17trampoline_kernelINS0_14default_configENS1_25partition_config_selectorILNS1_17partition_subalgoE9EllbEEZZNS1_14partition_implILS5_9ELb0ES3_jPlS8_PNS0_10empty_typeENS0_5tupleIJS8_S9_EEENSB_IJS8_SA_EEENS0_18inequality_wrapperIZN2at6native12_GLOBAL__N_124unique_dim_cuda_templateIlEESt5tupleIJNSF_6TensorESK_SK_EERKSK_lbbbEUlllE0_EEPmJS9_EEE10hipError_tPvRmT3_T4_T5_T6_T7_T9_mT8_P12ihipStream_tbDpT10_ENKUlT_T0_E_clISt17integral_constantIbLb0EES19_IbLb1EEEEDaS15_S16_EUlS15_E_NS1_11comp_targetILNS1_3genE4ELNS1_11target_archE910ELNS1_3gpuE8ELNS1_3repE0EEENS1_30default_config_static_selectorELNS0_4arch9wavefront6targetE1EEEvT1_
	.p2align	8
	.type	_ZN7rocprim17ROCPRIM_400000_NS6detail17trampoline_kernelINS0_14default_configENS1_25partition_config_selectorILNS1_17partition_subalgoE9EllbEEZZNS1_14partition_implILS5_9ELb0ES3_jPlS8_PNS0_10empty_typeENS0_5tupleIJS8_S9_EEENSB_IJS8_SA_EEENS0_18inequality_wrapperIZN2at6native12_GLOBAL__N_124unique_dim_cuda_templateIlEESt5tupleIJNSF_6TensorESK_SK_EERKSK_lbbbEUlllE0_EEPmJS9_EEE10hipError_tPvRmT3_T4_T5_T6_T7_T9_mT8_P12ihipStream_tbDpT10_ENKUlT_T0_E_clISt17integral_constantIbLb0EES19_IbLb1EEEEDaS15_S16_EUlS15_E_NS1_11comp_targetILNS1_3genE4ELNS1_11target_archE910ELNS1_3gpuE8ELNS1_3repE0EEENS1_30default_config_static_selectorELNS0_4arch9wavefront6targetE1EEEvT1_,@function
_ZN7rocprim17ROCPRIM_400000_NS6detail17trampoline_kernelINS0_14default_configENS1_25partition_config_selectorILNS1_17partition_subalgoE9EllbEEZZNS1_14partition_implILS5_9ELb0ES3_jPlS8_PNS0_10empty_typeENS0_5tupleIJS8_S9_EEENSB_IJS8_SA_EEENS0_18inequality_wrapperIZN2at6native12_GLOBAL__N_124unique_dim_cuda_templateIlEESt5tupleIJNSF_6TensorESK_SK_EERKSK_lbbbEUlllE0_EEPmJS9_EEE10hipError_tPvRmT3_T4_T5_T6_T7_T9_mT8_P12ihipStream_tbDpT10_ENKUlT_T0_E_clISt17integral_constantIbLb0EES19_IbLb1EEEEDaS15_S16_EUlS15_E_NS1_11comp_targetILNS1_3genE4ELNS1_11target_archE910ELNS1_3gpuE8ELNS1_3repE0EEENS1_30default_config_static_selectorELNS0_4arch9wavefront6targetE1EEEvT1_: ; @_ZN7rocprim17ROCPRIM_400000_NS6detail17trampoline_kernelINS0_14default_configENS1_25partition_config_selectorILNS1_17partition_subalgoE9EllbEEZZNS1_14partition_implILS5_9ELb0ES3_jPlS8_PNS0_10empty_typeENS0_5tupleIJS8_S9_EEENSB_IJS8_SA_EEENS0_18inequality_wrapperIZN2at6native12_GLOBAL__N_124unique_dim_cuda_templateIlEESt5tupleIJNSF_6TensorESK_SK_EERKSK_lbbbEUlllE0_EEPmJS9_EEE10hipError_tPvRmT3_T4_T5_T6_T7_T9_mT8_P12ihipStream_tbDpT10_ENKUlT_T0_E_clISt17integral_constantIbLb0EES19_IbLb1EEEEDaS15_S16_EUlS15_E_NS1_11comp_targetILNS1_3genE4ELNS1_11target_archE910ELNS1_3gpuE8ELNS1_3repE0EEENS1_30default_config_static_selectorELNS0_4arch9wavefront6targetE1EEEvT1_
; %bb.0:
	.section	.rodata,"a",@progbits
	.p2align	6, 0x0
	.amdhsa_kernel _ZN7rocprim17ROCPRIM_400000_NS6detail17trampoline_kernelINS0_14default_configENS1_25partition_config_selectorILNS1_17partition_subalgoE9EllbEEZZNS1_14partition_implILS5_9ELb0ES3_jPlS8_PNS0_10empty_typeENS0_5tupleIJS8_S9_EEENSB_IJS8_SA_EEENS0_18inequality_wrapperIZN2at6native12_GLOBAL__N_124unique_dim_cuda_templateIlEESt5tupleIJNSF_6TensorESK_SK_EERKSK_lbbbEUlllE0_EEPmJS9_EEE10hipError_tPvRmT3_T4_T5_T6_T7_T9_mT8_P12ihipStream_tbDpT10_ENKUlT_T0_E_clISt17integral_constantIbLb0EES19_IbLb1EEEEDaS15_S16_EUlS15_E_NS1_11comp_targetILNS1_3genE4ELNS1_11target_archE910ELNS1_3gpuE8ELNS1_3repE0EEENS1_30default_config_static_selectorELNS0_4arch9wavefront6targetE1EEEvT1_
		.amdhsa_group_segment_fixed_size 0
		.amdhsa_private_segment_fixed_size 0
		.amdhsa_kernarg_size 136
		.amdhsa_user_sgpr_count 2
		.amdhsa_user_sgpr_dispatch_ptr 0
		.amdhsa_user_sgpr_queue_ptr 0
		.amdhsa_user_sgpr_kernarg_segment_ptr 1
		.amdhsa_user_sgpr_dispatch_id 0
		.amdhsa_user_sgpr_kernarg_preload_length 0
		.amdhsa_user_sgpr_kernarg_preload_offset 0
		.amdhsa_user_sgpr_private_segment_size 0
		.amdhsa_uses_dynamic_stack 0
		.amdhsa_enable_private_segment 0
		.amdhsa_system_sgpr_workgroup_id_x 1
		.amdhsa_system_sgpr_workgroup_id_y 0
		.amdhsa_system_sgpr_workgroup_id_z 0
		.amdhsa_system_sgpr_workgroup_info 0
		.amdhsa_system_vgpr_workitem_id 0
		.amdhsa_next_free_vgpr 1
		.amdhsa_next_free_sgpr 0
		.amdhsa_accum_offset 4
		.amdhsa_reserve_vcc 0
		.amdhsa_float_round_mode_32 0
		.amdhsa_float_round_mode_16_64 0
		.amdhsa_float_denorm_mode_32 3
		.amdhsa_float_denorm_mode_16_64 3
		.amdhsa_dx10_clamp 1
		.amdhsa_ieee_mode 1
		.amdhsa_fp16_overflow 0
		.amdhsa_tg_split 0
		.amdhsa_exception_fp_ieee_invalid_op 0
		.amdhsa_exception_fp_denorm_src 0
		.amdhsa_exception_fp_ieee_div_zero 0
		.amdhsa_exception_fp_ieee_overflow 0
		.amdhsa_exception_fp_ieee_underflow 0
		.amdhsa_exception_fp_ieee_inexact 0
		.amdhsa_exception_int_div_zero 0
	.end_amdhsa_kernel
	.section	.text._ZN7rocprim17ROCPRIM_400000_NS6detail17trampoline_kernelINS0_14default_configENS1_25partition_config_selectorILNS1_17partition_subalgoE9EllbEEZZNS1_14partition_implILS5_9ELb0ES3_jPlS8_PNS0_10empty_typeENS0_5tupleIJS8_S9_EEENSB_IJS8_SA_EEENS0_18inequality_wrapperIZN2at6native12_GLOBAL__N_124unique_dim_cuda_templateIlEESt5tupleIJNSF_6TensorESK_SK_EERKSK_lbbbEUlllE0_EEPmJS9_EEE10hipError_tPvRmT3_T4_T5_T6_T7_T9_mT8_P12ihipStream_tbDpT10_ENKUlT_T0_E_clISt17integral_constantIbLb0EES19_IbLb1EEEEDaS15_S16_EUlS15_E_NS1_11comp_targetILNS1_3genE4ELNS1_11target_archE910ELNS1_3gpuE8ELNS1_3repE0EEENS1_30default_config_static_selectorELNS0_4arch9wavefront6targetE1EEEvT1_,"axG",@progbits,_ZN7rocprim17ROCPRIM_400000_NS6detail17trampoline_kernelINS0_14default_configENS1_25partition_config_selectorILNS1_17partition_subalgoE9EllbEEZZNS1_14partition_implILS5_9ELb0ES3_jPlS8_PNS0_10empty_typeENS0_5tupleIJS8_S9_EEENSB_IJS8_SA_EEENS0_18inequality_wrapperIZN2at6native12_GLOBAL__N_124unique_dim_cuda_templateIlEESt5tupleIJNSF_6TensorESK_SK_EERKSK_lbbbEUlllE0_EEPmJS9_EEE10hipError_tPvRmT3_T4_T5_T6_T7_T9_mT8_P12ihipStream_tbDpT10_ENKUlT_T0_E_clISt17integral_constantIbLb0EES19_IbLb1EEEEDaS15_S16_EUlS15_E_NS1_11comp_targetILNS1_3genE4ELNS1_11target_archE910ELNS1_3gpuE8ELNS1_3repE0EEENS1_30default_config_static_selectorELNS0_4arch9wavefront6targetE1EEEvT1_,comdat
.Lfunc_end625:
	.size	_ZN7rocprim17ROCPRIM_400000_NS6detail17trampoline_kernelINS0_14default_configENS1_25partition_config_selectorILNS1_17partition_subalgoE9EllbEEZZNS1_14partition_implILS5_9ELb0ES3_jPlS8_PNS0_10empty_typeENS0_5tupleIJS8_S9_EEENSB_IJS8_SA_EEENS0_18inequality_wrapperIZN2at6native12_GLOBAL__N_124unique_dim_cuda_templateIlEESt5tupleIJNSF_6TensorESK_SK_EERKSK_lbbbEUlllE0_EEPmJS9_EEE10hipError_tPvRmT3_T4_T5_T6_T7_T9_mT8_P12ihipStream_tbDpT10_ENKUlT_T0_E_clISt17integral_constantIbLb0EES19_IbLb1EEEEDaS15_S16_EUlS15_E_NS1_11comp_targetILNS1_3genE4ELNS1_11target_archE910ELNS1_3gpuE8ELNS1_3repE0EEENS1_30default_config_static_selectorELNS0_4arch9wavefront6targetE1EEEvT1_, .Lfunc_end625-_ZN7rocprim17ROCPRIM_400000_NS6detail17trampoline_kernelINS0_14default_configENS1_25partition_config_selectorILNS1_17partition_subalgoE9EllbEEZZNS1_14partition_implILS5_9ELb0ES3_jPlS8_PNS0_10empty_typeENS0_5tupleIJS8_S9_EEENSB_IJS8_SA_EEENS0_18inequality_wrapperIZN2at6native12_GLOBAL__N_124unique_dim_cuda_templateIlEESt5tupleIJNSF_6TensorESK_SK_EERKSK_lbbbEUlllE0_EEPmJS9_EEE10hipError_tPvRmT3_T4_T5_T6_T7_T9_mT8_P12ihipStream_tbDpT10_ENKUlT_T0_E_clISt17integral_constantIbLb0EES19_IbLb1EEEEDaS15_S16_EUlS15_E_NS1_11comp_targetILNS1_3genE4ELNS1_11target_archE910ELNS1_3gpuE8ELNS1_3repE0EEENS1_30default_config_static_selectorELNS0_4arch9wavefront6targetE1EEEvT1_
                                        ; -- End function
	.section	.AMDGPU.csdata,"",@progbits
; Kernel info:
; codeLenInByte = 0
; NumSgprs: 6
; NumVgprs: 0
; NumAgprs: 0
; TotalNumVgprs: 0
; ScratchSize: 0
; MemoryBound: 0
; FloatMode: 240
; IeeeMode: 1
; LDSByteSize: 0 bytes/workgroup (compile time only)
; SGPRBlocks: 0
; VGPRBlocks: 0
; NumSGPRsForWavesPerEU: 6
; NumVGPRsForWavesPerEU: 1
; AccumOffset: 4
; Occupancy: 8
; WaveLimiterHint : 0
; COMPUTE_PGM_RSRC2:SCRATCH_EN: 0
; COMPUTE_PGM_RSRC2:USER_SGPR: 2
; COMPUTE_PGM_RSRC2:TRAP_HANDLER: 0
; COMPUTE_PGM_RSRC2:TGID_X_EN: 1
; COMPUTE_PGM_RSRC2:TGID_Y_EN: 0
; COMPUTE_PGM_RSRC2:TGID_Z_EN: 0
; COMPUTE_PGM_RSRC2:TIDIG_COMP_CNT: 0
; COMPUTE_PGM_RSRC3_GFX90A:ACCUM_OFFSET: 0
; COMPUTE_PGM_RSRC3_GFX90A:TG_SPLIT: 0
	.section	.text._ZN7rocprim17ROCPRIM_400000_NS6detail17trampoline_kernelINS0_14default_configENS1_25partition_config_selectorILNS1_17partition_subalgoE9EllbEEZZNS1_14partition_implILS5_9ELb0ES3_jPlS8_PNS0_10empty_typeENS0_5tupleIJS8_S9_EEENSB_IJS8_SA_EEENS0_18inequality_wrapperIZN2at6native12_GLOBAL__N_124unique_dim_cuda_templateIlEESt5tupleIJNSF_6TensorESK_SK_EERKSK_lbbbEUlllE0_EEPmJS9_EEE10hipError_tPvRmT3_T4_T5_T6_T7_T9_mT8_P12ihipStream_tbDpT10_ENKUlT_T0_E_clISt17integral_constantIbLb0EES19_IbLb1EEEEDaS15_S16_EUlS15_E_NS1_11comp_targetILNS1_3genE3ELNS1_11target_archE908ELNS1_3gpuE7ELNS1_3repE0EEENS1_30default_config_static_selectorELNS0_4arch9wavefront6targetE1EEEvT1_,"axG",@progbits,_ZN7rocprim17ROCPRIM_400000_NS6detail17trampoline_kernelINS0_14default_configENS1_25partition_config_selectorILNS1_17partition_subalgoE9EllbEEZZNS1_14partition_implILS5_9ELb0ES3_jPlS8_PNS0_10empty_typeENS0_5tupleIJS8_S9_EEENSB_IJS8_SA_EEENS0_18inequality_wrapperIZN2at6native12_GLOBAL__N_124unique_dim_cuda_templateIlEESt5tupleIJNSF_6TensorESK_SK_EERKSK_lbbbEUlllE0_EEPmJS9_EEE10hipError_tPvRmT3_T4_T5_T6_T7_T9_mT8_P12ihipStream_tbDpT10_ENKUlT_T0_E_clISt17integral_constantIbLb0EES19_IbLb1EEEEDaS15_S16_EUlS15_E_NS1_11comp_targetILNS1_3genE3ELNS1_11target_archE908ELNS1_3gpuE7ELNS1_3repE0EEENS1_30default_config_static_selectorELNS0_4arch9wavefront6targetE1EEEvT1_,comdat
	.globl	_ZN7rocprim17ROCPRIM_400000_NS6detail17trampoline_kernelINS0_14default_configENS1_25partition_config_selectorILNS1_17partition_subalgoE9EllbEEZZNS1_14partition_implILS5_9ELb0ES3_jPlS8_PNS0_10empty_typeENS0_5tupleIJS8_S9_EEENSB_IJS8_SA_EEENS0_18inequality_wrapperIZN2at6native12_GLOBAL__N_124unique_dim_cuda_templateIlEESt5tupleIJNSF_6TensorESK_SK_EERKSK_lbbbEUlllE0_EEPmJS9_EEE10hipError_tPvRmT3_T4_T5_T6_T7_T9_mT8_P12ihipStream_tbDpT10_ENKUlT_T0_E_clISt17integral_constantIbLb0EES19_IbLb1EEEEDaS15_S16_EUlS15_E_NS1_11comp_targetILNS1_3genE3ELNS1_11target_archE908ELNS1_3gpuE7ELNS1_3repE0EEENS1_30default_config_static_selectorELNS0_4arch9wavefront6targetE1EEEvT1_ ; -- Begin function _ZN7rocprim17ROCPRIM_400000_NS6detail17trampoline_kernelINS0_14default_configENS1_25partition_config_selectorILNS1_17partition_subalgoE9EllbEEZZNS1_14partition_implILS5_9ELb0ES3_jPlS8_PNS0_10empty_typeENS0_5tupleIJS8_S9_EEENSB_IJS8_SA_EEENS0_18inequality_wrapperIZN2at6native12_GLOBAL__N_124unique_dim_cuda_templateIlEESt5tupleIJNSF_6TensorESK_SK_EERKSK_lbbbEUlllE0_EEPmJS9_EEE10hipError_tPvRmT3_T4_T5_T6_T7_T9_mT8_P12ihipStream_tbDpT10_ENKUlT_T0_E_clISt17integral_constantIbLb0EES19_IbLb1EEEEDaS15_S16_EUlS15_E_NS1_11comp_targetILNS1_3genE3ELNS1_11target_archE908ELNS1_3gpuE7ELNS1_3repE0EEENS1_30default_config_static_selectorELNS0_4arch9wavefront6targetE1EEEvT1_
	.p2align	8
	.type	_ZN7rocprim17ROCPRIM_400000_NS6detail17trampoline_kernelINS0_14default_configENS1_25partition_config_selectorILNS1_17partition_subalgoE9EllbEEZZNS1_14partition_implILS5_9ELb0ES3_jPlS8_PNS0_10empty_typeENS0_5tupleIJS8_S9_EEENSB_IJS8_SA_EEENS0_18inequality_wrapperIZN2at6native12_GLOBAL__N_124unique_dim_cuda_templateIlEESt5tupleIJNSF_6TensorESK_SK_EERKSK_lbbbEUlllE0_EEPmJS9_EEE10hipError_tPvRmT3_T4_T5_T6_T7_T9_mT8_P12ihipStream_tbDpT10_ENKUlT_T0_E_clISt17integral_constantIbLb0EES19_IbLb1EEEEDaS15_S16_EUlS15_E_NS1_11comp_targetILNS1_3genE3ELNS1_11target_archE908ELNS1_3gpuE7ELNS1_3repE0EEENS1_30default_config_static_selectorELNS0_4arch9wavefront6targetE1EEEvT1_,@function
_ZN7rocprim17ROCPRIM_400000_NS6detail17trampoline_kernelINS0_14default_configENS1_25partition_config_selectorILNS1_17partition_subalgoE9EllbEEZZNS1_14partition_implILS5_9ELb0ES3_jPlS8_PNS0_10empty_typeENS0_5tupleIJS8_S9_EEENSB_IJS8_SA_EEENS0_18inequality_wrapperIZN2at6native12_GLOBAL__N_124unique_dim_cuda_templateIlEESt5tupleIJNSF_6TensorESK_SK_EERKSK_lbbbEUlllE0_EEPmJS9_EEE10hipError_tPvRmT3_T4_T5_T6_T7_T9_mT8_P12ihipStream_tbDpT10_ENKUlT_T0_E_clISt17integral_constantIbLb0EES19_IbLb1EEEEDaS15_S16_EUlS15_E_NS1_11comp_targetILNS1_3genE3ELNS1_11target_archE908ELNS1_3gpuE7ELNS1_3repE0EEENS1_30default_config_static_selectorELNS0_4arch9wavefront6targetE1EEEvT1_: ; @_ZN7rocprim17ROCPRIM_400000_NS6detail17trampoline_kernelINS0_14default_configENS1_25partition_config_selectorILNS1_17partition_subalgoE9EllbEEZZNS1_14partition_implILS5_9ELb0ES3_jPlS8_PNS0_10empty_typeENS0_5tupleIJS8_S9_EEENSB_IJS8_SA_EEENS0_18inequality_wrapperIZN2at6native12_GLOBAL__N_124unique_dim_cuda_templateIlEESt5tupleIJNSF_6TensorESK_SK_EERKSK_lbbbEUlllE0_EEPmJS9_EEE10hipError_tPvRmT3_T4_T5_T6_T7_T9_mT8_P12ihipStream_tbDpT10_ENKUlT_T0_E_clISt17integral_constantIbLb0EES19_IbLb1EEEEDaS15_S16_EUlS15_E_NS1_11comp_targetILNS1_3genE3ELNS1_11target_archE908ELNS1_3gpuE7ELNS1_3repE0EEENS1_30default_config_static_selectorELNS0_4arch9wavefront6targetE1EEEvT1_
; %bb.0:
	.section	.rodata,"a",@progbits
	.p2align	6, 0x0
	.amdhsa_kernel _ZN7rocprim17ROCPRIM_400000_NS6detail17trampoline_kernelINS0_14default_configENS1_25partition_config_selectorILNS1_17partition_subalgoE9EllbEEZZNS1_14partition_implILS5_9ELb0ES3_jPlS8_PNS0_10empty_typeENS0_5tupleIJS8_S9_EEENSB_IJS8_SA_EEENS0_18inequality_wrapperIZN2at6native12_GLOBAL__N_124unique_dim_cuda_templateIlEESt5tupleIJNSF_6TensorESK_SK_EERKSK_lbbbEUlllE0_EEPmJS9_EEE10hipError_tPvRmT3_T4_T5_T6_T7_T9_mT8_P12ihipStream_tbDpT10_ENKUlT_T0_E_clISt17integral_constantIbLb0EES19_IbLb1EEEEDaS15_S16_EUlS15_E_NS1_11comp_targetILNS1_3genE3ELNS1_11target_archE908ELNS1_3gpuE7ELNS1_3repE0EEENS1_30default_config_static_selectorELNS0_4arch9wavefront6targetE1EEEvT1_
		.amdhsa_group_segment_fixed_size 0
		.amdhsa_private_segment_fixed_size 0
		.amdhsa_kernarg_size 136
		.amdhsa_user_sgpr_count 2
		.amdhsa_user_sgpr_dispatch_ptr 0
		.amdhsa_user_sgpr_queue_ptr 0
		.amdhsa_user_sgpr_kernarg_segment_ptr 1
		.amdhsa_user_sgpr_dispatch_id 0
		.amdhsa_user_sgpr_kernarg_preload_length 0
		.amdhsa_user_sgpr_kernarg_preload_offset 0
		.amdhsa_user_sgpr_private_segment_size 0
		.amdhsa_uses_dynamic_stack 0
		.amdhsa_enable_private_segment 0
		.amdhsa_system_sgpr_workgroup_id_x 1
		.amdhsa_system_sgpr_workgroup_id_y 0
		.amdhsa_system_sgpr_workgroup_id_z 0
		.amdhsa_system_sgpr_workgroup_info 0
		.amdhsa_system_vgpr_workitem_id 0
		.amdhsa_next_free_vgpr 1
		.amdhsa_next_free_sgpr 0
		.amdhsa_accum_offset 4
		.amdhsa_reserve_vcc 0
		.amdhsa_float_round_mode_32 0
		.amdhsa_float_round_mode_16_64 0
		.amdhsa_float_denorm_mode_32 3
		.amdhsa_float_denorm_mode_16_64 3
		.amdhsa_dx10_clamp 1
		.amdhsa_ieee_mode 1
		.amdhsa_fp16_overflow 0
		.amdhsa_tg_split 0
		.amdhsa_exception_fp_ieee_invalid_op 0
		.amdhsa_exception_fp_denorm_src 0
		.amdhsa_exception_fp_ieee_div_zero 0
		.amdhsa_exception_fp_ieee_overflow 0
		.amdhsa_exception_fp_ieee_underflow 0
		.amdhsa_exception_fp_ieee_inexact 0
		.amdhsa_exception_int_div_zero 0
	.end_amdhsa_kernel
	.section	.text._ZN7rocprim17ROCPRIM_400000_NS6detail17trampoline_kernelINS0_14default_configENS1_25partition_config_selectorILNS1_17partition_subalgoE9EllbEEZZNS1_14partition_implILS5_9ELb0ES3_jPlS8_PNS0_10empty_typeENS0_5tupleIJS8_S9_EEENSB_IJS8_SA_EEENS0_18inequality_wrapperIZN2at6native12_GLOBAL__N_124unique_dim_cuda_templateIlEESt5tupleIJNSF_6TensorESK_SK_EERKSK_lbbbEUlllE0_EEPmJS9_EEE10hipError_tPvRmT3_T4_T5_T6_T7_T9_mT8_P12ihipStream_tbDpT10_ENKUlT_T0_E_clISt17integral_constantIbLb0EES19_IbLb1EEEEDaS15_S16_EUlS15_E_NS1_11comp_targetILNS1_3genE3ELNS1_11target_archE908ELNS1_3gpuE7ELNS1_3repE0EEENS1_30default_config_static_selectorELNS0_4arch9wavefront6targetE1EEEvT1_,"axG",@progbits,_ZN7rocprim17ROCPRIM_400000_NS6detail17trampoline_kernelINS0_14default_configENS1_25partition_config_selectorILNS1_17partition_subalgoE9EllbEEZZNS1_14partition_implILS5_9ELb0ES3_jPlS8_PNS0_10empty_typeENS0_5tupleIJS8_S9_EEENSB_IJS8_SA_EEENS0_18inequality_wrapperIZN2at6native12_GLOBAL__N_124unique_dim_cuda_templateIlEESt5tupleIJNSF_6TensorESK_SK_EERKSK_lbbbEUlllE0_EEPmJS9_EEE10hipError_tPvRmT3_T4_T5_T6_T7_T9_mT8_P12ihipStream_tbDpT10_ENKUlT_T0_E_clISt17integral_constantIbLb0EES19_IbLb1EEEEDaS15_S16_EUlS15_E_NS1_11comp_targetILNS1_3genE3ELNS1_11target_archE908ELNS1_3gpuE7ELNS1_3repE0EEENS1_30default_config_static_selectorELNS0_4arch9wavefront6targetE1EEEvT1_,comdat
.Lfunc_end626:
	.size	_ZN7rocprim17ROCPRIM_400000_NS6detail17trampoline_kernelINS0_14default_configENS1_25partition_config_selectorILNS1_17partition_subalgoE9EllbEEZZNS1_14partition_implILS5_9ELb0ES3_jPlS8_PNS0_10empty_typeENS0_5tupleIJS8_S9_EEENSB_IJS8_SA_EEENS0_18inequality_wrapperIZN2at6native12_GLOBAL__N_124unique_dim_cuda_templateIlEESt5tupleIJNSF_6TensorESK_SK_EERKSK_lbbbEUlllE0_EEPmJS9_EEE10hipError_tPvRmT3_T4_T5_T6_T7_T9_mT8_P12ihipStream_tbDpT10_ENKUlT_T0_E_clISt17integral_constantIbLb0EES19_IbLb1EEEEDaS15_S16_EUlS15_E_NS1_11comp_targetILNS1_3genE3ELNS1_11target_archE908ELNS1_3gpuE7ELNS1_3repE0EEENS1_30default_config_static_selectorELNS0_4arch9wavefront6targetE1EEEvT1_, .Lfunc_end626-_ZN7rocprim17ROCPRIM_400000_NS6detail17trampoline_kernelINS0_14default_configENS1_25partition_config_selectorILNS1_17partition_subalgoE9EllbEEZZNS1_14partition_implILS5_9ELb0ES3_jPlS8_PNS0_10empty_typeENS0_5tupleIJS8_S9_EEENSB_IJS8_SA_EEENS0_18inequality_wrapperIZN2at6native12_GLOBAL__N_124unique_dim_cuda_templateIlEESt5tupleIJNSF_6TensorESK_SK_EERKSK_lbbbEUlllE0_EEPmJS9_EEE10hipError_tPvRmT3_T4_T5_T6_T7_T9_mT8_P12ihipStream_tbDpT10_ENKUlT_T0_E_clISt17integral_constantIbLb0EES19_IbLb1EEEEDaS15_S16_EUlS15_E_NS1_11comp_targetILNS1_3genE3ELNS1_11target_archE908ELNS1_3gpuE7ELNS1_3repE0EEENS1_30default_config_static_selectorELNS0_4arch9wavefront6targetE1EEEvT1_
                                        ; -- End function
	.section	.AMDGPU.csdata,"",@progbits
; Kernel info:
; codeLenInByte = 0
; NumSgprs: 6
; NumVgprs: 0
; NumAgprs: 0
; TotalNumVgprs: 0
; ScratchSize: 0
; MemoryBound: 0
; FloatMode: 240
; IeeeMode: 1
; LDSByteSize: 0 bytes/workgroup (compile time only)
; SGPRBlocks: 0
; VGPRBlocks: 0
; NumSGPRsForWavesPerEU: 6
; NumVGPRsForWavesPerEU: 1
; AccumOffset: 4
; Occupancy: 8
; WaveLimiterHint : 0
; COMPUTE_PGM_RSRC2:SCRATCH_EN: 0
; COMPUTE_PGM_RSRC2:USER_SGPR: 2
; COMPUTE_PGM_RSRC2:TRAP_HANDLER: 0
; COMPUTE_PGM_RSRC2:TGID_X_EN: 1
; COMPUTE_PGM_RSRC2:TGID_Y_EN: 0
; COMPUTE_PGM_RSRC2:TGID_Z_EN: 0
; COMPUTE_PGM_RSRC2:TIDIG_COMP_CNT: 0
; COMPUTE_PGM_RSRC3_GFX90A:ACCUM_OFFSET: 0
; COMPUTE_PGM_RSRC3_GFX90A:TG_SPLIT: 0
	.section	.text._ZN7rocprim17ROCPRIM_400000_NS6detail17trampoline_kernelINS0_14default_configENS1_25partition_config_selectorILNS1_17partition_subalgoE9EllbEEZZNS1_14partition_implILS5_9ELb0ES3_jPlS8_PNS0_10empty_typeENS0_5tupleIJS8_S9_EEENSB_IJS8_SA_EEENS0_18inequality_wrapperIZN2at6native12_GLOBAL__N_124unique_dim_cuda_templateIlEESt5tupleIJNSF_6TensorESK_SK_EERKSK_lbbbEUlllE0_EEPmJS9_EEE10hipError_tPvRmT3_T4_T5_T6_T7_T9_mT8_P12ihipStream_tbDpT10_ENKUlT_T0_E_clISt17integral_constantIbLb0EES19_IbLb1EEEEDaS15_S16_EUlS15_E_NS1_11comp_targetILNS1_3genE2ELNS1_11target_archE906ELNS1_3gpuE6ELNS1_3repE0EEENS1_30default_config_static_selectorELNS0_4arch9wavefront6targetE1EEEvT1_,"axG",@progbits,_ZN7rocprim17ROCPRIM_400000_NS6detail17trampoline_kernelINS0_14default_configENS1_25partition_config_selectorILNS1_17partition_subalgoE9EllbEEZZNS1_14partition_implILS5_9ELb0ES3_jPlS8_PNS0_10empty_typeENS0_5tupleIJS8_S9_EEENSB_IJS8_SA_EEENS0_18inequality_wrapperIZN2at6native12_GLOBAL__N_124unique_dim_cuda_templateIlEESt5tupleIJNSF_6TensorESK_SK_EERKSK_lbbbEUlllE0_EEPmJS9_EEE10hipError_tPvRmT3_T4_T5_T6_T7_T9_mT8_P12ihipStream_tbDpT10_ENKUlT_T0_E_clISt17integral_constantIbLb0EES19_IbLb1EEEEDaS15_S16_EUlS15_E_NS1_11comp_targetILNS1_3genE2ELNS1_11target_archE906ELNS1_3gpuE6ELNS1_3repE0EEENS1_30default_config_static_selectorELNS0_4arch9wavefront6targetE1EEEvT1_,comdat
	.globl	_ZN7rocprim17ROCPRIM_400000_NS6detail17trampoline_kernelINS0_14default_configENS1_25partition_config_selectorILNS1_17partition_subalgoE9EllbEEZZNS1_14partition_implILS5_9ELb0ES3_jPlS8_PNS0_10empty_typeENS0_5tupleIJS8_S9_EEENSB_IJS8_SA_EEENS0_18inequality_wrapperIZN2at6native12_GLOBAL__N_124unique_dim_cuda_templateIlEESt5tupleIJNSF_6TensorESK_SK_EERKSK_lbbbEUlllE0_EEPmJS9_EEE10hipError_tPvRmT3_T4_T5_T6_T7_T9_mT8_P12ihipStream_tbDpT10_ENKUlT_T0_E_clISt17integral_constantIbLb0EES19_IbLb1EEEEDaS15_S16_EUlS15_E_NS1_11comp_targetILNS1_3genE2ELNS1_11target_archE906ELNS1_3gpuE6ELNS1_3repE0EEENS1_30default_config_static_selectorELNS0_4arch9wavefront6targetE1EEEvT1_ ; -- Begin function _ZN7rocprim17ROCPRIM_400000_NS6detail17trampoline_kernelINS0_14default_configENS1_25partition_config_selectorILNS1_17partition_subalgoE9EllbEEZZNS1_14partition_implILS5_9ELb0ES3_jPlS8_PNS0_10empty_typeENS0_5tupleIJS8_S9_EEENSB_IJS8_SA_EEENS0_18inequality_wrapperIZN2at6native12_GLOBAL__N_124unique_dim_cuda_templateIlEESt5tupleIJNSF_6TensorESK_SK_EERKSK_lbbbEUlllE0_EEPmJS9_EEE10hipError_tPvRmT3_T4_T5_T6_T7_T9_mT8_P12ihipStream_tbDpT10_ENKUlT_T0_E_clISt17integral_constantIbLb0EES19_IbLb1EEEEDaS15_S16_EUlS15_E_NS1_11comp_targetILNS1_3genE2ELNS1_11target_archE906ELNS1_3gpuE6ELNS1_3repE0EEENS1_30default_config_static_selectorELNS0_4arch9wavefront6targetE1EEEvT1_
	.p2align	8
	.type	_ZN7rocprim17ROCPRIM_400000_NS6detail17trampoline_kernelINS0_14default_configENS1_25partition_config_selectorILNS1_17partition_subalgoE9EllbEEZZNS1_14partition_implILS5_9ELb0ES3_jPlS8_PNS0_10empty_typeENS0_5tupleIJS8_S9_EEENSB_IJS8_SA_EEENS0_18inequality_wrapperIZN2at6native12_GLOBAL__N_124unique_dim_cuda_templateIlEESt5tupleIJNSF_6TensorESK_SK_EERKSK_lbbbEUlllE0_EEPmJS9_EEE10hipError_tPvRmT3_T4_T5_T6_T7_T9_mT8_P12ihipStream_tbDpT10_ENKUlT_T0_E_clISt17integral_constantIbLb0EES19_IbLb1EEEEDaS15_S16_EUlS15_E_NS1_11comp_targetILNS1_3genE2ELNS1_11target_archE906ELNS1_3gpuE6ELNS1_3repE0EEENS1_30default_config_static_selectorELNS0_4arch9wavefront6targetE1EEEvT1_,@function
_ZN7rocprim17ROCPRIM_400000_NS6detail17trampoline_kernelINS0_14default_configENS1_25partition_config_selectorILNS1_17partition_subalgoE9EllbEEZZNS1_14partition_implILS5_9ELb0ES3_jPlS8_PNS0_10empty_typeENS0_5tupleIJS8_S9_EEENSB_IJS8_SA_EEENS0_18inequality_wrapperIZN2at6native12_GLOBAL__N_124unique_dim_cuda_templateIlEESt5tupleIJNSF_6TensorESK_SK_EERKSK_lbbbEUlllE0_EEPmJS9_EEE10hipError_tPvRmT3_T4_T5_T6_T7_T9_mT8_P12ihipStream_tbDpT10_ENKUlT_T0_E_clISt17integral_constantIbLb0EES19_IbLb1EEEEDaS15_S16_EUlS15_E_NS1_11comp_targetILNS1_3genE2ELNS1_11target_archE906ELNS1_3gpuE6ELNS1_3repE0EEENS1_30default_config_static_selectorELNS0_4arch9wavefront6targetE1EEEvT1_: ; @_ZN7rocprim17ROCPRIM_400000_NS6detail17trampoline_kernelINS0_14default_configENS1_25partition_config_selectorILNS1_17partition_subalgoE9EllbEEZZNS1_14partition_implILS5_9ELb0ES3_jPlS8_PNS0_10empty_typeENS0_5tupleIJS8_S9_EEENSB_IJS8_SA_EEENS0_18inequality_wrapperIZN2at6native12_GLOBAL__N_124unique_dim_cuda_templateIlEESt5tupleIJNSF_6TensorESK_SK_EERKSK_lbbbEUlllE0_EEPmJS9_EEE10hipError_tPvRmT3_T4_T5_T6_T7_T9_mT8_P12ihipStream_tbDpT10_ENKUlT_T0_E_clISt17integral_constantIbLb0EES19_IbLb1EEEEDaS15_S16_EUlS15_E_NS1_11comp_targetILNS1_3genE2ELNS1_11target_archE906ELNS1_3gpuE6ELNS1_3repE0EEENS1_30default_config_static_selectorELNS0_4arch9wavefront6targetE1EEEvT1_
; %bb.0:
	.section	.rodata,"a",@progbits
	.p2align	6, 0x0
	.amdhsa_kernel _ZN7rocprim17ROCPRIM_400000_NS6detail17trampoline_kernelINS0_14default_configENS1_25partition_config_selectorILNS1_17partition_subalgoE9EllbEEZZNS1_14partition_implILS5_9ELb0ES3_jPlS8_PNS0_10empty_typeENS0_5tupleIJS8_S9_EEENSB_IJS8_SA_EEENS0_18inequality_wrapperIZN2at6native12_GLOBAL__N_124unique_dim_cuda_templateIlEESt5tupleIJNSF_6TensorESK_SK_EERKSK_lbbbEUlllE0_EEPmJS9_EEE10hipError_tPvRmT3_T4_T5_T6_T7_T9_mT8_P12ihipStream_tbDpT10_ENKUlT_T0_E_clISt17integral_constantIbLb0EES19_IbLb1EEEEDaS15_S16_EUlS15_E_NS1_11comp_targetILNS1_3genE2ELNS1_11target_archE906ELNS1_3gpuE6ELNS1_3repE0EEENS1_30default_config_static_selectorELNS0_4arch9wavefront6targetE1EEEvT1_
		.amdhsa_group_segment_fixed_size 0
		.amdhsa_private_segment_fixed_size 0
		.amdhsa_kernarg_size 136
		.amdhsa_user_sgpr_count 2
		.amdhsa_user_sgpr_dispatch_ptr 0
		.amdhsa_user_sgpr_queue_ptr 0
		.amdhsa_user_sgpr_kernarg_segment_ptr 1
		.amdhsa_user_sgpr_dispatch_id 0
		.amdhsa_user_sgpr_kernarg_preload_length 0
		.amdhsa_user_sgpr_kernarg_preload_offset 0
		.amdhsa_user_sgpr_private_segment_size 0
		.amdhsa_uses_dynamic_stack 0
		.amdhsa_enable_private_segment 0
		.amdhsa_system_sgpr_workgroup_id_x 1
		.amdhsa_system_sgpr_workgroup_id_y 0
		.amdhsa_system_sgpr_workgroup_id_z 0
		.amdhsa_system_sgpr_workgroup_info 0
		.amdhsa_system_vgpr_workitem_id 0
		.amdhsa_next_free_vgpr 1
		.amdhsa_next_free_sgpr 0
		.amdhsa_accum_offset 4
		.amdhsa_reserve_vcc 0
		.amdhsa_float_round_mode_32 0
		.amdhsa_float_round_mode_16_64 0
		.amdhsa_float_denorm_mode_32 3
		.amdhsa_float_denorm_mode_16_64 3
		.amdhsa_dx10_clamp 1
		.amdhsa_ieee_mode 1
		.amdhsa_fp16_overflow 0
		.amdhsa_tg_split 0
		.amdhsa_exception_fp_ieee_invalid_op 0
		.amdhsa_exception_fp_denorm_src 0
		.amdhsa_exception_fp_ieee_div_zero 0
		.amdhsa_exception_fp_ieee_overflow 0
		.amdhsa_exception_fp_ieee_underflow 0
		.amdhsa_exception_fp_ieee_inexact 0
		.amdhsa_exception_int_div_zero 0
	.end_amdhsa_kernel
	.section	.text._ZN7rocprim17ROCPRIM_400000_NS6detail17trampoline_kernelINS0_14default_configENS1_25partition_config_selectorILNS1_17partition_subalgoE9EllbEEZZNS1_14partition_implILS5_9ELb0ES3_jPlS8_PNS0_10empty_typeENS0_5tupleIJS8_S9_EEENSB_IJS8_SA_EEENS0_18inequality_wrapperIZN2at6native12_GLOBAL__N_124unique_dim_cuda_templateIlEESt5tupleIJNSF_6TensorESK_SK_EERKSK_lbbbEUlllE0_EEPmJS9_EEE10hipError_tPvRmT3_T4_T5_T6_T7_T9_mT8_P12ihipStream_tbDpT10_ENKUlT_T0_E_clISt17integral_constantIbLb0EES19_IbLb1EEEEDaS15_S16_EUlS15_E_NS1_11comp_targetILNS1_3genE2ELNS1_11target_archE906ELNS1_3gpuE6ELNS1_3repE0EEENS1_30default_config_static_selectorELNS0_4arch9wavefront6targetE1EEEvT1_,"axG",@progbits,_ZN7rocprim17ROCPRIM_400000_NS6detail17trampoline_kernelINS0_14default_configENS1_25partition_config_selectorILNS1_17partition_subalgoE9EllbEEZZNS1_14partition_implILS5_9ELb0ES3_jPlS8_PNS0_10empty_typeENS0_5tupleIJS8_S9_EEENSB_IJS8_SA_EEENS0_18inequality_wrapperIZN2at6native12_GLOBAL__N_124unique_dim_cuda_templateIlEESt5tupleIJNSF_6TensorESK_SK_EERKSK_lbbbEUlllE0_EEPmJS9_EEE10hipError_tPvRmT3_T4_T5_T6_T7_T9_mT8_P12ihipStream_tbDpT10_ENKUlT_T0_E_clISt17integral_constantIbLb0EES19_IbLb1EEEEDaS15_S16_EUlS15_E_NS1_11comp_targetILNS1_3genE2ELNS1_11target_archE906ELNS1_3gpuE6ELNS1_3repE0EEENS1_30default_config_static_selectorELNS0_4arch9wavefront6targetE1EEEvT1_,comdat
.Lfunc_end627:
	.size	_ZN7rocprim17ROCPRIM_400000_NS6detail17trampoline_kernelINS0_14default_configENS1_25partition_config_selectorILNS1_17partition_subalgoE9EllbEEZZNS1_14partition_implILS5_9ELb0ES3_jPlS8_PNS0_10empty_typeENS0_5tupleIJS8_S9_EEENSB_IJS8_SA_EEENS0_18inequality_wrapperIZN2at6native12_GLOBAL__N_124unique_dim_cuda_templateIlEESt5tupleIJNSF_6TensorESK_SK_EERKSK_lbbbEUlllE0_EEPmJS9_EEE10hipError_tPvRmT3_T4_T5_T6_T7_T9_mT8_P12ihipStream_tbDpT10_ENKUlT_T0_E_clISt17integral_constantIbLb0EES19_IbLb1EEEEDaS15_S16_EUlS15_E_NS1_11comp_targetILNS1_3genE2ELNS1_11target_archE906ELNS1_3gpuE6ELNS1_3repE0EEENS1_30default_config_static_selectorELNS0_4arch9wavefront6targetE1EEEvT1_, .Lfunc_end627-_ZN7rocprim17ROCPRIM_400000_NS6detail17trampoline_kernelINS0_14default_configENS1_25partition_config_selectorILNS1_17partition_subalgoE9EllbEEZZNS1_14partition_implILS5_9ELb0ES3_jPlS8_PNS0_10empty_typeENS0_5tupleIJS8_S9_EEENSB_IJS8_SA_EEENS0_18inequality_wrapperIZN2at6native12_GLOBAL__N_124unique_dim_cuda_templateIlEESt5tupleIJNSF_6TensorESK_SK_EERKSK_lbbbEUlllE0_EEPmJS9_EEE10hipError_tPvRmT3_T4_T5_T6_T7_T9_mT8_P12ihipStream_tbDpT10_ENKUlT_T0_E_clISt17integral_constantIbLb0EES19_IbLb1EEEEDaS15_S16_EUlS15_E_NS1_11comp_targetILNS1_3genE2ELNS1_11target_archE906ELNS1_3gpuE6ELNS1_3repE0EEENS1_30default_config_static_selectorELNS0_4arch9wavefront6targetE1EEEvT1_
                                        ; -- End function
	.section	.AMDGPU.csdata,"",@progbits
; Kernel info:
; codeLenInByte = 0
; NumSgprs: 6
; NumVgprs: 0
; NumAgprs: 0
; TotalNumVgprs: 0
; ScratchSize: 0
; MemoryBound: 0
; FloatMode: 240
; IeeeMode: 1
; LDSByteSize: 0 bytes/workgroup (compile time only)
; SGPRBlocks: 0
; VGPRBlocks: 0
; NumSGPRsForWavesPerEU: 6
; NumVGPRsForWavesPerEU: 1
; AccumOffset: 4
; Occupancy: 8
; WaveLimiterHint : 0
; COMPUTE_PGM_RSRC2:SCRATCH_EN: 0
; COMPUTE_PGM_RSRC2:USER_SGPR: 2
; COMPUTE_PGM_RSRC2:TRAP_HANDLER: 0
; COMPUTE_PGM_RSRC2:TGID_X_EN: 1
; COMPUTE_PGM_RSRC2:TGID_Y_EN: 0
; COMPUTE_PGM_RSRC2:TGID_Z_EN: 0
; COMPUTE_PGM_RSRC2:TIDIG_COMP_CNT: 0
; COMPUTE_PGM_RSRC3_GFX90A:ACCUM_OFFSET: 0
; COMPUTE_PGM_RSRC3_GFX90A:TG_SPLIT: 0
	.section	.text._ZN7rocprim17ROCPRIM_400000_NS6detail17trampoline_kernelINS0_14default_configENS1_25partition_config_selectorILNS1_17partition_subalgoE9EllbEEZZNS1_14partition_implILS5_9ELb0ES3_jPlS8_PNS0_10empty_typeENS0_5tupleIJS8_S9_EEENSB_IJS8_SA_EEENS0_18inequality_wrapperIZN2at6native12_GLOBAL__N_124unique_dim_cuda_templateIlEESt5tupleIJNSF_6TensorESK_SK_EERKSK_lbbbEUlllE0_EEPmJS9_EEE10hipError_tPvRmT3_T4_T5_T6_T7_T9_mT8_P12ihipStream_tbDpT10_ENKUlT_T0_E_clISt17integral_constantIbLb0EES19_IbLb1EEEEDaS15_S16_EUlS15_E_NS1_11comp_targetILNS1_3genE10ELNS1_11target_archE1200ELNS1_3gpuE4ELNS1_3repE0EEENS1_30default_config_static_selectorELNS0_4arch9wavefront6targetE1EEEvT1_,"axG",@progbits,_ZN7rocprim17ROCPRIM_400000_NS6detail17trampoline_kernelINS0_14default_configENS1_25partition_config_selectorILNS1_17partition_subalgoE9EllbEEZZNS1_14partition_implILS5_9ELb0ES3_jPlS8_PNS0_10empty_typeENS0_5tupleIJS8_S9_EEENSB_IJS8_SA_EEENS0_18inequality_wrapperIZN2at6native12_GLOBAL__N_124unique_dim_cuda_templateIlEESt5tupleIJNSF_6TensorESK_SK_EERKSK_lbbbEUlllE0_EEPmJS9_EEE10hipError_tPvRmT3_T4_T5_T6_T7_T9_mT8_P12ihipStream_tbDpT10_ENKUlT_T0_E_clISt17integral_constantIbLb0EES19_IbLb1EEEEDaS15_S16_EUlS15_E_NS1_11comp_targetILNS1_3genE10ELNS1_11target_archE1200ELNS1_3gpuE4ELNS1_3repE0EEENS1_30default_config_static_selectorELNS0_4arch9wavefront6targetE1EEEvT1_,comdat
	.globl	_ZN7rocprim17ROCPRIM_400000_NS6detail17trampoline_kernelINS0_14default_configENS1_25partition_config_selectorILNS1_17partition_subalgoE9EllbEEZZNS1_14partition_implILS5_9ELb0ES3_jPlS8_PNS0_10empty_typeENS0_5tupleIJS8_S9_EEENSB_IJS8_SA_EEENS0_18inequality_wrapperIZN2at6native12_GLOBAL__N_124unique_dim_cuda_templateIlEESt5tupleIJNSF_6TensorESK_SK_EERKSK_lbbbEUlllE0_EEPmJS9_EEE10hipError_tPvRmT3_T4_T5_T6_T7_T9_mT8_P12ihipStream_tbDpT10_ENKUlT_T0_E_clISt17integral_constantIbLb0EES19_IbLb1EEEEDaS15_S16_EUlS15_E_NS1_11comp_targetILNS1_3genE10ELNS1_11target_archE1200ELNS1_3gpuE4ELNS1_3repE0EEENS1_30default_config_static_selectorELNS0_4arch9wavefront6targetE1EEEvT1_ ; -- Begin function _ZN7rocprim17ROCPRIM_400000_NS6detail17trampoline_kernelINS0_14default_configENS1_25partition_config_selectorILNS1_17partition_subalgoE9EllbEEZZNS1_14partition_implILS5_9ELb0ES3_jPlS8_PNS0_10empty_typeENS0_5tupleIJS8_S9_EEENSB_IJS8_SA_EEENS0_18inequality_wrapperIZN2at6native12_GLOBAL__N_124unique_dim_cuda_templateIlEESt5tupleIJNSF_6TensorESK_SK_EERKSK_lbbbEUlllE0_EEPmJS9_EEE10hipError_tPvRmT3_T4_T5_T6_T7_T9_mT8_P12ihipStream_tbDpT10_ENKUlT_T0_E_clISt17integral_constantIbLb0EES19_IbLb1EEEEDaS15_S16_EUlS15_E_NS1_11comp_targetILNS1_3genE10ELNS1_11target_archE1200ELNS1_3gpuE4ELNS1_3repE0EEENS1_30default_config_static_selectorELNS0_4arch9wavefront6targetE1EEEvT1_
	.p2align	8
	.type	_ZN7rocprim17ROCPRIM_400000_NS6detail17trampoline_kernelINS0_14default_configENS1_25partition_config_selectorILNS1_17partition_subalgoE9EllbEEZZNS1_14partition_implILS5_9ELb0ES3_jPlS8_PNS0_10empty_typeENS0_5tupleIJS8_S9_EEENSB_IJS8_SA_EEENS0_18inequality_wrapperIZN2at6native12_GLOBAL__N_124unique_dim_cuda_templateIlEESt5tupleIJNSF_6TensorESK_SK_EERKSK_lbbbEUlllE0_EEPmJS9_EEE10hipError_tPvRmT3_T4_T5_T6_T7_T9_mT8_P12ihipStream_tbDpT10_ENKUlT_T0_E_clISt17integral_constantIbLb0EES19_IbLb1EEEEDaS15_S16_EUlS15_E_NS1_11comp_targetILNS1_3genE10ELNS1_11target_archE1200ELNS1_3gpuE4ELNS1_3repE0EEENS1_30default_config_static_selectorELNS0_4arch9wavefront6targetE1EEEvT1_,@function
_ZN7rocprim17ROCPRIM_400000_NS6detail17trampoline_kernelINS0_14default_configENS1_25partition_config_selectorILNS1_17partition_subalgoE9EllbEEZZNS1_14partition_implILS5_9ELb0ES3_jPlS8_PNS0_10empty_typeENS0_5tupleIJS8_S9_EEENSB_IJS8_SA_EEENS0_18inequality_wrapperIZN2at6native12_GLOBAL__N_124unique_dim_cuda_templateIlEESt5tupleIJNSF_6TensorESK_SK_EERKSK_lbbbEUlllE0_EEPmJS9_EEE10hipError_tPvRmT3_T4_T5_T6_T7_T9_mT8_P12ihipStream_tbDpT10_ENKUlT_T0_E_clISt17integral_constantIbLb0EES19_IbLb1EEEEDaS15_S16_EUlS15_E_NS1_11comp_targetILNS1_3genE10ELNS1_11target_archE1200ELNS1_3gpuE4ELNS1_3repE0EEENS1_30default_config_static_selectorELNS0_4arch9wavefront6targetE1EEEvT1_: ; @_ZN7rocprim17ROCPRIM_400000_NS6detail17trampoline_kernelINS0_14default_configENS1_25partition_config_selectorILNS1_17partition_subalgoE9EllbEEZZNS1_14partition_implILS5_9ELb0ES3_jPlS8_PNS0_10empty_typeENS0_5tupleIJS8_S9_EEENSB_IJS8_SA_EEENS0_18inequality_wrapperIZN2at6native12_GLOBAL__N_124unique_dim_cuda_templateIlEESt5tupleIJNSF_6TensorESK_SK_EERKSK_lbbbEUlllE0_EEPmJS9_EEE10hipError_tPvRmT3_T4_T5_T6_T7_T9_mT8_P12ihipStream_tbDpT10_ENKUlT_T0_E_clISt17integral_constantIbLb0EES19_IbLb1EEEEDaS15_S16_EUlS15_E_NS1_11comp_targetILNS1_3genE10ELNS1_11target_archE1200ELNS1_3gpuE4ELNS1_3repE0EEENS1_30default_config_static_selectorELNS0_4arch9wavefront6targetE1EEEvT1_
; %bb.0:
	.section	.rodata,"a",@progbits
	.p2align	6, 0x0
	.amdhsa_kernel _ZN7rocprim17ROCPRIM_400000_NS6detail17trampoline_kernelINS0_14default_configENS1_25partition_config_selectorILNS1_17partition_subalgoE9EllbEEZZNS1_14partition_implILS5_9ELb0ES3_jPlS8_PNS0_10empty_typeENS0_5tupleIJS8_S9_EEENSB_IJS8_SA_EEENS0_18inequality_wrapperIZN2at6native12_GLOBAL__N_124unique_dim_cuda_templateIlEESt5tupleIJNSF_6TensorESK_SK_EERKSK_lbbbEUlllE0_EEPmJS9_EEE10hipError_tPvRmT3_T4_T5_T6_T7_T9_mT8_P12ihipStream_tbDpT10_ENKUlT_T0_E_clISt17integral_constantIbLb0EES19_IbLb1EEEEDaS15_S16_EUlS15_E_NS1_11comp_targetILNS1_3genE10ELNS1_11target_archE1200ELNS1_3gpuE4ELNS1_3repE0EEENS1_30default_config_static_selectorELNS0_4arch9wavefront6targetE1EEEvT1_
		.amdhsa_group_segment_fixed_size 0
		.amdhsa_private_segment_fixed_size 0
		.amdhsa_kernarg_size 136
		.amdhsa_user_sgpr_count 2
		.amdhsa_user_sgpr_dispatch_ptr 0
		.amdhsa_user_sgpr_queue_ptr 0
		.amdhsa_user_sgpr_kernarg_segment_ptr 1
		.amdhsa_user_sgpr_dispatch_id 0
		.amdhsa_user_sgpr_kernarg_preload_length 0
		.amdhsa_user_sgpr_kernarg_preload_offset 0
		.amdhsa_user_sgpr_private_segment_size 0
		.amdhsa_uses_dynamic_stack 0
		.amdhsa_enable_private_segment 0
		.amdhsa_system_sgpr_workgroup_id_x 1
		.amdhsa_system_sgpr_workgroup_id_y 0
		.amdhsa_system_sgpr_workgroup_id_z 0
		.amdhsa_system_sgpr_workgroup_info 0
		.amdhsa_system_vgpr_workitem_id 0
		.amdhsa_next_free_vgpr 1
		.amdhsa_next_free_sgpr 0
		.amdhsa_accum_offset 4
		.amdhsa_reserve_vcc 0
		.amdhsa_float_round_mode_32 0
		.amdhsa_float_round_mode_16_64 0
		.amdhsa_float_denorm_mode_32 3
		.amdhsa_float_denorm_mode_16_64 3
		.amdhsa_dx10_clamp 1
		.amdhsa_ieee_mode 1
		.amdhsa_fp16_overflow 0
		.amdhsa_tg_split 0
		.amdhsa_exception_fp_ieee_invalid_op 0
		.amdhsa_exception_fp_denorm_src 0
		.amdhsa_exception_fp_ieee_div_zero 0
		.amdhsa_exception_fp_ieee_overflow 0
		.amdhsa_exception_fp_ieee_underflow 0
		.amdhsa_exception_fp_ieee_inexact 0
		.amdhsa_exception_int_div_zero 0
	.end_amdhsa_kernel
	.section	.text._ZN7rocprim17ROCPRIM_400000_NS6detail17trampoline_kernelINS0_14default_configENS1_25partition_config_selectorILNS1_17partition_subalgoE9EllbEEZZNS1_14partition_implILS5_9ELb0ES3_jPlS8_PNS0_10empty_typeENS0_5tupleIJS8_S9_EEENSB_IJS8_SA_EEENS0_18inequality_wrapperIZN2at6native12_GLOBAL__N_124unique_dim_cuda_templateIlEESt5tupleIJNSF_6TensorESK_SK_EERKSK_lbbbEUlllE0_EEPmJS9_EEE10hipError_tPvRmT3_T4_T5_T6_T7_T9_mT8_P12ihipStream_tbDpT10_ENKUlT_T0_E_clISt17integral_constantIbLb0EES19_IbLb1EEEEDaS15_S16_EUlS15_E_NS1_11comp_targetILNS1_3genE10ELNS1_11target_archE1200ELNS1_3gpuE4ELNS1_3repE0EEENS1_30default_config_static_selectorELNS0_4arch9wavefront6targetE1EEEvT1_,"axG",@progbits,_ZN7rocprim17ROCPRIM_400000_NS6detail17trampoline_kernelINS0_14default_configENS1_25partition_config_selectorILNS1_17partition_subalgoE9EllbEEZZNS1_14partition_implILS5_9ELb0ES3_jPlS8_PNS0_10empty_typeENS0_5tupleIJS8_S9_EEENSB_IJS8_SA_EEENS0_18inequality_wrapperIZN2at6native12_GLOBAL__N_124unique_dim_cuda_templateIlEESt5tupleIJNSF_6TensorESK_SK_EERKSK_lbbbEUlllE0_EEPmJS9_EEE10hipError_tPvRmT3_T4_T5_T6_T7_T9_mT8_P12ihipStream_tbDpT10_ENKUlT_T0_E_clISt17integral_constantIbLb0EES19_IbLb1EEEEDaS15_S16_EUlS15_E_NS1_11comp_targetILNS1_3genE10ELNS1_11target_archE1200ELNS1_3gpuE4ELNS1_3repE0EEENS1_30default_config_static_selectorELNS0_4arch9wavefront6targetE1EEEvT1_,comdat
.Lfunc_end628:
	.size	_ZN7rocprim17ROCPRIM_400000_NS6detail17trampoline_kernelINS0_14default_configENS1_25partition_config_selectorILNS1_17partition_subalgoE9EllbEEZZNS1_14partition_implILS5_9ELb0ES3_jPlS8_PNS0_10empty_typeENS0_5tupleIJS8_S9_EEENSB_IJS8_SA_EEENS0_18inequality_wrapperIZN2at6native12_GLOBAL__N_124unique_dim_cuda_templateIlEESt5tupleIJNSF_6TensorESK_SK_EERKSK_lbbbEUlllE0_EEPmJS9_EEE10hipError_tPvRmT3_T4_T5_T6_T7_T9_mT8_P12ihipStream_tbDpT10_ENKUlT_T0_E_clISt17integral_constantIbLb0EES19_IbLb1EEEEDaS15_S16_EUlS15_E_NS1_11comp_targetILNS1_3genE10ELNS1_11target_archE1200ELNS1_3gpuE4ELNS1_3repE0EEENS1_30default_config_static_selectorELNS0_4arch9wavefront6targetE1EEEvT1_, .Lfunc_end628-_ZN7rocprim17ROCPRIM_400000_NS6detail17trampoline_kernelINS0_14default_configENS1_25partition_config_selectorILNS1_17partition_subalgoE9EllbEEZZNS1_14partition_implILS5_9ELb0ES3_jPlS8_PNS0_10empty_typeENS0_5tupleIJS8_S9_EEENSB_IJS8_SA_EEENS0_18inequality_wrapperIZN2at6native12_GLOBAL__N_124unique_dim_cuda_templateIlEESt5tupleIJNSF_6TensorESK_SK_EERKSK_lbbbEUlllE0_EEPmJS9_EEE10hipError_tPvRmT3_T4_T5_T6_T7_T9_mT8_P12ihipStream_tbDpT10_ENKUlT_T0_E_clISt17integral_constantIbLb0EES19_IbLb1EEEEDaS15_S16_EUlS15_E_NS1_11comp_targetILNS1_3genE10ELNS1_11target_archE1200ELNS1_3gpuE4ELNS1_3repE0EEENS1_30default_config_static_selectorELNS0_4arch9wavefront6targetE1EEEvT1_
                                        ; -- End function
	.section	.AMDGPU.csdata,"",@progbits
; Kernel info:
; codeLenInByte = 0
; NumSgprs: 6
; NumVgprs: 0
; NumAgprs: 0
; TotalNumVgprs: 0
; ScratchSize: 0
; MemoryBound: 0
; FloatMode: 240
; IeeeMode: 1
; LDSByteSize: 0 bytes/workgroup (compile time only)
; SGPRBlocks: 0
; VGPRBlocks: 0
; NumSGPRsForWavesPerEU: 6
; NumVGPRsForWavesPerEU: 1
; AccumOffset: 4
; Occupancy: 8
; WaveLimiterHint : 0
; COMPUTE_PGM_RSRC2:SCRATCH_EN: 0
; COMPUTE_PGM_RSRC2:USER_SGPR: 2
; COMPUTE_PGM_RSRC2:TRAP_HANDLER: 0
; COMPUTE_PGM_RSRC2:TGID_X_EN: 1
; COMPUTE_PGM_RSRC2:TGID_Y_EN: 0
; COMPUTE_PGM_RSRC2:TGID_Z_EN: 0
; COMPUTE_PGM_RSRC2:TIDIG_COMP_CNT: 0
; COMPUTE_PGM_RSRC3_GFX90A:ACCUM_OFFSET: 0
; COMPUTE_PGM_RSRC3_GFX90A:TG_SPLIT: 0
	.section	.text._ZN7rocprim17ROCPRIM_400000_NS6detail17trampoline_kernelINS0_14default_configENS1_25partition_config_selectorILNS1_17partition_subalgoE9EllbEEZZNS1_14partition_implILS5_9ELb0ES3_jPlS8_PNS0_10empty_typeENS0_5tupleIJS8_S9_EEENSB_IJS8_SA_EEENS0_18inequality_wrapperIZN2at6native12_GLOBAL__N_124unique_dim_cuda_templateIlEESt5tupleIJNSF_6TensorESK_SK_EERKSK_lbbbEUlllE0_EEPmJS9_EEE10hipError_tPvRmT3_T4_T5_T6_T7_T9_mT8_P12ihipStream_tbDpT10_ENKUlT_T0_E_clISt17integral_constantIbLb0EES19_IbLb1EEEEDaS15_S16_EUlS15_E_NS1_11comp_targetILNS1_3genE9ELNS1_11target_archE1100ELNS1_3gpuE3ELNS1_3repE0EEENS1_30default_config_static_selectorELNS0_4arch9wavefront6targetE1EEEvT1_,"axG",@progbits,_ZN7rocprim17ROCPRIM_400000_NS6detail17trampoline_kernelINS0_14default_configENS1_25partition_config_selectorILNS1_17partition_subalgoE9EllbEEZZNS1_14partition_implILS5_9ELb0ES3_jPlS8_PNS0_10empty_typeENS0_5tupleIJS8_S9_EEENSB_IJS8_SA_EEENS0_18inequality_wrapperIZN2at6native12_GLOBAL__N_124unique_dim_cuda_templateIlEESt5tupleIJNSF_6TensorESK_SK_EERKSK_lbbbEUlllE0_EEPmJS9_EEE10hipError_tPvRmT3_T4_T5_T6_T7_T9_mT8_P12ihipStream_tbDpT10_ENKUlT_T0_E_clISt17integral_constantIbLb0EES19_IbLb1EEEEDaS15_S16_EUlS15_E_NS1_11comp_targetILNS1_3genE9ELNS1_11target_archE1100ELNS1_3gpuE3ELNS1_3repE0EEENS1_30default_config_static_selectorELNS0_4arch9wavefront6targetE1EEEvT1_,comdat
	.globl	_ZN7rocprim17ROCPRIM_400000_NS6detail17trampoline_kernelINS0_14default_configENS1_25partition_config_selectorILNS1_17partition_subalgoE9EllbEEZZNS1_14partition_implILS5_9ELb0ES3_jPlS8_PNS0_10empty_typeENS0_5tupleIJS8_S9_EEENSB_IJS8_SA_EEENS0_18inequality_wrapperIZN2at6native12_GLOBAL__N_124unique_dim_cuda_templateIlEESt5tupleIJNSF_6TensorESK_SK_EERKSK_lbbbEUlllE0_EEPmJS9_EEE10hipError_tPvRmT3_T4_T5_T6_T7_T9_mT8_P12ihipStream_tbDpT10_ENKUlT_T0_E_clISt17integral_constantIbLb0EES19_IbLb1EEEEDaS15_S16_EUlS15_E_NS1_11comp_targetILNS1_3genE9ELNS1_11target_archE1100ELNS1_3gpuE3ELNS1_3repE0EEENS1_30default_config_static_selectorELNS0_4arch9wavefront6targetE1EEEvT1_ ; -- Begin function _ZN7rocprim17ROCPRIM_400000_NS6detail17trampoline_kernelINS0_14default_configENS1_25partition_config_selectorILNS1_17partition_subalgoE9EllbEEZZNS1_14partition_implILS5_9ELb0ES3_jPlS8_PNS0_10empty_typeENS0_5tupleIJS8_S9_EEENSB_IJS8_SA_EEENS0_18inequality_wrapperIZN2at6native12_GLOBAL__N_124unique_dim_cuda_templateIlEESt5tupleIJNSF_6TensorESK_SK_EERKSK_lbbbEUlllE0_EEPmJS9_EEE10hipError_tPvRmT3_T4_T5_T6_T7_T9_mT8_P12ihipStream_tbDpT10_ENKUlT_T0_E_clISt17integral_constantIbLb0EES19_IbLb1EEEEDaS15_S16_EUlS15_E_NS1_11comp_targetILNS1_3genE9ELNS1_11target_archE1100ELNS1_3gpuE3ELNS1_3repE0EEENS1_30default_config_static_selectorELNS0_4arch9wavefront6targetE1EEEvT1_
	.p2align	8
	.type	_ZN7rocprim17ROCPRIM_400000_NS6detail17trampoline_kernelINS0_14default_configENS1_25partition_config_selectorILNS1_17partition_subalgoE9EllbEEZZNS1_14partition_implILS5_9ELb0ES3_jPlS8_PNS0_10empty_typeENS0_5tupleIJS8_S9_EEENSB_IJS8_SA_EEENS0_18inequality_wrapperIZN2at6native12_GLOBAL__N_124unique_dim_cuda_templateIlEESt5tupleIJNSF_6TensorESK_SK_EERKSK_lbbbEUlllE0_EEPmJS9_EEE10hipError_tPvRmT3_T4_T5_T6_T7_T9_mT8_P12ihipStream_tbDpT10_ENKUlT_T0_E_clISt17integral_constantIbLb0EES19_IbLb1EEEEDaS15_S16_EUlS15_E_NS1_11comp_targetILNS1_3genE9ELNS1_11target_archE1100ELNS1_3gpuE3ELNS1_3repE0EEENS1_30default_config_static_selectorELNS0_4arch9wavefront6targetE1EEEvT1_,@function
_ZN7rocprim17ROCPRIM_400000_NS6detail17trampoline_kernelINS0_14default_configENS1_25partition_config_selectorILNS1_17partition_subalgoE9EllbEEZZNS1_14partition_implILS5_9ELb0ES3_jPlS8_PNS0_10empty_typeENS0_5tupleIJS8_S9_EEENSB_IJS8_SA_EEENS0_18inequality_wrapperIZN2at6native12_GLOBAL__N_124unique_dim_cuda_templateIlEESt5tupleIJNSF_6TensorESK_SK_EERKSK_lbbbEUlllE0_EEPmJS9_EEE10hipError_tPvRmT3_T4_T5_T6_T7_T9_mT8_P12ihipStream_tbDpT10_ENKUlT_T0_E_clISt17integral_constantIbLb0EES19_IbLb1EEEEDaS15_S16_EUlS15_E_NS1_11comp_targetILNS1_3genE9ELNS1_11target_archE1100ELNS1_3gpuE3ELNS1_3repE0EEENS1_30default_config_static_selectorELNS0_4arch9wavefront6targetE1EEEvT1_: ; @_ZN7rocprim17ROCPRIM_400000_NS6detail17trampoline_kernelINS0_14default_configENS1_25partition_config_selectorILNS1_17partition_subalgoE9EllbEEZZNS1_14partition_implILS5_9ELb0ES3_jPlS8_PNS0_10empty_typeENS0_5tupleIJS8_S9_EEENSB_IJS8_SA_EEENS0_18inequality_wrapperIZN2at6native12_GLOBAL__N_124unique_dim_cuda_templateIlEESt5tupleIJNSF_6TensorESK_SK_EERKSK_lbbbEUlllE0_EEPmJS9_EEE10hipError_tPvRmT3_T4_T5_T6_T7_T9_mT8_P12ihipStream_tbDpT10_ENKUlT_T0_E_clISt17integral_constantIbLb0EES19_IbLb1EEEEDaS15_S16_EUlS15_E_NS1_11comp_targetILNS1_3genE9ELNS1_11target_archE1100ELNS1_3gpuE3ELNS1_3repE0EEENS1_30default_config_static_selectorELNS0_4arch9wavefront6targetE1EEEvT1_
; %bb.0:
	.section	.rodata,"a",@progbits
	.p2align	6, 0x0
	.amdhsa_kernel _ZN7rocprim17ROCPRIM_400000_NS6detail17trampoline_kernelINS0_14default_configENS1_25partition_config_selectorILNS1_17partition_subalgoE9EllbEEZZNS1_14partition_implILS5_9ELb0ES3_jPlS8_PNS0_10empty_typeENS0_5tupleIJS8_S9_EEENSB_IJS8_SA_EEENS0_18inequality_wrapperIZN2at6native12_GLOBAL__N_124unique_dim_cuda_templateIlEESt5tupleIJNSF_6TensorESK_SK_EERKSK_lbbbEUlllE0_EEPmJS9_EEE10hipError_tPvRmT3_T4_T5_T6_T7_T9_mT8_P12ihipStream_tbDpT10_ENKUlT_T0_E_clISt17integral_constantIbLb0EES19_IbLb1EEEEDaS15_S16_EUlS15_E_NS1_11comp_targetILNS1_3genE9ELNS1_11target_archE1100ELNS1_3gpuE3ELNS1_3repE0EEENS1_30default_config_static_selectorELNS0_4arch9wavefront6targetE1EEEvT1_
		.amdhsa_group_segment_fixed_size 0
		.amdhsa_private_segment_fixed_size 0
		.amdhsa_kernarg_size 136
		.amdhsa_user_sgpr_count 2
		.amdhsa_user_sgpr_dispatch_ptr 0
		.amdhsa_user_sgpr_queue_ptr 0
		.amdhsa_user_sgpr_kernarg_segment_ptr 1
		.amdhsa_user_sgpr_dispatch_id 0
		.amdhsa_user_sgpr_kernarg_preload_length 0
		.amdhsa_user_sgpr_kernarg_preload_offset 0
		.amdhsa_user_sgpr_private_segment_size 0
		.amdhsa_uses_dynamic_stack 0
		.amdhsa_enable_private_segment 0
		.amdhsa_system_sgpr_workgroup_id_x 1
		.amdhsa_system_sgpr_workgroup_id_y 0
		.amdhsa_system_sgpr_workgroup_id_z 0
		.amdhsa_system_sgpr_workgroup_info 0
		.amdhsa_system_vgpr_workitem_id 0
		.amdhsa_next_free_vgpr 1
		.amdhsa_next_free_sgpr 0
		.amdhsa_accum_offset 4
		.amdhsa_reserve_vcc 0
		.amdhsa_float_round_mode_32 0
		.amdhsa_float_round_mode_16_64 0
		.amdhsa_float_denorm_mode_32 3
		.amdhsa_float_denorm_mode_16_64 3
		.amdhsa_dx10_clamp 1
		.amdhsa_ieee_mode 1
		.amdhsa_fp16_overflow 0
		.amdhsa_tg_split 0
		.amdhsa_exception_fp_ieee_invalid_op 0
		.amdhsa_exception_fp_denorm_src 0
		.amdhsa_exception_fp_ieee_div_zero 0
		.amdhsa_exception_fp_ieee_overflow 0
		.amdhsa_exception_fp_ieee_underflow 0
		.amdhsa_exception_fp_ieee_inexact 0
		.amdhsa_exception_int_div_zero 0
	.end_amdhsa_kernel
	.section	.text._ZN7rocprim17ROCPRIM_400000_NS6detail17trampoline_kernelINS0_14default_configENS1_25partition_config_selectorILNS1_17partition_subalgoE9EllbEEZZNS1_14partition_implILS5_9ELb0ES3_jPlS8_PNS0_10empty_typeENS0_5tupleIJS8_S9_EEENSB_IJS8_SA_EEENS0_18inequality_wrapperIZN2at6native12_GLOBAL__N_124unique_dim_cuda_templateIlEESt5tupleIJNSF_6TensorESK_SK_EERKSK_lbbbEUlllE0_EEPmJS9_EEE10hipError_tPvRmT3_T4_T5_T6_T7_T9_mT8_P12ihipStream_tbDpT10_ENKUlT_T0_E_clISt17integral_constantIbLb0EES19_IbLb1EEEEDaS15_S16_EUlS15_E_NS1_11comp_targetILNS1_3genE9ELNS1_11target_archE1100ELNS1_3gpuE3ELNS1_3repE0EEENS1_30default_config_static_selectorELNS0_4arch9wavefront6targetE1EEEvT1_,"axG",@progbits,_ZN7rocprim17ROCPRIM_400000_NS6detail17trampoline_kernelINS0_14default_configENS1_25partition_config_selectorILNS1_17partition_subalgoE9EllbEEZZNS1_14partition_implILS5_9ELb0ES3_jPlS8_PNS0_10empty_typeENS0_5tupleIJS8_S9_EEENSB_IJS8_SA_EEENS0_18inequality_wrapperIZN2at6native12_GLOBAL__N_124unique_dim_cuda_templateIlEESt5tupleIJNSF_6TensorESK_SK_EERKSK_lbbbEUlllE0_EEPmJS9_EEE10hipError_tPvRmT3_T4_T5_T6_T7_T9_mT8_P12ihipStream_tbDpT10_ENKUlT_T0_E_clISt17integral_constantIbLb0EES19_IbLb1EEEEDaS15_S16_EUlS15_E_NS1_11comp_targetILNS1_3genE9ELNS1_11target_archE1100ELNS1_3gpuE3ELNS1_3repE0EEENS1_30default_config_static_selectorELNS0_4arch9wavefront6targetE1EEEvT1_,comdat
.Lfunc_end629:
	.size	_ZN7rocprim17ROCPRIM_400000_NS6detail17trampoline_kernelINS0_14default_configENS1_25partition_config_selectorILNS1_17partition_subalgoE9EllbEEZZNS1_14partition_implILS5_9ELb0ES3_jPlS8_PNS0_10empty_typeENS0_5tupleIJS8_S9_EEENSB_IJS8_SA_EEENS0_18inequality_wrapperIZN2at6native12_GLOBAL__N_124unique_dim_cuda_templateIlEESt5tupleIJNSF_6TensorESK_SK_EERKSK_lbbbEUlllE0_EEPmJS9_EEE10hipError_tPvRmT3_T4_T5_T6_T7_T9_mT8_P12ihipStream_tbDpT10_ENKUlT_T0_E_clISt17integral_constantIbLb0EES19_IbLb1EEEEDaS15_S16_EUlS15_E_NS1_11comp_targetILNS1_3genE9ELNS1_11target_archE1100ELNS1_3gpuE3ELNS1_3repE0EEENS1_30default_config_static_selectorELNS0_4arch9wavefront6targetE1EEEvT1_, .Lfunc_end629-_ZN7rocprim17ROCPRIM_400000_NS6detail17trampoline_kernelINS0_14default_configENS1_25partition_config_selectorILNS1_17partition_subalgoE9EllbEEZZNS1_14partition_implILS5_9ELb0ES3_jPlS8_PNS0_10empty_typeENS0_5tupleIJS8_S9_EEENSB_IJS8_SA_EEENS0_18inequality_wrapperIZN2at6native12_GLOBAL__N_124unique_dim_cuda_templateIlEESt5tupleIJNSF_6TensorESK_SK_EERKSK_lbbbEUlllE0_EEPmJS9_EEE10hipError_tPvRmT3_T4_T5_T6_T7_T9_mT8_P12ihipStream_tbDpT10_ENKUlT_T0_E_clISt17integral_constantIbLb0EES19_IbLb1EEEEDaS15_S16_EUlS15_E_NS1_11comp_targetILNS1_3genE9ELNS1_11target_archE1100ELNS1_3gpuE3ELNS1_3repE0EEENS1_30default_config_static_selectorELNS0_4arch9wavefront6targetE1EEEvT1_
                                        ; -- End function
	.section	.AMDGPU.csdata,"",@progbits
; Kernel info:
; codeLenInByte = 0
; NumSgprs: 6
; NumVgprs: 0
; NumAgprs: 0
; TotalNumVgprs: 0
; ScratchSize: 0
; MemoryBound: 0
; FloatMode: 240
; IeeeMode: 1
; LDSByteSize: 0 bytes/workgroup (compile time only)
; SGPRBlocks: 0
; VGPRBlocks: 0
; NumSGPRsForWavesPerEU: 6
; NumVGPRsForWavesPerEU: 1
; AccumOffset: 4
; Occupancy: 8
; WaveLimiterHint : 0
; COMPUTE_PGM_RSRC2:SCRATCH_EN: 0
; COMPUTE_PGM_RSRC2:USER_SGPR: 2
; COMPUTE_PGM_RSRC2:TRAP_HANDLER: 0
; COMPUTE_PGM_RSRC2:TGID_X_EN: 1
; COMPUTE_PGM_RSRC2:TGID_Y_EN: 0
; COMPUTE_PGM_RSRC2:TGID_Z_EN: 0
; COMPUTE_PGM_RSRC2:TIDIG_COMP_CNT: 0
; COMPUTE_PGM_RSRC3_GFX90A:ACCUM_OFFSET: 0
; COMPUTE_PGM_RSRC3_GFX90A:TG_SPLIT: 0
	.section	.text._ZN7rocprim17ROCPRIM_400000_NS6detail17trampoline_kernelINS0_14default_configENS1_25partition_config_selectorILNS1_17partition_subalgoE9EllbEEZZNS1_14partition_implILS5_9ELb0ES3_jPlS8_PNS0_10empty_typeENS0_5tupleIJS8_S9_EEENSB_IJS8_SA_EEENS0_18inequality_wrapperIZN2at6native12_GLOBAL__N_124unique_dim_cuda_templateIlEESt5tupleIJNSF_6TensorESK_SK_EERKSK_lbbbEUlllE0_EEPmJS9_EEE10hipError_tPvRmT3_T4_T5_T6_T7_T9_mT8_P12ihipStream_tbDpT10_ENKUlT_T0_E_clISt17integral_constantIbLb0EES19_IbLb1EEEEDaS15_S16_EUlS15_E_NS1_11comp_targetILNS1_3genE8ELNS1_11target_archE1030ELNS1_3gpuE2ELNS1_3repE0EEENS1_30default_config_static_selectorELNS0_4arch9wavefront6targetE1EEEvT1_,"axG",@progbits,_ZN7rocprim17ROCPRIM_400000_NS6detail17trampoline_kernelINS0_14default_configENS1_25partition_config_selectorILNS1_17partition_subalgoE9EllbEEZZNS1_14partition_implILS5_9ELb0ES3_jPlS8_PNS0_10empty_typeENS0_5tupleIJS8_S9_EEENSB_IJS8_SA_EEENS0_18inequality_wrapperIZN2at6native12_GLOBAL__N_124unique_dim_cuda_templateIlEESt5tupleIJNSF_6TensorESK_SK_EERKSK_lbbbEUlllE0_EEPmJS9_EEE10hipError_tPvRmT3_T4_T5_T6_T7_T9_mT8_P12ihipStream_tbDpT10_ENKUlT_T0_E_clISt17integral_constantIbLb0EES19_IbLb1EEEEDaS15_S16_EUlS15_E_NS1_11comp_targetILNS1_3genE8ELNS1_11target_archE1030ELNS1_3gpuE2ELNS1_3repE0EEENS1_30default_config_static_selectorELNS0_4arch9wavefront6targetE1EEEvT1_,comdat
	.globl	_ZN7rocprim17ROCPRIM_400000_NS6detail17trampoline_kernelINS0_14default_configENS1_25partition_config_selectorILNS1_17partition_subalgoE9EllbEEZZNS1_14partition_implILS5_9ELb0ES3_jPlS8_PNS0_10empty_typeENS0_5tupleIJS8_S9_EEENSB_IJS8_SA_EEENS0_18inequality_wrapperIZN2at6native12_GLOBAL__N_124unique_dim_cuda_templateIlEESt5tupleIJNSF_6TensorESK_SK_EERKSK_lbbbEUlllE0_EEPmJS9_EEE10hipError_tPvRmT3_T4_T5_T6_T7_T9_mT8_P12ihipStream_tbDpT10_ENKUlT_T0_E_clISt17integral_constantIbLb0EES19_IbLb1EEEEDaS15_S16_EUlS15_E_NS1_11comp_targetILNS1_3genE8ELNS1_11target_archE1030ELNS1_3gpuE2ELNS1_3repE0EEENS1_30default_config_static_selectorELNS0_4arch9wavefront6targetE1EEEvT1_ ; -- Begin function _ZN7rocprim17ROCPRIM_400000_NS6detail17trampoline_kernelINS0_14default_configENS1_25partition_config_selectorILNS1_17partition_subalgoE9EllbEEZZNS1_14partition_implILS5_9ELb0ES3_jPlS8_PNS0_10empty_typeENS0_5tupleIJS8_S9_EEENSB_IJS8_SA_EEENS0_18inequality_wrapperIZN2at6native12_GLOBAL__N_124unique_dim_cuda_templateIlEESt5tupleIJNSF_6TensorESK_SK_EERKSK_lbbbEUlllE0_EEPmJS9_EEE10hipError_tPvRmT3_T4_T5_T6_T7_T9_mT8_P12ihipStream_tbDpT10_ENKUlT_T0_E_clISt17integral_constantIbLb0EES19_IbLb1EEEEDaS15_S16_EUlS15_E_NS1_11comp_targetILNS1_3genE8ELNS1_11target_archE1030ELNS1_3gpuE2ELNS1_3repE0EEENS1_30default_config_static_selectorELNS0_4arch9wavefront6targetE1EEEvT1_
	.p2align	8
	.type	_ZN7rocprim17ROCPRIM_400000_NS6detail17trampoline_kernelINS0_14default_configENS1_25partition_config_selectorILNS1_17partition_subalgoE9EllbEEZZNS1_14partition_implILS5_9ELb0ES3_jPlS8_PNS0_10empty_typeENS0_5tupleIJS8_S9_EEENSB_IJS8_SA_EEENS0_18inequality_wrapperIZN2at6native12_GLOBAL__N_124unique_dim_cuda_templateIlEESt5tupleIJNSF_6TensorESK_SK_EERKSK_lbbbEUlllE0_EEPmJS9_EEE10hipError_tPvRmT3_T4_T5_T6_T7_T9_mT8_P12ihipStream_tbDpT10_ENKUlT_T0_E_clISt17integral_constantIbLb0EES19_IbLb1EEEEDaS15_S16_EUlS15_E_NS1_11comp_targetILNS1_3genE8ELNS1_11target_archE1030ELNS1_3gpuE2ELNS1_3repE0EEENS1_30default_config_static_selectorELNS0_4arch9wavefront6targetE1EEEvT1_,@function
_ZN7rocprim17ROCPRIM_400000_NS6detail17trampoline_kernelINS0_14default_configENS1_25partition_config_selectorILNS1_17partition_subalgoE9EllbEEZZNS1_14partition_implILS5_9ELb0ES3_jPlS8_PNS0_10empty_typeENS0_5tupleIJS8_S9_EEENSB_IJS8_SA_EEENS0_18inequality_wrapperIZN2at6native12_GLOBAL__N_124unique_dim_cuda_templateIlEESt5tupleIJNSF_6TensorESK_SK_EERKSK_lbbbEUlllE0_EEPmJS9_EEE10hipError_tPvRmT3_T4_T5_T6_T7_T9_mT8_P12ihipStream_tbDpT10_ENKUlT_T0_E_clISt17integral_constantIbLb0EES19_IbLb1EEEEDaS15_S16_EUlS15_E_NS1_11comp_targetILNS1_3genE8ELNS1_11target_archE1030ELNS1_3gpuE2ELNS1_3repE0EEENS1_30default_config_static_selectorELNS0_4arch9wavefront6targetE1EEEvT1_: ; @_ZN7rocprim17ROCPRIM_400000_NS6detail17trampoline_kernelINS0_14default_configENS1_25partition_config_selectorILNS1_17partition_subalgoE9EllbEEZZNS1_14partition_implILS5_9ELb0ES3_jPlS8_PNS0_10empty_typeENS0_5tupleIJS8_S9_EEENSB_IJS8_SA_EEENS0_18inequality_wrapperIZN2at6native12_GLOBAL__N_124unique_dim_cuda_templateIlEESt5tupleIJNSF_6TensorESK_SK_EERKSK_lbbbEUlllE0_EEPmJS9_EEE10hipError_tPvRmT3_T4_T5_T6_T7_T9_mT8_P12ihipStream_tbDpT10_ENKUlT_T0_E_clISt17integral_constantIbLb0EES19_IbLb1EEEEDaS15_S16_EUlS15_E_NS1_11comp_targetILNS1_3genE8ELNS1_11target_archE1030ELNS1_3gpuE2ELNS1_3repE0EEENS1_30default_config_static_selectorELNS0_4arch9wavefront6targetE1EEEvT1_
; %bb.0:
	.section	.rodata,"a",@progbits
	.p2align	6, 0x0
	.amdhsa_kernel _ZN7rocprim17ROCPRIM_400000_NS6detail17trampoline_kernelINS0_14default_configENS1_25partition_config_selectorILNS1_17partition_subalgoE9EllbEEZZNS1_14partition_implILS5_9ELb0ES3_jPlS8_PNS0_10empty_typeENS0_5tupleIJS8_S9_EEENSB_IJS8_SA_EEENS0_18inequality_wrapperIZN2at6native12_GLOBAL__N_124unique_dim_cuda_templateIlEESt5tupleIJNSF_6TensorESK_SK_EERKSK_lbbbEUlllE0_EEPmJS9_EEE10hipError_tPvRmT3_T4_T5_T6_T7_T9_mT8_P12ihipStream_tbDpT10_ENKUlT_T0_E_clISt17integral_constantIbLb0EES19_IbLb1EEEEDaS15_S16_EUlS15_E_NS1_11comp_targetILNS1_3genE8ELNS1_11target_archE1030ELNS1_3gpuE2ELNS1_3repE0EEENS1_30default_config_static_selectorELNS0_4arch9wavefront6targetE1EEEvT1_
		.amdhsa_group_segment_fixed_size 0
		.amdhsa_private_segment_fixed_size 0
		.amdhsa_kernarg_size 136
		.amdhsa_user_sgpr_count 2
		.amdhsa_user_sgpr_dispatch_ptr 0
		.amdhsa_user_sgpr_queue_ptr 0
		.amdhsa_user_sgpr_kernarg_segment_ptr 1
		.amdhsa_user_sgpr_dispatch_id 0
		.amdhsa_user_sgpr_kernarg_preload_length 0
		.amdhsa_user_sgpr_kernarg_preload_offset 0
		.amdhsa_user_sgpr_private_segment_size 0
		.amdhsa_uses_dynamic_stack 0
		.amdhsa_enable_private_segment 0
		.amdhsa_system_sgpr_workgroup_id_x 1
		.amdhsa_system_sgpr_workgroup_id_y 0
		.amdhsa_system_sgpr_workgroup_id_z 0
		.amdhsa_system_sgpr_workgroup_info 0
		.amdhsa_system_vgpr_workitem_id 0
		.amdhsa_next_free_vgpr 1
		.amdhsa_next_free_sgpr 0
		.amdhsa_accum_offset 4
		.amdhsa_reserve_vcc 0
		.amdhsa_float_round_mode_32 0
		.amdhsa_float_round_mode_16_64 0
		.amdhsa_float_denorm_mode_32 3
		.amdhsa_float_denorm_mode_16_64 3
		.amdhsa_dx10_clamp 1
		.amdhsa_ieee_mode 1
		.amdhsa_fp16_overflow 0
		.amdhsa_tg_split 0
		.amdhsa_exception_fp_ieee_invalid_op 0
		.amdhsa_exception_fp_denorm_src 0
		.amdhsa_exception_fp_ieee_div_zero 0
		.amdhsa_exception_fp_ieee_overflow 0
		.amdhsa_exception_fp_ieee_underflow 0
		.amdhsa_exception_fp_ieee_inexact 0
		.amdhsa_exception_int_div_zero 0
	.end_amdhsa_kernel
	.section	.text._ZN7rocprim17ROCPRIM_400000_NS6detail17trampoline_kernelINS0_14default_configENS1_25partition_config_selectorILNS1_17partition_subalgoE9EllbEEZZNS1_14partition_implILS5_9ELb0ES3_jPlS8_PNS0_10empty_typeENS0_5tupleIJS8_S9_EEENSB_IJS8_SA_EEENS0_18inequality_wrapperIZN2at6native12_GLOBAL__N_124unique_dim_cuda_templateIlEESt5tupleIJNSF_6TensorESK_SK_EERKSK_lbbbEUlllE0_EEPmJS9_EEE10hipError_tPvRmT3_T4_T5_T6_T7_T9_mT8_P12ihipStream_tbDpT10_ENKUlT_T0_E_clISt17integral_constantIbLb0EES19_IbLb1EEEEDaS15_S16_EUlS15_E_NS1_11comp_targetILNS1_3genE8ELNS1_11target_archE1030ELNS1_3gpuE2ELNS1_3repE0EEENS1_30default_config_static_selectorELNS0_4arch9wavefront6targetE1EEEvT1_,"axG",@progbits,_ZN7rocprim17ROCPRIM_400000_NS6detail17trampoline_kernelINS0_14default_configENS1_25partition_config_selectorILNS1_17partition_subalgoE9EllbEEZZNS1_14partition_implILS5_9ELb0ES3_jPlS8_PNS0_10empty_typeENS0_5tupleIJS8_S9_EEENSB_IJS8_SA_EEENS0_18inequality_wrapperIZN2at6native12_GLOBAL__N_124unique_dim_cuda_templateIlEESt5tupleIJNSF_6TensorESK_SK_EERKSK_lbbbEUlllE0_EEPmJS9_EEE10hipError_tPvRmT3_T4_T5_T6_T7_T9_mT8_P12ihipStream_tbDpT10_ENKUlT_T0_E_clISt17integral_constantIbLb0EES19_IbLb1EEEEDaS15_S16_EUlS15_E_NS1_11comp_targetILNS1_3genE8ELNS1_11target_archE1030ELNS1_3gpuE2ELNS1_3repE0EEENS1_30default_config_static_selectorELNS0_4arch9wavefront6targetE1EEEvT1_,comdat
.Lfunc_end630:
	.size	_ZN7rocprim17ROCPRIM_400000_NS6detail17trampoline_kernelINS0_14default_configENS1_25partition_config_selectorILNS1_17partition_subalgoE9EllbEEZZNS1_14partition_implILS5_9ELb0ES3_jPlS8_PNS0_10empty_typeENS0_5tupleIJS8_S9_EEENSB_IJS8_SA_EEENS0_18inequality_wrapperIZN2at6native12_GLOBAL__N_124unique_dim_cuda_templateIlEESt5tupleIJNSF_6TensorESK_SK_EERKSK_lbbbEUlllE0_EEPmJS9_EEE10hipError_tPvRmT3_T4_T5_T6_T7_T9_mT8_P12ihipStream_tbDpT10_ENKUlT_T0_E_clISt17integral_constantIbLb0EES19_IbLb1EEEEDaS15_S16_EUlS15_E_NS1_11comp_targetILNS1_3genE8ELNS1_11target_archE1030ELNS1_3gpuE2ELNS1_3repE0EEENS1_30default_config_static_selectorELNS0_4arch9wavefront6targetE1EEEvT1_, .Lfunc_end630-_ZN7rocprim17ROCPRIM_400000_NS6detail17trampoline_kernelINS0_14default_configENS1_25partition_config_selectorILNS1_17partition_subalgoE9EllbEEZZNS1_14partition_implILS5_9ELb0ES3_jPlS8_PNS0_10empty_typeENS0_5tupleIJS8_S9_EEENSB_IJS8_SA_EEENS0_18inequality_wrapperIZN2at6native12_GLOBAL__N_124unique_dim_cuda_templateIlEESt5tupleIJNSF_6TensorESK_SK_EERKSK_lbbbEUlllE0_EEPmJS9_EEE10hipError_tPvRmT3_T4_T5_T6_T7_T9_mT8_P12ihipStream_tbDpT10_ENKUlT_T0_E_clISt17integral_constantIbLb0EES19_IbLb1EEEEDaS15_S16_EUlS15_E_NS1_11comp_targetILNS1_3genE8ELNS1_11target_archE1030ELNS1_3gpuE2ELNS1_3repE0EEENS1_30default_config_static_selectorELNS0_4arch9wavefront6targetE1EEEvT1_
                                        ; -- End function
	.section	.AMDGPU.csdata,"",@progbits
; Kernel info:
; codeLenInByte = 0
; NumSgprs: 6
; NumVgprs: 0
; NumAgprs: 0
; TotalNumVgprs: 0
; ScratchSize: 0
; MemoryBound: 0
; FloatMode: 240
; IeeeMode: 1
; LDSByteSize: 0 bytes/workgroup (compile time only)
; SGPRBlocks: 0
; VGPRBlocks: 0
; NumSGPRsForWavesPerEU: 6
; NumVGPRsForWavesPerEU: 1
; AccumOffset: 4
; Occupancy: 8
; WaveLimiterHint : 0
; COMPUTE_PGM_RSRC2:SCRATCH_EN: 0
; COMPUTE_PGM_RSRC2:USER_SGPR: 2
; COMPUTE_PGM_RSRC2:TRAP_HANDLER: 0
; COMPUTE_PGM_RSRC2:TGID_X_EN: 1
; COMPUTE_PGM_RSRC2:TGID_Y_EN: 0
; COMPUTE_PGM_RSRC2:TGID_Z_EN: 0
; COMPUTE_PGM_RSRC2:TIDIG_COMP_CNT: 0
; COMPUTE_PGM_RSRC3_GFX90A:ACCUM_OFFSET: 0
; COMPUTE_PGM_RSRC3_GFX90A:TG_SPLIT: 0
	.section	.text._ZN7rocprim17ROCPRIM_400000_NS6detail17trampoline_kernelINS0_14default_configENS1_37merge_sort_block_sort_config_selectorIlNS0_10empty_typeEEEZNS1_21merge_sort_block_sortIS3_PlS8_PS5_S9_ZN2at6native12_GLOBAL__N_124unique_dim_cuda_templateIsEESt5tupleIJNSA_6TensorESF_SF_EERKSF_lbbbEUlllE_EE10hipError_tT0_T1_T2_T3_mRjT4_P12ihipStream_tbNS1_7vsmem_tEEUlT_E_NS1_11comp_targetILNS1_3genE0ELNS1_11target_archE4294967295ELNS1_3gpuE0ELNS1_3repE0EEENS1_30default_config_static_selectorELNS0_4arch9wavefront6targetE1EEEvSM_,"axG",@progbits,_ZN7rocprim17ROCPRIM_400000_NS6detail17trampoline_kernelINS0_14default_configENS1_37merge_sort_block_sort_config_selectorIlNS0_10empty_typeEEEZNS1_21merge_sort_block_sortIS3_PlS8_PS5_S9_ZN2at6native12_GLOBAL__N_124unique_dim_cuda_templateIsEESt5tupleIJNSA_6TensorESF_SF_EERKSF_lbbbEUlllE_EE10hipError_tT0_T1_T2_T3_mRjT4_P12ihipStream_tbNS1_7vsmem_tEEUlT_E_NS1_11comp_targetILNS1_3genE0ELNS1_11target_archE4294967295ELNS1_3gpuE0ELNS1_3repE0EEENS1_30default_config_static_selectorELNS0_4arch9wavefront6targetE1EEEvSM_,comdat
	.globl	_ZN7rocprim17ROCPRIM_400000_NS6detail17trampoline_kernelINS0_14default_configENS1_37merge_sort_block_sort_config_selectorIlNS0_10empty_typeEEEZNS1_21merge_sort_block_sortIS3_PlS8_PS5_S9_ZN2at6native12_GLOBAL__N_124unique_dim_cuda_templateIsEESt5tupleIJNSA_6TensorESF_SF_EERKSF_lbbbEUlllE_EE10hipError_tT0_T1_T2_T3_mRjT4_P12ihipStream_tbNS1_7vsmem_tEEUlT_E_NS1_11comp_targetILNS1_3genE0ELNS1_11target_archE4294967295ELNS1_3gpuE0ELNS1_3repE0EEENS1_30default_config_static_selectorELNS0_4arch9wavefront6targetE1EEEvSM_ ; -- Begin function _ZN7rocprim17ROCPRIM_400000_NS6detail17trampoline_kernelINS0_14default_configENS1_37merge_sort_block_sort_config_selectorIlNS0_10empty_typeEEEZNS1_21merge_sort_block_sortIS3_PlS8_PS5_S9_ZN2at6native12_GLOBAL__N_124unique_dim_cuda_templateIsEESt5tupleIJNSA_6TensorESF_SF_EERKSF_lbbbEUlllE_EE10hipError_tT0_T1_T2_T3_mRjT4_P12ihipStream_tbNS1_7vsmem_tEEUlT_E_NS1_11comp_targetILNS1_3genE0ELNS1_11target_archE4294967295ELNS1_3gpuE0ELNS1_3repE0EEENS1_30default_config_static_selectorELNS0_4arch9wavefront6targetE1EEEvSM_
	.p2align	8
	.type	_ZN7rocprim17ROCPRIM_400000_NS6detail17trampoline_kernelINS0_14default_configENS1_37merge_sort_block_sort_config_selectorIlNS0_10empty_typeEEEZNS1_21merge_sort_block_sortIS3_PlS8_PS5_S9_ZN2at6native12_GLOBAL__N_124unique_dim_cuda_templateIsEESt5tupleIJNSA_6TensorESF_SF_EERKSF_lbbbEUlllE_EE10hipError_tT0_T1_T2_T3_mRjT4_P12ihipStream_tbNS1_7vsmem_tEEUlT_E_NS1_11comp_targetILNS1_3genE0ELNS1_11target_archE4294967295ELNS1_3gpuE0ELNS1_3repE0EEENS1_30default_config_static_selectorELNS0_4arch9wavefront6targetE1EEEvSM_,@function
_ZN7rocprim17ROCPRIM_400000_NS6detail17trampoline_kernelINS0_14default_configENS1_37merge_sort_block_sort_config_selectorIlNS0_10empty_typeEEEZNS1_21merge_sort_block_sortIS3_PlS8_PS5_S9_ZN2at6native12_GLOBAL__N_124unique_dim_cuda_templateIsEESt5tupleIJNSA_6TensorESF_SF_EERKSF_lbbbEUlllE_EE10hipError_tT0_T1_T2_T3_mRjT4_P12ihipStream_tbNS1_7vsmem_tEEUlT_E_NS1_11comp_targetILNS1_3genE0ELNS1_11target_archE4294967295ELNS1_3gpuE0ELNS1_3repE0EEENS1_30default_config_static_selectorELNS0_4arch9wavefront6targetE1EEEvSM_: ; @_ZN7rocprim17ROCPRIM_400000_NS6detail17trampoline_kernelINS0_14default_configENS1_37merge_sort_block_sort_config_selectorIlNS0_10empty_typeEEEZNS1_21merge_sort_block_sortIS3_PlS8_PS5_S9_ZN2at6native12_GLOBAL__N_124unique_dim_cuda_templateIsEESt5tupleIJNSA_6TensorESF_SF_EERKSF_lbbbEUlllE_EE10hipError_tT0_T1_T2_T3_mRjT4_P12ihipStream_tbNS1_7vsmem_tEEUlT_E_NS1_11comp_targetILNS1_3genE0ELNS1_11target_archE4294967295ELNS1_3gpuE0ELNS1_3repE0EEENS1_30default_config_static_selectorELNS0_4arch9wavefront6targetE1EEEvSM_
; %bb.0:
	.section	.rodata,"a",@progbits
	.p2align	6, 0x0
	.amdhsa_kernel _ZN7rocprim17ROCPRIM_400000_NS6detail17trampoline_kernelINS0_14default_configENS1_37merge_sort_block_sort_config_selectorIlNS0_10empty_typeEEEZNS1_21merge_sort_block_sortIS3_PlS8_PS5_S9_ZN2at6native12_GLOBAL__N_124unique_dim_cuda_templateIsEESt5tupleIJNSA_6TensorESF_SF_EERKSF_lbbbEUlllE_EE10hipError_tT0_T1_T2_T3_mRjT4_P12ihipStream_tbNS1_7vsmem_tEEUlT_E_NS1_11comp_targetILNS1_3genE0ELNS1_11target_archE4294967295ELNS1_3gpuE0ELNS1_3repE0EEENS1_30default_config_static_selectorELNS0_4arch9wavefront6targetE1EEEvSM_
		.amdhsa_group_segment_fixed_size 0
		.amdhsa_private_segment_fixed_size 0
		.amdhsa_kernarg_size 72
		.amdhsa_user_sgpr_count 2
		.amdhsa_user_sgpr_dispatch_ptr 0
		.amdhsa_user_sgpr_queue_ptr 0
		.amdhsa_user_sgpr_kernarg_segment_ptr 1
		.amdhsa_user_sgpr_dispatch_id 0
		.amdhsa_user_sgpr_kernarg_preload_length 0
		.amdhsa_user_sgpr_kernarg_preload_offset 0
		.amdhsa_user_sgpr_private_segment_size 0
		.amdhsa_uses_dynamic_stack 0
		.amdhsa_enable_private_segment 0
		.amdhsa_system_sgpr_workgroup_id_x 1
		.amdhsa_system_sgpr_workgroup_id_y 0
		.amdhsa_system_sgpr_workgroup_id_z 0
		.amdhsa_system_sgpr_workgroup_info 0
		.amdhsa_system_vgpr_workitem_id 0
		.amdhsa_next_free_vgpr 1
		.amdhsa_next_free_sgpr 0
		.amdhsa_accum_offset 4
		.amdhsa_reserve_vcc 0
		.amdhsa_float_round_mode_32 0
		.amdhsa_float_round_mode_16_64 0
		.amdhsa_float_denorm_mode_32 3
		.amdhsa_float_denorm_mode_16_64 3
		.amdhsa_dx10_clamp 1
		.amdhsa_ieee_mode 1
		.amdhsa_fp16_overflow 0
		.amdhsa_tg_split 0
		.amdhsa_exception_fp_ieee_invalid_op 0
		.amdhsa_exception_fp_denorm_src 0
		.amdhsa_exception_fp_ieee_div_zero 0
		.amdhsa_exception_fp_ieee_overflow 0
		.amdhsa_exception_fp_ieee_underflow 0
		.amdhsa_exception_fp_ieee_inexact 0
		.amdhsa_exception_int_div_zero 0
	.end_amdhsa_kernel
	.section	.text._ZN7rocprim17ROCPRIM_400000_NS6detail17trampoline_kernelINS0_14default_configENS1_37merge_sort_block_sort_config_selectorIlNS0_10empty_typeEEEZNS1_21merge_sort_block_sortIS3_PlS8_PS5_S9_ZN2at6native12_GLOBAL__N_124unique_dim_cuda_templateIsEESt5tupleIJNSA_6TensorESF_SF_EERKSF_lbbbEUlllE_EE10hipError_tT0_T1_T2_T3_mRjT4_P12ihipStream_tbNS1_7vsmem_tEEUlT_E_NS1_11comp_targetILNS1_3genE0ELNS1_11target_archE4294967295ELNS1_3gpuE0ELNS1_3repE0EEENS1_30default_config_static_selectorELNS0_4arch9wavefront6targetE1EEEvSM_,"axG",@progbits,_ZN7rocprim17ROCPRIM_400000_NS6detail17trampoline_kernelINS0_14default_configENS1_37merge_sort_block_sort_config_selectorIlNS0_10empty_typeEEEZNS1_21merge_sort_block_sortIS3_PlS8_PS5_S9_ZN2at6native12_GLOBAL__N_124unique_dim_cuda_templateIsEESt5tupleIJNSA_6TensorESF_SF_EERKSF_lbbbEUlllE_EE10hipError_tT0_T1_T2_T3_mRjT4_P12ihipStream_tbNS1_7vsmem_tEEUlT_E_NS1_11comp_targetILNS1_3genE0ELNS1_11target_archE4294967295ELNS1_3gpuE0ELNS1_3repE0EEENS1_30default_config_static_selectorELNS0_4arch9wavefront6targetE1EEEvSM_,comdat
.Lfunc_end631:
	.size	_ZN7rocprim17ROCPRIM_400000_NS6detail17trampoline_kernelINS0_14default_configENS1_37merge_sort_block_sort_config_selectorIlNS0_10empty_typeEEEZNS1_21merge_sort_block_sortIS3_PlS8_PS5_S9_ZN2at6native12_GLOBAL__N_124unique_dim_cuda_templateIsEESt5tupleIJNSA_6TensorESF_SF_EERKSF_lbbbEUlllE_EE10hipError_tT0_T1_T2_T3_mRjT4_P12ihipStream_tbNS1_7vsmem_tEEUlT_E_NS1_11comp_targetILNS1_3genE0ELNS1_11target_archE4294967295ELNS1_3gpuE0ELNS1_3repE0EEENS1_30default_config_static_selectorELNS0_4arch9wavefront6targetE1EEEvSM_, .Lfunc_end631-_ZN7rocprim17ROCPRIM_400000_NS6detail17trampoline_kernelINS0_14default_configENS1_37merge_sort_block_sort_config_selectorIlNS0_10empty_typeEEEZNS1_21merge_sort_block_sortIS3_PlS8_PS5_S9_ZN2at6native12_GLOBAL__N_124unique_dim_cuda_templateIsEESt5tupleIJNSA_6TensorESF_SF_EERKSF_lbbbEUlllE_EE10hipError_tT0_T1_T2_T3_mRjT4_P12ihipStream_tbNS1_7vsmem_tEEUlT_E_NS1_11comp_targetILNS1_3genE0ELNS1_11target_archE4294967295ELNS1_3gpuE0ELNS1_3repE0EEENS1_30default_config_static_selectorELNS0_4arch9wavefront6targetE1EEEvSM_
                                        ; -- End function
	.section	.AMDGPU.csdata,"",@progbits
; Kernel info:
; codeLenInByte = 0
; NumSgprs: 6
; NumVgprs: 0
; NumAgprs: 0
; TotalNumVgprs: 0
; ScratchSize: 0
; MemoryBound: 0
; FloatMode: 240
; IeeeMode: 1
; LDSByteSize: 0 bytes/workgroup (compile time only)
; SGPRBlocks: 0
; VGPRBlocks: 0
; NumSGPRsForWavesPerEU: 6
; NumVGPRsForWavesPerEU: 1
; AccumOffset: 4
; Occupancy: 8
; WaveLimiterHint : 0
; COMPUTE_PGM_RSRC2:SCRATCH_EN: 0
; COMPUTE_PGM_RSRC2:USER_SGPR: 2
; COMPUTE_PGM_RSRC2:TRAP_HANDLER: 0
; COMPUTE_PGM_RSRC2:TGID_X_EN: 1
; COMPUTE_PGM_RSRC2:TGID_Y_EN: 0
; COMPUTE_PGM_RSRC2:TGID_Z_EN: 0
; COMPUTE_PGM_RSRC2:TIDIG_COMP_CNT: 0
; COMPUTE_PGM_RSRC3_GFX90A:ACCUM_OFFSET: 0
; COMPUTE_PGM_RSRC3_GFX90A:TG_SPLIT: 0
	.text
	.p2align	2                               ; -- Begin function _ZN7rocprim17ROCPRIM_400000_NS6detail15block_sort_implIlNS0_10empty_typeELj256ELj8ELNS0_4arch9wavefront6targetE1EvE4sortIPlS9_PS3_SA_ZN2at6native12_GLOBAL__N_124unique_dim_cuda_templateIsEESt5tupleIJNSB_6TensorESG_SG_EERKSG_lbbbEUlllE_EEvjbT_T0_T1_T2_T3_RNS7_12storage_typeE
	.type	_ZN7rocprim17ROCPRIM_400000_NS6detail15block_sort_implIlNS0_10empty_typeELj256ELj8ELNS0_4arch9wavefront6targetE1EvE4sortIPlS9_PS3_SA_ZN2at6native12_GLOBAL__N_124unique_dim_cuda_templateIsEESt5tupleIJNSB_6TensorESG_SG_EERKSG_lbbbEUlllE_EEvjbT_T0_T1_T2_T3_RNS7_12storage_typeE,@function
_ZN7rocprim17ROCPRIM_400000_NS6detail15block_sort_implIlNS0_10empty_typeELj256ELj8ELNS0_4arch9wavefront6targetE1EvE4sortIPlS9_PS3_SA_ZN2at6native12_GLOBAL__N_124unique_dim_cuda_templateIsEESt5tupleIJNSB_6TensorESG_SG_EERKSG_lbbbEUlllE_EEvjbT_T0_T1_T2_T3_RNS7_12storage_typeE: ; @_ZN7rocprim17ROCPRIM_400000_NS6detail15block_sort_implIlNS0_10empty_typeELj256ELj8ELNS0_4arch9wavefront6targetE1EvE4sortIPlS9_PS3_SA_ZN2at6native12_GLOBAL__N_124unique_dim_cuda_templateIsEESt5tupleIJNSB_6TensorESG_SG_EERKSG_lbbbEUlllE_EEvjbT_T0_T1_T2_T3_RNS7_12storage_typeE
; %bb.0:
	s_waitcnt vmcnt(0) expcnt(0) lgkmcnt(0)
	s_or_saveexec_b64 s[0:1], -1
	scratch_store_dword off, v40, s32       ; 4-byte Folded Spill
	s_mov_b64 exec, s[0:1]
	v_writelane_b32 v40, s34, 0
	v_writelane_b32 v40, s35, 1
	v_writelane_b32 v40, s36, 2
	v_writelane_b32 v40, s37, 3
	v_writelane_b32 v40, s38, 4
	v_writelane_b32 v40, s39, 5
	v_writelane_b32 v40, s40, 6
	v_writelane_b32 v40, s41, 7
	v_writelane_b32 v40, s42, 8
	v_writelane_b32 v40, s43, 9
	v_writelane_b32 v40, s44, 10
	v_writelane_b32 v40, s45, 11
	v_writelane_b32 v40, s46, 12
	v_writelane_b32 v40, s47, 13
	v_writelane_b32 v40, s48, 14
	v_writelane_b32 v40, s49, 15
	v_writelane_b32 v40, s50, 16
	v_writelane_b32 v40, s51, 17
	v_writelane_b32 v40, s52, 18
	v_writelane_b32 v40, s53, 19
	v_writelane_b32 v40, s54, 20
	v_writelane_b32 v40, s55, 21
	v_writelane_b32 v40, s56, 22
	v_writelane_b32 v40, s57, 23
	v_writelane_b32 v40, s58, 24
	v_writelane_b32 v40, s59, 25
	v_writelane_b32 v40, s60, 26
	v_writelane_b32 v40, s61, 27
	v_writelane_b32 v40, s62, 28
	v_writelane_b32 v40, s63, 29
	v_writelane_b32 v40, s64, 30
	v_writelane_b32 v40, s65, 31
	v_writelane_b32 v40, s66, 32
	v_writelane_b32 v40, s67, 33
	v_writelane_b32 v40, s68, 34
	v_writelane_b32 v40, s30, 35
	s_nop 1
	v_writelane_b32 v40, s31, 36
	v_and_b32_e32 v1, 1, v1
	v_cmp_eq_u32_e32 vcc, 1, v1
	v_and_b32_e32 v28, 0x3ff, v31
	s_xor_b64 s[0:1], vcc, -1
	s_mov_b64 s[38:39], 0
	v_bfe_u32 v64, v31, 10, 10
	v_bfe_u32 v65, v31, 20, 10
	v_lshlrev_b32_e32 v30, 3, v28
	v_lshrrev_b32_e32 v32, 5, v28
	v_lshrrev_b32_e32 v1, 2, v28
                                        ; implicit-def: $vgpr12_vgpr13
	s_and_saveexec_b64 s[2:3], s[0:1]
	s_xor_b64 s[6:7], exec, s[2:3]
	s_cbranch_execnz .LBB632_5
; %bb.1:
	s_andn2_saveexec_b64 s[40:41], s[6:7]
	s_cbranch_execnz .LBB632_705
.LBB632_2:
	s_or_b64 exec, exec, s[40:41]
	s_and_saveexec_b64 s[0:1], s[38:39]
	s_cbranch_execz .LBB632_4
.LBB632_3:
	s_waitcnt vmcnt(0) lgkmcnt(0)
	v_lshl_add_u64 v[0:1], v[28:29], 3, v[4:5]
	v_add_co_u32_e32 v0, vcc, 0x3000, v0
	s_nop 1
	v_addc_co_u32_e32 v1, vcc, 0, v1, vcc
	flat_store_dwordx2 v[0:1], v[12:13] offset:2048
.LBB632_4:
	s_or_b64 exec, exec, s[0:1]
	v_readlane_b32 s30, v40, 35
	v_readlane_b32 s31, v40, 36
	;; [unrolled: 1-line block ×37, first 2 shown]
	s_or_saveexec_b64 s[0:1], -1
	scratch_load_dword v40, off, s32        ; 4-byte Folded Reload
	s_mov_b64 exec, s[0:1]
	s_waitcnt vmcnt(0) lgkmcnt(0)
	s_setpc_b64 s[30:31]
.LBB632_5:
	v_mov_b32_e32 v29, 0
	v_mov_b32_e32 v31, v29
	v_lshl_add_u64 v[2:3], v[2:3], 0, v[30:31]
	v_add_co_u32_e32 v12, vcc, 0x1000, v2
	v_add_u32_e32 v26, 0x200, v28
	s_nop 0
	v_addc_co_u32_e32 v13, vcc, 0, v3, vcc
	flat_load_dwordx2 v[14:15], v[2:3]
	flat_load_dwordx2 v[16:17], v[2:3] offset:2048
	flat_load_dwordx2 v[18:19], v[12:13]
	flat_load_dwordx2 v[20:21], v[12:13] offset:2048
	v_add_co_u32_e32 v12, vcc, 0x2000, v2
	v_add_u32_e32 v27, 0x300, v28
	s_nop 0
	v_addc_co_u32_e32 v13, vcc, 0, v3, vcc
	v_add_co_u32_e32 v2, vcc, 0x3000, v2
	v_or_b32_e32 v31, 0x400, v28
	s_nop 0
	v_addc_co_u32_e32 v3, vcc, 0, v3, vcc
	flat_load_dwordx2 v[22:23], v[12:13]
	flat_load_dwordx2 v[54:55], v[12:13] offset:2048
	flat_load_dwordx2 v[66:67], v[2:3]
	flat_load_dwordx2 v[68:69], v[2:3] offset:2048
	v_add_u32_e32 v3, 0x100, v28
	v_add_u32_e32 v34, 0x500, v28
	;; [unrolled: 1-line block ×4, first 2 shown]
	v_add_lshl_u32 v0, v32, v28, 3
	v_add_lshl_u32 v2, v1, v30, 3
	v_mov_b32_e32 v1, v29
	v_lshrrev_b32_e32 v12, 5, v3
	v_lshrrev_b32_e32 v32, 5, v26
	;; [unrolled: 1-line block ×7, first 2 shown]
	v_mov_b32_e32 v3, v29
	v_mov_b32_e32 v13, v29
	;; [unrolled: 1-line block ×8, first 2 shown]
	v_lshl_add_u64 v[24:25], v[10:11], 0, v[0:1]
	v_add_lshl_u32 v12, v12, v28, 3
	v_add_lshl_u32 v32, v32, v26, 3
	;; [unrolled: 1-line block ×7, first 2 shown]
	v_lshl_add_u64 v[52:53], v[10:11], 0, v[2:3]
	v_lshl_add_u64 v[26:27], v[10:11], 0, v[12:13]
	;; [unrolled: 1-line block ×8, first 2 shown]
	v_cmp_lt_i64_e32 vcc, 0, v[6:7]
	s_waitcnt vmcnt(0) lgkmcnt(0)
	flat_store_dwordx2 v[24:25], v[14:15]
	flat_store_dwordx2 v[26:27], v[16:17] offset:2048
	flat_store_dwordx2 v[34:35], v[18:19]
	flat_store_dwordx2 v[32:33], v[20:21]
	;; [unrolled: 1-line block ×6, first 2 shown]
	s_waitcnt lgkmcnt(0)
	s_barrier
	flat_load_dwordx4 v[20:23], v[52:53]
	flat_load_dwordx4 v[16:19], v[52:53] offset:16
	flat_load_dwordx4 v[12:15], v[52:53] offset:32
	;; [unrolled: 1-line block ×3, first 2 shown]
	s_waitcnt lgkmcnt(0)
	s_barrier
	s_load_dwordx2 s[0:1], s[8:9], 0x0
	s_waitcnt lgkmcnt(0)
	s_cmp_lt_u32 s12, s0
	s_cselect_b32 s2, 12, 18
	s_cmp_lt_u32 s13, s1
	s_cselect_b32 s0, 14, 20
	s_add_u32 s0, s8, s0
	s_addc_u32 s1, s9, 0
	s_add_u32 s2, s8, s2
	s_addc_u32 s3, s9, 0
	global_load_ushort v31, v29, s[0:1]
	global_load_ushort v54, v29, s[2:3]
	s_movk_i32 s0, 0x800
	s_waitcnt vmcnt(0)
	v_mad_u32_u24 v31, v65, v31, v64
	v_mul_lo_u32 v31, v31, v54
	v_add_lshl_u32 v31, v31, v28, 3
	v_cmp_gt_u32_e64 s[0:1], s0, v31
	s_and_saveexec_b64 s[10:11], s[0:1]
	s_cbranch_execz .LBB632_231
; %bb.6:
	s_and_saveexec_b64 s[14:15], vcc
	s_cbranch_execnz .LBB632_34
; %bb.7:
	s_or_b64 exec, exec, s[14:15]
	s_and_saveexec_b64 s[14:15], vcc
	s_cbranch_execnz .LBB632_41
.LBB632_8:
	s_or_b64 exec, exec, s[14:15]
	s_and_saveexec_b64 s[14:15], vcc
	s_cbranch_execnz .LBB632_48
.LBB632_9:
	s_or_b64 exec, exec, s[14:15]
	s_and_saveexec_b64 s[14:15], vcc
	s_cbranch_execnz .LBB632_55
.LBB632_10:
	s_or_b64 exec, exec, s[14:15]
	s_and_saveexec_b64 s[0:1], vcc
	s_xor_b64 s[14:15], exec, s[0:1]
	s_cbranch_execnz .LBB632_62
.LBB632_11:
	s_or_b64 exec, exec, s[14:15]
	s_and_saveexec_b64 s[14:15], vcc
	s_cbranch_execnz .LBB632_69
.LBB632_12:
	s_or_b64 exec, exec, s[14:15]
	s_and_saveexec_b64 s[14:15], vcc
	s_cbranch_execnz .LBB632_76
.LBB632_13:
	s_or_b64 exec, exec, s[14:15]
	s_and_saveexec_b64 s[14:15], vcc
	s_cbranch_execnz .LBB632_83
.LBB632_14:
	s_or_b64 exec, exec, s[14:15]
	s_and_saveexec_b64 s[14:15], vcc
	s_cbranch_execnz .LBB632_90
.LBB632_15:
	s_or_b64 exec, exec, s[14:15]
	s_and_saveexec_b64 s[14:15], vcc
	s_cbranch_execnz .LBB632_97
.LBB632_16:
	s_or_b64 exec, exec, s[14:15]
	s_and_saveexec_b64 s[14:15], vcc
	s_cbranch_execnz .LBB632_104
.LBB632_17:
	s_or_b64 exec, exec, s[14:15]
	s_and_saveexec_b64 s[14:15], vcc
	s_cbranch_execnz .LBB632_111
.LBB632_18:
	s_or_b64 exec, exec, s[14:15]
	s_and_saveexec_b64 s[14:15], vcc
	s_cbranch_execnz .LBB632_118
.LBB632_19:
	s_or_b64 exec, exec, s[14:15]
	s_and_saveexec_b64 s[14:15], vcc
	s_cbranch_execnz .LBB632_125
.LBB632_20:
	s_or_b64 exec, exec, s[14:15]
	s_and_saveexec_b64 s[14:15], vcc
	s_cbranch_execnz .LBB632_132
.LBB632_21:
	s_or_b64 exec, exec, s[14:15]
	s_and_saveexec_b64 s[14:15], vcc
	s_cbranch_execnz .LBB632_139
.LBB632_22:
	s_or_b64 exec, exec, s[14:15]
	s_and_saveexec_b64 s[14:15], vcc
	s_cbranch_execnz .LBB632_146
.LBB632_23:
	s_or_b64 exec, exec, s[14:15]
	s_and_saveexec_b64 s[14:15], vcc
	s_cbranch_execnz .LBB632_153
.LBB632_24:
	s_or_b64 exec, exec, s[14:15]
	s_and_saveexec_b64 s[14:15], vcc
	s_cbranch_execnz .LBB632_160
.LBB632_25:
	s_or_b64 exec, exec, s[14:15]
	s_and_saveexec_b64 s[14:15], vcc
	s_cbranch_execnz .LBB632_167
.LBB632_26:
	s_or_b64 exec, exec, s[14:15]
	s_and_saveexec_b64 s[14:15], vcc
	s_cbranch_execnz .LBB632_174
.LBB632_27:
	s_or_b64 exec, exec, s[14:15]
	s_and_saveexec_b64 s[14:15], vcc
	s_cbranch_execnz .LBB632_181
.LBB632_28:
	s_or_b64 exec, exec, s[14:15]
	s_and_saveexec_b64 s[14:15], vcc
	s_cbranch_execnz .LBB632_188
.LBB632_29:
	s_or_b64 exec, exec, s[14:15]
	s_and_saveexec_b64 s[14:15], vcc
	s_cbranch_execnz .LBB632_195
.LBB632_30:
	s_or_b64 exec, exec, s[14:15]
	s_and_saveexec_b64 s[14:15], vcc
	s_cbranch_execnz .LBB632_202
.LBB632_31:
	s_or_b64 exec, exec, s[14:15]
	s_and_saveexec_b64 s[14:15], vcc
	s_cbranch_execnz .LBB632_209
.LBB632_32:
	s_or_b64 exec, exec, s[14:15]
	s_and_saveexec_b64 s[14:15], vcc
	s_cbranch_execnz .LBB632_216
.LBB632_33:
	s_or_b64 exec, exec, s[14:15]
	s_and_saveexec_b64 s[14:15], vcc
	s_cbranch_execnz .LBB632_223
	s_branch .LBB632_230
.LBB632_34:
	v_mul_lo_u32 v64, v21, v6
	v_mul_lo_u32 v65, v20, v7
	v_mad_u64_u32 v[54:55], s[0:1], v20, v6, 0
	v_add3_u32 v55, v55, v65, v64
	v_mul_lo_u32 v66, v23, v6
	v_mul_lo_u32 v67, v22, v7
	v_mad_u64_u32 v[64:65], s[0:1], v22, v6, 0
	v_add3_u32 v65, v65, v67, v66
	v_lshl_add_u64 v[54:55], v[54:55], 1, v[8:9]
	v_lshl_add_u64 v[64:65], v[64:65], 1, v[8:9]
	s_mov_b64 s[18:19], 0
	v_mov_b64_e32 v[66:67], v[6:7]
                                        ; implicit-def: $sgpr16_sgpr17
                                        ; implicit-def: $sgpr20_sgpr21
                                        ; implicit-def: $sgpr24_sgpr25
                                        ; implicit-def: $sgpr22_sgpr23
                                        ; implicit-def: $sgpr26_sgpr27
                                        ; implicit-def: $sgpr28_sgpr29
	s_branch .LBB632_36
.LBB632_35:                             ;   in Loop: Header=BB632_36 Depth=1
	s_or_b64 exec, exec, s[30:31]
	s_and_b64 s[0:1], exec, s[24:25]
	s_or_b64 s[18:19], s[0:1], s[18:19]
	s_andn2_b64 s[0:1], s[28:29], exec
	s_and_b64 s[4:5], s[26:27], exec
	s_or_b64 s[28:29], s[0:1], s[4:5]
	s_andn2_b64 s[0:1], s[20:21], exec
	s_and_b64 s[4:5], s[22:23], exec
	;; [unrolled: 3-line block ×3, first 2 shown]
	s_or_b64 s[16:17], s[0:1], s[2:3]
	s_andn2_b64 exec, exec, s[18:19]
	s_cbranch_execz .LBB632_38
.LBB632_36:                             ; =>This Inner Loop Header: Depth=1
	flat_load_ushort v68, v[64:65]
	flat_load_ushort v69, v[54:55]
	s_andn2_b64 s[26:27], s[26:27], exec
	s_or_b64 s[22:23], s[22:23], exec
	s_or_b64 s[24:25], s[24:25], exec
	s_waitcnt vmcnt(0) lgkmcnt(0)
	v_cmp_le_i16_e64 s[2:3], v68, v69
	v_cmp_lt_i16_e64 s[0:1], v68, v69
	s_and_b64 s[2:3], s[2:3], s[28:29]
	v_cmp_eq_u16_e64 s[4:5], v68, v69
	s_or_b64 s[2:3], s[0:1], s[2:3]
	s_and_saveexec_b64 s[30:31], s[4:5]
	s_cbranch_execz .LBB632_35
; %bb.37:                               ;   in Loop: Header=BB632_36 Depth=1
	v_lshl_add_u64 v[66:67], v[66:67], 0, -1
	v_cmp_eq_u64_e64 s[0:1], 0, v[66:67]
	s_andn2_b64 s[4:5], s[26:27], exec
	s_and_b64 s[26:27], s[2:3], exec
	s_or_b64 s[26:27], s[4:5], s[26:27]
	s_andn2_b64 s[4:5], s[24:25], exec
	s_and_b64 s[0:1], s[0:1], exec
	v_lshl_add_u64 v[54:55], v[54:55], 0, 2
	v_lshl_add_u64 v[64:65], v[64:65], 0, 2
	s_andn2_b64 s[22:23], s[22:23], exec
	s_or_b64 s[24:25], s[4:5], s[0:1]
                                        ; implicit-def: $sgpr28_sgpr29
	s_branch .LBB632_35
.LBB632_38:
	s_or_b64 exec, exec, s[18:19]
	s_and_saveexec_b64 s[0:1], s[20:21]
	s_xor_b64 s[0:1], exec, s[0:1]
; %bb.39:
	v_cndmask_b32_e64 v55, v23, v21, s[16:17]
	v_cndmask_b32_e64 v54, v22, v20, s[16:17]
	;; [unrolled: 1-line block ×4, first 2 shown]
	v_mov_b64_e32 v[22:23], v[54:55]
; %bb.40:
	s_or_b64 exec, exec, s[0:1]
	s_or_b64 exec, exec, s[14:15]
	s_and_saveexec_b64 s[14:15], vcc
	s_cbranch_execz .LBB632_8
.LBB632_41:
	v_mul_lo_u32 v64, v17, v6
	v_mul_lo_u32 v65, v16, v7
	v_mad_u64_u32 v[54:55], s[0:1], v16, v6, 0
	v_add3_u32 v55, v55, v65, v64
	v_mul_lo_u32 v66, v19, v6
	v_mul_lo_u32 v67, v18, v7
	v_mad_u64_u32 v[64:65], s[0:1], v18, v6, 0
	v_add3_u32 v65, v65, v67, v66
	v_lshl_add_u64 v[54:55], v[54:55], 1, v[8:9]
	v_lshl_add_u64 v[64:65], v[64:65], 1, v[8:9]
	s_mov_b64 s[18:19], 0
	v_mov_b64_e32 v[66:67], v[6:7]
                                        ; implicit-def: $sgpr16_sgpr17
                                        ; implicit-def: $sgpr20_sgpr21
                                        ; implicit-def: $sgpr24_sgpr25
                                        ; implicit-def: $sgpr22_sgpr23
                                        ; implicit-def: $sgpr26_sgpr27
                                        ; implicit-def: $sgpr28_sgpr29
	s_branch .LBB632_43
.LBB632_42:                             ;   in Loop: Header=BB632_43 Depth=1
	s_or_b64 exec, exec, s[30:31]
	s_and_b64 s[0:1], exec, s[24:25]
	s_or_b64 s[18:19], s[0:1], s[18:19]
	s_andn2_b64 s[0:1], s[28:29], exec
	s_and_b64 s[4:5], s[26:27], exec
	s_or_b64 s[28:29], s[0:1], s[4:5]
	s_andn2_b64 s[0:1], s[20:21], exec
	s_and_b64 s[4:5], s[22:23], exec
	;; [unrolled: 3-line block ×3, first 2 shown]
	s_or_b64 s[16:17], s[0:1], s[2:3]
	s_andn2_b64 exec, exec, s[18:19]
	s_cbranch_execz .LBB632_45
.LBB632_43:                             ; =>This Inner Loop Header: Depth=1
	flat_load_ushort v68, v[64:65]
	flat_load_ushort v69, v[54:55]
	s_andn2_b64 s[26:27], s[26:27], exec
	s_or_b64 s[22:23], s[22:23], exec
	s_or_b64 s[24:25], s[24:25], exec
	s_waitcnt vmcnt(0) lgkmcnt(0)
	v_cmp_le_i16_e64 s[2:3], v68, v69
	v_cmp_lt_i16_e64 s[0:1], v68, v69
	s_and_b64 s[2:3], s[2:3], s[28:29]
	v_cmp_eq_u16_e64 s[4:5], v68, v69
	s_or_b64 s[2:3], s[0:1], s[2:3]
	s_and_saveexec_b64 s[30:31], s[4:5]
	s_cbranch_execz .LBB632_42
; %bb.44:                               ;   in Loop: Header=BB632_43 Depth=1
	v_lshl_add_u64 v[66:67], v[66:67], 0, -1
	v_cmp_eq_u64_e64 s[0:1], 0, v[66:67]
	s_andn2_b64 s[4:5], s[26:27], exec
	s_and_b64 s[26:27], s[2:3], exec
	s_or_b64 s[26:27], s[4:5], s[26:27]
	s_andn2_b64 s[4:5], s[24:25], exec
	s_and_b64 s[0:1], s[0:1], exec
	v_lshl_add_u64 v[54:55], v[54:55], 0, 2
	v_lshl_add_u64 v[64:65], v[64:65], 0, 2
	s_andn2_b64 s[22:23], s[22:23], exec
	s_or_b64 s[24:25], s[4:5], s[0:1]
                                        ; implicit-def: $sgpr28_sgpr29
	s_branch .LBB632_42
.LBB632_45:
	s_or_b64 exec, exec, s[18:19]
	s_and_saveexec_b64 s[0:1], s[20:21]
	s_xor_b64 s[0:1], exec, s[0:1]
; %bb.46:
	v_cndmask_b32_e64 v55, v17, v19, s[16:17]
	v_cndmask_b32_e64 v54, v16, v18, s[16:17]
	;; [unrolled: 1-line block ×4, first 2 shown]
	v_mov_b64_e32 v[16:17], v[54:55]
; %bb.47:
	s_or_b64 exec, exec, s[0:1]
	s_or_b64 exec, exec, s[14:15]
	s_and_saveexec_b64 s[14:15], vcc
	s_cbranch_execz .LBB632_9
.LBB632_48:
	v_mul_lo_u32 v64, v13, v6
	v_mul_lo_u32 v65, v12, v7
	v_mad_u64_u32 v[54:55], s[0:1], v12, v6, 0
	v_add3_u32 v55, v55, v65, v64
	v_mul_lo_u32 v66, v15, v6
	v_mul_lo_u32 v67, v14, v7
	v_mad_u64_u32 v[64:65], s[0:1], v14, v6, 0
	v_add3_u32 v65, v65, v67, v66
	v_lshl_add_u64 v[54:55], v[54:55], 1, v[8:9]
	v_lshl_add_u64 v[64:65], v[64:65], 1, v[8:9]
	s_mov_b64 s[18:19], 0
	v_mov_b64_e32 v[66:67], v[6:7]
                                        ; implicit-def: $sgpr16_sgpr17
                                        ; implicit-def: $sgpr20_sgpr21
                                        ; implicit-def: $sgpr24_sgpr25
                                        ; implicit-def: $sgpr22_sgpr23
                                        ; implicit-def: $sgpr26_sgpr27
                                        ; implicit-def: $sgpr28_sgpr29
	s_branch .LBB632_50
.LBB632_49:                             ;   in Loop: Header=BB632_50 Depth=1
	s_or_b64 exec, exec, s[30:31]
	s_and_b64 s[0:1], exec, s[24:25]
	s_or_b64 s[18:19], s[0:1], s[18:19]
	s_andn2_b64 s[0:1], s[28:29], exec
	s_and_b64 s[4:5], s[26:27], exec
	s_or_b64 s[28:29], s[0:1], s[4:5]
	s_andn2_b64 s[0:1], s[20:21], exec
	s_and_b64 s[4:5], s[22:23], exec
	;; [unrolled: 3-line block ×3, first 2 shown]
	s_or_b64 s[16:17], s[0:1], s[2:3]
	s_andn2_b64 exec, exec, s[18:19]
	s_cbranch_execz .LBB632_52
.LBB632_50:                             ; =>This Inner Loop Header: Depth=1
	flat_load_ushort v68, v[64:65]
	flat_load_ushort v69, v[54:55]
	s_andn2_b64 s[26:27], s[26:27], exec
	s_or_b64 s[22:23], s[22:23], exec
	s_or_b64 s[24:25], s[24:25], exec
	s_waitcnt vmcnt(0) lgkmcnt(0)
	v_cmp_le_i16_e64 s[2:3], v68, v69
	v_cmp_lt_i16_e64 s[0:1], v68, v69
	s_and_b64 s[2:3], s[2:3], s[28:29]
	v_cmp_eq_u16_e64 s[4:5], v68, v69
	s_or_b64 s[2:3], s[0:1], s[2:3]
	s_and_saveexec_b64 s[30:31], s[4:5]
	s_cbranch_execz .LBB632_49
; %bb.51:                               ;   in Loop: Header=BB632_50 Depth=1
	v_lshl_add_u64 v[66:67], v[66:67], 0, -1
	v_cmp_eq_u64_e64 s[0:1], 0, v[66:67]
	s_andn2_b64 s[4:5], s[26:27], exec
	s_and_b64 s[26:27], s[2:3], exec
	s_or_b64 s[26:27], s[4:5], s[26:27]
	s_andn2_b64 s[4:5], s[24:25], exec
	s_and_b64 s[0:1], s[0:1], exec
	v_lshl_add_u64 v[54:55], v[54:55], 0, 2
	v_lshl_add_u64 v[64:65], v[64:65], 0, 2
	s_andn2_b64 s[22:23], s[22:23], exec
	s_or_b64 s[24:25], s[4:5], s[0:1]
                                        ; implicit-def: $sgpr28_sgpr29
	s_branch .LBB632_49
.LBB632_52:
	s_or_b64 exec, exec, s[18:19]
	s_and_saveexec_b64 s[0:1], s[20:21]
	s_xor_b64 s[0:1], exec, s[0:1]
; %bb.53:
	v_cndmask_b32_e64 v55, v13, v15, s[16:17]
	v_cndmask_b32_e64 v54, v12, v14, s[16:17]
	v_cndmask_b32_e64 v15, v15, v13, s[16:17]
	v_cndmask_b32_e64 v14, v14, v12, s[16:17]
	v_mov_b64_e32 v[12:13], v[54:55]
; %bb.54:
	s_or_b64 exec, exec, s[0:1]
	s_or_b64 exec, exec, s[14:15]
	s_and_saveexec_b64 s[14:15], vcc
	s_cbranch_execz .LBB632_10
.LBB632_55:
	v_mul_lo_u32 v64, v1, v6
	v_mul_lo_u32 v65, v0, v7
	v_mad_u64_u32 v[54:55], s[0:1], v0, v6, 0
	v_add3_u32 v55, v55, v65, v64
	v_mul_lo_u32 v66, v3, v6
	v_mul_lo_u32 v67, v2, v7
	v_mad_u64_u32 v[64:65], s[0:1], v2, v6, 0
	v_add3_u32 v65, v65, v67, v66
	v_lshl_add_u64 v[54:55], v[54:55], 1, v[8:9]
	v_lshl_add_u64 v[64:65], v[64:65], 1, v[8:9]
	s_mov_b64 s[18:19], 0
	v_mov_b64_e32 v[66:67], v[6:7]
                                        ; implicit-def: $sgpr16_sgpr17
                                        ; implicit-def: $sgpr20_sgpr21
                                        ; implicit-def: $sgpr24_sgpr25
                                        ; implicit-def: $sgpr22_sgpr23
                                        ; implicit-def: $sgpr26_sgpr27
                                        ; implicit-def: $sgpr28_sgpr29
	s_branch .LBB632_57
.LBB632_56:                             ;   in Loop: Header=BB632_57 Depth=1
	s_or_b64 exec, exec, s[30:31]
	s_and_b64 s[0:1], exec, s[24:25]
	s_or_b64 s[18:19], s[0:1], s[18:19]
	s_andn2_b64 s[0:1], s[28:29], exec
	s_and_b64 s[4:5], s[26:27], exec
	s_or_b64 s[28:29], s[0:1], s[4:5]
	s_andn2_b64 s[0:1], s[20:21], exec
	s_and_b64 s[4:5], s[22:23], exec
	;; [unrolled: 3-line block ×3, first 2 shown]
	s_or_b64 s[16:17], s[0:1], s[2:3]
	s_andn2_b64 exec, exec, s[18:19]
	s_cbranch_execz .LBB632_59
.LBB632_57:                             ; =>This Inner Loop Header: Depth=1
	flat_load_ushort v68, v[64:65]
	flat_load_ushort v69, v[54:55]
	s_andn2_b64 s[26:27], s[26:27], exec
	s_or_b64 s[22:23], s[22:23], exec
	s_or_b64 s[24:25], s[24:25], exec
	s_waitcnt vmcnt(0) lgkmcnt(0)
	v_cmp_le_i16_e64 s[2:3], v68, v69
	v_cmp_lt_i16_e64 s[0:1], v68, v69
	s_and_b64 s[2:3], s[2:3], s[28:29]
	v_cmp_eq_u16_e64 s[4:5], v68, v69
	s_or_b64 s[2:3], s[0:1], s[2:3]
	s_and_saveexec_b64 s[30:31], s[4:5]
	s_cbranch_execz .LBB632_56
; %bb.58:                               ;   in Loop: Header=BB632_57 Depth=1
	v_lshl_add_u64 v[66:67], v[66:67], 0, -1
	v_cmp_eq_u64_e64 s[0:1], 0, v[66:67]
	s_andn2_b64 s[4:5], s[26:27], exec
	s_and_b64 s[26:27], s[2:3], exec
	s_or_b64 s[26:27], s[4:5], s[26:27]
	s_andn2_b64 s[4:5], s[24:25], exec
	s_and_b64 s[0:1], s[0:1], exec
	v_lshl_add_u64 v[54:55], v[54:55], 0, 2
	v_lshl_add_u64 v[64:65], v[64:65], 0, 2
	s_andn2_b64 s[22:23], s[22:23], exec
	s_or_b64 s[24:25], s[4:5], s[0:1]
                                        ; implicit-def: $sgpr28_sgpr29
	s_branch .LBB632_56
.LBB632_59:
	s_or_b64 exec, exec, s[18:19]
	s_and_saveexec_b64 s[0:1], s[20:21]
	s_xor_b64 s[0:1], exec, s[0:1]
; %bb.60:
	v_cndmask_b32_e64 v55, v1, v3, s[16:17]
	v_cndmask_b32_e64 v54, v0, v2, s[16:17]
	;; [unrolled: 1-line block ×4, first 2 shown]
	v_mov_b64_e32 v[0:1], v[54:55]
; %bb.61:
	s_or_b64 exec, exec, s[0:1]
	s_or_b64 exec, exec, s[14:15]
	s_and_saveexec_b64 s[0:1], vcc
	s_xor_b64 s[14:15], exec, s[0:1]
	s_cbranch_execz .LBB632_11
.LBB632_62:
	v_mul_lo_u32 v64, v23, v6
	v_mul_lo_u32 v65, v22, v7
	v_mad_u64_u32 v[54:55], s[0:1], v22, v6, 0
	v_add3_u32 v55, v55, v65, v64
	v_mul_lo_u32 v66, v17, v6
	v_mul_lo_u32 v67, v16, v7
	v_mad_u64_u32 v[64:65], s[0:1], v16, v6, 0
	v_add3_u32 v65, v65, v67, v66
	v_lshl_add_u64 v[54:55], v[54:55], 1, v[8:9]
	v_lshl_add_u64 v[64:65], v[64:65], 1, v[8:9]
	s_mov_b64 s[18:19], 0
	v_mov_b64_e32 v[66:67], v[6:7]
                                        ; implicit-def: $sgpr16_sgpr17
                                        ; implicit-def: $sgpr20_sgpr21
                                        ; implicit-def: $sgpr24_sgpr25
                                        ; implicit-def: $sgpr22_sgpr23
                                        ; implicit-def: $sgpr26_sgpr27
                                        ; implicit-def: $sgpr28_sgpr29
	s_branch .LBB632_64
.LBB632_63:                             ;   in Loop: Header=BB632_64 Depth=1
	s_or_b64 exec, exec, s[30:31]
	s_and_b64 s[0:1], exec, s[24:25]
	s_or_b64 s[18:19], s[0:1], s[18:19]
	s_andn2_b64 s[0:1], s[28:29], exec
	s_and_b64 s[4:5], s[26:27], exec
	s_or_b64 s[28:29], s[0:1], s[4:5]
	s_andn2_b64 s[0:1], s[20:21], exec
	s_and_b64 s[4:5], s[22:23], exec
	;; [unrolled: 3-line block ×3, first 2 shown]
	s_or_b64 s[16:17], s[0:1], s[2:3]
	s_andn2_b64 exec, exec, s[18:19]
	s_cbranch_execz .LBB632_66
.LBB632_64:                             ; =>This Inner Loop Header: Depth=1
	flat_load_ushort v68, v[64:65]
	flat_load_ushort v69, v[54:55]
	s_andn2_b64 s[26:27], s[26:27], exec
	s_or_b64 s[22:23], s[22:23], exec
	s_or_b64 s[24:25], s[24:25], exec
	s_waitcnt vmcnt(0) lgkmcnt(0)
	v_cmp_le_i16_e64 s[2:3], v68, v69
	v_cmp_lt_i16_e64 s[0:1], v68, v69
	s_and_b64 s[2:3], s[2:3], s[28:29]
	v_cmp_eq_u16_e64 s[4:5], v68, v69
	s_or_b64 s[2:3], s[0:1], s[2:3]
	s_and_saveexec_b64 s[30:31], s[4:5]
	s_cbranch_execz .LBB632_63
; %bb.65:                               ;   in Loop: Header=BB632_64 Depth=1
	v_lshl_add_u64 v[66:67], v[66:67], 0, -1
	v_cmp_eq_u64_e64 s[0:1], 0, v[66:67]
	s_andn2_b64 s[4:5], s[26:27], exec
	s_and_b64 s[26:27], s[2:3], exec
	s_or_b64 s[26:27], s[4:5], s[26:27]
	s_andn2_b64 s[4:5], s[24:25], exec
	s_and_b64 s[0:1], s[0:1], exec
	v_lshl_add_u64 v[54:55], v[54:55], 0, 2
	v_lshl_add_u64 v[64:65], v[64:65], 0, 2
	s_andn2_b64 s[22:23], s[22:23], exec
	s_or_b64 s[24:25], s[4:5], s[0:1]
                                        ; implicit-def: $sgpr28_sgpr29
	s_branch .LBB632_63
.LBB632_66:
	s_or_b64 exec, exec, s[18:19]
	s_and_saveexec_b64 s[0:1], s[20:21]
	s_xor_b64 s[0:1], exec, s[0:1]
; %bb.67:
	v_cndmask_b32_e64 v55, v23, v17, s[16:17]
	v_cndmask_b32_e64 v54, v22, v16, s[16:17]
	;; [unrolled: 1-line block ×4, first 2 shown]
	v_mov_b64_e32 v[22:23], v[54:55]
; %bb.68:
	s_or_b64 exec, exec, s[0:1]
	s_or_b64 exec, exec, s[14:15]
	s_and_saveexec_b64 s[14:15], vcc
	s_cbranch_execz .LBB632_12
.LBB632_69:
	v_mul_lo_u32 v64, v19, v6
	v_mul_lo_u32 v65, v18, v7
	v_mad_u64_u32 v[54:55], s[0:1], v18, v6, 0
	v_add3_u32 v55, v55, v65, v64
	v_mul_lo_u32 v66, v13, v6
	v_mul_lo_u32 v67, v12, v7
	v_mad_u64_u32 v[64:65], s[0:1], v12, v6, 0
	v_add3_u32 v65, v65, v67, v66
	v_lshl_add_u64 v[54:55], v[54:55], 1, v[8:9]
	v_lshl_add_u64 v[64:65], v[64:65], 1, v[8:9]
	s_mov_b64 s[18:19], 0
	v_mov_b64_e32 v[66:67], v[6:7]
                                        ; implicit-def: $sgpr16_sgpr17
                                        ; implicit-def: $sgpr20_sgpr21
                                        ; implicit-def: $sgpr24_sgpr25
                                        ; implicit-def: $sgpr22_sgpr23
                                        ; implicit-def: $sgpr26_sgpr27
                                        ; implicit-def: $sgpr28_sgpr29
	s_branch .LBB632_71
.LBB632_70:                             ;   in Loop: Header=BB632_71 Depth=1
	s_or_b64 exec, exec, s[30:31]
	s_and_b64 s[0:1], exec, s[24:25]
	s_or_b64 s[18:19], s[0:1], s[18:19]
	s_andn2_b64 s[0:1], s[28:29], exec
	s_and_b64 s[4:5], s[26:27], exec
	s_or_b64 s[28:29], s[0:1], s[4:5]
	s_andn2_b64 s[0:1], s[20:21], exec
	s_and_b64 s[4:5], s[22:23], exec
	;; [unrolled: 3-line block ×3, first 2 shown]
	s_or_b64 s[16:17], s[0:1], s[2:3]
	s_andn2_b64 exec, exec, s[18:19]
	s_cbranch_execz .LBB632_73
.LBB632_71:                             ; =>This Inner Loop Header: Depth=1
	flat_load_ushort v68, v[64:65]
	flat_load_ushort v69, v[54:55]
	s_andn2_b64 s[26:27], s[26:27], exec
	s_or_b64 s[22:23], s[22:23], exec
	s_or_b64 s[24:25], s[24:25], exec
	s_waitcnt vmcnt(0) lgkmcnt(0)
	v_cmp_le_i16_e64 s[2:3], v68, v69
	v_cmp_lt_i16_e64 s[0:1], v68, v69
	s_and_b64 s[2:3], s[2:3], s[28:29]
	v_cmp_eq_u16_e64 s[4:5], v68, v69
	s_or_b64 s[2:3], s[0:1], s[2:3]
	s_and_saveexec_b64 s[30:31], s[4:5]
	s_cbranch_execz .LBB632_70
; %bb.72:                               ;   in Loop: Header=BB632_71 Depth=1
	v_lshl_add_u64 v[66:67], v[66:67], 0, -1
	v_cmp_eq_u64_e64 s[0:1], 0, v[66:67]
	s_andn2_b64 s[4:5], s[26:27], exec
	s_and_b64 s[26:27], s[2:3], exec
	s_or_b64 s[26:27], s[4:5], s[26:27]
	s_andn2_b64 s[4:5], s[24:25], exec
	s_and_b64 s[0:1], s[0:1], exec
	v_lshl_add_u64 v[54:55], v[54:55], 0, 2
	v_lshl_add_u64 v[64:65], v[64:65], 0, 2
	s_andn2_b64 s[22:23], s[22:23], exec
	s_or_b64 s[24:25], s[4:5], s[0:1]
                                        ; implicit-def: $sgpr28_sgpr29
	s_branch .LBB632_70
.LBB632_73:
	s_or_b64 exec, exec, s[18:19]
	s_and_saveexec_b64 s[0:1], s[20:21]
	s_xor_b64 s[0:1], exec, s[0:1]
; %bb.74:
	v_cndmask_b32_e64 v55, v19, v13, s[16:17]
	v_cndmask_b32_e64 v54, v18, v12, s[16:17]
	;; [unrolled: 1-line block ×4, first 2 shown]
	v_mov_b64_e32 v[18:19], v[54:55]
; %bb.75:
	s_or_b64 exec, exec, s[0:1]
	s_or_b64 exec, exec, s[14:15]
	s_and_saveexec_b64 s[14:15], vcc
	s_cbranch_execz .LBB632_13
.LBB632_76:
	v_mul_lo_u32 v64, v15, v6
	v_mul_lo_u32 v65, v14, v7
	v_mad_u64_u32 v[54:55], s[0:1], v14, v6, 0
	v_add3_u32 v55, v55, v65, v64
	v_mul_lo_u32 v66, v1, v6
	v_mul_lo_u32 v67, v0, v7
	v_mad_u64_u32 v[64:65], s[0:1], v0, v6, 0
	v_add3_u32 v65, v65, v67, v66
	v_lshl_add_u64 v[54:55], v[54:55], 1, v[8:9]
	v_lshl_add_u64 v[64:65], v[64:65], 1, v[8:9]
	s_mov_b64 s[18:19], 0
	v_mov_b64_e32 v[66:67], v[6:7]
                                        ; implicit-def: $sgpr16_sgpr17
                                        ; implicit-def: $sgpr20_sgpr21
                                        ; implicit-def: $sgpr24_sgpr25
                                        ; implicit-def: $sgpr22_sgpr23
                                        ; implicit-def: $sgpr26_sgpr27
                                        ; implicit-def: $sgpr28_sgpr29
	s_branch .LBB632_78
.LBB632_77:                             ;   in Loop: Header=BB632_78 Depth=1
	s_or_b64 exec, exec, s[30:31]
	s_and_b64 s[0:1], exec, s[24:25]
	s_or_b64 s[18:19], s[0:1], s[18:19]
	s_andn2_b64 s[0:1], s[28:29], exec
	s_and_b64 s[4:5], s[26:27], exec
	s_or_b64 s[28:29], s[0:1], s[4:5]
	s_andn2_b64 s[0:1], s[20:21], exec
	s_and_b64 s[4:5], s[22:23], exec
	;; [unrolled: 3-line block ×3, first 2 shown]
	s_or_b64 s[16:17], s[0:1], s[2:3]
	s_andn2_b64 exec, exec, s[18:19]
	s_cbranch_execz .LBB632_80
.LBB632_78:                             ; =>This Inner Loop Header: Depth=1
	flat_load_ushort v68, v[64:65]
	flat_load_ushort v69, v[54:55]
	s_andn2_b64 s[26:27], s[26:27], exec
	s_or_b64 s[22:23], s[22:23], exec
	s_or_b64 s[24:25], s[24:25], exec
	s_waitcnt vmcnt(0) lgkmcnt(0)
	v_cmp_le_i16_e64 s[2:3], v68, v69
	v_cmp_lt_i16_e64 s[0:1], v68, v69
	s_and_b64 s[2:3], s[2:3], s[28:29]
	v_cmp_eq_u16_e64 s[4:5], v68, v69
	s_or_b64 s[2:3], s[0:1], s[2:3]
	s_and_saveexec_b64 s[30:31], s[4:5]
	s_cbranch_execz .LBB632_77
; %bb.79:                               ;   in Loop: Header=BB632_78 Depth=1
	v_lshl_add_u64 v[66:67], v[66:67], 0, -1
	v_cmp_eq_u64_e64 s[0:1], 0, v[66:67]
	s_andn2_b64 s[4:5], s[26:27], exec
	s_and_b64 s[26:27], s[2:3], exec
	s_or_b64 s[26:27], s[4:5], s[26:27]
	s_andn2_b64 s[4:5], s[24:25], exec
	s_and_b64 s[0:1], s[0:1], exec
	v_lshl_add_u64 v[54:55], v[54:55], 0, 2
	v_lshl_add_u64 v[64:65], v[64:65], 0, 2
	s_andn2_b64 s[22:23], s[22:23], exec
	s_or_b64 s[24:25], s[4:5], s[0:1]
                                        ; implicit-def: $sgpr28_sgpr29
	s_branch .LBB632_77
.LBB632_80:
	s_or_b64 exec, exec, s[18:19]
	s_and_saveexec_b64 s[0:1], s[20:21]
	s_xor_b64 s[0:1], exec, s[0:1]
; %bb.81:
	v_cndmask_b32_e64 v55, v15, v1, s[16:17]
	v_cndmask_b32_e64 v54, v14, v0, s[16:17]
	v_cndmask_b32_e64 v1, v1, v15, s[16:17]
	v_cndmask_b32_e64 v0, v0, v14, s[16:17]
	v_mov_b64_e32 v[14:15], v[54:55]
; %bb.82:
	s_or_b64 exec, exec, s[0:1]
	s_or_b64 exec, exec, s[14:15]
	s_and_saveexec_b64 s[14:15], vcc
	s_cbranch_execz .LBB632_14
.LBB632_83:
	v_mul_lo_u32 v64, v21, v6
	v_mul_lo_u32 v65, v20, v7
	v_mad_u64_u32 v[54:55], s[0:1], v20, v6, 0
	v_add3_u32 v55, v55, v65, v64
	v_mul_lo_u32 v66, v23, v6
	v_mul_lo_u32 v67, v22, v7
	v_mad_u64_u32 v[64:65], s[0:1], v22, v6, 0
	v_add3_u32 v65, v65, v67, v66
	v_lshl_add_u64 v[54:55], v[54:55], 1, v[8:9]
	v_lshl_add_u64 v[64:65], v[64:65], 1, v[8:9]
	s_mov_b64 s[18:19], 0
	v_mov_b64_e32 v[66:67], v[6:7]
                                        ; implicit-def: $sgpr16_sgpr17
                                        ; implicit-def: $sgpr20_sgpr21
                                        ; implicit-def: $sgpr24_sgpr25
                                        ; implicit-def: $sgpr22_sgpr23
                                        ; implicit-def: $sgpr26_sgpr27
                                        ; implicit-def: $sgpr28_sgpr29
	s_branch .LBB632_85
.LBB632_84:                             ;   in Loop: Header=BB632_85 Depth=1
	s_or_b64 exec, exec, s[30:31]
	s_and_b64 s[0:1], exec, s[24:25]
	s_or_b64 s[18:19], s[0:1], s[18:19]
	s_andn2_b64 s[0:1], s[28:29], exec
	s_and_b64 s[4:5], s[26:27], exec
	s_or_b64 s[28:29], s[0:1], s[4:5]
	s_andn2_b64 s[0:1], s[20:21], exec
	s_and_b64 s[4:5], s[22:23], exec
	;; [unrolled: 3-line block ×3, first 2 shown]
	s_or_b64 s[16:17], s[0:1], s[2:3]
	s_andn2_b64 exec, exec, s[18:19]
	s_cbranch_execz .LBB632_87
.LBB632_85:                             ; =>This Inner Loop Header: Depth=1
	flat_load_ushort v68, v[64:65]
	flat_load_ushort v69, v[54:55]
	s_andn2_b64 s[26:27], s[26:27], exec
	s_or_b64 s[22:23], s[22:23], exec
	s_or_b64 s[24:25], s[24:25], exec
	s_waitcnt vmcnt(0) lgkmcnt(0)
	v_cmp_le_i16_e64 s[2:3], v68, v69
	v_cmp_lt_i16_e64 s[0:1], v68, v69
	s_and_b64 s[2:3], s[2:3], s[28:29]
	v_cmp_eq_u16_e64 s[4:5], v68, v69
	s_or_b64 s[2:3], s[0:1], s[2:3]
	s_and_saveexec_b64 s[30:31], s[4:5]
	s_cbranch_execz .LBB632_84
; %bb.86:                               ;   in Loop: Header=BB632_85 Depth=1
	v_lshl_add_u64 v[66:67], v[66:67], 0, -1
	v_cmp_eq_u64_e64 s[0:1], 0, v[66:67]
	s_andn2_b64 s[4:5], s[26:27], exec
	s_and_b64 s[26:27], s[2:3], exec
	s_or_b64 s[26:27], s[4:5], s[26:27]
	s_andn2_b64 s[4:5], s[24:25], exec
	s_and_b64 s[0:1], s[0:1], exec
	v_lshl_add_u64 v[54:55], v[54:55], 0, 2
	v_lshl_add_u64 v[64:65], v[64:65], 0, 2
	s_andn2_b64 s[22:23], s[22:23], exec
	s_or_b64 s[24:25], s[4:5], s[0:1]
                                        ; implicit-def: $sgpr28_sgpr29
	s_branch .LBB632_84
.LBB632_87:
	s_or_b64 exec, exec, s[18:19]
	s_and_saveexec_b64 s[0:1], s[20:21]
	s_xor_b64 s[0:1], exec, s[0:1]
; %bb.88:
	v_cndmask_b32_e64 v55, v23, v21, s[16:17]
	v_cndmask_b32_e64 v54, v22, v20, s[16:17]
	;; [unrolled: 1-line block ×4, first 2 shown]
	v_mov_b64_e32 v[22:23], v[54:55]
; %bb.89:
	s_or_b64 exec, exec, s[0:1]
	s_or_b64 exec, exec, s[14:15]
	s_and_saveexec_b64 s[14:15], vcc
	s_cbranch_execz .LBB632_15
.LBB632_90:
	v_mul_lo_u32 v64, v17, v6
	v_mul_lo_u32 v65, v16, v7
	v_mad_u64_u32 v[54:55], s[0:1], v16, v6, 0
	v_add3_u32 v55, v55, v65, v64
	v_mul_lo_u32 v66, v19, v6
	v_mul_lo_u32 v67, v18, v7
	v_mad_u64_u32 v[64:65], s[0:1], v18, v6, 0
	v_add3_u32 v65, v65, v67, v66
	v_lshl_add_u64 v[54:55], v[54:55], 1, v[8:9]
	v_lshl_add_u64 v[64:65], v[64:65], 1, v[8:9]
	s_mov_b64 s[18:19], 0
	v_mov_b64_e32 v[66:67], v[6:7]
                                        ; implicit-def: $sgpr16_sgpr17
                                        ; implicit-def: $sgpr20_sgpr21
                                        ; implicit-def: $sgpr24_sgpr25
                                        ; implicit-def: $sgpr22_sgpr23
                                        ; implicit-def: $sgpr26_sgpr27
                                        ; implicit-def: $sgpr28_sgpr29
	s_branch .LBB632_92
.LBB632_91:                             ;   in Loop: Header=BB632_92 Depth=1
	s_or_b64 exec, exec, s[30:31]
	s_and_b64 s[0:1], exec, s[24:25]
	s_or_b64 s[18:19], s[0:1], s[18:19]
	s_andn2_b64 s[0:1], s[28:29], exec
	s_and_b64 s[4:5], s[26:27], exec
	s_or_b64 s[28:29], s[0:1], s[4:5]
	s_andn2_b64 s[0:1], s[20:21], exec
	s_and_b64 s[4:5], s[22:23], exec
	;; [unrolled: 3-line block ×3, first 2 shown]
	s_or_b64 s[16:17], s[0:1], s[2:3]
	s_andn2_b64 exec, exec, s[18:19]
	s_cbranch_execz .LBB632_94
.LBB632_92:                             ; =>This Inner Loop Header: Depth=1
	flat_load_ushort v68, v[64:65]
	flat_load_ushort v69, v[54:55]
	s_andn2_b64 s[26:27], s[26:27], exec
	s_or_b64 s[22:23], s[22:23], exec
	s_or_b64 s[24:25], s[24:25], exec
	s_waitcnt vmcnt(0) lgkmcnt(0)
	v_cmp_le_i16_e64 s[2:3], v68, v69
	v_cmp_lt_i16_e64 s[0:1], v68, v69
	s_and_b64 s[2:3], s[2:3], s[28:29]
	v_cmp_eq_u16_e64 s[4:5], v68, v69
	s_or_b64 s[2:3], s[0:1], s[2:3]
	s_and_saveexec_b64 s[30:31], s[4:5]
	s_cbranch_execz .LBB632_91
; %bb.93:                               ;   in Loop: Header=BB632_92 Depth=1
	v_lshl_add_u64 v[66:67], v[66:67], 0, -1
	v_cmp_eq_u64_e64 s[0:1], 0, v[66:67]
	s_andn2_b64 s[4:5], s[26:27], exec
	s_and_b64 s[26:27], s[2:3], exec
	s_or_b64 s[26:27], s[4:5], s[26:27]
	s_andn2_b64 s[4:5], s[24:25], exec
	s_and_b64 s[0:1], s[0:1], exec
	v_lshl_add_u64 v[54:55], v[54:55], 0, 2
	v_lshl_add_u64 v[64:65], v[64:65], 0, 2
	s_andn2_b64 s[22:23], s[22:23], exec
	s_or_b64 s[24:25], s[4:5], s[0:1]
                                        ; implicit-def: $sgpr28_sgpr29
	s_branch .LBB632_91
.LBB632_94:
	s_or_b64 exec, exec, s[18:19]
	s_and_saveexec_b64 s[0:1], s[20:21]
	s_xor_b64 s[0:1], exec, s[0:1]
; %bb.95:
	v_cndmask_b32_e64 v55, v17, v19, s[16:17]
	v_cndmask_b32_e64 v54, v16, v18, s[16:17]
	;; [unrolled: 1-line block ×4, first 2 shown]
	v_mov_b64_e32 v[16:17], v[54:55]
; %bb.96:
	s_or_b64 exec, exec, s[0:1]
	s_or_b64 exec, exec, s[14:15]
	s_and_saveexec_b64 s[14:15], vcc
	s_cbranch_execz .LBB632_16
.LBB632_97:
	v_mul_lo_u32 v64, v13, v6
	v_mul_lo_u32 v65, v12, v7
	v_mad_u64_u32 v[54:55], s[0:1], v12, v6, 0
	v_add3_u32 v55, v55, v65, v64
	v_mul_lo_u32 v66, v15, v6
	v_mul_lo_u32 v67, v14, v7
	v_mad_u64_u32 v[64:65], s[0:1], v14, v6, 0
	v_add3_u32 v65, v65, v67, v66
	v_lshl_add_u64 v[54:55], v[54:55], 1, v[8:9]
	v_lshl_add_u64 v[64:65], v[64:65], 1, v[8:9]
	s_mov_b64 s[18:19], 0
	v_mov_b64_e32 v[66:67], v[6:7]
                                        ; implicit-def: $sgpr16_sgpr17
                                        ; implicit-def: $sgpr20_sgpr21
                                        ; implicit-def: $sgpr24_sgpr25
                                        ; implicit-def: $sgpr22_sgpr23
                                        ; implicit-def: $sgpr26_sgpr27
                                        ; implicit-def: $sgpr28_sgpr29
	s_branch .LBB632_99
.LBB632_98:                             ;   in Loop: Header=BB632_99 Depth=1
	s_or_b64 exec, exec, s[30:31]
	s_and_b64 s[0:1], exec, s[24:25]
	s_or_b64 s[18:19], s[0:1], s[18:19]
	s_andn2_b64 s[0:1], s[28:29], exec
	s_and_b64 s[4:5], s[26:27], exec
	s_or_b64 s[28:29], s[0:1], s[4:5]
	s_andn2_b64 s[0:1], s[20:21], exec
	s_and_b64 s[4:5], s[22:23], exec
	;; [unrolled: 3-line block ×3, first 2 shown]
	s_or_b64 s[16:17], s[0:1], s[2:3]
	s_andn2_b64 exec, exec, s[18:19]
	s_cbranch_execz .LBB632_101
.LBB632_99:                             ; =>This Inner Loop Header: Depth=1
	flat_load_ushort v68, v[64:65]
	flat_load_ushort v69, v[54:55]
	s_andn2_b64 s[26:27], s[26:27], exec
	s_or_b64 s[22:23], s[22:23], exec
	s_or_b64 s[24:25], s[24:25], exec
	s_waitcnt vmcnt(0) lgkmcnt(0)
	v_cmp_le_i16_e64 s[2:3], v68, v69
	v_cmp_lt_i16_e64 s[0:1], v68, v69
	s_and_b64 s[2:3], s[2:3], s[28:29]
	v_cmp_eq_u16_e64 s[4:5], v68, v69
	s_or_b64 s[2:3], s[0:1], s[2:3]
	s_and_saveexec_b64 s[30:31], s[4:5]
	s_cbranch_execz .LBB632_98
; %bb.100:                              ;   in Loop: Header=BB632_99 Depth=1
	v_lshl_add_u64 v[66:67], v[66:67], 0, -1
	v_cmp_eq_u64_e64 s[0:1], 0, v[66:67]
	s_andn2_b64 s[4:5], s[26:27], exec
	s_and_b64 s[26:27], s[2:3], exec
	s_or_b64 s[26:27], s[4:5], s[26:27]
	s_andn2_b64 s[4:5], s[24:25], exec
	s_and_b64 s[0:1], s[0:1], exec
	v_lshl_add_u64 v[54:55], v[54:55], 0, 2
	v_lshl_add_u64 v[64:65], v[64:65], 0, 2
	s_andn2_b64 s[22:23], s[22:23], exec
	s_or_b64 s[24:25], s[4:5], s[0:1]
                                        ; implicit-def: $sgpr28_sgpr29
	s_branch .LBB632_98
.LBB632_101:
	s_or_b64 exec, exec, s[18:19]
	s_and_saveexec_b64 s[0:1], s[20:21]
	s_xor_b64 s[0:1], exec, s[0:1]
; %bb.102:
	v_cndmask_b32_e64 v55, v13, v15, s[16:17]
	v_cndmask_b32_e64 v54, v12, v14, s[16:17]
	;; [unrolled: 1-line block ×4, first 2 shown]
	v_mov_b64_e32 v[12:13], v[54:55]
; %bb.103:
	s_or_b64 exec, exec, s[0:1]
	s_or_b64 exec, exec, s[14:15]
	s_and_saveexec_b64 s[14:15], vcc
	s_cbranch_execz .LBB632_17
.LBB632_104:
	v_mul_lo_u32 v64, v1, v6
	v_mul_lo_u32 v65, v0, v7
	v_mad_u64_u32 v[54:55], s[0:1], v0, v6, 0
	v_add3_u32 v55, v55, v65, v64
	v_mul_lo_u32 v66, v3, v6
	v_mul_lo_u32 v67, v2, v7
	v_mad_u64_u32 v[64:65], s[0:1], v2, v6, 0
	v_add3_u32 v65, v65, v67, v66
	v_lshl_add_u64 v[54:55], v[54:55], 1, v[8:9]
	v_lshl_add_u64 v[64:65], v[64:65], 1, v[8:9]
	s_mov_b64 s[18:19], 0
	v_mov_b64_e32 v[66:67], v[6:7]
                                        ; implicit-def: $sgpr16_sgpr17
                                        ; implicit-def: $sgpr20_sgpr21
                                        ; implicit-def: $sgpr24_sgpr25
                                        ; implicit-def: $sgpr22_sgpr23
                                        ; implicit-def: $sgpr26_sgpr27
                                        ; implicit-def: $sgpr28_sgpr29
	s_branch .LBB632_106
.LBB632_105:                            ;   in Loop: Header=BB632_106 Depth=1
	s_or_b64 exec, exec, s[30:31]
	s_and_b64 s[0:1], exec, s[24:25]
	s_or_b64 s[18:19], s[0:1], s[18:19]
	s_andn2_b64 s[0:1], s[28:29], exec
	s_and_b64 s[4:5], s[26:27], exec
	s_or_b64 s[28:29], s[0:1], s[4:5]
	s_andn2_b64 s[0:1], s[20:21], exec
	s_and_b64 s[4:5], s[22:23], exec
	;; [unrolled: 3-line block ×3, first 2 shown]
	s_or_b64 s[16:17], s[0:1], s[2:3]
	s_andn2_b64 exec, exec, s[18:19]
	s_cbranch_execz .LBB632_108
.LBB632_106:                            ; =>This Inner Loop Header: Depth=1
	flat_load_ushort v68, v[64:65]
	flat_load_ushort v69, v[54:55]
	s_andn2_b64 s[26:27], s[26:27], exec
	s_or_b64 s[22:23], s[22:23], exec
	s_or_b64 s[24:25], s[24:25], exec
	s_waitcnt vmcnt(0) lgkmcnt(0)
	v_cmp_le_i16_e64 s[2:3], v68, v69
	v_cmp_lt_i16_e64 s[0:1], v68, v69
	s_and_b64 s[2:3], s[2:3], s[28:29]
	v_cmp_eq_u16_e64 s[4:5], v68, v69
	s_or_b64 s[2:3], s[0:1], s[2:3]
	s_and_saveexec_b64 s[30:31], s[4:5]
	s_cbranch_execz .LBB632_105
; %bb.107:                              ;   in Loop: Header=BB632_106 Depth=1
	v_lshl_add_u64 v[66:67], v[66:67], 0, -1
	v_cmp_eq_u64_e64 s[0:1], 0, v[66:67]
	s_andn2_b64 s[4:5], s[26:27], exec
	s_and_b64 s[26:27], s[2:3], exec
	s_or_b64 s[26:27], s[4:5], s[26:27]
	s_andn2_b64 s[4:5], s[24:25], exec
	s_and_b64 s[0:1], s[0:1], exec
	v_lshl_add_u64 v[54:55], v[54:55], 0, 2
	v_lshl_add_u64 v[64:65], v[64:65], 0, 2
	s_andn2_b64 s[22:23], s[22:23], exec
	s_or_b64 s[24:25], s[4:5], s[0:1]
                                        ; implicit-def: $sgpr28_sgpr29
	s_branch .LBB632_105
.LBB632_108:
	s_or_b64 exec, exec, s[18:19]
	s_and_saveexec_b64 s[0:1], s[20:21]
	s_xor_b64 s[0:1], exec, s[0:1]
; %bb.109:
	v_cndmask_b32_e64 v55, v1, v3, s[16:17]
	v_cndmask_b32_e64 v54, v0, v2, s[16:17]
	;; [unrolled: 1-line block ×4, first 2 shown]
	v_mov_b64_e32 v[0:1], v[54:55]
; %bb.110:
	s_or_b64 exec, exec, s[0:1]
	s_or_b64 exec, exec, s[14:15]
	s_and_saveexec_b64 s[14:15], vcc
	s_cbranch_execz .LBB632_18
.LBB632_111:
	v_mul_lo_u32 v64, v23, v6
	v_mul_lo_u32 v65, v22, v7
	v_mad_u64_u32 v[54:55], s[0:1], v22, v6, 0
	v_add3_u32 v55, v55, v65, v64
	v_mul_lo_u32 v66, v17, v6
	v_mul_lo_u32 v67, v16, v7
	v_mad_u64_u32 v[64:65], s[0:1], v16, v6, 0
	v_add3_u32 v65, v65, v67, v66
	v_lshl_add_u64 v[54:55], v[54:55], 1, v[8:9]
	v_lshl_add_u64 v[64:65], v[64:65], 1, v[8:9]
	s_mov_b64 s[18:19], 0
	v_mov_b64_e32 v[66:67], v[6:7]
                                        ; implicit-def: $sgpr16_sgpr17
                                        ; implicit-def: $sgpr20_sgpr21
                                        ; implicit-def: $sgpr24_sgpr25
                                        ; implicit-def: $sgpr22_sgpr23
                                        ; implicit-def: $sgpr26_sgpr27
                                        ; implicit-def: $sgpr28_sgpr29
	s_branch .LBB632_113
.LBB632_112:                            ;   in Loop: Header=BB632_113 Depth=1
	s_or_b64 exec, exec, s[30:31]
	s_and_b64 s[0:1], exec, s[24:25]
	s_or_b64 s[18:19], s[0:1], s[18:19]
	s_andn2_b64 s[0:1], s[28:29], exec
	s_and_b64 s[4:5], s[26:27], exec
	s_or_b64 s[28:29], s[0:1], s[4:5]
	s_andn2_b64 s[0:1], s[20:21], exec
	s_and_b64 s[4:5], s[22:23], exec
	;; [unrolled: 3-line block ×3, first 2 shown]
	s_or_b64 s[16:17], s[0:1], s[2:3]
	s_andn2_b64 exec, exec, s[18:19]
	s_cbranch_execz .LBB632_115
.LBB632_113:                            ; =>This Inner Loop Header: Depth=1
	flat_load_ushort v68, v[64:65]
	flat_load_ushort v69, v[54:55]
	s_andn2_b64 s[26:27], s[26:27], exec
	s_or_b64 s[22:23], s[22:23], exec
	s_or_b64 s[24:25], s[24:25], exec
	s_waitcnt vmcnt(0) lgkmcnt(0)
	v_cmp_le_i16_e64 s[2:3], v68, v69
	v_cmp_lt_i16_e64 s[0:1], v68, v69
	s_and_b64 s[2:3], s[2:3], s[28:29]
	v_cmp_eq_u16_e64 s[4:5], v68, v69
	s_or_b64 s[2:3], s[0:1], s[2:3]
	s_and_saveexec_b64 s[30:31], s[4:5]
	s_cbranch_execz .LBB632_112
; %bb.114:                              ;   in Loop: Header=BB632_113 Depth=1
	v_lshl_add_u64 v[66:67], v[66:67], 0, -1
	v_cmp_eq_u64_e64 s[0:1], 0, v[66:67]
	s_andn2_b64 s[4:5], s[26:27], exec
	s_and_b64 s[26:27], s[2:3], exec
	s_or_b64 s[26:27], s[4:5], s[26:27]
	s_andn2_b64 s[4:5], s[24:25], exec
	s_and_b64 s[0:1], s[0:1], exec
	v_lshl_add_u64 v[54:55], v[54:55], 0, 2
	v_lshl_add_u64 v[64:65], v[64:65], 0, 2
	s_andn2_b64 s[22:23], s[22:23], exec
	s_or_b64 s[24:25], s[4:5], s[0:1]
                                        ; implicit-def: $sgpr28_sgpr29
	s_branch .LBB632_112
.LBB632_115:
	s_or_b64 exec, exec, s[18:19]
	s_and_saveexec_b64 s[0:1], s[20:21]
	s_xor_b64 s[0:1], exec, s[0:1]
; %bb.116:
	v_cndmask_b32_e64 v55, v23, v17, s[16:17]
	v_cndmask_b32_e64 v54, v22, v16, s[16:17]
	;; [unrolled: 1-line block ×4, first 2 shown]
	v_mov_b64_e32 v[22:23], v[54:55]
; %bb.117:
	s_or_b64 exec, exec, s[0:1]
	s_or_b64 exec, exec, s[14:15]
	s_and_saveexec_b64 s[14:15], vcc
	s_cbranch_execz .LBB632_19
.LBB632_118:
	v_mul_lo_u32 v64, v19, v6
	v_mul_lo_u32 v65, v18, v7
	v_mad_u64_u32 v[54:55], s[0:1], v18, v6, 0
	v_add3_u32 v55, v55, v65, v64
	v_mul_lo_u32 v66, v13, v6
	v_mul_lo_u32 v67, v12, v7
	v_mad_u64_u32 v[64:65], s[0:1], v12, v6, 0
	v_add3_u32 v65, v65, v67, v66
	v_lshl_add_u64 v[54:55], v[54:55], 1, v[8:9]
	v_lshl_add_u64 v[64:65], v[64:65], 1, v[8:9]
	s_mov_b64 s[18:19], 0
	v_mov_b64_e32 v[66:67], v[6:7]
                                        ; implicit-def: $sgpr16_sgpr17
                                        ; implicit-def: $sgpr20_sgpr21
                                        ; implicit-def: $sgpr24_sgpr25
                                        ; implicit-def: $sgpr22_sgpr23
                                        ; implicit-def: $sgpr26_sgpr27
                                        ; implicit-def: $sgpr28_sgpr29
	s_branch .LBB632_120
.LBB632_119:                            ;   in Loop: Header=BB632_120 Depth=1
	s_or_b64 exec, exec, s[30:31]
	s_and_b64 s[0:1], exec, s[24:25]
	s_or_b64 s[18:19], s[0:1], s[18:19]
	s_andn2_b64 s[0:1], s[28:29], exec
	s_and_b64 s[4:5], s[26:27], exec
	s_or_b64 s[28:29], s[0:1], s[4:5]
	s_andn2_b64 s[0:1], s[20:21], exec
	s_and_b64 s[4:5], s[22:23], exec
	;; [unrolled: 3-line block ×3, first 2 shown]
	s_or_b64 s[16:17], s[0:1], s[2:3]
	s_andn2_b64 exec, exec, s[18:19]
	s_cbranch_execz .LBB632_122
.LBB632_120:                            ; =>This Inner Loop Header: Depth=1
	flat_load_ushort v68, v[64:65]
	flat_load_ushort v69, v[54:55]
	s_andn2_b64 s[26:27], s[26:27], exec
	s_or_b64 s[22:23], s[22:23], exec
	s_or_b64 s[24:25], s[24:25], exec
	s_waitcnt vmcnt(0) lgkmcnt(0)
	v_cmp_le_i16_e64 s[2:3], v68, v69
	v_cmp_lt_i16_e64 s[0:1], v68, v69
	s_and_b64 s[2:3], s[2:3], s[28:29]
	v_cmp_eq_u16_e64 s[4:5], v68, v69
	s_or_b64 s[2:3], s[0:1], s[2:3]
	s_and_saveexec_b64 s[30:31], s[4:5]
	s_cbranch_execz .LBB632_119
; %bb.121:                              ;   in Loop: Header=BB632_120 Depth=1
	v_lshl_add_u64 v[66:67], v[66:67], 0, -1
	v_cmp_eq_u64_e64 s[0:1], 0, v[66:67]
	s_andn2_b64 s[4:5], s[26:27], exec
	s_and_b64 s[26:27], s[2:3], exec
	s_or_b64 s[26:27], s[4:5], s[26:27]
	s_andn2_b64 s[4:5], s[24:25], exec
	s_and_b64 s[0:1], s[0:1], exec
	v_lshl_add_u64 v[54:55], v[54:55], 0, 2
	v_lshl_add_u64 v[64:65], v[64:65], 0, 2
	s_andn2_b64 s[22:23], s[22:23], exec
	s_or_b64 s[24:25], s[4:5], s[0:1]
                                        ; implicit-def: $sgpr28_sgpr29
	s_branch .LBB632_119
.LBB632_122:
	s_or_b64 exec, exec, s[18:19]
	s_and_saveexec_b64 s[0:1], s[20:21]
	s_xor_b64 s[0:1], exec, s[0:1]
; %bb.123:
	v_cndmask_b32_e64 v55, v19, v13, s[16:17]
	v_cndmask_b32_e64 v54, v18, v12, s[16:17]
	;; [unrolled: 1-line block ×4, first 2 shown]
	v_mov_b64_e32 v[18:19], v[54:55]
; %bb.124:
	s_or_b64 exec, exec, s[0:1]
	s_or_b64 exec, exec, s[14:15]
	s_and_saveexec_b64 s[14:15], vcc
	s_cbranch_execz .LBB632_20
.LBB632_125:
	v_mul_lo_u32 v64, v15, v6
	v_mul_lo_u32 v65, v14, v7
	v_mad_u64_u32 v[54:55], s[0:1], v14, v6, 0
	v_add3_u32 v55, v55, v65, v64
	v_mul_lo_u32 v66, v1, v6
	v_mul_lo_u32 v67, v0, v7
	v_mad_u64_u32 v[64:65], s[0:1], v0, v6, 0
	v_add3_u32 v65, v65, v67, v66
	v_lshl_add_u64 v[54:55], v[54:55], 1, v[8:9]
	v_lshl_add_u64 v[64:65], v[64:65], 1, v[8:9]
	s_mov_b64 s[18:19], 0
	v_mov_b64_e32 v[66:67], v[6:7]
                                        ; implicit-def: $sgpr16_sgpr17
                                        ; implicit-def: $sgpr20_sgpr21
                                        ; implicit-def: $sgpr24_sgpr25
                                        ; implicit-def: $sgpr22_sgpr23
                                        ; implicit-def: $sgpr26_sgpr27
                                        ; implicit-def: $sgpr28_sgpr29
	s_branch .LBB632_127
.LBB632_126:                            ;   in Loop: Header=BB632_127 Depth=1
	s_or_b64 exec, exec, s[30:31]
	s_and_b64 s[0:1], exec, s[24:25]
	s_or_b64 s[18:19], s[0:1], s[18:19]
	s_andn2_b64 s[0:1], s[28:29], exec
	s_and_b64 s[4:5], s[26:27], exec
	s_or_b64 s[28:29], s[0:1], s[4:5]
	s_andn2_b64 s[0:1], s[20:21], exec
	s_and_b64 s[4:5], s[22:23], exec
	;; [unrolled: 3-line block ×3, first 2 shown]
	s_or_b64 s[16:17], s[0:1], s[2:3]
	s_andn2_b64 exec, exec, s[18:19]
	s_cbranch_execz .LBB632_129
.LBB632_127:                            ; =>This Inner Loop Header: Depth=1
	flat_load_ushort v68, v[64:65]
	flat_load_ushort v69, v[54:55]
	s_andn2_b64 s[26:27], s[26:27], exec
	s_or_b64 s[22:23], s[22:23], exec
	s_or_b64 s[24:25], s[24:25], exec
	s_waitcnt vmcnt(0) lgkmcnt(0)
	v_cmp_le_i16_e64 s[2:3], v68, v69
	v_cmp_lt_i16_e64 s[0:1], v68, v69
	s_and_b64 s[2:3], s[2:3], s[28:29]
	v_cmp_eq_u16_e64 s[4:5], v68, v69
	s_or_b64 s[2:3], s[0:1], s[2:3]
	s_and_saveexec_b64 s[30:31], s[4:5]
	s_cbranch_execz .LBB632_126
; %bb.128:                              ;   in Loop: Header=BB632_127 Depth=1
	v_lshl_add_u64 v[66:67], v[66:67], 0, -1
	v_cmp_eq_u64_e64 s[0:1], 0, v[66:67]
	s_andn2_b64 s[4:5], s[26:27], exec
	s_and_b64 s[26:27], s[2:3], exec
	s_or_b64 s[26:27], s[4:5], s[26:27]
	s_andn2_b64 s[4:5], s[24:25], exec
	s_and_b64 s[0:1], s[0:1], exec
	v_lshl_add_u64 v[54:55], v[54:55], 0, 2
	v_lshl_add_u64 v[64:65], v[64:65], 0, 2
	s_andn2_b64 s[22:23], s[22:23], exec
	s_or_b64 s[24:25], s[4:5], s[0:1]
                                        ; implicit-def: $sgpr28_sgpr29
	s_branch .LBB632_126
.LBB632_129:
	s_or_b64 exec, exec, s[18:19]
	s_and_saveexec_b64 s[0:1], s[20:21]
	s_xor_b64 s[0:1], exec, s[0:1]
; %bb.130:
	v_cndmask_b32_e64 v55, v15, v1, s[16:17]
	v_cndmask_b32_e64 v54, v14, v0, s[16:17]
	v_cndmask_b32_e64 v1, v1, v15, s[16:17]
	v_cndmask_b32_e64 v0, v0, v14, s[16:17]
	v_mov_b64_e32 v[14:15], v[54:55]
; %bb.131:
	s_or_b64 exec, exec, s[0:1]
	s_or_b64 exec, exec, s[14:15]
	s_and_saveexec_b64 s[14:15], vcc
	s_cbranch_execz .LBB632_21
.LBB632_132:
	v_mul_lo_u32 v64, v21, v6
	v_mul_lo_u32 v65, v20, v7
	v_mad_u64_u32 v[54:55], s[0:1], v20, v6, 0
	v_add3_u32 v55, v55, v65, v64
	v_mul_lo_u32 v66, v23, v6
	v_mul_lo_u32 v67, v22, v7
	v_mad_u64_u32 v[64:65], s[0:1], v22, v6, 0
	v_add3_u32 v65, v65, v67, v66
	v_lshl_add_u64 v[54:55], v[54:55], 1, v[8:9]
	v_lshl_add_u64 v[64:65], v[64:65], 1, v[8:9]
	s_mov_b64 s[18:19], 0
	v_mov_b64_e32 v[66:67], v[6:7]
                                        ; implicit-def: $sgpr16_sgpr17
                                        ; implicit-def: $sgpr20_sgpr21
                                        ; implicit-def: $sgpr24_sgpr25
                                        ; implicit-def: $sgpr22_sgpr23
                                        ; implicit-def: $sgpr26_sgpr27
                                        ; implicit-def: $sgpr28_sgpr29
	s_branch .LBB632_134
.LBB632_133:                            ;   in Loop: Header=BB632_134 Depth=1
	s_or_b64 exec, exec, s[30:31]
	s_and_b64 s[0:1], exec, s[24:25]
	s_or_b64 s[18:19], s[0:1], s[18:19]
	s_andn2_b64 s[0:1], s[28:29], exec
	s_and_b64 s[4:5], s[26:27], exec
	s_or_b64 s[28:29], s[0:1], s[4:5]
	s_andn2_b64 s[0:1], s[20:21], exec
	s_and_b64 s[4:5], s[22:23], exec
	s_or_b64 s[20:21], s[0:1], s[4:5]
	s_andn2_b64 s[0:1], s[16:17], exec
	s_and_b64 s[2:3], s[2:3], exec
	s_or_b64 s[16:17], s[0:1], s[2:3]
	s_andn2_b64 exec, exec, s[18:19]
	s_cbranch_execz .LBB632_136
.LBB632_134:                            ; =>This Inner Loop Header: Depth=1
	flat_load_ushort v68, v[64:65]
	flat_load_ushort v69, v[54:55]
	s_andn2_b64 s[26:27], s[26:27], exec
	s_or_b64 s[22:23], s[22:23], exec
	s_or_b64 s[24:25], s[24:25], exec
	s_waitcnt vmcnt(0) lgkmcnt(0)
	v_cmp_le_i16_e64 s[2:3], v68, v69
	v_cmp_lt_i16_e64 s[0:1], v68, v69
	s_and_b64 s[2:3], s[2:3], s[28:29]
	v_cmp_eq_u16_e64 s[4:5], v68, v69
	s_or_b64 s[2:3], s[0:1], s[2:3]
	s_and_saveexec_b64 s[30:31], s[4:5]
	s_cbranch_execz .LBB632_133
; %bb.135:                              ;   in Loop: Header=BB632_134 Depth=1
	v_lshl_add_u64 v[66:67], v[66:67], 0, -1
	v_cmp_eq_u64_e64 s[0:1], 0, v[66:67]
	s_andn2_b64 s[4:5], s[26:27], exec
	s_and_b64 s[26:27], s[2:3], exec
	s_or_b64 s[26:27], s[4:5], s[26:27]
	s_andn2_b64 s[4:5], s[24:25], exec
	s_and_b64 s[0:1], s[0:1], exec
	v_lshl_add_u64 v[54:55], v[54:55], 0, 2
	v_lshl_add_u64 v[64:65], v[64:65], 0, 2
	s_andn2_b64 s[22:23], s[22:23], exec
	s_or_b64 s[24:25], s[4:5], s[0:1]
                                        ; implicit-def: $sgpr28_sgpr29
	s_branch .LBB632_133
.LBB632_136:
	s_or_b64 exec, exec, s[18:19]
	s_and_saveexec_b64 s[0:1], s[20:21]
	s_xor_b64 s[0:1], exec, s[0:1]
; %bb.137:
	v_cndmask_b32_e64 v55, v23, v21, s[16:17]
	v_cndmask_b32_e64 v54, v22, v20, s[16:17]
	;; [unrolled: 1-line block ×4, first 2 shown]
	v_mov_b64_e32 v[22:23], v[54:55]
; %bb.138:
	s_or_b64 exec, exec, s[0:1]
	s_or_b64 exec, exec, s[14:15]
	s_and_saveexec_b64 s[14:15], vcc
	s_cbranch_execz .LBB632_22
.LBB632_139:
	v_mul_lo_u32 v64, v17, v6
	v_mul_lo_u32 v65, v16, v7
	v_mad_u64_u32 v[54:55], s[0:1], v16, v6, 0
	v_add3_u32 v55, v55, v65, v64
	v_mul_lo_u32 v66, v19, v6
	v_mul_lo_u32 v67, v18, v7
	v_mad_u64_u32 v[64:65], s[0:1], v18, v6, 0
	v_add3_u32 v65, v65, v67, v66
	v_lshl_add_u64 v[54:55], v[54:55], 1, v[8:9]
	v_lshl_add_u64 v[64:65], v[64:65], 1, v[8:9]
	s_mov_b64 s[18:19], 0
	v_mov_b64_e32 v[66:67], v[6:7]
                                        ; implicit-def: $sgpr16_sgpr17
                                        ; implicit-def: $sgpr20_sgpr21
                                        ; implicit-def: $sgpr24_sgpr25
                                        ; implicit-def: $sgpr22_sgpr23
                                        ; implicit-def: $sgpr26_sgpr27
                                        ; implicit-def: $sgpr28_sgpr29
	s_branch .LBB632_141
.LBB632_140:                            ;   in Loop: Header=BB632_141 Depth=1
	s_or_b64 exec, exec, s[30:31]
	s_and_b64 s[0:1], exec, s[24:25]
	s_or_b64 s[18:19], s[0:1], s[18:19]
	s_andn2_b64 s[0:1], s[28:29], exec
	s_and_b64 s[4:5], s[26:27], exec
	s_or_b64 s[28:29], s[0:1], s[4:5]
	s_andn2_b64 s[0:1], s[20:21], exec
	s_and_b64 s[4:5], s[22:23], exec
	;; [unrolled: 3-line block ×3, first 2 shown]
	s_or_b64 s[16:17], s[0:1], s[2:3]
	s_andn2_b64 exec, exec, s[18:19]
	s_cbranch_execz .LBB632_143
.LBB632_141:                            ; =>This Inner Loop Header: Depth=1
	flat_load_ushort v68, v[64:65]
	flat_load_ushort v69, v[54:55]
	s_andn2_b64 s[26:27], s[26:27], exec
	s_or_b64 s[22:23], s[22:23], exec
	s_or_b64 s[24:25], s[24:25], exec
	s_waitcnt vmcnt(0) lgkmcnt(0)
	v_cmp_le_i16_e64 s[2:3], v68, v69
	v_cmp_lt_i16_e64 s[0:1], v68, v69
	s_and_b64 s[2:3], s[2:3], s[28:29]
	v_cmp_eq_u16_e64 s[4:5], v68, v69
	s_or_b64 s[2:3], s[0:1], s[2:3]
	s_and_saveexec_b64 s[30:31], s[4:5]
	s_cbranch_execz .LBB632_140
; %bb.142:                              ;   in Loop: Header=BB632_141 Depth=1
	v_lshl_add_u64 v[66:67], v[66:67], 0, -1
	v_cmp_eq_u64_e64 s[0:1], 0, v[66:67]
	s_andn2_b64 s[4:5], s[26:27], exec
	s_and_b64 s[26:27], s[2:3], exec
	s_or_b64 s[26:27], s[4:5], s[26:27]
	s_andn2_b64 s[4:5], s[24:25], exec
	s_and_b64 s[0:1], s[0:1], exec
	v_lshl_add_u64 v[54:55], v[54:55], 0, 2
	v_lshl_add_u64 v[64:65], v[64:65], 0, 2
	s_andn2_b64 s[22:23], s[22:23], exec
	s_or_b64 s[24:25], s[4:5], s[0:1]
                                        ; implicit-def: $sgpr28_sgpr29
	s_branch .LBB632_140
.LBB632_143:
	s_or_b64 exec, exec, s[18:19]
	s_and_saveexec_b64 s[0:1], s[20:21]
	s_xor_b64 s[0:1], exec, s[0:1]
; %bb.144:
	v_cndmask_b32_e64 v55, v17, v19, s[16:17]
	v_cndmask_b32_e64 v54, v16, v18, s[16:17]
	;; [unrolled: 1-line block ×4, first 2 shown]
	v_mov_b64_e32 v[16:17], v[54:55]
; %bb.145:
	s_or_b64 exec, exec, s[0:1]
	s_or_b64 exec, exec, s[14:15]
	s_and_saveexec_b64 s[14:15], vcc
	s_cbranch_execz .LBB632_23
.LBB632_146:
	v_mul_lo_u32 v64, v13, v6
	v_mul_lo_u32 v65, v12, v7
	v_mad_u64_u32 v[54:55], s[0:1], v12, v6, 0
	v_add3_u32 v55, v55, v65, v64
	v_mul_lo_u32 v66, v15, v6
	v_mul_lo_u32 v67, v14, v7
	v_mad_u64_u32 v[64:65], s[0:1], v14, v6, 0
	v_add3_u32 v65, v65, v67, v66
	v_lshl_add_u64 v[54:55], v[54:55], 1, v[8:9]
	v_lshl_add_u64 v[64:65], v[64:65], 1, v[8:9]
	s_mov_b64 s[18:19], 0
	v_mov_b64_e32 v[66:67], v[6:7]
                                        ; implicit-def: $sgpr16_sgpr17
                                        ; implicit-def: $sgpr20_sgpr21
                                        ; implicit-def: $sgpr24_sgpr25
                                        ; implicit-def: $sgpr22_sgpr23
                                        ; implicit-def: $sgpr26_sgpr27
                                        ; implicit-def: $sgpr28_sgpr29
	s_branch .LBB632_148
.LBB632_147:                            ;   in Loop: Header=BB632_148 Depth=1
	s_or_b64 exec, exec, s[30:31]
	s_and_b64 s[0:1], exec, s[24:25]
	s_or_b64 s[18:19], s[0:1], s[18:19]
	s_andn2_b64 s[0:1], s[28:29], exec
	s_and_b64 s[4:5], s[26:27], exec
	s_or_b64 s[28:29], s[0:1], s[4:5]
	s_andn2_b64 s[0:1], s[20:21], exec
	s_and_b64 s[4:5], s[22:23], exec
	;; [unrolled: 3-line block ×3, first 2 shown]
	s_or_b64 s[16:17], s[0:1], s[2:3]
	s_andn2_b64 exec, exec, s[18:19]
	s_cbranch_execz .LBB632_150
.LBB632_148:                            ; =>This Inner Loop Header: Depth=1
	flat_load_ushort v68, v[64:65]
	flat_load_ushort v69, v[54:55]
	s_andn2_b64 s[26:27], s[26:27], exec
	s_or_b64 s[22:23], s[22:23], exec
	s_or_b64 s[24:25], s[24:25], exec
	s_waitcnt vmcnt(0) lgkmcnt(0)
	v_cmp_le_i16_e64 s[2:3], v68, v69
	v_cmp_lt_i16_e64 s[0:1], v68, v69
	s_and_b64 s[2:3], s[2:3], s[28:29]
	v_cmp_eq_u16_e64 s[4:5], v68, v69
	s_or_b64 s[2:3], s[0:1], s[2:3]
	s_and_saveexec_b64 s[30:31], s[4:5]
	s_cbranch_execz .LBB632_147
; %bb.149:                              ;   in Loop: Header=BB632_148 Depth=1
	v_lshl_add_u64 v[66:67], v[66:67], 0, -1
	v_cmp_eq_u64_e64 s[0:1], 0, v[66:67]
	s_andn2_b64 s[4:5], s[26:27], exec
	s_and_b64 s[26:27], s[2:3], exec
	s_or_b64 s[26:27], s[4:5], s[26:27]
	s_andn2_b64 s[4:5], s[24:25], exec
	s_and_b64 s[0:1], s[0:1], exec
	v_lshl_add_u64 v[54:55], v[54:55], 0, 2
	v_lshl_add_u64 v[64:65], v[64:65], 0, 2
	s_andn2_b64 s[22:23], s[22:23], exec
	s_or_b64 s[24:25], s[4:5], s[0:1]
                                        ; implicit-def: $sgpr28_sgpr29
	s_branch .LBB632_147
.LBB632_150:
	s_or_b64 exec, exec, s[18:19]
	s_and_saveexec_b64 s[0:1], s[20:21]
	s_xor_b64 s[0:1], exec, s[0:1]
; %bb.151:
	v_cndmask_b32_e64 v55, v13, v15, s[16:17]
	v_cndmask_b32_e64 v54, v12, v14, s[16:17]
	;; [unrolled: 1-line block ×4, first 2 shown]
	v_mov_b64_e32 v[12:13], v[54:55]
; %bb.152:
	s_or_b64 exec, exec, s[0:1]
	s_or_b64 exec, exec, s[14:15]
	s_and_saveexec_b64 s[14:15], vcc
	s_cbranch_execz .LBB632_24
.LBB632_153:
	v_mul_lo_u32 v64, v1, v6
	v_mul_lo_u32 v65, v0, v7
	v_mad_u64_u32 v[54:55], s[0:1], v0, v6, 0
	v_add3_u32 v55, v55, v65, v64
	v_mul_lo_u32 v66, v3, v6
	v_mul_lo_u32 v67, v2, v7
	v_mad_u64_u32 v[64:65], s[0:1], v2, v6, 0
	v_add3_u32 v65, v65, v67, v66
	v_lshl_add_u64 v[54:55], v[54:55], 1, v[8:9]
	v_lshl_add_u64 v[64:65], v[64:65], 1, v[8:9]
	s_mov_b64 s[18:19], 0
	v_mov_b64_e32 v[66:67], v[6:7]
                                        ; implicit-def: $sgpr16_sgpr17
                                        ; implicit-def: $sgpr20_sgpr21
                                        ; implicit-def: $sgpr24_sgpr25
                                        ; implicit-def: $sgpr22_sgpr23
                                        ; implicit-def: $sgpr26_sgpr27
                                        ; implicit-def: $sgpr28_sgpr29
	s_branch .LBB632_155
.LBB632_154:                            ;   in Loop: Header=BB632_155 Depth=1
	s_or_b64 exec, exec, s[30:31]
	s_and_b64 s[0:1], exec, s[24:25]
	s_or_b64 s[18:19], s[0:1], s[18:19]
	s_andn2_b64 s[0:1], s[28:29], exec
	s_and_b64 s[4:5], s[26:27], exec
	s_or_b64 s[28:29], s[0:1], s[4:5]
	s_andn2_b64 s[0:1], s[20:21], exec
	s_and_b64 s[4:5], s[22:23], exec
	;; [unrolled: 3-line block ×3, first 2 shown]
	s_or_b64 s[16:17], s[0:1], s[2:3]
	s_andn2_b64 exec, exec, s[18:19]
	s_cbranch_execz .LBB632_157
.LBB632_155:                            ; =>This Inner Loop Header: Depth=1
	flat_load_ushort v68, v[64:65]
	flat_load_ushort v69, v[54:55]
	s_andn2_b64 s[26:27], s[26:27], exec
	s_or_b64 s[22:23], s[22:23], exec
	s_or_b64 s[24:25], s[24:25], exec
	s_waitcnt vmcnt(0) lgkmcnt(0)
	v_cmp_le_i16_e64 s[2:3], v68, v69
	v_cmp_lt_i16_e64 s[0:1], v68, v69
	s_and_b64 s[2:3], s[2:3], s[28:29]
	v_cmp_eq_u16_e64 s[4:5], v68, v69
	s_or_b64 s[2:3], s[0:1], s[2:3]
	s_and_saveexec_b64 s[30:31], s[4:5]
	s_cbranch_execz .LBB632_154
; %bb.156:                              ;   in Loop: Header=BB632_155 Depth=1
	v_lshl_add_u64 v[66:67], v[66:67], 0, -1
	v_cmp_eq_u64_e64 s[0:1], 0, v[66:67]
	s_andn2_b64 s[4:5], s[26:27], exec
	s_and_b64 s[26:27], s[2:3], exec
	s_or_b64 s[26:27], s[4:5], s[26:27]
	s_andn2_b64 s[4:5], s[24:25], exec
	s_and_b64 s[0:1], s[0:1], exec
	v_lshl_add_u64 v[54:55], v[54:55], 0, 2
	v_lshl_add_u64 v[64:65], v[64:65], 0, 2
	s_andn2_b64 s[22:23], s[22:23], exec
	s_or_b64 s[24:25], s[4:5], s[0:1]
                                        ; implicit-def: $sgpr28_sgpr29
	s_branch .LBB632_154
.LBB632_157:
	s_or_b64 exec, exec, s[18:19]
	s_and_saveexec_b64 s[0:1], s[20:21]
	s_xor_b64 s[0:1], exec, s[0:1]
; %bb.158:
	v_cndmask_b32_e64 v55, v1, v3, s[16:17]
	v_cndmask_b32_e64 v54, v0, v2, s[16:17]
	;; [unrolled: 1-line block ×4, first 2 shown]
	v_mov_b64_e32 v[0:1], v[54:55]
; %bb.159:
	s_or_b64 exec, exec, s[0:1]
	s_or_b64 exec, exec, s[14:15]
	s_and_saveexec_b64 s[14:15], vcc
	s_cbranch_execz .LBB632_25
.LBB632_160:
	v_mul_lo_u32 v64, v23, v6
	v_mul_lo_u32 v65, v22, v7
	v_mad_u64_u32 v[54:55], s[0:1], v22, v6, 0
	v_add3_u32 v55, v55, v65, v64
	v_mul_lo_u32 v66, v17, v6
	v_mul_lo_u32 v67, v16, v7
	v_mad_u64_u32 v[64:65], s[0:1], v16, v6, 0
	v_add3_u32 v65, v65, v67, v66
	v_lshl_add_u64 v[54:55], v[54:55], 1, v[8:9]
	v_lshl_add_u64 v[64:65], v[64:65], 1, v[8:9]
	s_mov_b64 s[18:19], 0
	v_mov_b64_e32 v[66:67], v[6:7]
                                        ; implicit-def: $sgpr16_sgpr17
                                        ; implicit-def: $sgpr20_sgpr21
                                        ; implicit-def: $sgpr24_sgpr25
                                        ; implicit-def: $sgpr22_sgpr23
                                        ; implicit-def: $sgpr26_sgpr27
                                        ; implicit-def: $sgpr28_sgpr29
	s_branch .LBB632_162
.LBB632_161:                            ;   in Loop: Header=BB632_162 Depth=1
	s_or_b64 exec, exec, s[30:31]
	s_and_b64 s[0:1], exec, s[24:25]
	s_or_b64 s[18:19], s[0:1], s[18:19]
	s_andn2_b64 s[0:1], s[28:29], exec
	s_and_b64 s[4:5], s[26:27], exec
	s_or_b64 s[28:29], s[0:1], s[4:5]
	s_andn2_b64 s[0:1], s[20:21], exec
	s_and_b64 s[4:5], s[22:23], exec
	;; [unrolled: 3-line block ×3, first 2 shown]
	s_or_b64 s[16:17], s[0:1], s[2:3]
	s_andn2_b64 exec, exec, s[18:19]
	s_cbranch_execz .LBB632_164
.LBB632_162:                            ; =>This Inner Loop Header: Depth=1
	flat_load_ushort v68, v[64:65]
	flat_load_ushort v69, v[54:55]
	s_andn2_b64 s[26:27], s[26:27], exec
	s_or_b64 s[22:23], s[22:23], exec
	s_or_b64 s[24:25], s[24:25], exec
	s_waitcnt vmcnt(0) lgkmcnt(0)
	v_cmp_le_i16_e64 s[2:3], v68, v69
	v_cmp_lt_i16_e64 s[0:1], v68, v69
	s_and_b64 s[2:3], s[2:3], s[28:29]
	v_cmp_eq_u16_e64 s[4:5], v68, v69
	s_or_b64 s[2:3], s[0:1], s[2:3]
	s_and_saveexec_b64 s[30:31], s[4:5]
	s_cbranch_execz .LBB632_161
; %bb.163:                              ;   in Loop: Header=BB632_162 Depth=1
	v_lshl_add_u64 v[66:67], v[66:67], 0, -1
	v_cmp_eq_u64_e64 s[0:1], 0, v[66:67]
	s_andn2_b64 s[4:5], s[26:27], exec
	s_and_b64 s[26:27], s[2:3], exec
	s_or_b64 s[26:27], s[4:5], s[26:27]
	s_andn2_b64 s[4:5], s[24:25], exec
	s_and_b64 s[0:1], s[0:1], exec
	v_lshl_add_u64 v[54:55], v[54:55], 0, 2
	v_lshl_add_u64 v[64:65], v[64:65], 0, 2
	s_andn2_b64 s[22:23], s[22:23], exec
	s_or_b64 s[24:25], s[4:5], s[0:1]
                                        ; implicit-def: $sgpr28_sgpr29
	s_branch .LBB632_161
.LBB632_164:
	s_or_b64 exec, exec, s[18:19]
	s_and_saveexec_b64 s[0:1], s[20:21]
	s_xor_b64 s[0:1], exec, s[0:1]
; %bb.165:
	v_cndmask_b32_e64 v55, v23, v17, s[16:17]
	v_cndmask_b32_e64 v54, v22, v16, s[16:17]
	;; [unrolled: 1-line block ×4, first 2 shown]
	v_mov_b64_e32 v[22:23], v[54:55]
; %bb.166:
	s_or_b64 exec, exec, s[0:1]
	s_or_b64 exec, exec, s[14:15]
	s_and_saveexec_b64 s[14:15], vcc
	s_cbranch_execz .LBB632_26
.LBB632_167:
	v_mul_lo_u32 v64, v19, v6
	v_mul_lo_u32 v65, v18, v7
	v_mad_u64_u32 v[54:55], s[0:1], v18, v6, 0
	v_add3_u32 v55, v55, v65, v64
	v_mul_lo_u32 v66, v13, v6
	v_mul_lo_u32 v67, v12, v7
	v_mad_u64_u32 v[64:65], s[0:1], v12, v6, 0
	v_add3_u32 v65, v65, v67, v66
	v_lshl_add_u64 v[54:55], v[54:55], 1, v[8:9]
	v_lshl_add_u64 v[64:65], v[64:65], 1, v[8:9]
	s_mov_b64 s[18:19], 0
	v_mov_b64_e32 v[66:67], v[6:7]
                                        ; implicit-def: $sgpr16_sgpr17
                                        ; implicit-def: $sgpr20_sgpr21
                                        ; implicit-def: $sgpr24_sgpr25
                                        ; implicit-def: $sgpr22_sgpr23
                                        ; implicit-def: $sgpr26_sgpr27
                                        ; implicit-def: $sgpr28_sgpr29
	s_branch .LBB632_169
.LBB632_168:                            ;   in Loop: Header=BB632_169 Depth=1
	s_or_b64 exec, exec, s[30:31]
	s_and_b64 s[0:1], exec, s[24:25]
	s_or_b64 s[18:19], s[0:1], s[18:19]
	s_andn2_b64 s[0:1], s[28:29], exec
	s_and_b64 s[4:5], s[26:27], exec
	s_or_b64 s[28:29], s[0:1], s[4:5]
	s_andn2_b64 s[0:1], s[20:21], exec
	s_and_b64 s[4:5], s[22:23], exec
	;; [unrolled: 3-line block ×3, first 2 shown]
	s_or_b64 s[16:17], s[0:1], s[2:3]
	s_andn2_b64 exec, exec, s[18:19]
	s_cbranch_execz .LBB632_171
.LBB632_169:                            ; =>This Inner Loop Header: Depth=1
	flat_load_ushort v68, v[64:65]
	flat_load_ushort v69, v[54:55]
	s_andn2_b64 s[26:27], s[26:27], exec
	s_or_b64 s[22:23], s[22:23], exec
	s_or_b64 s[24:25], s[24:25], exec
	s_waitcnt vmcnt(0) lgkmcnt(0)
	v_cmp_le_i16_e64 s[2:3], v68, v69
	v_cmp_lt_i16_e64 s[0:1], v68, v69
	s_and_b64 s[2:3], s[2:3], s[28:29]
	v_cmp_eq_u16_e64 s[4:5], v68, v69
	s_or_b64 s[2:3], s[0:1], s[2:3]
	s_and_saveexec_b64 s[30:31], s[4:5]
	s_cbranch_execz .LBB632_168
; %bb.170:                              ;   in Loop: Header=BB632_169 Depth=1
	v_lshl_add_u64 v[66:67], v[66:67], 0, -1
	v_cmp_eq_u64_e64 s[0:1], 0, v[66:67]
	s_andn2_b64 s[4:5], s[26:27], exec
	s_and_b64 s[26:27], s[2:3], exec
	s_or_b64 s[26:27], s[4:5], s[26:27]
	s_andn2_b64 s[4:5], s[24:25], exec
	s_and_b64 s[0:1], s[0:1], exec
	v_lshl_add_u64 v[54:55], v[54:55], 0, 2
	v_lshl_add_u64 v[64:65], v[64:65], 0, 2
	s_andn2_b64 s[22:23], s[22:23], exec
	s_or_b64 s[24:25], s[4:5], s[0:1]
                                        ; implicit-def: $sgpr28_sgpr29
	s_branch .LBB632_168
.LBB632_171:
	s_or_b64 exec, exec, s[18:19]
	s_and_saveexec_b64 s[0:1], s[20:21]
	s_xor_b64 s[0:1], exec, s[0:1]
; %bb.172:
	v_cndmask_b32_e64 v55, v19, v13, s[16:17]
	v_cndmask_b32_e64 v54, v18, v12, s[16:17]
	;; [unrolled: 1-line block ×4, first 2 shown]
	v_mov_b64_e32 v[18:19], v[54:55]
; %bb.173:
	s_or_b64 exec, exec, s[0:1]
	s_or_b64 exec, exec, s[14:15]
	s_and_saveexec_b64 s[14:15], vcc
	s_cbranch_execz .LBB632_27
.LBB632_174:
	v_mul_lo_u32 v64, v15, v6
	v_mul_lo_u32 v65, v14, v7
	v_mad_u64_u32 v[54:55], s[0:1], v14, v6, 0
	v_add3_u32 v55, v55, v65, v64
	v_mul_lo_u32 v66, v1, v6
	v_mul_lo_u32 v67, v0, v7
	v_mad_u64_u32 v[64:65], s[0:1], v0, v6, 0
	v_add3_u32 v65, v65, v67, v66
	v_lshl_add_u64 v[54:55], v[54:55], 1, v[8:9]
	v_lshl_add_u64 v[64:65], v[64:65], 1, v[8:9]
	s_mov_b64 s[18:19], 0
	v_mov_b64_e32 v[66:67], v[6:7]
                                        ; implicit-def: $sgpr16_sgpr17
                                        ; implicit-def: $sgpr20_sgpr21
                                        ; implicit-def: $sgpr24_sgpr25
                                        ; implicit-def: $sgpr22_sgpr23
                                        ; implicit-def: $sgpr26_sgpr27
                                        ; implicit-def: $sgpr28_sgpr29
	s_branch .LBB632_176
.LBB632_175:                            ;   in Loop: Header=BB632_176 Depth=1
	s_or_b64 exec, exec, s[30:31]
	s_and_b64 s[0:1], exec, s[24:25]
	s_or_b64 s[18:19], s[0:1], s[18:19]
	s_andn2_b64 s[0:1], s[28:29], exec
	s_and_b64 s[4:5], s[26:27], exec
	s_or_b64 s[28:29], s[0:1], s[4:5]
	s_andn2_b64 s[0:1], s[20:21], exec
	s_and_b64 s[4:5], s[22:23], exec
	;; [unrolled: 3-line block ×3, first 2 shown]
	s_or_b64 s[16:17], s[0:1], s[2:3]
	s_andn2_b64 exec, exec, s[18:19]
	s_cbranch_execz .LBB632_178
.LBB632_176:                            ; =>This Inner Loop Header: Depth=1
	flat_load_ushort v68, v[64:65]
	flat_load_ushort v69, v[54:55]
	s_andn2_b64 s[26:27], s[26:27], exec
	s_or_b64 s[22:23], s[22:23], exec
	s_or_b64 s[24:25], s[24:25], exec
	s_waitcnt vmcnt(0) lgkmcnt(0)
	v_cmp_le_i16_e64 s[2:3], v68, v69
	v_cmp_lt_i16_e64 s[0:1], v68, v69
	s_and_b64 s[2:3], s[2:3], s[28:29]
	v_cmp_eq_u16_e64 s[4:5], v68, v69
	s_or_b64 s[2:3], s[0:1], s[2:3]
	s_and_saveexec_b64 s[30:31], s[4:5]
	s_cbranch_execz .LBB632_175
; %bb.177:                              ;   in Loop: Header=BB632_176 Depth=1
	v_lshl_add_u64 v[66:67], v[66:67], 0, -1
	v_cmp_eq_u64_e64 s[0:1], 0, v[66:67]
	s_andn2_b64 s[4:5], s[26:27], exec
	s_and_b64 s[26:27], s[2:3], exec
	s_or_b64 s[26:27], s[4:5], s[26:27]
	s_andn2_b64 s[4:5], s[24:25], exec
	s_and_b64 s[0:1], s[0:1], exec
	v_lshl_add_u64 v[54:55], v[54:55], 0, 2
	v_lshl_add_u64 v[64:65], v[64:65], 0, 2
	s_andn2_b64 s[22:23], s[22:23], exec
	s_or_b64 s[24:25], s[4:5], s[0:1]
                                        ; implicit-def: $sgpr28_sgpr29
	s_branch .LBB632_175
.LBB632_178:
	s_or_b64 exec, exec, s[18:19]
	s_and_saveexec_b64 s[0:1], s[20:21]
	s_xor_b64 s[0:1], exec, s[0:1]
; %bb.179:
	v_cndmask_b32_e64 v55, v15, v1, s[16:17]
	v_cndmask_b32_e64 v54, v14, v0, s[16:17]
	;; [unrolled: 1-line block ×4, first 2 shown]
	v_mov_b64_e32 v[14:15], v[54:55]
; %bb.180:
	s_or_b64 exec, exec, s[0:1]
	s_or_b64 exec, exec, s[14:15]
	s_and_saveexec_b64 s[14:15], vcc
	s_cbranch_execz .LBB632_28
.LBB632_181:
	v_mul_lo_u32 v64, v21, v6
	v_mul_lo_u32 v65, v20, v7
	v_mad_u64_u32 v[54:55], s[0:1], v20, v6, 0
	v_add3_u32 v55, v55, v65, v64
	v_mul_lo_u32 v66, v23, v6
	v_mul_lo_u32 v67, v22, v7
	v_mad_u64_u32 v[64:65], s[0:1], v22, v6, 0
	v_add3_u32 v65, v65, v67, v66
	v_lshl_add_u64 v[54:55], v[54:55], 1, v[8:9]
	v_lshl_add_u64 v[64:65], v[64:65], 1, v[8:9]
	s_mov_b64 s[18:19], 0
	v_mov_b64_e32 v[66:67], v[6:7]
                                        ; implicit-def: $sgpr16_sgpr17
                                        ; implicit-def: $sgpr20_sgpr21
                                        ; implicit-def: $sgpr24_sgpr25
                                        ; implicit-def: $sgpr22_sgpr23
                                        ; implicit-def: $sgpr26_sgpr27
                                        ; implicit-def: $sgpr28_sgpr29
	s_branch .LBB632_183
.LBB632_182:                            ;   in Loop: Header=BB632_183 Depth=1
	s_or_b64 exec, exec, s[30:31]
	s_and_b64 s[0:1], exec, s[24:25]
	s_or_b64 s[18:19], s[0:1], s[18:19]
	s_andn2_b64 s[0:1], s[28:29], exec
	s_and_b64 s[4:5], s[26:27], exec
	s_or_b64 s[28:29], s[0:1], s[4:5]
	s_andn2_b64 s[0:1], s[20:21], exec
	s_and_b64 s[4:5], s[22:23], exec
	;; [unrolled: 3-line block ×3, first 2 shown]
	s_or_b64 s[16:17], s[0:1], s[2:3]
	s_andn2_b64 exec, exec, s[18:19]
	s_cbranch_execz .LBB632_185
.LBB632_183:                            ; =>This Inner Loop Header: Depth=1
	flat_load_ushort v68, v[64:65]
	flat_load_ushort v69, v[54:55]
	s_andn2_b64 s[26:27], s[26:27], exec
	s_or_b64 s[22:23], s[22:23], exec
	s_or_b64 s[24:25], s[24:25], exec
	s_waitcnt vmcnt(0) lgkmcnt(0)
	v_cmp_le_i16_e64 s[2:3], v68, v69
	v_cmp_lt_i16_e64 s[0:1], v68, v69
	s_and_b64 s[2:3], s[2:3], s[28:29]
	v_cmp_eq_u16_e64 s[4:5], v68, v69
	s_or_b64 s[2:3], s[0:1], s[2:3]
	s_and_saveexec_b64 s[30:31], s[4:5]
	s_cbranch_execz .LBB632_182
; %bb.184:                              ;   in Loop: Header=BB632_183 Depth=1
	v_lshl_add_u64 v[66:67], v[66:67], 0, -1
	v_cmp_eq_u64_e64 s[0:1], 0, v[66:67]
	s_andn2_b64 s[4:5], s[26:27], exec
	s_and_b64 s[26:27], s[2:3], exec
	s_or_b64 s[26:27], s[4:5], s[26:27]
	s_andn2_b64 s[4:5], s[24:25], exec
	s_and_b64 s[0:1], s[0:1], exec
	v_lshl_add_u64 v[54:55], v[54:55], 0, 2
	v_lshl_add_u64 v[64:65], v[64:65], 0, 2
	s_andn2_b64 s[22:23], s[22:23], exec
	s_or_b64 s[24:25], s[4:5], s[0:1]
                                        ; implicit-def: $sgpr28_sgpr29
	s_branch .LBB632_182
.LBB632_185:
	s_or_b64 exec, exec, s[18:19]
	s_and_saveexec_b64 s[0:1], s[20:21]
	s_xor_b64 s[0:1], exec, s[0:1]
; %bb.186:
	v_cndmask_b32_e64 v55, v23, v21, s[16:17]
	v_cndmask_b32_e64 v54, v22, v20, s[16:17]
	;; [unrolled: 1-line block ×4, first 2 shown]
	v_mov_b64_e32 v[22:23], v[54:55]
; %bb.187:
	s_or_b64 exec, exec, s[0:1]
	s_or_b64 exec, exec, s[14:15]
	s_and_saveexec_b64 s[14:15], vcc
	s_cbranch_execz .LBB632_29
.LBB632_188:
	v_mul_lo_u32 v64, v17, v6
	v_mul_lo_u32 v65, v16, v7
	v_mad_u64_u32 v[54:55], s[0:1], v16, v6, 0
	v_add3_u32 v55, v55, v65, v64
	v_mul_lo_u32 v66, v19, v6
	v_mul_lo_u32 v67, v18, v7
	v_mad_u64_u32 v[64:65], s[0:1], v18, v6, 0
	v_add3_u32 v65, v65, v67, v66
	v_lshl_add_u64 v[54:55], v[54:55], 1, v[8:9]
	v_lshl_add_u64 v[64:65], v[64:65], 1, v[8:9]
	s_mov_b64 s[18:19], 0
	v_mov_b64_e32 v[66:67], v[6:7]
                                        ; implicit-def: $sgpr16_sgpr17
                                        ; implicit-def: $sgpr20_sgpr21
                                        ; implicit-def: $sgpr24_sgpr25
                                        ; implicit-def: $sgpr22_sgpr23
                                        ; implicit-def: $sgpr26_sgpr27
                                        ; implicit-def: $sgpr28_sgpr29
	s_branch .LBB632_190
.LBB632_189:                            ;   in Loop: Header=BB632_190 Depth=1
	s_or_b64 exec, exec, s[30:31]
	s_and_b64 s[0:1], exec, s[24:25]
	s_or_b64 s[18:19], s[0:1], s[18:19]
	s_andn2_b64 s[0:1], s[28:29], exec
	s_and_b64 s[4:5], s[26:27], exec
	s_or_b64 s[28:29], s[0:1], s[4:5]
	s_andn2_b64 s[0:1], s[20:21], exec
	s_and_b64 s[4:5], s[22:23], exec
	;; [unrolled: 3-line block ×3, first 2 shown]
	s_or_b64 s[16:17], s[0:1], s[2:3]
	s_andn2_b64 exec, exec, s[18:19]
	s_cbranch_execz .LBB632_192
.LBB632_190:                            ; =>This Inner Loop Header: Depth=1
	flat_load_ushort v68, v[64:65]
	flat_load_ushort v69, v[54:55]
	s_andn2_b64 s[26:27], s[26:27], exec
	s_or_b64 s[22:23], s[22:23], exec
	s_or_b64 s[24:25], s[24:25], exec
	s_waitcnt vmcnt(0) lgkmcnt(0)
	v_cmp_le_i16_e64 s[2:3], v68, v69
	v_cmp_lt_i16_e64 s[0:1], v68, v69
	s_and_b64 s[2:3], s[2:3], s[28:29]
	v_cmp_eq_u16_e64 s[4:5], v68, v69
	s_or_b64 s[2:3], s[0:1], s[2:3]
	s_and_saveexec_b64 s[30:31], s[4:5]
	s_cbranch_execz .LBB632_189
; %bb.191:                              ;   in Loop: Header=BB632_190 Depth=1
	v_lshl_add_u64 v[66:67], v[66:67], 0, -1
	v_cmp_eq_u64_e64 s[0:1], 0, v[66:67]
	s_andn2_b64 s[4:5], s[26:27], exec
	s_and_b64 s[26:27], s[2:3], exec
	s_or_b64 s[26:27], s[4:5], s[26:27]
	s_andn2_b64 s[4:5], s[24:25], exec
	s_and_b64 s[0:1], s[0:1], exec
	v_lshl_add_u64 v[54:55], v[54:55], 0, 2
	v_lshl_add_u64 v[64:65], v[64:65], 0, 2
	s_andn2_b64 s[22:23], s[22:23], exec
	s_or_b64 s[24:25], s[4:5], s[0:1]
                                        ; implicit-def: $sgpr28_sgpr29
	s_branch .LBB632_189
.LBB632_192:
	s_or_b64 exec, exec, s[18:19]
	s_and_saveexec_b64 s[0:1], s[20:21]
	s_xor_b64 s[0:1], exec, s[0:1]
; %bb.193:
	v_cndmask_b32_e64 v55, v17, v19, s[16:17]
	v_cndmask_b32_e64 v54, v16, v18, s[16:17]
	;; [unrolled: 1-line block ×4, first 2 shown]
	v_mov_b64_e32 v[16:17], v[54:55]
; %bb.194:
	s_or_b64 exec, exec, s[0:1]
	s_or_b64 exec, exec, s[14:15]
	s_and_saveexec_b64 s[14:15], vcc
	s_cbranch_execz .LBB632_30
.LBB632_195:
	v_mul_lo_u32 v64, v13, v6
	v_mul_lo_u32 v65, v12, v7
	v_mad_u64_u32 v[54:55], s[0:1], v12, v6, 0
	v_add3_u32 v55, v55, v65, v64
	v_mul_lo_u32 v66, v15, v6
	v_mul_lo_u32 v67, v14, v7
	v_mad_u64_u32 v[64:65], s[0:1], v14, v6, 0
	v_add3_u32 v65, v65, v67, v66
	v_lshl_add_u64 v[54:55], v[54:55], 1, v[8:9]
	v_lshl_add_u64 v[64:65], v[64:65], 1, v[8:9]
	s_mov_b64 s[18:19], 0
	v_mov_b64_e32 v[66:67], v[6:7]
                                        ; implicit-def: $sgpr16_sgpr17
                                        ; implicit-def: $sgpr20_sgpr21
                                        ; implicit-def: $sgpr24_sgpr25
                                        ; implicit-def: $sgpr22_sgpr23
                                        ; implicit-def: $sgpr26_sgpr27
                                        ; implicit-def: $sgpr28_sgpr29
	s_branch .LBB632_197
.LBB632_196:                            ;   in Loop: Header=BB632_197 Depth=1
	s_or_b64 exec, exec, s[30:31]
	s_and_b64 s[0:1], exec, s[24:25]
	s_or_b64 s[18:19], s[0:1], s[18:19]
	s_andn2_b64 s[0:1], s[28:29], exec
	s_and_b64 s[4:5], s[26:27], exec
	s_or_b64 s[28:29], s[0:1], s[4:5]
	s_andn2_b64 s[0:1], s[20:21], exec
	s_and_b64 s[4:5], s[22:23], exec
	;; [unrolled: 3-line block ×3, first 2 shown]
	s_or_b64 s[16:17], s[0:1], s[2:3]
	s_andn2_b64 exec, exec, s[18:19]
	s_cbranch_execz .LBB632_199
.LBB632_197:                            ; =>This Inner Loop Header: Depth=1
	flat_load_ushort v68, v[64:65]
	flat_load_ushort v69, v[54:55]
	s_andn2_b64 s[26:27], s[26:27], exec
	s_or_b64 s[22:23], s[22:23], exec
	s_or_b64 s[24:25], s[24:25], exec
	s_waitcnt vmcnt(0) lgkmcnt(0)
	v_cmp_le_i16_e64 s[2:3], v68, v69
	v_cmp_lt_i16_e64 s[0:1], v68, v69
	s_and_b64 s[2:3], s[2:3], s[28:29]
	v_cmp_eq_u16_e64 s[4:5], v68, v69
	s_or_b64 s[2:3], s[0:1], s[2:3]
	s_and_saveexec_b64 s[30:31], s[4:5]
	s_cbranch_execz .LBB632_196
; %bb.198:                              ;   in Loop: Header=BB632_197 Depth=1
	v_lshl_add_u64 v[66:67], v[66:67], 0, -1
	v_cmp_eq_u64_e64 s[0:1], 0, v[66:67]
	s_andn2_b64 s[4:5], s[26:27], exec
	s_and_b64 s[26:27], s[2:3], exec
	s_or_b64 s[26:27], s[4:5], s[26:27]
	s_andn2_b64 s[4:5], s[24:25], exec
	s_and_b64 s[0:1], s[0:1], exec
	v_lshl_add_u64 v[54:55], v[54:55], 0, 2
	v_lshl_add_u64 v[64:65], v[64:65], 0, 2
	s_andn2_b64 s[22:23], s[22:23], exec
	s_or_b64 s[24:25], s[4:5], s[0:1]
                                        ; implicit-def: $sgpr28_sgpr29
	s_branch .LBB632_196
.LBB632_199:
	s_or_b64 exec, exec, s[18:19]
	s_and_saveexec_b64 s[0:1], s[20:21]
	s_xor_b64 s[0:1], exec, s[0:1]
; %bb.200:
	v_cndmask_b32_e64 v55, v13, v15, s[16:17]
	v_cndmask_b32_e64 v54, v12, v14, s[16:17]
	;; [unrolled: 1-line block ×4, first 2 shown]
	v_mov_b64_e32 v[12:13], v[54:55]
; %bb.201:
	s_or_b64 exec, exec, s[0:1]
	s_or_b64 exec, exec, s[14:15]
	s_and_saveexec_b64 s[14:15], vcc
	s_cbranch_execz .LBB632_31
.LBB632_202:
	v_mul_lo_u32 v64, v1, v6
	v_mul_lo_u32 v65, v0, v7
	v_mad_u64_u32 v[54:55], s[0:1], v0, v6, 0
	v_add3_u32 v55, v55, v65, v64
	v_mul_lo_u32 v66, v3, v6
	v_mul_lo_u32 v67, v2, v7
	v_mad_u64_u32 v[64:65], s[0:1], v2, v6, 0
	v_add3_u32 v65, v65, v67, v66
	v_lshl_add_u64 v[54:55], v[54:55], 1, v[8:9]
	v_lshl_add_u64 v[64:65], v[64:65], 1, v[8:9]
	s_mov_b64 s[18:19], 0
	v_mov_b64_e32 v[66:67], v[6:7]
                                        ; implicit-def: $sgpr16_sgpr17
                                        ; implicit-def: $sgpr20_sgpr21
                                        ; implicit-def: $sgpr24_sgpr25
                                        ; implicit-def: $sgpr22_sgpr23
                                        ; implicit-def: $sgpr26_sgpr27
                                        ; implicit-def: $sgpr28_sgpr29
	s_branch .LBB632_204
.LBB632_203:                            ;   in Loop: Header=BB632_204 Depth=1
	s_or_b64 exec, exec, s[30:31]
	s_and_b64 s[0:1], exec, s[24:25]
	s_or_b64 s[18:19], s[0:1], s[18:19]
	s_andn2_b64 s[0:1], s[28:29], exec
	s_and_b64 s[4:5], s[26:27], exec
	s_or_b64 s[28:29], s[0:1], s[4:5]
	s_andn2_b64 s[0:1], s[20:21], exec
	s_and_b64 s[4:5], s[22:23], exec
	;; [unrolled: 3-line block ×3, first 2 shown]
	s_or_b64 s[16:17], s[0:1], s[2:3]
	s_andn2_b64 exec, exec, s[18:19]
	s_cbranch_execz .LBB632_206
.LBB632_204:                            ; =>This Inner Loop Header: Depth=1
	flat_load_ushort v68, v[64:65]
	flat_load_ushort v69, v[54:55]
	s_andn2_b64 s[26:27], s[26:27], exec
	s_or_b64 s[22:23], s[22:23], exec
	s_or_b64 s[24:25], s[24:25], exec
	s_waitcnt vmcnt(0) lgkmcnt(0)
	v_cmp_le_i16_e64 s[2:3], v68, v69
	v_cmp_lt_i16_e64 s[0:1], v68, v69
	s_and_b64 s[2:3], s[2:3], s[28:29]
	v_cmp_eq_u16_e64 s[4:5], v68, v69
	s_or_b64 s[2:3], s[0:1], s[2:3]
	s_and_saveexec_b64 s[30:31], s[4:5]
	s_cbranch_execz .LBB632_203
; %bb.205:                              ;   in Loop: Header=BB632_204 Depth=1
	v_lshl_add_u64 v[66:67], v[66:67], 0, -1
	v_cmp_eq_u64_e64 s[0:1], 0, v[66:67]
	s_andn2_b64 s[4:5], s[26:27], exec
	s_and_b64 s[26:27], s[2:3], exec
	s_or_b64 s[26:27], s[4:5], s[26:27]
	s_andn2_b64 s[4:5], s[24:25], exec
	s_and_b64 s[0:1], s[0:1], exec
	v_lshl_add_u64 v[54:55], v[54:55], 0, 2
	v_lshl_add_u64 v[64:65], v[64:65], 0, 2
	s_andn2_b64 s[22:23], s[22:23], exec
	s_or_b64 s[24:25], s[4:5], s[0:1]
                                        ; implicit-def: $sgpr28_sgpr29
	s_branch .LBB632_203
.LBB632_206:
	s_or_b64 exec, exec, s[18:19]
	s_and_saveexec_b64 s[0:1], s[20:21]
	s_xor_b64 s[0:1], exec, s[0:1]
; %bb.207:
	v_cndmask_b32_e64 v55, v1, v3, s[16:17]
	v_cndmask_b32_e64 v54, v0, v2, s[16:17]
	;; [unrolled: 1-line block ×4, first 2 shown]
	v_mov_b64_e32 v[0:1], v[54:55]
; %bb.208:
	s_or_b64 exec, exec, s[0:1]
	s_or_b64 exec, exec, s[14:15]
	s_and_saveexec_b64 s[14:15], vcc
	s_cbranch_execz .LBB632_32
.LBB632_209:
	v_mul_lo_u32 v64, v23, v6
	v_mul_lo_u32 v65, v22, v7
	v_mad_u64_u32 v[54:55], s[0:1], v22, v6, 0
	v_add3_u32 v55, v55, v65, v64
	v_mul_lo_u32 v66, v17, v6
	v_mul_lo_u32 v67, v16, v7
	v_mad_u64_u32 v[64:65], s[0:1], v16, v6, 0
	v_add3_u32 v65, v65, v67, v66
	v_lshl_add_u64 v[54:55], v[54:55], 1, v[8:9]
	v_lshl_add_u64 v[64:65], v[64:65], 1, v[8:9]
	s_mov_b64 s[18:19], 0
	v_mov_b64_e32 v[66:67], v[6:7]
                                        ; implicit-def: $sgpr16_sgpr17
                                        ; implicit-def: $sgpr20_sgpr21
                                        ; implicit-def: $sgpr24_sgpr25
                                        ; implicit-def: $sgpr22_sgpr23
                                        ; implicit-def: $sgpr26_sgpr27
                                        ; implicit-def: $sgpr28_sgpr29
	s_branch .LBB632_211
.LBB632_210:                            ;   in Loop: Header=BB632_211 Depth=1
	s_or_b64 exec, exec, s[30:31]
	s_and_b64 s[0:1], exec, s[24:25]
	s_or_b64 s[18:19], s[0:1], s[18:19]
	s_andn2_b64 s[0:1], s[28:29], exec
	s_and_b64 s[4:5], s[26:27], exec
	s_or_b64 s[28:29], s[0:1], s[4:5]
	s_andn2_b64 s[0:1], s[20:21], exec
	s_and_b64 s[4:5], s[22:23], exec
	s_or_b64 s[20:21], s[0:1], s[4:5]
	s_andn2_b64 s[0:1], s[16:17], exec
	s_and_b64 s[2:3], s[2:3], exec
	s_or_b64 s[16:17], s[0:1], s[2:3]
	s_andn2_b64 exec, exec, s[18:19]
	s_cbranch_execz .LBB632_213
.LBB632_211:                            ; =>This Inner Loop Header: Depth=1
	flat_load_ushort v68, v[64:65]
	flat_load_ushort v69, v[54:55]
	s_andn2_b64 s[26:27], s[26:27], exec
	s_or_b64 s[22:23], s[22:23], exec
	s_or_b64 s[24:25], s[24:25], exec
	s_waitcnt vmcnt(0) lgkmcnt(0)
	v_cmp_le_i16_e64 s[2:3], v68, v69
	v_cmp_lt_i16_e64 s[0:1], v68, v69
	s_and_b64 s[2:3], s[2:3], s[28:29]
	v_cmp_eq_u16_e64 s[4:5], v68, v69
	s_or_b64 s[2:3], s[0:1], s[2:3]
	s_and_saveexec_b64 s[30:31], s[4:5]
	s_cbranch_execz .LBB632_210
; %bb.212:                              ;   in Loop: Header=BB632_211 Depth=1
	v_lshl_add_u64 v[66:67], v[66:67], 0, -1
	v_cmp_eq_u64_e64 s[0:1], 0, v[66:67]
	s_andn2_b64 s[4:5], s[26:27], exec
	s_and_b64 s[26:27], s[2:3], exec
	s_or_b64 s[26:27], s[4:5], s[26:27]
	s_andn2_b64 s[4:5], s[24:25], exec
	s_and_b64 s[0:1], s[0:1], exec
	v_lshl_add_u64 v[54:55], v[54:55], 0, 2
	v_lshl_add_u64 v[64:65], v[64:65], 0, 2
	s_andn2_b64 s[22:23], s[22:23], exec
	s_or_b64 s[24:25], s[4:5], s[0:1]
                                        ; implicit-def: $sgpr28_sgpr29
	s_branch .LBB632_210
.LBB632_213:
	s_or_b64 exec, exec, s[18:19]
	s_and_saveexec_b64 s[0:1], s[20:21]
	s_xor_b64 s[0:1], exec, s[0:1]
; %bb.214:
	v_cndmask_b32_e64 v55, v23, v17, s[16:17]
	v_cndmask_b32_e64 v54, v22, v16, s[16:17]
	;; [unrolled: 1-line block ×4, first 2 shown]
	v_mov_b64_e32 v[22:23], v[54:55]
; %bb.215:
	s_or_b64 exec, exec, s[0:1]
	s_or_b64 exec, exec, s[14:15]
	s_and_saveexec_b64 s[14:15], vcc
	s_cbranch_execz .LBB632_33
.LBB632_216:
	v_mul_lo_u32 v64, v19, v6
	v_mul_lo_u32 v65, v18, v7
	v_mad_u64_u32 v[54:55], s[0:1], v18, v6, 0
	v_add3_u32 v55, v55, v65, v64
	v_mul_lo_u32 v66, v13, v6
	v_mul_lo_u32 v67, v12, v7
	v_mad_u64_u32 v[64:65], s[0:1], v12, v6, 0
	v_add3_u32 v65, v65, v67, v66
	v_lshl_add_u64 v[54:55], v[54:55], 1, v[8:9]
	v_lshl_add_u64 v[64:65], v[64:65], 1, v[8:9]
	s_mov_b64 s[18:19], 0
	v_mov_b64_e32 v[66:67], v[6:7]
                                        ; implicit-def: $sgpr16_sgpr17
                                        ; implicit-def: $sgpr20_sgpr21
                                        ; implicit-def: $sgpr24_sgpr25
                                        ; implicit-def: $sgpr22_sgpr23
                                        ; implicit-def: $sgpr26_sgpr27
                                        ; implicit-def: $sgpr28_sgpr29
	s_branch .LBB632_218
.LBB632_217:                            ;   in Loop: Header=BB632_218 Depth=1
	s_or_b64 exec, exec, s[30:31]
	s_and_b64 s[0:1], exec, s[24:25]
	s_or_b64 s[18:19], s[0:1], s[18:19]
	s_andn2_b64 s[0:1], s[28:29], exec
	s_and_b64 s[4:5], s[26:27], exec
	s_or_b64 s[28:29], s[0:1], s[4:5]
	s_andn2_b64 s[0:1], s[20:21], exec
	s_and_b64 s[4:5], s[22:23], exec
	;; [unrolled: 3-line block ×3, first 2 shown]
	s_or_b64 s[16:17], s[0:1], s[2:3]
	s_andn2_b64 exec, exec, s[18:19]
	s_cbranch_execz .LBB632_220
.LBB632_218:                            ; =>This Inner Loop Header: Depth=1
	flat_load_ushort v68, v[64:65]
	flat_load_ushort v69, v[54:55]
	s_andn2_b64 s[26:27], s[26:27], exec
	s_or_b64 s[22:23], s[22:23], exec
	s_or_b64 s[24:25], s[24:25], exec
	s_waitcnt vmcnt(0) lgkmcnt(0)
	v_cmp_le_i16_e64 s[2:3], v68, v69
	v_cmp_lt_i16_e64 s[0:1], v68, v69
	s_and_b64 s[2:3], s[2:3], s[28:29]
	v_cmp_eq_u16_e64 s[4:5], v68, v69
	s_or_b64 s[2:3], s[0:1], s[2:3]
	s_and_saveexec_b64 s[30:31], s[4:5]
	s_cbranch_execz .LBB632_217
; %bb.219:                              ;   in Loop: Header=BB632_218 Depth=1
	v_lshl_add_u64 v[66:67], v[66:67], 0, -1
	v_cmp_eq_u64_e64 s[0:1], 0, v[66:67]
	s_andn2_b64 s[4:5], s[26:27], exec
	s_and_b64 s[26:27], s[2:3], exec
	s_or_b64 s[26:27], s[4:5], s[26:27]
	s_andn2_b64 s[4:5], s[24:25], exec
	s_and_b64 s[0:1], s[0:1], exec
	v_lshl_add_u64 v[54:55], v[54:55], 0, 2
	v_lshl_add_u64 v[64:65], v[64:65], 0, 2
	s_andn2_b64 s[22:23], s[22:23], exec
	s_or_b64 s[24:25], s[4:5], s[0:1]
                                        ; implicit-def: $sgpr28_sgpr29
	s_branch .LBB632_217
.LBB632_220:
	s_or_b64 exec, exec, s[18:19]
	s_and_saveexec_b64 s[0:1], s[20:21]
	s_xor_b64 s[0:1], exec, s[0:1]
; %bb.221:
	v_cndmask_b32_e64 v55, v19, v13, s[16:17]
	v_cndmask_b32_e64 v54, v18, v12, s[16:17]
	;; [unrolled: 1-line block ×4, first 2 shown]
	v_mov_b64_e32 v[18:19], v[54:55]
; %bb.222:
	s_or_b64 exec, exec, s[0:1]
	s_or_b64 exec, exec, s[14:15]
	s_and_saveexec_b64 s[14:15], vcc
	s_cbranch_execz .LBB632_230
.LBB632_223:
	v_mul_lo_u32 v64, v15, v6
	v_mul_lo_u32 v65, v14, v7
	v_mad_u64_u32 v[54:55], s[0:1], v14, v6, 0
	v_add3_u32 v55, v55, v65, v64
	v_mul_lo_u32 v66, v1, v6
	v_mul_lo_u32 v67, v0, v7
	v_mad_u64_u32 v[64:65], s[0:1], v0, v6, 0
	v_add3_u32 v65, v65, v67, v66
	v_lshl_add_u64 v[54:55], v[54:55], 1, v[8:9]
	v_lshl_add_u64 v[64:65], v[64:65], 1, v[8:9]
	s_mov_b64 s[20:21], 0
	v_mov_b64_e32 v[66:67], v[6:7]
                                        ; implicit-def: $sgpr16_sgpr17
                                        ; implicit-def: $sgpr18_sgpr19
                                        ; implicit-def: $sgpr24_sgpr25
                                        ; implicit-def: $sgpr22_sgpr23
                                        ; implicit-def: $sgpr26_sgpr27
                                        ; implicit-def: $sgpr28_sgpr29
	s_branch .LBB632_225
.LBB632_224:                            ;   in Loop: Header=BB632_225 Depth=1
	s_or_b64 exec, exec, s[30:31]
	s_and_b64 s[0:1], exec, s[24:25]
	s_or_b64 s[20:21], s[0:1], s[20:21]
	s_andn2_b64 s[0:1], s[28:29], exec
	s_and_b64 s[4:5], s[26:27], exec
	s_or_b64 s[28:29], s[0:1], s[4:5]
	s_andn2_b64 s[0:1], s[18:19], exec
	s_and_b64 s[4:5], s[22:23], exec
	;; [unrolled: 3-line block ×3, first 2 shown]
	s_or_b64 s[16:17], s[0:1], s[2:3]
	s_andn2_b64 exec, exec, s[20:21]
	s_cbranch_execz .LBB632_227
.LBB632_225:                            ; =>This Inner Loop Header: Depth=1
	flat_load_ushort v68, v[64:65]
	flat_load_ushort v69, v[54:55]
	s_andn2_b64 s[26:27], s[26:27], exec
	s_or_b64 s[22:23], s[22:23], exec
	s_or_b64 s[24:25], s[24:25], exec
	s_waitcnt vmcnt(0) lgkmcnt(0)
	v_cmp_le_i16_e64 s[2:3], v68, v69
	v_cmp_lt_i16_e64 s[0:1], v68, v69
	s_and_b64 s[2:3], s[2:3], s[28:29]
	v_cmp_eq_u16_e64 s[4:5], v68, v69
	s_or_b64 s[2:3], s[0:1], s[2:3]
	s_and_saveexec_b64 s[30:31], s[4:5]
	s_cbranch_execz .LBB632_224
; %bb.226:                              ;   in Loop: Header=BB632_225 Depth=1
	v_lshl_add_u64 v[66:67], v[66:67], 0, -1
	v_cmp_eq_u64_e64 s[0:1], 0, v[66:67]
	s_andn2_b64 s[4:5], s[26:27], exec
	s_and_b64 s[26:27], s[2:3], exec
	s_or_b64 s[26:27], s[4:5], s[26:27]
	s_andn2_b64 s[4:5], s[24:25], exec
	s_and_b64 s[0:1], s[0:1], exec
	v_lshl_add_u64 v[54:55], v[54:55], 0, 2
	v_lshl_add_u64 v[64:65], v[64:65], 0, 2
	s_andn2_b64 s[22:23], s[22:23], exec
	s_or_b64 s[24:25], s[4:5], s[0:1]
                                        ; implicit-def: $sgpr28_sgpr29
	s_branch .LBB632_224
.LBB632_227:
	s_or_b64 exec, exec, s[20:21]
	s_and_saveexec_b64 s[0:1], s[18:19]
	s_xor_b64 s[0:1], exec, s[0:1]
; %bb.228:
	v_cndmask_b32_e64 v55, v15, v1, s[16:17]
	v_cndmask_b32_e64 v54, v14, v0, s[16:17]
	;; [unrolled: 1-line block ×4, first 2 shown]
	v_mov_b64_e32 v[14:15], v[54:55]
; %bb.229:
	s_or_b64 exec, exec, s[0:1]
.LBB632_230:
	s_or_b64 exec, exec, s[14:15]
.LBB632_231:
	s_or_b64 exec, exec, s[10:11]
	v_mbcnt_lo_u32_b32 v54, -1, 0
	v_mbcnt_hi_u32_b32 v64, -1, v54
	v_and_b32_e32 v66, 0xfffffe00, v31
	s_movk_i32 s0, 0x800
	v_mov_b32_e32 v67, 0
	v_sub_u32_e64 v31, s0, v66 clamp
	v_lshl_add_u64 v[54:55], v[66:67], 3, v[10:11]
	v_lshlrev_b32_e32 v98, 3, v64
	v_lshlrev_b32_e32 v66, 6, v64
	v_lshl_add_u64 v[64:65], v[54:55], 0, v[66:67]
	v_or_b32_e32 v66, 8, v98
	v_min_u32_e32 v99, v31, v66
	v_add_u32_e32 v66, 8, v99
	v_and_b32_e32 v101, 0x3f0, v98
	v_min_u32_e32 v100, v31, v66
	v_and_b32_e32 v66, 8, v98
	v_min_u32_e32 v102, v31, v66
	v_sub_u32_e32 v66, v99, v101
	v_sub_u32_e32 v68, v100, v99
	v_sub_u32_e64 v103, v102, v68 clamp
	v_min_u32_e32 v112, v102, v66
	v_cmp_lt_u32_e64 s[0:1], v103, v112
	flat_store_dwordx4 v[64:65], v[20:23]
	flat_store_dwordx4 v[64:65], v[16:19] offset:16
	flat_store_dwordx4 v[64:65], v[12:15] offset:32
	;; [unrolled: 1-line block ×3, first 2 shown]
	; wave barrier
	s_and_saveexec_b64 s[10:11], s[0:1]
	s_cbranch_execz .LBB632_241
; %bb.232:
	v_lshlrev_b32_e32 v66, 3, v101
	v_lshl_add_u64 v[68:69], v[54:55], 0, v[66:67]
	v_lshlrev_b32_e32 v66, 3, v99
	v_lshl_add_u64 v[70:71], v[54:55], 0, v[66:67]
	v_lshlrev_b64 v[80:81], 1, v[6:7]
	s_mov_b64 s[14:15], 0
	s_branch .LBB632_235
.LBB632_233:                            ;   in Loop: Header=BB632_235 Depth=1
	s_or_b64 exec, exec, s[18:19]
	s_and_b64 s[0:1], s[20:21], exec
.LBB632_234:                            ;   in Loop: Header=BB632_235 Depth=1
	s_or_b64 exec, exec, s[16:17]
	v_add_u32_e32 v66, 1, v82
	v_cndmask_b32_e64 v112, v112, v82, s[0:1]
	v_cndmask_b32_e64 v103, v66, v103, s[0:1]
	v_cmp_ge_u32_e64 s[0:1], v103, v112
	s_or_b64 s[14:15], s[0:1], s[14:15]
	s_andn2_b64 exec, exec, s[14:15]
	s_cbranch_execz .LBB632_240
.LBB632_235:                            ; =>This Loop Header: Depth=1
                                        ;     Child Loop BB632_238 Depth 2
	v_add_u32_e32 v66, v112, v103
	v_lshrrev_b32_e32 v82, 1, v66
	s_mov_b64 s[0:1], 0
	s_and_saveexec_b64 s[16:17], vcc
	s_cbranch_execz .LBB632_234
; %bb.236:                              ;   in Loop: Header=BB632_235 Depth=1
	v_mov_b32_e32 v83, v67
	v_xad_u32 v66, v82, -1, v102
	v_lshl_add_u64 v[84:85], v[82:83], 3, v[68:69]
	v_lshl_add_u64 v[86:87], v[66:67], 3, v[70:71]
	flat_load_dwordx2 v[84:85], v[84:85]
	s_mov_b64 s[18:19], 0
	flat_load_dwordx2 v[86:87], v[86:87]
                                        ; implicit-def: $sgpr20_sgpr21
                                        ; implicit-def: $sgpr22_sgpr23
                                        ; implicit-def: $sgpr24_sgpr25
                                        ; implicit-def: $sgpr2_sgpr3
                                        ; implicit-def: $sgpr26_sgpr27
	s_waitcnt vmcnt(0) lgkmcnt(0)
	v_mul_lo_u32 v66, v80, v85
	v_mul_lo_u32 v83, v81, v84
	v_mad_u64_u32 v[84:85], s[0:1], v80, v84, v[8:9]
	v_mul_lo_u32 v96, v80, v87
	v_mul_lo_u32 v97, v81, v86
	v_mad_u64_u32 v[86:87], s[0:1], v80, v86, v[8:9]
	v_add3_u32 v85, v83, v85, v66
	v_add3_u32 v87, v97, v87, v96
	v_mov_b64_e32 v[96:97], v[6:7]
	s_branch .LBB632_238
.LBB632_237:                            ;   in Loop: Header=BB632_238 Depth=2
	s_or_b64 exec, exec, s[28:29]
	s_and_b64 s[0:1], exec, s[22:23]
	s_or_b64 s[18:19], s[0:1], s[18:19]
	s_andn2_b64 s[0:1], s[26:27], exec
	s_and_b64 s[4:5], s[24:25], exec
	s_or_b64 s[26:27], s[0:1], s[4:5]
	s_andn2_b64 s[0:1], s[20:21], exec
	s_and_b64 s[4:5], s[2:3], exec
	s_or_b64 s[20:21], s[0:1], s[4:5]
	s_andn2_b64 exec, exec, s[18:19]
	s_cbranch_execz .LBB632_233
.LBB632_238:                            ;   Parent Loop BB632_235 Depth=1
                                        ; =>  This Inner Loop Header: Depth=2
	flat_load_ushort v66, v[86:87]
	flat_load_ushort v83, v[84:85]
	s_andn2_b64 s[28:29], s[2:3], exec
	s_andn2_b64 s[24:25], s[24:25], exec
	s_or_b64 s[22:23], s[22:23], exec
	s_waitcnt vmcnt(0) lgkmcnt(0)
	v_cmp_le_i16_e64 s[2:3], v66, v83
	v_cmp_lt_i16_e64 s[0:1], v66, v83
	s_and_b64 s[2:3], s[2:3], s[26:27]
	s_or_b64 s[30:31], s[0:1], s[2:3]
	s_and_b64 s[0:1], s[30:31], exec
	v_cmp_eq_u16_e64 s[4:5], v66, v83
	s_or_b64 s[2:3], s[28:29], s[0:1]
	s_and_saveexec_b64 s[28:29], s[4:5]
	s_cbranch_execz .LBB632_237
; %bb.239:                              ;   in Loop: Header=BB632_238 Depth=2
	v_lshl_add_u64 v[96:97], v[96:97], 0, -1
	v_cmp_eq_u64_e64 s[0:1], 0, v[96:97]
	s_andn2_b64 s[4:5], s[24:25], exec
	s_and_b64 s[24:25], s[30:31], exec
	s_or_b64 s[24:25], s[4:5], s[24:25]
	s_andn2_b64 s[4:5], s[22:23], exec
	s_and_b64 s[0:1], s[0:1], exec
	v_lshl_add_u64 v[84:85], v[84:85], 0, 2
	v_lshl_add_u64 v[86:87], v[86:87], 0, 2
	s_andn2_b64 s[2:3], s[2:3], exec
	s_or_b64 s[22:23], s[4:5], s[0:1]
                                        ; implicit-def: $sgpr26_sgpr27
	s_branch .LBB632_237
.LBB632_240:
	s_or_b64 exec, exec, s[14:15]
.LBB632_241:
	s_or_b64 exec, exec, s[10:11]
	v_add_u32_e32 v67, v99, v102
	v_add_u32_e32 v66, v103, v101
	v_sub_u32_e32 v68, v67, v103
	v_cmp_le_u32_e64 s[0:1], v66, v99
	v_cmp_le_u32_e64 s[2:3], v68, v100
	s_or_b64 s[0:1], s[0:1], s[2:3]
	s_and_saveexec_b64 s[10:11], s[0:1]
	s_cbranch_execz .LBB632_325
; %bb.242:
	v_cmp_ge_u32_e64 s[0:1], v66, v99
	v_cmp_lt_u32_e64 s[2:3], v66, v99
                                        ; implicit-def: $vgpr0_vgpr1
	s_and_saveexec_b64 s[4:5], s[2:3]
	s_cbranch_execz .LBB632_244
; %bb.243:
	v_mov_b32_e32 v67, 0
	v_lshl_add_u64 v[0:1], v[66:67], 3, v[54:55]
	flat_load_dwordx2 v[0:1], v[0:1]
.LBB632_244:
	s_or_b64 exec, exec, s[4:5]
	v_cmp_ge_u32_e64 s[14:15], v68, v100
	v_cmp_lt_u32_e64 s[2:3], v68, v100
                                        ; implicit-def: $vgpr2_vgpr3
	s_and_saveexec_b64 s[4:5], s[2:3]
	s_cbranch_execz .LBB632_246
; %bb.245:
	v_mov_b32_e32 v69, 0
	v_lshl_add_u64 v[2:3], v[68:69], 3, v[54:55]
	flat_load_dwordx2 v[2:3], v[2:3]
.LBB632_246:
	s_or_b64 exec, exec, s[4:5]
	s_or_b64 s[0:1], s[0:1], s[14:15]
	s_xor_b64 s[0:1], s[0:1], -1
	s_and_saveexec_b64 s[16:17], s[0:1]
	s_cbranch_execz .LBB632_254
; %bb.247:
	s_mov_b64 s[0:1], 0
	s_and_saveexec_b64 s[18:19], vcc
	s_cbranch_execz .LBB632_253
; %bb.248:
	s_waitcnt vmcnt(0) lgkmcnt(0)
	v_mul_lo_u32 v14, v1, v6
	v_mul_lo_u32 v15, v0, v7
	v_mad_u64_u32 v[12:13], s[0:1], v0, v6, 0
	v_add3_u32 v13, v13, v15, v14
	v_mul_lo_u32 v16, v3, v6
	v_mul_lo_u32 v17, v2, v7
	v_mad_u64_u32 v[14:15], s[0:1], v2, v6, 0
	v_add3_u32 v15, v15, v17, v16
	v_lshl_add_u64 v[12:13], v[12:13], 1, v[8:9]
	v_lshl_add_u64 v[14:15], v[14:15], 1, v[8:9]
	s_mov_b64 s[20:21], 0
	v_mov_b64_e32 v[16:17], v[6:7]
                                        ; implicit-def: $sgpr22_sgpr23
                                        ; implicit-def: $sgpr24_sgpr25
                                        ; implicit-def: $sgpr26_sgpr27
                                        ; implicit-def: $sgpr2_sgpr3
                                        ; implicit-def: $sgpr28_sgpr29
	s_branch .LBB632_250
.LBB632_249:                            ;   in Loop: Header=BB632_250 Depth=1
	s_or_b64 exec, exec, s[30:31]
	s_and_b64 s[0:1], exec, s[24:25]
	s_or_b64 s[20:21], s[0:1], s[20:21]
	s_andn2_b64 s[0:1], s[28:29], exec
	s_and_b64 s[4:5], s[26:27], exec
	s_or_b64 s[28:29], s[0:1], s[4:5]
	s_andn2_b64 s[0:1], s[22:23], exec
	s_and_b64 s[4:5], s[2:3], exec
	s_or_b64 s[22:23], s[0:1], s[4:5]
	s_andn2_b64 exec, exec, s[20:21]
	s_cbranch_execz .LBB632_252
.LBB632_250:                            ; =>This Inner Loop Header: Depth=1
	flat_load_ushort v18, v[14:15]
	flat_load_ushort v19, v[12:13]
	s_andn2_b64 s[30:31], s[2:3], exec
	s_andn2_b64 s[26:27], s[26:27], exec
	s_or_b64 s[24:25], s[24:25], exec
	s_waitcnt vmcnt(0) lgkmcnt(0)
	v_cmp_le_i16_e64 s[2:3], v18, v19
	v_cmp_lt_i16_e64 s[0:1], v18, v19
	s_and_b64 s[2:3], s[2:3], s[28:29]
	s_or_b64 s[34:35], s[0:1], s[2:3]
	s_and_b64 s[0:1], s[34:35], exec
	v_cmp_eq_u16_e64 s[4:5], v18, v19
	s_or_b64 s[2:3], s[30:31], s[0:1]
	s_and_saveexec_b64 s[30:31], s[4:5]
	s_cbranch_execz .LBB632_249
; %bb.251:                              ;   in Loop: Header=BB632_250 Depth=1
	v_lshl_add_u64 v[16:17], v[16:17], 0, -1
	v_cmp_eq_u64_e64 s[0:1], 0, v[16:17]
	s_andn2_b64 s[4:5], s[26:27], exec
	s_and_b64 s[26:27], s[34:35], exec
	s_or_b64 s[26:27], s[4:5], s[26:27]
	s_andn2_b64 s[4:5], s[24:25], exec
	s_and_b64 s[0:1], s[0:1], exec
	v_lshl_add_u64 v[12:13], v[12:13], 0, 2
	v_lshl_add_u64 v[14:15], v[14:15], 0, 2
	s_andn2_b64 s[2:3], s[2:3], exec
	s_or_b64 s[24:25], s[4:5], s[0:1]
                                        ; implicit-def: $sgpr28_sgpr29
	s_branch .LBB632_249
.LBB632_252:
	s_or_b64 exec, exec, s[20:21]
	s_and_b64 s[0:1], s[22:23], exec
.LBB632_253:
	s_or_b64 exec, exec, s[18:19]
	s_xor_b64 s[0:1], s[0:1], -1
	s_andn2_b64 s[2:3], s[14:15], exec
	s_and_b64 s[0:1], s[0:1], exec
	s_or_b64 s[14:15], s[2:3], s[0:1]
.LBB632_254:
	s_or_b64 exec, exec, s[16:17]
	v_cndmask_b32_e64 v12, v68, v66, s[14:15]
	v_cndmask_b32_e64 v13, v100, v99, s[14:15]
	v_add_u32_e32 v16, 1, v12
	v_add_u32_e32 v12, -1, v13
	v_min_u32_e32 v12, v16, v12
	v_mov_b32_e32 v13, 0
	v_lshl_add_u64 v[14:15], v[12:13], 3, v[54:55]
	flat_load_dwordx2 v[14:15], v[14:15]
	v_cndmask_b32_e64 v23, v16, v68, s[14:15]
	s_mov_b64 s[16:17], -1
	v_cndmask_b32_e64 v66, v66, v16, s[14:15]
	v_cmp_lt_u32_e64 s[0:1], v23, v100
	s_mov_b64 s[18:19], -1
	s_waitcnt vmcnt(0) lgkmcnt(0)
	v_cndmask_b32_e64 v20, v15, v3, s[14:15]
	v_cndmask_b32_e64 v21, v14, v2, s[14:15]
	;; [unrolled: 1-line block ×4, first 2 shown]
	s_and_saveexec_b64 s[20:21], s[0:1]
	s_cbranch_execz .LBB632_264
; %bb.255:
	v_cmp_lt_u32_e64 s[0:1], v66, v99
	s_mov_b64 s[2:3], 0
	s_and_saveexec_b64 s[18:19], s[0:1]
	s_cbranch_execz .LBB632_263
; %bb.256:
	s_mov_b64 s[0:1], 0
	s_and_saveexec_b64 s[22:23], vcc
	s_cbranch_execz .LBB632_262
; %bb.257:
	v_mul_lo_u32 v12, v22, v6
	v_mul_lo_u32 v16, v68, v7
	v_mad_u64_u32 v[14:15], s[0:1], v68, v6, 0
	v_add3_u32 v15, v15, v16, v12
	v_mul_lo_u32 v12, v20, v6
	v_mul_lo_u32 v18, v21, v7
	v_mad_u64_u32 v[16:17], s[0:1], v21, v6, 0
	v_add3_u32 v17, v17, v18, v12
	v_lshl_add_u64 v[14:15], v[14:15], 1, v[8:9]
	v_lshl_add_u64 v[16:17], v[16:17], 1, v[8:9]
	s_mov_b64 s[24:25], 0
	v_mov_b64_e32 v[18:19], v[6:7]
                                        ; implicit-def: $sgpr26_sgpr27
                                        ; implicit-def: $sgpr28_sgpr29
                                        ; implicit-def: $sgpr30_sgpr31
                                        ; implicit-def: $sgpr2_sgpr3
                                        ; implicit-def: $sgpr34_sgpr35
	s_branch .LBB632_259
.LBB632_258:                            ;   in Loop: Header=BB632_259 Depth=1
	s_or_b64 exec, exec, s[36:37]
	s_and_b64 s[0:1], exec, s[28:29]
	s_or_b64 s[24:25], s[0:1], s[24:25]
	s_andn2_b64 s[0:1], s[34:35], exec
	s_and_b64 s[4:5], s[30:31], exec
	s_or_b64 s[34:35], s[0:1], s[4:5]
	s_andn2_b64 s[0:1], s[26:27], exec
	s_and_b64 s[4:5], s[2:3], exec
	s_or_b64 s[26:27], s[0:1], s[4:5]
	s_andn2_b64 exec, exec, s[24:25]
	s_cbranch_execz .LBB632_261
.LBB632_259:                            ; =>This Inner Loop Header: Depth=1
	flat_load_ushort v12, v[16:17]
	flat_load_ushort v67, v[14:15]
	s_andn2_b64 s[36:37], s[2:3], exec
	s_andn2_b64 s[30:31], s[30:31], exec
	s_or_b64 s[28:29], s[28:29], exec
	s_waitcnt vmcnt(0) lgkmcnt(0)
	v_cmp_le_i16_e64 s[2:3], v12, v67
	v_cmp_lt_i16_e64 s[0:1], v12, v67
	s_and_b64 s[2:3], s[2:3], s[34:35]
	s_or_b64 s[38:39], s[0:1], s[2:3]
	s_and_b64 s[0:1], s[38:39], exec
	v_cmp_eq_u16_e64 s[4:5], v12, v67
	s_or_b64 s[2:3], s[36:37], s[0:1]
	s_and_saveexec_b64 s[36:37], s[4:5]
	s_cbranch_execz .LBB632_258
; %bb.260:                              ;   in Loop: Header=BB632_259 Depth=1
	v_lshl_add_u64 v[18:19], v[18:19], 0, -1
	v_cmp_eq_u64_e64 s[0:1], 0, v[18:19]
	s_andn2_b64 s[4:5], s[30:31], exec
	s_and_b64 s[30:31], s[38:39], exec
	s_or_b64 s[30:31], s[4:5], s[30:31]
	s_andn2_b64 s[4:5], s[28:29], exec
	s_and_b64 s[0:1], s[0:1], exec
	v_lshl_add_u64 v[14:15], v[14:15], 0, 2
	v_lshl_add_u64 v[16:17], v[16:17], 0, 2
	s_andn2_b64 s[2:3], s[2:3], exec
	s_or_b64 s[28:29], s[4:5], s[0:1]
                                        ; implicit-def: $sgpr34_sgpr35
	s_branch .LBB632_258
.LBB632_261:
	s_or_b64 exec, exec, s[24:25]
	s_and_b64 s[0:1], s[26:27], exec
.LBB632_262:
	s_or_b64 exec, exec, s[22:23]
	s_xor_b64 s[0:1], s[0:1], -1
	s_and_b64 s[2:3], s[0:1], exec
.LBB632_263:
	s_or_b64 exec, exec, s[18:19]
	s_orn2_b64 s[18:19], s[2:3], exec
.LBB632_264:
	s_or_b64 exec, exec, s[20:21]
	v_cndmask_b32_e64 v12, v23, v66, s[18:19]
	v_cndmask_b32_e64 v14, v100, v99, s[18:19]
	v_add_u32_e32 v15, 1, v12
	v_add_u32_e32 v12, -1, v14
	v_min_u32_e32 v12, v15, v12
	v_lshl_add_u64 v[12:13], v[12:13], 3, v[54:55]
	flat_load_dwordx2 v[12:13], v[12:13]
	v_cndmask_b32_e64 v18, v15, v23, s[18:19]
	v_cndmask_b32_e64 v19, v66, v15, s[18:19]
	v_cmp_lt_u32_e64 s[0:1], v18, v100
	s_waitcnt vmcnt(0) lgkmcnt(0)
	v_cndmask_b32_e64 v23, v13, v20, s[18:19]
	v_cndmask_b32_e64 v69, v12, v21, s[18:19]
	v_cndmask_b32_e64 v70, v22, v13, s[18:19]
	v_cndmask_b32_e64 v71, v68, v12, s[18:19]
	s_and_saveexec_b64 s[20:21], s[0:1]
	s_cbranch_execz .LBB632_274
; %bb.265:
	v_cmp_lt_u32_e64 s[0:1], v19, v99
	s_mov_b64 s[2:3], 0
	s_and_saveexec_b64 s[16:17], s[0:1]
	s_cbranch_execz .LBB632_273
; %bb.266:
	s_mov_b64 s[0:1], 0
	s_and_saveexec_b64 s[22:23], vcc
	s_cbranch_execz .LBB632_272
; %bb.267:
	v_mul_lo_u32 v14, v70, v6
	v_mul_lo_u32 v15, v71, v7
	v_mad_u64_u32 v[12:13], s[0:1], v71, v6, 0
	v_add3_u32 v13, v13, v15, v14
	v_mul_lo_u32 v16, v23, v6
	v_mul_lo_u32 v17, v69, v7
	v_mad_u64_u32 v[14:15], s[0:1], v69, v6, 0
	v_add3_u32 v15, v15, v17, v16
	v_lshl_add_u64 v[12:13], v[12:13], 1, v[8:9]
	v_lshl_add_u64 v[14:15], v[14:15], 1, v[8:9]
	s_mov_b64 s[24:25], 0
	v_mov_b64_e32 v[16:17], v[6:7]
                                        ; implicit-def: $sgpr26_sgpr27
                                        ; implicit-def: $sgpr28_sgpr29
                                        ; implicit-def: $sgpr30_sgpr31
                                        ; implicit-def: $sgpr2_sgpr3
                                        ; implicit-def: $sgpr34_sgpr35
	s_branch .LBB632_269
.LBB632_268:                            ;   in Loop: Header=BB632_269 Depth=1
	s_or_b64 exec, exec, s[36:37]
	s_and_b64 s[0:1], exec, s[28:29]
	s_or_b64 s[24:25], s[0:1], s[24:25]
	s_andn2_b64 s[0:1], s[34:35], exec
	s_and_b64 s[4:5], s[30:31], exec
	s_or_b64 s[34:35], s[0:1], s[4:5]
	s_andn2_b64 s[0:1], s[26:27], exec
	s_and_b64 s[4:5], s[2:3], exec
	s_or_b64 s[26:27], s[0:1], s[4:5]
	s_andn2_b64 exec, exec, s[24:25]
	s_cbranch_execz .LBB632_271
.LBB632_269:                            ; =>This Inner Loop Header: Depth=1
	flat_load_ushort v66, v[14:15]
	flat_load_ushort v67, v[12:13]
	s_andn2_b64 s[36:37], s[2:3], exec
	s_andn2_b64 s[30:31], s[30:31], exec
	s_or_b64 s[28:29], s[28:29], exec
	s_waitcnt vmcnt(0) lgkmcnt(0)
	v_cmp_le_i16_e64 s[2:3], v66, v67
	v_cmp_lt_i16_e64 s[0:1], v66, v67
	s_and_b64 s[2:3], s[2:3], s[34:35]
	s_or_b64 s[38:39], s[0:1], s[2:3]
	s_and_b64 s[0:1], s[38:39], exec
	v_cmp_eq_u16_e64 s[4:5], v66, v67
	s_or_b64 s[2:3], s[36:37], s[0:1]
	s_and_saveexec_b64 s[36:37], s[4:5]
	s_cbranch_execz .LBB632_268
; %bb.270:                              ;   in Loop: Header=BB632_269 Depth=1
	v_lshl_add_u64 v[16:17], v[16:17], 0, -1
	v_cmp_eq_u64_e64 s[0:1], 0, v[16:17]
	s_andn2_b64 s[4:5], s[30:31], exec
	s_and_b64 s[30:31], s[38:39], exec
	s_or_b64 s[30:31], s[4:5], s[30:31]
	s_andn2_b64 s[4:5], s[28:29], exec
	s_and_b64 s[0:1], s[0:1], exec
	v_lshl_add_u64 v[12:13], v[12:13], 0, 2
	v_lshl_add_u64 v[14:15], v[14:15], 0, 2
	s_andn2_b64 s[2:3], s[2:3], exec
	s_or_b64 s[28:29], s[4:5], s[0:1]
                                        ; implicit-def: $sgpr34_sgpr35
	s_branch .LBB632_268
.LBB632_271:
	s_or_b64 exec, exec, s[24:25]
	s_and_b64 s[0:1], s[26:27], exec
.LBB632_272:
	s_or_b64 exec, exec, s[22:23]
	s_xor_b64 s[0:1], s[0:1], -1
	s_and_b64 s[2:3], s[0:1], exec
.LBB632_273:
	s_or_b64 exec, exec, s[16:17]
	s_orn2_b64 s[16:17], s[2:3], exec
.LBB632_274:
	s_or_b64 exec, exec, s[20:21]
	v_cndmask_b32_e64 v12, v18, v19, s[16:17]
	v_cndmask_b32_e64 v13, v100, v99, s[16:17]
	v_add_u32_e32 v16, 1, v12
	v_add_u32_e32 v12, -1, v13
	v_min_u32_e32 v12, v16, v12
	v_mov_b32_e32 v13, 0
	v_lshl_add_u64 v[14:15], v[12:13], 3, v[54:55]
	flat_load_dwordx2 v[14:15], v[14:15]
	v_cndmask_b32_e64 v66, v16, v18, s[16:17]
	s_mov_b64 s[20:21], -1
	v_cndmask_b32_e64 v67, v19, v16, s[16:17]
	v_cmp_lt_u32_e64 s[0:1], v66, v100
	s_mov_b64 s[22:23], -1
	s_waitcnt vmcnt(0) lgkmcnt(0)
	v_cndmask_b32_e64 v80, v15, v23, s[16:17]
	v_cndmask_b32_e64 v81, v14, v69, s[16:17]
	;; [unrolled: 1-line block ×4, first 2 shown]
	s_and_saveexec_b64 s[24:25], s[0:1]
	s_cbranch_execz .LBB632_284
; %bb.275:
	v_cmp_lt_u32_e64 s[0:1], v67, v99
	s_mov_b64 s[2:3], 0
	s_and_saveexec_b64 s[22:23], s[0:1]
	s_cbranch_execz .LBB632_283
; %bb.276:
	s_mov_b64 s[0:1], -1
	s_and_saveexec_b64 s[26:27], vcc
	s_cbranch_execz .LBB632_282
; %bb.277:
	v_mul_lo_u32 v12, v82, v6
	v_mul_lo_u32 v16, v83, v7
	v_mad_u64_u32 v[14:15], s[0:1], v83, v6, 0
	v_add3_u32 v15, v15, v16, v12
	v_mul_lo_u32 v12, v80, v6
	v_mul_lo_u32 v18, v81, v7
	v_mad_u64_u32 v[16:17], s[0:1], v81, v6, 0
	v_add3_u32 v17, v17, v18, v12
	v_lshl_add_u64 v[14:15], v[14:15], 1, v[8:9]
	v_lshl_add_u64 v[16:17], v[16:17], 1, v[8:9]
	s_mov_b64 s[28:29], 0
	v_mov_b64_e32 v[18:19], v[6:7]
                                        ; implicit-def: $sgpr30_sgpr31
                                        ; implicit-def: $sgpr34_sgpr35
                                        ; implicit-def: $sgpr2_sgpr3
                                        ; implicit-def: $sgpr36_sgpr37
                                        ; implicit-def: $sgpr38_sgpr39
	s_branch .LBB632_279
.LBB632_278:                            ;   in Loop: Header=BB632_279 Depth=1
	s_or_b64 exec, exec, s[40:41]
	s_and_b64 s[0:1], exec, s[34:35]
	s_or_b64 s[28:29], s[0:1], s[28:29]
	s_andn2_b64 s[0:1], s[38:39], exec
	s_and_b64 s[4:5], s[36:37], exec
	s_or_b64 s[38:39], s[0:1], s[4:5]
	s_andn2_b64 s[0:1], s[30:31], exec
	s_and_b64 s[4:5], s[2:3], exec
	s_or_b64 s[30:31], s[0:1], s[4:5]
	s_andn2_b64 exec, exec, s[28:29]
	s_cbranch_execz .LBB632_281
.LBB632_279:                            ; =>This Inner Loop Header: Depth=1
	flat_load_ushort v12, v[16:17]
	flat_load_ushort v84, v[14:15]
	s_andn2_b64 s[40:41], s[2:3], exec
	s_andn2_b64 s[36:37], s[36:37], exec
	s_or_b64 s[34:35], s[34:35], exec
	s_waitcnt vmcnt(0) lgkmcnt(0)
	v_cmp_le_i16_e64 s[2:3], v12, v84
	v_cmp_lt_i16_e64 s[0:1], v12, v84
	s_and_b64 s[2:3], s[2:3], s[38:39]
	s_or_b64 s[42:43], s[0:1], s[2:3]
	s_and_b64 s[0:1], s[42:43], exec
	v_cmp_eq_u16_e64 s[4:5], v12, v84
	s_or_b64 s[2:3], s[40:41], s[0:1]
	s_and_saveexec_b64 s[40:41], s[4:5]
	s_cbranch_execz .LBB632_278
; %bb.280:                              ;   in Loop: Header=BB632_279 Depth=1
	v_lshl_add_u64 v[18:19], v[18:19], 0, -1
	v_cmp_eq_u64_e64 s[0:1], 0, v[18:19]
	s_andn2_b64 s[4:5], s[36:37], exec
	s_and_b64 s[36:37], s[42:43], exec
	s_or_b64 s[36:37], s[4:5], s[36:37]
	s_andn2_b64 s[4:5], s[34:35], exec
	s_and_b64 s[0:1], s[0:1], exec
	v_lshl_add_u64 v[14:15], v[14:15], 0, 2
	v_lshl_add_u64 v[16:17], v[16:17], 0, 2
	s_andn2_b64 s[2:3], s[2:3], exec
	s_or_b64 s[34:35], s[4:5], s[0:1]
                                        ; implicit-def: $sgpr38_sgpr39
	s_branch .LBB632_278
.LBB632_281:
	s_or_b64 exec, exec, s[28:29]
	s_xor_b64 s[0:1], s[30:31], -1
	s_orn2_b64 s[0:1], s[0:1], exec
.LBB632_282:
	s_or_b64 exec, exec, s[26:27]
	s_and_b64 s[2:3], s[0:1], exec
.LBB632_283:
	s_or_b64 exec, exec, s[22:23]
	s_orn2_b64 s[22:23], s[2:3], exec
.LBB632_284:
	s_or_b64 exec, exec, s[24:25]
	v_cndmask_b32_e64 v12, v66, v67, s[22:23]
	v_cndmask_b32_e64 v14, v100, v99, s[22:23]
	v_add_u32_e32 v15, 1, v12
	v_add_u32_e32 v12, -1, v14
	v_min_u32_e32 v12, v15, v12
	v_lshl_add_u64 v[12:13], v[12:13], 3, v[54:55]
	flat_load_dwordx2 v[12:13], v[12:13]
	v_cndmask_b32_e64 v18, v15, v66, s[22:23]
	v_cndmask_b32_e64 v19, v67, v15, s[22:23]
	v_cmp_lt_u32_e64 s[0:1], v18, v100
	s_waitcnt vmcnt(0) lgkmcnt(0)
	v_cndmask_b32_e64 v84, v13, v80, s[22:23]
	v_cndmask_b32_e64 v85, v12, v81, s[22:23]
	;; [unrolled: 1-line block ×4, first 2 shown]
	s_and_saveexec_b64 s[24:25], s[0:1]
	s_cbranch_execz .LBB632_294
; %bb.285:
	v_cmp_lt_u32_e64 s[0:1], v19, v99
	s_mov_b64 s[2:3], 0
	s_and_saveexec_b64 s[20:21], s[0:1]
	s_cbranch_execz .LBB632_293
; %bb.286:
	s_mov_b64 s[0:1], -1
	s_and_saveexec_b64 s[26:27], vcc
	s_cbranch_execz .LBB632_292
; %bb.287:
	v_mul_lo_u32 v14, v86, v6
	v_mul_lo_u32 v15, v87, v7
	v_mad_u64_u32 v[12:13], s[0:1], v87, v6, 0
	v_add3_u32 v13, v13, v15, v14
	v_mul_lo_u32 v16, v84, v6
	v_mul_lo_u32 v17, v85, v7
	v_mad_u64_u32 v[14:15], s[0:1], v85, v6, 0
	v_add3_u32 v15, v15, v17, v16
	v_lshl_add_u64 v[12:13], v[12:13], 1, v[8:9]
	v_lshl_add_u64 v[14:15], v[14:15], 1, v[8:9]
	s_mov_b64 s[28:29], 0
	v_mov_b64_e32 v[16:17], v[6:7]
                                        ; implicit-def: $sgpr30_sgpr31
                                        ; implicit-def: $sgpr34_sgpr35
                                        ; implicit-def: $sgpr2_sgpr3
                                        ; implicit-def: $sgpr36_sgpr37
                                        ; implicit-def: $sgpr38_sgpr39
	s_branch .LBB632_289
.LBB632_288:                            ;   in Loop: Header=BB632_289 Depth=1
	s_or_b64 exec, exec, s[40:41]
	s_and_b64 s[0:1], exec, s[34:35]
	s_or_b64 s[28:29], s[0:1], s[28:29]
	s_andn2_b64 s[0:1], s[38:39], exec
	s_and_b64 s[4:5], s[36:37], exec
	s_or_b64 s[38:39], s[0:1], s[4:5]
	s_andn2_b64 s[0:1], s[30:31], exec
	s_and_b64 s[4:5], s[2:3], exec
	s_or_b64 s[30:31], s[0:1], s[4:5]
	s_andn2_b64 exec, exec, s[28:29]
	s_cbranch_execz .LBB632_291
.LBB632_289:                            ; =>This Inner Loop Header: Depth=1
	flat_load_ushort v66, v[14:15]
	flat_load_ushort v67, v[12:13]
	s_andn2_b64 s[40:41], s[2:3], exec
	s_andn2_b64 s[36:37], s[36:37], exec
	s_or_b64 s[34:35], s[34:35], exec
	s_waitcnt vmcnt(0) lgkmcnt(0)
	v_cmp_le_i16_e64 s[2:3], v66, v67
	v_cmp_lt_i16_e64 s[0:1], v66, v67
	s_and_b64 s[2:3], s[2:3], s[38:39]
	s_or_b64 s[42:43], s[0:1], s[2:3]
	s_and_b64 s[0:1], s[42:43], exec
	v_cmp_eq_u16_e64 s[4:5], v66, v67
	s_or_b64 s[2:3], s[40:41], s[0:1]
	s_and_saveexec_b64 s[40:41], s[4:5]
	s_cbranch_execz .LBB632_288
; %bb.290:                              ;   in Loop: Header=BB632_289 Depth=1
	v_lshl_add_u64 v[16:17], v[16:17], 0, -1
	v_cmp_eq_u64_e64 s[0:1], 0, v[16:17]
	s_andn2_b64 s[4:5], s[36:37], exec
	s_and_b64 s[36:37], s[42:43], exec
	s_or_b64 s[36:37], s[4:5], s[36:37]
	s_andn2_b64 s[4:5], s[34:35], exec
	s_and_b64 s[0:1], s[0:1], exec
	v_lshl_add_u64 v[12:13], v[12:13], 0, 2
	v_lshl_add_u64 v[14:15], v[14:15], 0, 2
	s_andn2_b64 s[2:3], s[2:3], exec
	s_or_b64 s[34:35], s[4:5], s[0:1]
                                        ; implicit-def: $sgpr38_sgpr39
	s_branch .LBB632_288
.LBB632_291:
	s_or_b64 exec, exec, s[28:29]
	s_xor_b64 s[0:1], s[30:31], -1
	s_orn2_b64 s[0:1], s[0:1], exec
.LBB632_292:
	s_or_b64 exec, exec, s[26:27]
	s_and_b64 s[2:3], s[0:1], exec
.LBB632_293:
	s_or_b64 exec, exec, s[20:21]
	s_orn2_b64 s[20:21], s[2:3], exec
.LBB632_294:
	s_or_b64 exec, exec, s[24:25]
	v_cndmask_b32_e64 v12, v18, v19, s[20:21]
	v_cndmask_b32_e64 v13, v100, v99, s[20:21]
	v_add_u32_e32 v16, 1, v12
	v_add_u32_e32 v12, -1, v13
	v_min_u32_e32 v12, v16, v12
	v_mov_b32_e32 v13, 0
	v_lshl_add_u64 v[14:15], v[12:13], 3, v[54:55]
	flat_load_dwordx2 v[14:15], v[14:15]
	v_cndmask_b32_e64 v66, v16, v18, s[20:21]
	s_mov_b64 s[24:25], -1
	v_cndmask_b32_e64 v67, v19, v16, s[20:21]
	v_cmp_lt_u32_e64 s[0:1], v66, v100
	s_mov_b64 s[26:27], -1
	s_waitcnt vmcnt(0) lgkmcnt(0)
	v_cndmask_b32_e64 v96, v15, v84, s[20:21]
	v_cndmask_b32_e64 v97, v14, v85, s[20:21]
	;; [unrolled: 1-line block ×4, first 2 shown]
	s_and_saveexec_b64 s[28:29], s[0:1]
	s_cbranch_execz .LBB632_304
; %bb.295:
	v_cmp_lt_u32_e64 s[0:1], v67, v99
	s_mov_b64 s[2:3], 0
	s_and_saveexec_b64 s[26:27], s[0:1]
	s_cbranch_execz .LBB632_303
; %bb.296:
	s_mov_b64 s[0:1], -1
	s_and_saveexec_b64 s[30:31], vcc
	s_cbranch_execz .LBB632_302
; %bb.297:
	v_mul_lo_u32 v12, v101, v6
	v_mul_lo_u32 v16, v102, v7
	v_mad_u64_u32 v[14:15], s[0:1], v102, v6, 0
	v_add3_u32 v15, v15, v16, v12
	v_mul_lo_u32 v12, v96, v6
	v_mul_lo_u32 v18, v97, v7
	v_mad_u64_u32 v[16:17], s[0:1], v97, v6, 0
	v_add3_u32 v17, v17, v18, v12
	v_lshl_add_u64 v[14:15], v[14:15], 1, v[8:9]
	v_lshl_add_u64 v[16:17], v[16:17], 1, v[8:9]
	s_mov_b64 s[34:35], 0
	v_mov_b64_e32 v[18:19], v[6:7]
                                        ; implicit-def: $sgpr36_sgpr37
                                        ; implicit-def: $sgpr38_sgpr39
                                        ; implicit-def: $sgpr2_sgpr3
                                        ; implicit-def: $sgpr40_sgpr41
                                        ; implicit-def: $sgpr42_sgpr43
	s_branch .LBB632_299
.LBB632_298:                            ;   in Loop: Header=BB632_299 Depth=1
	s_or_b64 exec, exec, s[44:45]
	s_and_b64 s[0:1], exec, s[38:39]
	s_or_b64 s[34:35], s[0:1], s[34:35]
	s_andn2_b64 s[0:1], s[42:43], exec
	s_and_b64 s[4:5], s[40:41], exec
	s_or_b64 s[42:43], s[0:1], s[4:5]
	s_andn2_b64 s[0:1], s[36:37], exec
	s_and_b64 s[4:5], s[2:3], exec
	s_or_b64 s[36:37], s[0:1], s[4:5]
	s_andn2_b64 exec, exec, s[34:35]
	s_cbranch_execz .LBB632_301
.LBB632_299:                            ; =>This Inner Loop Header: Depth=1
	flat_load_ushort v12, v[16:17]
	flat_load_ushort v103, v[14:15]
	s_andn2_b64 s[44:45], s[2:3], exec
	s_andn2_b64 s[40:41], s[40:41], exec
	s_or_b64 s[38:39], s[38:39], exec
	s_waitcnt vmcnt(0) lgkmcnt(0)
	v_cmp_le_i16_e64 s[2:3], v12, v103
	v_cmp_lt_i16_e64 s[0:1], v12, v103
	s_and_b64 s[2:3], s[2:3], s[42:43]
	s_or_b64 s[46:47], s[0:1], s[2:3]
	s_and_b64 s[0:1], s[46:47], exec
	v_cmp_eq_u16_e64 s[4:5], v12, v103
	s_or_b64 s[2:3], s[44:45], s[0:1]
	s_and_saveexec_b64 s[44:45], s[4:5]
	s_cbranch_execz .LBB632_298
; %bb.300:                              ;   in Loop: Header=BB632_299 Depth=1
	v_lshl_add_u64 v[18:19], v[18:19], 0, -1
	v_cmp_eq_u64_e64 s[0:1], 0, v[18:19]
	s_andn2_b64 s[4:5], s[40:41], exec
	s_and_b64 s[40:41], s[46:47], exec
	s_or_b64 s[40:41], s[4:5], s[40:41]
	s_andn2_b64 s[4:5], s[38:39], exec
	s_and_b64 s[0:1], s[0:1], exec
	v_lshl_add_u64 v[14:15], v[14:15], 0, 2
	v_lshl_add_u64 v[16:17], v[16:17], 0, 2
	s_andn2_b64 s[2:3], s[2:3], exec
	s_or_b64 s[38:39], s[4:5], s[0:1]
                                        ; implicit-def: $sgpr42_sgpr43
	s_branch .LBB632_298
.LBB632_301:
	s_or_b64 exec, exec, s[34:35]
	s_xor_b64 s[0:1], s[36:37], -1
	s_orn2_b64 s[0:1], s[0:1], exec
.LBB632_302:
	s_or_b64 exec, exec, s[30:31]
	s_and_b64 s[2:3], s[0:1], exec
.LBB632_303:
	s_or_b64 exec, exec, s[26:27]
	s_orn2_b64 s[26:27], s[2:3], exec
.LBB632_304:
	s_or_b64 exec, exec, s[28:29]
	v_cndmask_b32_e64 v12, v66, v67, s[26:27]
	v_cndmask_b32_e64 v14, v100, v99, s[26:27]
	v_add_u32_e32 v15, 1, v12
	v_add_u32_e32 v12, -1, v14
	v_min_u32_e32 v12, v15, v12
	v_lshl_add_u64 v[12:13], v[12:13], 3, v[54:55]
	flat_load_dwordx2 v[12:13], v[12:13]
	v_cndmask_b32_e64 v114, v15, v66, s[26:27]
	v_cndmask_b32_e64 v103, v67, v15, s[26:27]
	v_cmp_lt_u32_e64 s[0:1], v114, v100
	s_waitcnt vmcnt(0) lgkmcnt(0)
	v_cndmask_b32_e64 v112, v13, v96, s[26:27]
	v_cndmask_b32_e64 v113, v12, v97, s[26:27]
	;; [unrolled: 1-line block ×4, first 2 shown]
	s_and_saveexec_b64 s[28:29], s[0:1]
	s_cbranch_execz .LBB632_314
; %bb.305:
	v_cmp_lt_u32_e64 s[0:1], v103, v99
	s_mov_b64 s[2:3], 0
	s_and_saveexec_b64 s[24:25], s[0:1]
	s_cbranch_execz .LBB632_313
; %bb.306:
	s_mov_b64 s[0:1], -1
	s_and_saveexec_b64 s[30:31], vcc
	s_cbranch_execz .LBB632_312
; %bb.307:
	v_mul_lo_u32 v14, v115, v6
	v_mul_lo_u32 v15, v116, v7
	v_mad_u64_u32 v[12:13], s[0:1], v116, v6, 0
	v_add3_u32 v13, v13, v15, v14
	v_mul_lo_u32 v16, v112, v6
	v_mul_lo_u32 v17, v113, v7
	v_mad_u64_u32 v[14:15], s[0:1], v113, v6, 0
	v_add3_u32 v15, v15, v17, v16
	v_lshl_add_u64 v[12:13], v[12:13], 1, v[8:9]
	v_lshl_add_u64 v[14:15], v[14:15], 1, v[8:9]
	s_mov_b64 s[34:35], 0
	v_mov_b64_e32 v[16:17], v[6:7]
                                        ; implicit-def: $sgpr36_sgpr37
                                        ; implicit-def: $sgpr38_sgpr39
                                        ; implicit-def: $sgpr2_sgpr3
                                        ; implicit-def: $sgpr40_sgpr41
                                        ; implicit-def: $sgpr42_sgpr43
	s_branch .LBB632_309
.LBB632_308:                            ;   in Loop: Header=BB632_309 Depth=1
	s_or_b64 exec, exec, s[44:45]
	s_and_b64 s[0:1], exec, s[38:39]
	s_or_b64 s[34:35], s[0:1], s[34:35]
	s_andn2_b64 s[0:1], s[42:43], exec
	s_and_b64 s[4:5], s[40:41], exec
	s_or_b64 s[42:43], s[0:1], s[4:5]
	s_andn2_b64 s[0:1], s[36:37], exec
	s_and_b64 s[4:5], s[2:3], exec
	s_or_b64 s[36:37], s[0:1], s[4:5]
	s_andn2_b64 exec, exec, s[34:35]
	s_cbranch_execz .LBB632_311
.LBB632_309:                            ; =>This Inner Loop Header: Depth=1
	flat_load_ushort v18, v[14:15]
	flat_load_ushort v19, v[12:13]
	s_andn2_b64 s[44:45], s[2:3], exec
	s_andn2_b64 s[40:41], s[40:41], exec
	s_or_b64 s[38:39], s[38:39], exec
	s_waitcnt vmcnt(0) lgkmcnt(0)
	v_cmp_le_i16_e64 s[2:3], v18, v19
	v_cmp_lt_i16_e64 s[0:1], v18, v19
	s_and_b64 s[2:3], s[2:3], s[42:43]
	s_or_b64 s[46:47], s[0:1], s[2:3]
	s_and_b64 s[0:1], s[46:47], exec
	v_cmp_eq_u16_e64 s[4:5], v18, v19
	s_or_b64 s[2:3], s[44:45], s[0:1]
	s_and_saveexec_b64 s[44:45], s[4:5]
	s_cbranch_execz .LBB632_308
; %bb.310:                              ;   in Loop: Header=BB632_309 Depth=1
	v_lshl_add_u64 v[16:17], v[16:17], 0, -1
	v_cmp_eq_u64_e64 s[0:1], 0, v[16:17]
	s_andn2_b64 s[4:5], s[40:41], exec
	s_and_b64 s[40:41], s[46:47], exec
	s_or_b64 s[40:41], s[4:5], s[40:41]
	s_andn2_b64 s[4:5], s[38:39], exec
	s_and_b64 s[0:1], s[0:1], exec
	v_lshl_add_u64 v[12:13], v[12:13], 0, 2
	v_lshl_add_u64 v[14:15], v[14:15], 0, 2
	s_andn2_b64 s[2:3], s[2:3], exec
	s_or_b64 s[38:39], s[4:5], s[0:1]
                                        ; implicit-def: $sgpr42_sgpr43
	s_branch .LBB632_308
.LBB632_311:
	s_or_b64 exec, exec, s[34:35]
	s_xor_b64 s[0:1], s[36:37], -1
	s_orn2_b64 s[0:1], s[0:1], exec
.LBB632_312:
	s_or_b64 exec, exec, s[30:31]
	s_and_b64 s[2:3], s[0:1], exec
.LBB632_313:
	s_or_b64 exec, exec, s[24:25]
	s_orn2_b64 s[24:25], s[2:3], exec
.LBB632_314:
	s_or_b64 exec, exec, s[28:29]
	v_cndmask_b32_e64 v12, v114, v103, s[24:25]
	v_cndmask_b32_e64 v13, v100, v99, s[24:25]
	v_add_u32_e32 v117, 1, v12
	v_add_u32_e32 v12, -1, v13
	v_min_u32_e32 v12, v117, v12
	v_mov_b32_e32 v13, 0
	v_lshl_add_u64 v[12:13], v[12:13], 3, v[54:55]
	flat_load_dwordx2 v[66:67], v[12:13]
	v_cndmask_b32_e64 v17, v23, v70, s[16:17]
	v_cndmask_b32_e64 v23, v20, v22, s[18:19]
	v_cndmask_b32_e64 v22, v21, v68, s[18:19]
	v_cndmask_b32_e64 v68, v117, v114, s[24:25]
	v_cndmask_b32_e64 v15, v96, v101, s[26:27]
	v_cndmask_b32_e64 v14, v97, v102, s[26:27]
	v_cndmask_b32_e64 v13, v84, v86, s[20:21]
	v_cndmask_b32_e64 v12, v85, v87, s[20:21]
	v_cndmask_b32_e64 v19, v80, v82, s[22:23]
	v_cndmask_b32_e64 v18, v81, v83, s[22:23]
	v_cndmask_b32_e64 v16, v69, v71, s[16:17]
	v_cndmask_b32_e64 v21, v3, v1, s[14:15]
	v_cndmask_b32_e64 v20, v2, v0, s[14:15]
	v_cndmask_b32_e64 v1, v112, v115, s[24:25]
	v_cndmask_b32_e64 v0, v113, v116, s[24:25]
	v_cmp_lt_u32_e64 s[0:1], v68, v100
	s_waitcnt vmcnt(0) lgkmcnt(0)
	v_cndmask_b32_e64 v3, v115, v67, s[24:25]
	v_cndmask_b32_e64 v2, v116, v66, s[24:25]
	s_and_saveexec_b64 s[14:15], s[0:1]
	s_cbranch_execz .LBB632_324
; %bb.315:
	v_cndmask_b32_e64 v68, v103, v117, s[24:25]
	v_cndmask_b32_e64 v67, v67, v112, s[24:25]
	;; [unrolled: 1-line block ×3, first 2 shown]
	v_cmp_lt_u32_e64 s[0:1], v68, v99
	s_and_saveexec_b64 s[16:17], s[0:1]
	s_cbranch_execz .LBB632_323
; %bb.316:
	s_and_saveexec_b64 s[18:19], vcc
	s_cbranch_execz .LBB632_322
; %bb.317:
	v_mul_lo_u32 v70, v3, v6
	v_mul_lo_u32 v71, v2, v7
	v_mad_u64_u32 v[68:69], s[0:1], v2, v6, 0
	v_add3_u32 v69, v69, v71, v70
	v_mul_lo_u32 v80, v67, v6
	v_mul_lo_u32 v81, v66, v7
	v_mad_u64_u32 v[70:71], s[0:1], v66, v6, 0
	v_add3_u32 v71, v71, v81, v80
	v_lshl_add_u64 v[68:69], v[68:69], 1, v[8:9]
	v_lshl_add_u64 v[70:71], v[70:71], 1, v[8:9]
	s_mov_b64 s[20:21], 0
	v_mov_b64_e32 v[80:81], v[6:7]
                                        ; implicit-def: $sgpr22_sgpr23
                                        ; implicit-def: $sgpr24_sgpr25
                                        ; implicit-def: $sgpr2_sgpr3
                                        ; implicit-def: $sgpr26_sgpr27
                                        ; implicit-def: $sgpr28_sgpr29
	s_branch .LBB632_319
.LBB632_318:                            ;   in Loop: Header=BB632_319 Depth=1
	s_or_b64 exec, exec, s[30:31]
	s_and_b64 s[0:1], exec, s[24:25]
	s_or_b64 s[20:21], s[0:1], s[20:21]
	s_andn2_b64 s[0:1], s[28:29], exec
	s_and_b64 s[4:5], s[26:27], exec
	s_or_b64 s[28:29], s[0:1], s[4:5]
	s_andn2_b64 s[0:1], s[22:23], exec
	s_and_b64 s[4:5], s[2:3], exec
	s_or_b64 s[22:23], s[0:1], s[4:5]
	s_andn2_b64 exec, exec, s[20:21]
	s_cbranch_execz .LBB632_321
.LBB632_319:                            ; =>This Inner Loop Header: Depth=1
	flat_load_ushort v82, v[70:71]
	flat_load_ushort v83, v[68:69]
	s_andn2_b64 s[30:31], s[2:3], exec
	s_andn2_b64 s[26:27], s[26:27], exec
	s_or_b64 s[24:25], s[24:25], exec
	s_waitcnt vmcnt(0) lgkmcnt(0)
	v_cmp_le_i16_e64 s[2:3], v82, v83
	v_cmp_lt_i16_e64 s[0:1], v82, v83
	s_and_b64 s[2:3], s[2:3], s[28:29]
	s_or_b64 s[34:35], s[0:1], s[2:3]
	s_and_b64 s[0:1], s[34:35], exec
	v_cmp_eq_u16_e64 s[4:5], v82, v83
	s_or_b64 s[2:3], s[30:31], s[0:1]
	s_and_saveexec_b64 s[30:31], s[4:5]
	s_cbranch_execz .LBB632_318
; %bb.320:                              ;   in Loop: Header=BB632_319 Depth=1
	v_lshl_add_u64 v[80:81], v[80:81], 0, -1
	v_cmp_eq_u64_e64 s[0:1], 0, v[80:81]
	s_andn2_b64 s[4:5], s[26:27], exec
	s_and_b64 s[26:27], s[34:35], exec
	s_or_b64 s[26:27], s[4:5], s[26:27]
	s_andn2_b64 s[4:5], s[24:25], exec
	s_and_b64 s[0:1], s[0:1], exec
	v_lshl_add_u64 v[68:69], v[68:69], 0, 2
	v_lshl_add_u64 v[70:71], v[70:71], 0, 2
	s_andn2_b64 s[2:3], s[2:3], exec
	s_or_b64 s[24:25], s[4:5], s[0:1]
                                        ; implicit-def: $sgpr28_sgpr29
	s_branch .LBB632_318
.LBB632_321:
	s_or_b64 exec, exec, s[20:21]
	v_cndmask_b32_e64 v3, v3, v67, s[22:23]
	v_cndmask_b32_e64 v2, v2, v66, s[22:23]
.LBB632_322:
	s_or_b64 exec, exec, s[18:19]
	v_mov_b64_e32 v[66:67], v[2:3]
.LBB632_323:
	s_or_b64 exec, exec, s[16:17]
	v_mov_b64_e32 v[2:3], v[66:67]
.LBB632_324:
	s_or_b64 exec, exec, s[14:15]
.LBB632_325:
	s_or_b64 exec, exec, s[10:11]
	v_and_b32_e32 v101, 0x3e0, v98
	v_or_b32_e32 v66, 16, v101
	v_min_u32_e32 v99, v31, v66
	v_add_u32_e32 v66, 16, v99
	v_min_u32_e32 v100, v31, v66
	v_and_b32_e32 v66, 24, v98
	v_min_u32_e32 v102, v31, v66
	v_sub_u32_e32 v66, v99, v101
	v_sub_u32_e32 v67, v100, v99
	v_sub_u32_e64 v103, v102, v67 clamp
	v_min_u32_e32 v112, v102, v66
	v_cmp_lt_u32_e64 s[0:1], v103, v112
	; wave barrier
	flat_store_dwordx4 v[64:65], v[20:23]
	flat_store_dwordx4 v[64:65], v[16:19] offset:16
	flat_store_dwordx4 v[64:65], v[12:15] offset:32
	;; [unrolled: 1-line block ×3, first 2 shown]
	; wave barrier
	s_and_saveexec_b64 s[10:11], s[0:1]
	s_cbranch_execz .LBB632_335
; %bb.326:
	v_lshlrev_b32_e32 v66, 3, v101
	v_mov_b32_e32 v67, 0
	v_lshl_add_u64 v[68:69], v[54:55], 0, v[66:67]
	v_lshlrev_b32_e32 v66, 3, v99
	v_lshl_add_u64 v[70:71], v[54:55], 0, v[66:67]
	v_lshlrev_b64 v[80:81], 1, v[6:7]
	s_mov_b64 s[14:15], 0
	s_branch .LBB632_329
.LBB632_327:                            ;   in Loop: Header=BB632_329 Depth=1
	s_or_b64 exec, exec, s[18:19]
	s_and_b64 s[0:1], s[20:21], exec
.LBB632_328:                            ;   in Loop: Header=BB632_329 Depth=1
	s_or_b64 exec, exec, s[16:17]
	v_add_u32_e32 v66, 1, v82
	v_cndmask_b32_e64 v112, v112, v82, s[0:1]
	v_cndmask_b32_e64 v103, v66, v103, s[0:1]
	v_cmp_ge_u32_e64 s[0:1], v103, v112
	s_or_b64 s[14:15], s[0:1], s[14:15]
	s_andn2_b64 exec, exec, s[14:15]
	s_cbranch_execz .LBB632_334
.LBB632_329:                            ; =>This Loop Header: Depth=1
                                        ;     Child Loop BB632_332 Depth 2
	v_add_u32_e32 v66, v112, v103
	v_lshrrev_b32_e32 v82, 1, v66
	s_mov_b64 s[0:1], 0
	s_and_saveexec_b64 s[16:17], vcc
	s_cbranch_execz .LBB632_328
; %bb.330:                              ;   in Loop: Header=BB632_329 Depth=1
	v_mov_b32_e32 v83, v67
	v_xad_u32 v66, v82, -1, v102
	v_lshl_add_u64 v[84:85], v[82:83], 3, v[68:69]
	v_lshl_add_u64 v[86:87], v[66:67], 3, v[70:71]
	flat_load_dwordx2 v[84:85], v[84:85]
	s_mov_b64 s[18:19], 0
	flat_load_dwordx2 v[86:87], v[86:87]
                                        ; implicit-def: $sgpr20_sgpr21
                                        ; implicit-def: $sgpr22_sgpr23
                                        ; implicit-def: $sgpr24_sgpr25
                                        ; implicit-def: $sgpr2_sgpr3
                                        ; implicit-def: $sgpr26_sgpr27
	s_waitcnt vmcnt(0) lgkmcnt(0)
	v_mul_lo_u32 v66, v80, v85
	v_mul_lo_u32 v83, v81, v84
	v_mad_u64_u32 v[84:85], s[0:1], v80, v84, v[8:9]
	v_mul_lo_u32 v96, v80, v87
	v_mul_lo_u32 v97, v81, v86
	v_mad_u64_u32 v[86:87], s[0:1], v80, v86, v[8:9]
	v_add3_u32 v85, v83, v85, v66
	v_add3_u32 v87, v97, v87, v96
	v_mov_b64_e32 v[96:97], v[6:7]
	s_branch .LBB632_332
.LBB632_331:                            ;   in Loop: Header=BB632_332 Depth=2
	s_or_b64 exec, exec, s[28:29]
	s_and_b64 s[0:1], exec, s[22:23]
	s_or_b64 s[18:19], s[0:1], s[18:19]
	s_andn2_b64 s[0:1], s[26:27], exec
	s_and_b64 s[4:5], s[24:25], exec
	s_or_b64 s[26:27], s[0:1], s[4:5]
	s_andn2_b64 s[0:1], s[20:21], exec
	s_and_b64 s[4:5], s[2:3], exec
	s_or_b64 s[20:21], s[0:1], s[4:5]
	s_andn2_b64 exec, exec, s[18:19]
	s_cbranch_execz .LBB632_327
.LBB632_332:                            ;   Parent Loop BB632_329 Depth=1
                                        ; =>  This Inner Loop Header: Depth=2
	flat_load_ushort v66, v[86:87]
	flat_load_ushort v83, v[84:85]
	s_andn2_b64 s[28:29], s[2:3], exec
	s_andn2_b64 s[24:25], s[24:25], exec
	s_or_b64 s[22:23], s[22:23], exec
	s_waitcnt vmcnt(0) lgkmcnt(0)
	v_cmp_le_i16_e64 s[2:3], v66, v83
	v_cmp_lt_i16_e64 s[0:1], v66, v83
	s_and_b64 s[2:3], s[2:3], s[26:27]
	s_or_b64 s[30:31], s[0:1], s[2:3]
	s_and_b64 s[0:1], s[30:31], exec
	v_cmp_eq_u16_e64 s[4:5], v66, v83
	s_or_b64 s[2:3], s[28:29], s[0:1]
	s_and_saveexec_b64 s[28:29], s[4:5]
	s_cbranch_execz .LBB632_331
; %bb.333:                              ;   in Loop: Header=BB632_332 Depth=2
	v_lshl_add_u64 v[96:97], v[96:97], 0, -1
	v_cmp_eq_u64_e64 s[0:1], 0, v[96:97]
	s_andn2_b64 s[4:5], s[24:25], exec
	s_and_b64 s[24:25], s[30:31], exec
	s_or_b64 s[24:25], s[4:5], s[24:25]
	s_andn2_b64 s[4:5], s[22:23], exec
	s_and_b64 s[0:1], s[0:1], exec
	v_lshl_add_u64 v[84:85], v[84:85], 0, 2
	v_lshl_add_u64 v[86:87], v[86:87], 0, 2
	s_andn2_b64 s[2:3], s[2:3], exec
	s_or_b64 s[22:23], s[4:5], s[0:1]
                                        ; implicit-def: $sgpr26_sgpr27
	s_branch .LBB632_331
.LBB632_334:
	s_or_b64 exec, exec, s[14:15]
.LBB632_335:
	s_or_b64 exec, exec, s[10:11]
	v_add_u32_e32 v67, v99, v102
	v_add_u32_e32 v66, v103, v101
	v_sub_u32_e32 v68, v67, v103
	v_cmp_le_u32_e64 s[0:1], v66, v99
	v_cmp_le_u32_e64 s[2:3], v68, v100
	s_or_b64 s[0:1], s[0:1], s[2:3]
	s_and_saveexec_b64 s[10:11], s[0:1]
	s_cbranch_execz .LBB632_419
; %bb.336:
	v_cmp_ge_u32_e64 s[0:1], v66, v99
	v_cmp_lt_u32_e64 s[2:3], v66, v99
                                        ; implicit-def: $vgpr0_vgpr1
	s_and_saveexec_b64 s[4:5], s[2:3]
	s_cbranch_execz .LBB632_338
; %bb.337:
	v_mov_b32_e32 v67, 0
	v_lshl_add_u64 v[0:1], v[66:67], 3, v[54:55]
	flat_load_dwordx2 v[0:1], v[0:1]
.LBB632_338:
	s_or_b64 exec, exec, s[4:5]
	v_cmp_ge_u32_e64 s[14:15], v68, v100
	v_cmp_lt_u32_e64 s[2:3], v68, v100
                                        ; implicit-def: $vgpr2_vgpr3
	s_and_saveexec_b64 s[4:5], s[2:3]
	s_cbranch_execz .LBB632_340
; %bb.339:
	v_mov_b32_e32 v69, 0
	v_lshl_add_u64 v[2:3], v[68:69], 3, v[54:55]
	flat_load_dwordx2 v[2:3], v[2:3]
.LBB632_340:
	s_or_b64 exec, exec, s[4:5]
	s_or_b64 s[0:1], s[0:1], s[14:15]
	s_xor_b64 s[0:1], s[0:1], -1
	s_and_saveexec_b64 s[16:17], s[0:1]
	s_cbranch_execz .LBB632_348
; %bb.341:
	s_mov_b64 s[0:1], 0
	s_and_saveexec_b64 s[18:19], vcc
	s_cbranch_execz .LBB632_347
; %bb.342:
	s_waitcnt vmcnt(0) lgkmcnt(0)
	v_mul_lo_u32 v14, v1, v6
	v_mul_lo_u32 v15, v0, v7
	v_mad_u64_u32 v[12:13], s[0:1], v0, v6, 0
	v_add3_u32 v13, v13, v15, v14
	v_mul_lo_u32 v16, v3, v6
	v_mul_lo_u32 v17, v2, v7
	v_mad_u64_u32 v[14:15], s[0:1], v2, v6, 0
	v_add3_u32 v15, v15, v17, v16
	v_lshl_add_u64 v[12:13], v[12:13], 1, v[8:9]
	v_lshl_add_u64 v[14:15], v[14:15], 1, v[8:9]
	s_mov_b64 s[20:21], 0
	v_mov_b64_e32 v[16:17], v[6:7]
                                        ; implicit-def: $sgpr22_sgpr23
                                        ; implicit-def: $sgpr24_sgpr25
                                        ; implicit-def: $sgpr26_sgpr27
                                        ; implicit-def: $sgpr2_sgpr3
                                        ; implicit-def: $sgpr28_sgpr29
	s_branch .LBB632_344
.LBB632_343:                            ;   in Loop: Header=BB632_344 Depth=1
	s_or_b64 exec, exec, s[30:31]
	s_and_b64 s[0:1], exec, s[24:25]
	s_or_b64 s[20:21], s[0:1], s[20:21]
	s_andn2_b64 s[0:1], s[28:29], exec
	s_and_b64 s[4:5], s[26:27], exec
	s_or_b64 s[28:29], s[0:1], s[4:5]
	s_andn2_b64 s[0:1], s[22:23], exec
	s_and_b64 s[4:5], s[2:3], exec
	s_or_b64 s[22:23], s[0:1], s[4:5]
	s_andn2_b64 exec, exec, s[20:21]
	s_cbranch_execz .LBB632_346
.LBB632_344:                            ; =>This Inner Loop Header: Depth=1
	flat_load_ushort v18, v[14:15]
	flat_load_ushort v19, v[12:13]
	s_andn2_b64 s[30:31], s[2:3], exec
	s_andn2_b64 s[26:27], s[26:27], exec
	s_or_b64 s[24:25], s[24:25], exec
	s_waitcnt vmcnt(0) lgkmcnt(0)
	v_cmp_le_i16_e64 s[2:3], v18, v19
	v_cmp_lt_i16_e64 s[0:1], v18, v19
	s_and_b64 s[2:3], s[2:3], s[28:29]
	s_or_b64 s[34:35], s[0:1], s[2:3]
	s_and_b64 s[0:1], s[34:35], exec
	v_cmp_eq_u16_e64 s[4:5], v18, v19
	s_or_b64 s[2:3], s[30:31], s[0:1]
	s_and_saveexec_b64 s[30:31], s[4:5]
	s_cbranch_execz .LBB632_343
; %bb.345:                              ;   in Loop: Header=BB632_344 Depth=1
	v_lshl_add_u64 v[16:17], v[16:17], 0, -1
	v_cmp_eq_u64_e64 s[0:1], 0, v[16:17]
	s_andn2_b64 s[4:5], s[26:27], exec
	s_and_b64 s[26:27], s[34:35], exec
	s_or_b64 s[26:27], s[4:5], s[26:27]
	s_andn2_b64 s[4:5], s[24:25], exec
	s_and_b64 s[0:1], s[0:1], exec
	v_lshl_add_u64 v[12:13], v[12:13], 0, 2
	v_lshl_add_u64 v[14:15], v[14:15], 0, 2
	s_andn2_b64 s[2:3], s[2:3], exec
	s_or_b64 s[24:25], s[4:5], s[0:1]
                                        ; implicit-def: $sgpr28_sgpr29
	s_branch .LBB632_343
.LBB632_346:
	s_or_b64 exec, exec, s[20:21]
	s_and_b64 s[0:1], s[22:23], exec
.LBB632_347:
	s_or_b64 exec, exec, s[18:19]
	s_xor_b64 s[0:1], s[0:1], -1
	s_andn2_b64 s[2:3], s[14:15], exec
	s_and_b64 s[0:1], s[0:1], exec
	s_or_b64 s[14:15], s[2:3], s[0:1]
.LBB632_348:
	s_or_b64 exec, exec, s[16:17]
	v_cndmask_b32_e64 v12, v68, v66, s[14:15]
	v_cndmask_b32_e64 v13, v100, v99, s[14:15]
	v_add_u32_e32 v16, 1, v12
	v_add_u32_e32 v12, -1, v13
	v_min_u32_e32 v12, v16, v12
	v_mov_b32_e32 v13, 0
	v_lshl_add_u64 v[14:15], v[12:13], 3, v[54:55]
	flat_load_dwordx2 v[14:15], v[14:15]
	v_cndmask_b32_e64 v23, v16, v68, s[14:15]
	s_mov_b64 s[16:17], -1
	v_cndmask_b32_e64 v66, v66, v16, s[14:15]
	v_cmp_lt_u32_e64 s[0:1], v23, v100
	s_mov_b64 s[18:19], -1
	s_waitcnt vmcnt(0) lgkmcnt(0)
	v_cndmask_b32_e64 v20, v15, v3, s[14:15]
	v_cndmask_b32_e64 v21, v14, v2, s[14:15]
	;; [unrolled: 1-line block ×4, first 2 shown]
	s_and_saveexec_b64 s[20:21], s[0:1]
	s_cbranch_execz .LBB632_358
; %bb.349:
	v_cmp_lt_u32_e64 s[0:1], v66, v99
	s_mov_b64 s[2:3], 0
	s_and_saveexec_b64 s[18:19], s[0:1]
	s_cbranch_execz .LBB632_357
; %bb.350:
	s_mov_b64 s[0:1], 0
	s_and_saveexec_b64 s[22:23], vcc
	s_cbranch_execz .LBB632_356
; %bb.351:
	v_mul_lo_u32 v12, v22, v6
	v_mul_lo_u32 v16, v68, v7
	v_mad_u64_u32 v[14:15], s[0:1], v68, v6, 0
	v_add3_u32 v15, v15, v16, v12
	v_mul_lo_u32 v12, v20, v6
	v_mul_lo_u32 v18, v21, v7
	v_mad_u64_u32 v[16:17], s[0:1], v21, v6, 0
	v_add3_u32 v17, v17, v18, v12
	v_lshl_add_u64 v[14:15], v[14:15], 1, v[8:9]
	v_lshl_add_u64 v[16:17], v[16:17], 1, v[8:9]
	s_mov_b64 s[24:25], 0
	v_mov_b64_e32 v[18:19], v[6:7]
                                        ; implicit-def: $sgpr26_sgpr27
                                        ; implicit-def: $sgpr28_sgpr29
                                        ; implicit-def: $sgpr30_sgpr31
                                        ; implicit-def: $sgpr2_sgpr3
                                        ; implicit-def: $sgpr34_sgpr35
	s_branch .LBB632_353
.LBB632_352:                            ;   in Loop: Header=BB632_353 Depth=1
	s_or_b64 exec, exec, s[36:37]
	s_and_b64 s[0:1], exec, s[28:29]
	s_or_b64 s[24:25], s[0:1], s[24:25]
	s_andn2_b64 s[0:1], s[34:35], exec
	s_and_b64 s[4:5], s[30:31], exec
	s_or_b64 s[34:35], s[0:1], s[4:5]
	s_andn2_b64 s[0:1], s[26:27], exec
	s_and_b64 s[4:5], s[2:3], exec
	s_or_b64 s[26:27], s[0:1], s[4:5]
	s_andn2_b64 exec, exec, s[24:25]
	s_cbranch_execz .LBB632_355
.LBB632_353:                            ; =>This Inner Loop Header: Depth=1
	flat_load_ushort v12, v[16:17]
	flat_load_ushort v67, v[14:15]
	s_andn2_b64 s[36:37], s[2:3], exec
	s_andn2_b64 s[30:31], s[30:31], exec
	s_or_b64 s[28:29], s[28:29], exec
	s_waitcnt vmcnt(0) lgkmcnt(0)
	v_cmp_le_i16_e64 s[2:3], v12, v67
	v_cmp_lt_i16_e64 s[0:1], v12, v67
	s_and_b64 s[2:3], s[2:3], s[34:35]
	s_or_b64 s[38:39], s[0:1], s[2:3]
	s_and_b64 s[0:1], s[38:39], exec
	v_cmp_eq_u16_e64 s[4:5], v12, v67
	s_or_b64 s[2:3], s[36:37], s[0:1]
	s_and_saveexec_b64 s[36:37], s[4:5]
	s_cbranch_execz .LBB632_352
; %bb.354:                              ;   in Loop: Header=BB632_353 Depth=1
	v_lshl_add_u64 v[18:19], v[18:19], 0, -1
	v_cmp_eq_u64_e64 s[0:1], 0, v[18:19]
	s_andn2_b64 s[4:5], s[30:31], exec
	s_and_b64 s[30:31], s[38:39], exec
	s_or_b64 s[30:31], s[4:5], s[30:31]
	s_andn2_b64 s[4:5], s[28:29], exec
	s_and_b64 s[0:1], s[0:1], exec
	v_lshl_add_u64 v[14:15], v[14:15], 0, 2
	v_lshl_add_u64 v[16:17], v[16:17], 0, 2
	s_andn2_b64 s[2:3], s[2:3], exec
	s_or_b64 s[28:29], s[4:5], s[0:1]
                                        ; implicit-def: $sgpr34_sgpr35
	s_branch .LBB632_352
.LBB632_355:
	s_or_b64 exec, exec, s[24:25]
	s_and_b64 s[0:1], s[26:27], exec
.LBB632_356:
	s_or_b64 exec, exec, s[22:23]
	s_xor_b64 s[0:1], s[0:1], -1
	s_and_b64 s[2:3], s[0:1], exec
.LBB632_357:
	s_or_b64 exec, exec, s[18:19]
	s_orn2_b64 s[18:19], s[2:3], exec
.LBB632_358:
	s_or_b64 exec, exec, s[20:21]
	v_cndmask_b32_e64 v12, v23, v66, s[18:19]
	v_cndmask_b32_e64 v14, v100, v99, s[18:19]
	v_add_u32_e32 v15, 1, v12
	v_add_u32_e32 v12, -1, v14
	v_min_u32_e32 v12, v15, v12
	v_lshl_add_u64 v[12:13], v[12:13], 3, v[54:55]
	flat_load_dwordx2 v[12:13], v[12:13]
	v_cndmask_b32_e64 v18, v15, v23, s[18:19]
	v_cndmask_b32_e64 v19, v66, v15, s[18:19]
	v_cmp_lt_u32_e64 s[0:1], v18, v100
	s_waitcnt vmcnt(0) lgkmcnt(0)
	v_cndmask_b32_e64 v23, v13, v20, s[18:19]
	v_cndmask_b32_e64 v69, v12, v21, s[18:19]
	;; [unrolled: 1-line block ×4, first 2 shown]
	s_and_saveexec_b64 s[20:21], s[0:1]
	s_cbranch_execz .LBB632_368
; %bb.359:
	v_cmp_lt_u32_e64 s[0:1], v19, v99
	s_mov_b64 s[2:3], 0
	s_and_saveexec_b64 s[16:17], s[0:1]
	s_cbranch_execz .LBB632_367
; %bb.360:
	s_mov_b64 s[0:1], 0
	s_and_saveexec_b64 s[22:23], vcc
	s_cbranch_execz .LBB632_366
; %bb.361:
	v_mul_lo_u32 v14, v70, v6
	v_mul_lo_u32 v15, v71, v7
	v_mad_u64_u32 v[12:13], s[0:1], v71, v6, 0
	v_add3_u32 v13, v13, v15, v14
	v_mul_lo_u32 v16, v23, v6
	v_mul_lo_u32 v17, v69, v7
	v_mad_u64_u32 v[14:15], s[0:1], v69, v6, 0
	v_add3_u32 v15, v15, v17, v16
	v_lshl_add_u64 v[12:13], v[12:13], 1, v[8:9]
	v_lshl_add_u64 v[14:15], v[14:15], 1, v[8:9]
	s_mov_b64 s[24:25], 0
	v_mov_b64_e32 v[16:17], v[6:7]
                                        ; implicit-def: $sgpr26_sgpr27
                                        ; implicit-def: $sgpr28_sgpr29
                                        ; implicit-def: $sgpr30_sgpr31
                                        ; implicit-def: $sgpr2_sgpr3
                                        ; implicit-def: $sgpr34_sgpr35
	s_branch .LBB632_363
.LBB632_362:                            ;   in Loop: Header=BB632_363 Depth=1
	s_or_b64 exec, exec, s[36:37]
	s_and_b64 s[0:1], exec, s[28:29]
	s_or_b64 s[24:25], s[0:1], s[24:25]
	s_andn2_b64 s[0:1], s[34:35], exec
	s_and_b64 s[4:5], s[30:31], exec
	s_or_b64 s[34:35], s[0:1], s[4:5]
	s_andn2_b64 s[0:1], s[26:27], exec
	s_and_b64 s[4:5], s[2:3], exec
	s_or_b64 s[26:27], s[0:1], s[4:5]
	s_andn2_b64 exec, exec, s[24:25]
	s_cbranch_execz .LBB632_365
.LBB632_363:                            ; =>This Inner Loop Header: Depth=1
	flat_load_ushort v66, v[14:15]
	flat_load_ushort v67, v[12:13]
	s_andn2_b64 s[36:37], s[2:3], exec
	s_andn2_b64 s[30:31], s[30:31], exec
	s_or_b64 s[28:29], s[28:29], exec
	s_waitcnt vmcnt(0) lgkmcnt(0)
	v_cmp_le_i16_e64 s[2:3], v66, v67
	v_cmp_lt_i16_e64 s[0:1], v66, v67
	s_and_b64 s[2:3], s[2:3], s[34:35]
	s_or_b64 s[38:39], s[0:1], s[2:3]
	s_and_b64 s[0:1], s[38:39], exec
	v_cmp_eq_u16_e64 s[4:5], v66, v67
	s_or_b64 s[2:3], s[36:37], s[0:1]
	s_and_saveexec_b64 s[36:37], s[4:5]
	s_cbranch_execz .LBB632_362
; %bb.364:                              ;   in Loop: Header=BB632_363 Depth=1
	v_lshl_add_u64 v[16:17], v[16:17], 0, -1
	v_cmp_eq_u64_e64 s[0:1], 0, v[16:17]
	s_andn2_b64 s[4:5], s[30:31], exec
	s_and_b64 s[30:31], s[38:39], exec
	s_or_b64 s[30:31], s[4:5], s[30:31]
	s_andn2_b64 s[4:5], s[28:29], exec
	s_and_b64 s[0:1], s[0:1], exec
	v_lshl_add_u64 v[12:13], v[12:13], 0, 2
	v_lshl_add_u64 v[14:15], v[14:15], 0, 2
	s_andn2_b64 s[2:3], s[2:3], exec
	s_or_b64 s[28:29], s[4:5], s[0:1]
                                        ; implicit-def: $sgpr34_sgpr35
	s_branch .LBB632_362
.LBB632_365:
	s_or_b64 exec, exec, s[24:25]
	s_and_b64 s[0:1], s[26:27], exec
.LBB632_366:
	s_or_b64 exec, exec, s[22:23]
	s_xor_b64 s[0:1], s[0:1], -1
	s_and_b64 s[2:3], s[0:1], exec
.LBB632_367:
	s_or_b64 exec, exec, s[16:17]
	s_orn2_b64 s[16:17], s[2:3], exec
.LBB632_368:
	s_or_b64 exec, exec, s[20:21]
	v_cndmask_b32_e64 v12, v18, v19, s[16:17]
	v_cndmask_b32_e64 v13, v100, v99, s[16:17]
	v_add_u32_e32 v16, 1, v12
	v_add_u32_e32 v12, -1, v13
	v_min_u32_e32 v12, v16, v12
	v_mov_b32_e32 v13, 0
	v_lshl_add_u64 v[14:15], v[12:13], 3, v[54:55]
	flat_load_dwordx2 v[14:15], v[14:15]
	v_cndmask_b32_e64 v66, v16, v18, s[16:17]
	s_mov_b64 s[20:21], -1
	v_cndmask_b32_e64 v67, v19, v16, s[16:17]
	v_cmp_lt_u32_e64 s[0:1], v66, v100
	s_mov_b64 s[22:23], -1
	s_waitcnt vmcnt(0) lgkmcnt(0)
	v_cndmask_b32_e64 v80, v15, v23, s[16:17]
	v_cndmask_b32_e64 v81, v14, v69, s[16:17]
	;; [unrolled: 1-line block ×4, first 2 shown]
	s_and_saveexec_b64 s[24:25], s[0:1]
	s_cbranch_execz .LBB632_378
; %bb.369:
	v_cmp_lt_u32_e64 s[0:1], v67, v99
	s_mov_b64 s[2:3], 0
	s_and_saveexec_b64 s[22:23], s[0:1]
	s_cbranch_execz .LBB632_377
; %bb.370:
	s_mov_b64 s[0:1], -1
	s_and_saveexec_b64 s[26:27], vcc
	s_cbranch_execz .LBB632_376
; %bb.371:
	v_mul_lo_u32 v12, v82, v6
	v_mul_lo_u32 v16, v83, v7
	v_mad_u64_u32 v[14:15], s[0:1], v83, v6, 0
	v_add3_u32 v15, v15, v16, v12
	v_mul_lo_u32 v12, v80, v6
	v_mul_lo_u32 v18, v81, v7
	v_mad_u64_u32 v[16:17], s[0:1], v81, v6, 0
	v_add3_u32 v17, v17, v18, v12
	v_lshl_add_u64 v[14:15], v[14:15], 1, v[8:9]
	v_lshl_add_u64 v[16:17], v[16:17], 1, v[8:9]
	s_mov_b64 s[28:29], 0
	v_mov_b64_e32 v[18:19], v[6:7]
                                        ; implicit-def: $sgpr30_sgpr31
                                        ; implicit-def: $sgpr34_sgpr35
                                        ; implicit-def: $sgpr2_sgpr3
                                        ; implicit-def: $sgpr36_sgpr37
                                        ; implicit-def: $sgpr38_sgpr39
	s_branch .LBB632_373
.LBB632_372:                            ;   in Loop: Header=BB632_373 Depth=1
	s_or_b64 exec, exec, s[40:41]
	s_and_b64 s[0:1], exec, s[34:35]
	s_or_b64 s[28:29], s[0:1], s[28:29]
	s_andn2_b64 s[0:1], s[38:39], exec
	s_and_b64 s[4:5], s[36:37], exec
	s_or_b64 s[38:39], s[0:1], s[4:5]
	s_andn2_b64 s[0:1], s[30:31], exec
	s_and_b64 s[4:5], s[2:3], exec
	s_or_b64 s[30:31], s[0:1], s[4:5]
	s_andn2_b64 exec, exec, s[28:29]
	s_cbranch_execz .LBB632_375
.LBB632_373:                            ; =>This Inner Loop Header: Depth=1
	flat_load_ushort v12, v[16:17]
	flat_load_ushort v84, v[14:15]
	s_andn2_b64 s[40:41], s[2:3], exec
	s_andn2_b64 s[36:37], s[36:37], exec
	s_or_b64 s[34:35], s[34:35], exec
	s_waitcnt vmcnt(0) lgkmcnt(0)
	v_cmp_le_i16_e64 s[2:3], v12, v84
	v_cmp_lt_i16_e64 s[0:1], v12, v84
	s_and_b64 s[2:3], s[2:3], s[38:39]
	s_or_b64 s[42:43], s[0:1], s[2:3]
	s_and_b64 s[0:1], s[42:43], exec
	v_cmp_eq_u16_e64 s[4:5], v12, v84
	s_or_b64 s[2:3], s[40:41], s[0:1]
	s_and_saveexec_b64 s[40:41], s[4:5]
	s_cbranch_execz .LBB632_372
; %bb.374:                              ;   in Loop: Header=BB632_373 Depth=1
	v_lshl_add_u64 v[18:19], v[18:19], 0, -1
	v_cmp_eq_u64_e64 s[0:1], 0, v[18:19]
	s_andn2_b64 s[4:5], s[36:37], exec
	s_and_b64 s[36:37], s[42:43], exec
	s_or_b64 s[36:37], s[4:5], s[36:37]
	s_andn2_b64 s[4:5], s[34:35], exec
	s_and_b64 s[0:1], s[0:1], exec
	v_lshl_add_u64 v[14:15], v[14:15], 0, 2
	v_lshl_add_u64 v[16:17], v[16:17], 0, 2
	s_andn2_b64 s[2:3], s[2:3], exec
	s_or_b64 s[34:35], s[4:5], s[0:1]
                                        ; implicit-def: $sgpr38_sgpr39
	s_branch .LBB632_372
.LBB632_375:
	s_or_b64 exec, exec, s[28:29]
	s_xor_b64 s[0:1], s[30:31], -1
	s_orn2_b64 s[0:1], s[0:1], exec
.LBB632_376:
	s_or_b64 exec, exec, s[26:27]
	s_and_b64 s[2:3], s[0:1], exec
.LBB632_377:
	s_or_b64 exec, exec, s[22:23]
	s_orn2_b64 s[22:23], s[2:3], exec
.LBB632_378:
	s_or_b64 exec, exec, s[24:25]
	v_cndmask_b32_e64 v12, v66, v67, s[22:23]
	v_cndmask_b32_e64 v14, v100, v99, s[22:23]
	v_add_u32_e32 v15, 1, v12
	v_add_u32_e32 v12, -1, v14
	v_min_u32_e32 v12, v15, v12
	v_lshl_add_u64 v[12:13], v[12:13], 3, v[54:55]
	flat_load_dwordx2 v[12:13], v[12:13]
	v_cndmask_b32_e64 v18, v15, v66, s[22:23]
	v_cndmask_b32_e64 v19, v67, v15, s[22:23]
	v_cmp_lt_u32_e64 s[0:1], v18, v100
	s_waitcnt vmcnt(0) lgkmcnt(0)
	v_cndmask_b32_e64 v84, v13, v80, s[22:23]
	v_cndmask_b32_e64 v85, v12, v81, s[22:23]
	;; [unrolled: 1-line block ×4, first 2 shown]
	s_and_saveexec_b64 s[24:25], s[0:1]
	s_cbranch_execz .LBB632_388
; %bb.379:
	v_cmp_lt_u32_e64 s[0:1], v19, v99
	s_mov_b64 s[2:3], 0
	s_and_saveexec_b64 s[20:21], s[0:1]
	s_cbranch_execz .LBB632_387
; %bb.380:
	s_mov_b64 s[0:1], -1
	s_and_saveexec_b64 s[26:27], vcc
	s_cbranch_execz .LBB632_386
; %bb.381:
	v_mul_lo_u32 v14, v86, v6
	v_mul_lo_u32 v15, v87, v7
	v_mad_u64_u32 v[12:13], s[0:1], v87, v6, 0
	v_add3_u32 v13, v13, v15, v14
	v_mul_lo_u32 v16, v84, v6
	v_mul_lo_u32 v17, v85, v7
	v_mad_u64_u32 v[14:15], s[0:1], v85, v6, 0
	v_add3_u32 v15, v15, v17, v16
	v_lshl_add_u64 v[12:13], v[12:13], 1, v[8:9]
	v_lshl_add_u64 v[14:15], v[14:15], 1, v[8:9]
	s_mov_b64 s[28:29], 0
	v_mov_b64_e32 v[16:17], v[6:7]
                                        ; implicit-def: $sgpr30_sgpr31
                                        ; implicit-def: $sgpr34_sgpr35
                                        ; implicit-def: $sgpr2_sgpr3
                                        ; implicit-def: $sgpr36_sgpr37
                                        ; implicit-def: $sgpr38_sgpr39
	s_branch .LBB632_383
.LBB632_382:                            ;   in Loop: Header=BB632_383 Depth=1
	s_or_b64 exec, exec, s[40:41]
	s_and_b64 s[0:1], exec, s[34:35]
	s_or_b64 s[28:29], s[0:1], s[28:29]
	s_andn2_b64 s[0:1], s[38:39], exec
	s_and_b64 s[4:5], s[36:37], exec
	s_or_b64 s[38:39], s[0:1], s[4:5]
	s_andn2_b64 s[0:1], s[30:31], exec
	s_and_b64 s[4:5], s[2:3], exec
	s_or_b64 s[30:31], s[0:1], s[4:5]
	s_andn2_b64 exec, exec, s[28:29]
	s_cbranch_execz .LBB632_385
.LBB632_383:                            ; =>This Inner Loop Header: Depth=1
	flat_load_ushort v66, v[14:15]
	flat_load_ushort v67, v[12:13]
	s_andn2_b64 s[40:41], s[2:3], exec
	s_andn2_b64 s[36:37], s[36:37], exec
	s_or_b64 s[34:35], s[34:35], exec
	s_waitcnt vmcnt(0) lgkmcnt(0)
	v_cmp_le_i16_e64 s[2:3], v66, v67
	v_cmp_lt_i16_e64 s[0:1], v66, v67
	s_and_b64 s[2:3], s[2:3], s[38:39]
	s_or_b64 s[42:43], s[0:1], s[2:3]
	s_and_b64 s[0:1], s[42:43], exec
	v_cmp_eq_u16_e64 s[4:5], v66, v67
	s_or_b64 s[2:3], s[40:41], s[0:1]
	s_and_saveexec_b64 s[40:41], s[4:5]
	s_cbranch_execz .LBB632_382
; %bb.384:                              ;   in Loop: Header=BB632_383 Depth=1
	v_lshl_add_u64 v[16:17], v[16:17], 0, -1
	v_cmp_eq_u64_e64 s[0:1], 0, v[16:17]
	s_andn2_b64 s[4:5], s[36:37], exec
	s_and_b64 s[36:37], s[42:43], exec
	s_or_b64 s[36:37], s[4:5], s[36:37]
	s_andn2_b64 s[4:5], s[34:35], exec
	s_and_b64 s[0:1], s[0:1], exec
	v_lshl_add_u64 v[12:13], v[12:13], 0, 2
	v_lshl_add_u64 v[14:15], v[14:15], 0, 2
	s_andn2_b64 s[2:3], s[2:3], exec
	s_or_b64 s[34:35], s[4:5], s[0:1]
                                        ; implicit-def: $sgpr38_sgpr39
	s_branch .LBB632_382
.LBB632_385:
	s_or_b64 exec, exec, s[28:29]
	s_xor_b64 s[0:1], s[30:31], -1
	s_orn2_b64 s[0:1], s[0:1], exec
.LBB632_386:
	s_or_b64 exec, exec, s[26:27]
	s_and_b64 s[2:3], s[0:1], exec
.LBB632_387:
	s_or_b64 exec, exec, s[20:21]
	s_orn2_b64 s[20:21], s[2:3], exec
.LBB632_388:
	s_or_b64 exec, exec, s[24:25]
	v_cndmask_b32_e64 v12, v18, v19, s[20:21]
	v_cndmask_b32_e64 v13, v100, v99, s[20:21]
	v_add_u32_e32 v16, 1, v12
	v_add_u32_e32 v12, -1, v13
	v_min_u32_e32 v12, v16, v12
	v_mov_b32_e32 v13, 0
	v_lshl_add_u64 v[14:15], v[12:13], 3, v[54:55]
	flat_load_dwordx2 v[14:15], v[14:15]
	v_cndmask_b32_e64 v66, v16, v18, s[20:21]
	s_mov_b64 s[24:25], -1
	v_cndmask_b32_e64 v67, v19, v16, s[20:21]
	v_cmp_lt_u32_e64 s[0:1], v66, v100
	s_mov_b64 s[26:27], -1
	s_waitcnt vmcnt(0) lgkmcnt(0)
	v_cndmask_b32_e64 v96, v15, v84, s[20:21]
	v_cndmask_b32_e64 v97, v14, v85, s[20:21]
	;; [unrolled: 1-line block ×4, first 2 shown]
	s_and_saveexec_b64 s[28:29], s[0:1]
	s_cbranch_execz .LBB632_398
; %bb.389:
	v_cmp_lt_u32_e64 s[0:1], v67, v99
	s_mov_b64 s[2:3], 0
	s_and_saveexec_b64 s[26:27], s[0:1]
	s_cbranch_execz .LBB632_397
; %bb.390:
	s_mov_b64 s[0:1], -1
	s_and_saveexec_b64 s[30:31], vcc
	s_cbranch_execz .LBB632_396
; %bb.391:
	v_mul_lo_u32 v12, v101, v6
	v_mul_lo_u32 v16, v102, v7
	v_mad_u64_u32 v[14:15], s[0:1], v102, v6, 0
	v_add3_u32 v15, v15, v16, v12
	v_mul_lo_u32 v12, v96, v6
	v_mul_lo_u32 v18, v97, v7
	v_mad_u64_u32 v[16:17], s[0:1], v97, v6, 0
	v_add3_u32 v17, v17, v18, v12
	v_lshl_add_u64 v[14:15], v[14:15], 1, v[8:9]
	v_lshl_add_u64 v[16:17], v[16:17], 1, v[8:9]
	s_mov_b64 s[34:35], 0
	v_mov_b64_e32 v[18:19], v[6:7]
                                        ; implicit-def: $sgpr36_sgpr37
                                        ; implicit-def: $sgpr38_sgpr39
                                        ; implicit-def: $sgpr2_sgpr3
                                        ; implicit-def: $sgpr40_sgpr41
                                        ; implicit-def: $sgpr42_sgpr43
	s_branch .LBB632_393
.LBB632_392:                            ;   in Loop: Header=BB632_393 Depth=1
	s_or_b64 exec, exec, s[44:45]
	s_and_b64 s[0:1], exec, s[38:39]
	s_or_b64 s[34:35], s[0:1], s[34:35]
	s_andn2_b64 s[0:1], s[42:43], exec
	s_and_b64 s[4:5], s[40:41], exec
	s_or_b64 s[42:43], s[0:1], s[4:5]
	s_andn2_b64 s[0:1], s[36:37], exec
	s_and_b64 s[4:5], s[2:3], exec
	s_or_b64 s[36:37], s[0:1], s[4:5]
	s_andn2_b64 exec, exec, s[34:35]
	s_cbranch_execz .LBB632_395
.LBB632_393:                            ; =>This Inner Loop Header: Depth=1
	flat_load_ushort v12, v[16:17]
	flat_load_ushort v103, v[14:15]
	s_andn2_b64 s[44:45], s[2:3], exec
	s_andn2_b64 s[40:41], s[40:41], exec
	s_or_b64 s[38:39], s[38:39], exec
	s_waitcnt vmcnt(0) lgkmcnt(0)
	v_cmp_le_i16_e64 s[2:3], v12, v103
	v_cmp_lt_i16_e64 s[0:1], v12, v103
	s_and_b64 s[2:3], s[2:3], s[42:43]
	s_or_b64 s[46:47], s[0:1], s[2:3]
	s_and_b64 s[0:1], s[46:47], exec
	v_cmp_eq_u16_e64 s[4:5], v12, v103
	s_or_b64 s[2:3], s[44:45], s[0:1]
	s_and_saveexec_b64 s[44:45], s[4:5]
	s_cbranch_execz .LBB632_392
; %bb.394:                              ;   in Loop: Header=BB632_393 Depth=1
	v_lshl_add_u64 v[18:19], v[18:19], 0, -1
	v_cmp_eq_u64_e64 s[0:1], 0, v[18:19]
	s_andn2_b64 s[4:5], s[40:41], exec
	s_and_b64 s[40:41], s[46:47], exec
	s_or_b64 s[40:41], s[4:5], s[40:41]
	s_andn2_b64 s[4:5], s[38:39], exec
	s_and_b64 s[0:1], s[0:1], exec
	v_lshl_add_u64 v[14:15], v[14:15], 0, 2
	v_lshl_add_u64 v[16:17], v[16:17], 0, 2
	s_andn2_b64 s[2:3], s[2:3], exec
	s_or_b64 s[38:39], s[4:5], s[0:1]
                                        ; implicit-def: $sgpr42_sgpr43
	s_branch .LBB632_392
.LBB632_395:
	s_or_b64 exec, exec, s[34:35]
	s_xor_b64 s[0:1], s[36:37], -1
	s_orn2_b64 s[0:1], s[0:1], exec
.LBB632_396:
	s_or_b64 exec, exec, s[30:31]
	s_and_b64 s[2:3], s[0:1], exec
.LBB632_397:
	s_or_b64 exec, exec, s[26:27]
	s_orn2_b64 s[26:27], s[2:3], exec
.LBB632_398:
	s_or_b64 exec, exec, s[28:29]
	v_cndmask_b32_e64 v12, v66, v67, s[26:27]
	v_cndmask_b32_e64 v14, v100, v99, s[26:27]
	v_add_u32_e32 v15, 1, v12
	v_add_u32_e32 v12, -1, v14
	v_min_u32_e32 v12, v15, v12
	v_lshl_add_u64 v[12:13], v[12:13], 3, v[54:55]
	flat_load_dwordx2 v[12:13], v[12:13]
	v_cndmask_b32_e64 v114, v15, v66, s[26:27]
	v_cndmask_b32_e64 v103, v67, v15, s[26:27]
	v_cmp_lt_u32_e64 s[0:1], v114, v100
	s_waitcnt vmcnt(0) lgkmcnt(0)
	v_cndmask_b32_e64 v112, v13, v96, s[26:27]
	v_cndmask_b32_e64 v113, v12, v97, s[26:27]
	;; [unrolled: 1-line block ×4, first 2 shown]
	s_and_saveexec_b64 s[28:29], s[0:1]
	s_cbranch_execz .LBB632_408
; %bb.399:
	v_cmp_lt_u32_e64 s[0:1], v103, v99
	s_mov_b64 s[2:3], 0
	s_and_saveexec_b64 s[24:25], s[0:1]
	s_cbranch_execz .LBB632_407
; %bb.400:
	s_mov_b64 s[0:1], -1
	s_and_saveexec_b64 s[30:31], vcc
	s_cbranch_execz .LBB632_406
; %bb.401:
	v_mul_lo_u32 v14, v115, v6
	v_mul_lo_u32 v15, v116, v7
	v_mad_u64_u32 v[12:13], s[0:1], v116, v6, 0
	v_add3_u32 v13, v13, v15, v14
	v_mul_lo_u32 v16, v112, v6
	v_mul_lo_u32 v17, v113, v7
	v_mad_u64_u32 v[14:15], s[0:1], v113, v6, 0
	v_add3_u32 v15, v15, v17, v16
	v_lshl_add_u64 v[12:13], v[12:13], 1, v[8:9]
	v_lshl_add_u64 v[14:15], v[14:15], 1, v[8:9]
	s_mov_b64 s[34:35], 0
	v_mov_b64_e32 v[16:17], v[6:7]
                                        ; implicit-def: $sgpr36_sgpr37
                                        ; implicit-def: $sgpr38_sgpr39
                                        ; implicit-def: $sgpr2_sgpr3
                                        ; implicit-def: $sgpr40_sgpr41
                                        ; implicit-def: $sgpr42_sgpr43
	s_branch .LBB632_403
.LBB632_402:                            ;   in Loop: Header=BB632_403 Depth=1
	s_or_b64 exec, exec, s[44:45]
	s_and_b64 s[0:1], exec, s[38:39]
	s_or_b64 s[34:35], s[0:1], s[34:35]
	s_andn2_b64 s[0:1], s[42:43], exec
	s_and_b64 s[4:5], s[40:41], exec
	s_or_b64 s[42:43], s[0:1], s[4:5]
	s_andn2_b64 s[0:1], s[36:37], exec
	s_and_b64 s[4:5], s[2:3], exec
	s_or_b64 s[36:37], s[0:1], s[4:5]
	s_andn2_b64 exec, exec, s[34:35]
	s_cbranch_execz .LBB632_405
.LBB632_403:                            ; =>This Inner Loop Header: Depth=1
	flat_load_ushort v18, v[14:15]
	flat_load_ushort v19, v[12:13]
	s_andn2_b64 s[44:45], s[2:3], exec
	s_andn2_b64 s[40:41], s[40:41], exec
	s_or_b64 s[38:39], s[38:39], exec
	s_waitcnt vmcnt(0) lgkmcnt(0)
	v_cmp_le_i16_e64 s[2:3], v18, v19
	v_cmp_lt_i16_e64 s[0:1], v18, v19
	s_and_b64 s[2:3], s[2:3], s[42:43]
	s_or_b64 s[46:47], s[0:1], s[2:3]
	s_and_b64 s[0:1], s[46:47], exec
	v_cmp_eq_u16_e64 s[4:5], v18, v19
	s_or_b64 s[2:3], s[44:45], s[0:1]
	s_and_saveexec_b64 s[44:45], s[4:5]
	s_cbranch_execz .LBB632_402
; %bb.404:                              ;   in Loop: Header=BB632_403 Depth=1
	v_lshl_add_u64 v[16:17], v[16:17], 0, -1
	v_cmp_eq_u64_e64 s[0:1], 0, v[16:17]
	s_andn2_b64 s[4:5], s[40:41], exec
	s_and_b64 s[40:41], s[46:47], exec
	s_or_b64 s[40:41], s[4:5], s[40:41]
	s_andn2_b64 s[4:5], s[38:39], exec
	s_and_b64 s[0:1], s[0:1], exec
	v_lshl_add_u64 v[12:13], v[12:13], 0, 2
	v_lshl_add_u64 v[14:15], v[14:15], 0, 2
	s_andn2_b64 s[2:3], s[2:3], exec
	s_or_b64 s[38:39], s[4:5], s[0:1]
                                        ; implicit-def: $sgpr42_sgpr43
	s_branch .LBB632_402
.LBB632_405:
	s_or_b64 exec, exec, s[34:35]
	s_xor_b64 s[0:1], s[36:37], -1
	s_orn2_b64 s[0:1], s[0:1], exec
.LBB632_406:
	s_or_b64 exec, exec, s[30:31]
	s_and_b64 s[2:3], s[0:1], exec
.LBB632_407:
	s_or_b64 exec, exec, s[24:25]
	s_orn2_b64 s[24:25], s[2:3], exec
.LBB632_408:
	s_or_b64 exec, exec, s[28:29]
	v_cndmask_b32_e64 v12, v114, v103, s[24:25]
	v_cndmask_b32_e64 v13, v100, v99, s[24:25]
	v_add_u32_e32 v117, 1, v12
	v_add_u32_e32 v12, -1, v13
	v_min_u32_e32 v12, v117, v12
	v_mov_b32_e32 v13, 0
	v_lshl_add_u64 v[12:13], v[12:13], 3, v[54:55]
	flat_load_dwordx2 v[66:67], v[12:13]
	v_cndmask_b32_e64 v17, v23, v70, s[16:17]
	v_cndmask_b32_e64 v23, v20, v22, s[18:19]
	;; [unrolled: 1-line block ×15, first 2 shown]
	v_cmp_lt_u32_e64 s[0:1], v68, v100
	s_waitcnt vmcnt(0) lgkmcnt(0)
	v_cndmask_b32_e64 v3, v115, v67, s[24:25]
	v_cndmask_b32_e64 v2, v116, v66, s[24:25]
	s_and_saveexec_b64 s[14:15], s[0:1]
	s_cbranch_execz .LBB632_418
; %bb.409:
	v_cndmask_b32_e64 v68, v103, v117, s[24:25]
	v_cndmask_b32_e64 v67, v67, v112, s[24:25]
	;; [unrolled: 1-line block ×3, first 2 shown]
	v_cmp_lt_u32_e64 s[0:1], v68, v99
	s_and_saveexec_b64 s[16:17], s[0:1]
	s_cbranch_execz .LBB632_417
; %bb.410:
	s_and_saveexec_b64 s[18:19], vcc
	s_cbranch_execz .LBB632_416
; %bb.411:
	v_mul_lo_u32 v70, v3, v6
	v_mul_lo_u32 v71, v2, v7
	v_mad_u64_u32 v[68:69], s[0:1], v2, v6, 0
	v_add3_u32 v69, v69, v71, v70
	v_mul_lo_u32 v80, v67, v6
	v_mul_lo_u32 v81, v66, v7
	v_mad_u64_u32 v[70:71], s[0:1], v66, v6, 0
	v_add3_u32 v71, v71, v81, v80
	v_lshl_add_u64 v[68:69], v[68:69], 1, v[8:9]
	v_lshl_add_u64 v[70:71], v[70:71], 1, v[8:9]
	s_mov_b64 s[20:21], 0
	v_mov_b64_e32 v[80:81], v[6:7]
                                        ; implicit-def: $sgpr22_sgpr23
                                        ; implicit-def: $sgpr24_sgpr25
                                        ; implicit-def: $sgpr2_sgpr3
                                        ; implicit-def: $sgpr26_sgpr27
                                        ; implicit-def: $sgpr28_sgpr29
	s_branch .LBB632_413
.LBB632_412:                            ;   in Loop: Header=BB632_413 Depth=1
	s_or_b64 exec, exec, s[30:31]
	s_and_b64 s[0:1], exec, s[24:25]
	s_or_b64 s[20:21], s[0:1], s[20:21]
	s_andn2_b64 s[0:1], s[28:29], exec
	s_and_b64 s[4:5], s[26:27], exec
	s_or_b64 s[28:29], s[0:1], s[4:5]
	s_andn2_b64 s[0:1], s[22:23], exec
	s_and_b64 s[4:5], s[2:3], exec
	s_or_b64 s[22:23], s[0:1], s[4:5]
	s_andn2_b64 exec, exec, s[20:21]
	s_cbranch_execz .LBB632_415
.LBB632_413:                            ; =>This Inner Loop Header: Depth=1
	flat_load_ushort v82, v[70:71]
	flat_load_ushort v83, v[68:69]
	s_andn2_b64 s[30:31], s[2:3], exec
	s_andn2_b64 s[26:27], s[26:27], exec
	s_or_b64 s[24:25], s[24:25], exec
	s_waitcnt vmcnt(0) lgkmcnt(0)
	v_cmp_le_i16_e64 s[2:3], v82, v83
	v_cmp_lt_i16_e64 s[0:1], v82, v83
	s_and_b64 s[2:3], s[2:3], s[28:29]
	s_or_b64 s[34:35], s[0:1], s[2:3]
	s_and_b64 s[0:1], s[34:35], exec
	v_cmp_eq_u16_e64 s[4:5], v82, v83
	s_or_b64 s[2:3], s[30:31], s[0:1]
	s_and_saveexec_b64 s[30:31], s[4:5]
	s_cbranch_execz .LBB632_412
; %bb.414:                              ;   in Loop: Header=BB632_413 Depth=1
	v_lshl_add_u64 v[80:81], v[80:81], 0, -1
	v_cmp_eq_u64_e64 s[0:1], 0, v[80:81]
	s_andn2_b64 s[4:5], s[26:27], exec
	s_and_b64 s[26:27], s[34:35], exec
	s_or_b64 s[26:27], s[4:5], s[26:27]
	s_andn2_b64 s[4:5], s[24:25], exec
	s_and_b64 s[0:1], s[0:1], exec
	v_lshl_add_u64 v[68:69], v[68:69], 0, 2
	v_lshl_add_u64 v[70:71], v[70:71], 0, 2
	s_andn2_b64 s[2:3], s[2:3], exec
	s_or_b64 s[24:25], s[4:5], s[0:1]
                                        ; implicit-def: $sgpr28_sgpr29
	s_branch .LBB632_412
.LBB632_415:
	s_or_b64 exec, exec, s[20:21]
	v_cndmask_b32_e64 v3, v3, v67, s[22:23]
	v_cndmask_b32_e64 v2, v2, v66, s[22:23]
.LBB632_416:
	s_or_b64 exec, exec, s[18:19]
	v_mov_b64_e32 v[66:67], v[2:3]
.LBB632_417:
	s_or_b64 exec, exec, s[16:17]
	v_mov_b64_e32 v[2:3], v[66:67]
.LBB632_418:
	s_or_b64 exec, exec, s[14:15]
.LBB632_419:
	s_or_b64 exec, exec, s[10:11]
	v_and_b32_e32 v101, 0x3c0, v98
	v_or_b32_e32 v66, 32, v101
	v_min_u32_e32 v99, v31, v66
	v_add_u32_e32 v66, 32, v99
	v_min_u32_e32 v100, v31, v66
	v_and_b32_e32 v66, 56, v98
	v_min_u32_e32 v102, v31, v66
	v_sub_u32_e32 v66, v99, v101
	v_sub_u32_e32 v67, v100, v99
	v_sub_u32_e64 v103, v102, v67 clamp
	v_min_u32_e32 v112, v102, v66
	v_cmp_lt_u32_e64 s[0:1], v103, v112
	; wave barrier
	flat_store_dwordx4 v[64:65], v[20:23]
	flat_store_dwordx4 v[64:65], v[16:19] offset:16
	flat_store_dwordx4 v[64:65], v[12:15] offset:32
	;; [unrolled: 1-line block ×3, first 2 shown]
	; wave barrier
	s_and_saveexec_b64 s[10:11], s[0:1]
	s_cbranch_execz .LBB632_429
; %bb.420:
	v_lshlrev_b32_e32 v66, 3, v101
	v_mov_b32_e32 v67, 0
	v_lshl_add_u64 v[68:69], v[54:55], 0, v[66:67]
	v_lshlrev_b32_e32 v66, 3, v99
	v_lshl_add_u64 v[70:71], v[54:55], 0, v[66:67]
	v_lshlrev_b64 v[80:81], 1, v[6:7]
	s_mov_b64 s[14:15], 0
	s_branch .LBB632_423
.LBB632_421:                            ;   in Loop: Header=BB632_423 Depth=1
	s_or_b64 exec, exec, s[18:19]
	s_and_b64 s[0:1], s[20:21], exec
.LBB632_422:                            ;   in Loop: Header=BB632_423 Depth=1
	s_or_b64 exec, exec, s[16:17]
	v_add_u32_e32 v66, 1, v82
	v_cndmask_b32_e64 v112, v112, v82, s[0:1]
	v_cndmask_b32_e64 v103, v66, v103, s[0:1]
	v_cmp_ge_u32_e64 s[0:1], v103, v112
	s_or_b64 s[14:15], s[0:1], s[14:15]
	s_andn2_b64 exec, exec, s[14:15]
	s_cbranch_execz .LBB632_428
.LBB632_423:                            ; =>This Loop Header: Depth=1
                                        ;     Child Loop BB632_426 Depth 2
	v_add_u32_e32 v66, v112, v103
	v_lshrrev_b32_e32 v82, 1, v66
	s_mov_b64 s[0:1], 0
	s_and_saveexec_b64 s[16:17], vcc
	s_cbranch_execz .LBB632_422
; %bb.424:                              ;   in Loop: Header=BB632_423 Depth=1
	v_mov_b32_e32 v83, v67
	v_xad_u32 v66, v82, -1, v102
	v_lshl_add_u64 v[84:85], v[82:83], 3, v[68:69]
	v_lshl_add_u64 v[86:87], v[66:67], 3, v[70:71]
	flat_load_dwordx2 v[84:85], v[84:85]
	s_mov_b64 s[18:19], 0
	flat_load_dwordx2 v[86:87], v[86:87]
                                        ; implicit-def: $sgpr20_sgpr21
                                        ; implicit-def: $sgpr22_sgpr23
                                        ; implicit-def: $sgpr24_sgpr25
                                        ; implicit-def: $sgpr2_sgpr3
                                        ; implicit-def: $sgpr26_sgpr27
	s_waitcnt vmcnt(0) lgkmcnt(0)
	v_mul_lo_u32 v66, v80, v85
	v_mul_lo_u32 v83, v81, v84
	v_mad_u64_u32 v[84:85], s[0:1], v80, v84, v[8:9]
	v_mul_lo_u32 v96, v80, v87
	v_mul_lo_u32 v97, v81, v86
	v_mad_u64_u32 v[86:87], s[0:1], v80, v86, v[8:9]
	v_add3_u32 v85, v83, v85, v66
	v_add3_u32 v87, v97, v87, v96
	v_mov_b64_e32 v[96:97], v[6:7]
	s_branch .LBB632_426
.LBB632_425:                            ;   in Loop: Header=BB632_426 Depth=2
	s_or_b64 exec, exec, s[28:29]
	s_and_b64 s[0:1], exec, s[22:23]
	s_or_b64 s[18:19], s[0:1], s[18:19]
	s_andn2_b64 s[0:1], s[26:27], exec
	s_and_b64 s[4:5], s[24:25], exec
	s_or_b64 s[26:27], s[0:1], s[4:5]
	s_andn2_b64 s[0:1], s[20:21], exec
	s_and_b64 s[4:5], s[2:3], exec
	s_or_b64 s[20:21], s[0:1], s[4:5]
	s_andn2_b64 exec, exec, s[18:19]
	s_cbranch_execz .LBB632_421
.LBB632_426:                            ;   Parent Loop BB632_423 Depth=1
                                        ; =>  This Inner Loop Header: Depth=2
	flat_load_ushort v66, v[86:87]
	flat_load_ushort v83, v[84:85]
	s_andn2_b64 s[28:29], s[2:3], exec
	s_andn2_b64 s[24:25], s[24:25], exec
	s_or_b64 s[22:23], s[22:23], exec
	s_waitcnt vmcnt(0) lgkmcnt(0)
	v_cmp_le_i16_e64 s[2:3], v66, v83
	v_cmp_lt_i16_e64 s[0:1], v66, v83
	s_and_b64 s[2:3], s[2:3], s[26:27]
	s_or_b64 s[30:31], s[0:1], s[2:3]
	s_and_b64 s[0:1], s[30:31], exec
	v_cmp_eq_u16_e64 s[4:5], v66, v83
	s_or_b64 s[2:3], s[28:29], s[0:1]
	s_and_saveexec_b64 s[28:29], s[4:5]
	s_cbranch_execz .LBB632_425
; %bb.427:                              ;   in Loop: Header=BB632_426 Depth=2
	v_lshl_add_u64 v[96:97], v[96:97], 0, -1
	v_cmp_eq_u64_e64 s[0:1], 0, v[96:97]
	s_andn2_b64 s[4:5], s[24:25], exec
	s_and_b64 s[24:25], s[30:31], exec
	s_or_b64 s[24:25], s[4:5], s[24:25]
	s_andn2_b64 s[4:5], s[22:23], exec
	s_and_b64 s[0:1], s[0:1], exec
	v_lshl_add_u64 v[84:85], v[84:85], 0, 2
	v_lshl_add_u64 v[86:87], v[86:87], 0, 2
	s_andn2_b64 s[2:3], s[2:3], exec
	s_or_b64 s[22:23], s[4:5], s[0:1]
                                        ; implicit-def: $sgpr26_sgpr27
	s_branch .LBB632_425
.LBB632_428:
	s_or_b64 exec, exec, s[14:15]
.LBB632_429:
	s_or_b64 exec, exec, s[10:11]
	v_add_u32_e32 v67, v99, v102
	v_add_u32_e32 v66, v103, v101
	v_sub_u32_e32 v68, v67, v103
	v_cmp_le_u32_e64 s[0:1], v66, v99
	v_cmp_le_u32_e64 s[2:3], v68, v100
	s_or_b64 s[0:1], s[0:1], s[2:3]
	s_and_saveexec_b64 s[10:11], s[0:1]
	s_cbranch_execz .LBB632_513
; %bb.430:
	v_cmp_ge_u32_e64 s[0:1], v66, v99
	v_cmp_lt_u32_e64 s[2:3], v66, v99
                                        ; implicit-def: $vgpr0_vgpr1
	s_and_saveexec_b64 s[4:5], s[2:3]
	s_cbranch_execz .LBB632_432
; %bb.431:
	v_mov_b32_e32 v67, 0
	v_lshl_add_u64 v[0:1], v[66:67], 3, v[54:55]
	flat_load_dwordx2 v[0:1], v[0:1]
.LBB632_432:
	s_or_b64 exec, exec, s[4:5]
	v_cmp_ge_u32_e64 s[14:15], v68, v100
	v_cmp_lt_u32_e64 s[2:3], v68, v100
                                        ; implicit-def: $vgpr2_vgpr3
	s_and_saveexec_b64 s[4:5], s[2:3]
	s_cbranch_execz .LBB632_434
; %bb.433:
	v_mov_b32_e32 v69, 0
	v_lshl_add_u64 v[2:3], v[68:69], 3, v[54:55]
	flat_load_dwordx2 v[2:3], v[2:3]
.LBB632_434:
	s_or_b64 exec, exec, s[4:5]
	s_or_b64 s[0:1], s[0:1], s[14:15]
	s_xor_b64 s[0:1], s[0:1], -1
	s_and_saveexec_b64 s[16:17], s[0:1]
	s_cbranch_execz .LBB632_442
; %bb.435:
	s_mov_b64 s[0:1], 0
	s_and_saveexec_b64 s[18:19], vcc
	s_cbranch_execz .LBB632_441
; %bb.436:
	s_waitcnt vmcnt(0) lgkmcnt(0)
	v_mul_lo_u32 v14, v1, v6
	v_mul_lo_u32 v15, v0, v7
	v_mad_u64_u32 v[12:13], s[0:1], v0, v6, 0
	v_add3_u32 v13, v13, v15, v14
	v_mul_lo_u32 v16, v3, v6
	v_mul_lo_u32 v17, v2, v7
	v_mad_u64_u32 v[14:15], s[0:1], v2, v6, 0
	v_add3_u32 v15, v15, v17, v16
	v_lshl_add_u64 v[12:13], v[12:13], 1, v[8:9]
	v_lshl_add_u64 v[14:15], v[14:15], 1, v[8:9]
	s_mov_b64 s[20:21], 0
	v_mov_b64_e32 v[16:17], v[6:7]
                                        ; implicit-def: $sgpr22_sgpr23
                                        ; implicit-def: $sgpr24_sgpr25
                                        ; implicit-def: $sgpr26_sgpr27
                                        ; implicit-def: $sgpr2_sgpr3
                                        ; implicit-def: $sgpr28_sgpr29
	s_branch .LBB632_438
.LBB632_437:                            ;   in Loop: Header=BB632_438 Depth=1
	s_or_b64 exec, exec, s[30:31]
	s_and_b64 s[0:1], exec, s[24:25]
	s_or_b64 s[20:21], s[0:1], s[20:21]
	s_andn2_b64 s[0:1], s[28:29], exec
	s_and_b64 s[4:5], s[26:27], exec
	s_or_b64 s[28:29], s[0:1], s[4:5]
	s_andn2_b64 s[0:1], s[22:23], exec
	s_and_b64 s[4:5], s[2:3], exec
	s_or_b64 s[22:23], s[0:1], s[4:5]
	s_andn2_b64 exec, exec, s[20:21]
	s_cbranch_execz .LBB632_440
.LBB632_438:                            ; =>This Inner Loop Header: Depth=1
	flat_load_ushort v18, v[14:15]
	flat_load_ushort v19, v[12:13]
	s_andn2_b64 s[30:31], s[2:3], exec
	s_andn2_b64 s[26:27], s[26:27], exec
	s_or_b64 s[24:25], s[24:25], exec
	s_waitcnt vmcnt(0) lgkmcnt(0)
	v_cmp_le_i16_e64 s[2:3], v18, v19
	v_cmp_lt_i16_e64 s[0:1], v18, v19
	s_and_b64 s[2:3], s[2:3], s[28:29]
	s_or_b64 s[34:35], s[0:1], s[2:3]
	s_and_b64 s[0:1], s[34:35], exec
	v_cmp_eq_u16_e64 s[4:5], v18, v19
	s_or_b64 s[2:3], s[30:31], s[0:1]
	s_and_saveexec_b64 s[30:31], s[4:5]
	s_cbranch_execz .LBB632_437
; %bb.439:                              ;   in Loop: Header=BB632_438 Depth=1
	v_lshl_add_u64 v[16:17], v[16:17], 0, -1
	v_cmp_eq_u64_e64 s[0:1], 0, v[16:17]
	s_andn2_b64 s[4:5], s[26:27], exec
	s_and_b64 s[26:27], s[34:35], exec
	s_or_b64 s[26:27], s[4:5], s[26:27]
	s_andn2_b64 s[4:5], s[24:25], exec
	s_and_b64 s[0:1], s[0:1], exec
	v_lshl_add_u64 v[12:13], v[12:13], 0, 2
	v_lshl_add_u64 v[14:15], v[14:15], 0, 2
	s_andn2_b64 s[2:3], s[2:3], exec
	s_or_b64 s[24:25], s[4:5], s[0:1]
                                        ; implicit-def: $sgpr28_sgpr29
	s_branch .LBB632_437
.LBB632_440:
	s_or_b64 exec, exec, s[20:21]
	s_and_b64 s[0:1], s[22:23], exec
.LBB632_441:
	s_or_b64 exec, exec, s[18:19]
	s_xor_b64 s[0:1], s[0:1], -1
	s_andn2_b64 s[2:3], s[14:15], exec
	s_and_b64 s[0:1], s[0:1], exec
	s_or_b64 s[14:15], s[2:3], s[0:1]
.LBB632_442:
	s_or_b64 exec, exec, s[16:17]
	v_cndmask_b32_e64 v12, v68, v66, s[14:15]
	v_cndmask_b32_e64 v13, v100, v99, s[14:15]
	v_add_u32_e32 v16, 1, v12
	v_add_u32_e32 v12, -1, v13
	v_min_u32_e32 v12, v16, v12
	v_mov_b32_e32 v13, 0
	v_lshl_add_u64 v[14:15], v[12:13], 3, v[54:55]
	flat_load_dwordx2 v[14:15], v[14:15]
	v_cndmask_b32_e64 v23, v16, v68, s[14:15]
	s_mov_b64 s[16:17], -1
	v_cndmask_b32_e64 v66, v66, v16, s[14:15]
	v_cmp_lt_u32_e64 s[0:1], v23, v100
	s_mov_b64 s[18:19], -1
	s_waitcnt vmcnt(0) lgkmcnt(0)
	v_cndmask_b32_e64 v20, v15, v3, s[14:15]
	v_cndmask_b32_e64 v21, v14, v2, s[14:15]
	;; [unrolled: 1-line block ×4, first 2 shown]
	s_and_saveexec_b64 s[20:21], s[0:1]
	s_cbranch_execz .LBB632_452
; %bb.443:
	v_cmp_lt_u32_e64 s[0:1], v66, v99
	s_mov_b64 s[2:3], 0
	s_and_saveexec_b64 s[18:19], s[0:1]
	s_cbranch_execz .LBB632_451
; %bb.444:
	s_mov_b64 s[0:1], 0
	s_and_saveexec_b64 s[22:23], vcc
	s_cbranch_execz .LBB632_450
; %bb.445:
	v_mul_lo_u32 v12, v22, v6
	v_mul_lo_u32 v16, v68, v7
	v_mad_u64_u32 v[14:15], s[0:1], v68, v6, 0
	v_add3_u32 v15, v15, v16, v12
	v_mul_lo_u32 v12, v20, v6
	v_mul_lo_u32 v18, v21, v7
	v_mad_u64_u32 v[16:17], s[0:1], v21, v6, 0
	v_add3_u32 v17, v17, v18, v12
	v_lshl_add_u64 v[14:15], v[14:15], 1, v[8:9]
	v_lshl_add_u64 v[16:17], v[16:17], 1, v[8:9]
	s_mov_b64 s[24:25], 0
	v_mov_b64_e32 v[18:19], v[6:7]
                                        ; implicit-def: $sgpr26_sgpr27
                                        ; implicit-def: $sgpr28_sgpr29
                                        ; implicit-def: $sgpr30_sgpr31
                                        ; implicit-def: $sgpr2_sgpr3
                                        ; implicit-def: $sgpr34_sgpr35
	s_branch .LBB632_447
.LBB632_446:                            ;   in Loop: Header=BB632_447 Depth=1
	s_or_b64 exec, exec, s[36:37]
	s_and_b64 s[0:1], exec, s[28:29]
	s_or_b64 s[24:25], s[0:1], s[24:25]
	s_andn2_b64 s[0:1], s[34:35], exec
	s_and_b64 s[4:5], s[30:31], exec
	s_or_b64 s[34:35], s[0:1], s[4:5]
	s_andn2_b64 s[0:1], s[26:27], exec
	s_and_b64 s[4:5], s[2:3], exec
	s_or_b64 s[26:27], s[0:1], s[4:5]
	s_andn2_b64 exec, exec, s[24:25]
	s_cbranch_execz .LBB632_449
.LBB632_447:                            ; =>This Inner Loop Header: Depth=1
	flat_load_ushort v12, v[16:17]
	flat_load_ushort v67, v[14:15]
	s_andn2_b64 s[36:37], s[2:3], exec
	s_andn2_b64 s[30:31], s[30:31], exec
	s_or_b64 s[28:29], s[28:29], exec
	s_waitcnt vmcnt(0) lgkmcnt(0)
	v_cmp_le_i16_e64 s[2:3], v12, v67
	v_cmp_lt_i16_e64 s[0:1], v12, v67
	s_and_b64 s[2:3], s[2:3], s[34:35]
	s_or_b64 s[38:39], s[0:1], s[2:3]
	s_and_b64 s[0:1], s[38:39], exec
	v_cmp_eq_u16_e64 s[4:5], v12, v67
	s_or_b64 s[2:3], s[36:37], s[0:1]
	s_and_saveexec_b64 s[36:37], s[4:5]
	s_cbranch_execz .LBB632_446
; %bb.448:                              ;   in Loop: Header=BB632_447 Depth=1
	v_lshl_add_u64 v[18:19], v[18:19], 0, -1
	v_cmp_eq_u64_e64 s[0:1], 0, v[18:19]
	s_andn2_b64 s[4:5], s[30:31], exec
	s_and_b64 s[30:31], s[38:39], exec
	s_or_b64 s[30:31], s[4:5], s[30:31]
	s_andn2_b64 s[4:5], s[28:29], exec
	s_and_b64 s[0:1], s[0:1], exec
	v_lshl_add_u64 v[14:15], v[14:15], 0, 2
	v_lshl_add_u64 v[16:17], v[16:17], 0, 2
	s_andn2_b64 s[2:3], s[2:3], exec
	s_or_b64 s[28:29], s[4:5], s[0:1]
                                        ; implicit-def: $sgpr34_sgpr35
	s_branch .LBB632_446
.LBB632_449:
	s_or_b64 exec, exec, s[24:25]
	s_and_b64 s[0:1], s[26:27], exec
.LBB632_450:
	s_or_b64 exec, exec, s[22:23]
	s_xor_b64 s[0:1], s[0:1], -1
	s_and_b64 s[2:3], s[0:1], exec
.LBB632_451:
	s_or_b64 exec, exec, s[18:19]
	s_orn2_b64 s[18:19], s[2:3], exec
.LBB632_452:
	s_or_b64 exec, exec, s[20:21]
	v_cndmask_b32_e64 v12, v23, v66, s[18:19]
	v_cndmask_b32_e64 v14, v100, v99, s[18:19]
	v_add_u32_e32 v15, 1, v12
	v_add_u32_e32 v12, -1, v14
	v_min_u32_e32 v12, v15, v12
	v_lshl_add_u64 v[12:13], v[12:13], 3, v[54:55]
	flat_load_dwordx2 v[12:13], v[12:13]
	v_cndmask_b32_e64 v18, v15, v23, s[18:19]
	v_cndmask_b32_e64 v19, v66, v15, s[18:19]
	v_cmp_lt_u32_e64 s[0:1], v18, v100
	s_waitcnt vmcnt(0) lgkmcnt(0)
	v_cndmask_b32_e64 v23, v13, v20, s[18:19]
	v_cndmask_b32_e64 v69, v12, v21, s[18:19]
	;; [unrolled: 1-line block ×4, first 2 shown]
	s_and_saveexec_b64 s[20:21], s[0:1]
	s_cbranch_execz .LBB632_462
; %bb.453:
	v_cmp_lt_u32_e64 s[0:1], v19, v99
	s_mov_b64 s[2:3], 0
	s_and_saveexec_b64 s[16:17], s[0:1]
	s_cbranch_execz .LBB632_461
; %bb.454:
	s_mov_b64 s[0:1], 0
	s_and_saveexec_b64 s[22:23], vcc
	s_cbranch_execz .LBB632_460
; %bb.455:
	v_mul_lo_u32 v14, v70, v6
	v_mul_lo_u32 v15, v71, v7
	v_mad_u64_u32 v[12:13], s[0:1], v71, v6, 0
	v_add3_u32 v13, v13, v15, v14
	v_mul_lo_u32 v16, v23, v6
	v_mul_lo_u32 v17, v69, v7
	v_mad_u64_u32 v[14:15], s[0:1], v69, v6, 0
	v_add3_u32 v15, v15, v17, v16
	v_lshl_add_u64 v[12:13], v[12:13], 1, v[8:9]
	v_lshl_add_u64 v[14:15], v[14:15], 1, v[8:9]
	s_mov_b64 s[24:25], 0
	v_mov_b64_e32 v[16:17], v[6:7]
                                        ; implicit-def: $sgpr26_sgpr27
                                        ; implicit-def: $sgpr28_sgpr29
                                        ; implicit-def: $sgpr30_sgpr31
                                        ; implicit-def: $sgpr2_sgpr3
                                        ; implicit-def: $sgpr34_sgpr35
	s_branch .LBB632_457
.LBB632_456:                            ;   in Loop: Header=BB632_457 Depth=1
	s_or_b64 exec, exec, s[36:37]
	s_and_b64 s[0:1], exec, s[28:29]
	s_or_b64 s[24:25], s[0:1], s[24:25]
	s_andn2_b64 s[0:1], s[34:35], exec
	s_and_b64 s[4:5], s[30:31], exec
	s_or_b64 s[34:35], s[0:1], s[4:5]
	s_andn2_b64 s[0:1], s[26:27], exec
	s_and_b64 s[4:5], s[2:3], exec
	s_or_b64 s[26:27], s[0:1], s[4:5]
	s_andn2_b64 exec, exec, s[24:25]
	s_cbranch_execz .LBB632_459
.LBB632_457:                            ; =>This Inner Loop Header: Depth=1
	flat_load_ushort v66, v[14:15]
	flat_load_ushort v67, v[12:13]
	s_andn2_b64 s[36:37], s[2:3], exec
	s_andn2_b64 s[30:31], s[30:31], exec
	s_or_b64 s[28:29], s[28:29], exec
	s_waitcnt vmcnt(0) lgkmcnt(0)
	v_cmp_le_i16_e64 s[2:3], v66, v67
	v_cmp_lt_i16_e64 s[0:1], v66, v67
	s_and_b64 s[2:3], s[2:3], s[34:35]
	s_or_b64 s[38:39], s[0:1], s[2:3]
	s_and_b64 s[0:1], s[38:39], exec
	v_cmp_eq_u16_e64 s[4:5], v66, v67
	s_or_b64 s[2:3], s[36:37], s[0:1]
	s_and_saveexec_b64 s[36:37], s[4:5]
	s_cbranch_execz .LBB632_456
; %bb.458:                              ;   in Loop: Header=BB632_457 Depth=1
	v_lshl_add_u64 v[16:17], v[16:17], 0, -1
	v_cmp_eq_u64_e64 s[0:1], 0, v[16:17]
	s_andn2_b64 s[4:5], s[30:31], exec
	s_and_b64 s[30:31], s[38:39], exec
	s_or_b64 s[30:31], s[4:5], s[30:31]
	s_andn2_b64 s[4:5], s[28:29], exec
	s_and_b64 s[0:1], s[0:1], exec
	v_lshl_add_u64 v[12:13], v[12:13], 0, 2
	v_lshl_add_u64 v[14:15], v[14:15], 0, 2
	s_andn2_b64 s[2:3], s[2:3], exec
	s_or_b64 s[28:29], s[4:5], s[0:1]
                                        ; implicit-def: $sgpr34_sgpr35
	s_branch .LBB632_456
.LBB632_459:
	s_or_b64 exec, exec, s[24:25]
	s_and_b64 s[0:1], s[26:27], exec
.LBB632_460:
	s_or_b64 exec, exec, s[22:23]
	s_xor_b64 s[0:1], s[0:1], -1
	s_and_b64 s[2:3], s[0:1], exec
.LBB632_461:
	s_or_b64 exec, exec, s[16:17]
	s_orn2_b64 s[16:17], s[2:3], exec
.LBB632_462:
	s_or_b64 exec, exec, s[20:21]
	v_cndmask_b32_e64 v12, v18, v19, s[16:17]
	v_cndmask_b32_e64 v13, v100, v99, s[16:17]
	v_add_u32_e32 v16, 1, v12
	v_add_u32_e32 v12, -1, v13
	v_min_u32_e32 v12, v16, v12
	v_mov_b32_e32 v13, 0
	v_lshl_add_u64 v[14:15], v[12:13], 3, v[54:55]
	flat_load_dwordx2 v[14:15], v[14:15]
	v_cndmask_b32_e64 v66, v16, v18, s[16:17]
	s_mov_b64 s[20:21], -1
	v_cndmask_b32_e64 v67, v19, v16, s[16:17]
	v_cmp_lt_u32_e64 s[0:1], v66, v100
	s_mov_b64 s[22:23], -1
	s_waitcnt vmcnt(0) lgkmcnt(0)
	v_cndmask_b32_e64 v80, v15, v23, s[16:17]
	v_cndmask_b32_e64 v81, v14, v69, s[16:17]
	;; [unrolled: 1-line block ×4, first 2 shown]
	s_and_saveexec_b64 s[24:25], s[0:1]
	s_cbranch_execz .LBB632_472
; %bb.463:
	v_cmp_lt_u32_e64 s[0:1], v67, v99
	s_mov_b64 s[2:3], 0
	s_and_saveexec_b64 s[22:23], s[0:1]
	s_cbranch_execz .LBB632_471
; %bb.464:
	s_mov_b64 s[0:1], -1
	s_and_saveexec_b64 s[26:27], vcc
	s_cbranch_execz .LBB632_470
; %bb.465:
	v_mul_lo_u32 v12, v82, v6
	v_mul_lo_u32 v16, v83, v7
	v_mad_u64_u32 v[14:15], s[0:1], v83, v6, 0
	v_add3_u32 v15, v15, v16, v12
	v_mul_lo_u32 v12, v80, v6
	v_mul_lo_u32 v18, v81, v7
	v_mad_u64_u32 v[16:17], s[0:1], v81, v6, 0
	v_add3_u32 v17, v17, v18, v12
	v_lshl_add_u64 v[14:15], v[14:15], 1, v[8:9]
	v_lshl_add_u64 v[16:17], v[16:17], 1, v[8:9]
	s_mov_b64 s[28:29], 0
	v_mov_b64_e32 v[18:19], v[6:7]
                                        ; implicit-def: $sgpr30_sgpr31
                                        ; implicit-def: $sgpr34_sgpr35
                                        ; implicit-def: $sgpr2_sgpr3
                                        ; implicit-def: $sgpr36_sgpr37
                                        ; implicit-def: $sgpr38_sgpr39
	s_branch .LBB632_467
.LBB632_466:                            ;   in Loop: Header=BB632_467 Depth=1
	s_or_b64 exec, exec, s[40:41]
	s_and_b64 s[0:1], exec, s[34:35]
	s_or_b64 s[28:29], s[0:1], s[28:29]
	s_andn2_b64 s[0:1], s[38:39], exec
	s_and_b64 s[4:5], s[36:37], exec
	s_or_b64 s[38:39], s[0:1], s[4:5]
	s_andn2_b64 s[0:1], s[30:31], exec
	s_and_b64 s[4:5], s[2:3], exec
	s_or_b64 s[30:31], s[0:1], s[4:5]
	s_andn2_b64 exec, exec, s[28:29]
	s_cbranch_execz .LBB632_469
.LBB632_467:                            ; =>This Inner Loop Header: Depth=1
	flat_load_ushort v12, v[16:17]
	flat_load_ushort v84, v[14:15]
	s_andn2_b64 s[40:41], s[2:3], exec
	s_andn2_b64 s[36:37], s[36:37], exec
	s_or_b64 s[34:35], s[34:35], exec
	s_waitcnt vmcnt(0) lgkmcnt(0)
	v_cmp_le_i16_e64 s[2:3], v12, v84
	v_cmp_lt_i16_e64 s[0:1], v12, v84
	s_and_b64 s[2:3], s[2:3], s[38:39]
	s_or_b64 s[42:43], s[0:1], s[2:3]
	s_and_b64 s[0:1], s[42:43], exec
	v_cmp_eq_u16_e64 s[4:5], v12, v84
	s_or_b64 s[2:3], s[40:41], s[0:1]
	s_and_saveexec_b64 s[40:41], s[4:5]
	s_cbranch_execz .LBB632_466
; %bb.468:                              ;   in Loop: Header=BB632_467 Depth=1
	v_lshl_add_u64 v[18:19], v[18:19], 0, -1
	v_cmp_eq_u64_e64 s[0:1], 0, v[18:19]
	s_andn2_b64 s[4:5], s[36:37], exec
	s_and_b64 s[36:37], s[42:43], exec
	s_or_b64 s[36:37], s[4:5], s[36:37]
	s_andn2_b64 s[4:5], s[34:35], exec
	s_and_b64 s[0:1], s[0:1], exec
	v_lshl_add_u64 v[14:15], v[14:15], 0, 2
	v_lshl_add_u64 v[16:17], v[16:17], 0, 2
	s_andn2_b64 s[2:3], s[2:3], exec
	s_or_b64 s[34:35], s[4:5], s[0:1]
                                        ; implicit-def: $sgpr38_sgpr39
	s_branch .LBB632_466
.LBB632_469:
	s_or_b64 exec, exec, s[28:29]
	s_xor_b64 s[0:1], s[30:31], -1
	s_orn2_b64 s[0:1], s[0:1], exec
.LBB632_470:
	s_or_b64 exec, exec, s[26:27]
	s_and_b64 s[2:3], s[0:1], exec
.LBB632_471:
	s_or_b64 exec, exec, s[22:23]
	s_orn2_b64 s[22:23], s[2:3], exec
.LBB632_472:
	s_or_b64 exec, exec, s[24:25]
	v_cndmask_b32_e64 v12, v66, v67, s[22:23]
	v_cndmask_b32_e64 v14, v100, v99, s[22:23]
	v_add_u32_e32 v15, 1, v12
	v_add_u32_e32 v12, -1, v14
	v_min_u32_e32 v12, v15, v12
	v_lshl_add_u64 v[12:13], v[12:13], 3, v[54:55]
	flat_load_dwordx2 v[12:13], v[12:13]
	v_cndmask_b32_e64 v18, v15, v66, s[22:23]
	v_cndmask_b32_e64 v19, v67, v15, s[22:23]
	v_cmp_lt_u32_e64 s[0:1], v18, v100
	s_waitcnt vmcnt(0) lgkmcnt(0)
	v_cndmask_b32_e64 v84, v13, v80, s[22:23]
	v_cndmask_b32_e64 v85, v12, v81, s[22:23]
	;; [unrolled: 1-line block ×4, first 2 shown]
	s_and_saveexec_b64 s[24:25], s[0:1]
	s_cbranch_execz .LBB632_482
; %bb.473:
	v_cmp_lt_u32_e64 s[0:1], v19, v99
	s_mov_b64 s[2:3], 0
	s_and_saveexec_b64 s[20:21], s[0:1]
	s_cbranch_execz .LBB632_481
; %bb.474:
	s_mov_b64 s[0:1], -1
	s_and_saveexec_b64 s[26:27], vcc
	s_cbranch_execz .LBB632_480
; %bb.475:
	v_mul_lo_u32 v14, v86, v6
	v_mul_lo_u32 v15, v87, v7
	v_mad_u64_u32 v[12:13], s[0:1], v87, v6, 0
	v_add3_u32 v13, v13, v15, v14
	v_mul_lo_u32 v16, v84, v6
	v_mul_lo_u32 v17, v85, v7
	v_mad_u64_u32 v[14:15], s[0:1], v85, v6, 0
	v_add3_u32 v15, v15, v17, v16
	v_lshl_add_u64 v[12:13], v[12:13], 1, v[8:9]
	v_lshl_add_u64 v[14:15], v[14:15], 1, v[8:9]
	s_mov_b64 s[28:29], 0
	v_mov_b64_e32 v[16:17], v[6:7]
                                        ; implicit-def: $sgpr30_sgpr31
                                        ; implicit-def: $sgpr34_sgpr35
                                        ; implicit-def: $sgpr2_sgpr3
                                        ; implicit-def: $sgpr36_sgpr37
                                        ; implicit-def: $sgpr38_sgpr39
	s_branch .LBB632_477
.LBB632_476:                            ;   in Loop: Header=BB632_477 Depth=1
	s_or_b64 exec, exec, s[40:41]
	s_and_b64 s[0:1], exec, s[34:35]
	s_or_b64 s[28:29], s[0:1], s[28:29]
	s_andn2_b64 s[0:1], s[38:39], exec
	s_and_b64 s[4:5], s[36:37], exec
	s_or_b64 s[38:39], s[0:1], s[4:5]
	s_andn2_b64 s[0:1], s[30:31], exec
	s_and_b64 s[4:5], s[2:3], exec
	s_or_b64 s[30:31], s[0:1], s[4:5]
	s_andn2_b64 exec, exec, s[28:29]
	s_cbranch_execz .LBB632_479
.LBB632_477:                            ; =>This Inner Loop Header: Depth=1
	flat_load_ushort v66, v[14:15]
	flat_load_ushort v67, v[12:13]
	s_andn2_b64 s[40:41], s[2:3], exec
	s_andn2_b64 s[36:37], s[36:37], exec
	s_or_b64 s[34:35], s[34:35], exec
	s_waitcnt vmcnt(0) lgkmcnt(0)
	v_cmp_le_i16_e64 s[2:3], v66, v67
	v_cmp_lt_i16_e64 s[0:1], v66, v67
	s_and_b64 s[2:3], s[2:3], s[38:39]
	s_or_b64 s[42:43], s[0:1], s[2:3]
	s_and_b64 s[0:1], s[42:43], exec
	v_cmp_eq_u16_e64 s[4:5], v66, v67
	s_or_b64 s[2:3], s[40:41], s[0:1]
	s_and_saveexec_b64 s[40:41], s[4:5]
	s_cbranch_execz .LBB632_476
; %bb.478:                              ;   in Loop: Header=BB632_477 Depth=1
	v_lshl_add_u64 v[16:17], v[16:17], 0, -1
	v_cmp_eq_u64_e64 s[0:1], 0, v[16:17]
	s_andn2_b64 s[4:5], s[36:37], exec
	s_and_b64 s[36:37], s[42:43], exec
	s_or_b64 s[36:37], s[4:5], s[36:37]
	s_andn2_b64 s[4:5], s[34:35], exec
	s_and_b64 s[0:1], s[0:1], exec
	v_lshl_add_u64 v[12:13], v[12:13], 0, 2
	v_lshl_add_u64 v[14:15], v[14:15], 0, 2
	s_andn2_b64 s[2:3], s[2:3], exec
	s_or_b64 s[34:35], s[4:5], s[0:1]
                                        ; implicit-def: $sgpr38_sgpr39
	s_branch .LBB632_476
.LBB632_479:
	s_or_b64 exec, exec, s[28:29]
	s_xor_b64 s[0:1], s[30:31], -1
	s_orn2_b64 s[0:1], s[0:1], exec
.LBB632_480:
	s_or_b64 exec, exec, s[26:27]
	s_and_b64 s[2:3], s[0:1], exec
.LBB632_481:
	s_or_b64 exec, exec, s[20:21]
	s_orn2_b64 s[20:21], s[2:3], exec
.LBB632_482:
	s_or_b64 exec, exec, s[24:25]
	v_cndmask_b32_e64 v12, v18, v19, s[20:21]
	v_cndmask_b32_e64 v13, v100, v99, s[20:21]
	v_add_u32_e32 v16, 1, v12
	v_add_u32_e32 v12, -1, v13
	v_min_u32_e32 v12, v16, v12
	v_mov_b32_e32 v13, 0
	v_lshl_add_u64 v[14:15], v[12:13], 3, v[54:55]
	flat_load_dwordx2 v[14:15], v[14:15]
	v_cndmask_b32_e64 v66, v16, v18, s[20:21]
	s_mov_b64 s[24:25], -1
	v_cndmask_b32_e64 v67, v19, v16, s[20:21]
	v_cmp_lt_u32_e64 s[0:1], v66, v100
	s_mov_b64 s[26:27], -1
	s_waitcnt vmcnt(0) lgkmcnt(0)
	v_cndmask_b32_e64 v96, v15, v84, s[20:21]
	v_cndmask_b32_e64 v97, v14, v85, s[20:21]
	;; [unrolled: 1-line block ×4, first 2 shown]
	s_and_saveexec_b64 s[28:29], s[0:1]
	s_cbranch_execz .LBB632_492
; %bb.483:
	v_cmp_lt_u32_e64 s[0:1], v67, v99
	s_mov_b64 s[2:3], 0
	s_and_saveexec_b64 s[26:27], s[0:1]
	s_cbranch_execz .LBB632_491
; %bb.484:
	s_mov_b64 s[0:1], -1
	s_and_saveexec_b64 s[30:31], vcc
	s_cbranch_execz .LBB632_490
; %bb.485:
	v_mul_lo_u32 v12, v101, v6
	v_mul_lo_u32 v16, v102, v7
	v_mad_u64_u32 v[14:15], s[0:1], v102, v6, 0
	v_add3_u32 v15, v15, v16, v12
	v_mul_lo_u32 v12, v96, v6
	v_mul_lo_u32 v18, v97, v7
	v_mad_u64_u32 v[16:17], s[0:1], v97, v6, 0
	v_add3_u32 v17, v17, v18, v12
	v_lshl_add_u64 v[14:15], v[14:15], 1, v[8:9]
	v_lshl_add_u64 v[16:17], v[16:17], 1, v[8:9]
	s_mov_b64 s[34:35], 0
	v_mov_b64_e32 v[18:19], v[6:7]
                                        ; implicit-def: $sgpr36_sgpr37
                                        ; implicit-def: $sgpr38_sgpr39
                                        ; implicit-def: $sgpr2_sgpr3
                                        ; implicit-def: $sgpr40_sgpr41
                                        ; implicit-def: $sgpr42_sgpr43
	s_branch .LBB632_487
.LBB632_486:                            ;   in Loop: Header=BB632_487 Depth=1
	s_or_b64 exec, exec, s[44:45]
	s_and_b64 s[0:1], exec, s[38:39]
	s_or_b64 s[34:35], s[0:1], s[34:35]
	s_andn2_b64 s[0:1], s[42:43], exec
	s_and_b64 s[4:5], s[40:41], exec
	s_or_b64 s[42:43], s[0:1], s[4:5]
	s_andn2_b64 s[0:1], s[36:37], exec
	s_and_b64 s[4:5], s[2:3], exec
	s_or_b64 s[36:37], s[0:1], s[4:5]
	s_andn2_b64 exec, exec, s[34:35]
	s_cbranch_execz .LBB632_489
.LBB632_487:                            ; =>This Inner Loop Header: Depth=1
	flat_load_ushort v12, v[16:17]
	flat_load_ushort v103, v[14:15]
	s_andn2_b64 s[44:45], s[2:3], exec
	s_andn2_b64 s[40:41], s[40:41], exec
	s_or_b64 s[38:39], s[38:39], exec
	s_waitcnt vmcnt(0) lgkmcnt(0)
	v_cmp_le_i16_e64 s[2:3], v12, v103
	v_cmp_lt_i16_e64 s[0:1], v12, v103
	s_and_b64 s[2:3], s[2:3], s[42:43]
	s_or_b64 s[46:47], s[0:1], s[2:3]
	s_and_b64 s[0:1], s[46:47], exec
	v_cmp_eq_u16_e64 s[4:5], v12, v103
	s_or_b64 s[2:3], s[44:45], s[0:1]
	s_and_saveexec_b64 s[44:45], s[4:5]
	s_cbranch_execz .LBB632_486
; %bb.488:                              ;   in Loop: Header=BB632_487 Depth=1
	v_lshl_add_u64 v[18:19], v[18:19], 0, -1
	v_cmp_eq_u64_e64 s[0:1], 0, v[18:19]
	s_andn2_b64 s[4:5], s[40:41], exec
	s_and_b64 s[40:41], s[46:47], exec
	s_or_b64 s[40:41], s[4:5], s[40:41]
	s_andn2_b64 s[4:5], s[38:39], exec
	s_and_b64 s[0:1], s[0:1], exec
	v_lshl_add_u64 v[14:15], v[14:15], 0, 2
	v_lshl_add_u64 v[16:17], v[16:17], 0, 2
	s_andn2_b64 s[2:3], s[2:3], exec
	s_or_b64 s[38:39], s[4:5], s[0:1]
                                        ; implicit-def: $sgpr42_sgpr43
	s_branch .LBB632_486
.LBB632_489:
	s_or_b64 exec, exec, s[34:35]
	s_xor_b64 s[0:1], s[36:37], -1
	s_orn2_b64 s[0:1], s[0:1], exec
.LBB632_490:
	s_or_b64 exec, exec, s[30:31]
	s_and_b64 s[2:3], s[0:1], exec
.LBB632_491:
	s_or_b64 exec, exec, s[26:27]
	s_orn2_b64 s[26:27], s[2:3], exec
.LBB632_492:
	s_or_b64 exec, exec, s[28:29]
	v_cndmask_b32_e64 v12, v66, v67, s[26:27]
	v_cndmask_b32_e64 v14, v100, v99, s[26:27]
	v_add_u32_e32 v15, 1, v12
	v_add_u32_e32 v12, -1, v14
	v_min_u32_e32 v12, v15, v12
	v_lshl_add_u64 v[12:13], v[12:13], 3, v[54:55]
	flat_load_dwordx2 v[12:13], v[12:13]
	v_cndmask_b32_e64 v114, v15, v66, s[26:27]
	v_cndmask_b32_e64 v103, v67, v15, s[26:27]
	v_cmp_lt_u32_e64 s[0:1], v114, v100
	s_waitcnt vmcnt(0) lgkmcnt(0)
	v_cndmask_b32_e64 v112, v13, v96, s[26:27]
	v_cndmask_b32_e64 v113, v12, v97, s[26:27]
	;; [unrolled: 1-line block ×4, first 2 shown]
	s_and_saveexec_b64 s[28:29], s[0:1]
	s_cbranch_execz .LBB632_502
; %bb.493:
	v_cmp_lt_u32_e64 s[0:1], v103, v99
	s_mov_b64 s[2:3], 0
	s_and_saveexec_b64 s[24:25], s[0:1]
	s_cbranch_execz .LBB632_501
; %bb.494:
	s_mov_b64 s[0:1], -1
	s_and_saveexec_b64 s[30:31], vcc
	s_cbranch_execz .LBB632_500
; %bb.495:
	v_mul_lo_u32 v14, v115, v6
	v_mul_lo_u32 v15, v116, v7
	v_mad_u64_u32 v[12:13], s[0:1], v116, v6, 0
	v_add3_u32 v13, v13, v15, v14
	v_mul_lo_u32 v16, v112, v6
	v_mul_lo_u32 v17, v113, v7
	v_mad_u64_u32 v[14:15], s[0:1], v113, v6, 0
	v_add3_u32 v15, v15, v17, v16
	v_lshl_add_u64 v[12:13], v[12:13], 1, v[8:9]
	v_lshl_add_u64 v[14:15], v[14:15], 1, v[8:9]
	s_mov_b64 s[34:35], 0
	v_mov_b64_e32 v[16:17], v[6:7]
                                        ; implicit-def: $sgpr36_sgpr37
                                        ; implicit-def: $sgpr38_sgpr39
                                        ; implicit-def: $sgpr2_sgpr3
                                        ; implicit-def: $sgpr40_sgpr41
                                        ; implicit-def: $sgpr42_sgpr43
	s_branch .LBB632_497
.LBB632_496:                            ;   in Loop: Header=BB632_497 Depth=1
	s_or_b64 exec, exec, s[44:45]
	s_and_b64 s[0:1], exec, s[38:39]
	s_or_b64 s[34:35], s[0:1], s[34:35]
	s_andn2_b64 s[0:1], s[42:43], exec
	s_and_b64 s[4:5], s[40:41], exec
	s_or_b64 s[42:43], s[0:1], s[4:5]
	s_andn2_b64 s[0:1], s[36:37], exec
	s_and_b64 s[4:5], s[2:3], exec
	s_or_b64 s[36:37], s[0:1], s[4:5]
	s_andn2_b64 exec, exec, s[34:35]
	s_cbranch_execz .LBB632_499
.LBB632_497:                            ; =>This Inner Loop Header: Depth=1
	flat_load_ushort v18, v[14:15]
	flat_load_ushort v19, v[12:13]
	s_andn2_b64 s[44:45], s[2:3], exec
	s_andn2_b64 s[40:41], s[40:41], exec
	s_or_b64 s[38:39], s[38:39], exec
	s_waitcnt vmcnt(0) lgkmcnt(0)
	v_cmp_le_i16_e64 s[2:3], v18, v19
	v_cmp_lt_i16_e64 s[0:1], v18, v19
	s_and_b64 s[2:3], s[2:3], s[42:43]
	s_or_b64 s[46:47], s[0:1], s[2:3]
	s_and_b64 s[0:1], s[46:47], exec
	v_cmp_eq_u16_e64 s[4:5], v18, v19
	s_or_b64 s[2:3], s[44:45], s[0:1]
	s_and_saveexec_b64 s[44:45], s[4:5]
	s_cbranch_execz .LBB632_496
; %bb.498:                              ;   in Loop: Header=BB632_497 Depth=1
	v_lshl_add_u64 v[16:17], v[16:17], 0, -1
	v_cmp_eq_u64_e64 s[0:1], 0, v[16:17]
	s_andn2_b64 s[4:5], s[40:41], exec
	s_and_b64 s[40:41], s[46:47], exec
	s_or_b64 s[40:41], s[4:5], s[40:41]
	s_andn2_b64 s[4:5], s[38:39], exec
	s_and_b64 s[0:1], s[0:1], exec
	v_lshl_add_u64 v[12:13], v[12:13], 0, 2
	v_lshl_add_u64 v[14:15], v[14:15], 0, 2
	s_andn2_b64 s[2:3], s[2:3], exec
	s_or_b64 s[38:39], s[4:5], s[0:1]
                                        ; implicit-def: $sgpr42_sgpr43
	s_branch .LBB632_496
.LBB632_499:
	s_or_b64 exec, exec, s[34:35]
	s_xor_b64 s[0:1], s[36:37], -1
	s_orn2_b64 s[0:1], s[0:1], exec
.LBB632_500:
	s_or_b64 exec, exec, s[30:31]
	s_and_b64 s[2:3], s[0:1], exec
.LBB632_501:
	s_or_b64 exec, exec, s[24:25]
	s_orn2_b64 s[24:25], s[2:3], exec
.LBB632_502:
	s_or_b64 exec, exec, s[28:29]
	v_cndmask_b32_e64 v12, v114, v103, s[24:25]
	v_cndmask_b32_e64 v13, v100, v99, s[24:25]
	v_add_u32_e32 v117, 1, v12
	v_add_u32_e32 v12, -1, v13
	v_min_u32_e32 v12, v117, v12
	v_mov_b32_e32 v13, 0
	v_lshl_add_u64 v[12:13], v[12:13], 3, v[54:55]
	flat_load_dwordx2 v[66:67], v[12:13]
	v_cndmask_b32_e64 v17, v23, v70, s[16:17]
	v_cndmask_b32_e64 v23, v20, v22, s[18:19]
	v_cndmask_b32_e64 v22, v21, v68, s[18:19]
	v_cndmask_b32_e64 v68, v117, v114, s[24:25]
	v_cndmask_b32_e64 v15, v96, v101, s[26:27]
	v_cndmask_b32_e64 v14, v97, v102, s[26:27]
	v_cndmask_b32_e64 v13, v84, v86, s[20:21]
	v_cndmask_b32_e64 v12, v85, v87, s[20:21]
	v_cndmask_b32_e64 v19, v80, v82, s[22:23]
	v_cndmask_b32_e64 v18, v81, v83, s[22:23]
	v_cndmask_b32_e64 v16, v69, v71, s[16:17]
	v_cndmask_b32_e64 v21, v3, v1, s[14:15]
	v_cndmask_b32_e64 v20, v2, v0, s[14:15]
	v_cndmask_b32_e64 v1, v112, v115, s[24:25]
	v_cndmask_b32_e64 v0, v113, v116, s[24:25]
	v_cmp_lt_u32_e64 s[0:1], v68, v100
	s_waitcnt vmcnt(0) lgkmcnt(0)
	v_cndmask_b32_e64 v3, v115, v67, s[24:25]
	v_cndmask_b32_e64 v2, v116, v66, s[24:25]
	s_and_saveexec_b64 s[14:15], s[0:1]
	s_cbranch_execz .LBB632_512
; %bb.503:
	v_cndmask_b32_e64 v68, v103, v117, s[24:25]
	v_cndmask_b32_e64 v67, v67, v112, s[24:25]
	;; [unrolled: 1-line block ×3, first 2 shown]
	v_cmp_lt_u32_e64 s[0:1], v68, v99
	s_and_saveexec_b64 s[16:17], s[0:1]
	s_cbranch_execz .LBB632_511
; %bb.504:
	s_and_saveexec_b64 s[18:19], vcc
	s_cbranch_execz .LBB632_510
; %bb.505:
	v_mul_lo_u32 v70, v3, v6
	v_mul_lo_u32 v71, v2, v7
	v_mad_u64_u32 v[68:69], s[0:1], v2, v6, 0
	v_add3_u32 v69, v69, v71, v70
	v_mul_lo_u32 v80, v67, v6
	v_mul_lo_u32 v81, v66, v7
	v_mad_u64_u32 v[70:71], s[0:1], v66, v6, 0
	v_add3_u32 v71, v71, v81, v80
	v_lshl_add_u64 v[68:69], v[68:69], 1, v[8:9]
	v_lshl_add_u64 v[70:71], v[70:71], 1, v[8:9]
	s_mov_b64 s[20:21], 0
	v_mov_b64_e32 v[80:81], v[6:7]
                                        ; implicit-def: $sgpr22_sgpr23
                                        ; implicit-def: $sgpr24_sgpr25
                                        ; implicit-def: $sgpr2_sgpr3
                                        ; implicit-def: $sgpr26_sgpr27
                                        ; implicit-def: $sgpr28_sgpr29
	s_branch .LBB632_507
.LBB632_506:                            ;   in Loop: Header=BB632_507 Depth=1
	s_or_b64 exec, exec, s[30:31]
	s_and_b64 s[0:1], exec, s[24:25]
	s_or_b64 s[20:21], s[0:1], s[20:21]
	s_andn2_b64 s[0:1], s[28:29], exec
	s_and_b64 s[4:5], s[26:27], exec
	s_or_b64 s[28:29], s[0:1], s[4:5]
	s_andn2_b64 s[0:1], s[22:23], exec
	s_and_b64 s[4:5], s[2:3], exec
	s_or_b64 s[22:23], s[0:1], s[4:5]
	s_andn2_b64 exec, exec, s[20:21]
	s_cbranch_execz .LBB632_509
.LBB632_507:                            ; =>This Inner Loop Header: Depth=1
	flat_load_ushort v82, v[70:71]
	flat_load_ushort v83, v[68:69]
	s_andn2_b64 s[30:31], s[2:3], exec
	s_andn2_b64 s[26:27], s[26:27], exec
	s_or_b64 s[24:25], s[24:25], exec
	s_waitcnt vmcnt(0) lgkmcnt(0)
	v_cmp_le_i16_e64 s[2:3], v82, v83
	v_cmp_lt_i16_e64 s[0:1], v82, v83
	s_and_b64 s[2:3], s[2:3], s[28:29]
	s_or_b64 s[34:35], s[0:1], s[2:3]
	s_and_b64 s[0:1], s[34:35], exec
	v_cmp_eq_u16_e64 s[4:5], v82, v83
	s_or_b64 s[2:3], s[30:31], s[0:1]
	s_and_saveexec_b64 s[30:31], s[4:5]
	s_cbranch_execz .LBB632_506
; %bb.508:                              ;   in Loop: Header=BB632_507 Depth=1
	v_lshl_add_u64 v[80:81], v[80:81], 0, -1
	v_cmp_eq_u64_e64 s[0:1], 0, v[80:81]
	s_andn2_b64 s[4:5], s[26:27], exec
	s_and_b64 s[26:27], s[34:35], exec
	s_or_b64 s[26:27], s[4:5], s[26:27]
	s_andn2_b64 s[4:5], s[24:25], exec
	s_and_b64 s[0:1], s[0:1], exec
	v_lshl_add_u64 v[68:69], v[68:69], 0, 2
	v_lshl_add_u64 v[70:71], v[70:71], 0, 2
	s_andn2_b64 s[2:3], s[2:3], exec
	s_or_b64 s[24:25], s[4:5], s[0:1]
                                        ; implicit-def: $sgpr28_sgpr29
	s_branch .LBB632_506
.LBB632_509:
	s_or_b64 exec, exec, s[20:21]
	v_cndmask_b32_e64 v3, v3, v67, s[22:23]
	v_cndmask_b32_e64 v2, v2, v66, s[22:23]
.LBB632_510:
	s_or_b64 exec, exec, s[18:19]
	v_mov_b64_e32 v[66:67], v[2:3]
.LBB632_511:
	s_or_b64 exec, exec, s[16:17]
	v_mov_b64_e32 v[2:3], v[66:67]
.LBB632_512:
	s_or_b64 exec, exec, s[14:15]
.LBB632_513:
	s_or_b64 exec, exec, s[10:11]
	v_and_b32_e32 v99, 0x380, v98
	; wave barrier
	flat_store_dwordx4 v[64:65], v[20:23]
	flat_store_dwordx4 v[64:65], v[16:19] offset:16
	flat_store_dwordx4 v[64:65], v[12:15] offset:32
	;; [unrolled: 1-line block ×3, first 2 shown]
	v_or_b32_e32 v64, 64, v99
	v_min_u32_e32 v96, v31, v64
	v_add_u32_e32 v64, 64, v96
	v_min_u32_e32 v97, v31, v64
	v_and_b32_e32 v64, 0x78, v98
	v_min_u32_e32 v31, v31, v64
	v_sub_u32_e32 v64, v96, v99
	v_sub_u32_e32 v65, v97, v96
	v_sub_u32_e64 v98, v31, v65 clamp
	v_min_u32_e32 v100, v31, v64
	v_cmp_lt_u32_e64 s[0:1], v98, v100
	; wave barrier
	s_and_saveexec_b64 s[10:11], s[0:1]
	s_cbranch_execz .LBB632_523
; %bb.514:
	v_lshlrev_b32_e32 v64, 3, v99
	v_mov_b32_e32 v65, 0
	v_lshl_add_u64 v[66:67], v[54:55], 0, v[64:65]
	v_lshlrev_b32_e32 v64, 3, v96
	v_lshl_add_u64 v[68:69], v[54:55], 0, v[64:65]
	v_lshlrev_b64 v[70:71], 1, v[6:7]
	s_mov_b64 s[14:15], 0
	s_branch .LBB632_517
.LBB632_515:                            ;   in Loop: Header=BB632_517 Depth=1
	s_or_b64 exec, exec, s[18:19]
	s_and_b64 s[0:1], s[20:21], exec
.LBB632_516:                            ;   in Loop: Header=BB632_517 Depth=1
	s_or_b64 exec, exec, s[16:17]
	v_add_u32_e32 v64, 1, v80
	v_cndmask_b32_e64 v100, v100, v80, s[0:1]
	v_cndmask_b32_e64 v98, v64, v98, s[0:1]
	v_cmp_ge_u32_e64 s[0:1], v98, v100
	s_or_b64 s[14:15], s[0:1], s[14:15]
	s_andn2_b64 exec, exec, s[14:15]
	s_cbranch_execz .LBB632_522
.LBB632_517:                            ; =>This Loop Header: Depth=1
                                        ;     Child Loop BB632_520 Depth 2
	v_add_u32_e32 v64, v100, v98
	v_lshrrev_b32_e32 v80, 1, v64
	s_mov_b64 s[0:1], 0
	s_and_saveexec_b64 s[16:17], vcc
	s_cbranch_execz .LBB632_516
; %bb.518:                              ;   in Loop: Header=BB632_517 Depth=1
	v_mov_b32_e32 v81, v65
	v_xad_u32 v64, v80, -1, v31
	v_lshl_add_u64 v[82:83], v[80:81], 3, v[66:67]
	v_lshl_add_u64 v[84:85], v[64:65], 3, v[68:69]
	flat_load_dwordx2 v[82:83], v[82:83]
	s_mov_b64 s[18:19], 0
	flat_load_dwordx2 v[84:85], v[84:85]
                                        ; implicit-def: $sgpr20_sgpr21
                                        ; implicit-def: $sgpr22_sgpr23
                                        ; implicit-def: $sgpr24_sgpr25
                                        ; implicit-def: $sgpr2_sgpr3
                                        ; implicit-def: $sgpr26_sgpr27
	s_waitcnt vmcnt(0) lgkmcnt(0)
	v_mul_lo_u32 v64, v70, v83
	v_mul_lo_u32 v81, v71, v82
	v_mad_u64_u32 v[82:83], s[0:1], v70, v82, v[8:9]
	v_mul_lo_u32 v86, v70, v85
	v_mul_lo_u32 v87, v71, v84
	v_mad_u64_u32 v[84:85], s[0:1], v70, v84, v[8:9]
	v_add3_u32 v83, v81, v83, v64
	v_add3_u32 v85, v87, v85, v86
	v_mov_b64_e32 v[86:87], v[6:7]
	s_branch .LBB632_520
.LBB632_519:                            ;   in Loop: Header=BB632_520 Depth=2
	s_or_b64 exec, exec, s[28:29]
	s_and_b64 s[0:1], exec, s[22:23]
	s_or_b64 s[18:19], s[0:1], s[18:19]
	s_andn2_b64 s[0:1], s[26:27], exec
	s_and_b64 s[4:5], s[24:25], exec
	s_or_b64 s[26:27], s[0:1], s[4:5]
	s_andn2_b64 s[0:1], s[20:21], exec
	s_and_b64 s[4:5], s[2:3], exec
	s_or_b64 s[20:21], s[0:1], s[4:5]
	s_andn2_b64 exec, exec, s[18:19]
	s_cbranch_execz .LBB632_515
.LBB632_520:                            ;   Parent Loop BB632_517 Depth=1
                                        ; =>  This Inner Loop Header: Depth=2
	flat_load_ushort v64, v[84:85]
	flat_load_ushort v81, v[82:83]
	s_andn2_b64 s[28:29], s[2:3], exec
	s_andn2_b64 s[24:25], s[24:25], exec
	s_or_b64 s[22:23], s[22:23], exec
	s_waitcnt vmcnt(0) lgkmcnt(0)
	v_cmp_le_i16_e64 s[2:3], v64, v81
	v_cmp_lt_i16_e64 s[0:1], v64, v81
	s_and_b64 s[2:3], s[2:3], s[26:27]
	s_or_b64 s[30:31], s[0:1], s[2:3]
	s_and_b64 s[0:1], s[30:31], exec
	v_cmp_eq_u16_e64 s[4:5], v64, v81
	s_or_b64 s[2:3], s[28:29], s[0:1]
	s_and_saveexec_b64 s[28:29], s[4:5]
	s_cbranch_execz .LBB632_519
; %bb.521:                              ;   in Loop: Header=BB632_520 Depth=2
	v_lshl_add_u64 v[86:87], v[86:87], 0, -1
	v_cmp_eq_u64_e64 s[0:1], 0, v[86:87]
	s_andn2_b64 s[4:5], s[24:25], exec
	s_and_b64 s[24:25], s[30:31], exec
	s_or_b64 s[24:25], s[4:5], s[24:25]
	s_andn2_b64 s[4:5], s[22:23], exec
	s_and_b64 s[0:1], s[0:1], exec
	v_lshl_add_u64 v[82:83], v[82:83], 0, 2
	v_lshl_add_u64 v[84:85], v[84:85], 0, 2
	s_andn2_b64 s[2:3], s[2:3], exec
	s_or_b64 s[22:23], s[4:5], s[0:1]
                                        ; implicit-def: $sgpr26_sgpr27
	s_branch .LBB632_519
.LBB632_522:
	s_or_b64 exec, exec, s[14:15]
.LBB632_523:
	s_or_b64 exec, exec, s[10:11]
	v_add_u32_e32 v31, v96, v31
	v_add_u32_e32 v64, v98, v99
	v_sub_u32_e32 v66, v31, v98
	v_cmp_le_u32_e64 s[0:1], v64, v96
	v_cmp_le_u32_e64 s[2:3], v66, v97
	s_or_b64 s[0:1], s[0:1], s[2:3]
	s_and_saveexec_b64 s[10:11], s[0:1]
	s_cbranch_execz .LBB632_607
; %bb.524:
	v_cmp_ge_u32_e64 s[0:1], v64, v96
	v_cmp_lt_u32_e64 s[2:3], v64, v96
                                        ; implicit-def: $vgpr0_vgpr1
	s_and_saveexec_b64 s[4:5], s[2:3]
	s_cbranch_execz .LBB632_526
; %bb.525:
	v_mov_b32_e32 v65, 0
	v_lshl_add_u64 v[0:1], v[64:65], 3, v[54:55]
	flat_load_dwordx2 v[0:1], v[0:1]
.LBB632_526:
	s_or_b64 exec, exec, s[4:5]
	v_cmp_ge_u32_e64 s[14:15], v66, v97
	v_cmp_lt_u32_e64 s[2:3], v66, v97
                                        ; implicit-def: $vgpr2_vgpr3
	s_and_saveexec_b64 s[4:5], s[2:3]
	s_cbranch_execz .LBB632_528
; %bb.527:
	v_mov_b32_e32 v67, 0
	v_lshl_add_u64 v[2:3], v[66:67], 3, v[54:55]
	flat_load_dwordx2 v[2:3], v[2:3]
.LBB632_528:
	s_or_b64 exec, exec, s[4:5]
	s_or_b64 s[0:1], s[0:1], s[14:15]
	s_xor_b64 s[0:1], s[0:1], -1
	s_and_saveexec_b64 s[16:17], s[0:1]
	s_cbranch_execz .LBB632_536
; %bb.529:
	s_mov_b64 s[0:1], 0
	s_and_saveexec_b64 s[18:19], vcc
	s_cbranch_execz .LBB632_535
; %bb.530:
	s_waitcnt vmcnt(0) lgkmcnt(0)
	v_mul_lo_u32 v14, v1, v6
	v_mul_lo_u32 v15, v0, v7
	v_mad_u64_u32 v[12:13], s[0:1], v0, v6, 0
	v_add3_u32 v13, v13, v15, v14
	v_mul_lo_u32 v16, v3, v6
	v_mul_lo_u32 v17, v2, v7
	v_mad_u64_u32 v[14:15], s[0:1], v2, v6, 0
	v_add3_u32 v15, v15, v17, v16
	v_lshl_add_u64 v[12:13], v[12:13], 1, v[8:9]
	v_lshl_add_u64 v[14:15], v[14:15], 1, v[8:9]
	s_mov_b64 s[20:21], 0
	v_mov_b64_e32 v[16:17], v[6:7]
                                        ; implicit-def: $sgpr22_sgpr23
                                        ; implicit-def: $sgpr24_sgpr25
                                        ; implicit-def: $sgpr26_sgpr27
                                        ; implicit-def: $sgpr2_sgpr3
                                        ; implicit-def: $sgpr28_sgpr29
	s_branch .LBB632_532
.LBB632_531:                            ;   in Loop: Header=BB632_532 Depth=1
	s_or_b64 exec, exec, s[30:31]
	s_and_b64 s[0:1], exec, s[24:25]
	s_or_b64 s[20:21], s[0:1], s[20:21]
	s_andn2_b64 s[0:1], s[28:29], exec
	s_and_b64 s[4:5], s[26:27], exec
	s_or_b64 s[28:29], s[0:1], s[4:5]
	s_andn2_b64 s[0:1], s[22:23], exec
	s_and_b64 s[4:5], s[2:3], exec
	s_or_b64 s[22:23], s[0:1], s[4:5]
	s_andn2_b64 exec, exec, s[20:21]
	s_cbranch_execz .LBB632_534
.LBB632_532:                            ; =>This Inner Loop Header: Depth=1
	flat_load_ushort v18, v[14:15]
	flat_load_ushort v19, v[12:13]
	s_andn2_b64 s[30:31], s[2:3], exec
	s_andn2_b64 s[26:27], s[26:27], exec
	s_or_b64 s[24:25], s[24:25], exec
	s_waitcnt vmcnt(0) lgkmcnt(0)
	v_cmp_le_i16_e64 s[2:3], v18, v19
	v_cmp_lt_i16_e64 s[0:1], v18, v19
	s_and_b64 s[2:3], s[2:3], s[28:29]
	s_or_b64 s[34:35], s[0:1], s[2:3]
	s_and_b64 s[0:1], s[34:35], exec
	v_cmp_eq_u16_e64 s[4:5], v18, v19
	s_or_b64 s[2:3], s[30:31], s[0:1]
	s_and_saveexec_b64 s[30:31], s[4:5]
	s_cbranch_execz .LBB632_531
; %bb.533:                              ;   in Loop: Header=BB632_532 Depth=1
	v_lshl_add_u64 v[16:17], v[16:17], 0, -1
	v_cmp_eq_u64_e64 s[0:1], 0, v[16:17]
	s_andn2_b64 s[4:5], s[26:27], exec
	s_and_b64 s[26:27], s[34:35], exec
	s_or_b64 s[26:27], s[4:5], s[26:27]
	s_andn2_b64 s[4:5], s[24:25], exec
	s_and_b64 s[0:1], s[0:1], exec
	v_lshl_add_u64 v[12:13], v[12:13], 0, 2
	v_lshl_add_u64 v[14:15], v[14:15], 0, 2
	s_andn2_b64 s[2:3], s[2:3], exec
	s_or_b64 s[24:25], s[4:5], s[0:1]
                                        ; implicit-def: $sgpr28_sgpr29
	s_branch .LBB632_531
.LBB632_534:
	s_or_b64 exec, exec, s[20:21]
	s_and_b64 s[0:1], s[22:23], exec
.LBB632_535:
	s_or_b64 exec, exec, s[18:19]
	s_xor_b64 s[0:1], s[0:1], -1
	s_andn2_b64 s[2:3], s[14:15], exec
	s_and_b64 s[0:1], s[0:1], exec
	s_or_b64 s[14:15], s[2:3], s[0:1]
.LBB632_536:
	s_or_b64 exec, exec, s[16:17]
	v_cndmask_b32_e64 v12, v66, v64, s[14:15]
	v_cndmask_b32_e64 v13, v97, v96, s[14:15]
	v_add_u32_e32 v16, 1, v12
	v_add_u32_e32 v12, -1, v13
	v_min_u32_e32 v12, v16, v12
	v_mov_b32_e32 v13, 0
	v_lshl_add_u64 v[14:15], v[12:13], 3, v[54:55]
	flat_load_dwordx2 v[14:15], v[14:15]
	v_cndmask_b32_e64 v23, v16, v66, s[14:15]
	s_mov_b64 s[16:17], -1
	v_cndmask_b32_e64 v64, v64, v16, s[14:15]
	v_cmp_lt_u32_e64 s[0:1], v23, v97
	s_mov_b64 s[18:19], -1
	s_waitcnt vmcnt(0) lgkmcnt(0)
	v_cndmask_b32_e64 v20, v15, v3, s[14:15]
	v_cndmask_b32_e64 v21, v14, v2, s[14:15]
	;; [unrolled: 1-line block ×4, first 2 shown]
	s_and_saveexec_b64 s[20:21], s[0:1]
	s_cbranch_execz .LBB632_546
; %bb.537:
	v_cmp_lt_u32_e64 s[0:1], v64, v96
	s_mov_b64 s[2:3], 0
	s_and_saveexec_b64 s[18:19], s[0:1]
	s_cbranch_execz .LBB632_545
; %bb.538:
	s_mov_b64 s[0:1], 0
	s_and_saveexec_b64 s[22:23], vcc
	s_cbranch_execz .LBB632_544
; %bb.539:
	v_mul_lo_u32 v12, v22, v6
	v_mul_lo_u32 v16, v31, v7
	v_mad_u64_u32 v[14:15], s[0:1], v31, v6, 0
	v_add3_u32 v15, v15, v16, v12
	v_mul_lo_u32 v12, v20, v6
	v_mul_lo_u32 v18, v21, v7
	v_mad_u64_u32 v[16:17], s[0:1], v21, v6, 0
	v_add3_u32 v17, v17, v18, v12
	v_lshl_add_u64 v[14:15], v[14:15], 1, v[8:9]
	v_lshl_add_u64 v[16:17], v[16:17], 1, v[8:9]
	s_mov_b64 s[24:25], 0
	v_mov_b64_e32 v[18:19], v[6:7]
                                        ; implicit-def: $sgpr26_sgpr27
                                        ; implicit-def: $sgpr28_sgpr29
                                        ; implicit-def: $sgpr30_sgpr31
                                        ; implicit-def: $sgpr2_sgpr3
                                        ; implicit-def: $sgpr34_sgpr35
	s_branch .LBB632_541
.LBB632_540:                            ;   in Loop: Header=BB632_541 Depth=1
	s_or_b64 exec, exec, s[36:37]
	s_and_b64 s[0:1], exec, s[28:29]
	s_or_b64 s[24:25], s[0:1], s[24:25]
	s_andn2_b64 s[0:1], s[34:35], exec
	s_and_b64 s[4:5], s[30:31], exec
	s_or_b64 s[34:35], s[0:1], s[4:5]
	s_andn2_b64 s[0:1], s[26:27], exec
	s_and_b64 s[4:5], s[2:3], exec
	s_or_b64 s[26:27], s[0:1], s[4:5]
	s_andn2_b64 exec, exec, s[24:25]
	s_cbranch_execz .LBB632_543
.LBB632_541:                            ; =>This Inner Loop Header: Depth=1
	flat_load_ushort v12, v[16:17]
	flat_load_ushort v65, v[14:15]
	s_andn2_b64 s[36:37], s[2:3], exec
	s_andn2_b64 s[30:31], s[30:31], exec
	s_or_b64 s[28:29], s[28:29], exec
	s_waitcnt vmcnt(0) lgkmcnt(0)
	v_cmp_le_i16_e64 s[2:3], v12, v65
	v_cmp_lt_i16_e64 s[0:1], v12, v65
	s_and_b64 s[2:3], s[2:3], s[34:35]
	s_or_b64 s[38:39], s[0:1], s[2:3]
	s_and_b64 s[0:1], s[38:39], exec
	v_cmp_eq_u16_e64 s[4:5], v12, v65
	s_or_b64 s[2:3], s[36:37], s[0:1]
	s_and_saveexec_b64 s[36:37], s[4:5]
	s_cbranch_execz .LBB632_540
; %bb.542:                              ;   in Loop: Header=BB632_541 Depth=1
	v_lshl_add_u64 v[18:19], v[18:19], 0, -1
	v_cmp_eq_u64_e64 s[0:1], 0, v[18:19]
	s_andn2_b64 s[4:5], s[30:31], exec
	s_and_b64 s[30:31], s[38:39], exec
	s_or_b64 s[30:31], s[4:5], s[30:31]
	s_andn2_b64 s[4:5], s[28:29], exec
	s_and_b64 s[0:1], s[0:1], exec
	v_lshl_add_u64 v[14:15], v[14:15], 0, 2
	v_lshl_add_u64 v[16:17], v[16:17], 0, 2
	s_andn2_b64 s[2:3], s[2:3], exec
	s_or_b64 s[28:29], s[4:5], s[0:1]
                                        ; implicit-def: $sgpr34_sgpr35
	s_branch .LBB632_540
.LBB632_543:
	s_or_b64 exec, exec, s[24:25]
	s_and_b64 s[0:1], s[26:27], exec
.LBB632_544:
	s_or_b64 exec, exec, s[22:23]
	s_xor_b64 s[0:1], s[0:1], -1
	s_and_b64 s[2:3], s[0:1], exec
.LBB632_545:
	s_or_b64 exec, exec, s[18:19]
	s_orn2_b64 s[18:19], s[2:3], exec
.LBB632_546:
	s_or_b64 exec, exec, s[20:21]
	v_cndmask_b32_e64 v12, v23, v64, s[18:19]
	v_cndmask_b32_e64 v14, v97, v96, s[18:19]
	v_add_u32_e32 v15, 1, v12
	v_add_u32_e32 v12, -1, v14
	v_min_u32_e32 v12, v15, v12
	v_lshl_add_u64 v[12:13], v[12:13], 3, v[54:55]
	flat_load_dwordx2 v[12:13], v[12:13]
	v_cndmask_b32_e64 v18, v15, v23, s[18:19]
	v_cndmask_b32_e64 v19, v64, v15, s[18:19]
	v_cmp_lt_u32_e64 s[0:1], v18, v97
	s_waitcnt vmcnt(0) lgkmcnt(0)
	v_cndmask_b32_e64 v23, v13, v20, s[18:19]
	v_cndmask_b32_e64 v64, v12, v21, s[18:19]
	;; [unrolled: 1-line block ×4, first 2 shown]
	s_and_saveexec_b64 s[20:21], s[0:1]
	s_cbranch_execz .LBB632_556
; %bb.547:
	v_cmp_lt_u32_e64 s[0:1], v19, v96
	s_mov_b64 s[2:3], 0
	s_and_saveexec_b64 s[16:17], s[0:1]
	s_cbranch_execz .LBB632_555
; %bb.548:
	s_mov_b64 s[0:1], 0
	s_and_saveexec_b64 s[22:23], vcc
	s_cbranch_execz .LBB632_554
; %bb.549:
	v_mul_lo_u32 v14, v65, v6
	v_mul_lo_u32 v15, v66, v7
	v_mad_u64_u32 v[12:13], s[0:1], v66, v6, 0
	v_add3_u32 v13, v13, v15, v14
	v_mul_lo_u32 v16, v23, v6
	v_mul_lo_u32 v17, v64, v7
	v_mad_u64_u32 v[14:15], s[0:1], v64, v6, 0
	v_add3_u32 v15, v15, v17, v16
	v_lshl_add_u64 v[12:13], v[12:13], 1, v[8:9]
	v_lshl_add_u64 v[14:15], v[14:15], 1, v[8:9]
	s_mov_b64 s[24:25], 0
	v_mov_b64_e32 v[16:17], v[6:7]
                                        ; implicit-def: $sgpr26_sgpr27
                                        ; implicit-def: $sgpr28_sgpr29
                                        ; implicit-def: $sgpr30_sgpr31
                                        ; implicit-def: $sgpr2_sgpr3
                                        ; implicit-def: $sgpr34_sgpr35
	s_branch .LBB632_551
.LBB632_550:                            ;   in Loop: Header=BB632_551 Depth=1
	s_or_b64 exec, exec, s[36:37]
	s_and_b64 s[0:1], exec, s[28:29]
	s_or_b64 s[24:25], s[0:1], s[24:25]
	s_andn2_b64 s[0:1], s[34:35], exec
	s_and_b64 s[4:5], s[30:31], exec
	s_or_b64 s[34:35], s[0:1], s[4:5]
	s_andn2_b64 s[0:1], s[26:27], exec
	s_and_b64 s[4:5], s[2:3], exec
	s_or_b64 s[26:27], s[0:1], s[4:5]
	s_andn2_b64 exec, exec, s[24:25]
	s_cbranch_execz .LBB632_553
.LBB632_551:                            ; =>This Inner Loop Header: Depth=1
	flat_load_ushort v67, v[14:15]
	flat_load_ushort v68, v[12:13]
	s_andn2_b64 s[36:37], s[2:3], exec
	s_andn2_b64 s[30:31], s[30:31], exec
	s_or_b64 s[28:29], s[28:29], exec
	s_waitcnt vmcnt(0) lgkmcnt(0)
	v_cmp_le_i16_e64 s[2:3], v67, v68
	v_cmp_lt_i16_e64 s[0:1], v67, v68
	s_and_b64 s[2:3], s[2:3], s[34:35]
	s_or_b64 s[38:39], s[0:1], s[2:3]
	s_and_b64 s[0:1], s[38:39], exec
	v_cmp_eq_u16_e64 s[4:5], v67, v68
	s_or_b64 s[2:3], s[36:37], s[0:1]
	s_and_saveexec_b64 s[36:37], s[4:5]
	s_cbranch_execz .LBB632_550
; %bb.552:                              ;   in Loop: Header=BB632_551 Depth=1
	v_lshl_add_u64 v[16:17], v[16:17], 0, -1
	v_cmp_eq_u64_e64 s[0:1], 0, v[16:17]
	s_andn2_b64 s[4:5], s[30:31], exec
	s_and_b64 s[30:31], s[38:39], exec
	s_or_b64 s[30:31], s[4:5], s[30:31]
	s_andn2_b64 s[4:5], s[28:29], exec
	s_and_b64 s[0:1], s[0:1], exec
	v_lshl_add_u64 v[12:13], v[12:13], 0, 2
	v_lshl_add_u64 v[14:15], v[14:15], 0, 2
	s_andn2_b64 s[2:3], s[2:3], exec
	s_or_b64 s[28:29], s[4:5], s[0:1]
                                        ; implicit-def: $sgpr34_sgpr35
	s_branch .LBB632_550
.LBB632_553:
	s_or_b64 exec, exec, s[24:25]
	s_and_b64 s[0:1], s[26:27], exec
.LBB632_554:
	s_or_b64 exec, exec, s[22:23]
	s_xor_b64 s[0:1], s[0:1], -1
	s_and_b64 s[2:3], s[0:1], exec
.LBB632_555:
	s_or_b64 exec, exec, s[16:17]
	s_orn2_b64 s[16:17], s[2:3], exec
.LBB632_556:
	s_or_b64 exec, exec, s[20:21]
	v_cndmask_b32_e64 v12, v18, v19, s[16:17]
	v_cndmask_b32_e64 v13, v97, v96, s[16:17]
	v_add_u32_e32 v16, 1, v12
	v_add_u32_e32 v12, -1, v13
	v_min_u32_e32 v12, v16, v12
	v_mov_b32_e32 v13, 0
	v_lshl_add_u64 v[14:15], v[12:13], 3, v[54:55]
	flat_load_dwordx2 v[14:15], v[14:15]
	v_cndmask_b32_e64 v71, v16, v18, s[16:17]
	s_mov_b64 s[20:21], -1
	v_cndmask_b32_e64 v80, v19, v16, s[16:17]
	v_cmp_lt_u32_e64 s[0:1], v71, v97
	s_mov_b64 s[22:23], -1
	s_waitcnt vmcnt(0) lgkmcnt(0)
	v_cndmask_b32_e64 v67, v15, v23, s[16:17]
	v_cndmask_b32_e64 v68, v14, v64, s[16:17]
	;; [unrolled: 1-line block ×4, first 2 shown]
	s_and_saveexec_b64 s[24:25], s[0:1]
	s_cbranch_execz .LBB632_566
; %bb.557:
	v_cmp_lt_u32_e64 s[0:1], v80, v96
	s_mov_b64 s[2:3], 0
	s_and_saveexec_b64 s[22:23], s[0:1]
	s_cbranch_execz .LBB632_565
; %bb.558:
	s_mov_b64 s[0:1], -1
	s_and_saveexec_b64 s[26:27], vcc
	s_cbranch_execz .LBB632_564
; %bb.559:
	v_mul_lo_u32 v12, v69, v6
	v_mul_lo_u32 v16, v70, v7
	v_mad_u64_u32 v[14:15], s[0:1], v70, v6, 0
	v_add3_u32 v15, v15, v16, v12
	v_mul_lo_u32 v12, v67, v6
	v_mul_lo_u32 v18, v68, v7
	v_mad_u64_u32 v[16:17], s[0:1], v68, v6, 0
	v_add3_u32 v17, v17, v18, v12
	v_lshl_add_u64 v[14:15], v[14:15], 1, v[8:9]
	v_lshl_add_u64 v[16:17], v[16:17], 1, v[8:9]
	s_mov_b64 s[28:29], 0
	v_mov_b64_e32 v[18:19], v[6:7]
                                        ; implicit-def: $sgpr30_sgpr31
                                        ; implicit-def: $sgpr34_sgpr35
                                        ; implicit-def: $sgpr2_sgpr3
                                        ; implicit-def: $sgpr36_sgpr37
                                        ; implicit-def: $sgpr38_sgpr39
	s_branch .LBB632_561
.LBB632_560:                            ;   in Loop: Header=BB632_561 Depth=1
	s_or_b64 exec, exec, s[40:41]
	s_and_b64 s[0:1], exec, s[34:35]
	s_or_b64 s[28:29], s[0:1], s[28:29]
	s_andn2_b64 s[0:1], s[38:39], exec
	s_and_b64 s[4:5], s[36:37], exec
	s_or_b64 s[38:39], s[0:1], s[4:5]
	s_andn2_b64 s[0:1], s[30:31], exec
	s_and_b64 s[4:5], s[2:3], exec
	s_or_b64 s[30:31], s[0:1], s[4:5]
	s_andn2_b64 exec, exec, s[28:29]
	s_cbranch_execz .LBB632_563
.LBB632_561:                            ; =>This Inner Loop Header: Depth=1
	flat_load_ushort v12, v[16:17]
	flat_load_ushort v81, v[14:15]
	s_andn2_b64 s[40:41], s[2:3], exec
	s_andn2_b64 s[36:37], s[36:37], exec
	s_or_b64 s[34:35], s[34:35], exec
	s_waitcnt vmcnt(0) lgkmcnt(0)
	v_cmp_le_i16_e64 s[2:3], v12, v81
	v_cmp_lt_i16_e64 s[0:1], v12, v81
	s_and_b64 s[2:3], s[2:3], s[38:39]
	s_or_b64 s[42:43], s[0:1], s[2:3]
	s_and_b64 s[0:1], s[42:43], exec
	v_cmp_eq_u16_e64 s[4:5], v12, v81
	s_or_b64 s[2:3], s[40:41], s[0:1]
	s_and_saveexec_b64 s[40:41], s[4:5]
	s_cbranch_execz .LBB632_560
; %bb.562:                              ;   in Loop: Header=BB632_561 Depth=1
	v_lshl_add_u64 v[18:19], v[18:19], 0, -1
	v_cmp_eq_u64_e64 s[0:1], 0, v[18:19]
	s_andn2_b64 s[4:5], s[36:37], exec
	s_and_b64 s[36:37], s[42:43], exec
	s_or_b64 s[36:37], s[4:5], s[36:37]
	s_andn2_b64 s[4:5], s[34:35], exec
	s_and_b64 s[0:1], s[0:1], exec
	v_lshl_add_u64 v[14:15], v[14:15], 0, 2
	v_lshl_add_u64 v[16:17], v[16:17], 0, 2
	s_andn2_b64 s[2:3], s[2:3], exec
	s_or_b64 s[34:35], s[4:5], s[0:1]
                                        ; implicit-def: $sgpr38_sgpr39
	s_branch .LBB632_560
.LBB632_563:
	s_or_b64 exec, exec, s[28:29]
	s_xor_b64 s[0:1], s[30:31], -1
	s_orn2_b64 s[0:1], s[0:1], exec
.LBB632_564:
	s_or_b64 exec, exec, s[26:27]
	s_and_b64 s[2:3], s[0:1], exec
.LBB632_565:
	s_or_b64 exec, exec, s[22:23]
	s_orn2_b64 s[22:23], s[2:3], exec
.LBB632_566:
	s_or_b64 exec, exec, s[24:25]
	v_cndmask_b32_e64 v12, v71, v80, s[22:23]
	v_cndmask_b32_e64 v14, v97, v96, s[22:23]
	v_add_u32_e32 v15, 1, v12
	v_add_u32_e32 v12, -1, v14
	v_min_u32_e32 v12, v15, v12
	v_lshl_add_u64 v[12:13], v[12:13], 3, v[54:55]
	flat_load_dwordx2 v[12:13], v[12:13]
	v_cndmask_b32_e64 v18, v15, v71, s[22:23]
	v_cndmask_b32_e64 v19, v80, v15, s[22:23]
	v_cmp_lt_u32_e64 s[0:1], v18, v97
	s_waitcnt vmcnt(0) lgkmcnt(0)
	v_cndmask_b32_e64 v71, v13, v67, s[22:23]
	v_cndmask_b32_e64 v80, v12, v68, s[22:23]
	;; [unrolled: 1-line block ×4, first 2 shown]
	s_and_saveexec_b64 s[24:25], s[0:1]
	s_cbranch_execz .LBB632_576
; %bb.567:
	v_cmp_lt_u32_e64 s[0:1], v19, v96
	s_mov_b64 s[2:3], 0
	s_and_saveexec_b64 s[20:21], s[0:1]
	s_cbranch_execz .LBB632_575
; %bb.568:
	s_mov_b64 s[0:1], -1
	s_and_saveexec_b64 s[26:27], vcc
	s_cbranch_execz .LBB632_574
; %bb.569:
	v_mul_lo_u32 v14, v81, v6
	v_mul_lo_u32 v15, v82, v7
	v_mad_u64_u32 v[12:13], s[0:1], v82, v6, 0
	v_add3_u32 v13, v13, v15, v14
	v_mul_lo_u32 v16, v71, v6
	v_mul_lo_u32 v17, v80, v7
	v_mad_u64_u32 v[14:15], s[0:1], v80, v6, 0
	v_add3_u32 v15, v15, v17, v16
	v_lshl_add_u64 v[12:13], v[12:13], 1, v[8:9]
	v_lshl_add_u64 v[14:15], v[14:15], 1, v[8:9]
	s_mov_b64 s[28:29], 0
	v_mov_b64_e32 v[16:17], v[6:7]
                                        ; implicit-def: $sgpr30_sgpr31
                                        ; implicit-def: $sgpr34_sgpr35
                                        ; implicit-def: $sgpr2_sgpr3
                                        ; implicit-def: $sgpr36_sgpr37
                                        ; implicit-def: $sgpr38_sgpr39
	s_branch .LBB632_571
.LBB632_570:                            ;   in Loop: Header=BB632_571 Depth=1
	s_or_b64 exec, exec, s[40:41]
	s_and_b64 s[0:1], exec, s[34:35]
	s_or_b64 s[28:29], s[0:1], s[28:29]
	s_andn2_b64 s[0:1], s[38:39], exec
	s_and_b64 s[4:5], s[36:37], exec
	s_or_b64 s[38:39], s[0:1], s[4:5]
	s_andn2_b64 s[0:1], s[30:31], exec
	s_and_b64 s[4:5], s[2:3], exec
	s_or_b64 s[30:31], s[0:1], s[4:5]
	s_andn2_b64 exec, exec, s[28:29]
	s_cbranch_execz .LBB632_573
.LBB632_571:                            ; =>This Inner Loop Header: Depth=1
	flat_load_ushort v83, v[14:15]
	flat_load_ushort v84, v[12:13]
	s_andn2_b64 s[40:41], s[2:3], exec
	s_andn2_b64 s[36:37], s[36:37], exec
	s_or_b64 s[34:35], s[34:35], exec
	s_waitcnt vmcnt(0) lgkmcnt(0)
	v_cmp_le_i16_e64 s[2:3], v83, v84
	v_cmp_lt_i16_e64 s[0:1], v83, v84
	s_and_b64 s[2:3], s[2:3], s[38:39]
	s_or_b64 s[42:43], s[0:1], s[2:3]
	s_and_b64 s[0:1], s[42:43], exec
	v_cmp_eq_u16_e64 s[4:5], v83, v84
	s_or_b64 s[2:3], s[40:41], s[0:1]
	s_and_saveexec_b64 s[40:41], s[4:5]
	s_cbranch_execz .LBB632_570
; %bb.572:                              ;   in Loop: Header=BB632_571 Depth=1
	v_lshl_add_u64 v[16:17], v[16:17], 0, -1
	v_cmp_eq_u64_e64 s[0:1], 0, v[16:17]
	s_andn2_b64 s[4:5], s[36:37], exec
	s_and_b64 s[36:37], s[42:43], exec
	s_or_b64 s[36:37], s[4:5], s[36:37]
	s_andn2_b64 s[4:5], s[34:35], exec
	s_and_b64 s[0:1], s[0:1], exec
	v_lshl_add_u64 v[12:13], v[12:13], 0, 2
	v_lshl_add_u64 v[14:15], v[14:15], 0, 2
	s_andn2_b64 s[2:3], s[2:3], exec
	s_or_b64 s[34:35], s[4:5], s[0:1]
                                        ; implicit-def: $sgpr38_sgpr39
	s_branch .LBB632_570
.LBB632_573:
	s_or_b64 exec, exec, s[28:29]
	s_xor_b64 s[0:1], s[30:31], -1
	s_orn2_b64 s[0:1], s[0:1], exec
.LBB632_574:
	s_or_b64 exec, exec, s[26:27]
	s_and_b64 s[2:3], s[0:1], exec
.LBB632_575:
	s_or_b64 exec, exec, s[20:21]
	s_orn2_b64 s[20:21], s[2:3], exec
.LBB632_576:
	s_or_b64 exec, exec, s[24:25]
	v_cndmask_b32_e64 v12, v18, v19, s[20:21]
	v_cndmask_b32_e64 v13, v97, v96, s[20:21]
	v_add_u32_e32 v16, 1, v12
	v_add_u32_e32 v12, -1, v13
	v_min_u32_e32 v12, v16, v12
	v_mov_b32_e32 v13, 0
	v_lshl_add_u64 v[14:15], v[12:13], 3, v[54:55]
	flat_load_dwordx2 v[14:15], v[14:15]
	v_cndmask_b32_e64 v87, v16, v18, s[20:21]
	s_mov_b64 s[24:25], -1
	v_cndmask_b32_e64 v98, v19, v16, s[20:21]
	v_cmp_lt_u32_e64 s[0:1], v87, v97
	s_mov_b64 s[26:27], -1
	s_waitcnt vmcnt(0) lgkmcnt(0)
	v_cndmask_b32_e64 v83, v15, v71, s[20:21]
	v_cndmask_b32_e64 v84, v14, v80, s[20:21]
	;; [unrolled: 1-line block ×4, first 2 shown]
	s_and_saveexec_b64 s[28:29], s[0:1]
	s_cbranch_execz .LBB632_586
; %bb.577:
	v_cmp_lt_u32_e64 s[0:1], v98, v96
	s_mov_b64 s[2:3], 0
	s_and_saveexec_b64 s[26:27], s[0:1]
	s_cbranch_execz .LBB632_585
; %bb.578:
	s_mov_b64 s[0:1], -1
	s_and_saveexec_b64 s[30:31], vcc
	s_cbranch_execz .LBB632_584
; %bb.579:
	v_mul_lo_u32 v12, v85, v6
	v_mul_lo_u32 v16, v86, v7
	v_mad_u64_u32 v[14:15], s[0:1], v86, v6, 0
	v_add3_u32 v15, v15, v16, v12
	v_mul_lo_u32 v12, v83, v6
	v_mul_lo_u32 v18, v84, v7
	v_mad_u64_u32 v[16:17], s[0:1], v84, v6, 0
	v_add3_u32 v17, v17, v18, v12
	v_lshl_add_u64 v[14:15], v[14:15], 1, v[8:9]
	v_lshl_add_u64 v[16:17], v[16:17], 1, v[8:9]
	s_mov_b64 s[34:35], 0
	v_mov_b64_e32 v[18:19], v[6:7]
                                        ; implicit-def: $sgpr36_sgpr37
                                        ; implicit-def: $sgpr38_sgpr39
                                        ; implicit-def: $sgpr2_sgpr3
                                        ; implicit-def: $sgpr40_sgpr41
                                        ; implicit-def: $sgpr42_sgpr43
	s_branch .LBB632_581
.LBB632_580:                            ;   in Loop: Header=BB632_581 Depth=1
	s_or_b64 exec, exec, s[44:45]
	s_and_b64 s[0:1], exec, s[38:39]
	s_or_b64 s[34:35], s[0:1], s[34:35]
	s_andn2_b64 s[0:1], s[42:43], exec
	s_and_b64 s[4:5], s[40:41], exec
	s_or_b64 s[42:43], s[0:1], s[4:5]
	s_andn2_b64 s[0:1], s[36:37], exec
	s_and_b64 s[4:5], s[2:3], exec
	s_or_b64 s[36:37], s[0:1], s[4:5]
	s_andn2_b64 exec, exec, s[34:35]
	s_cbranch_execz .LBB632_583
.LBB632_581:                            ; =>This Inner Loop Header: Depth=1
	flat_load_ushort v12, v[16:17]
	flat_load_ushort v99, v[14:15]
	s_andn2_b64 s[44:45], s[2:3], exec
	s_andn2_b64 s[40:41], s[40:41], exec
	s_or_b64 s[38:39], s[38:39], exec
	s_waitcnt vmcnt(0) lgkmcnt(0)
	v_cmp_le_i16_e64 s[2:3], v12, v99
	v_cmp_lt_i16_e64 s[0:1], v12, v99
	s_and_b64 s[2:3], s[2:3], s[42:43]
	s_or_b64 s[46:47], s[0:1], s[2:3]
	s_and_b64 s[0:1], s[46:47], exec
	v_cmp_eq_u16_e64 s[4:5], v12, v99
	s_or_b64 s[2:3], s[44:45], s[0:1]
	s_and_saveexec_b64 s[44:45], s[4:5]
	s_cbranch_execz .LBB632_580
; %bb.582:                              ;   in Loop: Header=BB632_581 Depth=1
	v_lshl_add_u64 v[18:19], v[18:19], 0, -1
	v_cmp_eq_u64_e64 s[0:1], 0, v[18:19]
	s_andn2_b64 s[4:5], s[40:41], exec
	s_and_b64 s[40:41], s[46:47], exec
	s_or_b64 s[40:41], s[4:5], s[40:41]
	s_andn2_b64 s[4:5], s[38:39], exec
	s_and_b64 s[0:1], s[0:1], exec
	v_lshl_add_u64 v[14:15], v[14:15], 0, 2
	v_lshl_add_u64 v[16:17], v[16:17], 0, 2
	s_andn2_b64 s[2:3], s[2:3], exec
	s_or_b64 s[38:39], s[4:5], s[0:1]
                                        ; implicit-def: $sgpr42_sgpr43
	s_branch .LBB632_580
.LBB632_583:
	s_or_b64 exec, exec, s[34:35]
	s_xor_b64 s[0:1], s[36:37], -1
	s_orn2_b64 s[0:1], s[0:1], exec
.LBB632_584:
	s_or_b64 exec, exec, s[30:31]
	s_and_b64 s[2:3], s[0:1], exec
.LBB632_585:
	s_or_b64 exec, exec, s[26:27]
	s_orn2_b64 s[26:27], s[2:3], exec
.LBB632_586:
	s_or_b64 exec, exec, s[28:29]
	v_cndmask_b32_e64 v12, v87, v98, s[26:27]
	v_cndmask_b32_e64 v14, v97, v96, s[26:27]
	v_add_u32_e32 v15, 1, v12
	v_add_u32_e32 v12, -1, v14
	v_min_u32_e32 v12, v15, v12
	v_lshl_add_u64 v[12:13], v[12:13], 3, v[54:55]
	flat_load_dwordx2 v[12:13], v[12:13]
	v_cndmask_b32_e64 v100, v15, v87, s[26:27]
	v_cndmask_b32_e64 v87, v98, v15, s[26:27]
	v_cmp_lt_u32_e64 s[0:1], v100, v97
	s_waitcnt vmcnt(0) lgkmcnt(0)
	v_cndmask_b32_e64 v98, v13, v83, s[26:27]
	v_cndmask_b32_e64 v99, v12, v84, s[26:27]
	;; [unrolled: 1-line block ×4, first 2 shown]
	s_and_saveexec_b64 s[28:29], s[0:1]
	s_cbranch_execz .LBB632_596
; %bb.587:
	v_cmp_lt_u32_e64 s[0:1], v87, v96
	s_mov_b64 s[2:3], 0
	s_and_saveexec_b64 s[24:25], s[0:1]
	s_cbranch_execz .LBB632_595
; %bb.588:
	s_mov_b64 s[0:1], -1
	s_and_saveexec_b64 s[30:31], vcc
	s_cbranch_execz .LBB632_594
; %bb.589:
	v_mul_lo_u32 v14, v101, v6
	v_mul_lo_u32 v15, v102, v7
	v_mad_u64_u32 v[12:13], s[0:1], v102, v6, 0
	v_add3_u32 v13, v13, v15, v14
	v_mul_lo_u32 v16, v98, v6
	v_mul_lo_u32 v17, v99, v7
	v_mad_u64_u32 v[14:15], s[0:1], v99, v6, 0
	v_add3_u32 v15, v15, v17, v16
	v_lshl_add_u64 v[12:13], v[12:13], 1, v[8:9]
	v_lshl_add_u64 v[14:15], v[14:15], 1, v[8:9]
	s_mov_b64 s[34:35], 0
	v_mov_b64_e32 v[16:17], v[6:7]
                                        ; implicit-def: $sgpr36_sgpr37
                                        ; implicit-def: $sgpr38_sgpr39
                                        ; implicit-def: $sgpr2_sgpr3
                                        ; implicit-def: $sgpr40_sgpr41
                                        ; implicit-def: $sgpr42_sgpr43
	s_branch .LBB632_591
.LBB632_590:                            ;   in Loop: Header=BB632_591 Depth=1
	s_or_b64 exec, exec, s[44:45]
	s_and_b64 s[0:1], exec, s[38:39]
	s_or_b64 s[34:35], s[0:1], s[34:35]
	s_andn2_b64 s[0:1], s[42:43], exec
	s_and_b64 s[4:5], s[40:41], exec
	s_or_b64 s[42:43], s[0:1], s[4:5]
	s_andn2_b64 s[0:1], s[36:37], exec
	s_and_b64 s[4:5], s[2:3], exec
	s_or_b64 s[36:37], s[0:1], s[4:5]
	s_andn2_b64 exec, exec, s[34:35]
	s_cbranch_execz .LBB632_593
.LBB632_591:                            ; =>This Inner Loop Header: Depth=1
	flat_load_ushort v18, v[14:15]
	flat_load_ushort v19, v[12:13]
	s_andn2_b64 s[44:45], s[2:3], exec
	s_andn2_b64 s[40:41], s[40:41], exec
	s_or_b64 s[38:39], s[38:39], exec
	s_waitcnt vmcnt(0) lgkmcnt(0)
	v_cmp_le_i16_e64 s[2:3], v18, v19
	v_cmp_lt_i16_e64 s[0:1], v18, v19
	s_and_b64 s[2:3], s[2:3], s[42:43]
	s_or_b64 s[46:47], s[0:1], s[2:3]
	s_and_b64 s[0:1], s[46:47], exec
	v_cmp_eq_u16_e64 s[4:5], v18, v19
	s_or_b64 s[2:3], s[44:45], s[0:1]
	s_and_saveexec_b64 s[44:45], s[4:5]
	s_cbranch_execz .LBB632_590
; %bb.592:                              ;   in Loop: Header=BB632_591 Depth=1
	v_lshl_add_u64 v[16:17], v[16:17], 0, -1
	v_cmp_eq_u64_e64 s[0:1], 0, v[16:17]
	s_andn2_b64 s[4:5], s[40:41], exec
	s_and_b64 s[40:41], s[46:47], exec
	s_or_b64 s[40:41], s[4:5], s[40:41]
	s_andn2_b64 s[4:5], s[38:39], exec
	s_and_b64 s[0:1], s[0:1], exec
	v_lshl_add_u64 v[12:13], v[12:13], 0, 2
	v_lshl_add_u64 v[14:15], v[14:15], 0, 2
	s_andn2_b64 s[2:3], s[2:3], exec
	s_or_b64 s[38:39], s[4:5], s[0:1]
                                        ; implicit-def: $sgpr42_sgpr43
	s_branch .LBB632_590
.LBB632_593:
	s_or_b64 exec, exec, s[34:35]
	s_xor_b64 s[0:1], s[36:37], -1
	s_orn2_b64 s[0:1], s[0:1], exec
.LBB632_594:
	s_or_b64 exec, exec, s[30:31]
	s_and_b64 s[2:3], s[0:1], exec
.LBB632_595:
	s_or_b64 exec, exec, s[24:25]
	s_orn2_b64 s[24:25], s[2:3], exec
.LBB632_596:
	s_or_b64 exec, exec, s[28:29]
	v_cndmask_b32_e64 v12, v100, v87, s[24:25]
	v_cndmask_b32_e64 v13, v97, v96, s[24:25]
	v_add_u32_e32 v103, 1, v12
	v_add_u32_e32 v12, -1, v13
	v_min_u32_e32 v12, v103, v12
	v_mov_b32_e32 v13, 0
	v_lshl_add_u64 v[12:13], v[12:13], 3, v[54:55]
	flat_load_dwordx2 v[54:55], v[12:13]
	v_cndmask_b32_e64 v17, v23, v65, s[16:17]
	v_cndmask_b32_e64 v23, v20, v22, s[18:19]
	v_cndmask_b32_e64 v22, v21, v31, s[18:19]
	v_cndmask_b32_e64 v31, v103, v100, s[24:25]
	v_cndmask_b32_e64 v15, v83, v85, s[26:27]
	v_cndmask_b32_e64 v14, v84, v86, s[26:27]
	v_cndmask_b32_e64 v13, v71, v81, s[20:21]
	v_cndmask_b32_e64 v12, v80, v82, s[20:21]
	v_cndmask_b32_e64 v19, v67, v69, s[22:23]
	v_cndmask_b32_e64 v18, v68, v70, s[22:23]
	v_cndmask_b32_e64 v16, v64, v66, s[16:17]
	v_cndmask_b32_e64 v21, v3, v1, s[14:15]
	v_cndmask_b32_e64 v20, v2, v0, s[14:15]
	v_cndmask_b32_e64 v1, v98, v101, s[24:25]
	v_cndmask_b32_e64 v0, v99, v102, s[24:25]
	v_cmp_lt_u32_e64 s[0:1], v31, v97
	s_waitcnt vmcnt(0) lgkmcnt(0)
	v_cndmask_b32_e64 v3, v101, v55, s[24:25]
	v_cndmask_b32_e64 v2, v102, v54, s[24:25]
	s_and_saveexec_b64 s[14:15], s[0:1]
	s_cbranch_execz .LBB632_606
; %bb.597:
	v_cndmask_b32_e64 v31, v87, v103, s[24:25]
	v_cndmask_b32_e64 v55, v55, v98, s[24:25]
	;; [unrolled: 1-line block ×3, first 2 shown]
	v_cmp_lt_u32_e64 s[0:1], v31, v96
	s_and_saveexec_b64 s[16:17], s[0:1]
	s_cbranch_execz .LBB632_605
; %bb.598:
	s_and_saveexec_b64 s[18:19], vcc
	s_cbranch_execz .LBB632_604
; %bb.599:
	v_mul_lo_u32 v31, v3, v6
	v_mul_lo_u32 v66, v2, v7
	v_mad_u64_u32 v[64:65], s[0:1], v2, v6, 0
	v_add3_u32 v65, v65, v66, v31
	v_mul_lo_u32 v31, v55, v6
	v_mul_lo_u32 v68, v54, v7
	v_mad_u64_u32 v[66:67], s[0:1], v54, v6, 0
	v_add3_u32 v67, v67, v68, v31
	v_lshl_add_u64 v[64:65], v[64:65], 1, v[8:9]
	v_lshl_add_u64 v[66:67], v[66:67], 1, v[8:9]
	s_mov_b64 s[20:21], 0
	v_mov_b64_e32 v[68:69], v[6:7]
                                        ; implicit-def: $sgpr22_sgpr23
                                        ; implicit-def: $sgpr24_sgpr25
                                        ; implicit-def: $sgpr2_sgpr3
                                        ; implicit-def: $sgpr26_sgpr27
                                        ; implicit-def: $sgpr28_sgpr29
	s_branch .LBB632_601
.LBB632_600:                            ;   in Loop: Header=BB632_601 Depth=1
	s_or_b64 exec, exec, s[30:31]
	s_and_b64 s[0:1], exec, s[24:25]
	s_or_b64 s[20:21], s[0:1], s[20:21]
	s_andn2_b64 s[0:1], s[28:29], exec
	s_and_b64 s[4:5], s[26:27], exec
	s_or_b64 s[28:29], s[0:1], s[4:5]
	s_andn2_b64 s[0:1], s[22:23], exec
	s_and_b64 s[4:5], s[2:3], exec
	s_or_b64 s[22:23], s[0:1], s[4:5]
	s_andn2_b64 exec, exec, s[20:21]
	s_cbranch_execz .LBB632_603
.LBB632_601:                            ; =>This Inner Loop Header: Depth=1
	flat_load_ushort v31, v[66:67]
	flat_load_ushort v70, v[64:65]
	s_andn2_b64 s[30:31], s[2:3], exec
	s_andn2_b64 s[26:27], s[26:27], exec
	s_or_b64 s[24:25], s[24:25], exec
	s_waitcnt vmcnt(0) lgkmcnt(0)
	v_cmp_le_i16_e64 s[2:3], v31, v70
	v_cmp_lt_i16_e64 s[0:1], v31, v70
	s_and_b64 s[2:3], s[2:3], s[28:29]
	s_or_b64 s[34:35], s[0:1], s[2:3]
	s_and_b64 s[0:1], s[34:35], exec
	v_cmp_eq_u16_e64 s[4:5], v31, v70
	s_or_b64 s[2:3], s[30:31], s[0:1]
	s_and_saveexec_b64 s[30:31], s[4:5]
	s_cbranch_execz .LBB632_600
; %bb.602:                              ;   in Loop: Header=BB632_601 Depth=1
	v_lshl_add_u64 v[68:69], v[68:69], 0, -1
	v_cmp_eq_u64_e64 s[0:1], 0, v[68:69]
	s_andn2_b64 s[4:5], s[26:27], exec
	s_and_b64 s[26:27], s[34:35], exec
	s_or_b64 s[26:27], s[4:5], s[26:27]
	s_andn2_b64 s[4:5], s[24:25], exec
	s_and_b64 s[0:1], s[0:1], exec
	v_lshl_add_u64 v[64:65], v[64:65], 0, 2
	v_lshl_add_u64 v[66:67], v[66:67], 0, 2
	s_andn2_b64 s[2:3], s[2:3], exec
	s_or_b64 s[24:25], s[4:5], s[0:1]
                                        ; implicit-def: $sgpr28_sgpr29
	s_branch .LBB632_600
.LBB632_603:
	s_or_b64 exec, exec, s[20:21]
	v_cndmask_b32_e64 v3, v3, v55, s[22:23]
	v_cndmask_b32_e64 v2, v2, v54, s[22:23]
.LBB632_604:
	s_or_b64 exec, exec, s[18:19]
	v_mov_b64_e32 v[54:55], v[2:3]
.LBB632_605:
	s_or_b64 exec, exec, s[16:17]
	v_mov_b64_e32 v[2:3], v[54:55]
.LBB632_606:
	s_or_b64 exec, exec, s[14:15]
.LBB632_607:
	s_or_b64 exec, exec, s[10:11]
	v_lshlrev_b32_e32 v54, 3, v30
	v_mov_b32_e32 v55, 0
	v_lshl_add_u64 v[64:65], v[10:11], 0, v[54:55]
	v_lshlrev_b64 v[66:67], 1, v[6:7]
	s_movk_i32 s50, 0x80
	; wave barrier
	s_waitcnt lgkmcnt(0)
	s_barrier
.LBB632_608:                            ; =>This Loop Header: Depth=1
                                        ;     Child Loop BB632_612 Depth 2
                                        ;       Child Loop BB632_615 Depth 3
                                        ;     Child Loop BB632_627 Depth 2
                                        ;     Child Loop BB632_636 Depth 2
	;; [unrolled: 1-line block ×8, first 2 shown]
	s_lshl_b32 s51, s50, 1
	s_sub_i32 s1, 0, s51
	v_and_b32_e32 v97, s1, v30
	v_add_u32_e32 v31, s50, v97
	v_min_u32_e32 v31, 0x800, v31
	s_add_i32 s0, s51, -1
	v_add_u32_e32 v54, s50, v31
	v_min_u32_e32 v96, 0x800, v54
	v_and_b32_e32 v54, s0, v30
	v_min_u32_e32 v98, 0x800, v54
	v_sub_u32_e32 v54, v31, v97
	v_sub_u32_e32 v68, v96, v31
	v_sub_u32_e64 v99, v98, v68 clamp
	v_min_u32_e32 v100, v98, v54
	v_cmp_lt_u32_e64 s[0:1], v99, v100
	flat_store_dwordx4 v[64:65], v[20:23]
	flat_store_dwordx4 v[64:65], v[16:19] offset:16
	flat_store_dwordx4 v[64:65], v[12:15] offset:32
	;; [unrolled: 1-line block ×3, first 2 shown]
	s_waitcnt lgkmcnt(0)
	s_barrier
	s_and_saveexec_b64 s[10:11], s[0:1]
	s_cbranch_execz .LBB632_618
; %bb.609:                              ;   in Loop: Header=BB632_608 Depth=1
	v_lshlrev_b32_e32 v54, 3, v97
	v_lshl_add_u64 v[68:69], v[10:11], 0, v[54:55]
	v_lshlrev_b32_e32 v54, 3, v31
	v_lshl_add_u64 v[70:71], v[10:11], 0, v[54:55]
	s_mov_b64 s[14:15], 0
	s_branch .LBB632_612
.LBB632_610:                            ;   in Loop: Header=BB632_612 Depth=2
	s_or_b64 exec, exec, s[18:19]
	s_and_b64 s[0:1], s[20:21], exec
.LBB632_611:                            ;   in Loop: Header=BB632_612 Depth=2
	s_or_b64 exec, exec, s[16:17]
	v_add_u32_e32 v54, 1, v80
	v_cndmask_b32_e64 v100, v100, v80, s[0:1]
	v_cndmask_b32_e64 v99, v54, v99, s[0:1]
	v_cmp_ge_u32_e64 s[0:1], v99, v100
	s_or_b64 s[14:15], s[0:1], s[14:15]
	s_andn2_b64 exec, exec, s[14:15]
	s_cbranch_execz .LBB632_617
.LBB632_612:                            ;   Parent Loop BB632_608 Depth=1
                                        ; =>  This Loop Header: Depth=2
                                        ;       Child Loop BB632_615 Depth 3
	v_add_u32_e32 v54, v100, v99
	v_lshrrev_b32_e32 v80, 1, v54
	s_mov_b64 s[0:1], 0
	s_and_saveexec_b64 s[16:17], vcc
	s_cbranch_execz .LBB632_611
; %bb.613:                              ;   in Loop: Header=BB632_612 Depth=2
	v_mov_b32_e32 v81, v55
	v_xad_u32 v54, v80, -1, v98
	v_lshl_add_u64 v[82:83], v[80:81], 3, v[68:69]
	v_lshl_add_u64 v[84:85], v[54:55], 3, v[70:71]
	flat_load_dwordx2 v[82:83], v[82:83]
	s_mov_b64 s[18:19], 0
	flat_load_dwordx2 v[84:85], v[84:85]
                                        ; implicit-def: $sgpr20_sgpr21
                                        ; implicit-def: $sgpr22_sgpr23
                                        ; implicit-def: $sgpr24_sgpr25
                                        ; implicit-def: $sgpr2_sgpr3
                                        ; implicit-def: $sgpr26_sgpr27
	s_waitcnt vmcnt(0) lgkmcnt(0)
	v_mul_lo_u32 v54, v66, v83
	v_mul_lo_u32 v81, v67, v82
	v_mad_u64_u32 v[82:83], s[0:1], v66, v82, v[8:9]
	v_mul_lo_u32 v86, v66, v85
	v_mul_lo_u32 v87, v67, v84
	v_mad_u64_u32 v[84:85], s[0:1], v66, v84, v[8:9]
	v_add3_u32 v83, v81, v83, v54
	v_add3_u32 v85, v87, v85, v86
	v_mov_b64_e32 v[86:87], v[6:7]
	s_branch .LBB632_615
.LBB632_614:                            ;   in Loop: Header=BB632_615 Depth=3
	s_or_b64 exec, exec, s[28:29]
	s_and_b64 s[0:1], exec, s[22:23]
	s_or_b64 s[18:19], s[0:1], s[18:19]
	s_andn2_b64 s[0:1], s[26:27], exec
	s_and_b64 s[4:5], s[24:25], exec
	s_or_b64 s[26:27], s[0:1], s[4:5]
	s_andn2_b64 s[0:1], s[20:21], exec
	s_and_b64 s[4:5], s[2:3], exec
	s_or_b64 s[20:21], s[0:1], s[4:5]
	s_andn2_b64 exec, exec, s[18:19]
	s_cbranch_execz .LBB632_610
.LBB632_615:                            ;   Parent Loop BB632_608 Depth=1
                                        ;     Parent Loop BB632_612 Depth=2
                                        ; =>    This Inner Loop Header: Depth=3
	flat_load_ushort v54, v[84:85]
	flat_load_ushort v81, v[82:83]
	s_andn2_b64 s[28:29], s[2:3], exec
	s_andn2_b64 s[24:25], s[24:25], exec
	s_or_b64 s[22:23], s[22:23], exec
	s_waitcnt vmcnt(0) lgkmcnt(0)
	v_cmp_le_i16_e64 s[2:3], v54, v81
	v_cmp_lt_i16_e64 s[0:1], v54, v81
	s_and_b64 s[2:3], s[2:3], s[26:27]
	s_or_b64 s[30:31], s[0:1], s[2:3]
	s_and_b64 s[0:1], s[30:31], exec
	v_cmp_eq_u16_e64 s[4:5], v54, v81
	s_or_b64 s[2:3], s[28:29], s[0:1]
	s_and_saveexec_b64 s[28:29], s[4:5]
	s_cbranch_execz .LBB632_614
; %bb.616:                              ;   in Loop: Header=BB632_615 Depth=3
	v_lshl_add_u64 v[86:87], v[86:87], 0, -1
	v_cmp_eq_u64_e64 s[0:1], 0, v[86:87]
	s_andn2_b64 s[4:5], s[24:25], exec
	s_and_b64 s[24:25], s[30:31], exec
	s_or_b64 s[24:25], s[4:5], s[24:25]
	s_andn2_b64 s[4:5], s[22:23], exec
	s_and_b64 s[0:1], s[0:1], exec
	v_lshl_add_u64 v[82:83], v[82:83], 0, 2
	v_lshl_add_u64 v[84:85], v[84:85], 0, 2
	s_andn2_b64 s[2:3], s[2:3], exec
	s_or_b64 s[22:23], s[4:5], s[0:1]
                                        ; implicit-def: $sgpr26_sgpr27
	s_branch .LBB632_614
.LBB632_617:                            ;   in Loop: Header=BB632_608 Depth=1
	s_or_b64 exec, exec, s[14:15]
.LBB632_618:                            ;   in Loop: Header=BB632_608 Depth=1
	s_or_b64 exec, exec, s[10:11]
	v_sub_u32_e32 v54, v98, v99
	v_add_u32_e32 v68, v99, v97
	v_add_u32_e32 v70, v54, v31
	v_cmp_le_u32_e64 s[0:1], v68, v31
	v_cmp_le_u32_e64 s[2:3], v70, v96
	s_or_b64 s[0:1], s[0:1], s[2:3]
	s_and_saveexec_b64 s[10:11], s[0:1]
	s_cbranch_execz .LBB632_702
; %bb.619:                              ;   in Loop: Header=BB632_608 Depth=1
	v_cmp_ge_u32_e64 s[0:1], v68, v31
	v_cmp_lt_u32_e64 s[2:3], v68, v31
                                        ; implicit-def: $vgpr0_vgpr1
	s_and_saveexec_b64 s[4:5], s[2:3]
	s_cbranch_execz .LBB632_621
; %bb.620:                              ;   in Loop: Header=BB632_608 Depth=1
	v_mov_b32_e32 v69, v55
	v_lshl_add_u64 v[0:1], v[68:69], 3, v[10:11]
	flat_load_dwordx2 v[0:1], v[0:1]
.LBB632_621:                            ;   in Loop: Header=BB632_608 Depth=1
	s_or_b64 exec, exec, s[4:5]
	v_cmp_ge_u32_e64 s[14:15], v70, v96
	v_cmp_lt_u32_e64 s[2:3], v70, v96
                                        ; implicit-def: $vgpr20_vgpr21
	s_and_saveexec_b64 s[4:5], s[2:3]
	s_cbranch_execz .LBB632_623
; %bb.622:                              ;   in Loop: Header=BB632_608 Depth=1
	v_mov_b32_e32 v71, v55
	v_lshl_add_u64 v[2:3], v[70:71], 3, v[10:11]
	flat_load_dwordx2 v[20:21], v[2:3]
.LBB632_623:                            ;   in Loop: Header=BB632_608 Depth=1
	s_or_b64 exec, exec, s[4:5]
	s_or_b64 s[0:1], s[0:1], s[14:15]
	s_xor_b64 s[0:1], s[0:1], -1
	s_and_saveexec_b64 s[16:17], s[0:1]
	s_cbranch_execz .LBB632_631
; %bb.624:                              ;   in Loop: Header=BB632_608 Depth=1
	s_mov_b64 s[0:1], 0
	s_and_saveexec_b64 s[18:19], vcc
	s_cbranch_execz .LBB632_630
; %bb.625:                              ;   in Loop: Header=BB632_608 Depth=1
	s_waitcnt vmcnt(0) lgkmcnt(0)
	v_mad_u64_u32 v[2:3], s[0:1], v66, v0, v[8:9]
	v_mul_lo_u32 v12, v66, v1
	v_mul_lo_u32 v13, v67, v0
	v_add3_u32 v3, v13, v3, v12
	v_mad_u64_u32 v[12:13], s[0:1], v66, v20, v[8:9]
	v_mul_lo_u32 v14, v66, v21
	v_mul_lo_u32 v15, v67, v20
	v_add3_u32 v13, v15, v13, v14
	s_mov_b64 s[20:21], 0
	v_mov_b64_e32 v[14:15], v[6:7]
                                        ; implicit-def: $sgpr22_sgpr23
                                        ; implicit-def: $sgpr24_sgpr25
                                        ; implicit-def: $sgpr26_sgpr27
                                        ; implicit-def: $sgpr2_sgpr3
                                        ; implicit-def: $sgpr28_sgpr29
	s_branch .LBB632_627
.LBB632_626:                            ;   in Loop: Header=BB632_627 Depth=2
	s_or_b64 exec, exec, s[30:31]
	s_and_b64 s[0:1], exec, s[24:25]
	s_or_b64 s[20:21], s[0:1], s[20:21]
	s_andn2_b64 s[0:1], s[28:29], exec
	s_and_b64 s[4:5], s[26:27], exec
	s_or_b64 s[28:29], s[0:1], s[4:5]
	s_andn2_b64 s[0:1], s[22:23], exec
	s_and_b64 s[4:5], s[2:3], exec
	s_or_b64 s[22:23], s[0:1], s[4:5]
	s_andn2_b64 exec, exec, s[20:21]
	s_cbranch_execz .LBB632_629
.LBB632_627:                            ;   Parent Loop BB632_608 Depth=1
                                        ; =>  This Inner Loop Header: Depth=2
	flat_load_ushort v16, v[12:13]
	flat_load_ushort v17, v[2:3]
	s_andn2_b64 s[30:31], s[2:3], exec
	s_andn2_b64 s[26:27], s[26:27], exec
	s_or_b64 s[24:25], s[24:25], exec
	s_waitcnt vmcnt(0) lgkmcnt(0)
	v_cmp_le_i16_e64 s[2:3], v16, v17
	v_cmp_lt_i16_e64 s[0:1], v16, v17
	s_and_b64 s[2:3], s[2:3], s[28:29]
	s_or_b64 s[34:35], s[0:1], s[2:3]
	s_and_b64 s[0:1], s[34:35], exec
	v_cmp_eq_u16_e64 s[4:5], v16, v17
	s_or_b64 s[2:3], s[30:31], s[0:1]
	s_and_saveexec_b64 s[30:31], s[4:5]
	s_cbranch_execz .LBB632_626
; %bb.628:                              ;   in Loop: Header=BB632_627 Depth=2
	v_lshl_add_u64 v[14:15], v[14:15], 0, -1
	v_cmp_eq_u64_e64 s[0:1], 0, v[14:15]
	s_andn2_b64 s[4:5], s[26:27], exec
	s_and_b64 s[26:27], s[34:35], exec
	s_or_b64 s[26:27], s[4:5], s[26:27]
	s_andn2_b64 s[4:5], s[24:25], exec
	s_and_b64 s[0:1], s[0:1], exec
	v_lshl_add_u64 v[2:3], v[2:3], 0, 2
	v_lshl_add_u64 v[12:13], v[12:13], 0, 2
	s_andn2_b64 s[2:3], s[2:3], exec
	s_or_b64 s[24:25], s[4:5], s[0:1]
                                        ; implicit-def: $sgpr28_sgpr29
	s_branch .LBB632_626
.LBB632_629:                            ;   in Loop: Header=BB632_608 Depth=1
	s_or_b64 exec, exec, s[20:21]
	s_and_b64 s[0:1], s[22:23], exec
.LBB632_630:                            ;   in Loop: Header=BB632_608 Depth=1
	s_or_b64 exec, exec, s[18:19]
	s_xor_b64 s[0:1], s[0:1], -1
	s_andn2_b64 s[2:3], s[14:15], exec
	s_and_b64 s[0:1], s[0:1], exec
	s_or_b64 s[14:15], s[2:3], s[0:1]
.LBB632_631:                            ;   in Loop: Header=BB632_608 Depth=1
	s_or_b64 exec, exec, s[16:17]
	v_cndmask_b32_e64 v2, v70, v68, s[14:15]
	v_cndmask_b32_e64 v3, v96, v31, s[14:15]
	v_add_u32_e32 v12, 1, v2
	v_add_u32_e32 v2, -1, v3
	v_min_u32_e32 v54, v12, v2
	v_lshl_add_u64 v[2:3], v[54:55], 3, v[10:11]
	flat_load_dwordx2 v[2:3], v[2:3]
	v_cndmask_b32_e64 v16, v12, v70, s[14:15]
	s_mov_b64 s[16:17], -1
	v_cndmask_b32_e64 v17, v68, v12, s[14:15]
	v_cmp_lt_u32_e64 s[0:1], v16, v96
	s_mov_b64 s[18:19], -1
	s_waitcnt vmcnt(0) lgkmcnt(0)
	v_cndmask_b32_e64 v22, v3, v21, s[14:15]
	v_cndmask_b32_e64 v68, v2, v20, s[14:15]
	;; [unrolled: 1-line block ×4, first 2 shown]
	s_and_saveexec_b64 s[20:21], s[0:1]
	s_cbranch_execz .LBB632_641
; %bb.632:                              ;   in Loop: Header=BB632_608 Depth=1
	v_cmp_lt_u32_e64 s[0:1], v17, v31
	s_mov_b64 s[2:3], 0
	s_and_saveexec_b64 s[18:19], s[0:1]
	s_cbranch_execz .LBB632_640
; %bb.633:                              ;   in Loop: Header=BB632_608 Depth=1
	s_mov_b64 s[0:1], 0
	s_and_saveexec_b64 s[22:23], vcc
	s_cbranch_execz .LBB632_639
; %bb.634:                              ;   in Loop: Header=BB632_608 Depth=1
	v_mad_u64_u32 v[2:3], s[0:1], v66, v69, v[8:9]
	v_mul_lo_u32 v12, v66, v23
	v_mul_lo_u32 v13, v67, v69
	v_add3_u32 v3, v13, v3, v12
	v_mad_u64_u32 v[12:13], s[0:1], v66, v68, v[8:9]
	v_mul_lo_u32 v14, v66, v22
	v_mul_lo_u32 v15, v67, v68
	v_add3_u32 v13, v15, v13, v14
	s_mov_b64 s[24:25], 0
	v_mov_b64_e32 v[14:15], v[6:7]
                                        ; implicit-def: $sgpr26_sgpr27
                                        ; implicit-def: $sgpr28_sgpr29
                                        ; implicit-def: $sgpr30_sgpr31
                                        ; implicit-def: $sgpr2_sgpr3
                                        ; implicit-def: $sgpr34_sgpr35
	s_branch .LBB632_636
.LBB632_635:                            ;   in Loop: Header=BB632_636 Depth=2
	s_or_b64 exec, exec, s[36:37]
	s_and_b64 s[0:1], exec, s[28:29]
	s_or_b64 s[24:25], s[0:1], s[24:25]
	s_andn2_b64 s[0:1], s[34:35], exec
	s_and_b64 s[4:5], s[30:31], exec
	s_or_b64 s[34:35], s[0:1], s[4:5]
	s_andn2_b64 s[0:1], s[26:27], exec
	s_and_b64 s[4:5], s[2:3], exec
	s_or_b64 s[26:27], s[0:1], s[4:5]
	s_andn2_b64 exec, exec, s[24:25]
	s_cbranch_execz .LBB632_638
.LBB632_636:                            ;   Parent Loop BB632_608 Depth=1
                                        ; =>  This Inner Loop Header: Depth=2
	flat_load_ushort v18, v[12:13]
	flat_load_ushort v19, v[2:3]
	s_andn2_b64 s[36:37], s[2:3], exec
	s_andn2_b64 s[30:31], s[30:31], exec
	s_or_b64 s[28:29], s[28:29], exec
	s_waitcnt vmcnt(0) lgkmcnt(0)
	v_cmp_le_i16_e64 s[2:3], v18, v19
	v_cmp_lt_i16_e64 s[0:1], v18, v19
	s_and_b64 s[2:3], s[2:3], s[34:35]
	s_or_b64 s[38:39], s[0:1], s[2:3]
	s_and_b64 s[0:1], s[38:39], exec
	v_cmp_eq_u16_e64 s[4:5], v18, v19
	s_or_b64 s[2:3], s[36:37], s[0:1]
	s_and_saveexec_b64 s[36:37], s[4:5]
	s_cbranch_execz .LBB632_635
; %bb.637:                              ;   in Loop: Header=BB632_636 Depth=2
	v_lshl_add_u64 v[14:15], v[14:15], 0, -1
	v_cmp_eq_u64_e64 s[0:1], 0, v[14:15]
	s_andn2_b64 s[4:5], s[30:31], exec
	s_and_b64 s[30:31], s[38:39], exec
	s_or_b64 s[30:31], s[4:5], s[30:31]
	s_andn2_b64 s[4:5], s[28:29], exec
	s_and_b64 s[0:1], s[0:1], exec
	v_lshl_add_u64 v[2:3], v[2:3], 0, 2
	v_lshl_add_u64 v[12:13], v[12:13], 0, 2
	s_andn2_b64 s[2:3], s[2:3], exec
	s_or_b64 s[28:29], s[4:5], s[0:1]
                                        ; implicit-def: $sgpr34_sgpr35
	s_branch .LBB632_635
.LBB632_638:                            ;   in Loop: Header=BB632_608 Depth=1
	s_or_b64 exec, exec, s[24:25]
	s_and_b64 s[0:1], s[26:27], exec
.LBB632_639:                            ;   in Loop: Header=BB632_608 Depth=1
	s_or_b64 exec, exec, s[22:23]
	s_xor_b64 s[0:1], s[0:1], -1
	s_and_b64 s[2:3], s[0:1], exec
.LBB632_640:                            ;   in Loop: Header=BB632_608 Depth=1
	s_or_b64 exec, exec, s[18:19]
	s_orn2_b64 s[18:19], s[2:3], exec
.LBB632_641:                            ;   in Loop: Header=BB632_608 Depth=1
	s_or_b64 exec, exec, s[20:21]
	v_cndmask_b32_e64 v2, v16, v17, s[18:19]
	v_cndmask_b32_e64 v3, v96, v31, s[18:19]
	v_add_u32_e32 v12, 1, v2
	v_add_u32_e32 v2, -1, v3
	v_min_u32_e32 v54, v12, v2
	v_lshl_add_u64 v[2:3], v[54:55], 3, v[10:11]
	flat_load_dwordx2 v[2:3], v[2:3]
	v_cndmask_b32_e64 v16, v12, v16, s[18:19]
	v_cndmask_b32_e64 v17, v17, v12, s[18:19]
	v_cmp_lt_u32_e64 s[0:1], v16, v96
	s_waitcnt vmcnt(0) lgkmcnt(0)
	v_cndmask_b32_e64 v70, v3, v22, s[18:19]
	v_cndmask_b32_e64 v71, v2, v68, s[18:19]
	;; [unrolled: 1-line block ×4, first 2 shown]
	s_and_saveexec_b64 s[20:21], s[0:1]
	s_cbranch_execz .LBB632_651
; %bb.642:                              ;   in Loop: Header=BB632_608 Depth=1
	v_cmp_lt_u32_e64 s[0:1], v17, v31
	s_mov_b64 s[2:3], 0
	s_and_saveexec_b64 s[16:17], s[0:1]
	s_cbranch_execz .LBB632_650
; %bb.643:                              ;   in Loop: Header=BB632_608 Depth=1
	s_mov_b64 s[0:1], 0
	s_and_saveexec_b64 s[22:23], vcc
	s_cbranch_execz .LBB632_649
; %bb.644:                              ;   in Loop: Header=BB632_608 Depth=1
	v_mad_u64_u32 v[2:3], s[0:1], v66, v81, v[8:9]
	v_mul_lo_u32 v12, v66, v80
	v_mul_lo_u32 v13, v67, v81
	v_add3_u32 v3, v13, v3, v12
	v_mad_u64_u32 v[12:13], s[0:1], v66, v71, v[8:9]
	v_mul_lo_u32 v14, v66, v70
	v_mul_lo_u32 v15, v67, v71
	v_add3_u32 v13, v15, v13, v14
	s_mov_b64 s[24:25], 0
	v_mov_b64_e32 v[14:15], v[6:7]
                                        ; implicit-def: $sgpr26_sgpr27
                                        ; implicit-def: $sgpr28_sgpr29
                                        ; implicit-def: $sgpr30_sgpr31
                                        ; implicit-def: $sgpr2_sgpr3
                                        ; implicit-def: $sgpr34_sgpr35
	s_branch .LBB632_646
.LBB632_645:                            ;   in Loop: Header=BB632_646 Depth=2
	s_or_b64 exec, exec, s[36:37]
	s_and_b64 s[0:1], exec, s[28:29]
	s_or_b64 s[24:25], s[0:1], s[24:25]
	s_andn2_b64 s[0:1], s[34:35], exec
	s_and_b64 s[4:5], s[30:31], exec
	s_or_b64 s[34:35], s[0:1], s[4:5]
	s_andn2_b64 s[0:1], s[26:27], exec
	s_and_b64 s[4:5], s[2:3], exec
	s_or_b64 s[26:27], s[0:1], s[4:5]
	s_andn2_b64 exec, exec, s[24:25]
	s_cbranch_execz .LBB632_648
.LBB632_646:                            ;   Parent Loop BB632_608 Depth=1
                                        ; =>  This Inner Loop Header: Depth=2
	flat_load_ushort v18, v[12:13]
	flat_load_ushort v19, v[2:3]
	s_andn2_b64 s[36:37], s[2:3], exec
	s_andn2_b64 s[30:31], s[30:31], exec
	s_or_b64 s[28:29], s[28:29], exec
	s_waitcnt vmcnt(0) lgkmcnt(0)
	v_cmp_le_i16_e64 s[2:3], v18, v19
	v_cmp_lt_i16_e64 s[0:1], v18, v19
	s_and_b64 s[2:3], s[2:3], s[34:35]
	s_or_b64 s[38:39], s[0:1], s[2:3]
	s_and_b64 s[0:1], s[38:39], exec
	v_cmp_eq_u16_e64 s[4:5], v18, v19
	s_or_b64 s[2:3], s[36:37], s[0:1]
	s_and_saveexec_b64 s[36:37], s[4:5]
	s_cbranch_execz .LBB632_645
; %bb.647:                              ;   in Loop: Header=BB632_646 Depth=2
	v_lshl_add_u64 v[14:15], v[14:15], 0, -1
	v_cmp_eq_u64_e64 s[0:1], 0, v[14:15]
	s_andn2_b64 s[4:5], s[30:31], exec
	s_and_b64 s[30:31], s[38:39], exec
	s_or_b64 s[30:31], s[4:5], s[30:31]
	s_andn2_b64 s[4:5], s[28:29], exec
	s_and_b64 s[0:1], s[0:1], exec
	v_lshl_add_u64 v[2:3], v[2:3], 0, 2
	v_lshl_add_u64 v[12:13], v[12:13], 0, 2
	s_andn2_b64 s[2:3], s[2:3], exec
	s_or_b64 s[28:29], s[4:5], s[0:1]
                                        ; implicit-def: $sgpr34_sgpr35
	s_branch .LBB632_645
.LBB632_648:                            ;   in Loop: Header=BB632_608 Depth=1
	s_or_b64 exec, exec, s[24:25]
	s_and_b64 s[0:1], s[26:27], exec
.LBB632_649:                            ;   in Loop: Header=BB632_608 Depth=1
	s_or_b64 exec, exec, s[22:23]
	s_xor_b64 s[0:1], s[0:1], -1
	s_and_b64 s[2:3], s[0:1], exec
.LBB632_650:                            ;   in Loop: Header=BB632_608 Depth=1
	s_or_b64 exec, exec, s[16:17]
	s_orn2_b64 s[16:17], s[2:3], exec
.LBB632_651:                            ;   in Loop: Header=BB632_608 Depth=1
	s_or_b64 exec, exec, s[20:21]
	v_cndmask_b32_e64 v2, v16, v17, s[16:17]
	v_cndmask_b32_e64 v3, v96, v31, s[16:17]
	v_add_u32_e32 v12, 1, v2
	v_add_u32_e32 v2, -1, v3
	v_min_u32_e32 v54, v12, v2
	v_lshl_add_u64 v[2:3], v[54:55], 3, v[10:11]
	flat_load_dwordx2 v[2:3], v[2:3]
	v_cndmask_b32_e64 v16, v12, v16, s[16:17]
	s_mov_b64 s[20:21], -1
	v_cndmask_b32_e64 v17, v17, v12, s[16:17]
	v_cmp_lt_u32_e64 s[0:1], v16, v96
	s_mov_b64 s[22:23], -1
	s_waitcnt vmcnt(0) lgkmcnt(0)
	v_cndmask_b32_e64 v82, v3, v70, s[16:17]
	v_cndmask_b32_e64 v83, v2, v71, s[16:17]
	;; [unrolled: 1-line block ×4, first 2 shown]
	s_and_saveexec_b64 s[24:25], s[0:1]
	s_cbranch_execz .LBB632_661
; %bb.652:                              ;   in Loop: Header=BB632_608 Depth=1
	v_cmp_lt_u32_e64 s[0:1], v17, v31
	s_mov_b64 s[2:3], 0
	s_and_saveexec_b64 s[22:23], s[0:1]
	s_cbranch_execz .LBB632_660
; %bb.653:                              ;   in Loop: Header=BB632_608 Depth=1
	s_mov_b64 s[0:1], -1
	s_and_saveexec_b64 s[26:27], vcc
	s_cbranch_execz .LBB632_659
; %bb.654:                              ;   in Loop: Header=BB632_608 Depth=1
	v_mad_u64_u32 v[2:3], s[0:1], v66, v85, v[8:9]
	v_mul_lo_u32 v12, v66, v84
	v_mul_lo_u32 v13, v67, v85
	v_add3_u32 v3, v13, v3, v12
	v_mad_u64_u32 v[12:13], s[0:1], v66, v83, v[8:9]
	v_mul_lo_u32 v14, v66, v82
	v_mul_lo_u32 v15, v67, v83
	v_add3_u32 v13, v15, v13, v14
	s_mov_b64 s[28:29], 0
	v_mov_b64_e32 v[14:15], v[6:7]
                                        ; implicit-def: $sgpr30_sgpr31
                                        ; implicit-def: $sgpr34_sgpr35
                                        ; implicit-def: $sgpr2_sgpr3
                                        ; implicit-def: $sgpr36_sgpr37
                                        ; implicit-def: $sgpr38_sgpr39
	s_branch .LBB632_656
.LBB632_655:                            ;   in Loop: Header=BB632_656 Depth=2
	s_or_b64 exec, exec, s[40:41]
	s_and_b64 s[0:1], exec, s[34:35]
	s_or_b64 s[28:29], s[0:1], s[28:29]
	s_andn2_b64 s[0:1], s[38:39], exec
	s_and_b64 s[4:5], s[36:37], exec
	s_or_b64 s[38:39], s[0:1], s[4:5]
	s_andn2_b64 s[0:1], s[30:31], exec
	s_and_b64 s[4:5], s[2:3], exec
	s_or_b64 s[30:31], s[0:1], s[4:5]
	s_andn2_b64 exec, exec, s[28:29]
	s_cbranch_execz .LBB632_658
.LBB632_656:                            ;   Parent Loop BB632_608 Depth=1
                                        ; =>  This Inner Loop Header: Depth=2
	flat_load_ushort v18, v[12:13]
	flat_load_ushort v19, v[2:3]
	s_andn2_b64 s[40:41], s[2:3], exec
	s_andn2_b64 s[36:37], s[36:37], exec
	s_or_b64 s[34:35], s[34:35], exec
	s_waitcnt vmcnt(0) lgkmcnt(0)
	v_cmp_le_i16_e64 s[2:3], v18, v19
	v_cmp_lt_i16_e64 s[0:1], v18, v19
	s_and_b64 s[2:3], s[2:3], s[38:39]
	s_or_b64 s[42:43], s[0:1], s[2:3]
	s_and_b64 s[0:1], s[42:43], exec
	v_cmp_eq_u16_e64 s[4:5], v18, v19
	s_or_b64 s[2:3], s[40:41], s[0:1]
	s_and_saveexec_b64 s[40:41], s[4:5]
	s_cbranch_execz .LBB632_655
; %bb.657:                              ;   in Loop: Header=BB632_656 Depth=2
	v_lshl_add_u64 v[14:15], v[14:15], 0, -1
	v_cmp_eq_u64_e64 s[0:1], 0, v[14:15]
	s_andn2_b64 s[4:5], s[36:37], exec
	s_and_b64 s[36:37], s[42:43], exec
	s_or_b64 s[36:37], s[4:5], s[36:37]
	s_andn2_b64 s[4:5], s[34:35], exec
	s_and_b64 s[0:1], s[0:1], exec
	v_lshl_add_u64 v[2:3], v[2:3], 0, 2
	v_lshl_add_u64 v[12:13], v[12:13], 0, 2
	s_andn2_b64 s[2:3], s[2:3], exec
	s_or_b64 s[34:35], s[4:5], s[0:1]
                                        ; implicit-def: $sgpr38_sgpr39
	s_branch .LBB632_655
.LBB632_658:                            ;   in Loop: Header=BB632_608 Depth=1
	s_or_b64 exec, exec, s[28:29]
	s_xor_b64 s[0:1], s[30:31], -1
	s_orn2_b64 s[0:1], s[0:1], exec
.LBB632_659:                            ;   in Loop: Header=BB632_608 Depth=1
	s_or_b64 exec, exec, s[26:27]
	s_and_b64 s[2:3], s[0:1], exec
.LBB632_660:                            ;   in Loop: Header=BB632_608 Depth=1
	s_or_b64 exec, exec, s[22:23]
	s_orn2_b64 s[22:23], s[2:3], exec
.LBB632_661:                            ;   in Loop: Header=BB632_608 Depth=1
	s_or_b64 exec, exec, s[24:25]
	v_cndmask_b32_e64 v2, v16, v17, s[22:23]
	v_cndmask_b32_e64 v3, v96, v31, s[22:23]
	v_add_u32_e32 v12, 1, v2
	v_add_u32_e32 v2, -1, v3
	v_min_u32_e32 v54, v12, v2
	v_lshl_add_u64 v[2:3], v[54:55], 3, v[10:11]
	flat_load_dwordx2 v[2:3], v[2:3]
	v_cndmask_b32_e64 v16, v12, v16, s[22:23]
	v_cndmask_b32_e64 v17, v17, v12, s[22:23]
	v_cmp_lt_u32_e64 s[0:1], v16, v96
	s_waitcnt vmcnt(0) lgkmcnt(0)
	v_cndmask_b32_e64 v86, v3, v82, s[22:23]
	v_cndmask_b32_e64 v87, v2, v83, s[22:23]
	;; [unrolled: 1-line block ×4, first 2 shown]
	s_and_saveexec_b64 s[24:25], s[0:1]
	s_cbranch_execz .LBB632_671
; %bb.662:                              ;   in Loop: Header=BB632_608 Depth=1
	v_cmp_lt_u32_e64 s[0:1], v17, v31
	s_mov_b64 s[2:3], 0
	s_and_saveexec_b64 s[20:21], s[0:1]
	s_cbranch_execz .LBB632_670
; %bb.663:                              ;   in Loop: Header=BB632_608 Depth=1
	s_mov_b64 s[0:1], -1
	s_and_saveexec_b64 s[26:27], vcc
	s_cbranch_execz .LBB632_669
; %bb.664:                              ;   in Loop: Header=BB632_608 Depth=1
	v_mad_u64_u32 v[2:3], s[0:1], v66, v98, v[8:9]
	v_mul_lo_u32 v12, v66, v97
	v_mul_lo_u32 v13, v67, v98
	v_add3_u32 v3, v13, v3, v12
	v_mad_u64_u32 v[12:13], s[0:1], v66, v87, v[8:9]
	v_mul_lo_u32 v14, v66, v86
	v_mul_lo_u32 v15, v67, v87
	v_add3_u32 v13, v15, v13, v14
	s_mov_b64 s[28:29], 0
	v_mov_b64_e32 v[14:15], v[6:7]
                                        ; implicit-def: $sgpr30_sgpr31
                                        ; implicit-def: $sgpr34_sgpr35
                                        ; implicit-def: $sgpr2_sgpr3
                                        ; implicit-def: $sgpr36_sgpr37
                                        ; implicit-def: $sgpr38_sgpr39
	s_branch .LBB632_666
.LBB632_665:                            ;   in Loop: Header=BB632_666 Depth=2
	s_or_b64 exec, exec, s[40:41]
	s_and_b64 s[0:1], exec, s[34:35]
	s_or_b64 s[28:29], s[0:1], s[28:29]
	s_andn2_b64 s[0:1], s[38:39], exec
	s_and_b64 s[4:5], s[36:37], exec
	s_or_b64 s[38:39], s[0:1], s[4:5]
	s_andn2_b64 s[0:1], s[30:31], exec
	s_and_b64 s[4:5], s[2:3], exec
	s_or_b64 s[30:31], s[0:1], s[4:5]
	s_andn2_b64 exec, exec, s[28:29]
	s_cbranch_execz .LBB632_668
.LBB632_666:                            ;   Parent Loop BB632_608 Depth=1
                                        ; =>  This Inner Loop Header: Depth=2
	flat_load_ushort v18, v[12:13]
	flat_load_ushort v19, v[2:3]
	s_andn2_b64 s[40:41], s[2:3], exec
	s_andn2_b64 s[36:37], s[36:37], exec
	s_or_b64 s[34:35], s[34:35], exec
	s_waitcnt vmcnt(0) lgkmcnt(0)
	v_cmp_le_i16_e64 s[2:3], v18, v19
	v_cmp_lt_i16_e64 s[0:1], v18, v19
	s_and_b64 s[2:3], s[2:3], s[38:39]
	s_or_b64 s[42:43], s[0:1], s[2:3]
	s_and_b64 s[0:1], s[42:43], exec
	v_cmp_eq_u16_e64 s[4:5], v18, v19
	s_or_b64 s[2:3], s[40:41], s[0:1]
	s_and_saveexec_b64 s[40:41], s[4:5]
	s_cbranch_execz .LBB632_665
; %bb.667:                              ;   in Loop: Header=BB632_666 Depth=2
	v_lshl_add_u64 v[14:15], v[14:15], 0, -1
	v_cmp_eq_u64_e64 s[0:1], 0, v[14:15]
	s_andn2_b64 s[4:5], s[36:37], exec
	s_and_b64 s[36:37], s[42:43], exec
	s_or_b64 s[36:37], s[4:5], s[36:37]
	s_andn2_b64 s[4:5], s[34:35], exec
	s_and_b64 s[0:1], s[0:1], exec
	v_lshl_add_u64 v[2:3], v[2:3], 0, 2
	v_lshl_add_u64 v[12:13], v[12:13], 0, 2
	s_andn2_b64 s[2:3], s[2:3], exec
	s_or_b64 s[34:35], s[4:5], s[0:1]
                                        ; implicit-def: $sgpr38_sgpr39
	s_branch .LBB632_665
.LBB632_668:                            ;   in Loop: Header=BB632_608 Depth=1
	s_or_b64 exec, exec, s[28:29]
	s_xor_b64 s[0:1], s[30:31], -1
	s_orn2_b64 s[0:1], s[0:1], exec
.LBB632_669:                            ;   in Loop: Header=BB632_608 Depth=1
	s_or_b64 exec, exec, s[26:27]
	s_and_b64 s[2:3], s[0:1], exec
.LBB632_670:                            ;   in Loop: Header=BB632_608 Depth=1
	s_or_b64 exec, exec, s[20:21]
	s_orn2_b64 s[20:21], s[2:3], exec
.LBB632_671:                            ;   in Loop: Header=BB632_608 Depth=1
	s_or_b64 exec, exec, s[24:25]
	v_cndmask_b32_e64 v2, v16, v17, s[20:21]
	v_cndmask_b32_e64 v3, v96, v31, s[20:21]
	v_add_u32_e32 v12, 1, v2
	v_add_u32_e32 v2, -1, v3
	v_min_u32_e32 v54, v12, v2
	v_lshl_add_u64 v[2:3], v[54:55], 3, v[10:11]
	flat_load_dwordx2 v[2:3], v[2:3]
	v_cndmask_b32_e64 v16, v12, v16, s[20:21]
	s_mov_b64 s[24:25], -1
	v_cndmask_b32_e64 v17, v17, v12, s[20:21]
	v_cmp_lt_u32_e64 s[0:1], v16, v96
	s_mov_b64 s[26:27], -1
	s_waitcnt vmcnt(0) lgkmcnt(0)
	v_cndmask_b32_e64 v99, v3, v86, s[20:21]
	v_cndmask_b32_e64 v100, v2, v87, s[20:21]
	;; [unrolled: 1-line block ×4, first 2 shown]
	s_and_saveexec_b64 s[28:29], s[0:1]
	s_cbranch_execz .LBB632_681
; %bb.672:                              ;   in Loop: Header=BB632_608 Depth=1
	v_cmp_lt_u32_e64 s[0:1], v17, v31
	s_mov_b64 s[2:3], 0
	s_and_saveexec_b64 s[26:27], s[0:1]
	s_cbranch_execz .LBB632_680
; %bb.673:                              ;   in Loop: Header=BB632_608 Depth=1
	s_mov_b64 s[0:1], -1
	s_and_saveexec_b64 s[30:31], vcc
	s_cbranch_execz .LBB632_679
; %bb.674:                              ;   in Loop: Header=BB632_608 Depth=1
	v_mad_u64_u32 v[2:3], s[0:1], v66, v102, v[8:9]
	v_mul_lo_u32 v12, v66, v101
	v_mul_lo_u32 v13, v67, v102
	v_add3_u32 v3, v13, v3, v12
	v_mad_u64_u32 v[12:13], s[0:1], v66, v100, v[8:9]
	v_mul_lo_u32 v14, v66, v99
	v_mul_lo_u32 v15, v67, v100
	v_add3_u32 v13, v15, v13, v14
	s_mov_b64 s[34:35], 0
	v_mov_b64_e32 v[14:15], v[6:7]
                                        ; implicit-def: $sgpr36_sgpr37
                                        ; implicit-def: $sgpr38_sgpr39
                                        ; implicit-def: $sgpr2_sgpr3
                                        ; implicit-def: $sgpr40_sgpr41
                                        ; implicit-def: $sgpr42_sgpr43
	s_branch .LBB632_676
.LBB632_675:                            ;   in Loop: Header=BB632_676 Depth=2
	s_or_b64 exec, exec, s[44:45]
	s_and_b64 s[0:1], exec, s[38:39]
	s_or_b64 s[34:35], s[0:1], s[34:35]
	s_andn2_b64 s[0:1], s[42:43], exec
	s_and_b64 s[4:5], s[40:41], exec
	s_or_b64 s[42:43], s[0:1], s[4:5]
	s_andn2_b64 s[0:1], s[36:37], exec
	s_and_b64 s[4:5], s[2:3], exec
	s_or_b64 s[36:37], s[0:1], s[4:5]
	s_andn2_b64 exec, exec, s[34:35]
	s_cbranch_execz .LBB632_678
.LBB632_676:                            ;   Parent Loop BB632_608 Depth=1
                                        ; =>  This Inner Loop Header: Depth=2
	flat_load_ushort v18, v[12:13]
	flat_load_ushort v19, v[2:3]
	s_andn2_b64 s[44:45], s[2:3], exec
	s_andn2_b64 s[40:41], s[40:41], exec
	s_or_b64 s[38:39], s[38:39], exec
	s_waitcnt vmcnt(0) lgkmcnt(0)
	v_cmp_le_i16_e64 s[2:3], v18, v19
	v_cmp_lt_i16_e64 s[0:1], v18, v19
	s_and_b64 s[2:3], s[2:3], s[42:43]
	s_or_b64 s[46:47], s[0:1], s[2:3]
	s_and_b64 s[0:1], s[46:47], exec
	v_cmp_eq_u16_e64 s[4:5], v18, v19
	s_or_b64 s[2:3], s[44:45], s[0:1]
	s_and_saveexec_b64 s[44:45], s[4:5]
	s_cbranch_execz .LBB632_675
; %bb.677:                              ;   in Loop: Header=BB632_676 Depth=2
	v_lshl_add_u64 v[14:15], v[14:15], 0, -1
	v_cmp_eq_u64_e64 s[0:1], 0, v[14:15]
	s_andn2_b64 s[4:5], s[40:41], exec
	s_and_b64 s[40:41], s[46:47], exec
	s_or_b64 s[40:41], s[4:5], s[40:41]
	s_andn2_b64 s[4:5], s[38:39], exec
	s_and_b64 s[0:1], s[0:1], exec
	v_lshl_add_u64 v[2:3], v[2:3], 0, 2
	v_lshl_add_u64 v[12:13], v[12:13], 0, 2
	s_andn2_b64 s[2:3], s[2:3], exec
	s_or_b64 s[38:39], s[4:5], s[0:1]
                                        ; implicit-def: $sgpr42_sgpr43
	s_branch .LBB632_675
.LBB632_678:                            ;   in Loop: Header=BB632_608 Depth=1
	s_or_b64 exec, exec, s[34:35]
	s_xor_b64 s[0:1], s[36:37], -1
	s_orn2_b64 s[0:1], s[0:1], exec
.LBB632_679:                            ;   in Loop: Header=BB632_608 Depth=1
	s_or_b64 exec, exec, s[30:31]
	s_and_b64 s[2:3], s[0:1], exec
.LBB632_680:                            ;   in Loop: Header=BB632_608 Depth=1
	s_or_b64 exec, exec, s[26:27]
	s_orn2_b64 s[26:27], s[2:3], exec
.LBB632_681:                            ;   in Loop: Header=BB632_608 Depth=1
	s_or_b64 exec, exec, s[28:29]
	v_cndmask_b32_e64 v2, v16, v17, s[26:27]
	v_cndmask_b32_e64 v3, v96, v31, s[26:27]
	v_add_u32_e32 v12, 1, v2
	v_add_u32_e32 v2, -1, v3
	v_min_u32_e32 v54, v12, v2
	v_lshl_add_u64 v[2:3], v[54:55], 3, v[10:11]
	flat_load_dwordx2 v[2:3], v[2:3]
	v_cndmask_b32_e64 v18, v12, v16, s[26:27]
	v_cndmask_b32_e64 v16, v17, v12, s[26:27]
	v_cmp_lt_u32_e64 s[0:1], v18, v96
	s_waitcnt vmcnt(0) lgkmcnt(0)
	v_cndmask_b32_e64 v103, v3, v99, s[26:27]
	v_cndmask_b32_e64 v112, v2, v100, s[26:27]
	;; [unrolled: 1-line block ×4, first 2 shown]
	s_and_saveexec_b64 s[28:29], s[0:1]
	s_cbranch_execz .LBB632_691
; %bb.682:                              ;   in Loop: Header=BB632_608 Depth=1
	v_cmp_lt_u32_e64 s[0:1], v16, v31
	s_mov_b64 s[2:3], 0
	s_and_saveexec_b64 s[24:25], s[0:1]
	s_cbranch_execz .LBB632_690
; %bb.683:                              ;   in Loop: Header=BB632_608 Depth=1
	s_mov_b64 s[0:1], -1
	s_and_saveexec_b64 s[30:31], vcc
	s_cbranch_execz .LBB632_689
; %bb.684:                              ;   in Loop: Header=BB632_608 Depth=1
	v_mad_u64_u32 v[2:3], s[0:1], v66, v114, v[8:9]
	v_mul_lo_u32 v12, v66, v113
	v_mul_lo_u32 v13, v67, v114
	v_add3_u32 v3, v13, v3, v12
	v_mad_u64_u32 v[12:13], s[0:1], v66, v112, v[8:9]
	v_mul_lo_u32 v14, v66, v103
	v_mul_lo_u32 v15, v67, v112
	v_add3_u32 v13, v15, v13, v14
	s_mov_b64 s[34:35], 0
	v_mov_b64_e32 v[14:15], v[6:7]
                                        ; implicit-def: $sgpr36_sgpr37
                                        ; implicit-def: $sgpr38_sgpr39
                                        ; implicit-def: $sgpr2_sgpr3
                                        ; implicit-def: $sgpr40_sgpr41
                                        ; implicit-def: $sgpr42_sgpr43
	s_branch .LBB632_686
.LBB632_685:                            ;   in Loop: Header=BB632_686 Depth=2
	s_or_b64 exec, exec, s[44:45]
	s_and_b64 s[0:1], exec, s[38:39]
	s_or_b64 s[34:35], s[0:1], s[34:35]
	s_andn2_b64 s[0:1], s[42:43], exec
	s_and_b64 s[4:5], s[40:41], exec
	s_or_b64 s[42:43], s[0:1], s[4:5]
	s_andn2_b64 s[0:1], s[36:37], exec
	s_and_b64 s[4:5], s[2:3], exec
	s_or_b64 s[36:37], s[0:1], s[4:5]
	s_andn2_b64 exec, exec, s[34:35]
	s_cbranch_execz .LBB632_688
.LBB632_686:                            ;   Parent Loop BB632_608 Depth=1
                                        ; =>  This Inner Loop Header: Depth=2
	flat_load_ushort v17, v[12:13]
	flat_load_ushort v19, v[2:3]
	s_andn2_b64 s[44:45], s[2:3], exec
	s_andn2_b64 s[40:41], s[40:41], exec
	s_or_b64 s[38:39], s[38:39], exec
	s_waitcnt vmcnt(0) lgkmcnt(0)
	v_cmp_le_i16_e64 s[2:3], v17, v19
	v_cmp_lt_i16_e64 s[0:1], v17, v19
	s_and_b64 s[2:3], s[2:3], s[42:43]
	s_or_b64 s[46:47], s[0:1], s[2:3]
	s_and_b64 s[0:1], s[46:47], exec
	v_cmp_eq_u16_e64 s[4:5], v17, v19
	s_or_b64 s[2:3], s[44:45], s[0:1]
	s_and_saveexec_b64 s[44:45], s[4:5]
	s_cbranch_execz .LBB632_685
; %bb.687:                              ;   in Loop: Header=BB632_686 Depth=2
	v_lshl_add_u64 v[14:15], v[14:15], 0, -1
	v_cmp_eq_u64_e64 s[0:1], 0, v[14:15]
	s_andn2_b64 s[4:5], s[40:41], exec
	s_and_b64 s[40:41], s[46:47], exec
	s_or_b64 s[40:41], s[4:5], s[40:41]
	s_andn2_b64 s[4:5], s[38:39], exec
	s_and_b64 s[0:1], s[0:1], exec
	v_lshl_add_u64 v[2:3], v[2:3], 0, 2
	v_lshl_add_u64 v[12:13], v[12:13], 0, 2
	s_andn2_b64 s[2:3], s[2:3], exec
	s_or_b64 s[38:39], s[4:5], s[0:1]
                                        ; implicit-def: $sgpr42_sgpr43
	s_branch .LBB632_685
.LBB632_688:                            ;   in Loop: Header=BB632_608 Depth=1
	s_or_b64 exec, exec, s[34:35]
	s_xor_b64 s[0:1], s[36:37], -1
	s_orn2_b64 s[0:1], s[0:1], exec
.LBB632_689:                            ;   in Loop: Header=BB632_608 Depth=1
	s_or_b64 exec, exec, s[30:31]
	s_and_b64 s[2:3], s[0:1], exec
.LBB632_690:                            ;   in Loop: Header=BB632_608 Depth=1
	s_or_b64 exec, exec, s[24:25]
	s_orn2_b64 s[24:25], s[2:3], exec
.LBB632_691:                            ;   in Loop: Header=BB632_608 Depth=1
	s_or_b64 exec, exec, s[28:29]
	v_cndmask_b32_e64 v2, v18, v16, s[24:25]
	v_cndmask_b32_e64 v3, v96, v31, s[24:25]
	v_add_u32_e32 v14, 1, v2
	v_add_u32_e32 v2, -1, v3
	v_min_u32_e32 v54, v14, v2
	v_lshl_add_u64 v[2:3], v[54:55], 3, v[10:11]
	flat_load_dwordx2 v[12:13], v[2:3]
	v_cndmask_b32_e64 v15, v14, v18, s[24:25]
	v_cmp_lt_u32_e64 s[0:1], v15, v96
	s_waitcnt vmcnt(0) lgkmcnt(0)
	v_cndmask_b32_e64 v3, v113, v13, s[24:25]
	v_cndmask_b32_e64 v2, v114, v12, s[24:25]
	s_and_saveexec_b64 s[28:29], s[0:1]
	s_cbranch_execz .LBB632_701
; %bb.692:                              ;   in Loop: Header=BB632_608 Depth=1
	v_cndmask_b32_e64 v14, v16, v14, s[24:25]
	v_cndmask_b32_e64 v13, v13, v103, s[24:25]
	;; [unrolled: 1-line block ×3, first 2 shown]
	v_cmp_lt_u32_e64 s[0:1], v14, v31
	s_and_saveexec_b64 s[30:31], s[0:1]
	s_cbranch_execz .LBB632_700
; %bb.693:                              ;   in Loop: Header=BB632_608 Depth=1
	s_and_saveexec_b64 s[34:35], vcc
	s_cbranch_execz .LBB632_699
; %bb.694:                              ;   in Loop: Header=BB632_608 Depth=1
	v_mad_u64_u32 v[14:15], s[0:1], v66, v2, v[8:9]
	v_mul_lo_u32 v16, v66, v3
	v_mul_lo_u32 v17, v67, v2
	v_add3_u32 v15, v17, v15, v16
	v_mad_u64_u32 v[16:17], s[0:1], v66, v12, v[8:9]
	v_mul_lo_u32 v18, v66, v13
	v_mul_lo_u32 v19, v67, v12
	v_add3_u32 v17, v19, v17, v18
	s_mov_b64 s[36:37], 0
	v_mov_b64_e32 v[18:19], v[6:7]
                                        ; implicit-def: $sgpr38_sgpr39
                                        ; implicit-def: $sgpr40_sgpr41
                                        ; implicit-def: $sgpr2_sgpr3
                                        ; implicit-def: $sgpr42_sgpr43
                                        ; implicit-def: $sgpr44_sgpr45
	s_branch .LBB632_696
.LBB632_695:                            ;   in Loop: Header=BB632_696 Depth=2
	s_or_b64 exec, exec, s[46:47]
	s_and_b64 s[0:1], exec, s[40:41]
	s_or_b64 s[36:37], s[0:1], s[36:37]
	s_andn2_b64 s[0:1], s[44:45], exec
	s_and_b64 s[4:5], s[42:43], exec
	s_or_b64 s[44:45], s[0:1], s[4:5]
	s_andn2_b64 s[0:1], s[38:39], exec
	s_and_b64 s[4:5], s[2:3], exec
	s_or_b64 s[38:39], s[0:1], s[4:5]
	s_andn2_b64 exec, exec, s[36:37]
	s_cbranch_execz .LBB632_698
.LBB632_696:                            ;   Parent Loop BB632_608 Depth=1
                                        ; =>  This Inner Loop Header: Depth=2
	flat_load_ushort v31, v[16:17]
	flat_load_ushort v54, v[14:15]
	s_andn2_b64 s[46:47], s[2:3], exec
	s_andn2_b64 s[42:43], s[42:43], exec
	s_or_b64 s[40:41], s[40:41], exec
	s_waitcnt vmcnt(0) lgkmcnt(0)
	v_cmp_le_i16_e64 s[2:3], v31, v54
	v_cmp_lt_i16_e64 s[0:1], v31, v54
	s_and_b64 s[2:3], s[2:3], s[44:45]
	s_or_b64 s[48:49], s[0:1], s[2:3]
	s_and_b64 s[0:1], s[48:49], exec
	v_cmp_eq_u16_e64 s[4:5], v31, v54
	s_or_b64 s[2:3], s[46:47], s[0:1]
	s_and_saveexec_b64 s[46:47], s[4:5]
	s_cbranch_execz .LBB632_695
; %bb.697:                              ;   in Loop: Header=BB632_696 Depth=2
	v_lshl_add_u64 v[18:19], v[18:19], 0, -1
	v_cmp_eq_u64_e64 s[0:1], 0, v[18:19]
	s_andn2_b64 s[4:5], s[42:43], exec
	s_and_b64 s[42:43], s[48:49], exec
	s_or_b64 s[42:43], s[4:5], s[42:43]
	s_andn2_b64 s[4:5], s[40:41], exec
	s_and_b64 s[0:1], s[0:1], exec
	v_lshl_add_u64 v[14:15], v[14:15], 0, 2
	v_lshl_add_u64 v[16:17], v[16:17], 0, 2
	s_andn2_b64 s[2:3], s[2:3], exec
	s_or_b64 s[40:41], s[4:5], s[0:1]
                                        ; implicit-def: $sgpr44_sgpr45
	s_branch .LBB632_695
.LBB632_698:                            ;   in Loop: Header=BB632_608 Depth=1
	s_or_b64 exec, exec, s[36:37]
	v_cndmask_b32_e64 v3, v3, v13, s[38:39]
	v_cndmask_b32_e64 v2, v2, v12, s[38:39]
.LBB632_699:                            ;   in Loop: Header=BB632_608 Depth=1
	s_or_b64 exec, exec, s[34:35]
	v_mov_b64_e32 v[12:13], v[2:3]
.LBB632_700:                            ;   in Loop: Header=BB632_608 Depth=1
	s_or_b64 exec, exec, s[30:31]
	v_mov_b64_e32 v[2:3], v[12:13]
.LBB632_701:                            ;   in Loop: Header=BB632_608 Depth=1
	s_or_b64 exec, exec, s[28:29]
	v_cndmask_b32_e64 v15, v99, v101, s[26:27]
	v_cndmask_b32_e64 v14, v100, v102, s[26:27]
	v_cndmask_b32_e64 v13, v86, v97, s[20:21]
	v_cndmask_b32_e64 v12, v87, v98, s[20:21]
	v_cndmask_b32_e64 v19, v82, v84, s[22:23]
	v_cndmask_b32_e64 v18, v83, v85, s[22:23]
	v_cndmask_b32_e64 v17, v70, v80, s[16:17]
	v_cndmask_b32_e64 v16, v71, v81, s[16:17]
	v_cndmask_b32_e64 v23, v22, v23, s[18:19]
	v_cndmask_b32_e64 v22, v68, v69, s[18:19]
	v_cndmask_b32_e64 v21, v21, v1, s[14:15]
	v_cndmask_b32_e64 v20, v20, v0, s[14:15]
	v_cndmask_b32_e64 v1, v103, v113, s[24:25]
	v_cndmask_b32_e64 v0, v112, v114, s[24:25]
.LBB632_702:                            ;   in Loop: Header=BB632_608 Depth=1
	s_or_b64 exec, exec, s[10:11]
	s_cmpk_lt_u32 s50, 0x400
	s_barrier
	s_cbranch_scc0 .LBB632_704
; %bb.703:                              ;   in Loop: Header=BB632_608 Depth=1
	s_mov_b32 s50, s51
	s_branch .LBB632_608
.LBB632_704:
	s_barrier
	flat_store_dwordx4 v[52:53], v[20:23]
	flat_store_dwordx4 v[52:53], v[16:19] offset:16
	flat_store_dwordx4 v[52:53], v[12:15] offset:32
	;; [unrolled: 1-line block ×3, first 2 shown]
	s_waitcnt lgkmcnt(0)
	s_barrier
	flat_load_dwordx2 v[0:1], v[24:25]
	flat_load_dwordx2 v[2:3], v[26:27] offset:2048
	flat_load_dwordx2 v[6:7], v[34:35]
	flat_load_dwordx2 v[8:9], v[32:33]
	flat_load_dwordx2 v[10:11], v[38:39]
	flat_load_dwordx2 v[14:15], v[36:37]
	flat_load_dwordx2 v[16:17], v[50:51]
	flat_load_dwordx2 v[12:13], v[48:49]
	v_mov_b32_e32 v31, 0
	s_movk_i32 s0, 0x1000
	v_lshl_add_u64 v[18:19], v[4:5], 0, v[30:31]
	v_add_co_u32_e32 v20, vcc, s0, v18
	s_mov_b64 s[38:39], exec
	s_nop 0
	v_addc_co_u32_e32 v21, vcc, 0, v19, vcc
	v_add_co_u32_e32 v22, vcc, 0x2000, v18
                                        ; implicit-def: $vgpr64
                                        ; implicit-def: $vgpr65
                                        ; implicit-def: $vgpr30
                                        ; implicit-def: $vgpr32
	s_nop 1
	v_addc_co_u32_e32 v23, vcc, 0, v19, vcc
	v_add_co_u32_e32 v24, vcc, 0x3000, v18
	s_nop 1
	v_addc_co_u32_e32 v25, vcc, 0, v19, vcc
	s_waitcnt vmcnt(0) lgkmcnt(0)
	flat_store_dwordx2 v[18:19], v[0:1]
	flat_store_dwordx2 v[18:19], v[2:3] offset:2048
	flat_store_dwordx2 v[20:21], v[6:7]
	flat_store_dwordx2 v[20:21], v[8:9] offset:2048
	;; [unrolled: 2-line block ×3, first 2 shown]
	flat_store_dwordx2 v[24:25], v[16:17]
                                        ; implicit-def: $vgpr0
                                        ; implicit-def: $vgpr6_vgpr7
                                        ; implicit-def: $vgpr2_vgpr3
                                        ; implicit-def: $vgpr8_vgpr9
                                        ; implicit-def: $vgpr10_vgpr11
                                        ; implicit-def: $vgpr1
	s_andn2_saveexec_b64 s[40:41], s[6:7]
	s_cbranch_execz .LBB632_2
.LBB632_705:
	v_cmp_lt_u32_e32 vcc, v28, v0
                                        ; implicit-def: $vgpr12_vgpr13
	s_and_saveexec_b64 s[0:1], vcc
	s_cbranch_execz .LBB632_707
; %bb.706:
	v_mov_b32_e32 v31, 0
	v_lshl_add_u64 v[12:13], v[2:3], 0, v[30:31]
	flat_load_dwordx2 v[12:13], v[12:13]
.LBB632_707:
	s_or_b64 exec, exec, s[0:1]
	v_add_u32_e32 v33, 0x100, v28
	v_cmp_lt_u32_e64 s[0:1], v33, v0
                                        ; implicit-def: $vgpr14_vgpr15
	s_and_saveexec_b64 s[2:3], s[0:1]
	s_cbranch_execz .LBB632_709
; %bb.708:
	v_mov_b32_e32 v31, 0
	v_lshl_add_u64 v[14:15], v[2:3], 0, v[30:31]
	flat_load_dwordx2 v[14:15], v[14:15] offset:2048
.LBB632_709:
	s_or_b64 exec, exec, s[2:3]
	v_add_u32_e32 v31, 0x200, v28
	v_cmp_lt_u32_e64 s[2:3], v31, v0
                                        ; implicit-def: $vgpr16_vgpr17
	s_and_saveexec_b64 s[4:5], s[2:3]
	s_cbranch_execz .LBB632_711
; %bb.710:
	v_lshlrev_b32_e32 v16, 3, v31
	v_mov_b32_e32 v17, 0
	v_lshl_add_u64 v[16:17], v[2:3], 0, v[16:17]
	flat_load_dwordx2 v[16:17], v[16:17]
.LBB632_711:
	s_or_b64 exec, exec, s[4:5]
	v_add_u32_e32 v36, 0x300, v28
	v_cmp_lt_u32_e64 s[4:5], v36, v0
                                        ; implicit-def: $vgpr18_vgpr19
	s_and_saveexec_b64 s[6:7], s[4:5]
	s_cbranch_execz .LBB632_713
; %bb.712:
	v_lshlrev_b32_e32 v18, 3, v36
	v_mov_b32_e32 v19, 0
	v_lshl_add_u64 v[18:19], v[2:3], 0, v[18:19]
	flat_load_dwordx2 v[18:19], v[18:19]
.LBB632_713:
	s_or_b64 exec, exec, s[6:7]
	v_or_b32_e32 v38, 0x400, v28
	v_cmp_lt_u32_e64 s[6:7], v38, v0
                                        ; implicit-def: $vgpr20_vgpr21
	s_and_saveexec_b64 s[10:11], s[6:7]
	s_cbranch_execz .LBB632_715
; %bb.714:
	v_lshlrev_b32_e32 v20, 3, v38
	v_mov_b32_e32 v21, 0
	v_lshl_add_u64 v[20:21], v[2:3], 0, v[20:21]
	flat_load_dwordx2 v[20:21], v[20:21]
.LBB632_715:
	s_or_b64 exec, exec, s[10:11]
	v_add_u32_e32 v48, 0x500, v28
	v_cmp_lt_u32_e64 s[30:31], v48, v0
                                        ; implicit-def: $vgpr22_vgpr23
	s_and_saveexec_b64 s[10:11], s[30:31]
	s_cbranch_execz .LBB632_717
; %bb.716:
	v_lshlrev_b32_e32 v22, 3, v48
	v_mov_b32_e32 v23, 0
	v_lshl_add_u64 v[22:23], v[2:3], 0, v[22:23]
	flat_load_dwordx2 v[22:23], v[22:23]
.LBB632_717:
	s_or_b64 exec, exec, s[10:11]
	v_add_u32_e32 v50, 0x600, v28
	v_cmp_lt_u32_e64 s[10:11], v50, v0
                                        ; implicit-def: $vgpr24_vgpr25
	s_and_saveexec_b64 s[14:15], s[10:11]
	s_cbranch_execz .LBB632_719
; %bb.718:
	v_lshlrev_b32_e32 v24, 3, v50
	v_mov_b32_e32 v25, 0
	v_lshl_add_u64 v[24:25], v[2:3], 0, v[24:25]
	flat_load_dwordx2 v[24:25], v[24:25]
.LBB632_719:
	s_or_b64 exec, exec, s[14:15]
	v_add_u32_e32 v52, 0x700, v28
	v_cmp_lt_u32_e64 s[14:15], v52, v0
                                        ; implicit-def: $vgpr26_vgpr27
	s_and_saveexec_b64 s[16:17], s[14:15]
	s_cbranch_execz .LBB632_721
; %bb.720:
	v_lshlrev_b32_e32 v26, 3, v52
	v_mov_b32_e32 v27, 0
	v_lshl_add_u64 v[2:3], v[2:3], 0, v[26:27]
	flat_load_dwordx2 v[26:27], v[2:3]
.LBB632_721:
	s_or_b64 exec, exec, s[16:17]
	v_mov_b32_e32 v29, 0
	v_add_lshl_u32 v2, v32, v28, 3
	v_mov_b32_e32 v3, v29
	v_lshl_add_u64 v[2:3], v[10:11], 0, v[2:3]
	s_waitcnt vmcnt(0) lgkmcnt(0)
	flat_store_dwordx2 v[2:3], v[12:13]
	v_lshrrev_b32_e32 v12, 5, v33
	v_add_lshl_u32 v12, v12, v28, 3
	v_mov_b32_e32 v13, v29
	v_lshl_add_u64 v[32:33], v[10:11], 0, v[12:13]
	v_lshrrev_b32_e32 v12, 5, v31
	v_add_lshl_u32 v12, v12, v31, 3
	v_lshl_add_u64 v[34:35], v[10:11], 0, v[12:13]
	v_lshrrev_b32_e32 v12, 5, v36
	v_add_lshl_u32 v12, v12, v36, 3
	;; [unrolled: 3-line block ×6, first 2 shown]
	v_lshl_add_u64 v[52:53], v[10:11], 0, v[12:13]
	v_add_lshl_u32 v12, v1, v30, 3
	v_lshl_add_u64 v[54:55], v[10:11], 0, v[12:13]
	flat_store_dwordx2 v[32:33], v[14:15] offset:2048
	flat_store_dwordx2 v[34:35], v[16:17]
	flat_store_dwordx2 v[36:37], v[18:19]
	;; [unrolled: 1-line block ×6, first 2 shown]
	s_waitcnt lgkmcnt(0)
	s_barrier
	flat_load_dwordx4 v[24:27], v[54:55]
	flat_load_dwordx4 v[20:23], v[54:55] offset:16
	flat_load_dwordx4 v[16:19], v[54:55] offset:32
	;; [unrolled: 1-line block ×3, first 2 shown]
	s_waitcnt lgkmcnt(0)
	s_barrier
	s_load_dwordx2 s[16:17], s[8:9], 0x0
	s_waitcnt lgkmcnt(0)
	s_cmp_lt_u32 s12, s16
	s_cselect_b32 s16, 12, 18
	s_cmp_lt_u32 s13, s17
	s_cselect_b32 s12, 14, 20
	s_add_u32 s12, s8, s12
	s_addc_u32 s13, s9, 0
	s_add_u32 s8, s8, s16
	s_addc_u32 s9, s9, 0
	global_load_ushort v1, v29, s[12:13]
	global_load_ushort v31, v29, s[8:9]
	v_cmp_lt_i64_e64 s[8:9], 0, v[6:7]
	s_waitcnt vmcnt(0)
	v_mad_u32_u24 v1, v65, v1, v64
	v_mul_lo_u32 v1, v1, v31
	v_add_lshl_u32 v1, v1, v28, 3
	v_sub_u32_e64 v31, v0, v1 clamp
	v_cmp_lt_u32_e64 s[16:17], 1, v31
	s_and_saveexec_b64 s[22:23], s[16:17]
	s_cbranch_execnz .LBB632_725
; %bb.722:
	s_or_b64 exec, exec, s[22:23]
	v_cmp_lt_u32_e64 s[18:19], 3, v31
	s_and_saveexec_b64 s[24:25], s[18:19]
	s_cbranch_execnz .LBB632_734
.LBB632_723:
	s_or_b64 exec, exec, s[24:25]
	v_cmp_lt_u32_e64 s[20:21], 5, v31
	s_and_saveexec_b64 s[26:27], s[20:21]
	s_cbranch_execnz .LBB632_743
.LBB632_724:
	s_or_b64 exec, exec, s[26:27]
	v_cmp_lt_u32_e64 s[22:23], 7, v31
	s_and_saveexec_b64 s[28:29], s[22:23]
	s_cbranch_execnz .LBB632_752
	s_branch .LBB632_761
.LBB632_725:
	s_and_saveexec_b64 s[24:25], s[8:9]
	s_cbranch_execz .LBB632_733
; %bb.726:
	v_mul_lo_u32 v66, v25, v6
	v_mul_lo_u32 v67, v24, v7
	v_mad_u64_u32 v[64:65], s[12:13], v24, v6, 0
	v_add3_u32 v65, v65, v67, v66
	v_mul_lo_u32 v68, v27, v6
	v_mul_lo_u32 v69, v26, v7
	v_mad_u64_u32 v[66:67], s[12:13], v26, v6, 0
	v_add3_u32 v67, v67, v69, v68
	v_lshl_add_u64 v[64:65], v[64:65], 1, v[8:9]
	v_lshl_add_u64 v[66:67], v[66:67], 1, v[8:9]
	s_mov_b64 s[28:29], 0
	v_mov_b64_e32 v[68:69], v[6:7]
                                        ; implicit-def: $sgpr26_sgpr27
                                        ; implicit-def: $sgpr34_sgpr35
                                        ; implicit-def: $sgpr42_sgpr43
                                        ; implicit-def: $sgpr36_sgpr37
                                        ; implicit-def: $sgpr44_sgpr45
                                        ; implicit-def: $sgpr46_sgpr47
	s_branch .LBB632_728
.LBB632_727:                            ;   in Loop: Header=BB632_728 Depth=1
	s_or_b64 exec, exec, s[48:49]
	s_and_b64 s[12:13], exec, s[42:43]
	s_or_b64 s[28:29], s[12:13], s[28:29]
	s_andn2_b64 s[12:13], s[46:47], exec
	s_and_b64 s[20:21], s[44:45], exec
	s_or_b64 s[46:47], s[12:13], s[20:21]
	s_andn2_b64 s[12:13], s[34:35], exec
	s_and_b64 s[20:21], s[36:37], exec
	s_or_b64 s[34:35], s[12:13], s[20:21]
	s_andn2_b64 s[12:13], s[26:27], exec
	s_and_b64 s[18:19], s[18:19], exec
	s_or_b64 s[26:27], s[12:13], s[18:19]
	s_andn2_b64 exec, exec, s[28:29]
	s_cbranch_execz .LBB632_730
.LBB632_728:                            ; =>This Inner Loop Header: Depth=1
	flat_load_ushort v70, v[66:67]
	flat_load_ushort v71, v[64:65]
	s_andn2_b64 s[44:45], s[44:45], exec
	s_or_b64 s[36:37], s[36:37], exec
	s_or_b64 s[42:43], s[42:43], exec
	s_waitcnt vmcnt(0) lgkmcnt(0)
	v_cmp_le_i16_e64 s[18:19], v70, v71
	v_cmp_lt_i16_e64 s[12:13], v70, v71
	s_and_b64 s[18:19], s[18:19], s[46:47]
	v_cmp_eq_u16_e64 s[20:21], v70, v71
	s_or_b64 s[18:19], s[12:13], s[18:19]
	s_and_saveexec_b64 s[48:49], s[20:21]
	s_cbranch_execz .LBB632_727
; %bb.729:                              ;   in Loop: Header=BB632_728 Depth=1
	v_lshl_add_u64 v[68:69], v[68:69], 0, -1
	v_cmp_eq_u64_e64 s[12:13], 0, v[68:69]
	s_andn2_b64 s[20:21], s[44:45], exec
	s_and_b64 s[44:45], s[18:19], exec
	s_or_b64 s[44:45], s[20:21], s[44:45]
	s_andn2_b64 s[20:21], s[42:43], exec
	s_and_b64 s[12:13], s[12:13], exec
	v_lshl_add_u64 v[64:65], v[64:65], 0, 2
	v_lshl_add_u64 v[66:67], v[66:67], 0, 2
	s_andn2_b64 s[36:37], s[36:37], exec
	s_or_b64 s[42:43], s[20:21], s[12:13]
                                        ; implicit-def: $sgpr46_sgpr47
	s_branch .LBB632_727
.LBB632_730:
	s_or_b64 exec, exec, s[28:29]
	s_and_saveexec_b64 s[12:13], s[34:35]
	s_xor_b64 s[12:13], exec, s[12:13]
; %bb.731:
	v_cndmask_b32_e64 v65, v27, v25, s[26:27]
	v_cndmask_b32_e64 v64, v26, v24, s[26:27]
	;; [unrolled: 1-line block ×4, first 2 shown]
	v_mov_b64_e32 v[26:27], v[64:65]
; %bb.732:
	s_or_b64 exec, exec, s[12:13]
.LBB632_733:
	s_or_b64 exec, exec, s[24:25]
	s_or_b64 exec, exec, s[22:23]
	v_cmp_lt_u32_e64 s[18:19], 3, v31
	s_and_saveexec_b64 s[24:25], s[18:19]
	s_cbranch_execz .LBB632_723
.LBB632_734:
	s_and_saveexec_b64 s[26:27], s[8:9]
	s_cbranch_execz .LBB632_742
; %bb.735:
	v_mul_lo_u32 v66, v21, v6
	v_mul_lo_u32 v67, v20, v7
	v_mad_u64_u32 v[64:65], s[12:13], v20, v6, 0
	v_add3_u32 v65, v65, v67, v66
	v_mul_lo_u32 v68, v23, v6
	v_mul_lo_u32 v69, v22, v7
	v_mad_u64_u32 v[66:67], s[12:13], v22, v6, 0
	v_add3_u32 v67, v67, v69, v68
	v_lshl_add_u64 v[64:65], v[64:65], 1, v[8:9]
	v_lshl_add_u64 v[66:67], v[66:67], 1, v[8:9]
	s_mov_b64 s[34:35], 0
	v_mov_b64_e32 v[68:69], v[6:7]
                                        ; implicit-def: $sgpr28_sgpr29
                                        ; implicit-def: $sgpr36_sgpr37
                                        ; implicit-def: $sgpr44_sgpr45
                                        ; implicit-def: $sgpr42_sgpr43
                                        ; implicit-def: $sgpr46_sgpr47
                                        ; implicit-def: $sgpr48_sgpr49
	s_branch .LBB632_737
.LBB632_736:                            ;   in Loop: Header=BB632_737 Depth=1
	s_or_b64 exec, exec, s[50:51]
	s_and_b64 s[12:13], exec, s[44:45]
	s_or_b64 s[34:35], s[12:13], s[34:35]
	s_andn2_b64 s[12:13], s[48:49], exec
	s_and_b64 s[22:23], s[46:47], exec
	s_or_b64 s[48:49], s[12:13], s[22:23]
	s_andn2_b64 s[12:13], s[36:37], exec
	s_and_b64 s[22:23], s[42:43], exec
	;; [unrolled: 3-line block ×3, first 2 shown]
	s_or_b64 s[28:29], s[12:13], s[20:21]
	s_andn2_b64 exec, exec, s[34:35]
	s_cbranch_execz .LBB632_739
.LBB632_737:                            ; =>This Inner Loop Header: Depth=1
	flat_load_ushort v70, v[66:67]
	flat_load_ushort v71, v[64:65]
	s_andn2_b64 s[46:47], s[46:47], exec
	s_or_b64 s[42:43], s[42:43], exec
	s_or_b64 s[44:45], s[44:45], exec
	s_waitcnt vmcnt(0) lgkmcnt(0)
	v_cmp_le_i16_e64 s[20:21], v70, v71
	v_cmp_lt_i16_e64 s[12:13], v70, v71
	s_and_b64 s[20:21], s[20:21], s[48:49]
	v_cmp_eq_u16_e64 s[22:23], v70, v71
	s_or_b64 s[20:21], s[12:13], s[20:21]
	s_and_saveexec_b64 s[50:51], s[22:23]
	s_cbranch_execz .LBB632_736
; %bb.738:                              ;   in Loop: Header=BB632_737 Depth=1
	v_lshl_add_u64 v[68:69], v[68:69], 0, -1
	v_cmp_eq_u64_e64 s[12:13], 0, v[68:69]
	s_andn2_b64 s[22:23], s[46:47], exec
	s_and_b64 s[46:47], s[20:21], exec
	s_or_b64 s[46:47], s[22:23], s[46:47]
	s_andn2_b64 s[22:23], s[44:45], exec
	s_and_b64 s[12:13], s[12:13], exec
	v_lshl_add_u64 v[64:65], v[64:65], 0, 2
	v_lshl_add_u64 v[66:67], v[66:67], 0, 2
	s_andn2_b64 s[42:43], s[42:43], exec
	s_or_b64 s[44:45], s[22:23], s[12:13]
                                        ; implicit-def: $sgpr48_sgpr49
	s_branch .LBB632_736
.LBB632_739:
	s_or_b64 exec, exec, s[34:35]
	s_and_saveexec_b64 s[12:13], s[36:37]
	s_xor_b64 s[12:13], exec, s[12:13]
; %bb.740:
	v_cndmask_b32_e64 v65, v21, v23, s[28:29]
	v_cndmask_b32_e64 v64, v20, v22, s[28:29]
	v_cndmask_b32_e64 v23, v23, v21, s[28:29]
	v_cndmask_b32_e64 v22, v22, v20, s[28:29]
	v_mov_b64_e32 v[20:21], v[64:65]
; %bb.741:
	s_or_b64 exec, exec, s[12:13]
.LBB632_742:
	s_or_b64 exec, exec, s[26:27]
	s_or_b64 exec, exec, s[24:25]
	v_cmp_lt_u32_e64 s[20:21], 5, v31
	s_and_saveexec_b64 s[26:27], s[20:21]
	s_cbranch_execz .LBB632_724
.LBB632_743:
	s_and_saveexec_b64 s[28:29], s[8:9]
	s_cbranch_execz .LBB632_751
; %bb.744:
	v_mul_lo_u32 v66, v17, v6
	v_mul_lo_u32 v67, v16, v7
	v_mad_u64_u32 v[64:65], s[12:13], v16, v6, 0
	v_add3_u32 v65, v65, v67, v66
	v_mul_lo_u32 v68, v19, v6
	v_mul_lo_u32 v69, v18, v7
	v_mad_u64_u32 v[66:67], s[12:13], v18, v6, 0
	v_add3_u32 v67, v67, v69, v68
	v_lshl_add_u64 v[64:65], v[64:65], 1, v[8:9]
	v_lshl_add_u64 v[66:67], v[66:67], 1, v[8:9]
	s_mov_b64 s[36:37], 0
	v_mov_b64_e32 v[68:69], v[6:7]
                                        ; implicit-def: $sgpr34_sgpr35
                                        ; implicit-def: $sgpr42_sgpr43
                                        ; implicit-def: $sgpr46_sgpr47
                                        ; implicit-def: $sgpr44_sgpr45
                                        ; implicit-def: $sgpr48_sgpr49
                                        ; implicit-def: $sgpr50_sgpr51
	s_branch .LBB632_746
.LBB632_745:                            ;   in Loop: Header=BB632_746 Depth=1
	s_or_b64 exec, exec, s[52:53]
	s_and_b64 s[12:13], exec, s[46:47]
	s_or_b64 s[36:37], s[12:13], s[36:37]
	s_andn2_b64 s[12:13], s[50:51], exec
	s_and_b64 s[24:25], s[48:49], exec
	s_or_b64 s[50:51], s[12:13], s[24:25]
	s_andn2_b64 s[12:13], s[42:43], exec
	s_and_b64 s[24:25], s[44:45], exec
	;; [unrolled: 3-line block ×3, first 2 shown]
	s_or_b64 s[34:35], s[12:13], s[22:23]
	s_andn2_b64 exec, exec, s[36:37]
	s_cbranch_execz .LBB632_748
.LBB632_746:                            ; =>This Inner Loop Header: Depth=1
	flat_load_ushort v70, v[66:67]
	flat_load_ushort v71, v[64:65]
	s_andn2_b64 s[48:49], s[48:49], exec
	s_or_b64 s[44:45], s[44:45], exec
	s_or_b64 s[46:47], s[46:47], exec
	s_waitcnt vmcnt(0) lgkmcnt(0)
	v_cmp_le_i16_e64 s[22:23], v70, v71
	v_cmp_lt_i16_e64 s[12:13], v70, v71
	s_and_b64 s[22:23], s[22:23], s[50:51]
	v_cmp_eq_u16_e64 s[24:25], v70, v71
	s_or_b64 s[22:23], s[12:13], s[22:23]
	s_and_saveexec_b64 s[52:53], s[24:25]
	s_cbranch_execz .LBB632_745
; %bb.747:                              ;   in Loop: Header=BB632_746 Depth=1
	v_lshl_add_u64 v[68:69], v[68:69], 0, -1
	v_cmp_eq_u64_e64 s[12:13], 0, v[68:69]
	s_andn2_b64 s[24:25], s[48:49], exec
	s_and_b64 s[48:49], s[22:23], exec
	s_or_b64 s[48:49], s[24:25], s[48:49]
	s_andn2_b64 s[24:25], s[46:47], exec
	s_and_b64 s[12:13], s[12:13], exec
	v_lshl_add_u64 v[64:65], v[64:65], 0, 2
	v_lshl_add_u64 v[66:67], v[66:67], 0, 2
	s_andn2_b64 s[44:45], s[44:45], exec
	s_or_b64 s[46:47], s[24:25], s[12:13]
                                        ; implicit-def: $sgpr50_sgpr51
	s_branch .LBB632_745
.LBB632_748:
	s_or_b64 exec, exec, s[36:37]
	s_and_saveexec_b64 s[12:13], s[42:43]
	s_xor_b64 s[12:13], exec, s[12:13]
; %bb.749:
	v_cndmask_b32_e64 v65, v17, v19, s[34:35]
	v_cndmask_b32_e64 v64, v16, v18, s[34:35]
	;; [unrolled: 1-line block ×4, first 2 shown]
	v_mov_b64_e32 v[16:17], v[64:65]
; %bb.750:
	s_or_b64 exec, exec, s[12:13]
.LBB632_751:
	s_or_b64 exec, exec, s[28:29]
	s_or_b64 exec, exec, s[26:27]
	v_cmp_lt_u32_e64 s[22:23], 7, v31
	s_and_saveexec_b64 s[28:29], s[22:23]
	s_cbranch_execz .LBB632_761
.LBB632_752:
	s_and_saveexec_b64 s[34:35], s[8:9]
	s_cbranch_execz .LBB632_760
; %bb.753:
	v_mul_lo_u32 v66, v13, v6
	v_mul_lo_u32 v67, v12, v7
	v_mad_u64_u32 v[64:65], s[12:13], v12, v6, 0
	v_add3_u32 v65, v65, v67, v66
	v_mul_lo_u32 v68, v15, v6
	v_mul_lo_u32 v69, v14, v7
	v_mad_u64_u32 v[66:67], s[12:13], v14, v6, 0
	v_add3_u32 v67, v67, v69, v68
	v_lshl_add_u64 v[64:65], v[64:65], 1, v[8:9]
	v_lshl_add_u64 v[66:67], v[66:67], 1, v[8:9]
	s_mov_b64 s[42:43], 0
	v_mov_b64_e32 v[68:69], v[6:7]
                                        ; implicit-def: $sgpr36_sgpr37
                                        ; implicit-def: $sgpr44_sgpr45
                                        ; implicit-def: $sgpr48_sgpr49
                                        ; implicit-def: $sgpr46_sgpr47
                                        ; implicit-def: $sgpr50_sgpr51
                                        ; implicit-def: $sgpr52_sgpr53
	s_branch .LBB632_755
.LBB632_754:                            ;   in Loop: Header=BB632_755 Depth=1
	s_or_b64 exec, exec, s[54:55]
	s_and_b64 s[12:13], exec, s[48:49]
	s_or_b64 s[42:43], s[12:13], s[42:43]
	s_andn2_b64 s[12:13], s[52:53], exec
	s_and_b64 s[26:27], s[50:51], exec
	s_or_b64 s[52:53], s[12:13], s[26:27]
	s_andn2_b64 s[12:13], s[44:45], exec
	s_and_b64 s[26:27], s[46:47], exec
	;; [unrolled: 3-line block ×3, first 2 shown]
	s_or_b64 s[36:37], s[12:13], s[24:25]
	s_andn2_b64 exec, exec, s[42:43]
	s_cbranch_execz .LBB632_757
.LBB632_755:                            ; =>This Inner Loop Header: Depth=1
	flat_load_ushort v70, v[66:67]
	flat_load_ushort v71, v[64:65]
	s_andn2_b64 s[50:51], s[50:51], exec
	s_or_b64 s[46:47], s[46:47], exec
	s_or_b64 s[48:49], s[48:49], exec
	s_waitcnt vmcnt(0) lgkmcnt(0)
	v_cmp_le_i16_e64 s[24:25], v70, v71
	v_cmp_lt_i16_e64 s[12:13], v70, v71
	s_and_b64 s[24:25], s[24:25], s[52:53]
	v_cmp_eq_u16_e64 s[26:27], v70, v71
	s_or_b64 s[24:25], s[12:13], s[24:25]
	s_and_saveexec_b64 s[54:55], s[26:27]
	s_cbranch_execz .LBB632_754
; %bb.756:                              ;   in Loop: Header=BB632_755 Depth=1
	v_lshl_add_u64 v[68:69], v[68:69], 0, -1
	v_cmp_eq_u64_e64 s[12:13], 0, v[68:69]
	s_andn2_b64 s[26:27], s[50:51], exec
	s_and_b64 s[50:51], s[24:25], exec
	s_or_b64 s[50:51], s[26:27], s[50:51]
	s_andn2_b64 s[26:27], s[48:49], exec
	s_and_b64 s[12:13], s[12:13], exec
	v_lshl_add_u64 v[64:65], v[64:65], 0, 2
	v_lshl_add_u64 v[66:67], v[66:67], 0, 2
	s_andn2_b64 s[46:47], s[46:47], exec
	s_or_b64 s[48:49], s[26:27], s[12:13]
                                        ; implicit-def: $sgpr52_sgpr53
	s_branch .LBB632_754
.LBB632_757:
	s_or_b64 exec, exec, s[42:43]
	s_and_saveexec_b64 s[12:13], s[44:45]
	s_xor_b64 s[12:13], exec, s[12:13]
; %bb.758:
	v_cndmask_b32_e64 v65, v13, v15, s[36:37]
	v_cndmask_b32_e64 v64, v12, v14, s[36:37]
	;; [unrolled: 1-line block ×4, first 2 shown]
	v_mov_b64_e32 v[12:13], v[64:65]
; %bb.759:
	s_or_b64 exec, exec, s[12:13]
.LBB632_760:
	s_or_b64 exec, exec, s[34:35]
.LBB632_761:
	s_or_b64 exec, exec, s[28:29]
	v_cmp_lt_u32_e64 s[24:25], 2, v31
	s_and_saveexec_b64 s[12:13], s[24:25]
	s_xor_b64 s[34:35], exec, s[12:13]
	s_cbranch_execnz .LBB632_785
; %bb.762:
	s_or_b64 exec, exec, s[34:35]
	v_cmp_lt_u32_e64 s[26:27], 4, v31
	s_and_saveexec_b64 s[36:37], s[26:27]
	s_cbranch_execnz .LBB632_794
.LBB632_763:
	s_or_b64 exec, exec, s[36:37]
	v_cmp_lt_u32_e64 s[28:29], 6, v31
	s_and_saveexec_b64 s[42:43], s[28:29]
	s_cbranch_execnz .LBB632_803
.LBB632_764:
	s_or_b64 exec, exec, s[42:43]
	s_and_saveexec_b64 s[42:43], s[16:17]
	s_cbranch_execnz .LBB632_812
.LBB632_765:
	s_or_b64 exec, exec, s[42:43]
	s_and_saveexec_b64 s[42:43], s[18:19]
	s_cbranch_execnz .LBB632_821
.LBB632_766:
	s_or_b64 exec, exec, s[42:43]
	s_and_saveexec_b64 s[42:43], s[20:21]
	s_cbranch_execnz .LBB632_830
.LBB632_767:
	s_or_b64 exec, exec, s[42:43]
	s_and_saveexec_b64 s[42:43], s[22:23]
	s_cbranch_execnz .LBB632_839
.LBB632_768:
	s_or_b64 exec, exec, s[42:43]
	s_and_saveexec_b64 s[42:43], s[24:25]
	s_cbranch_execnz .LBB632_848
.LBB632_769:
	s_or_b64 exec, exec, s[42:43]
	s_and_saveexec_b64 s[42:43], s[26:27]
	s_cbranch_execnz .LBB632_857
.LBB632_770:
	s_or_b64 exec, exec, s[42:43]
	s_and_saveexec_b64 s[42:43], s[28:29]
	s_cbranch_execnz .LBB632_866
.LBB632_771:
	s_or_b64 exec, exec, s[42:43]
	s_and_saveexec_b64 s[42:43], s[16:17]
	s_cbranch_execnz .LBB632_875
.LBB632_772:
	s_or_b64 exec, exec, s[42:43]
	s_and_saveexec_b64 s[42:43], s[18:19]
	s_cbranch_execnz .LBB632_884
.LBB632_773:
	s_or_b64 exec, exec, s[42:43]
	s_and_saveexec_b64 s[42:43], s[20:21]
	s_cbranch_execnz .LBB632_893
.LBB632_774:
	s_or_b64 exec, exec, s[42:43]
	s_and_saveexec_b64 s[42:43], s[22:23]
	s_cbranch_execnz .LBB632_902
.LBB632_775:
	s_or_b64 exec, exec, s[42:43]
	s_and_saveexec_b64 s[42:43], s[24:25]
	s_cbranch_execnz .LBB632_911
.LBB632_776:
	s_or_b64 exec, exec, s[42:43]
	s_and_saveexec_b64 s[42:43], s[26:27]
	s_cbranch_execnz .LBB632_920
.LBB632_777:
	s_or_b64 exec, exec, s[42:43]
	s_and_saveexec_b64 s[42:43], s[28:29]
	s_cbranch_execnz .LBB632_929
.LBB632_778:
	s_or_b64 exec, exec, s[42:43]
	s_and_saveexec_b64 s[36:37], s[16:17]
	s_cbranch_execnz .LBB632_938
.LBB632_779:
	s_or_b64 exec, exec, s[36:37]
	s_and_saveexec_b64 s[34:35], s[18:19]
	s_cbranch_execnz .LBB632_947
.LBB632_780:
	s_or_b64 exec, exec, s[34:35]
	s_and_saveexec_b64 s[34:35], s[20:21]
	s_cbranch_execnz .LBB632_956
.LBB632_781:
	s_or_b64 exec, exec, s[34:35]
	s_and_saveexec_b64 s[20:21], s[22:23]
	s_cbranch_execnz .LBB632_965
.LBB632_782:
	s_or_b64 exec, exec, s[20:21]
	s_and_saveexec_b64 s[20:21], s[24:25]
	s_cbranch_execnz .LBB632_974
.LBB632_783:
	s_or_b64 exec, exec, s[20:21]
	s_and_saveexec_b64 s[20:21], s[26:27]
	s_cbranch_execnz .LBB632_983
.LBB632_784:
	s_or_b64 exec, exec, s[20:21]
	s_and_saveexec_b64 s[20:21], s[28:29]
	s_cbranch_execnz .LBB632_992
	s_branch .LBB632_1001
.LBB632_785:
	s_and_saveexec_b64 s[36:37], s[8:9]
	s_cbranch_execz .LBB632_793
; %bb.786:
	v_mul_lo_u32 v66, v27, v6
	v_mul_lo_u32 v67, v26, v7
	v_mad_u64_u32 v[64:65], s[12:13], v26, v6, 0
	v_add3_u32 v65, v65, v67, v66
	v_mul_lo_u32 v68, v21, v6
	v_mul_lo_u32 v69, v20, v7
	v_mad_u64_u32 v[66:67], s[12:13], v20, v6, 0
	v_add3_u32 v67, v67, v69, v68
	v_lshl_add_u64 v[64:65], v[64:65], 1, v[8:9]
	v_lshl_add_u64 v[66:67], v[66:67], 1, v[8:9]
	s_mov_b64 s[44:45], 0
	v_mov_b64_e32 v[68:69], v[6:7]
                                        ; implicit-def: $sgpr42_sgpr43
                                        ; implicit-def: $sgpr46_sgpr47
                                        ; implicit-def: $sgpr50_sgpr51
                                        ; implicit-def: $sgpr48_sgpr49
                                        ; implicit-def: $sgpr52_sgpr53
                                        ; implicit-def: $sgpr54_sgpr55
	s_branch .LBB632_788
.LBB632_787:                            ;   in Loop: Header=BB632_788 Depth=1
	s_or_b64 exec, exec, s[56:57]
	s_and_b64 s[12:13], exec, s[50:51]
	s_or_b64 s[44:45], s[12:13], s[44:45]
	s_andn2_b64 s[12:13], s[54:55], exec
	s_and_b64 s[28:29], s[52:53], exec
	s_or_b64 s[54:55], s[12:13], s[28:29]
	s_andn2_b64 s[12:13], s[46:47], exec
	s_and_b64 s[28:29], s[48:49], exec
	;; [unrolled: 3-line block ×3, first 2 shown]
	s_or_b64 s[42:43], s[12:13], s[26:27]
	s_andn2_b64 exec, exec, s[44:45]
	s_cbranch_execz .LBB632_790
.LBB632_788:                            ; =>This Inner Loop Header: Depth=1
	flat_load_ushort v70, v[66:67]
	flat_load_ushort v71, v[64:65]
	s_andn2_b64 s[52:53], s[52:53], exec
	s_or_b64 s[48:49], s[48:49], exec
	s_or_b64 s[50:51], s[50:51], exec
	s_waitcnt vmcnt(0) lgkmcnt(0)
	v_cmp_le_i16_e64 s[26:27], v70, v71
	v_cmp_lt_i16_e64 s[12:13], v70, v71
	s_and_b64 s[26:27], s[26:27], s[54:55]
	v_cmp_eq_u16_e64 s[28:29], v70, v71
	s_or_b64 s[26:27], s[12:13], s[26:27]
	s_and_saveexec_b64 s[56:57], s[28:29]
	s_cbranch_execz .LBB632_787
; %bb.789:                              ;   in Loop: Header=BB632_788 Depth=1
	v_lshl_add_u64 v[68:69], v[68:69], 0, -1
	v_cmp_eq_u64_e64 s[12:13], 0, v[68:69]
	s_andn2_b64 s[28:29], s[52:53], exec
	s_and_b64 s[52:53], s[26:27], exec
	s_or_b64 s[52:53], s[28:29], s[52:53]
	s_andn2_b64 s[28:29], s[50:51], exec
	s_and_b64 s[12:13], s[12:13], exec
	v_lshl_add_u64 v[64:65], v[64:65], 0, 2
	v_lshl_add_u64 v[66:67], v[66:67], 0, 2
	s_andn2_b64 s[48:49], s[48:49], exec
	s_or_b64 s[50:51], s[28:29], s[12:13]
                                        ; implicit-def: $sgpr54_sgpr55
	s_branch .LBB632_787
.LBB632_790:
	s_or_b64 exec, exec, s[44:45]
	s_and_saveexec_b64 s[12:13], s[46:47]
	s_xor_b64 s[12:13], exec, s[12:13]
; %bb.791:
	v_cndmask_b32_e64 v65, v27, v21, s[42:43]
	v_cndmask_b32_e64 v64, v26, v20, s[42:43]
	;; [unrolled: 1-line block ×4, first 2 shown]
	v_mov_b64_e32 v[26:27], v[64:65]
; %bb.792:
	s_or_b64 exec, exec, s[12:13]
.LBB632_793:
	s_or_b64 exec, exec, s[36:37]
	s_or_b64 exec, exec, s[34:35]
	v_cmp_lt_u32_e64 s[26:27], 4, v31
	s_and_saveexec_b64 s[36:37], s[26:27]
	s_cbranch_execz .LBB632_763
.LBB632_794:
	s_and_saveexec_b64 s[42:43], s[8:9]
	s_cbranch_execz .LBB632_802
; %bb.795:
	v_mul_lo_u32 v66, v23, v6
	v_mul_lo_u32 v67, v22, v7
	v_mad_u64_u32 v[64:65], s[12:13], v22, v6, 0
	v_add3_u32 v65, v65, v67, v66
	v_mul_lo_u32 v68, v17, v6
	v_mul_lo_u32 v69, v16, v7
	v_mad_u64_u32 v[66:67], s[12:13], v16, v6, 0
	v_add3_u32 v67, v67, v69, v68
	v_lshl_add_u64 v[64:65], v[64:65], 1, v[8:9]
	v_lshl_add_u64 v[66:67], v[66:67], 1, v[8:9]
	s_mov_b64 s[46:47], 0
	v_mov_b64_e32 v[68:69], v[6:7]
                                        ; implicit-def: $sgpr44_sgpr45
                                        ; implicit-def: $sgpr48_sgpr49
                                        ; implicit-def: $sgpr52_sgpr53
                                        ; implicit-def: $sgpr50_sgpr51
                                        ; implicit-def: $sgpr54_sgpr55
                                        ; implicit-def: $sgpr56_sgpr57
	s_branch .LBB632_797
.LBB632_796:                            ;   in Loop: Header=BB632_797 Depth=1
	s_or_b64 exec, exec, s[58:59]
	s_and_b64 s[12:13], exec, s[52:53]
	s_or_b64 s[46:47], s[12:13], s[46:47]
	s_andn2_b64 s[12:13], s[56:57], exec
	s_and_b64 s[34:35], s[54:55], exec
	s_or_b64 s[56:57], s[12:13], s[34:35]
	s_andn2_b64 s[12:13], s[48:49], exec
	s_and_b64 s[34:35], s[50:51], exec
	;; [unrolled: 3-line block ×3, first 2 shown]
	s_or_b64 s[44:45], s[12:13], s[28:29]
	s_andn2_b64 exec, exec, s[46:47]
	s_cbranch_execz .LBB632_799
.LBB632_797:                            ; =>This Inner Loop Header: Depth=1
	flat_load_ushort v70, v[66:67]
	flat_load_ushort v71, v[64:65]
	s_andn2_b64 s[54:55], s[54:55], exec
	s_or_b64 s[50:51], s[50:51], exec
	s_or_b64 s[52:53], s[52:53], exec
	s_waitcnt vmcnt(0) lgkmcnt(0)
	v_cmp_le_i16_e64 s[28:29], v70, v71
	v_cmp_lt_i16_e64 s[12:13], v70, v71
	s_and_b64 s[28:29], s[28:29], s[56:57]
	v_cmp_eq_u16_e64 s[34:35], v70, v71
	s_or_b64 s[28:29], s[12:13], s[28:29]
	s_and_saveexec_b64 s[58:59], s[34:35]
	s_cbranch_execz .LBB632_796
; %bb.798:                              ;   in Loop: Header=BB632_797 Depth=1
	v_lshl_add_u64 v[68:69], v[68:69], 0, -1
	v_cmp_eq_u64_e64 s[12:13], 0, v[68:69]
	s_andn2_b64 s[34:35], s[54:55], exec
	s_and_b64 s[54:55], s[28:29], exec
	s_or_b64 s[54:55], s[34:35], s[54:55]
	s_andn2_b64 s[34:35], s[52:53], exec
	s_and_b64 s[12:13], s[12:13], exec
	v_lshl_add_u64 v[64:65], v[64:65], 0, 2
	v_lshl_add_u64 v[66:67], v[66:67], 0, 2
	s_andn2_b64 s[50:51], s[50:51], exec
	s_or_b64 s[52:53], s[34:35], s[12:13]
                                        ; implicit-def: $sgpr56_sgpr57
	s_branch .LBB632_796
.LBB632_799:
	s_or_b64 exec, exec, s[46:47]
	s_and_saveexec_b64 s[12:13], s[48:49]
	s_xor_b64 s[12:13], exec, s[12:13]
; %bb.800:
	v_cndmask_b32_e64 v65, v23, v17, s[44:45]
	v_cndmask_b32_e64 v64, v22, v16, s[44:45]
	;; [unrolled: 1-line block ×4, first 2 shown]
	v_mov_b64_e32 v[22:23], v[64:65]
; %bb.801:
	s_or_b64 exec, exec, s[12:13]
.LBB632_802:
	s_or_b64 exec, exec, s[42:43]
	s_or_b64 exec, exec, s[36:37]
	v_cmp_lt_u32_e64 s[28:29], 6, v31
	s_and_saveexec_b64 s[42:43], s[28:29]
	s_cbranch_execz .LBB632_764
.LBB632_803:
	s_and_saveexec_b64 s[44:45], s[8:9]
	s_cbranch_execz .LBB632_811
; %bb.804:
	v_mul_lo_u32 v31, v19, v6
	v_mul_lo_u32 v66, v18, v7
	v_mad_u64_u32 v[64:65], s[12:13], v18, v6, 0
	v_add3_u32 v65, v65, v66, v31
	v_mul_lo_u32 v31, v13, v6
	v_mul_lo_u32 v68, v12, v7
	v_mad_u64_u32 v[66:67], s[12:13], v12, v6, 0
	v_add3_u32 v67, v67, v68, v31
	v_lshl_add_u64 v[64:65], v[64:65], 1, v[8:9]
	v_lshl_add_u64 v[66:67], v[66:67], 1, v[8:9]
	s_mov_b64 s[48:49], 0
	v_mov_b64_e32 v[68:69], v[6:7]
                                        ; implicit-def: $sgpr46_sgpr47
                                        ; implicit-def: $sgpr50_sgpr51
                                        ; implicit-def: $sgpr54_sgpr55
                                        ; implicit-def: $sgpr52_sgpr53
                                        ; implicit-def: $sgpr56_sgpr57
                                        ; implicit-def: $sgpr58_sgpr59
	s_branch .LBB632_806
.LBB632_805:                            ;   in Loop: Header=BB632_806 Depth=1
	s_or_b64 exec, exec, s[60:61]
	s_and_b64 s[12:13], exec, s[54:55]
	s_or_b64 s[48:49], s[12:13], s[48:49]
	s_andn2_b64 s[12:13], s[58:59], exec
	s_and_b64 s[36:37], s[56:57], exec
	s_or_b64 s[58:59], s[12:13], s[36:37]
	s_andn2_b64 s[12:13], s[50:51], exec
	s_and_b64 s[36:37], s[52:53], exec
	;; [unrolled: 3-line block ×3, first 2 shown]
	s_or_b64 s[46:47], s[12:13], s[34:35]
	s_andn2_b64 exec, exec, s[48:49]
	s_cbranch_execz .LBB632_808
.LBB632_806:                            ; =>This Inner Loop Header: Depth=1
	flat_load_ushort v31, v[66:67]
	flat_load_ushort v70, v[64:65]
	s_andn2_b64 s[56:57], s[56:57], exec
	s_or_b64 s[52:53], s[52:53], exec
	s_or_b64 s[54:55], s[54:55], exec
	s_waitcnt vmcnt(0) lgkmcnt(0)
	v_cmp_le_i16_e64 s[34:35], v31, v70
	v_cmp_lt_i16_e64 s[12:13], v31, v70
	s_and_b64 s[34:35], s[34:35], s[58:59]
	v_cmp_eq_u16_e64 s[36:37], v31, v70
	s_or_b64 s[34:35], s[12:13], s[34:35]
	s_and_saveexec_b64 s[60:61], s[36:37]
	s_cbranch_execz .LBB632_805
; %bb.807:                              ;   in Loop: Header=BB632_806 Depth=1
	v_lshl_add_u64 v[68:69], v[68:69], 0, -1
	v_cmp_eq_u64_e64 s[12:13], 0, v[68:69]
	s_andn2_b64 s[36:37], s[56:57], exec
	s_and_b64 s[56:57], s[34:35], exec
	s_or_b64 s[56:57], s[36:37], s[56:57]
	s_andn2_b64 s[36:37], s[54:55], exec
	s_and_b64 s[12:13], s[12:13], exec
	v_lshl_add_u64 v[64:65], v[64:65], 0, 2
	v_lshl_add_u64 v[66:67], v[66:67], 0, 2
	s_andn2_b64 s[52:53], s[52:53], exec
	s_or_b64 s[54:55], s[36:37], s[12:13]
                                        ; implicit-def: $sgpr58_sgpr59
	s_branch .LBB632_805
.LBB632_808:
	s_or_b64 exec, exec, s[48:49]
	s_and_saveexec_b64 s[12:13], s[50:51]
	s_xor_b64 s[12:13], exec, s[12:13]
; %bb.809:
	v_cndmask_b32_e64 v65, v19, v13, s[46:47]
	v_cndmask_b32_e64 v64, v18, v12, s[46:47]
	;; [unrolled: 1-line block ×4, first 2 shown]
	v_mov_b64_e32 v[18:19], v[64:65]
; %bb.810:
	s_or_b64 exec, exec, s[12:13]
.LBB632_811:
	s_or_b64 exec, exec, s[44:45]
	s_or_b64 exec, exec, s[42:43]
	s_and_saveexec_b64 s[42:43], s[16:17]
	s_cbranch_execz .LBB632_765
.LBB632_812:
	s_and_saveexec_b64 s[44:45], s[8:9]
	s_cbranch_execz .LBB632_820
; %bb.813:
	v_mul_lo_u32 v31, v25, v6
	v_mul_lo_u32 v66, v24, v7
	v_mad_u64_u32 v[64:65], s[12:13], v24, v6, 0
	v_add3_u32 v65, v65, v66, v31
	v_mul_lo_u32 v31, v27, v6
	v_mul_lo_u32 v68, v26, v7
	v_mad_u64_u32 v[66:67], s[12:13], v26, v6, 0
	v_add3_u32 v67, v67, v68, v31
	v_lshl_add_u64 v[64:65], v[64:65], 1, v[8:9]
	v_lshl_add_u64 v[66:67], v[66:67], 1, v[8:9]
	s_mov_b64 s[48:49], 0
	v_mov_b64_e32 v[68:69], v[6:7]
                                        ; implicit-def: $sgpr46_sgpr47
                                        ; implicit-def: $sgpr50_sgpr51
                                        ; implicit-def: $sgpr54_sgpr55
                                        ; implicit-def: $sgpr52_sgpr53
                                        ; implicit-def: $sgpr56_sgpr57
                                        ; implicit-def: $sgpr58_sgpr59
	s_branch .LBB632_815
.LBB632_814:                            ;   in Loop: Header=BB632_815 Depth=1
	s_or_b64 exec, exec, s[60:61]
	s_and_b64 s[12:13], exec, s[54:55]
	s_or_b64 s[48:49], s[12:13], s[48:49]
	s_andn2_b64 s[12:13], s[58:59], exec
	s_and_b64 s[36:37], s[56:57], exec
	s_or_b64 s[58:59], s[12:13], s[36:37]
	s_andn2_b64 s[12:13], s[50:51], exec
	s_and_b64 s[36:37], s[52:53], exec
	;; [unrolled: 3-line block ×3, first 2 shown]
	s_or_b64 s[46:47], s[12:13], s[34:35]
	s_andn2_b64 exec, exec, s[48:49]
	s_cbranch_execz .LBB632_817
.LBB632_815:                            ; =>This Inner Loop Header: Depth=1
	flat_load_ushort v31, v[66:67]
	flat_load_ushort v70, v[64:65]
	s_andn2_b64 s[56:57], s[56:57], exec
	s_or_b64 s[52:53], s[52:53], exec
	s_or_b64 s[54:55], s[54:55], exec
	s_waitcnt vmcnt(0) lgkmcnt(0)
	v_cmp_le_i16_e64 s[34:35], v31, v70
	v_cmp_lt_i16_e64 s[12:13], v31, v70
	s_and_b64 s[34:35], s[34:35], s[58:59]
	v_cmp_eq_u16_e64 s[36:37], v31, v70
	s_or_b64 s[34:35], s[12:13], s[34:35]
	s_and_saveexec_b64 s[60:61], s[36:37]
	s_cbranch_execz .LBB632_814
; %bb.816:                              ;   in Loop: Header=BB632_815 Depth=1
	v_lshl_add_u64 v[68:69], v[68:69], 0, -1
	v_cmp_eq_u64_e64 s[12:13], 0, v[68:69]
	s_andn2_b64 s[36:37], s[56:57], exec
	s_and_b64 s[56:57], s[34:35], exec
	s_or_b64 s[56:57], s[36:37], s[56:57]
	s_andn2_b64 s[36:37], s[54:55], exec
	s_and_b64 s[12:13], s[12:13], exec
	v_lshl_add_u64 v[64:65], v[64:65], 0, 2
	v_lshl_add_u64 v[66:67], v[66:67], 0, 2
	s_andn2_b64 s[52:53], s[52:53], exec
	s_or_b64 s[54:55], s[36:37], s[12:13]
                                        ; implicit-def: $sgpr58_sgpr59
	s_branch .LBB632_814
.LBB632_817:
	s_or_b64 exec, exec, s[48:49]
	s_and_saveexec_b64 s[12:13], s[50:51]
	s_xor_b64 s[12:13], exec, s[12:13]
; %bb.818:
	v_cndmask_b32_e64 v65, v27, v25, s[46:47]
	v_cndmask_b32_e64 v64, v26, v24, s[46:47]
	;; [unrolled: 1-line block ×4, first 2 shown]
	v_mov_b64_e32 v[26:27], v[64:65]
; %bb.819:
	s_or_b64 exec, exec, s[12:13]
.LBB632_820:
	s_or_b64 exec, exec, s[44:45]
	s_or_b64 exec, exec, s[42:43]
	s_and_saveexec_b64 s[42:43], s[18:19]
	s_cbranch_execz .LBB632_766
.LBB632_821:
	s_and_saveexec_b64 s[44:45], s[8:9]
	s_cbranch_execz .LBB632_829
; %bb.822:
	v_mul_lo_u32 v31, v21, v6
	v_mul_lo_u32 v66, v20, v7
	v_mad_u64_u32 v[64:65], s[12:13], v20, v6, 0
	v_add3_u32 v65, v65, v66, v31
	v_mul_lo_u32 v31, v23, v6
	v_mul_lo_u32 v68, v22, v7
	v_mad_u64_u32 v[66:67], s[12:13], v22, v6, 0
	v_add3_u32 v67, v67, v68, v31
	v_lshl_add_u64 v[64:65], v[64:65], 1, v[8:9]
	v_lshl_add_u64 v[66:67], v[66:67], 1, v[8:9]
	s_mov_b64 s[48:49], 0
	v_mov_b64_e32 v[68:69], v[6:7]
                                        ; implicit-def: $sgpr46_sgpr47
                                        ; implicit-def: $sgpr50_sgpr51
                                        ; implicit-def: $sgpr54_sgpr55
                                        ; implicit-def: $sgpr52_sgpr53
                                        ; implicit-def: $sgpr56_sgpr57
                                        ; implicit-def: $sgpr58_sgpr59
	s_branch .LBB632_824
.LBB632_823:                            ;   in Loop: Header=BB632_824 Depth=1
	s_or_b64 exec, exec, s[60:61]
	s_and_b64 s[12:13], exec, s[54:55]
	s_or_b64 s[48:49], s[12:13], s[48:49]
	s_andn2_b64 s[12:13], s[58:59], exec
	s_and_b64 s[36:37], s[56:57], exec
	s_or_b64 s[58:59], s[12:13], s[36:37]
	s_andn2_b64 s[12:13], s[50:51], exec
	s_and_b64 s[36:37], s[52:53], exec
	;; [unrolled: 3-line block ×3, first 2 shown]
	s_or_b64 s[46:47], s[12:13], s[34:35]
	s_andn2_b64 exec, exec, s[48:49]
	s_cbranch_execz .LBB632_826
.LBB632_824:                            ; =>This Inner Loop Header: Depth=1
	flat_load_ushort v31, v[66:67]
	flat_load_ushort v70, v[64:65]
	s_andn2_b64 s[56:57], s[56:57], exec
	s_or_b64 s[52:53], s[52:53], exec
	s_or_b64 s[54:55], s[54:55], exec
	s_waitcnt vmcnt(0) lgkmcnt(0)
	v_cmp_le_i16_e64 s[34:35], v31, v70
	v_cmp_lt_i16_e64 s[12:13], v31, v70
	s_and_b64 s[34:35], s[34:35], s[58:59]
	v_cmp_eq_u16_e64 s[36:37], v31, v70
	s_or_b64 s[34:35], s[12:13], s[34:35]
	s_and_saveexec_b64 s[60:61], s[36:37]
	s_cbranch_execz .LBB632_823
; %bb.825:                              ;   in Loop: Header=BB632_824 Depth=1
	v_lshl_add_u64 v[68:69], v[68:69], 0, -1
	v_cmp_eq_u64_e64 s[12:13], 0, v[68:69]
	s_andn2_b64 s[36:37], s[56:57], exec
	s_and_b64 s[56:57], s[34:35], exec
	s_or_b64 s[56:57], s[36:37], s[56:57]
	s_andn2_b64 s[36:37], s[54:55], exec
	s_and_b64 s[12:13], s[12:13], exec
	v_lshl_add_u64 v[64:65], v[64:65], 0, 2
	v_lshl_add_u64 v[66:67], v[66:67], 0, 2
	s_andn2_b64 s[52:53], s[52:53], exec
	s_or_b64 s[54:55], s[36:37], s[12:13]
                                        ; implicit-def: $sgpr58_sgpr59
	s_branch .LBB632_823
.LBB632_826:
	s_or_b64 exec, exec, s[48:49]
	s_and_saveexec_b64 s[12:13], s[50:51]
	s_xor_b64 s[12:13], exec, s[12:13]
; %bb.827:
	v_cndmask_b32_e64 v65, v21, v23, s[46:47]
	v_cndmask_b32_e64 v64, v20, v22, s[46:47]
	;; [unrolled: 1-line block ×4, first 2 shown]
	v_mov_b64_e32 v[20:21], v[64:65]
; %bb.828:
	s_or_b64 exec, exec, s[12:13]
.LBB632_829:
	s_or_b64 exec, exec, s[44:45]
	s_or_b64 exec, exec, s[42:43]
	s_and_saveexec_b64 s[42:43], s[20:21]
	s_cbranch_execz .LBB632_767
.LBB632_830:
	s_and_saveexec_b64 s[44:45], s[8:9]
	s_cbranch_execz .LBB632_838
; %bb.831:
	v_mul_lo_u32 v31, v17, v6
	v_mul_lo_u32 v66, v16, v7
	v_mad_u64_u32 v[64:65], s[12:13], v16, v6, 0
	v_add3_u32 v65, v65, v66, v31
	v_mul_lo_u32 v31, v19, v6
	v_mul_lo_u32 v68, v18, v7
	v_mad_u64_u32 v[66:67], s[12:13], v18, v6, 0
	v_add3_u32 v67, v67, v68, v31
	v_lshl_add_u64 v[64:65], v[64:65], 1, v[8:9]
	v_lshl_add_u64 v[66:67], v[66:67], 1, v[8:9]
	s_mov_b64 s[48:49], 0
	v_mov_b64_e32 v[68:69], v[6:7]
                                        ; implicit-def: $sgpr46_sgpr47
                                        ; implicit-def: $sgpr50_sgpr51
                                        ; implicit-def: $sgpr54_sgpr55
                                        ; implicit-def: $sgpr52_sgpr53
                                        ; implicit-def: $sgpr56_sgpr57
                                        ; implicit-def: $sgpr58_sgpr59
	s_branch .LBB632_833
.LBB632_832:                            ;   in Loop: Header=BB632_833 Depth=1
	s_or_b64 exec, exec, s[60:61]
	s_and_b64 s[12:13], exec, s[54:55]
	s_or_b64 s[48:49], s[12:13], s[48:49]
	s_andn2_b64 s[12:13], s[58:59], exec
	s_and_b64 s[36:37], s[56:57], exec
	s_or_b64 s[58:59], s[12:13], s[36:37]
	s_andn2_b64 s[12:13], s[50:51], exec
	s_and_b64 s[36:37], s[52:53], exec
	;; [unrolled: 3-line block ×3, first 2 shown]
	s_or_b64 s[46:47], s[12:13], s[34:35]
	s_andn2_b64 exec, exec, s[48:49]
	s_cbranch_execz .LBB632_835
.LBB632_833:                            ; =>This Inner Loop Header: Depth=1
	flat_load_ushort v31, v[66:67]
	flat_load_ushort v70, v[64:65]
	s_andn2_b64 s[56:57], s[56:57], exec
	s_or_b64 s[52:53], s[52:53], exec
	s_or_b64 s[54:55], s[54:55], exec
	s_waitcnt vmcnt(0) lgkmcnt(0)
	v_cmp_le_i16_e64 s[34:35], v31, v70
	v_cmp_lt_i16_e64 s[12:13], v31, v70
	s_and_b64 s[34:35], s[34:35], s[58:59]
	v_cmp_eq_u16_e64 s[36:37], v31, v70
	s_or_b64 s[34:35], s[12:13], s[34:35]
	s_and_saveexec_b64 s[60:61], s[36:37]
	s_cbranch_execz .LBB632_832
; %bb.834:                              ;   in Loop: Header=BB632_833 Depth=1
	v_lshl_add_u64 v[68:69], v[68:69], 0, -1
	v_cmp_eq_u64_e64 s[12:13], 0, v[68:69]
	s_andn2_b64 s[36:37], s[56:57], exec
	s_and_b64 s[56:57], s[34:35], exec
	s_or_b64 s[56:57], s[36:37], s[56:57]
	s_andn2_b64 s[36:37], s[54:55], exec
	s_and_b64 s[12:13], s[12:13], exec
	v_lshl_add_u64 v[64:65], v[64:65], 0, 2
	v_lshl_add_u64 v[66:67], v[66:67], 0, 2
	s_andn2_b64 s[52:53], s[52:53], exec
	s_or_b64 s[54:55], s[36:37], s[12:13]
                                        ; implicit-def: $sgpr58_sgpr59
	s_branch .LBB632_832
.LBB632_835:
	s_or_b64 exec, exec, s[48:49]
	s_and_saveexec_b64 s[12:13], s[50:51]
	s_xor_b64 s[12:13], exec, s[12:13]
; %bb.836:
	v_cndmask_b32_e64 v65, v17, v19, s[46:47]
	v_cndmask_b32_e64 v64, v16, v18, s[46:47]
	;; [unrolled: 1-line block ×4, first 2 shown]
	v_mov_b64_e32 v[16:17], v[64:65]
; %bb.837:
	s_or_b64 exec, exec, s[12:13]
.LBB632_838:
	s_or_b64 exec, exec, s[44:45]
	s_or_b64 exec, exec, s[42:43]
	s_and_saveexec_b64 s[42:43], s[22:23]
	s_cbranch_execz .LBB632_768
.LBB632_839:
	s_and_saveexec_b64 s[44:45], s[8:9]
	s_cbranch_execz .LBB632_847
; %bb.840:
	v_mul_lo_u32 v31, v13, v6
	v_mul_lo_u32 v66, v12, v7
	v_mad_u64_u32 v[64:65], s[12:13], v12, v6, 0
	v_add3_u32 v65, v65, v66, v31
	v_mul_lo_u32 v31, v15, v6
	v_mul_lo_u32 v68, v14, v7
	v_mad_u64_u32 v[66:67], s[12:13], v14, v6, 0
	v_add3_u32 v67, v67, v68, v31
	v_lshl_add_u64 v[64:65], v[64:65], 1, v[8:9]
	v_lshl_add_u64 v[66:67], v[66:67], 1, v[8:9]
	s_mov_b64 s[48:49], 0
	v_mov_b64_e32 v[68:69], v[6:7]
                                        ; implicit-def: $sgpr46_sgpr47
                                        ; implicit-def: $sgpr50_sgpr51
                                        ; implicit-def: $sgpr54_sgpr55
                                        ; implicit-def: $sgpr52_sgpr53
                                        ; implicit-def: $sgpr56_sgpr57
                                        ; implicit-def: $sgpr58_sgpr59
	s_branch .LBB632_842
.LBB632_841:                            ;   in Loop: Header=BB632_842 Depth=1
	s_or_b64 exec, exec, s[60:61]
	s_and_b64 s[12:13], exec, s[54:55]
	s_or_b64 s[48:49], s[12:13], s[48:49]
	s_andn2_b64 s[12:13], s[58:59], exec
	s_and_b64 s[36:37], s[56:57], exec
	s_or_b64 s[58:59], s[12:13], s[36:37]
	s_andn2_b64 s[12:13], s[50:51], exec
	s_and_b64 s[36:37], s[52:53], exec
	;; [unrolled: 3-line block ×3, first 2 shown]
	s_or_b64 s[46:47], s[12:13], s[34:35]
	s_andn2_b64 exec, exec, s[48:49]
	s_cbranch_execz .LBB632_844
.LBB632_842:                            ; =>This Inner Loop Header: Depth=1
	flat_load_ushort v31, v[66:67]
	flat_load_ushort v70, v[64:65]
	s_andn2_b64 s[56:57], s[56:57], exec
	s_or_b64 s[52:53], s[52:53], exec
	s_or_b64 s[54:55], s[54:55], exec
	s_waitcnt vmcnt(0) lgkmcnt(0)
	v_cmp_le_i16_e64 s[34:35], v31, v70
	v_cmp_lt_i16_e64 s[12:13], v31, v70
	s_and_b64 s[34:35], s[34:35], s[58:59]
	v_cmp_eq_u16_e64 s[36:37], v31, v70
	s_or_b64 s[34:35], s[12:13], s[34:35]
	s_and_saveexec_b64 s[60:61], s[36:37]
	s_cbranch_execz .LBB632_841
; %bb.843:                              ;   in Loop: Header=BB632_842 Depth=1
	v_lshl_add_u64 v[68:69], v[68:69], 0, -1
	v_cmp_eq_u64_e64 s[12:13], 0, v[68:69]
	s_andn2_b64 s[36:37], s[56:57], exec
	s_and_b64 s[56:57], s[34:35], exec
	s_or_b64 s[56:57], s[36:37], s[56:57]
	s_andn2_b64 s[36:37], s[54:55], exec
	s_and_b64 s[12:13], s[12:13], exec
	v_lshl_add_u64 v[64:65], v[64:65], 0, 2
	v_lshl_add_u64 v[66:67], v[66:67], 0, 2
	s_andn2_b64 s[52:53], s[52:53], exec
	s_or_b64 s[54:55], s[36:37], s[12:13]
                                        ; implicit-def: $sgpr58_sgpr59
	s_branch .LBB632_841
.LBB632_844:
	s_or_b64 exec, exec, s[48:49]
	s_and_saveexec_b64 s[12:13], s[50:51]
	s_xor_b64 s[12:13], exec, s[12:13]
; %bb.845:
	v_cndmask_b32_e64 v65, v13, v15, s[46:47]
	v_cndmask_b32_e64 v64, v12, v14, s[46:47]
	;; [unrolled: 1-line block ×4, first 2 shown]
	v_mov_b64_e32 v[12:13], v[64:65]
; %bb.846:
	s_or_b64 exec, exec, s[12:13]
.LBB632_847:
	s_or_b64 exec, exec, s[44:45]
	s_or_b64 exec, exec, s[42:43]
	s_and_saveexec_b64 s[42:43], s[24:25]
	s_cbranch_execz .LBB632_769
.LBB632_848:
	s_and_saveexec_b64 s[44:45], s[8:9]
	s_cbranch_execz .LBB632_856
; %bb.849:
	v_mul_lo_u32 v31, v27, v6
	v_mul_lo_u32 v66, v26, v7
	v_mad_u64_u32 v[64:65], s[12:13], v26, v6, 0
	v_add3_u32 v65, v65, v66, v31
	v_mul_lo_u32 v31, v21, v6
	v_mul_lo_u32 v68, v20, v7
	v_mad_u64_u32 v[66:67], s[12:13], v20, v6, 0
	v_add3_u32 v67, v67, v68, v31
	v_lshl_add_u64 v[64:65], v[64:65], 1, v[8:9]
	v_lshl_add_u64 v[66:67], v[66:67], 1, v[8:9]
	s_mov_b64 s[48:49], 0
	v_mov_b64_e32 v[68:69], v[6:7]
                                        ; implicit-def: $sgpr46_sgpr47
                                        ; implicit-def: $sgpr50_sgpr51
                                        ; implicit-def: $sgpr54_sgpr55
                                        ; implicit-def: $sgpr52_sgpr53
                                        ; implicit-def: $sgpr56_sgpr57
                                        ; implicit-def: $sgpr58_sgpr59
	s_branch .LBB632_851
.LBB632_850:                            ;   in Loop: Header=BB632_851 Depth=1
	s_or_b64 exec, exec, s[60:61]
	s_and_b64 s[12:13], exec, s[54:55]
	s_or_b64 s[48:49], s[12:13], s[48:49]
	s_andn2_b64 s[12:13], s[58:59], exec
	s_and_b64 s[36:37], s[56:57], exec
	s_or_b64 s[58:59], s[12:13], s[36:37]
	s_andn2_b64 s[12:13], s[50:51], exec
	s_and_b64 s[36:37], s[52:53], exec
	;; [unrolled: 3-line block ×3, first 2 shown]
	s_or_b64 s[46:47], s[12:13], s[34:35]
	s_andn2_b64 exec, exec, s[48:49]
	s_cbranch_execz .LBB632_853
.LBB632_851:                            ; =>This Inner Loop Header: Depth=1
	flat_load_ushort v31, v[66:67]
	flat_load_ushort v70, v[64:65]
	s_andn2_b64 s[56:57], s[56:57], exec
	s_or_b64 s[52:53], s[52:53], exec
	s_or_b64 s[54:55], s[54:55], exec
	s_waitcnt vmcnt(0) lgkmcnt(0)
	v_cmp_le_i16_e64 s[34:35], v31, v70
	v_cmp_lt_i16_e64 s[12:13], v31, v70
	s_and_b64 s[34:35], s[34:35], s[58:59]
	v_cmp_eq_u16_e64 s[36:37], v31, v70
	s_or_b64 s[34:35], s[12:13], s[34:35]
	s_and_saveexec_b64 s[60:61], s[36:37]
	s_cbranch_execz .LBB632_850
; %bb.852:                              ;   in Loop: Header=BB632_851 Depth=1
	v_lshl_add_u64 v[68:69], v[68:69], 0, -1
	v_cmp_eq_u64_e64 s[12:13], 0, v[68:69]
	s_andn2_b64 s[36:37], s[56:57], exec
	s_and_b64 s[56:57], s[34:35], exec
	s_or_b64 s[56:57], s[36:37], s[56:57]
	s_andn2_b64 s[36:37], s[54:55], exec
	s_and_b64 s[12:13], s[12:13], exec
	v_lshl_add_u64 v[64:65], v[64:65], 0, 2
	v_lshl_add_u64 v[66:67], v[66:67], 0, 2
	s_andn2_b64 s[52:53], s[52:53], exec
	s_or_b64 s[54:55], s[36:37], s[12:13]
                                        ; implicit-def: $sgpr58_sgpr59
	s_branch .LBB632_850
.LBB632_853:
	s_or_b64 exec, exec, s[48:49]
	s_and_saveexec_b64 s[12:13], s[50:51]
	s_xor_b64 s[12:13], exec, s[12:13]
; %bb.854:
	v_cndmask_b32_e64 v65, v27, v21, s[46:47]
	v_cndmask_b32_e64 v64, v26, v20, s[46:47]
	;; [unrolled: 1-line block ×4, first 2 shown]
	v_mov_b64_e32 v[26:27], v[64:65]
; %bb.855:
	s_or_b64 exec, exec, s[12:13]
.LBB632_856:
	s_or_b64 exec, exec, s[44:45]
	s_or_b64 exec, exec, s[42:43]
	s_and_saveexec_b64 s[42:43], s[26:27]
	s_cbranch_execz .LBB632_770
.LBB632_857:
	s_and_saveexec_b64 s[44:45], s[8:9]
	s_cbranch_execz .LBB632_865
; %bb.858:
	v_mul_lo_u32 v31, v23, v6
	v_mul_lo_u32 v66, v22, v7
	v_mad_u64_u32 v[64:65], s[12:13], v22, v6, 0
	v_add3_u32 v65, v65, v66, v31
	v_mul_lo_u32 v31, v17, v6
	v_mul_lo_u32 v68, v16, v7
	v_mad_u64_u32 v[66:67], s[12:13], v16, v6, 0
	v_add3_u32 v67, v67, v68, v31
	v_lshl_add_u64 v[64:65], v[64:65], 1, v[8:9]
	v_lshl_add_u64 v[66:67], v[66:67], 1, v[8:9]
	s_mov_b64 s[48:49], 0
	v_mov_b64_e32 v[68:69], v[6:7]
                                        ; implicit-def: $sgpr46_sgpr47
                                        ; implicit-def: $sgpr50_sgpr51
                                        ; implicit-def: $sgpr54_sgpr55
                                        ; implicit-def: $sgpr52_sgpr53
                                        ; implicit-def: $sgpr56_sgpr57
                                        ; implicit-def: $sgpr58_sgpr59
	s_branch .LBB632_860
.LBB632_859:                            ;   in Loop: Header=BB632_860 Depth=1
	s_or_b64 exec, exec, s[60:61]
	s_and_b64 s[12:13], exec, s[54:55]
	s_or_b64 s[48:49], s[12:13], s[48:49]
	s_andn2_b64 s[12:13], s[58:59], exec
	s_and_b64 s[36:37], s[56:57], exec
	s_or_b64 s[58:59], s[12:13], s[36:37]
	s_andn2_b64 s[12:13], s[50:51], exec
	s_and_b64 s[36:37], s[52:53], exec
	;; [unrolled: 3-line block ×3, first 2 shown]
	s_or_b64 s[46:47], s[12:13], s[34:35]
	s_andn2_b64 exec, exec, s[48:49]
	s_cbranch_execz .LBB632_862
.LBB632_860:                            ; =>This Inner Loop Header: Depth=1
	flat_load_ushort v31, v[66:67]
	flat_load_ushort v70, v[64:65]
	s_andn2_b64 s[56:57], s[56:57], exec
	s_or_b64 s[52:53], s[52:53], exec
	s_or_b64 s[54:55], s[54:55], exec
	s_waitcnt vmcnt(0) lgkmcnt(0)
	v_cmp_le_i16_e64 s[34:35], v31, v70
	v_cmp_lt_i16_e64 s[12:13], v31, v70
	s_and_b64 s[34:35], s[34:35], s[58:59]
	v_cmp_eq_u16_e64 s[36:37], v31, v70
	s_or_b64 s[34:35], s[12:13], s[34:35]
	s_and_saveexec_b64 s[60:61], s[36:37]
	s_cbranch_execz .LBB632_859
; %bb.861:                              ;   in Loop: Header=BB632_860 Depth=1
	v_lshl_add_u64 v[68:69], v[68:69], 0, -1
	v_cmp_eq_u64_e64 s[12:13], 0, v[68:69]
	s_andn2_b64 s[36:37], s[56:57], exec
	s_and_b64 s[56:57], s[34:35], exec
	s_or_b64 s[56:57], s[36:37], s[56:57]
	s_andn2_b64 s[36:37], s[54:55], exec
	s_and_b64 s[12:13], s[12:13], exec
	v_lshl_add_u64 v[64:65], v[64:65], 0, 2
	v_lshl_add_u64 v[66:67], v[66:67], 0, 2
	s_andn2_b64 s[52:53], s[52:53], exec
	s_or_b64 s[54:55], s[36:37], s[12:13]
                                        ; implicit-def: $sgpr58_sgpr59
	s_branch .LBB632_859
.LBB632_862:
	s_or_b64 exec, exec, s[48:49]
	s_and_saveexec_b64 s[12:13], s[50:51]
	s_xor_b64 s[12:13], exec, s[12:13]
; %bb.863:
	v_cndmask_b32_e64 v65, v23, v17, s[46:47]
	v_cndmask_b32_e64 v64, v22, v16, s[46:47]
	;; [unrolled: 1-line block ×4, first 2 shown]
	v_mov_b64_e32 v[22:23], v[64:65]
; %bb.864:
	s_or_b64 exec, exec, s[12:13]
.LBB632_865:
	s_or_b64 exec, exec, s[44:45]
	s_or_b64 exec, exec, s[42:43]
	s_and_saveexec_b64 s[42:43], s[28:29]
	s_cbranch_execz .LBB632_771
.LBB632_866:
	s_and_saveexec_b64 s[44:45], s[8:9]
	s_cbranch_execz .LBB632_874
; %bb.867:
	v_mul_lo_u32 v31, v19, v6
	v_mul_lo_u32 v66, v18, v7
	v_mad_u64_u32 v[64:65], s[12:13], v18, v6, 0
	v_add3_u32 v65, v65, v66, v31
	v_mul_lo_u32 v31, v13, v6
	v_mul_lo_u32 v68, v12, v7
	v_mad_u64_u32 v[66:67], s[12:13], v12, v6, 0
	v_add3_u32 v67, v67, v68, v31
	v_lshl_add_u64 v[64:65], v[64:65], 1, v[8:9]
	v_lshl_add_u64 v[66:67], v[66:67], 1, v[8:9]
	s_mov_b64 s[48:49], 0
	v_mov_b64_e32 v[68:69], v[6:7]
                                        ; implicit-def: $sgpr46_sgpr47
                                        ; implicit-def: $sgpr50_sgpr51
                                        ; implicit-def: $sgpr54_sgpr55
                                        ; implicit-def: $sgpr52_sgpr53
                                        ; implicit-def: $sgpr56_sgpr57
                                        ; implicit-def: $sgpr58_sgpr59
	s_branch .LBB632_869
.LBB632_868:                            ;   in Loop: Header=BB632_869 Depth=1
	s_or_b64 exec, exec, s[60:61]
	s_and_b64 s[12:13], exec, s[54:55]
	s_or_b64 s[48:49], s[12:13], s[48:49]
	s_andn2_b64 s[12:13], s[58:59], exec
	s_and_b64 s[36:37], s[56:57], exec
	s_or_b64 s[58:59], s[12:13], s[36:37]
	s_andn2_b64 s[12:13], s[50:51], exec
	s_and_b64 s[36:37], s[52:53], exec
	s_or_b64 s[50:51], s[12:13], s[36:37]
	s_andn2_b64 s[12:13], s[46:47], exec
	s_and_b64 s[34:35], s[34:35], exec
	s_or_b64 s[46:47], s[12:13], s[34:35]
	s_andn2_b64 exec, exec, s[48:49]
	s_cbranch_execz .LBB632_871
.LBB632_869:                            ; =>This Inner Loop Header: Depth=1
	flat_load_ushort v31, v[66:67]
	flat_load_ushort v70, v[64:65]
	s_andn2_b64 s[56:57], s[56:57], exec
	s_or_b64 s[52:53], s[52:53], exec
	s_or_b64 s[54:55], s[54:55], exec
	s_waitcnt vmcnt(0) lgkmcnt(0)
	v_cmp_le_i16_e64 s[34:35], v31, v70
	v_cmp_lt_i16_e64 s[12:13], v31, v70
	s_and_b64 s[34:35], s[34:35], s[58:59]
	v_cmp_eq_u16_e64 s[36:37], v31, v70
	s_or_b64 s[34:35], s[12:13], s[34:35]
	s_and_saveexec_b64 s[60:61], s[36:37]
	s_cbranch_execz .LBB632_868
; %bb.870:                              ;   in Loop: Header=BB632_869 Depth=1
	v_lshl_add_u64 v[68:69], v[68:69], 0, -1
	v_cmp_eq_u64_e64 s[12:13], 0, v[68:69]
	s_andn2_b64 s[36:37], s[56:57], exec
	s_and_b64 s[56:57], s[34:35], exec
	s_or_b64 s[56:57], s[36:37], s[56:57]
	s_andn2_b64 s[36:37], s[54:55], exec
	s_and_b64 s[12:13], s[12:13], exec
	v_lshl_add_u64 v[64:65], v[64:65], 0, 2
	v_lshl_add_u64 v[66:67], v[66:67], 0, 2
	s_andn2_b64 s[52:53], s[52:53], exec
	s_or_b64 s[54:55], s[36:37], s[12:13]
                                        ; implicit-def: $sgpr58_sgpr59
	s_branch .LBB632_868
.LBB632_871:
	s_or_b64 exec, exec, s[48:49]
	s_and_saveexec_b64 s[12:13], s[50:51]
	s_xor_b64 s[12:13], exec, s[12:13]
; %bb.872:
	v_cndmask_b32_e64 v65, v19, v13, s[46:47]
	v_cndmask_b32_e64 v64, v18, v12, s[46:47]
	;; [unrolled: 1-line block ×4, first 2 shown]
	v_mov_b64_e32 v[18:19], v[64:65]
; %bb.873:
	s_or_b64 exec, exec, s[12:13]
.LBB632_874:
	s_or_b64 exec, exec, s[44:45]
	s_or_b64 exec, exec, s[42:43]
	s_and_saveexec_b64 s[42:43], s[16:17]
	s_cbranch_execz .LBB632_772
.LBB632_875:
	s_and_saveexec_b64 s[44:45], s[8:9]
	s_cbranch_execz .LBB632_883
; %bb.876:
	v_mul_lo_u32 v31, v25, v6
	v_mul_lo_u32 v66, v24, v7
	v_mad_u64_u32 v[64:65], s[12:13], v24, v6, 0
	v_add3_u32 v65, v65, v66, v31
	v_mul_lo_u32 v31, v27, v6
	v_mul_lo_u32 v68, v26, v7
	v_mad_u64_u32 v[66:67], s[12:13], v26, v6, 0
	v_add3_u32 v67, v67, v68, v31
	v_lshl_add_u64 v[64:65], v[64:65], 1, v[8:9]
	v_lshl_add_u64 v[66:67], v[66:67], 1, v[8:9]
	s_mov_b64 s[48:49], 0
	v_mov_b64_e32 v[68:69], v[6:7]
                                        ; implicit-def: $sgpr46_sgpr47
                                        ; implicit-def: $sgpr50_sgpr51
                                        ; implicit-def: $sgpr54_sgpr55
                                        ; implicit-def: $sgpr52_sgpr53
                                        ; implicit-def: $sgpr56_sgpr57
                                        ; implicit-def: $sgpr58_sgpr59
	s_branch .LBB632_878
.LBB632_877:                            ;   in Loop: Header=BB632_878 Depth=1
	s_or_b64 exec, exec, s[60:61]
	s_and_b64 s[12:13], exec, s[54:55]
	s_or_b64 s[48:49], s[12:13], s[48:49]
	s_andn2_b64 s[12:13], s[58:59], exec
	s_and_b64 s[36:37], s[56:57], exec
	s_or_b64 s[58:59], s[12:13], s[36:37]
	s_andn2_b64 s[12:13], s[50:51], exec
	s_and_b64 s[36:37], s[52:53], exec
	;; [unrolled: 3-line block ×3, first 2 shown]
	s_or_b64 s[46:47], s[12:13], s[34:35]
	s_andn2_b64 exec, exec, s[48:49]
	s_cbranch_execz .LBB632_880
.LBB632_878:                            ; =>This Inner Loop Header: Depth=1
	flat_load_ushort v31, v[66:67]
	flat_load_ushort v70, v[64:65]
	s_andn2_b64 s[56:57], s[56:57], exec
	s_or_b64 s[52:53], s[52:53], exec
	s_or_b64 s[54:55], s[54:55], exec
	s_waitcnt vmcnt(0) lgkmcnt(0)
	v_cmp_le_i16_e64 s[34:35], v31, v70
	v_cmp_lt_i16_e64 s[12:13], v31, v70
	s_and_b64 s[34:35], s[34:35], s[58:59]
	v_cmp_eq_u16_e64 s[36:37], v31, v70
	s_or_b64 s[34:35], s[12:13], s[34:35]
	s_and_saveexec_b64 s[60:61], s[36:37]
	s_cbranch_execz .LBB632_877
; %bb.879:                              ;   in Loop: Header=BB632_878 Depth=1
	v_lshl_add_u64 v[68:69], v[68:69], 0, -1
	v_cmp_eq_u64_e64 s[12:13], 0, v[68:69]
	s_andn2_b64 s[36:37], s[56:57], exec
	s_and_b64 s[56:57], s[34:35], exec
	s_or_b64 s[56:57], s[36:37], s[56:57]
	s_andn2_b64 s[36:37], s[54:55], exec
	s_and_b64 s[12:13], s[12:13], exec
	v_lshl_add_u64 v[64:65], v[64:65], 0, 2
	v_lshl_add_u64 v[66:67], v[66:67], 0, 2
	s_andn2_b64 s[52:53], s[52:53], exec
	s_or_b64 s[54:55], s[36:37], s[12:13]
                                        ; implicit-def: $sgpr58_sgpr59
	s_branch .LBB632_877
.LBB632_880:
	s_or_b64 exec, exec, s[48:49]
	s_and_saveexec_b64 s[12:13], s[50:51]
	s_xor_b64 s[12:13], exec, s[12:13]
; %bb.881:
	v_cndmask_b32_e64 v65, v27, v25, s[46:47]
	v_cndmask_b32_e64 v64, v26, v24, s[46:47]
	;; [unrolled: 1-line block ×4, first 2 shown]
	v_mov_b64_e32 v[26:27], v[64:65]
; %bb.882:
	s_or_b64 exec, exec, s[12:13]
.LBB632_883:
	s_or_b64 exec, exec, s[44:45]
	s_or_b64 exec, exec, s[42:43]
	s_and_saveexec_b64 s[42:43], s[18:19]
	s_cbranch_execz .LBB632_773
.LBB632_884:
	s_and_saveexec_b64 s[44:45], s[8:9]
	s_cbranch_execz .LBB632_892
; %bb.885:
	v_mul_lo_u32 v31, v21, v6
	v_mul_lo_u32 v66, v20, v7
	v_mad_u64_u32 v[64:65], s[12:13], v20, v6, 0
	v_add3_u32 v65, v65, v66, v31
	v_mul_lo_u32 v31, v23, v6
	v_mul_lo_u32 v68, v22, v7
	v_mad_u64_u32 v[66:67], s[12:13], v22, v6, 0
	v_add3_u32 v67, v67, v68, v31
	v_lshl_add_u64 v[64:65], v[64:65], 1, v[8:9]
	v_lshl_add_u64 v[66:67], v[66:67], 1, v[8:9]
	s_mov_b64 s[48:49], 0
	v_mov_b64_e32 v[68:69], v[6:7]
                                        ; implicit-def: $sgpr46_sgpr47
                                        ; implicit-def: $sgpr50_sgpr51
                                        ; implicit-def: $sgpr54_sgpr55
                                        ; implicit-def: $sgpr52_sgpr53
                                        ; implicit-def: $sgpr56_sgpr57
                                        ; implicit-def: $sgpr58_sgpr59
	s_branch .LBB632_887
.LBB632_886:                            ;   in Loop: Header=BB632_887 Depth=1
	s_or_b64 exec, exec, s[60:61]
	s_and_b64 s[12:13], exec, s[54:55]
	s_or_b64 s[48:49], s[12:13], s[48:49]
	s_andn2_b64 s[12:13], s[58:59], exec
	s_and_b64 s[36:37], s[56:57], exec
	s_or_b64 s[58:59], s[12:13], s[36:37]
	s_andn2_b64 s[12:13], s[50:51], exec
	s_and_b64 s[36:37], s[52:53], exec
	;; [unrolled: 3-line block ×3, first 2 shown]
	s_or_b64 s[46:47], s[12:13], s[34:35]
	s_andn2_b64 exec, exec, s[48:49]
	s_cbranch_execz .LBB632_889
.LBB632_887:                            ; =>This Inner Loop Header: Depth=1
	flat_load_ushort v31, v[66:67]
	flat_load_ushort v70, v[64:65]
	s_andn2_b64 s[56:57], s[56:57], exec
	s_or_b64 s[52:53], s[52:53], exec
	s_or_b64 s[54:55], s[54:55], exec
	s_waitcnt vmcnt(0) lgkmcnt(0)
	v_cmp_le_i16_e64 s[34:35], v31, v70
	v_cmp_lt_i16_e64 s[12:13], v31, v70
	s_and_b64 s[34:35], s[34:35], s[58:59]
	v_cmp_eq_u16_e64 s[36:37], v31, v70
	s_or_b64 s[34:35], s[12:13], s[34:35]
	s_and_saveexec_b64 s[60:61], s[36:37]
	s_cbranch_execz .LBB632_886
; %bb.888:                              ;   in Loop: Header=BB632_887 Depth=1
	v_lshl_add_u64 v[68:69], v[68:69], 0, -1
	v_cmp_eq_u64_e64 s[12:13], 0, v[68:69]
	s_andn2_b64 s[36:37], s[56:57], exec
	s_and_b64 s[56:57], s[34:35], exec
	s_or_b64 s[56:57], s[36:37], s[56:57]
	s_andn2_b64 s[36:37], s[54:55], exec
	s_and_b64 s[12:13], s[12:13], exec
	v_lshl_add_u64 v[64:65], v[64:65], 0, 2
	v_lshl_add_u64 v[66:67], v[66:67], 0, 2
	s_andn2_b64 s[52:53], s[52:53], exec
	s_or_b64 s[54:55], s[36:37], s[12:13]
                                        ; implicit-def: $sgpr58_sgpr59
	s_branch .LBB632_886
.LBB632_889:
	s_or_b64 exec, exec, s[48:49]
	s_and_saveexec_b64 s[12:13], s[50:51]
	s_xor_b64 s[12:13], exec, s[12:13]
; %bb.890:
	v_cndmask_b32_e64 v65, v21, v23, s[46:47]
	v_cndmask_b32_e64 v64, v20, v22, s[46:47]
	;; [unrolled: 1-line block ×4, first 2 shown]
	v_mov_b64_e32 v[20:21], v[64:65]
; %bb.891:
	s_or_b64 exec, exec, s[12:13]
.LBB632_892:
	s_or_b64 exec, exec, s[44:45]
	s_or_b64 exec, exec, s[42:43]
	s_and_saveexec_b64 s[42:43], s[20:21]
	s_cbranch_execz .LBB632_774
.LBB632_893:
	s_and_saveexec_b64 s[44:45], s[8:9]
	s_cbranch_execz .LBB632_901
; %bb.894:
	v_mul_lo_u32 v31, v17, v6
	v_mul_lo_u32 v66, v16, v7
	v_mad_u64_u32 v[64:65], s[12:13], v16, v6, 0
	v_add3_u32 v65, v65, v66, v31
	v_mul_lo_u32 v31, v19, v6
	v_mul_lo_u32 v68, v18, v7
	v_mad_u64_u32 v[66:67], s[12:13], v18, v6, 0
	v_add3_u32 v67, v67, v68, v31
	v_lshl_add_u64 v[64:65], v[64:65], 1, v[8:9]
	v_lshl_add_u64 v[66:67], v[66:67], 1, v[8:9]
	s_mov_b64 s[48:49], 0
	v_mov_b64_e32 v[68:69], v[6:7]
                                        ; implicit-def: $sgpr46_sgpr47
                                        ; implicit-def: $sgpr50_sgpr51
                                        ; implicit-def: $sgpr54_sgpr55
                                        ; implicit-def: $sgpr52_sgpr53
                                        ; implicit-def: $sgpr56_sgpr57
                                        ; implicit-def: $sgpr58_sgpr59
	s_branch .LBB632_896
.LBB632_895:                            ;   in Loop: Header=BB632_896 Depth=1
	s_or_b64 exec, exec, s[60:61]
	s_and_b64 s[12:13], exec, s[54:55]
	s_or_b64 s[48:49], s[12:13], s[48:49]
	s_andn2_b64 s[12:13], s[58:59], exec
	s_and_b64 s[36:37], s[56:57], exec
	s_or_b64 s[58:59], s[12:13], s[36:37]
	s_andn2_b64 s[12:13], s[50:51], exec
	s_and_b64 s[36:37], s[52:53], exec
	;; [unrolled: 3-line block ×3, first 2 shown]
	s_or_b64 s[46:47], s[12:13], s[34:35]
	s_andn2_b64 exec, exec, s[48:49]
	s_cbranch_execz .LBB632_898
.LBB632_896:                            ; =>This Inner Loop Header: Depth=1
	flat_load_ushort v31, v[66:67]
	flat_load_ushort v70, v[64:65]
	s_andn2_b64 s[56:57], s[56:57], exec
	s_or_b64 s[52:53], s[52:53], exec
	s_or_b64 s[54:55], s[54:55], exec
	s_waitcnt vmcnt(0) lgkmcnt(0)
	v_cmp_le_i16_e64 s[34:35], v31, v70
	v_cmp_lt_i16_e64 s[12:13], v31, v70
	s_and_b64 s[34:35], s[34:35], s[58:59]
	v_cmp_eq_u16_e64 s[36:37], v31, v70
	s_or_b64 s[34:35], s[12:13], s[34:35]
	s_and_saveexec_b64 s[60:61], s[36:37]
	s_cbranch_execz .LBB632_895
; %bb.897:                              ;   in Loop: Header=BB632_896 Depth=1
	v_lshl_add_u64 v[68:69], v[68:69], 0, -1
	v_cmp_eq_u64_e64 s[12:13], 0, v[68:69]
	s_andn2_b64 s[36:37], s[56:57], exec
	s_and_b64 s[56:57], s[34:35], exec
	s_or_b64 s[56:57], s[36:37], s[56:57]
	s_andn2_b64 s[36:37], s[54:55], exec
	s_and_b64 s[12:13], s[12:13], exec
	v_lshl_add_u64 v[64:65], v[64:65], 0, 2
	v_lshl_add_u64 v[66:67], v[66:67], 0, 2
	s_andn2_b64 s[52:53], s[52:53], exec
	s_or_b64 s[54:55], s[36:37], s[12:13]
                                        ; implicit-def: $sgpr58_sgpr59
	s_branch .LBB632_895
.LBB632_898:
	s_or_b64 exec, exec, s[48:49]
	s_and_saveexec_b64 s[12:13], s[50:51]
	s_xor_b64 s[12:13], exec, s[12:13]
; %bb.899:
	v_cndmask_b32_e64 v65, v17, v19, s[46:47]
	v_cndmask_b32_e64 v64, v16, v18, s[46:47]
	;; [unrolled: 1-line block ×4, first 2 shown]
	v_mov_b64_e32 v[16:17], v[64:65]
; %bb.900:
	s_or_b64 exec, exec, s[12:13]
.LBB632_901:
	s_or_b64 exec, exec, s[44:45]
	s_or_b64 exec, exec, s[42:43]
	s_and_saveexec_b64 s[42:43], s[22:23]
	s_cbranch_execz .LBB632_775
.LBB632_902:
	s_and_saveexec_b64 s[44:45], s[8:9]
	s_cbranch_execz .LBB632_910
; %bb.903:
	v_mul_lo_u32 v31, v13, v6
	v_mul_lo_u32 v66, v12, v7
	v_mad_u64_u32 v[64:65], s[12:13], v12, v6, 0
	v_add3_u32 v65, v65, v66, v31
	v_mul_lo_u32 v31, v15, v6
	v_mul_lo_u32 v68, v14, v7
	v_mad_u64_u32 v[66:67], s[12:13], v14, v6, 0
	v_add3_u32 v67, v67, v68, v31
	v_lshl_add_u64 v[64:65], v[64:65], 1, v[8:9]
	v_lshl_add_u64 v[66:67], v[66:67], 1, v[8:9]
	s_mov_b64 s[48:49], 0
	v_mov_b64_e32 v[68:69], v[6:7]
                                        ; implicit-def: $sgpr46_sgpr47
                                        ; implicit-def: $sgpr50_sgpr51
                                        ; implicit-def: $sgpr54_sgpr55
                                        ; implicit-def: $sgpr52_sgpr53
                                        ; implicit-def: $sgpr56_sgpr57
                                        ; implicit-def: $sgpr58_sgpr59
	s_branch .LBB632_905
.LBB632_904:                            ;   in Loop: Header=BB632_905 Depth=1
	s_or_b64 exec, exec, s[60:61]
	s_and_b64 s[12:13], exec, s[54:55]
	s_or_b64 s[48:49], s[12:13], s[48:49]
	s_andn2_b64 s[12:13], s[58:59], exec
	s_and_b64 s[36:37], s[56:57], exec
	s_or_b64 s[58:59], s[12:13], s[36:37]
	s_andn2_b64 s[12:13], s[50:51], exec
	s_and_b64 s[36:37], s[52:53], exec
	;; [unrolled: 3-line block ×3, first 2 shown]
	s_or_b64 s[46:47], s[12:13], s[34:35]
	s_andn2_b64 exec, exec, s[48:49]
	s_cbranch_execz .LBB632_907
.LBB632_905:                            ; =>This Inner Loop Header: Depth=1
	flat_load_ushort v31, v[66:67]
	flat_load_ushort v70, v[64:65]
	s_andn2_b64 s[56:57], s[56:57], exec
	s_or_b64 s[52:53], s[52:53], exec
	s_or_b64 s[54:55], s[54:55], exec
	s_waitcnt vmcnt(0) lgkmcnt(0)
	v_cmp_le_i16_e64 s[34:35], v31, v70
	v_cmp_lt_i16_e64 s[12:13], v31, v70
	s_and_b64 s[34:35], s[34:35], s[58:59]
	v_cmp_eq_u16_e64 s[36:37], v31, v70
	s_or_b64 s[34:35], s[12:13], s[34:35]
	s_and_saveexec_b64 s[60:61], s[36:37]
	s_cbranch_execz .LBB632_904
; %bb.906:                              ;   in Loop: Header=BB632_905 Depth=1
	v_lshl_add_u64 v[68:69], v[68:69], 0, -1
	v_cmp_eq_u64_e64 s[12:13], 0, v[68:69]
	s_andn2_b64 s[36:37], s[56:57], exec
	s_and_b64 s[56:57], s[34:35], exec
	s_or_b64 s[56:57], s[36:37], s[56:57]
	s_andn2_b64 s[36:37], s[54:55], exec
	s_and_b64 s[12:13], s[12:13], exec
	v_lshl_add_u64 v[64:65], v[64:65], 0, 2
	v_lshl_add_u64 v[66:67], v[66:67], 0, 2
	s_andn2_b64 s[52:53], s[52:53], exec
	s_or_b64 s[54:55], s[36:37], s[12:13]
                                        ; implicit-def: $sgpr58_sgpr59
	s_branch .LBB632_904
.LBB632_907:
	s_or_b64 exec, exec, s[48:49]
	s_and_saveexec_b64 s[12:13], s[50:51]
	s_xor_b64 s[12:13], exec, s[12:13]
; %bb.908:
	v_cndmask_b32_e64 v65, v13, v15, s[46:47]
	v_cndmask_b32_e64 v64, v12, v14, s[46:47]
	;; [unrolled: 1-line block ×4, first 2 shown]
	v_mov_b64_e32 v[12:13], v[64:65]
; %bb.909:
	s_or_b64 exec, exec, s[12:13]
.LBB632_910:
	s_or_b64 exec, exec, s[44:45]
	s_or_b64 exec, exec, s[42:43]
	s_and_saveexec_b64 s[42:43], s[24:25]
	s_cbranch_execz .LBB632_776
.LBB632_911:
	s_and_saveexec_b64 s[44:45], s[8:9]
	s_cbranch_execz .LBB632_919
; %bb.912:
	v_mul_lo_u32 v31, v27, v6
	v_mul_lo_u32 v66, v26, v7
	v_mad_u64_u32 v[64:65], s[12:13], v26, v6, 0
	v_add3_u32 v65, v65, v66, v31
	v_mul_lo_u32 v31, v21, v6
	v_mul_lo_u32 v68, v20, v7
	v_mad_u64_u32 v[66:67], s[12:13], v20, v6, 0
	v_add3_u32 v67, v67, v68, v31
	v_lshl_add_u64 v[64:65], v[64:65], 1, v[8:9]
	v_lshl_add_u64 v[66:67], v[66:67], 1, v[8:9]
	s_mov_b64 s[48:49], 0
	v_mov_b64_e32 v[68:69], v[6:7]
                                        ; implicit-def: $sgpr46_sgpr47
                                        ; implicit-def: $sgpr50_sgpr51
                                        ; implicit-def: $sgpr54_sgpr55
                                        ; implicit-def: $sgpr52_sgpr53
                                        ; implicit-def: $sgpr56_sgpr57
                                        ; implicit-def: $sgpr58_sgpr59
	s_branch .LBB632_914
.LBB632_913:                            ;   in Loop: Header=BB632_914 Depth=1
	s_or_b64 exec, exec, s[60:61]
	s_and_b64 s[12:13], exec, s[54:55]
	s_or_b64 s[48:49], s[12:13], s[48:49]
	s_andn2_b64 s[12:13], s[58:59], exec
	s_and_b64 s[36:37], s[56:57], exec
	s_or_b64 s[58:59], s[12:13], s[36:37]
	s_andn2_b64 s[12:13], s[50:51], exec
	s_and_b64 s[36:37], s[52:53], exec
	;; [unrolled: 3-line block ×3, first 2 shown]
	s_or_b64 s[46:47], s[12:13], s[34:35]
	s_andn2_b64 exec, exec, s[48:49]
	s_cbranch_execz .LBB632_916
.LBB632_914:                            ; =>This Inner Loop Header: Depth=1
	flat_load_ushort v31, v[66:67]
	flat_load_ushort v70, v[64:65]
	s_andn2_b64 s[56:57], s[56:57], exec
	s_or_b64 s[52:53], s[52:53], exec
	s_or_b64 s[54:55], s[54:55], exec
	s_waitcnt vmcnt(0) lgkmcnt(0)
	v_cmp_le_i16_e64 s[34:35], v31, v70
	v_cmp_lt_i16_e64 s[12:13], v31, v70
	s_and_b64 s[34:35], s[34:35], s[58:59]
	v_cmp_eq_u16_e64 s[36:37], v31, v70
	s_or_b64 s[34:35], s[12:13], s[34:35]
	s_and_saveexec_b64 s[60:61], s[36:37]
	s_cbranch_execz .LBB632_913
; %bb.915:                              ;   in Loop: Header=BB632_914 Depth=1
	v_lshl_add_u64 v[68:69], v[68:69], 0, -1
	v_cmp_eq_u64_e64 s[12:13], 0, v[68:69]
	s_andn2_b64 s[36:37], s[56:57], exec
	s_and_b64 s[56:57], s[34:35], exec
	s_or_b64 s[56:57], s[36:37], s[56:57]
	s_andn2_b64 s[36:37], s[54:55], exec
	s_and_b64 s[12:13], s[12:13], exec
	v_lshl_add_u64 v[64:65], v[64:65], 0, 2
	v_lshl_add_u64 v[66:67], v[66:67], 0, 2
	s_andn2_b64 s[52:53], s[52:53], exec
	s_or_b64 s[54:55], s[36:37], s[12:13]
                                        ; implicit-def: $sgpr58_sgpr59
	s_branch .LBB632_913
.LBB632_916:
	s_or_b64 exec, exec, s[48:49]
	s_and_saveexec_b64 s[12:13], s[50:51]
	s_xor_b64 s[12:13], exec, s[12:13]
; %bb.917:
	v_cndmask_b32_e64 v65, v27, v21, s[46:47]
	v_cndmask_b32_e64 v64, v26, v20, s[46:47]
	;; [unrolled: 1-line block ×4, first 2 shown]
	v_mov_b64_e32 v[26:27], v[64:65]
; %bb.918:
	s_or_b64 exec, exec, s[12:13]
.LBB632_919:
	s_or_b64 exec, exec, s[44:45]
	s_or_b64 exec, exec, s[42:43]
	s_and_saveexec_b64 s[42:43], s[26:27]
	s_cbranch_execz .LBB632_777
.LBB632_920:
	s_and_saveexec_b64 s[44:45], s[8:9]
	s_cbranch_execz .LBB632_928
; %bb.921:
	v_mul_lo_u32 v31, v23, v6
	v_mul_lo_u32 v66, v22, v7
	v_mad_u64_u32 v[64:65], s[12:13], v22, v6, 0
	v_add3_u32 v65, v65, v66, v31
	v_mul_lo_u32 v31, v17, v6
	v_mul_lo_u32 v68, v16, v7
	v_mad_u64_u32 v[66:67], s[12:13], v16, v6, 0
	v_add3_u32 v67, v67, v68, v31
	v_lshl_add_u64 v[64:65], v[64:65], 1, v[8:9]
	v_lshl_add_u64 v[66:67], v[66:67], 1, v[8:9]
	s_mov_b64 s[48:49], 0
	v_mov_b64_e32 v[68:69], v[6:7]
                                        ; implicit-def: $sgpr46_sgpr47
                                        ; implicit-def: $sgpr50_sgpr51
                                        ; implicit-def: $sgpr54_sgpr55
                                        ; implicit-def: $sgpr52_sgpr53
                                        ; implicit-def: $sgpr56_sgpr57
                                        ; implicit-def: $sgpr58_sgpr59
	s_branch .LBB632_923
.LBB632_922:                            ;   in Loop: Header=BB632_923 Depth=1
	s_or_b64 exec, exec, s[60:61]
	s_and_b64 s[12:13], exec, s[54:55]
	s_or_b64 s[48:49], s[12:13], s[48:49]
	s_andn2_b64 s[12:13], s[58:59], exec
	s_and_b64 s[36:37], s[56:57], exec
	s_or_b64 s[58:59], s[12:13], s[36:37]
	s_andn2_b64 s[12:13], s[50:51], exec
	s_and_b64 s[36:37], s[52:53], exec
	;; [unrolled: 3-line block ×3, first 2 shown]
	s_or_b64 s[46:47], s[12:13], s[34:35]
	s_andn2_b64 exec, exec, s[48:49]
	s_cbranch_execz .LBB632_925
.LBB632_923:                            ; =>This Inner Loop Header: Depth=1
	flat_load_ushort v31, v[66:67]
	flat_load_ushort v70, v[64:65]
	s_andn2_b64 s[56:57], s[56:57], exec
	s_or_b64 s[52:53], s[52:53], exec
	s_or_b64 s[54:55], s[54:55], exec
	s_waitcnt vmcnt(0) lgkmcnt(0)
	v_cmp_le_i16_e64 s[34:35], v31, v70
	v_cmp_lt_i16_e64 s[12:13], v31, v70
	s_and_b64 s[34:35], s[34:35], s[58:59]
	v_cmp_eq_u16_e64 s[36:37], v31, v70
	s_or_b64 s[34:35], s[12:13], s[34:35]
	s_and_saveexec_b64 s[60:61], s[36:37]
	s_cbranch_execz .LBB632_922
; %bb.924:                              ;   in Loop: Header=BB632_923 Depth=1
	v_lshl_add_u64 v[68:69], v[68:69], 0, -1
	v_cmp_eq_u64_e64 s[12:13], 0, v[68:69]
	s_andn2_b64 s[36:37], s[56:57], exec
	s_and_b64 s[56:57], s[34:35], exec
	s_or_b64 s[56:57], s[36:37], s[56:57]
	s_andn2_b64 s[36:37], s[54:55], exec
	s_and_b64 s[12:13], s[12:13], exec
	v_lshl_add_u64 v[64:65], v[64:65], 0, 2
	v_lshl_add_u64 v[66:67], v[66:67], 0, 2
	s_andn2_b64 s[52:53], s[52:53], exec
	s_or_b64 s[54:55], s[36:37], s[12:13]
                                        ; implicit-def: $sgpr58_sgpr59
	s_branch .LBB632_922
.LBB632_925:
	s_or_b64 exec, exec, s[48:49]
	s_and_saveexec_b64 s[12:13], s[50:51]
	s_xor_b64 s[12:13], exec, s[12:13]
; %bb.926:
	v_cndmask_b32_e64 v65, v23, v17, s[46:47]
	v_cndmask_b32_e64 v64, v22, v16, s[46:47]
	v_cndmask_b32_e64 v17, v17, v23, s[46:47]
	v_cndmask_b32_e64 v16, v16, v22, s[46:47]
	v_mov_b64_e32 v[22:23], v[64:65]
; %bb.927:
	s_or_b64 exec, exec, s[12:13]
.LBB632_928:
	s_or_b64 exec, exec, s[44:45]
	s_or_b64 exec, exec, s[42:43]
	s_and_saveexec_b64 s[42:43], s[28:29]
	s_cbranch_execz .LBB632_778
.LBB632_929:
	s_and_saveexec_b64 s[44:45], s[8:9]
	s_cbranch_execz .LBB632_937
; %bb.930:
	v_mul_lo_u32 v31, v19, v6
	v_mul_lo_u32 v66, v18, v7
	v_mad_u64_u32 v[64:65], s[12:13], v18, v6, 0
	v_add3_u32 v65, v65, v66, v31
	v_mul_lo_u32 v31, v13, v6
	v_mul_lo_u32 v68, v12, v7
	v_mad_u64_u32 v[66:67], s[12:13], v12, v6, 0
	v_add3_u32 v67, v67, v68, v31
	v_lshl_add_u64 v[64:65], v[64:65], 1, v[8:9]
	v_lshl_add_u64 v[66:67], v[66:67], 1, v[8:9]
	s_mov_b64 s[48:49], 0
	v_mov_b64_e32 v[68:69], v[6:7]
                                        ; implicit-def: $sgpr46_sgpr47
                                        ; implicit-def: $sgpr50_sgpr51
                                        ; implicit-def: $sgpr54_sgpr55
                                        ; implicit-def: $sgpr52_sgpr53
                                        ; implicit-def: $sgpr56_sgpr57
                                        ; implicit-def: $sgpr58_sgpr59
	s_branch .LBB632_932
.LBB632_931:                            ;   in Loop: Header=BB632_932 Depth=1
	s_or_b64 exec, exec, s[60:61]
	s_and_b64 s[12:13], exec, s[54:55]
	s_or_b64 s[48:49], s[12:13], s[48:49]
	s_andn2_b64 s[12:13], s[58:59], exec
	s_and_b64 s[36:37], s[56:57], exec
	s_or_b64 s[58:59], s[12:13], s[36:37]
	s_andn2_b64 s[12:13], s[50:51], exec
	s_and_b64 s[36:37], s[52:53], exec
	;; [unrolled: 3-line block ×3, first 2 shown]
	s_or_b64 s[46:47], s[12:13], s[34:35]
	s_andn2_b64 exec, exec, s[48:49]
	s_cbranch_execz .LBB632_934
.LBB632_932:                            ; =>This Inner Loop Header: Depth=1
	flat_load_ushort v31, v[66:67]
	flat_load_ushort v70, v[64:65]
	s_andn2_b64 s[56:57], s[56:57], exec
	s_or_b64 s[52:53], s[52:53], exec
	s_or_b64 s[54:55], s[54:55], exec
	s_waitcnt vmcnt(0) lgkmcnt(0)
	v_cmp_le_i16_e64 s[34:35], v31, v70
	v_cmp_lt_i16_e64 s[12:13], v31, v70
	s_and_b64 s[34:35], s[34:35], s[58:59]
	v_cmp_eq_u16_e64 s[36:37], v31, v70
	s_or_b64 s[34:35], s[12:13], s[34:35]
	s_and_saveexec_b64 s[60:61], s[36:37]
	s_cbranch_execz .LBB632_931
; %bb.933:                              ;   in Loop: Header=BB632_932 Depth=1
	v_lshl_add_u64 v[68:69], v[68:69], 0, -1
	v_cmp_eq_u64_e64 s[12:13], 0, v[68:69]
	s_andn2_b64 s[36:37], s[56:57], exec
	s_and_b64 s[56:57], s[34:35], exec
	s_or_b64 s[56:57], s[36:37], s[56:57]
	s_andn2_b64 s[36:37], s[54:55], exec
	s_and_b64 s[12:13], s[12:13], exec
	v_lshl_add_u64 v[64:65], v[64:65], 0, 2
	v_lshl_add_u64 v[66:67], v[66:67], 0, 2
	s_andn2_b64 s[52:53], s[52:53], exec
	s_or_b64 s[54:55], s[36:37], s[12:13]
                                        ; implicit-def: $sgpr58_sgpr59
	s_branch .LBB632_931
.LBB632_934:
	s_or_b64 exec, exec, s[48:49]
	s_and_saveexec_b64 s[12:13], s[50:51]
	s_xor_b64 s[12:13], exec, s[12:13]
; %bb.935:
	v_cndmask_b32_e64 v65, v19, v13, s[46:47]
	v_cndmask_b32_e64 v64, v18, v12, s[46:47]
	;; [unrolled: 1-line block ×4, first 2 shown]
	v_mov_b64_e32 v[18:19], v[64:65]
; %bb.936:
	s_or_b64 exec, exec, s[12:13]
.LBB632_937:
	s_or_b64 exec, exec, s[44:45]
	s_or_b64 exec, exec, s[42:43]
	s_and_saveexec_b64 s[36:37], s[16:17]
	s_cbranch_execz .LBB632_779
.LBB632_938:
	s_and_saveexec_b64 s[42:43], s[8:9]
	s_cbranch_execz .LBB632_946
; %bb.939:
	v_mul_lo_u32 v31, v25, v6
	v_mul_lo_u32 v66, v24, v7
	v_mad_u64_u32 v[64:65], s[12:13], v24, v6, 0
	v_add3_u32 v65, v65, v66, v31
	v_mul_lo_u32 v31, v27, v6
	v_mul_lo_u32 v68, v26, v7
	v_mad_u64_u32 v[66:67], s[12:13], v26, v6, 0
	v_add3_u32 v67, v67, v68, v31
	v_lshl_add_u64 v[64:65], v[64:65], 1, v[8:9]
	v_lshl_add_u64 v[66:67], v[66:67], 1, v[8:9]
	s_mov_b64 s[46:47], 0
	v_mov_b64_e32 v[68:69], v[6:7]
                                        ; implicit-def: $sgpr44_sgpr45
                                        ; implicit-def: $sgpr48_sgpr49
                                        ; implicit-def: $sgpr52_sgpr53
                                        ; implicit-def: $sgpr50_sgpr51
                                        ; implicit-def: $sgpr54_sgpr55
                                        ; implicit-def: $sgpr56_sgpr57
	s_branch .LBB632_941
.LBB632_940:                            ;   in Loop: Header=BB632_941 Depth=1
	s_or_b64 exec, exec, s[58:59]
	s_and_b64 s[12:13], exec, s[52:53]
	s_or_b64 s[46:47], s[12:13], s[46:47]
	s_andn2_b64 s[12:13], s[56:57], exec
	s_and_b64 s[34:35], s[54:55], exec
	s_or_b64 s[56:57], s[12:13], s[34:35]
	s_andn2_b64 s[12:13], s[48:49], exec
	s_and_b64 s[34:35], s[50:51], exec
	;; [unrolled: 3-line block ×3, first 2 shown]
	s_or_b64 s[44:45], s[12:13], s[16:17]
	s_andn2_b64 exec, exec, s[46:47]
	s_cbranch_execz .LBB632_943
.LBB632_941:                            ; =>This Inner Loop Header: Depth=1
	flat_load_ushort v31, v[66:67]
	flat_load_ushort v70, v[64:65]
	s_andn2_b64 s[54:55], s[54:55], exec
	s_or_b64 s[50:51], s[50:51], exec
	s_or_b64 s[52:53], s[52:53], exec
	s_waitcnt vmcnt(0) lgkmcnt(0)
	v_cmp_le_i16_e64 s[16:17], v31, v70
	v_cmp_lt_i16_e64 s[12:13], v31, v70
	s_and_b64 s[16:17], s[16:17], s[56:57]
	v_cmp_eq_u16_e64 s[34:35], v31, v70
	s_or_b64 s[16:17], s[12:13], s[16:17]
	s_and_saveexec_b64 s[58:59], s[34:35]
	s_cbranch_execz .LBB632_940
; %bb.942:                              ;   in Loop: Header=BB632_941 Depth=1
	v_lshl_add_u64 v[68:69], v[68:69], 0, -1
	v_cmp_eq_u64_e64 s[12:13], 0, v[68:69]
	s_andn2_b64 s[34:35], s[54:55], exec
	s_and_b64 s[54:55], s[16:17], exec
	s_or_b64 s[54:55], s[34:35], s[54:55]
	s_andn2_b64 s[34:35], s[52:53], exec
	s_and_b64 s[12:13], s[12:13], exec
	v_lshl_add_u64 v[64:65], v[64:65], 0, 2
	v_lshl_add_u64 v[66:67], v[66:67], 0, 2
	s_andn2_b64 s[50:51], s[50:51], exec
	s_or_b64 s[52:53], s[34:35], s[12:13]
                                        ; implicit-def: $sgpr56_sgpr57
	s_branch .LBB632_940
.LBB632_943:
	s_or_b64 exec, exec, s[46:47]
	s_and_saveexec_b64 s[12:13], s[48:49]
	s_xor_b64 s[12:13], exec, s[12:13]
; %bb.944:
	v_cndmask_b32_e64 v65, v27, v25, s[44:45]
	v_cndmask_b32_e64 v64, v26, v24, s[44:45]
	;; [unrolled: 1-line block ×4, first 2 shown]
	v_mov_b64_e32 v[26:27], v[64:65]
; %bb.945:
	s_or_b64 exec, exec, s[12:13]
.LBB632_946:
	s_or_b64 exec, exec, s[42:43]
	s_or_b64 exec, exec, s[36:37]
	s_and_saveexec_b64 s[34:35], s[18:19]
	s_cbranch_execz .LBB632_780
.LBB632_947:
	s_and_saveexec_b64 s[36:37], s[8:9]
	s_cbranch_execz .LBB632_955
; %bb.948:
	v_mul_lo_u32 v31, v21, v6
	v_mul_lo_u32 v66, v20, v7
	v_mad_u64_u32 v[64:65], s[12:13], v20, v6, 0
	v_add3_u32 v65, v65, v66, v31
	v_mul_lo_u32 v31, v23, v6
	v_mul_lo_u32 v68, v22, v7
	v_mad_u64_u32 v[66:67], s[12:13], v22, v6, 0
	v_add3_u32 v67, v67, v68, v31
	v_lshl_add_u64 v[64:65], v[64:65], 1, v[8:9]
	v_lshl_add_u64 v[66:67], v[66:67], 1, v[8:9]
	s_mov_b64 s[44:45], 0
	v_mov_b64_e32 v[68:69], v[6:7]
                                        ; implicit-def: $sgpr42_sgpr43
                                        ; implicit-def: $sgpr46_sgpr47
                                        ; implicit-def: $sgpr50_sgpr51
                                        ; implicit-def: $sgpr48_sgpr49
                                        ; implicit-def: $sgpr52_sgpr53
                                        ; implicit-def: $sgpr54_sgpr55
	s_branch .LBB632_950
.LBB632_949:                            ;   in Loop: Header=BB632_950 Depth=1
	s_or_b64 exec, exec, s[56:57]
	s_and_b64 s[12:13], exec, s[50:51]
	s_or_b64 s[44:45], s[12:13], s[44:45]
	s_andn2_b64 s[12:13], s[54:55], exec
	s_and_b64 s[18:19], s[52:53], exec
	s_or_b64 s[54:55], s[12:13], s[18:19]
	s_andn2_b64 s[12:13], s[46:47], exec
	s_and_b64 s[18:19], s[48:49], exec
	;; [unrolled: 3-line block ×3, first 2 shown]
	s_or_b64 s[42:43], s[12:13], s[16:17]
	s_andn2_b64 exec, exec, s[44:45]
	s_cbranch_execz .LBB632_952
.LBB632_950:                            ; =>This Inner Loop Header: Depth=1
	flat_load_ushort v31, v[66:67]
	flat_load_ushort v70, v[64:65]
	s_andn2_b64 s[52:53], s[52:53], exec
	s_or_b64 s[48:49], s[48:49], exec
	s_or_b64 s[50:51], s[50:51], exec
	s_waitcnt vmcnt(0) lgkmcnt(0)
	v_cmp_le_i16_e64 s[16:17], v31, v70
	v_cmp_lt_i16_e64 s[12:13], v31, v70
	s_and_b64 s[16:17], s[16:17], s[54:55]
	v_cmp_eq_u16_e64 s[18:19], v31, v70
	s_or_b64 s[16:17], s[12:13], s[16:17]
	s_and_saveexec_b64 s[56:57], s[18:19]
	s_cbranch_execz .LBB632_949
; %bb.951:                              ;   in Loop: Header=BB632_950 Depth=1
	v_lshl_add_u64 v[68:69], v[68:69], 0, -1
	v_cmp_eq_u64_e64 s[12:13], 0, v[68:69]
	s_andn2_b64 s[18:19], s[52:53], exec
	s_and_b64 s[52:53], s[16:17], exec
	s_or_b64 s[52:53], s[18:19], s[52:53]
	s_andn2_b64 s[18:19], s[50:51], exec
	s_and_b64 s[12:13], s[12:13], exec
	v_lshl_add_u64 v[64:65], v[64:65], 0, 2
	v_lshl_add_u64 v[66:67], v[66:67], 0, 2
	s_andn2_b64 s[48:49], s[48:49], exec
	s_or_b64 s[50:51], s[18:19], s[12:13]
                                        ; implicit-def: $sgpr54_sgpr55
	s_branch .LBB632_949
.LBB632_952:
	s_or_b64 exec, exec, s[44:45]
	s_and_saveexec_b64 s[12:13], s[46:47]
	s_xor_b64 s[12:13], exec, s[12:13]
; %bb.953:
	v_cndmask_b32_e64 v65, v21, v23, s[42:43]
	v_cndmask_b32_e64 v64, v20, v22, s[42:43]
	;; [unrolled: 1-line block ×4, first 2 shown]
	v_mov_b64_e32 v[20:21], v[64:65]
; %bb.954:
	s_or_b64 exec, exec, s[12:13]
.LBB632_955:
	s_or_b64 exec, exec, s[36:37]
	s_or_b64 exec, exec, s[34:35]
	s_and_saveexec_b64 s[34:35], s[20:21]
	s_cbranch_execz .LBB632_781
.LBB632_956:
	s_and_saveexec_b64 s[20:21], s[8:9]
	s_cbranch_execz .LBB632_964
; %bb.957:
	v_mul_lo_u32 v31, v17, v6
	v_mul_lo_u32 v66, v16, v7
	v_mad_u64_u32 v[64:65], s[12:13], v16, v6, 0
	v_add3_u32 v65, v65, v66, v31
	v_mul_lo_u32 v31, v19, v6
	v_mul_lo_u32 v68, v18, v7
	v_mad_u64_u32 v[66:67], s[12:13], v18, v6, 0
	v_add3_u32 v67, v67, v68, v31
	v_lshl_add_u64 v[64:65], v[64:65], 1, v[8:9]
	v_lshl_add_u64 v[66:67], v[66:67], 1, v[8:9]
	s_mov_b64 s[42:43], 0
	v_mov_b64_e32 v[68:69], v[6:7]
                                        ; implicit-def: $sgpr36_sgpr37
                                        ; implicit-def: $sgpr44_sgpr45
                                        ; implicit-def: $sgpr48_sgpr49
                                        ; implicit-def: $sgpr46_sgpr47
                                        ; implicit-def: $sgpr50_sgpr51
                                        ; implicit-def: $sgpr52_sgpr53
	s_branch .LBB632_959
.LBB632_958:                            ;   in Loop: Header=BB632_959 Depth=1
	s_or_b64 exec, exec, s[54:55]
	s_and_b64 s[12:13], exec, s[48:49]
	s_or_b64 s[42:43], s[12:13], s[42:43]
	s_andn2_b64 s[12:13], s[52:53], exec
	s_and_b64 s[18:19], s[50:51], exec
	s_or_b64 s[52:53], s[12:13], s[18:19]
	s_andn2_b64 s[12:13], s[44:45], exec
	s_and_b64 s[18:19], s[46:47], exec
	;; [unrolled: 3-line block ×3, first 2 shown]
	s_or_b64 s[36:37], s[12:13], s[16:17]
	s_andn2_b64 exec, exec, s[42:43]
	s_cbranch_execz .LBB632_961
.LBB632_959:                            ; =>This Inner Loop Header: Depth=1
	flat_load_ushort v31, v[66:67]
	flat_load_ushort v70, v[64:65]
	s_andn2_b64 s[50:51], s[50:51], exec
	s_or_b64 s[46:47], s[46:47], exec
	s_or_b64 s[48:49], s[48:49], exec
	s_waitcnt vmcnt(0) lgkmcnt(0)
	v_cmp_le_i16_e64 s[16:17], v31, v70
	v_cmp_lt_i16_e64 s[12:13], v31, v70
	s_and_b64 s[16:17], s[16:17], s[52:53]
	v_cmp_eq_u16_e64 s[18:19], v31, v70
	s_or_b64 s[16:17], s[12:13], s[16:17]
	s_and_saveexec_b64 s[54:55], s[18:19]
	s_cbranch_execz .LBB632_958
; %bb.960:                              ;   in Loop: Header=BB632_959 Depth=1
	v_lshl_add_u64 v[68:69], v[68:69], 0, -1
	v_cmp_eq_u64_e64 s[12:13], 0, v[68:69]
	s_andn2_b64 s[18:19], s[50:51], exec
	s_and_b64 s[50:51], s[16:17], exec
	s_or_b64 s[50:51], s[18:19], s[50:51]
	s_andn2_b64 s[18:19], s[48:49], exec
	s_and_b64 s[12:13], s[12:13], exec
	v_lshl_add_u64 v[64:65], v[64:65], 0, 2
	v_lshl_add_u64 v[66:67], v[66:67], 0, 2
	s_andn2_b64 s[46:47], s[46:47], exec
	s_or_b64 s[48:49], s[18:19], s[12:13]
                                        ; implicit-def: $sgpr52_sgpr53
	s_branch .LBB632_958
.LBB632_961:
	s_or_b64 exec, exec, s[42:43]
	s_and_saveexec_b64 s[12:13], s[44:45]
	s_xor_b64 s[12:13], exec, s[12:13]
; %bb.962:
	v_cndmask_b32_e64 v65, v17, v19, s[36:37]
	v_cndmask_b32_e64 v64, v16, v18, s[36:37]
	;; [unrolled: 1-line block ×4, first 2 shown]
	v_mov_b64_e32 v[16:17], v[64:65]
; %bb.963:
	s_or_b64 exec, exec, s[12:13]
.LBB632_964:
	s_or_b64 exec, exec, s[20:21]
	s_or_b64 exec, exec, s[34:35]
	s_and_saveexec_b64 s[20:21], s[22:23]
	s_cbranch_execz .LBB632_782
.LBB632_965:
	s_and_saveexec_b64 s[22:23], s[8:9]
	s_cbranch_execz .LBB632_973
; %bb.966:
	v_mul_lo_u32 v31, v13, v6
	v_mul_lo_u32 v66, v12, v7
	v_mad_u64_u32 v[64:65], s[12:13], v12, v6, 0
	v_add3_u32 v65, v65, v66, v31
	v_mul_lo_u32 v31, v15, v6
	v_mul_lo_u32 v68, v14, v7
	v_mad_u64_u32 v[66:67], s[12:13], v14, v6, 0
	v_add3_u32 v67, v67, v68, v31
	v_lshl_add_u64 v[64:65], v[64:65], 1, v[8:9]
	v_lshl_add_u64 v[66:67], v[66:67], 1, v[8:9]
	s_mov_b64 s[36:37], 0
	v_mov_b64_e32 v[68:69], v[6:7]
                                        ; implicit-def: $sgpr34_sgpr35
                                        ; implicit-def: $sgpr42_sgpr43
                                        ; implicit-def: $sgpr46_sgpr47
                                        ; implicit-def: $sgpr44_sgpr45
                                        ; implicit-def: $sgpr48_sgpr49
                                        ; implicit-def: $sgpr50_sgpr51
	s_branch .LBB632_968
.LBB632_967:                            ;   in Loop: Header=BB632_968 Depth=1
	s_or_b64 exec, exec, s[52:53]
	s_and_b64 s[12:13], exec, s[46:47]
	s_or_b64 s[36:37], s[12:13], s[36:37]
	s_andn2_b64 s[12:13], s[50:51], exec
	s_and_b64 s[18:19], s[48:49], exec
	s_or_b64 s[50:51], s[12:13], s[18:19]
	s_andn2_b64 s[12:13], s[42:43], exec
	s_and_b64 s[18:19], s[44:45], exec
	;; [unrolled: 3-line block ×3, first 2 shown]
	s_or_b64 s[34:35], s[12:13], s[16:17]
	s_andn2_b64 exec, exec, s[36:37]
	s_cbranch_execz .LBB632_970
.LBB632_968:                            ; =>This Inner Loop Header: Depth=1
	flat_load_ushort v31, v[66:67]
	flat_load_ushort v70, v[64:65]
	s_andn2_b64 s[48:49], s[48:49], exec
	s_or_b64 s[44:45], s[44:45], exec
	s_or_b64 s[46:47], s[46:47], exec
	s_waitcnt vmcnt(0) lgkmcnt(0)
	v_cmp_le_i16_e64 s[16:17], v31, v70
	v_cmp_lt_i16_e64 s[12:13], v31, v70
	s_and_b64 s[16:17], s[16:17], s[50:51]
	v_cmp_eq_u16_e64 s[18:19], v31, v70
	s_or_b64 s[16:17], s[12:13], s[16:17]
	s_and_saveexec_b64 s[52:53], s[18:19]
	s_cbranch_execz .LBB632_967
; %bb.969:                              ;   in Loop: Header=BB632_968 Depth=1
	v_lshl_add_u64 v[68:69], v[68:69], 0, -1
	v_cmp_eq_u64_e64 s[12:13], 0, v[68:69]
	s_andn2_b64 s[18:19], s[48:49], exec
	s_and_b64 s[48:49], s[16:17], exec
	s_or_b64 s[48:49], s[18:19], s[48:49]
	s_andn2_b64 s[18:19], s[46:47], exec
	s_and_b64 s[12:13], s[12:13], exec
	v_lshl_add_u64 v[64:65], v[64:65], 0, 2
	v_lshl_add_u64 v[66:67], v[66:67], 0, 2
	s_andn2_b64 s[44:45], s[44:45], exec
	s_or_b64 s[46:47], s[18:19], s[12:13]
                                        ; implicit-def: $sgpr50_sgpr51
	s_branch .LBB632_967
.LBB632_970:
	s_or_b64 exec, exec, s[36:37]
	s_and_saveexec_b64 s[12:13], s[42:43]
	s_xor_b64 s[12:13], exec, s[12:13]
; %bb.971:
	v_cndmask_b32_e64 v65, v13, v15, s[34:35]
	v_cndmask_b32_e64 v64, v12, v14, s[34:35]
	;; [unrolled: 1-line block ×4, first 2 shown]
	v_mov_b64_e32 v[12:13], v[64:65]
; %bb.972:
	s_or_b64 exec, exec, s[12:13]
.LBB632_973:
	s_or_b64 exec, exec, s[22:23]
	s_or_b64 exec, exec, s[20:21]
	s_and_saveexec_b64 s[20:21], s[24:25]
	s_cbranch_execz .LBB632_783
.LBB632_974:
	s_and_saveexec_b64 s[22:23], s[8:9]
	s_cbranch_execz .LBB632_982
; %bb.975:
	v_mul_lo_u32 v31, v27, v6
	v_mul_lo_u32 v66, v26, v7
	v_mad_u64_u32 v[64:65], s[12:13], v26, v6, 0
	v_add3_u32 v65, v65, v66, v31
	v_mul_lo_u32 v31, v21, v6
	v_mul_lo_u32 v68, v20, v7
	v_mad_u64_u32 v[66:67], s[12:13], v20, v6, 0
	v_add3_u32 v67, v67, v68, v31
	v_lshl_add_u64 v[64:65], v[64:65], 1, v[8:9]
	v_lshl_add_u64 v[66:67], v[66:67], 1, v[8:9]
	s_mov_b64 s[34:35], 0
	v_mov_b64_e32 v[68:69], v[6:7]
                                        ; implicit-def: $sgpr24_sgpr25
                                        ; implicit-def: $sgpr36_sgpr37
                                        ; implicit-def: $sgpr44_sgpr45
                                        ; implicit-def: $sgpr42_sgpr43
                                        ; implicit-def: $sgpr46_sgpr47
                                        ; implicit-def: $sgpr48_sgpr49
	s_branch .LBB632_977
.LBB632_976:                            ;   in Loop: Header=BB632_977 Depth=1
	s_or_b64 exec, exec, s[50:51]
	s_and_b64 s[12:13], exec, s[44:45]
	s_or_b64 s[34:35], s[12:13], s[34:35]
	s_andn2_b64 s[12:13], s[48:49], exec
	s_and_b64 s[18:19], s[46:47], exec
	s_or_b64 s[48:49], s[12:13], s[18:19]
	s_andn2_b64 s[12:13], s[36:37], exec
	s_and_b64 s[18:19], s[42:43], exec
	;; [unrolled: 3-line block ×3, first 2 shown]
	s_or_b64 s[24:25], s[12:13], s[16:17]
	s_andn2_b64 exec, exec, s[34:35]
	s_cbranch_execz .LBB632_979
.LBB632_977:                            ; =>This Inner Loop Header: Depth=1
	flat_load_ushort v31, v[66:67]
	flat_load_ushort v70, v[64:65]
	s_andn2_b64 s[46:47], s[46:47], exec
	s_or_b64 s[42:43], s[42:43], exec
	s_or_b64 s[44:45], s[44:45], exec
	s_waitcnt vmcnt(0) lgkmcnt(0)
	v_cmp_le_i16_e64 s[16:17], v31, v70
	v_cmp_lt_i16_e64 s[12:13], v31, v70
	s_and_b64 s[16:17], s[16:17], s[48:49]
	v_cmp_eq_u16_e64 s[18:19], v31, v70
	s_or_b64 s[16:17], s[12:13], s[16:17]
	s_and_saveexec_b64 s[50:51], s[18:19]
	s_cbranch_execz .LBB632_976
; %bb.978:                              ;   in Loop: Header=BB632_977 Depth=1
	v_lshl_add_u64 v[68:69], v[68:69], 0, -1
	v_cmp_eq_u64_e64 s[12:13], 0, v[68:69]
	s_andn2_b64 s[18:19], s[46:47], exec
	s_and_b64 s[46:47], s[16:17], exec
	s_or_b64 s[46:47], s[18:19], s[46:47]
	s_andn2_b64 s[18:19], s[44:45], exec
	s_and_b64 s[12:13], s[12:13], exec
	v_lshl_add_u64 v[64:65], v[64:65], 0, 2
	v_lshl_add_u64 v[66:67], v[66:67], 0, 2
	s_andn2_b64 s[42:43], s[42:43], exec
	s_or_b64 s[44:45], s[18:19], s[12:13]
                                        ; implicit-def: $sgpr48_sgpr49
	s_branch .LBB632_976
.LBB632_979:
	s_or_b64 exec, exec, s[34:35]
	s_and_saveexec_b64 s[12:13], s[36:37]
	s_xor_b64 s[12:13], exec, s[12:13]
; %bb.980:
	v_cndmask_b32_e64 v65, v27, v21, s[24:25]
	v_cndmask_b32_e64 v64, v26, v20, s[24:25]
	;; [unrolled: 1-line block ×4, first 2 shown]
	v_mov_b64_e32 v[26:27], v[64:65]
; %bb.981:
	s_or_b64 exec, exec, s[12:13]
.LBB632_982:
	s_or_b64 exec, exec, s[22:23]
	s_or_b64 exec, exec, s[20:21]
	s_and_saveexec_b64 s[20:21], s[26:27]
	s_cbranch_execz .LBB632_784
.LBB632_983:
	s_and_saveexec_b64 s[22:23], s[8:9]
	s_cbranch_execz .LBB632_991
; %bb.984:
	v_mul_lo_u32 v31, v23, v6
	v_mul_lo_u32 v66, v22, v7
	v_mad_u64_u32 v[64:65], s[12:13], v22, v6, 0
	v_add3_u32 v65, v65, v66, v31
	v_mul_lo_u32 v31, v17, v6
	v_mul_lo_u32 v68, v16, v7
	v_mad_u64_u32 v[66:67], s[12:13], v16, v6, 0
	v_add3_u32 v67, v67, v68, v31
	v_lshl_add_u64 v[64:65], v[64:65], 1, v[8:9]
	v_lshl_add_u64 v[66:67], v[66:67], 1, v[8:9]
	s_mov_b64 s[26:27], 0
	v_mov_b64_e32 v[68:69], v[6:7]
                                        ; implicit-def: $sgpr24_sgpr25
                                        ; implicit-def: $sgpr34_sgpr35
                                        ; implicit-def: $sgpr42_sgpr43
                                        ; implicit-def: $sgpr36_sgpr37
                                        ; implicit-def: $sgpr44_sgpr45
                                        ; implicit-def: $sgpr46_sgpr47
	s_branch .LBB632_986
.LBB632_985:                            ;   in Loop: Header=BB632_986 Depth=1
	s_or_b64 exec, exec, s[48:49]
	s_and_b64 s[12:13], exec, s[42:43]
	s_or_b64 s[26:27], s[12:13], s[26:27]
	s_andn2_b64 s[12:13], s[46:47], exec
	s_and_b64 s[18:19], s[44:45], exec
	s_or_b64 s[46:47], s[12:13], s[18:19]
	s_andn2_b64 s[12:13], s[34:35], exec
	s_and_b64 s[18:19], s[36:37], exec
	;; [unrolled: 3-line block ×3, first 2 shown]
	s_or_b64 s[24:25], s[12:13], s[16:17]
	s_andn2_b64 exec, exec, s[26:27]
	s_cbranch_execz .LBB632_988
.LBB632_986:                            ; =>This Inner Loop Header: Depth=1
	flat_load_ushort v31, v[66:67]
	flat_load_ushort v70, v[64:65]
	s_andn2_b64 s[44:45], s[44:45], exec
	s_or_b64 s[36:37], s[36:37], exec
	s_or_b64 s[42:43], s[42:43], exec
	s_waitcnt vmcnt(0) lgkmcnt(0)
	v_cmp_le_i16_e64 s[16:17], v31, v70
	v_cmp_lt_i16_e64 s[12:13], v31, v70
	s_and_b64 s[16:17], s[16:17], s[46:47]
	v_cmp_eq_u16_e64 s[18:19], v31, v70
	s_or_b64 s[16:17], s[12:13], s[16:17]
	s_and_saveexec_b64 s[48:49], s[18:19]
	s_cbranch_execz .LBB632_985
; %bb.987:                              ;   in Loop: Header=BB632_986 Depth=1
	v_lshl_add_u64 v[68:69], v[68:69], 0, -1
	v_cmp_eq_u64_e64 s[12:13], 0, v[68:69]
	s_andn2_b64 s[18:19], s[44:45], exec
	s_and_b64 s[44:45], s[16:17], exec
	s_or_b64 s[44:45], s[18:19], s[44:45]
	s_andn2_b64 s[18:19], s[42:43], exec
	s_and_b64 s[12:13], s[12:13], exec
	v_lshl_add_u64 v[64:65], v[64:65], 0, 2
	v_lshl_add_u64 v[66:67], v[66:67], 0, 2
	s_andn2_b64 s[36:37], s[36:37], exec
	s_or_b64 s[42:43], s[18:19], s[12:13]
                                        ; implicit-def: $sgpr46_sgpr47
	s_branch .LBB632_985
.LBB632_988:
	s_or_b64 exec, exec, s[26:27]
	s_and_saveexec_b64 s[12:13], s[34:35]
	s_xor_b64 s[12:13], exec, s[12:13]
; %bb.989:
	v_cndmask_b32_e64 v65, v23, v17, s[24:25]
	v_cndmask_b32_e64 v64, v22, v16, s[24:25]
	;; [unrolled: 1-line block ×4, first 2 shown]
	v_mov_b64_e32 v[22:23], v[64:65]
; %bb.990:
	s_or_b64 exec, exec, s[12:13]
.LBB632_991:
	s_or_b64 exec, exec, s[22:23]
	s_or_b64 exec, exec, s[20:21]
	s_and_saveexec_b64 s[20:21], s[28:29]
	s_cbranch_execz .LBB632_1001
.LBB632_992:
	s_and_saveexec_b64 s[22:23], s[8:9]
	s_cbranch_execz .LBB632_1000
; %bb.993:
	v_mul_lo_u32 v31, v19, v6
	v_mul_lo_u32 v66, v18, v7
	v_mad_u64_u32 v[64:65], s[12:13], v18, v6, 0
	v_add3_u32 v65, v65, v66, v31
	v_mul_lo_u32 v31, v13, v6
	v_mul_lo_u32 v68, v12, v7
	v_mad_u64_u32 v[66:67], s[12:13], v12, v6, 0
	v_add3_u32 v67, v67, v68, v31
	v_lshl_add_u64 v[64:65], v[64:65], 1, v[8:9]
	v_lshl_add_u64 v[66:67], v[66:67], 1, v[8:9]
	s_mov_b64 s[26:27], 0
	v_mov_b64_e32 v[68:69], v[6:7]
                                        ; implicit-def: $sgpr24_sgpr25
                                        ; implicit-def: $sgpr28_sgpr29
                                        ; implicit-def: $sgpr36_sgpr37
                                        ; implicit-def: $sgpr34_sgpr35
                                        ; implicit-def: $sgpr42_sgpr43
                                        ; implicit-def: $sgpr44_sgpr45
	s_branch .LBB632_995
.LBB632_994:                            ;   in Loop: Header=BB632_995 Depth=1
	s_or_b64 exec, exec, s[46:47]
	s_and_b64 s[12:13], exec, s[36:37]
	s_or_b64 s[26:27], s[12:13], s[26:27]
	s_andn2_b64 s[12:13], s[44:45], exec
	s_and_b64 s[18:19], s[42:43], exec
	s_or_b64 s[44:45], s[12:13], s[18:19]
	s_andn2_b64 s[12:13], s[28:29], exec
	s_and_b64 s[18:19], s[34:35], exec
	;; [unrolled: 3-line block ×3, first 2 shown]
	s_or_b64 s[24:25], s[12:13], s[16:17]
	s_andn2_b64 exec, exec, s[26:27]
	s_cbranch_execz .LBB632_997
.LBB632_995:                            ; =>This Inner Loop Header: Depth=1
	flat_load_ushort v31, v[66:67]
	flat_load_ushort v70, v[64:65]
	s_andn2_b64 s[42:43], s[42:43], exec
	s_or_b64 s[34:35], s[34:35], exec
	s_or_b64 s[36:37], s[36:37], exec
	s_waitcnt vmcnt(0) lgkmcnt(0)
	v_cmp_le_i16_e64 s[16:17], v31, v70
	v_cmp_lt_i16_e64 s[12:13], v31, v70
	s_and_b64 s[16:17], s[16:17], s[44:45]
	v_cmp_eq_u16_e64 s[18:19], v31, v70
	s_or_b64 s[16:17], s[12:13], s[16:17]
	s_and_saveexec_b64 s[46:47], s[18:19]
	s_cbranch_execz .LBB632_994
; %bb.996:                              ;   in Loop: Header=BB632_995 Depth=1
	v_lshl_add_u64 v[68:69], v[68:69], 0, -1
	v_cmp_eq_u64_e64 s[12:13], 0, v[68:69]
	s_andn2_b64 s[18:19], s[42:43], exec
	s_and_b64 s[42:43], s[16:17], exec
	s_or_b64 s[42:43], s[18:19], s[42:43]
	s_andn2_b64 s[18:19], s[36:37], exec
	s_and_b64 s[12:13], s[12:13], exec
	v_lshl_add_u64 v[64:65], v[64:65], 0, 2
	v_lshl_add_u64 v[66:67], v[66:67], 0, 2
	s_andn2_b64 s[34:35], s[34:35], exec
	s_or_b64 s[36:37], s[18:19], s[12:13]
                                        ; implicit-def: $sgpr44_sgpr45
	s_branch .LBB632_994
.LBB632_997:
	s_or_b64 exec, exec, s[26:27]
	s_and_saveexec_b64 s[12:13], s[28:29]
	s_xor_b64 s[12:13], exec, s[12:13]
; %bb.998:
	v_cndmask_b32_e64 v65, v19, v13, s[24:25]
	v_cndmask_b32_e64 v64, v18, v12, s[24:25]
	;; [unrolled: 1-line block ×4, first 2 shown]
	v_mov_b64_e32 v[18:19], v[64:65]
; %bb.999:
	s_or_b64 exec, exec, s[12:13]
.LBB632_1000:
	s_or_b64 exec, exec, s[22:23]
.LBB632_1001:
	s_or_b64 exec, exec, s[20:21]
	v_mbcnt_lo_u32_b32 v31, -1, 0
	v_mbcnt_hi_u32_b32 v64, -1, v31
	v_and_b32_e32 v70, 0xfffffe00, v1
	v_mov_b32_e32 v71, 0
	v_lshlrev_b32_e32 v31, 3, v64
	v_sub_u32_e64 v1, v0, v70 clamp
	v_lshl_add_u64 v[66:67], v[70:71], 3, v[10:11]
	v_lshlrev_b32_e32 v70, 6, v64
	v_or_b32_e32 v64, 8, v31
	v_min_u32_e32 v100, v1, v64
	v_add_u32_e32 v64, 8, v100
	v_and_b32_e32 v102, 0x3f0, v31
	v_min_u32_e32 v101, v1, v64
	v_and_b32_e32 v64, 8, v31
	v_min_u32_e32 v103, v1, v64
	v_sub_u32_e32 v64, v100, v102
	v_sub_u32_e32 v65, v101, v100
	v_sub_u32_e64 v112, v103, v65 clamp
	v_min_u32_e32 v113, v103, v64
	v_lshl_add_u64 v[68:69], v[66:67], 0, v[70:71]
	v_cmp_lt_u32_e64 s[12:13], v112, v113
	v_lshlrev_b64 v[64:65], 1, v[6:7]
	flat_store_dwordx4 v[68:69], v[24:27]
	flat_store_dwordx4 v[68:69], v[20:23] offset:16
	flat_store_dwordx4 v[68:69], v[16:19] offset:32
	;; [unrolled: 1-line block ×3, first 2 shown]
	; wave barrier
	s_and_saveexec_b64 s[20:21], s[12:13]
	s_cbranch_execz .LBB632_1011
; %bb.1002:
	v_lshlrev_b32_e32 v70, 3, v102
	v_lshl_add_u64 v[80:81], v[66:67], 0, v[70:71]
	v_lshlrev_b32_e32 v70, 3, v100
	v_lshl_add_u64 v[82:83], v[66:67], 0, v[70:71]
	s_mov_b64 s[22:23], 0
	s_branch .LBB632_1005
.LBB632_1003:                           ;   in Loop: Header=BB632_1005 Depth=1
	s_or_b64 exec, exec, s[26:27]
	s_and_b64 s[12:13], s[28:29], exec
.LBB632_1004:                           ;   in Loop: Header=BB632_1005 Depth=1
	s_or_b64 exec, exec, s[24:25]
	v_add_u32_e32 v70, 1, v84
	v_cndmask_b32_e64 v113, v113, v84, s[12:13]
	v_cndmask_b32_e64 v112, v70, v112, s[12:13]
	v_cmp_ge_u32_e64 s[12:13], v112, v113
	s_or_b64 s[22:23], s[12:13], s[22:23]
	s_andn2_b64 exec, exec, s[22:23]
	s_cbranch_execz .LBB632_1010
.LBB632_1005:                           ; =>This Loop Header: Depth=1
                                        ;     Child Loop BB632_1008 Depth 2
	v_add_u32_e32 v70, v113, v112
	v_lshrrev_b32_e32 v84, 1, v70
	s_mov_b64 s[12:13], 0
	s_and_saveexec_b64 s[24:25], s[8:9]
	s_cbranch_execz .LBB632_1004
; %bb.1006:                             ;   in Loop: Header=BB632_1005 Depth=1
	v_mov_b32_e32 v85, v71
	v_xad_u32 v70, v84, -1, v103
	v_lshl_add_u64 v[86:87], v[84:85], 3, v[80:81]
	v_lshl_add_u64 v[96:97], v[70:71], 3, v[82:83]
	flat_load_dwordx2 v[86:87], v[86:87]
	s_mov_b64 s[26:27], 0
	flat_load_dwordx2 v[96:97], v[96:97]
                                        ; implicit-def: $sgpr28_sgpr29
                                        ; implicit-def: $sgpr34_sgpr35
                                        ; implicit-def: $sgpr36_sgpr37
                                        ; implicit-def: $sgpr16_sgpr17
                                        ; implicit-def: $sgpr42_sgpr43
	s_waitcnt vmcnt(0) lgkmcnt(0)
	v_mul_lo_u32 v70, v64, v87
	v_mul_lo_u32 v85, v65, v86
	v_mad_u64_u32 v[86:87], s[12:13], v64, v86, v[8:9]
	v_mul_lo_u32 v98, v64, v97
	v_mul_lo_u32 v99, v65, v96
	v_mad_u64_u32 v[96:97], s[12:13], v64, v96, v[8:9]
	v_add3_u32 v87, v85, v87, v70
	v_add3_u32 v97, v99, v97, v98
	v_mov_b64_e32 v[98:99], v[6:7]
	s_branch .LBB632_1008
.LBB632_1007:                           ;   in Loop: Header=BB632_1008 Depth=2
	s_or_b64 exec, exec, s[44:45]
	s_and_b64 s[12:13], exec, s[34:35]
	s_or_b64 s[26:27], s[12:13], s[26:27]
	s_andn2_b64 s[12:13], s[42:43], exec
	s_and_b64 s[18:19], s[36:37], exec
	s_or_b64 s[42:43], s[12:13], s[18:19]
	s_andn2_b64 s[12:13], s[28:29], exec
	s_and_b64 s[18:19], s[16:17], exec
	s_or_b64 s[28:29], s[12:13], s[18:19]
	s_andn2_b64 exec, exec, s[26:27]
	s_cbranch_execz .LBB632_1003
.LBB632_1008:                           ;   Parent Loop BB632_1005 Depth=1
                                        ; =>  This Inner Loop Header: Depth=2
	flat_load_ushort v70, v[96:97]
	flat_load_ushort v85, v[86:87]
	s_andn2_b64 s[44:45], s[16:17], exec
	s_andn2_b64 s[36:37], s[36:37], exec
	s_or_b64 s[34:35], s[34:35], exec
	s_waitcnt vmcnt(0) lgkmcnt(0)
	v_cmp_le_i16_e64 s[16:17], v70, v85
	v_cmp_lt_i16_e64 s[12:13], v70, v85
	s_and_b64 s[16:17], s[16:17], s[42:43]
	s_or_b64 s[46:47], s[12:13], s[16:17]
	s_and_b64 s[12:13], s[46:47], exec
	v_cmp_eq_u16_e64 s[18:19], v70, v85
	s_or_b64 s[16:17], s[44:45], s[12:13]
	s_and_saveexec_b64 s[44:45], s[18:19]
	s_cbranch_execz .LBB632_1007
; %bb.1009:                             ;   in Loop: Header=BB632_1008 Depth=2
	v_lshl_add_u64 v[98:99], v[98:99], 0, -1
	v_cmp_eq_u64_e64 s[12:13], 0, v[98:99]
	s_andn2_b64 s[18:19], s[36:37], exec
	s_and_b64 s[36:37], s[46:47], exec
	s_or_b64 s[36:37], s[18:19], s[36:37]
	s_andn2_b64 s[18:19], s[34:35], exec
	s_and_b64 s[12:13], s[12:13], exec
	v_lshl_add_u64 v[86:87], v[86:87], 0, 2
	v_lshl_add_u64 v[96:97], v[96:97], 0, 2
	s_andn2_b64 s[16:17], s[16:17], exec
	s_or_b64 s[34:35], s[18:19], s[12:13]
                                        ; implicit-def: $sgpr42_sgpr43
	s_branch .LBB632_1007
.LBB632_1010:
	s_or_b64 exec, exec, s[22:23]
.LBB632_1011:
	s_or_b64 exec, exec, s[20:21]
	v_add_u32_e32 v71, v100, v103
	v_add_u32_e32 v70, v112, v102
	v_sub_u32_e32 v80, v71, v112
	v_cmp_le_u32_e64 s[12:13], v70, v100
	v_cmp_le_u32_e64 s[16:17], v80, v101
	s_or_b64 s[12:13], s[12:13], s[16:17]
	s_and_saveexec_b64 s[20:21], s[12:13]
	s_cbranch_execz .LBB632_1095
; %bb.1012:
	v_cmp_ge_u32_e64 s[16:17], v70, v100
	v_cmp_lt_u32_e64 s[12:13], v70, v100
                                        ; implicit-def: $vgpr12_vgpr13
	s_and_saveexec_b64 s[18:19], s[12:13]
	s_cbranch_execz .LBB632_1014
; %bb.1013:
	v_mov_b32_e32 v71, 0
	v_lshl_add_u64 v[12:13], v[70:71], 3, v[66:67]
	flat_load_dwordx2 v[12:13], v[12:13]
.LBB632_1014:
	s_or_b64 exec, exec, s[18:19]
	v_cmp_ge_u32_e64 s[22:23], v80, v101
	v_cmp_lt_u32_e64 s[12:13], v80, v101
                                        ; implicit-def: $vgpr14_vgpr15
	s_and_saveexec_b64 s[18:19], s[12:13]
	s_cbranch_execz .LBB632_1016
; %bb.1015:
	v_mov_b32_e32 v81, 0
	v_lshl_add_u64 v[14:15], v[80:81], 3, v[66:67]
	flat_load_dwordx2 v[14:15], v[14:15]
.LBB632_1016:
	s_or_b64 exec, exec, s[18:19]
	s_or_b64 s[12:13], s[16:17], s[22:23]
	s_xor_b64 s[12:13], s[12:13], -1
	s_and_saveexec_b64 s[24:25], s[12:13]
	s_cbranch_execz .LBB632_1024
; %bb.1017:
	s_mov_b64 s[12:13], 0
	s_and_saveexec_b64 s[26:27], s[8:9]
	s_cbranch_execz .LBB632_1023
; %bb.1018:
	s_waitcnt vmcnt(0) lgkmcnt(0)
	v_mul_lo_u32 v18, v13, v6
	v_mul_lo_u32 v19, v12, v7
	v_mad_u64_u32 v[16:17], s[12:13], v12, v6, 0
	v_add3_u32 v17, v17, v19, v18
	v_mul_lo_u32 v20, v15, v6
	v_mul_lo_u32 v21, v14, v7
	v_mad_u64_u32 v[18:19], s[12:13], v14, v6, 0
	v_add3_u32 v19, v19, v21, v20
	v_lshl_add_u64 v[16:17], v[16:17], 1, v[8:9]
	v_lshl_add_u64 v[18:19], v[18:19], 1, v[8:9]
	s_mov_b64 s[28:29], 0
	v_mov_b64_e32 v[20:21], v[6:7]
                                        ; implicit-def: $sgpr34_sgpr35
                                        ; implicit-def: $sgpr36_sgpr37
                                        ; implicit-def: $sgpr42_sgpr43
                                        ; implicit-def: $sgpr16_sgpr17
                                        ; implicit-def: $sgpr44_sgpr45
	s_branch .LBB632_1020
.LBB632_1019:                           ;   in Loop: Header=BB632_1020 Depth=1
	s_or_b64 exec, exec, s[46:47]
	s_and_b64 s[12:13], exec, s[36:37]
	s_or_b64 s[28:29], s[12:13], s[28:29]
	s_andn2_b64 s[12:13], s[44:45], exec
	s_and_b64 s[18:19], s[42:43], exec
	s_or_b64 s[44:45], s[12:13], s[18:19]
	s_andn2_b64 s[12:13], s[34:35], exec
	s_and_b64 s[18:19], s[16:17], exec
	s_or_b64 s[34:35], s[12:13], s[18:19]
	s_andn2_b64 exec, exec, s[28:29]
	s_cbranch_execz .LBB632_1022
.LBB632_1020:                           ; =>This Inner Loop Header: Depth=1
	flat_load_ushort v22, v[18:19]
	flat_load_ushort v23, v[16:17]
	s_andn2_b64 s[46:47], s[16:17], exec
	s_andn2_b64 s[42:43], s[42:43], exec
	s_or_b64 s[36:37], s[36:37], exec
	s_waitcnt vmcnt(0) lgkmcnt(0)
	v_cmp_le_i16_e64 s[16:17], v22, v23
	v_cmp_lt_i16_e64 s[12:13], v22, v23
	s_and_b64 s[16:17], s[16:17], s[44:45]
	s_or_b64 s[48:49], s[12:13], s[16:17]
	s_and_b64 s[12:13], s[48:49], exec
	v_cmp_eq_u16_e64 s[18:19], v22, v23
	s_or_b64 s[16:17], s[46:47], s[12:13]
	s_and_saveexec_b64 s[46:47], s[18:19]
	s_cbranch_execz .LBB632_1019
; %bb.1021:                             ;   in Loop: Header=BB632_1020 Depth=1
	v_lshl_add_u64 v[20:21], v[20:21], 0, -1
	v_cmp_eq_u64_e64 s[12:13], 0, v[20:21]
	s_andn2_b64 s[18:19], s[42:43], exec
	s_and_b64 s[42:43], s[48:49], exec
	s_or_b64 s[42:43], s[18:19], s[42:43]
	s_andn2_b64 s[18:19], s[36:37], exec
	s_and_b64 s[12:13], s[12:13], exec
	v_lshl_add_u64 v[16:17], v[16:17], 0, 2
	v_lshl_add_u64 v[18:19], v[18:19], 0, 2
	s_andn2_b64 s[16:17], s[16:17], exec
	s_or_b64 s[36:37], s[18:19], s[12:13]
                                        ; implicit-def: $sgpr44_sgpr45
	s_branch .LBB632_1019
.LBB632_1022:
	s_or_b64 exec, exec, s[28:29]
	s_and_b64 s[12:13], s[34:35], exec
.LBB632_1023:
	s_or_b64 exec, exec, s[26:27]
	s_xor_b64 s[12:13], s[12:13], -1
	s_andn2_b64 s[16:17], s[22:23], exec
	s_and_b64 s[12:13], s[12:13], exec
	s_or_b64 s[22:23], s[16:17], s[12:13]
.LBB632_1024:
	s_or_b64 exec, exec, s[24:25]
	v_cndmask_b32_e64 v16, v80, v70, s[22:23]
	v_cndmask_b32_e64 v17, v101, v100, s[22:23]
	v_add_u32_e32 v20, 1, v16
	v_add_u32_e32 v16, -1, v17
	v_min_u32_e32 v16, v20, v16
	v_mov_b32_e32 v17, 0
	v_lshl_add_u64 v[18:19], v[16:17], 3, v[66:67]
	flat_load_dwordx2 v[18:19], v[18:19]
	v_cndmask_b32_e64 v27, v20, v80, s[22:23]
	s_mov_b64 s[24:25], -1
	v_cndmask_b32_e64 v70, v70, v20, s[22:23]
	v_cmp_lt_u32_e64 s[12:13], v27, v101
	s_mov_b64 s[26:27], -1
	s_waitcnt vmcnt(0) lgkmcnt(0)
	v_cndmask_b32_e64 v24, v19, v15, s[22:23]
	v_cndmask_b32_e64 v25, v18, v14, s[22:23]
	;; [unrolled: 1-line block ×4, first 2 shown]
	s_and_saveexec_b64 s[28:29], s[12:13]
	s_cbranch_execz .LBB632_1034
; %bb.1025:
	v_cmp_lt_u32_e64 s[12:13], v70, v100
	s_mov_b64 s[16:17], 0
	s_and_saveexec_b64 s[26:27], s[12:13]
	s_cbranch_execz .LBB632_1033
; %bb.1026:
	s_mov_b64 s[12:13], 0
	s_and_saveexec_b64 s[34:35], s[8:9]
	s_cbranch_execz .LBB632_1032
; %bb.1027:
	v_mul_lo_u32 v16, v26, v6
	v_mul_lo_u32 v20, v80, v7
	v_mad_u64_u32 v[18:19], s[12:13], v80, v6, 0
	v_add3_u32 v19, v19, v20, v16
	v_mul_lo_u32 v16, v24, v6
	v_mul_lo_u32 v22, v25, v7
	v_mad_u64_u32 v[20:21], s[12:13], v25, v6, 0
	v_add3_u32 v21, v21, v22, v16
	v_lshl_add_u64 v[18:19], v[18:19], 1, v[8:9]
	v_lshl_add_u64 v[20:21], v[20:21], 1, v[8:9]
	s_mov_b64 s[36:37], 0
	v_mov_b64_e32 v[22:23], v[6:7]
                                        ; implicit-def: $sgpr42_sgpr43
                                        ; implicit-def: $sgpr44_sgpr45
                                        ; implicit-def: $sgpr46_sgpr47
                                        ; implicit-def: $sgpr16_sgpr17
                                        ; implicit-def: $sgpr48_sgpr49
	s_branch .LBB632_1029
.LBB632_1028:                           ;   in Loop: Header=BB632_1029 Depth=1
	s_or_b64 exec, exec, s[50:51]
	s_and_b64 s[12:13], exec, s[44:45]
	s_or_b64 s[36:37], s[12:13], s[36:37]
	s_andn2_b64 s[12:13], s[48:49], exec
	s_and_b64 s[18:19], s[46:47], exec
	s_or_b64 s[48:49], s[12:13], s[18:19]
	s_andn2_b64 s[12:13], s[42:43], exec
	s_and_b64 s[18:19], s[16:17], exec
	s_or_b64 s[42:43], s[12:13], s[18:19]
	s_andn2_b64 exec, exec, s[36:37]
	s_cbranch_execz .LBB632_1031
.LBB632_1029:                           ; =>This Inner Loop Header: Depth=1
	flat_load_ushort v16, v[20:21]
	flat_load_ushort v71, v[18:19]
	s_andn2_b64 s[50:51], s[16:17], exec
	s_andn2_b64 s[46:47], s[46:47], exec
	s_or_b64 s[44:45], s[44:45], exec
	s_waitcnt vmcnt(0) lgkmcnt(0)
	v_cmp_le_i16_e64 s[16:17], v16, v71
	v_cmp_lt_i16_e64 s[12:13], v16, v71
	s_and_b64 s[16:17], s[16:17], s[48:49]
	s_or_b64 s[52:53], s[12:13], s[16:17]
	s_and_b64 s[12:13], s[52:53], exec
	v_cmp_eq_u16_e64 s[18:19], v16, v71
	s_or_b64 s[16:17], s[50:51], s[12:13]
	s_and_saveexec_b64 s[50:51], s[18:19]
	s_cbranch_execz .LBB632_1028
; %bb.1030:                             ;   in Loop: Header=BB632_1029 Depth=1
	v_lshl_add_u64 v[22:23], v[22:23], 0, -1
	v_cmp_eq_u64_e64 s[12:13], 0, v[22:23]
	s_andn2_b64 s[18:19], s[46:47], exec
	s_and_b64 s[46:47], s[52:53], exec
	s_or_b64 s[46:47], s[18:19], s[46:47]
	s_andn2_b64 s[18:19], s[44:45], exec
	s_and_b64 s[12:13], s[12:13], exec
	v_lshl_add_u64 v[18:19], v[18:19], 0, 2
	v_lshl_add_u64 v[20:21], v[20:21], 0, 2
	s_andn2_b64 s[16:17], s[16:17], exec
	s_or_b64 s[44:45], s[18:19], s[12:13]
                                        ; implicit-def: $sgpr48_sgpr49
	s_branch .LBB632_1028
.LBB632_1031:
	s_or_b64 exec, exec, s[36:37]
	s_and_b64 s[12:13], s[42:43], exec
.LBB632_1032:
	s_or_b64 exec, exec, s[34:35]
	s_xor_b64 s[12:13], s[12:13], -1
	s_and_b64 s[16:17], s[12:13], exec
.LBB632_1033:
	s_or_b64 exec, exec, s[26:27]
	s_orn2_b64 s[26:27], s[16:17], exec
.LBB632_1034:
	s_or_b64 exec, exec, s[28:29]
	v_cndmask_b32_e64 v16, v27, v70, s[26:27]
	v_cndmask_b32_e64 v18, v101, v100, s[26:27]
	v_add_u32_e32 v19, 1, v16
	v_add_u32_e32 v16, -1, v18
	v_min_u32_e32 v16, v19, v16
	v_lshl_add_u64 v[16:17], v[16:17], 3, v[66:67]
	flat_load_dwordx2 v[16:17], v[16:17]
	v_cndmask_b32_e64 v22, v19, v27, s[26:27]
	v_cndmask_b32_e64 v23, v70, v19, s[26:27]
	v_cmp_lt_u32_e64 s[12:13], v22, v101
	s_waitcnt vmcnt(0) lgkmcnt(0)
	v_cndmask_b32_e64 v27, v17, v24, s[26:27]
	v_cndmask_b32_e64 v81, v16, v25, s[26:27]
	;; [unrolled: 1-line block ×4, first 2 shown]
	s_and_saveexec_b64 s[28:29], s[12:13]
	s_cbranch_execz .LBB632_1044
; %bb.1035:
	v_cmp_lt_u32_e64 s[12:13], v23, v100
	s_mov_b64 s[16:17], 0
	s_and_saveexec_b64 s[24:25], s[12:13]
	s_cbranch_execz .LBB632_1043
; %bb.1036:
	s_mov_b64 s[12:13], 0
	s_and_saveexec_b64 s[34:35], s[8:9]
	s_cbranch_execz .LBB632_1042
; %bb.1037:
	v_mul_lo_u32 v18, v82, v6
	v_mul_lo_u32 v19, v83, v7
	v_mad_u64_u32 v[16:17], s[12:13], v83, v6, 0
	v_add3_u32 v17, v17, v19, v18
	v_mul_lo_u32 v20, v27, v6
	v_mul_lo_u32 v21, v81, v7
	v_mad_u64_u32 v[18:19], s[12:13], v81, v6, 0
	v_add3_u32 v19, v19, v21, v20
	v_lshl_add_u64 v[16:17], v[16:17], 1, v[8:9]
	v_lshl_add_u64 v[18:19], v[18:19], 1, v[8:9]
	s_mov_b64 s[36:37], 0
	v_mov_b64_e32 v[20:21], v[6:7]
                                        ; implicit-def: $sgpr42_sgpr43
                                        ; implicit-def: $sgpr44_sgpr45
                                        ; implicit-def: $sgpr46_sgpr47
                                        ; implicit-def: $sgpr16_sgpr17
                                        ; implicit-def: $sgpr48_sgpr49
	s_branch .LBB632_1039
.LBB632_1038:                           ;   in Loop: Header=BB632_1039 Depth=1
	s_or_b64 exec, exec, s[50:51]
	s_and_b64 s[12:13], exec, s[44:45]
	s_or_b64 s[36:37], s[12:13], s[36:37]
	s_andn2_b64 s[12:13], s[48:49], exec
	s_and_b64 s[18:19], s[46:47], exec
	s_or_b64 s[48:49], s[12:13], s[18:19]
	s_andn2_b64 s[12:13], s[42:43], exec
	s_and_b64 s[18:19], s[16:17], exec
	s_or_b64 s[42:43], s[12:13], s[18:19]
	s_andn2_b64 exec, exec, s[36:37]
	s_cbranch_execz .LBB632_1041
.LBB632_1039:                           ; =>This Inner Loop Header: Depth=1
	flat_load_ushort v70, v[18:19]
	flat_load_ushort v71, v[16:17]
	s_andn2_b64 s[50:51], s[16:17], exec
	s_andn2_b64 s[46:47], s[46:47], exec
	s_or_b64 s[44:45], s[44:45], exec
	s_waitcnt vmcnt(0) lgkmcnt(0)
	v_cmp_le_i16_e64 s[16:17], v70, v71
	v_cmp_lt_i16_e64 s[12:13], v70, v71
	s_and_b64 s[16:17], s[16:17], s[48:49]
	s_or_b64 s[52:53], s[12:13], s[16:17]
	s_and_b64 s[12:13], s[52:53], exec
	v_cmp_eq_u16_e64 s[18:19], v70, v71
	s_or_b64 s[16:17], s[50:51], s[12:13]
	s_and_saveexec_b64 s[50:51], s[18:19]
	s_cbranch_execz .LBB632_1038
; %bb.1040:                             ;   in Loop: Header=BB632_1039 Depth=1
	v_lshl_add_u64 v[20:21], v[20:21], 0, -1
	v_cmp_eq_u64_e64 s[12:13], 0, v[20:21]
	s_andn2_b64 s[18:19], s[46:47], exec
	s_and_b64 s[46:47], s[52:53], exec
	s_or_b64 s[46:47], s[18:19], s[46:47]
	s_andn2_b64 s[18:19], s[44:45], exec
	s_and_b64 s[12:13], s[12:13], exec
	v_lshl_add_u64 v[16:17], v[16:17], 0, 2
	v_lshl_add_u64 v[18:19], v[18:19], 0, 2
	s_andn2_b64 s[16:17], s[16:17], exec
	s_or_b64 s[44:45], s[18:19], s[12:13]
                                        ; implicit-def: $sgpr48_sgpr49
	s_branch .LBB632_1038
.LBB632_1041:
	s_or_b64 exec, exec, s[36:37]
	s_and_b64 s[12:13], s[42:43], exec
.LBB632_1042:
	s_or_b64 exec, exec, s[34:35]
	s_xor_b64 s[12:13], s[12:13], -1
	s_and_b64 s[16:17], s[12:13], exec
.LBB632_1043:
	s_or_b64 exec, exec, s[24:25]
	s_orn2_b64 s[24:25], s[16:17], exec
.LBB632_1044:
	s_or_b64 exec, exec, s[28:29]
	v_cndmask_b32_e64 v16, v22, v23, s[24:25]
	v_cndmask_b32_e64 v17, v101, v100, s[24:25]
	v_add_u32_e32 v20, 1, v16
	v_add_u32_e32 v16, -1, v17
	v_min_u32_e32 v16, v20, v16
	v_mov_b32_e32 v17, 0
	v_lshl_add_u64 v[18:19], v[16:17], 3, v[66:67]
	flat_load_dwordx2 v[18:19], v[18:19]
	v_cndmask_b32_e64 v70, v20, v22, s[24:25]
	s_mov_b64 s[28:29], -1
	v_cndmask_b32_e64 v71, v23, v20, s[24:25]
	v_cmp_lt_u32_e64 s[12:13], v70, v101
	s_mov_b64 s[34:35], -1
	s_waitcnt vmcnt(0) lgkmcnt(0)
	v_cndmask_b32_e64 v84, v19, v27, s[24:25]
	v_cndmask_b32_e64 v85, v18, v81, s[24:25]
	;; [unrolled: 1-line block ×4, first 2 shown]
	s_and_saveexec_b64 s[36:37], s[12:13]
	s_cbranch_execz .LBB632_1054
; %bb.1045:
	v_cmp_lt_u32_e64 s[12:13], v71, v100
	s_mov_b64 s[16:17], 0
	s_and_saveexec_b64 s[34:35], s[12:13]
	s_cbranch_execz .LBB632_1053
; %bb.1046:
	s_mov_b64 s[12:13], -1
	s_and_saveexec_b64 s[42:43], s[8:9]
	s_cbranch_execz .LBB632_1052
; %bb.1047:
	v_mul_lo_u32 v16, v86, v6
	v_mul_lo_u32 v20, v87, v7
	v_mad_u64_u32 v[18:19], s[12:13], v87, v6, 0
	v_add3_u32 v19, v19, v20, v16
	v_mul_lo_u32 v16, v84, v6
	v_mul_lo_u32 v22, v85, v7
	v_mad_u64_u32 v[20:21], s[12:13], v85, v6, 0
	v_add3_u32 v21, v21, v22, v16
	v_lshl_add_u64 v[18:19], v[18:19], 1, v[8:9]
	v_lshl_add_u64 v[20:21], v[20:21], 1, v[8:9]
	s_mov_b64 s[44:45], 0
	v_mov_b64_e32 v[22:23], v[6:7]
                                        ; implicit-def: $sgpr46_sgpr47
                                        ; implicit-def: $sgpr48_sgpr49
                                        ; implicit-def: $sgpr16_sgpr17
                                        ; implicit-def: $sgpr50_sgpr51
                                        ; implicit-def: $sgpr52_sgpr53
	s_branch .LBB632_1049
.LBB632_1048:                           ;   in Loop: Header=BB632_1049 Depth=1
	s_or_b64 exec, exec, s[54:55]
	s_and_b64 s[12:13], exec, s[48:49]
	s_or_b64 s[44:45], s[12:13], s[44:45]
	s_andn2_b64 s[12:13], s[52:53], exec
	s_and_b64 s[18:19], s[50:51], exec
	s_or_b64 s[52:53], s[12:13], s[18:19]
	s_andn2_b64 s[12:13], s[46:47], exec
	s_and_b64 s[18:19], s[16:17], exec
	s_or_b64 s[46:47], s[12:13], s[18:19]
	s_andn2_b64 exec, exec, s[44:45]
	s_cbranch_execz .LBB632_1051
.LBB632_1049:                           ; =>This Inner Loop Header: Depth=1
	flat_load_ushort v16, v[20:21]
	flat_load_ushort v96, v[18:19]
	s_andn2_b64 s[54:55], s[16:17], exec
	s_andn2_b64 s[50:51], s[50:51], exec
	s_or_b64 s[48:49], s[48:49], exec
	s_waitcnt vmcnt(0) lgkmcnt(0)
	v_cmp_le_i16_e64 s[16:17], v16, v96
	v_cmp_lt_i16_e64 s[12:13], v16, v96
	s_and_b64 s[16:17], s[16:17], s[52:53]
	s_or_b64 s[56:57], s[12:13], s[16:17]
	s_and_b64 s[12:13], s[56:57], exec
	v_cmp_eq_u16_e64 s[18:19], v16, v96
	s_or_b64 s[16:17], s[54:55], s[12:13]
	s_and_saveexec_b64 s[54:55], s[18:19]
	s_cbranch_execz .LBB632_1048
; %bb.1050:                             ;   in Loop: Header=BB632_1049 Depth=1
	v_lshl_add_u64 v[22:23], v[22:23], 0, -1
	v_cmp_eq_u64_e64 s[12:13], 0, v[22:23]
	s_andn2_b64 s[18:19], s[50:51], exec
	s_and_b64 s[50:51], s[56:57], exec
	s_or_b64 s[50:51], s[18:19], s[50:51]
	s_andn2_b64 s[18:19], s[48:49], exec
	s_and_b64 s[12:13], s[12:13], exec
	v_lshl_add_u64 v[18:19], v[18:19], 0, 2
	v_lshl_add_u64 v[20:21], v[20:21], 0, 2
	s_andn2_b64 s[16:17], s[16:17], exec
	s_or_b64 s[48:49], s[18:19], s[12:13]
                                        ; implicit-def: $sgpr52_sgpr53
	s_branch .LBB632_1048
.LBB632_1051:
	s_or_b64 exec, exec, s[44:45]
	s_xor_b64 s[12:13], s[46:47], -1
	s_orn2_b64 s[12:13], s[12:13], exec
.LBB632_1052:
	s_or_b64 exec, exec, s[42:43]
	s_and_b64 s[16:17], s[12:13], exec
.LBB632_1053:
	s_or_b64 exec, exec, s[34:35]
	s_orn2_b64 s[34:35], s[16:17], exec
.LBB632_1054:
	s_or_b64 exec, exec, s[36:37]
	v_cndmask_b32_e64 v16, v70, v71, s[34:35]
	v_cndmask_b32_e64 v18, v101, v100, s[34:35]
	v_add_u32_e32 v19, 1, v16
	v_add_u32_e32 v16, -1, v18
	v_min_u32_e32 v16, v19, v16
	v_lshl_add_u64 v[16:17], v[16:17], 3, v[66:67]
	flat_load_dwordx2 v[16:17], v[16:17]
	v_cndmask_b32_e64 v22, v19, v70, s[34:35]
	v_cndmask_b32_e64 v23, v71, v19, s[34:35]
	v_cmp_lt_u32_e64 s[12:13], v22, v101
	s_waitcnt vmcnt(0) lgkmcnt(0)
	v_cndmask_b32_e64 v96, v17, v84, s[34:35]
	v_cndmask_b32_e64 v97, v16, v85, s[34:35]
	;; [unrolled: 1-line block ×4, first 2 shown]
	s_and_saveexec_b64 s[36:37], s[12:13]
	s_cbranch_execz .LBB632_1064
; %bb.1055:
	v_cmp_lt_u32_e64 s[12:13], v23, v100
	s_mov_b64 s[16:17], 0
	s_and_saveexec_b64 s[28:29], s[12:13]
	s_cbranch_execz .LBB632_1063
; %bb.1056:
	s_mov_b64 s[12:13], -1
	s_and_saveexec_b64 s[42:43], s[8:9]
	s_cbranch_execz .LBB632_1062
; %bb.1057:
	v_mul_lo_u32 v18, v98, v6
	v_mul_lo_u32 v19, v99, v7
	v_mad_u64_u32 v[16:17], s[12:13], v99, v6, 0
	v_add3_u32 v17, v17, v19, v18
	v_mul_lo_u32 v20, v96, v6
	v_mul_lo_u32 v21, v97, v7
	v_mad_u64_u32 v[18:19], s[12:13], v97, v6, 0
	v_add3_u32 v19, v19, v21, v20
	v_lshl_add_u64 v[16:17], v[16:17], 1, v[8:9]
	v_lshl_add_u64 v[18:19], v[18:19], 1, v[8:9]
	s_mov_b64 s[44:45], 0
	v_mov_b64_e32 v[20:21], v[6:7]
                                        ; implicit-def: $sgpr46_sgpr47
                                        ; implicit-def: $sgpr48_sgpr49
                                        ; implicit-def: $sgpr16_sgpr17
                                        ; implicit-def: $sgpr50_sgpr51
                                        ; implicit-def: $sgpr52_sgpr53
	s_branch .LBB632_1059
.LBB632_1058:                           ;   in Loop: Header=BB632_1059 Depth=1
	s_or_b64 exec, exec, s[54:55]
	s_and_b64 s[12:13], exec, s[48:49]
	s_or_b64 s[44:45], s[12:13], s[44:45]
	s_andn2_b64 s[12:13], s[52:53], exec
	s_and_b64 s[18:19], s[50:51], exec
	s_or_b64 s[52:53], s[12:13], s[18:19]
	s_andn2_b64 s[12:13], s[46:47], exec
	s_and_b64 s[18:19], s[16:17], exec
	s_or_b64 s[46:47], s[12:13], s[18:19]
	s_andn2_b64 exec, exec, s[44:45]
	s_cbranch_execz .LBB632_1061
.LBB632_1059:                           ; =>This Inner Loop Header: Depth=1
	flat_load_ushort v70, v[18:19]
	flat_load_ushort v71, v[16:17]
	s_andn2_b64 s[54:55], s[16:17], exec
	s_andn2_b64 s[50:51], s[50:51], exec
	s_or_b64 s[48:49], s[48:49], exec
	s_waitcnt vmcnt(0) lgkmcnt(0)
	v_cmp_le_i16_e64 s[16:17], v70, v71
	v_cmp_lt_i16_e64 s[12:13], v70, v71
	s_and_b64 s[16:17], s[16:17], s[52:53]
	s_or_b64 s[56:57], s[12:13], s[16:17]
	s_and_b64 s[12:13], s[56:57], exec
	v_cmp_eq_u16_e64 s[18:19], v70, v71
	s_or_b64 s[16:17], s[54:55], s[12:13]
	s_and_saveexec_b64 s[54:55], s[18:19]
	s_cbranch_execz .LBB632_1058
; %bb.1060:                             ;   in Loop: Header=BB632_1059 Depth=1
	v_lshl_add_u64 v[20:21], v[20:21], 0, -1
	v_cmp_eq_u64_e64 s[12:13], 0, v[20:21]
	s_andn2_b64 s[18:19], s[50:51], exec
	s_and_b64 s[50:51], s[56:57], exec
	s_or_b64 s[50:51], s[18:19], s[50:51]
	s_andn2_b64 s[18:19], s[48:49], exec
	s_and_b64 s[12:13], s[12:13], exec
	v_lshl_add_u64 v[16:17], v[16:17], 0, 2
	v_lshl_add_u64 v[18:19], v[18:19], 0, 2
	s_andn2_b64 s[16:17], s[16:17], exec
	s_or_b64 s[48:49], s[18:19], s[12:13]
                                        ; implicit-def: $sgpr52_sgpr53
	s_branch .LBB632_1058
.LBB632_1061:
	s_or_b64 exec, exec, s[44:45]
	s_xor_b64 s[12:13], s[46:47], -1
	s_orn2_b64 s[12:13], s[12:13], exec
.LBB632_1062:
	s_or_b64 exec, exec, s[42:43]
	s_and_b64 s[16:17], s[12:13], exec
.LBB632_1063:
	s_or_b64 exec, exec, s[28:29]
	s_orn2_b64 s[28:29], s[16:17], exec
.LBB632_1064:
	s_or_b64 exec, exec, s[36:37]
	v_cndmask_b32_e64 v16, v22, v23, s[28:29]
	v_cndmask_b32_e64 v17, v101, v100, s[28:29]
	v_add_u32_e32 v20, 1, v16
	v_add_u32_e32 v16, -1, v17
	v_min_u32_e32 v16, v20, v16
	v_mov_b32_e32 v17, 0
	v_lshl_add_u64 v[18:19], v[16:17], 3, v[66:67]
	flat_load_dwordx2 v[18:19], v[18:19]
	v_cndmask_b32_e64 v70, v20, v22, s[28:29]
	s_mov_b64 s[36:37], -1
	v_cndmask_b32_e64 v71, v23, v20, s[28:29]
	v_cmp_lt_u32_e64 s[12:13], v70, v101
	s_mov_b64 s[42:43], -1
	s_waitcnt vmcnt(0) lgkmcnt(0)
	v_cndmask_b32_e64 v102, v19, v96, s[28:29]
	v_cndmask_b32_e64 v103, v18, v97, s[28:29]
	;; [unrolled: 1-line block ×4, first 2 shown]
	s_and_saveexec_b64 s[44:45], s[12:13]
	s_cbranch_execz .LBB632_1074
; %bb.1065:
	v_cmp_lt_u32_e64 s[12:13], v71, v100
	s_mov_b64 s[16:17], 0
	s_and_saveexec_b64 s[42:43], s[12:13]
	s_cbranch_execz .LBB632_1073
; %bb.1066:
	s_mov_b64 s[12:13], -1
	s_and_saveexec_b64 s[46:47], s[8:9]
	s_cbranch_execz .LBB632_1072
; %bb.1067:
	v_mul_lo_u32 v16, v112, v6
	v_mul_lo_u32 v20, v113, v7
	v_mad_u64_u32 v[18:19], s[12:13], v113, v6, 0
	v_add3_u32 v19, v19, v20, v16
	v_mul_lo_u32 v16, v102, v6
	v_mul_lo_u32 v22, v103, v7
	v_mad_u64_u32 v[20:21], s[12:13], v103, v6, 0
	v_add3_u32 v21, v21, v22, v16
	v_lshl_add_u64 v[18:19], v[18:19], 1, v[8:9]
	v_lshl_add_u64 v[20:21], v[20:21], 1, v[8:9]
	s_mov_b64 s[48:49], 0
	v_mov_b64_e32 v[22:23], v[6:7]
                                        ; implicit-def: $sgpr50_sgpr51
                                        ; implicit-def: $sgpr52_sgpr53
                                        ; implicit-def: $sgpr16_sgpr17
                                        ; implicit-def: $sgpr54_sgpr55
                                        ; implicit-def: $sgpr56_sgpr57
	s_branch .LBB632_1069
.LBB632_1068:                           ;   in Loop: Header=BB632_1069 Depth=1
	s_or_b64 exec, exec, s[58:59]
	s_and_b64 s[12:13], exec, s[52:53]
	s_or_b64 s[48:49], s[12:13], s[48:49]
	s_andn2_b64 s[12:13], s[56:57], exec
	s_and_b64 s[18:19], s[54:55], exec
	s_or_b64 s[56:57], s[12:13], s[18:19]
	s_andn2_b64 s[12:13], s[50:51], exec
	s_and_b64 s[18:19], s[16:17], exec
	s_or_b64 s[50:51], s[12:13], s[18:19]
	s_andn2_b64 exec, exec, s[48:49]
	s_cbranch_execz .LBB632_1071
.LBB632_1069:                           ; =>This Inner Loop Header: Depth=1
	flat_load_ushort v16, v[20:21]
	flat_load_ushort v114, v[18:19]
	s_andn2_b64 s[58:59], s[16:17], exec
	s_andn2_b64 s[54:55], s[54:55], exec
	s_or_b64 s[52:53], s[52:53], exec
	s_waitcnt vmcnt(0) lgkmcnt(0)
	v_cmp_le_i16_e64 s[16:17], v16, v114
	v_cmp_lt_i16_e64 s[12:13], v16, v114
	s_and_b64 s[16:17], s[16:17], s[56:57]
	s_or_b64 s[60:61], s[12:13], s[16:17]
	s_and_b64 s[12:13], s[60:61], exec
	v_cmp_eq_u16_e64 s[18:19], v16, v114
	s_or_b64 s[16:17], s[58:59], s[12:13]
	s_and_saveexec_b64 s[58:59], s[18:19]
	s_cbranch_execz .LBB632_1068
; %bb.1070:                             ;   in Loop: Header=BB632_1069 Depth=1
	v_lshl_add_u64 v[22:23], v[22:23], 0, -1
	v_cmp_eq_u64_e64 s[12:13], 0, v[22:23]
	s_andn2_b64 s[18:19], s[54:55], exec
	s_and_b64 s[54:55], s[60:61], exec
	s_or_b64 s[54:55], s[18:19], s[54:55]
	s_andn2_b64 s[18:19], s[52:53], exec
	s_and_b64 s[12:13], s[12:13], exec
	v_lshl_add_u64 v[18:19], v[18:19], 0, 2
	v_lshl_add_u64 v[20:21], v[20:21], 0, 2
	s_andn2_b64 s[16:17], s[16:17], exec
	s_or_b64 s[52:53], s[18:19], s[12:13]
                                        ; implicit-def: $sgpr56_sgpr57
	s_branch .LBB632_1068
.LBB632_1071:
	s_or_b64 exec, exec, s[48:49]
	s_xor_b64 s[12:13], s[50:51], -1
	s_orn2_b64 s[12:13], s[12:13], exec
.LBB632_1072:
	s_or_b64 exec, exec, s[46:47]
	s_and_b64 s[16:17], s[12:13], exec
.LBB632_1073:
	s_or_b64 exec, exec, s[42:43]
	s_orn2_b64 s[42:43], s[16:17], exec
.LBB632_1074:
	s_or_b64 exec, exec, s[44:45]
	v_cndmask_b32_e64 v16, v70, v71, s[42:43]
	v_cndmask_b32_e64 v18, v101, v100, s[42:43]
	v_add_u32_e32 v19, 1, v16
	v_add_u32_e32 v16, -1, v18
	v_min_u32_e32 v16, v19, v16
	v_lshl_add_u64 v[16:17], v[16:17], 3, v[66:67]
	flat_load_dwordx2 v[16:17], v[16:17]
	v_cndmask_b32_e64 v117, v19, v70, s[42:43]
	v_cndmask_b32_e64 v114, v71, v19, s[42:43]
	v_cmp_lt_u32_e64 s[12:13], v117, v101
	s_waitcnt vmcnt(0) lgkmcnt(0)
	v_cndmask_b32_e64 v115, v17, v102, s[42:43]
	v_cndmask_b32_e64 v116, v16, v103, s[42:43]
	;; [unrolled: 1-line block ×4, first 2 shown]
	s_and_saveexec_b64 s[44:45], s[12:13]
	s_cbranch_execz .LBB632_1084
; %bb.1075:
	v_cmp_lt_u32_e64 s[12:13], v114, v100
	s_mov_b64 s[16:17], 0
	s_and_saveexec_b64 s[36:37], s[12:13]
	s_cbranch_execz .LBB632_1083
; %bb.1076:
	s_mov_b64 s[12:13], -1
	s_and_saveexec_b64 s[46:47], s[8:9]
	s_cbranch_execz .LBB632_1082
; %bb.1077:
	v_mul_lo_u32 v18, v118, v6
	v_mul_lo_u32 v19, v119, v7
	v_mad_u64_u32 v[16:17], s[12:13], v119, v6, 0
	v_add3_u32 v17, v17, v19, v18
	v_mul_lo_u32 v20, v115, v6
	v_mul_lo_u32 v21, v116, v7
	v_mad_u64_u32 v[18:19], s[12:13], v116, v6, 0
	v_add3_u32 v19, v19, v21, v20
	v_lshl_add_u64 v[16:17], v[16:17], 1, v[8:9]
	v_lshl_add_u64 v[18:19], v[18:19], 1, v[8:9]
	s_mov_b64 s[48:49], 0
	v_mov_b64_e32 v[20:21], v[6:7]
                                        ; implicit-def: $sgpr50_sgpr51
                                        ; implicit-def: $sgpr52_sgpr53
                                        ; implicit-def: $sgpr16_sgpr17
                                        ; implicit-def: $sgpr54_sgpr55
                                        ; implicit-def: $sgpr56_sgpr57
	s_branch .LBB632_1079
.LBB632_1078:                           ;   in Loop: Header=BB632_1079 Depth=1
	s_or_b64 exec, exec, s[58:59]
	s_and_b64 s[12:13], exec, s[52:53]
	s_or_b64 s[48:49], s[12:13], s[48:49]
	s_andn2_b64 s[12:13], s[56:57], exec
	s_and_b64 s[18:19], s[54:55], exec
	s_or_b64 s[56:57], s[12:13], s[18:19]
	s_andn2_b64 s[12:13], s[50:51], exec
	s_and_b64 s[18:19], s[16:17], exec
	s_or_b64 s[50:51], s[12:13], s[18:19]
	s_andn2_b64 exec, exec, s[48:49]
	s_cbranch_execz .LBB632_1081
.LBB632_1079:                           ; =>This Inner Loop Header: Depth=1
	flat_load_ushort v22, v[18:19]
	flat_load_ushort v23, v[16:17]
	s_andn2_b64 s[58:59], s[16:17], exec
	s_andn2_b64 s[54:55], s[54:55], exec
	s_or_b64 s[52:53], s[52:53], exec
	s_waitcnt vmcnt(0) lgkmcnt(0)
	v_cmp_le_i16_e64 s[16:17], v22, v23
	v_cmp_lt_i16_e64 s[12:13], v22, v23
	s_and_b64 s[16:17], s[16:17], s[56:57]
	s_or_b64 s[60:61], s[12:13], s[16:17]
	s_and_b64 s[12:13], s[60:61], exec
	v_cmp_eq_u16_e64 s[18:19], v22, v23
	s_or_b64 s[16:17], s[58:59], s[12:13]
	s_and_saveexec_b64 s[58:59], s[18:19]
	s_cbranch_execz .LBB632_1078
; %bb.1080:                             ;   in Loop: Header=BB632_1079 Depth=1
	v_lshl_add_u64 v[20:21], v[20:21], 0, -1
	v_cmp_eq_u64_e64 s[12:13], 0, v[20:21]
	s_andn2_b64 s[18:19], s[54:55], exec
	s_and_b64 s[54:55], s[60:61], exec
	s_or_b64 s[54:55], s[18:19], s[54:55]
	s_andn2_b64 s[18:19], s[52:53], exec
	s_and_b64 s[12:13], s[12:13], exec
	v_lshl_add_u64 v[16:17], v[16:17], 0, 2
	v_lshl_add_u64 v[18:19], v[18:19], 0, 2
	s_andn2_b64 s[16:17], s[16:17], exec
	s_or_b64 s[52:53], s[18:19], s[12:13]
                                        ; implicit-def: $sgpr56_sgpr57
	s_branch .LBB632_1078
.LBB632_1081:
	s_or_b64 exec, exec, s[48:49]
	s_xor_b64 s[12:13], s[50:51], -1
	s_orn2_b64 s[12:13], s[12:13], exec
.LBB632_1082:
	s_or_b64 exec, exec, s[46:47]
	s_and_b64 s[16:17], s[12:13], exec
.LBB632_1083:
	s_or_b64 exec, exec, s[36:37]
	s_orn2_b64 s[36:37], s[16:17], exec
.LBB632_1084:
	s_or_b64 exec, exec, s[44:45]
	v_cndmask_b32_e64 v16, v117, v114, s[36:37]
	v_cndmask_b32_e64 v17, v101, v100, s[36:37]
	v_add_u32_e32 v128, 1, v16
	v_add_u32_e32 v16, -1, v17
	v_min_u32_e32 v16, v128, v16
	v_mov_b32_e32 v17, 0
	v_lshl_add_u64 v[16:17], v[16:17], 3, v[66:67]
	flat_load_dwordx2 v[70:71], v[16:17]
	v_cndmask_b32_e64 v21, v27, v82, s[24:25]
	v_cndmask_b32_e64 v27, v24, v26, s[26:27]
	;; [unrolled: 1-line block ×15, first 2 shown]
	v_cmp_lt_u32_e64 s[12:13], v80, v101
	s_waitcnt vmcnt(0) lgkmcnt(0)
	v_cndmask_b32_e64 v15, v118, v71, s[36:37]
	v_cndmask_b32_e64 v14, v119, v70, s[36:37]
	s_and_saveexec_b64 s[22:23], s[12:13]
	s_cbranch_execz .LBB632_1094
; %bb.1085:
	v_cndmask_b32_e64 v80, v114, v128, s[36:37]
	v_cndmask_b32_e64 v71, v71, v115, s[36:37]
	;; [unrolled: 1-line block ×3, first 2 shown]
	v_cmp_lt_u32_e64 s[12:13], v80, v100
	s_and_saveexec_b64 s[24:25], s[12:13]
	s_cbranch_execz .LBB632_1093
; %bb.1086:
	s_and_saveexec_b64 s[26:27], s[8:9]
	s_cbranch_execz .LBB632_1092
; %bb.1087:
	v_mul_lo_u32 v82, v15, v6
	v_mul_lo_u32 v83, v14, v7
	v_mad_u64_u32 v[80:81], s[12:13], v14, v6, 0
	v_add3_u32 v81, v81, v83, v82
	v_mul_lo_u32 v84, v71, v6
	v_mul_lo_u32 v85, v70, v7
	v_mad_u64_u32 v[82:83], s[12:13], v70, v6, 0
	v_add3_u32 v83, v83, v85, v84
	v_lshl_add_u64 v[80:81], v[80:81], 1, v[8:9]
	v_lshl_add_u64 v[82:83], v[82:83], 1, v[8:9]
	s_mov_b64 s[28:29], 0
	v_mov_b64_e32 v[84:85], v[6:7]
                                        ; implicit-def: $sgpr34_sgpr35
                                        ; implicit-def: $sgpr36_sgpr37
                                        ; implicit-def: $sgpr16_sgpr17
                                        ; implicit-def: $sgpr42_sgpr43
                                        ; implicit-def: $sgpr44_sgpr45
	s_branch .LBB632_1089
.LBB632_1088:                           ;   in Loop: Header=BB632_1089 Depth=1
	s_or_b64 exec, exec, s[46:47]
	s_and_b64 s[12:13], exec, s[36:37]
	s_or_b64 s[28:29], s[12:13], s[28:29]
	s_andn2_b64 s[12:13], s[44:45], exec
	s_and_b64 s[18:19], s[42:43], exec
	s_or_b64 s[44:45], s[12:13], s[18:19]
	s_andn2_b64 s[12:13], s[34:35], exec
	s_and_b64 s[18:19], s[16:17], exec
	s_or_b64 s[34:35], s[12:13], s[18:19]
	s_andn2_b64 exec, exec, s[28:29]
	s_cbranch_execz .LBB632_1091
.LBB632_1089:                           ; =>This Inner Loop Header: Depth=1
	flat_load_ushort v86, v[82:83]
	flat_load_ushort v87, v[80:81]
	s_andn2_b64 s[46:47], s[16:17], exec
	s_andn2_b64 s[42:43], s[42:43], exec
	s_or_b64 s[36:37], s[36:37], exec
	s_waitcnt vmcnt(0) lgkmcnt(0)
	v_cmp_le_i16_e64 s[16:17], v86, v87
	v_cmp_lt_i16_e64 s[12:13], v86, v87
	s_and_b64 s[16:17], s[16:17], s[44:45]
	s_or_b64 s[48:49], s[12:13], s[16:17]
	s_and_b64 s[12:13], s[48:49], exec
	v_cmp_eq_u16_e64 s[18:19], v86, v87
	s_or_b64 s[16:17], s[46:47], s[12:13]
	s_and_saveexec_b64 s[46:47], s[18:19]
	s_cbranch_execz .LBB632_1088
; %bb.1090:                             ;   in Loop: Header=BB632_1089 Depth=1
	v_lshl_add_u64 v[84:85], v[84:85], 0, -1
	v_cmp_eq_u64_e64 s[12:13], 0, v[84:85]
	s_andn2_b64 s[18:19], s[42:43], exec
	s_and_b64 s[42:43], s[48:49], exec
	s_or_b64 s[42:43], s[18:19], s[42:43]
	s_andn2_b64 s[18:19], s[36:37], exec
	s_and_b64 s[12:13], s[12:13], exec
	v_lshl_add_u64 v[80:81], v[80:81], 0, 2
	v_lshl_add_u64 v[82:83], v[82:83], 0, 2
	s_andn2_b64 s[16:17], s[16:17], exec
	s_or_b64 s[36:37], s[18:19], s[12:13]
                                        ; implicit-def: $sgpr44_sgpr45
	s_branch .LBB632_1088
.LBB632_1091:
	s_or_b64 exec, exec, s[28:29]
	v_cndmask_b32_e64 v15, v15, v71, s[34:35]
	v_cndmask_b32_e64 v14, v14, v70, s[34:35]
.LBB632_1092:
	s_or_b64 exec, exec, s[26:27]
	v_mov_b64_e32 v[70:71], v[14:15]
.LBB632_1093:
	s_or_b64 exec, exec, s[24:25]
	v_mov_b64_e32 v[14:15], v[70:71]
.LBB632_1094:
	s_or_b64 exec, exec, s[22:23]
.LBB632_1095:
	s_or_b64 exec, exec, s[20:21]
	v_and_b32_e32 v102, 0x3e0, v31
	v_or_b32_e32 v70, 16, v102
	v_min_u32_e32 v100, v1, v70
	v_add_u32_e32 v70, 16, v100
	v_min_u32_e32 v101, v1, v70
	v_and_b32_e32 v70, 24, v31
	v_min_u32_e32 v103, v1, v70
	v_sub_u32_e32 v70, v100, v102
	v_sub_u32_e32 v71, v101, v100
	v_sub_u32_e64 v112, v103, v71 clamp
	v_min_u32_e32 v113, v103, v70
	v_cmp_lt_u32_e64 s[12:13], v112, v113
	; wave barrier
	flat_store_dwordx4 v[68:69], v[24:27]
	flat_store_dwordx4 v[68:69], v[20:23] offset:16
	flat_store_dwordx4 v[68:69], v[16:19] offset:32
	;; [unrolled: 1-line block ×3, first 2 shown]
	; wave barrier
	s_and_saveexec_b64 s[20:21], s[12:13]
	s_cbranch_execz .LBB632_1105
; %bb.1096:
	v_lshlrev_b32_e32 v70, 3, v102
	v_mov_b32_e32 v71, 0
	v_lshl_add_u64 v[80:81], v[66:67], 0, v[70:71]
	v_lshlrev_b32_e32 v70, 3, v100
	v_lshl_add_u64 v[82:83], v[66:67], 0, v[70:71]
	s_mov_b64 s[22:23], 0
	s_branch .LBB632_1099
.LBB632_1097:                           ;   in Loop: Header=BB632_1099 Depth=1
	s_or_b64 exec, exec, s[26:27]
	s_and_b64 s[12:13], s[28:29], exec
.LBB632_1098:                           ;   in Loop: Header=BB632_1099 Depth=1
	s_or_b64 exec, exec, s[24:25]
	v_add_u32_e32 v70, 1, v84
	v_cndmask_b32_e64 v113, v113, v84, s[12:13]
	v_cndmask_b32_e64 v112, v70, v112, s[12:13]
	v_cmp_ge_u32_e64 s[12:13], v112, v113
	s_or_b64 s[22:23], s[12:13], s[22:23]
	s_andn2_b64 exec, exec, s[22:23]
	s_cbranch_execz .LBB632_1104
.LBB632_1099:                           ; =>This Loop Header: Depth=1
                                        ;     Child Loop BB632_1102 Depth 2
	v_add_u32_e32 v70, v113, v112
	v_lshrrev_b32_e32 v84, 1, v70
	s_mov_b64 s[12:13], 0
	s_and_saveexec_b64 s[24:25], s[8:9]
	s_cbranch_execz .LBB632_1098
; %bb.1100:                             ;   in Loop: Header=BB632_1099 Depth=1
	v_mov_b32_e32 v85, v71
	v_xad_u32 v70, v84, -1, v103
	v_lshl_add_u64 v[86:87], v[84:85], 3, v[80:81]
	v_lshl_add_u64 v[96:97], v[70:71], 3, v[82:83]
	flat_load_dwordx2 v[86:87], v[86:87]
	s_mov_b64 s[26:27], 0
	flat_load_dwordx2 v[96:97], v[96:97]
                                        ; implicit-def: $sgpr28_sgpr29
                                        ; implicit-def: $sgpr34_sgpr35
                                        ; implicit-def: $sgpr36_sgpr37
                                        ; implicit-def: $sgpr16_sgpr17
                                        ; implicit-def: $sgpr42_sgpr43
	s_waitcnt vmcnt(0) lgkmcnt(0)
	v_mul_lo_u32 v70, v64, v87
	v_mul_lo_u32 v85, v65, v86
	v_mad_u64_u32 v[86:87], s[12:13], v64, v86, v[8:9]
	v_mul_lo_u32 v98, v64, v97
	v_mul_lo_u32 v99, v65, v96
	v_mad_u64_u32 v[96:97], s[12:13], v64, v96, v[8:9]
	v_add3_u32 v87, v85, v87, v70
	v_add3_u32 v97, v99, v97, v98
	v_mov_b64_e32 v[98:99], v[6:7]
	s_branch .LBB632_1102
.LBB632_1101:                           ;   in Loop: Header=BB632_1102 Depth=2
	s_or_b64 exec, exec, s[44:45]
	s_and_b64 s[12:13], exec, s[34:35]
	s_or_b64 s[26:27], s[12:13], s[26:27]
	s_andn2_b64 s[12:13], s[42:43], exec
	s_and_b64 s[18:19], s[36:37], exec
	s_or_b64 s[42:43], s[12:13], s[18:19]
	s_andn2_b64 s[12:13], s[28:29], exec
	s_and_b64 s[18:19], s[16:17], exec
	s_or_b64 s[28:29], s[12:13], s[18:19]
	s_andn2_b64 exec, exec, s[26:27]
	s_cbranch_execz .LBB632_1097
.LBB632_1102:                           ;   Parent Loop BB632_1099 Depth=1
                                        ; =>  This Inner Loop Header: Depth=2
	flat_load_ushort v70, v[96:97]
	flat_load_ushort v85, v[86:87]
	s_andn2_b64 s[44:45], s[16:17], exec
	s_andn2_b64 s[36:37], s[36:37], exec
	s_or_b64 s[34:35], s[34:35], exec
	s_waitcnt vmcnt(0) lgkmcnt(0)
	v_cmp_le_i16_e64 s[16:17], v70, v85
	v_cmp_lt_i16_e64 s[12:13], v70, v85
	s_and_b64 s[16:17], s[16:17], s[42:43]
	s_or_b64 s[46:47], s[12:13], s[16:17]
	s_and_b64 s[12:13], s[46:47], exec
	v_cmp_eq_u16_e64 s[18:19], v70, v85
	s_or_b64 s[16:17], s[44:45], s[12:13]
	s_and_saveexec_b64 s[44:45], s[18:19]
	s_cbranch_execz .LBB632_1101
; %bb.1103:                             ;   in Loop: Header=BB632_1102 Depth=2
	v_lshl_add_u64 v[98:99], v[98:99], 0, -1
	v_cmp_eq_u64_e64 s[12:13], 0, v[98:99]
	s_andn2_b64 s[18:19], s[36:37], exec
	s_and_b64 s[36:37], s[46:47], exec
	s_or_b64 s[36:37], s[18:19], s[36:37]
	s_andn2_b64 s[18:19], s[34:35], exec
	s_and_b64 s[12:13], s[12:13], exec
	v_lshl_add_u64 v[86:87], v[86:87], 0, 2
	v_lshl_add_u64 v[96:97], v[96:97], 0, 2
	s_andn2_b64 s[16:17], s[16:17], exec
	s_or_b64 s[34:35], s[18:19], s[12:13]
                                        ; implicit-def: $sgpr42_sgpr43
	s_branch .LBB632_1101
.LBB632_1104:
	s_or_b64 exec, exec, s[22:23]
.LBB632_1105:
	s_or_b64 exec, exec, s[20:21]
	v_add_u32_e32 v71, v100, v103
	v_add_u32_e32 v70, v112, v102
	v_sub_u32_e32 v80, v71, v112
	v_cmp_le_u32_e64 s[12:13], v70, v100
	v_cmp_le_u32_e64 s[16:17], v80, v101
	s_or_b64 s[12:13], s[12:13], s[16:17]
	s_and_saveexec_b64 s[20:21], s[12:13]
	s_cbranch_execz .LBB632_1189
; %bb.1106:
	v_cmp_ge_u32_e64 s[16:17], v70, v100
	v_cmp_lt_u32_e64 s[12:13], v70, v100
                                        ; implicit-def: $vgpr12_vgpr13
	s_and_saveexec_b64 s[18:19], s[12:13]
	s_cbranch_execz .LBB632_1108
; %bb.1107:
	v_mov_b32_e32 v71, 0
	v_lshl_add_u64 v[12:13], v[70:71], 3, v[66:67]
	flat_load_dwordx2 v[12:13], v[12:13]
.LBB632_1108:
	s_or_b64 exec, exec, s[18:19]
	v_cmp_ge_u32_e64 s[22:23], v80, v101
	v_cmp_lt_u32_e64 s[12:13], v80, v101
                                        ; implicit-def: $vgpr14_vgpr15
	s_and_saveexec_b64 s[18:19], s[12:13]
	s_cbranch_execz .LBB632_1110
; %bb.1109:
	v_mov_b32_e32 v81, 0
	v_lshl_add_u64 v[14:15], v[80:81], 3, v[66:67]
	flat_load_dwordx2 v[14:15], v[14:15]
.LBB632_1110:
	s_or_b64 exec, exec, s[18:19]
	s_or_b64 s[12:13], s[16:17], s[22:23]
	s_xor_b64 s[12:13], s[12:13], -1
	s_and_saveexec_b64 s[24:25], s[12:13]
	s_cbranch_execz .LBB632_1118
; %bb.1111:
	s_mov_b64 s[12:13], 0
	s_and_saveexec_b64 s[26:27], s[8:9]
	s_cbranch_execz .LBB632_1117
; %bb.1112:
	s_waitcnt vmcnt(0) lgkmcnt(0)
	v_mul_lo_u32 v18, v13, v6
	v_mul_lo_u32 v19, v12, v7
	v_mad_u64_u32 v[16:17], s[12:13], v12, v6, 0
	v_add3_u32 v17, v17, v19, v18
	v_mul_lo_u32 v20, v15, v6
	v_mul_lo_u32 v21, v14, v7
	v_mad_u64_u32 v[18:19], s[12:13], v14, v6, 0
	v_add3_u32 v19, v19, v21, v20
	v_lshl_add_u64 v[16:17], v[16:17], 1, v[8:9]
	v_lshl_add_u64 v[18:19], v[18:19], 1, v[8:9]
	s_mov_b64 s[28:29], 0
	v_mov_b64_e32 v[20:21], v[6:7]
                                        ; implicit-def: $sgpr34_sgpr35
                                        ; implicit-def: $sgpr36_sgpr37
                                        ; implicit-def: $sgpr42_sgpr43
                                        ; implicit-def: $sgpr16_sgpr17
                                        ; implicit-def: $sgpr44_sgpr45
	s_branch .LBB632_1114
.LBB632_1113:                           ;   in Loop: Header=BB632_1114 Depth=1
	s_or_b64 exec, exec, s[46:47]
	s_and_b64 s[12:13], exec, s[36:37]
	s_or_b64 s[28:29], s[12:13], s[28:29]
	s_andn2_b64 s[12:13], s[44:45], exec
	s_and_b64 s[18:19], s[42:43], exec
	s_or_b64 s[44:45], s[12:13], s[18:19]
	s_andn2_b64 s[12:13], s[34:35], exec
	s_and_b64 s[18:19], s[16:17], exec
	s_or_b64 s[34:35], s[12:13], s[18:19]
	s_andn2_b64 exec, exec, s[28:29]
	s_cbranch_execz .LBB632_1116
.LBB632_1114:                           ; =>This Inner Loop Header: Depth=1
	flat_load_ushort v22, v[18:19]
	flat_load_ushort v23, v[16:17]
	s_andn2_b64 s[46:47], s[16:17], exec
	s_andn2_b64 s[42:43], s[42:43], exec
	s_or_b64 s[36:37], s[36:37], exec
	s_waitcnt vmcnt(0) lgkmcnt(0)
	v_cmp_le_i16_e64 s[16:17], v22, v23
	v_cmp_lt_i16_e64 s[12:13], v22, v23
	s_and_b64 s[16:17], s[16:17], s[44:45]
	s_or_b64 s[48:49], s[12:13], s[16:17]
	s_and_b64 s[12:13], s[48:49], exec
	v_cmp_eq_u16_e64 s[18:19], v22, v23
	s_or_b64 s[16:17], s[46:47], s[12:13]
	s_and_saveexec_b64 s[46:47], s[18:19]
	s_cbranch_execz .LBB632_1113
; %bb.1115:                             ;   in Loop: Header=BB632_1114 Depth=1
	v_lshl_add_u64 v[20:21], v[20:21], 0, -1
	v_cmp_eq_u64_e64 s[12:13], 0, v[20:21]
	s_andn2_b64 s[18:19], s[42:43], exec
	s_and_b64 s[42:43], s[48:49], exec
	s_or_b64 s[42:43], s[18:19], s[42:43]
	s_andn2_b64 s[18:19], s[36:37], exec
	s_and_b64 s[12:13], s[12:13], exec
	v_lshl_add_u64 v[16:17], v[16:17], 0, 2
	v_lshl_add_u64 v[18:19], v[18:19], 0, 2
	s_andn2_b64 s[16:17], s[16:17], exec
	s_or_b64 s[36:37], s[18:19], s[12:13]
                                        ; implicit-def: $sgpr44_sgpr45
	s_branch .LBB632_1113
.LBB632_1116:
	s_or_b64 exec, exec, s[28:29]
	s_and_b64 s[12:13], s[34:35], exec
.LBB632_1117:
	s_or_b64 exec, exec, s[26:27]
	s_xor_b64 s[12:13], s[12:13], -1
	s_andn2_b64 s[16:17], s[22:23], exec
	s_and_b64 s[12:13], s[12:13], exec
	s_or_b64 s[22:23], s[16:17], s[12:13]
.LBB632_1118:
	s_or_b64 exec, exec, s[24:25]
	v_cndmask_b32_e64 v16, v80, v70, s[22:23]
	v_cndmask_b32_e64 v17, v101, v100, s[22:23]
	v_add_u32_e32 v20, 1, v16
	v_add_u32_e32 v16, -1, v17
	v_min_u32_e32 v16, v20, v16
	v_mov_b32_e32 v17, 0
	v_lshl_add_u64 v[18:19], v[16:17], 3, v[66:67]
	flat_load_dwordx2 v[18:19], v[18:19]
	v_cndmask_b32_e64 v27, v20, v80, s[22:23]
	s_mov_b64 s[24:25], -1
	v_cndmask_b32_e64 v70, v70, v20, s[22:23]
	v_cmp_lt_u32_e64 s[12:13], v27, v101
	s_mov_b64 s[26:27], -1
	s_waitcnt vmcnt(0) lgkmcnt(0)
	v_cndmask_b32_e64 v24, v19, v15, s[22:23]
	v_cndmask_b32_e64 v25, v18, v14, s[22:23]
	;; [unrolled: 1-line block ×4, first 2 shown]
	s_and_saveexec_b64 s[28:29], s[12:13]
	s_cbranch_execz .LBB632_1128
; %bb.1119:
	v_cmp_lt_u32_e64 s[12:13], v70, v100
	s_mov_b64 s[16:17], 0
	s_and_saveexec_b64 s[26:27], s[12:13]
	s_cbranch_execz .LBB632_1127
; %bb.1120:
	s_mov_b64 s[12:13], 0
	s_and_saveexec_b64 s[34:35], s[8:9]
	s_cbranch_execz .LBB632_1126
; %bb.1121:
	v_mul_lo_u32 v16, v26, v6
	v_mul_lo_u32 v20, v80, v7
	v_mad_u64_u32 v[18:19], s[12:13], v80, v6, 0
	v_add3_u32 v19, v19, v20, v16
	v_mul_lo_u32 v16, v24, v6
	v_mul_lo_u32 v22, v25, v7
	v_mad_u64_u32 v[20:21], s[12:13], v25, v6, 0
	v_add3_u32 v21, v21, v22, v16
	v_lshl_add_u64 v[18:19], v[18:19], 1, v[8:9]
	v_lshl_add_u64 v[20:21], v[20:21], 1, v[8:9]
	s_mov_b64 s[36:37], 0
	v_mov_b64_e32 v[22:23], v[6:7]
                                        ; implicit-def: $sgpr42_sgpr43
                                        ; implicit-def: $sgpr44_sgpr45
                                        ; implicit-def: $sgpr46_sgpr47
                                        ; implicit-def: $sgpr16_sgpr17
                                        ; implicit-def: $sgpr48_sgpr49
	s_branch .LBB632_1123
.LBB632_1122:                           ;   in Loop: Header=BB632_1123 Depth=1
	s_or_b64 exec, exec, s[50:51]
	s_and_b64 s[12:13], exec, s[44:45]
	s_or_b64 s[36:37], s[12:13], s[36:37]
	s_andn2_b64 s[12:13], s[48:49], exec
	s_and_b64 s[18:19], s[46:47], exec
	s_or_b64 s[48:49], s[12:13], s[18:19]
	s_andn2_b64 s[12:13], s[42:43], exec
	s_and_b64 s[18:19], s[16:17], exec
	s_or_b64 s[42:43], s[12:13], s[18:19]
	s_andn2_b64 exec, exec, s[36:37]
	s_cbranch_execz .LBB632_1125
.LBB632_1123:                           ; =>This Inner Loop Header: Depth=1
	flat_load_ushort v16, v[20:21]
	flat_load_ushort v71, v[18:19]
	s_andn2_b64 s[50:51], s[16:17], exec
	s_andn2_b64 s[46:47], s[46:47], exec
	s_or_b64 s[44:45], s[44:45], exec
	s_waitcnt vmcnt(0) lgkmcnt(0)
	v_cmp_le_i16_e64 s[16:17], v16, v71
	v_cmp_lt_i16_e64 s[12:13], v16, v71
	s_and_b64 s[16:17], s[16:17], s[48:49]
	s_or_b64 s[52:53], s[12:13], s[16:17]
	s_and_b64 s[12:13], s[52:53], exec
	v_cmp_eq_u16_e64 s[18:19], v16, v71
	s_or_b64 s[16:17], s[50:51], s[12:13]
	s_and_saveexec_b64 s[50:51], s[18:19]
	s_cbranch_execz .LBB632_1122
; %bb.1124:                             ;   in Loop: Header=BB632_1123 Depth=1
	v_lshl_add_u64 v[22:23], v[22:23], 0, -1
	v_cmp_eq_u64_e64 s[12:13], 0, v[22:23]
	s_andn2_b64 s[18:19], s[46:47], exec
	s_and_b64 s[46:47], s[52:53], exec
	s_or_b64 s[46:47], s[18:19], s[46:47]
	s_andn2_b64 s[18:19], s[44:45], exec
	s_and_b64 s[12:13], s[12:13], exec
	v_lshl_add_u64 v[18:19], v[18:19], 0, 2
	v_lshl_add_u64 v[20:21], v[20:21], 0, 2
	s_andn2_b64 s[16:17], s[16:17], exec
	s_or_b64 s[44:45], s[18:19], s[12:13]
                                        ; implicit-def: $sgpr48_sgpr49
	s_branch .LBB632_1122
.LBB632_1125:
	s_or_b64 exec, exec, s[36:37]
	s_and_b64 s[12:13], s[42:43], exec
.LBB632_1126:
	s_or_b64 exec, exec, s[34:35]
	s_xor_b64 s[12:13], s[12:13], -1
	s_and_b64 s[16:17], s[12:13], exec
.LBB632_1127:
	s_or_b64 exec, exec, s[26:27]
	s_orn2_b64 s[26:27], s[16:17], exec
.LBB632_1128:
	s_or_b64 exec, exec, s[28:29]
	v_cndmask_b32_e64 v16, v27, v70, s[26:27]
	v_cndmask_b32_e64 v18, v101, v100, s[26:27]
	v_add_u32_e32 v19, 1, v16
	v_add_u32_e32 v16, -1, v18
	v_min_u32_e32 v16, v19, v16
	v_lshl_add_u64 v[16:17], v[16:17], 3, v[66:67]
	flat_load_dwordx2 v[16:17], v[16:17]
	v_cndmask_b32_e64 v22, v19, v27, s[26:27]
	v_cndmask_b32_e64 v23, v70, v19, s[26:27]
	v_cmp_lt_u32_e64 s[12:13], v22, v101
	s_waitcnt vmcnt(0) lgkmcnt(0)
	v_cndmask_b32_e64 v27, v17, v24, s[26:27]
	v_cndmask_b32_e64 v81, v16, v25, s[26:27]
	;; [unrolled: 1-line block ×4, first 2 shown]
	s_and_saveexec_b64 s[28:29], s[12:13]
	s_cbranch_execz .LBB632_1138
; %bb.1129:
	v_cmp_lt_u32_e64 s[12:13], v23, v100
	s_mov_b64 s[16:17], 0
	s_and_saveexec_b64 s[24:25], s[12:13]
	s_cbranch_execz .LBB632_1137
; %bb.1130:
	s_mov_b64 s[12:13], 0
	s_and_saveexec_b64 s[34:35], s[8:9]
	s_cbranch_execz .LBB632_1136
; %bb.1131:
	v_mul_lo_u32 v18, v82, v6
	v_mul_lo_u32 v19, v83, v7
	v_mad_u64_u32 v[16:17], s[12:13], v83, v6, 0
	v_add3_u32 v17, v17, v19, v18
	v_mul_lo_u32 v20, v27, v6
	v_mul_lo_u32 v21, v81, v7
	v_mad_u64_u32 v[18:19], s[12:13], v81, v6, 0
	v_add3_u32 v19, v19, v21, v20
	v_lshl_add_u64 v[16:17], v[16:17], 1, v[8:9]
	v_lshl_add_u64 v[18:19], v[18:19], 1, v[8:9]
	s_mov_b64 s[36:37], 0
	v_mov_b64_e32 v[20:21], v[6:7]
                                        ; implicit-def: $sgpr42_sgpr43
                                        ; implicit-def: $sgpr44_sgpr45
                                        ; implicit-def: $sgpr46_sgpr47
                                        ; implicit-def: $sgpr16_sgpr17
                                        ; implicit-def: $sgpr48_sgpr49
	s_branch .LBB632_1133
.LBB632_1132:                           ;   in Loop: Header=BB632_1133 Depth=1
	s_or_b64 exec, exec, s[50:51]
	s_and_b64 s[12:13], exec, s[44:45]
	s_or_b64 s[36:37], s[12:13], s[36:37]
	s_andn2_b64 s[12:13], s[48:49], exec
	s_and_b64 s[18:19], s[46:47], exec
	s_or_b64 s[48:49], s[12:13], s[18:19]
	s_andn2_b64 s[12:13], s[42:43], exec
	s_and_b64 s[18:19], s[16:17], exec
	s_or_b64 s[42:43], s[12:13], s[18:19]
	s_andn2_b64 exec, exec, s[36:37]
	s_cbranch_execz .LBB632_1135
.LBB632_1133:                           ; =>This Inner Loop Header: Depth=1
	flat_load_ushort v70, v[18:19]
	flat_load_ushort v71, v[16:17]
	s_andn2_b64 s[50:51], s[16:17], exec
	s_andn2_b64 s[46:47], s[46:47], exec
	s_or_b64 s[44:45], s[44:45], exec
	s_waitcnt vmcnt(0) lgkmcnt(0)
	v_cmp_le_i16_e64 s[16:17], v70, v71
	v_cmp_lt_i16_e64 s[12:13], v70, v71
	s_and_b64 s[16:17], s[16:17], s[48:49]
	s_or_b64 s[52:53], s[12:13], s[16:17]
	s_and_b64 s[12:13], s[52:53], exec
	v_cmp_eq_u16_e64 s[18:19], v70, v71
	s_or_b64 s[16:17], s[50:51], s[12:13]
	s_and_saveexec_b64 s[50:51], s[18:19]
	s_cbranch_execz .LBB632_1132
; %bb.1134:                             ;   in Loop: Header=BB632_1133 Depth=1
	v_lshl_add_u64 v[20:21], v[20:21], 0, -1
	v_cmp_eq_u64_e64 s[12:13], 0, v[20:21]
	s_andn2_b64 s[18:19], s[46:47], exec
	s_and_b64 s[46:47], s[52:53], exec
	s_or_b64 s[46:47], s[18:19], s[46:47]
	s_andn2_b64 s[18:19], s[44:45], exec
	s_and_b64 s[12:13], s[12:13], exec
	v_lshl_add_u64 v[16:17], v[16:17], 0, 2
	v_lshl_add_u64 v[18:19], v[18:19], 0, 2
	s_andn2_b64 s[16:17], s[16:17], exec
	s_or_b64 s[44:45], s[18:19], s[12:13]
                                        ; implicit-def: $sgpr48_sgpr49
	s_branch .LBB632_1132
.LBB632_1135:
	s_or_b64 exec, exec, s[36:37]
	s_and_b64 s[12:13], s[42:43], exec
.LBB632_1136:
	s_or_b64 exec, exec, s[34:35]
	s_xor_b64 s[12:13], s[12:13], -1
	s_and_b64 s[16:17], s[12:13], exec
.LBB632_1137:
	s_or_b64 exec, exec, s[24:25]
	s_orn2_b64 s[24:25], s[16:17], exec
.LBB632_1138:
	s_or_b64 exec, exec, s[28:29]
	v_cndmask_b32_e64 v16, v22, v23, s[24:25]
	v_cndmask_b32_e64 v17, v101, v100, s[24:25]
	v_add_u32_e32 v20, 1, v16
	v_add_u32_e32 v16, -1, v17
	v_min_u32_e32 v16, v20, v16
	v_mov_b32_e32 v17, 0
	v_lshl_add_u64 v[18:19], v[16:17], 3, v[66:67]
	flat_load_dwordx2 v[18:19], v[18:19]
	v_cndmask_b32_e64 v70, v20, v22, s[24:25]
	s_mov_b64 s[28:29], -1
	v_cndmask_b32_e64 v71, v23, v20, s[24:25]
	v_cmp_lt_u32_e64 s[12:13], v70, v101
	s_mov_b64 s[34:35], -1
	s_waitcnt vmcnt(0) lgkmcnt(0)
	v_cndmask_b32_e64 v84, v19, v27, s[24:25]
	v_cndmask_b32_e64 v85, v18, v81, s[24:25]
	;; [unrolled: 1-line block ×4, first 2 shown]
	s_and_saveexec_b64 s[36:37], s[12:13]
	s_cbranch_execz .LBB632_1148
; %bb.1139:
	v_cmp_lt_u32_e64 s[12:13], v71, v100
	s_mov_b64 s[16:17], 0
	s_and_saveexec_b64 s[34:35], s[12:13]
	s_cbranch_execz .LBB632_1147
; %bb.1140:
	s_mov_b64 s[12:13], -1
	s_and_saveexec_b64 s[42:43], s[8:9]
	s_cbranch_execz .LBB632_1146
; %bb.1141:
	v_mul_lo_u32 v16, v86, v6
	v_mul_lo_u32 v20, v87, v7
	v_mad_u64_u32 v[18:19], s[12:13], v87, v6, 0
	v_add3_u32 v19, v19, v20, v16
	v_mul_lo_u32 v16, v84, v6
	v_mul_lo_u32 v22, v85, v7
	v_mad_u64_u32 v[20:21], s[12:13], v85, v6, 0
	v_add3_u32 v21, v21, v22, v16
	v_lshl_add_u64 v[18:19], v[18:19], 1, v[8:9]
	v_lshl_add_u64 v[20:21], v[20:21], 1, v[8:9]
	s_mov_b64 s[44:45], 0
	v_mov_b64_e32 v[22:23], v[6:7]
                                        ; implicit-def: $sgpr46_sgpr47
                                        ; implicit-def: $sgpr48_sgpr49
                                        ; implicit-def: $sgpr16_sgpr17
                                        ; implicit-def: $sgpr50_sgpr51
                                        ; implicit-def: $sgpr52_sgpr53
	s_branch .LBB632_1143
.LBB632_1142:                           ;   in Loop: Header=BB632_1143 Depth=1
	s_or_b64 exec, exec, s[54:55]
	s_and_b64 s[12:13], exec, s[48:49]
	s_or_b64 s[44:45], s[12:13], s[44:45]
	s_andn2_b64 s[12:13], s[52:53], exec
	s_and_b64 s[18:19], s[50:51], exec
	s_or_b64 s[52:53], s[12:13], s[18:19]
	s_andn2_b64 s[12:13], s[46:47], exec
	s_and_b64 s[18:19], s[16:17], exec
	s_or_b64 s[46:47], s[12:13], s[18:19]
	s_andn2_b64 exec, exec, s[44:45]
	s_cbranch_execz .LBB632_1145
.LBB632_1143:                           ; =>This Inner Loop Header: Depth=1
	flat_load_ushort v16, v[20:21]
	flat_load_ushort v96, v[18:19]
	s_andn2_b64 s[54:55], s[16:17], exec
	s_andn2_b64 s[50:51], s[50:51], exec
	s_or_b64 s[48:49], s[48:49], exec
	s_waitcnt vmcnt(0) lgkmcnt(0)
	v_cmp_le_i16_e64 s[16:17], v16, v96
	v_cmp_lt_i16_e64 s[12:13], v16, v96
	s_and_b64 s[16:17], s[16:17], s[52:53]
	s_or_b64 s[56:57], s[12:13], s[16:17]
	s_and_b64 s[12:13], s[56:57], exec
	v_cmp_eq_u16_e64 s[18:19], v16, v96
	s_or_b64 s[16:17], s[54:55], s[12:13]
	s_and_saveexec_b64 s[54:55], s[18:19]
	s_cbranch_execz .LBB632_1142
; %bb.1144:                             ;   in Loop: Header=BB632_1143 Depth=1
	v_lshl_add_u64 v[22:23], v[22:23], 0, -1
	v_cmp_eq_u64_e64 s[12:13], 0, v[22:23]
	s_andn2_b64 s[18:19], s[50:51], exec
	s_and_b64 s[50:51], s[56:57], exec
	s_or_b64 s[50:51], s[18:19], s[50:51]
	s_andn2_b64 s[18:19], s[48:49], exec
	s_and_b64 s[12:13], s[12:13], exec
	v_lshl_add_u64 v[18:19], v[18:19], 0, 2
	v_lshl_add_u64 v[20:21], v[20:21], 0, 2
	s_andn2_b64 s[16:17], s[16:17], exec
	s_or_b64 s[48:49], s[18:19], s[12:13]
                                        ; implicit-def: $sgpr52_sgpr53
	s_branch .LBB632_1142
.LBB632_1145:
	s_or_b64 exec, exec, s[44:45]
	s_xor_b64 s[12:13], s[46:47], -1
	s_orn2_b64 s[12:13], s[12:13], exec
.LBB632_1146:
	s_or_b64 exec, exec, s[42:43]
	s_and_b64 s[16:17], s[12:13], exec
.LBB632_1147:
	s_or_b64 exec, exec, s[34:35]
	s_orn2_b64 s[34:35], s[16:17], exec
.LBB632_1148:
	s_or_b64 exec, exec, s[36:37]
	v_cndmask_b32_e64 v16, v70, v71, s[34:35]
	v_cndmask_b32_e64 v18, v101, v100, s[34:35]
	v_add_u32_e32 v19, 1, v16
	v_add_u32_e32 v16, -1, v18
	v_min_u32_e32 v16, v19, v16
	v_lshl_add_u64 v[16:17], v[16:17], 3, v[66:67]
	flat_load_dwordx2 v[16:17], v[16:17]
	v_cndmask_b32_e64 v22, v19, v70, s[34:35]
	v_cndmask_b32_e64 v23, v71, v19, s[34:35]
	v_cmp_lt_u32_e64 s[12:13], v22, v101
	s_waitcnt vmcnt(0) lgkmcnt(0)
	v_cndmask_b32_e64 v96, v17, v84, s[34:35]
	v_cndmask_b32_e64 v97, v16, v85, s[34:35]
	;; [unrolled: 1-line block ×4, first 2 shown]
	s_and_saveexec_b64 s[36:37], s[12:13]
	s_cbranch_execz .LBB632_1158
; %bb.1149:
	v_cmp_lt_u32_e64 s[12:13], v23, v100
	s_mov_b64 s[16:17], 0
	s_and_saveexec_b64 s[28:29], s[12:13]
	s_cbranch_execz .LBB632_1157
; %bb.1150:
	s_mov_b64 s[12:13], -1
	s_and_saveexec_b64 s[42:43], s[8:9]
	s_cbranch_execz .LBB632_1156
; %bb.1151:
	v_mul_lo_u32 v18, v98, v6
	v_mul_lo_u32 v19, v99, v7
	v_mad_u64_u32 v[16:17], s[12:13], v99, v6, 0
	v_add3_u32 v17, v17, v19, v18
	v_mul_lo_u32 v20, v96, v6
	v_mul_lo_u32 v21, v97, v7
	v_mad_u64_u32 v[18:19], s[12:13], v97, v6, 0
	v_add3_u32 v19, v19, v21, v20
	v_lshl_add_u64 v[16:17], v[16:17], 1, v[8:9]
	v_lshl_add_u64 v[18:19], v[18:19], 1, v[8:9]
	s_mov_b64 s[44:45], 0
	v_mov_b64_e32 v[20:21], v[6:7]
                                        ; implicit-def: $sgpr46_sgpr47
                                        ; implicit-def: $sgpr48_sgpr49
                                        ; implicit-def: $sgpr16_sgpr17
                                        ; implicit-def: $sgpr50_sgpr51
                                        ; implicit-def: $sgpr52_sgpr53
	s_branch .LBB632_1153
.LBB632_1152:                           ;   in Loop: Header=BB632_1153 Depth=1
	s_or_b64 exec, exec, s[54:55]
	s_and_b64 s[12:13], exec, s[48:49]
	s_or_b64 s[44:45], s[12:13], s[44:45]
	s_andn2_b64 s[12:13], s[52:53], exec
	s_and_b64 s[18:19], s[50:51], exec
	s_or_b64 s[52:53], s[12:13], s[18:19]
	s_andn2_b64 s[12:13], s[46:47], exec
	s_and_b64 s[18:19], s[16:17], exec
	s_or_b64 s[46:47], s[12:13], s[18:19]
	s_andn2_b64 exec, exec, s[44:45]
	s_cbranch_execz .LBB632_1155
.LBB632_1153:                           ; =>This Inner Loop Header: Depth=1
	flat_load_ushort v70, v[18:19]
	flat_load_ushort v71, v[16:17]
	s_andn2_b64 s[54:55], s[16:17], exec
	s_andn2_b64 s[50:51], s[50:51], exec
	s_or_b64 s[48:49], s[48:49], exec
	s_waitcnt vmcnt(0) lgkmcnt(0)
	v_cmp_le_i16_e64 s[16:17], v70, v71
	v_cmp_lt_i16_e64 s[12:13], v70, v71
	s_and_b64 s[16:17], s[16:17], s[52:53]
	s_or_b64 s[56:57], s[12:13], s[16:17]
	s_and_b64 s[12:13], s[56:57], exec
	v_cmp_eq_u16_e64 s[18:19], v70, v71
	s_or_b64 s[16:17], s[54:55], s[12:13]
	s_and_saveexec_b64 s[54:55], s[18:19]
	s_cbranch_execz .LBB632_1152
; %bb.1154:                             ;   in Loop: Header=BB632_1153 Depth=1
	v_lshl_add_u64 v[20:21], v[20:21], 0, -1
	v_cmp_eq_u64_e64 s[12:13], 0, v[20:21]
	s_andn2_b64 s[18:19], s[50:51], exec
	s_and_b64 s[50:51], s[56:57], exec
	s_or_b64 s[50:51], s[18:19], s[50:51]
	s_andn2_b64 s[18:19], s[48:49], exec
	s_and_b64 s[12:13], s[12:13], exec
	v_lshl_add_u64 v[16:17], v[16:17], 0, 2
	v_lshl_add_u64 v[18:19], v[18:19], 0, 2
	s_andn2_b64 s[16:17], s[16:17], exec
	s_or_b64 s[48:49], s[18:19], s[12:13]
                                        ; implicit-def: $sgpr52_sgpr53
	s_branch .LBB632_1152
.LBB632_1155:
	s_or_b64 exec, exec, s[44:45]
	s_xor_b64 s[12:13], s[46:47], -1
	s_orn2_b64 s[12:13], s[12:13], exec
.LBB632_1156:
	s_or_b64 exec, exec, s[42:43]
	s_and_b64 s[16:17], s[12:13], exec
.LBB632_1157:
	s_or_b64 exec, exec, s[28:29]
	s_orn2_b64 s[28:29], s[16:17], exec
.LBB632_1158:
	s_or_b64 exec, exec, s[36:37]
	v_cndmask_b32_e64 v16, v22, v23, s[28:29]
	v_cndmask_b32_e64 v17, v101, v100, s[28:29]
	v_add_u32_e32 v20, 1, v16
	v_add_u32_e32 v16, -1, v17
	v_min_u32_e32 v16, v20, v16
	v_mov_b32_e32 v17, 0
	v_lshl_add_u64 v[18:19], v[16:17], 3, v[66:67]
	flat_load_dwordx2 v[18:19], v[18:19]
	v_cndmask_b32_e64 v70, v20, v22, s[28:29]
	s_mov_b64 s[36:37], -1
	v_cndmask_b32_e64 v71, v23, v20, s[28:29]
	v_cmp_lt_u32_e64 s[12:13], v70, v101
	s_mov_b64 s[42:43], -1
	s_waitcnt vmcnt(0) lgkmcnt(0)
	v_cndmask_b32_e64 v102, v19, v96, s[28:29]
	v_cndmask_b32_e64 v103, v18, v97, s[28:29]
	;; [unrolled: 1-line block ×4, first 2 shown]
	s_and_saveexec_b64 s[44:45], s[12:13]
	s_cbranch_execz .LBB632_1168
; %bb.1159:
	v_cmp_lt_u32_e64 s[12:13], v71, v100
	s_mov_b64 s[16:17], 0
	s_and_saveexec_b64 s[42:43], s[12:13]
	s_cbranch_execz .LBB632_1167
; %bb.1160:
	s_mov_b64 s[12:13], -1
	s_and_saveexec_b64 s[46:47], s[8:9]
	s_cbranch_execz .LBB632_1166
; %bb.1161:
	v_mul_lo_u32 v16, v112, v6
	v_mul_lo_u32 v20, v113, v7
	v_mad_u64_u32 v[18:19], s[12:13], v113, v6, 0
	v_add3_u32 v19, v19, v20, v16
	v_mul_lo_u32 v16, v102, v6
	v_mul_lo_u32 v22, v103, v7
	v_mad_u64_u32 v[20:21], s[12:13], v103, v6, 0
	v_add3_u32 v21, v21, v22, v16
	v_lshl_add_u64 v[18:19], v[18:19], 1, v[8:9]
	v_lshl_add_u64 v[20:21], v[20:21], 1, v[8:9]
	s_mov_b64 s[48:49], 0
	v_mov_b64_e32 v[22:23], v[6:7]
                                        ; implicit-def: $sgpr50_sgpr51
                                        ; implicit-def: $sgpr52_sgpr53
                                        ; implicit-def: $sgpr16_sgpr17
                                        ; implicit-def: $sgpr54_sgpr55
                                        ; implicit-def: $sgpr56_sgpr57
	s_branch .LBB632_1163
.LBB632_1162:                           ;   in Loop: Header=BB632_1163 Depth=1
	s_or_b64 exec, exec, s[58:59]
	s_and_b64 s[12:13], exec, s[52:53]
	s_or_b64 s[48:49], s[12:13], s[48:49]
	s_andn2_b64 s[12:13], s[56:57], exec
	s_and_b64 s[18:19], s[54:55], exec
	s_or_b64 s[56:57], s[12:13], s[18:19]
	s_andn2_b64 s[12:13], s[50:51], exec
	s_and_b64 s[18:19], s[16:17], exec
	s_or_b64 s[50:51], s[12:13], s[18:19]
	s_andn2_b64 exec, exec, s[48:49]
	s_cbranch_execz .LBB632_1165
.LBB632_1163:                           ; =>This Inner Loop Header: Depth=1
	flat_load_ushort v16, v[20:21]
	flat_load_ushort v114, v[18:19]
	s_andn2_b64 s[58:59], s[16:17], exec
	s_andn2_b64 s[54:55], s[54:55], exec
	s_or_b64 s[52:53], s[52:53], exec
	s_waitcnt vmcnt(0) lgkmcnt(0)
	v_cmp_le_i16_e64 s[16:17], v16, v114
	v_cmp_lt_i16_e64 s[12:13], v16, v114
	s_and_b64 s[16:17], s[16:17], s[56:57]
	s_or_b64 s[60:61], s[12:13], s[16:17]
	s_and_b64 s[12:13], s[60:61], exec
	v_cmp_eq_u16_e64 s[18:19], v16, v114
	s_or_b64 s[16:17], s[58:59], s[12:13]
	s_and_saveexec_b64 s[58:59], s[18:19]
	s_cbranch_execz .LBB632_1162
; %bb.1164:                             ;   in Loop: Header=BB632_1163 Depth=1
	v_lshl_add_u64 v[22:23], v[22:23], 0, -1
	v_cmp_eq_u64_e64 s[12:13], 0, v[22:23]
	s_andn2_b64 s[18:19], s[54:55], exec
	s_and_b64 s[54:55], s[60:61], exec
	s_or_b64 s[54:55], s[18:19], s[54:55]
	s_andn2_b64 s[18:19], s[52:53], exec
	s_and_b64 s[12:13], s[12:13], exec
	v_lshl_add_u64 v[18:19], v[18:19], 0, 2
	v_lshl_add_u64 v[20:21], v[20:21], 0, 2
	s_andn2_b64 s[16:17], s[16:17], exec
	s_or_b64 s[52:53], s[18:19], s[12:13]
                                        ; implicit-def: $sgpr56_sgpr57
	s_branch .LBB632_1162
.LBB632_1165:
	s_or_b64 exec, exec, s[48:49]
	s_xor_b64 s[12:13], s[50:51], -1
	s_orn2_b64 s[12:13], s[12:13], exec
.LBB632_1166:
	s_or_b64 exec, exec, s[46:47]
	s_and_b64 s[16:17], s[12:13], exec
.LBB632_1167:
	s_or_b64 exec, exec, s[42:43]
	s_orn2_b64 s[42:43], s[16:17], exec
.LBB632_1168:
	s_or_b64 exec, exec, s[44:45]
	v_cndmask_b32_e64 v16, v70, v71, s[42:43]
	v_cndmask_b32_e64 v18, v101, v100, s[42:43]
	v_add_u32_e32 v19, 1, v16
	v_add_u32_e32 v16, -1, v18
	v_min_u32_e32 v16, v19, v16
	v_lshl_add_u64 v[16:17], v[16:17], 3, v[66:67]
	flat_load_dwordx2 v[16:17], v[16:17]
	v_cndmask_b32_e64 v117, v19, v70, s[42:43]
	v_cndmask_b32_e64 v114, v71, v19, s[42:43]
	v_cmp_lt_u32_e64 s[12:13], v117, v101
	s_waitcnt vmcnt(0) lgkmcnt(0)
	v_cndmask_b32_e64 v115, v17, v102, s[42:43]
	v_cndmask_b32_e64 v116, v16, v103, s[42:43]
	;; [unrolled: 1-line block ×4, first 2 shown]
	s_and_saveexec_b64 s[44:45], s[12:13]
	s_cbranch_execz .LBB632_1178
; %bb.1169:
	v_cmp_lt_u32_e64 s[12:13], v114, v100
	s_mov_b64 s[16:17], 0
	s_and_saveexec_b64 s[36:37], s[12:13]
	s_cbranch_execz .LBB632_1177
; %bb.1170:
	s_mov_b64 s[12:13], -1
	s_and_saveexec_b64 s[46:47], s[8:9]
	s_cbranch_execz .LBB632_1176
; %bb.1171:
	v_mul_lo_u32 v18, v118, v6
	v_mul_lo_u32 v19, v119, v7
	v_mad_u64_u32 v[16:17], s[12:13], v119, v6, 0
	v_add3_u32 v17, v17, v19, v18
	v_mul_lo_u32 v20, v115, v6
	v_mul_lo_u32 v21, v116, v7
	v_mad_u64_u32 v[18:19], s[12:13], v116, v6, 0
	v_add3_u32 v19, v19, v21, v20
	v_lshl_add_u64 v[16:17], v[16:17], 1, v[8:9]
	v_lshl_add_u64 v[18:19], v[18:19], 1, v[8:9]
	s_mov_b64 s[48:49], 0
	v_mov_b64_e32 v[20:21], v[6:7]
                                        ; implicit-def: $sgpr50_sgpr51
                                        ; implicit-def: $sgpr52_sgpr53
                                        ; implicit-def: $sgpr16_sgpr17
                                        ; implicit-def: $sgpr54_sgpr55
                                        ; implicit-def: $sgpr56_sgpr57
	s_branch .LBB632_1173
.LBB632_1172:                           ;   in Loop: Header=BB632_1173 Depth=1
	s_or_b64 exec, exec, s[58:59]
	s_and_b64 s[12:13], exec, s[52:53]
	s_or_b64 s[48:49], s[12:13], s[48:49]
	s_andn2_b64 s[12:13], s[56:57], exec
	s_and_b64 s[18:19], s[54:55], exec
	s_or_b64 s[56:57], s[12:13], s[18:19]
	s_andn2_b64 s[12:13], s[50:51], exec
	s_and_b64 s[18:19], s[16:17], exec
	s_or_b64 s[50:51], s[12:13], s[18:19]
	s_andn2_b64 exec, exec, s[48:49]
	s_cbranch_execz .LBB632_1175
.LBB632_1173:                           ; =>This Inner Loop Header: Depth=1
	flat_load_ushort v22, v[18:19]
	flat_load_ushort v23, v[16:17]
	s_andn2_b64 s[58:59], s[16:17], exec
	s_andn2_b64 s[54:55], s[54:55], exec
	s_or_b64 s[52:53], s[52:53], exec
	s_waitcnt vmcnt(0) lgkmcnt(0)
	v_cmp_le_i16_e64 s[16:17], v22, v23
	v_cmp_lt_i16_e64 s[12:13], v22, v23
	s_and_b64 s[16:17], s[16:17], s[56:57]
	s_or_b64 s[60:61], s[12:13], s[16:17]
	s_and_b64 s[12:13], s[60:61], exec
	v_cmp_eq_u16_e64 s[18:19], v22, v23
	s_or_b64 s[16:17], s[58:59], s[12:13]
	s_and_saveexec_b64 s[58:59], s[18:19]
	s_cbranch_execz .LBB632_1172
; %bb.1174:                             ;   in Loop: Header=BB632_1173 Depth=1
	v_lshl_add_u64 v[20:21], v[20:21], 0, -1
	v_cmp_eq_u64_e64 s[12:13], 0, v[20:21]
	s_andn2_b64 s[18:19], s[54:55], exec
	s_and_b64 s[54:55], s[60:61], exec
	s_or_b64 s[54:55], s[18:19], s[54:55]
	s_andn2_b64 s[18:19], s[52:53], exec
	s_and_b64 s[12:13], s[12:13], exec
	v_lshl_add_u64 v[16:17], v[16:17], 0, 2
	v_lshl_add_u64 v[18:19], v[18:19], 0, 2
	s_andn2_b64 s[16:17], s[16:17], exec
	s_or_b64 s[52:53], s[18:19], s[12:13]
                                        ; implicit-def: $sgpr56_sgpr57
	s_branch .LBB632_1172
.LBB632_1175:
	s_or_b64 exec, exec, s[48:49]
	s_xor_b64 s[12:13], s[50:51], -1
	s_orn2_b64 s[12:13], s[12:13], exec
.LBB632_1176:
	s_or_b64 exec, exec, s[46:47]
	s_and_b64 s[16:17], s[12:13], exec
.LBB632_1177:
	s_or_b64 exec, exec, s[36:37]
	s_orn2_b64 s[36:37], s[16:17], exec
.LBB632_1178:
	s_or_b64 exec, exec, s[44:45]
	v_cndmask_b32_e64 v16, v117, v114, s[36:37]
	v_cndmask_b32_e64 v17, v101, v100, s[36:37]
	v_add_u32_e32 v128, 1, v16
	v_add_u32_e32 v16, -1, v17
	v_min_u32_e32 v16, v128, v16
	v_mov_b32_e32 v17, 0
	v_lshl_add_u64 v[16:17], v[16:17], 3, v[66:67]
	flat_load_dwordx2 v[70:71], v[16:17]
	v_cndmask_b32_e64 v21, v27, v82, s[24:25]
	v_cndmask_b32_e64 v27, v24, v26, s[26:27]
	;; [unrolled: 1-line block ×15, first 2 shown]
	v_cmp_lt_u32_e64 s[12:13], v80, v101
	s_waitcnt vmcnt(0) lgkmcnt(0)
	v_cndmask_b32_e64 v15, v118, v71, s[36:37]
	v_cndmask_b32_e64 v14, v119, v70, s[36:37]
	s_and_saveexec_b64 s[22:23], s[12:13]
	s_cbranch_execz .LBB632_1188
; %bb.1179:
	v_cndmask_b32_e64 v80, v114, v128, s[36:37]
	v_cndmask_b32_e64 v71, v71, v115, s[36:37]
	;; [unrolled: 1-line block ×3, first 2 shown]
	v_cmp_lt_u32_e64 s[12:13], v80, v100
	s_and_saveexec_b64 s[24:25], s[12:13]
	s_cbranch_execz .LBB632_1187
; %bb.1180:
	s_and_saveexec_b64 s[26:27], s[8:9]
	s_cbranch_execz .LBB632_1186
; %bb.1181:
	v_mul_lo_u32 v82, v15, v6
	v_mul_lo_u32 v83, v14, v7
	v_mad_u64_u32 v[80:81], s[12:13], v14, v6, 0
	v_add3_u32 v81, v81, v83, v82
	v_mul_lo_u32 v84, v71, v6
	v_mul_lo_u32 v85, v70, v7
	v_mad_u64_u32 v[82:83], s[12:13], v70, v6, 0
	v_add3_u32 v83, v83, v85, v84
	v_lshl_add_u64 v[80:81], v[80:81], 1, v[8:9]
	v_lshl_add_u64 v[82:83], v[82:83], 1, v[8:9]
	s_mov_b64 s[28:29], 0
	v_mov_b64_e32 v[84:85], v[6:7]
                                        ; implicit-def: $sgpr34_sgpr35
                                        ; implicit-def: $sgpr36_sgpr37
                                        ; implicit-def: $sgpr16_sgpr17
                                        ; implicit-def: $sgpr42_sgpr43
                                        ; implicit-def: $sgpr44_sgpr45
	s_branch .LBB632_1183
.LBB632_1182:                           ;   in Loop: Header=BB632_1183 Depth=1
	s_or_b64 exec, exec, s[46:47]
	s_and_b64 s[12:13], exec, s[36:37]
	s_or_b64 s[28:29], s[12:13], s[28:29]
	s_andn2_b64 s[12:13], s[44:45], exec
	s_and_b64 s[18:19], s[42:43], exec
	s_or_b64 s[44:45], s[12:13], s[18:19]
	s_andn2_b64 s[12:13], s[34:35], exec
	s_and_b64 s[18:19], s[16:17], exec
	s_or_b64 s[34:35], s[12:13], s[18:19]
	s_andn2_b64 exec, exec, s[28:29]
	s_cbranch_execz .LBB632_1185
.LBB632_1183:                           ; =>This Inner Loop Header: Depth=1
	flat_load_ushort v86, v[82:83]
	flat_load_ushort v87, v[80:81]
	s_andn2_b64 s[46:47], s[16:17], exec
	s_andn2_b64 s[42:43], s[42:43], exec
	s_or_b64 s[36:37], s[36:37], exec
	s_waitcnt vmcnt(0) lgkmcnt(0)
	v_cmp_le_i16_e64 s[16:17], v86, v87
	v_cmp_lt_i16_e64 s[12:13], v86, v87
	s_and_b64 s[16:17], s[16:17], s[44:45]
	s_or_b64 s[48:49], s[12:13], s[16:17]
	s_and_b64 s[12:13], s[48:49], exec
	v_cmp_eq_u16_e64 s[18:19], v86, v87
	s_or_b64 s[16:17], s[46:47], s[12:13]
	s_and_saveexec_b64 s[46:47], s[18:19]
	s_cbranch_execz .LBB632_1182
; %bb.1184:                             ;   in Loop: Header=BB632_1183 Depth=1
	v_lshl_add_u64 v[84:85], v[84:85], 0, -1
	v_cmp_eq_u64_e64 s[12:13], 0, v[84:85]
	s_andn2_b64 s[18:19], s[42:43], exec
	s_and_b64 s[42:43], s[48:49], exec
	s_or_b64 s[42:43], s[18:19], s[42:43]
	s_andn2_b64 s[18:19], s[36:37], exec
	s_and_b64 s[12:13], s[12:13], exec
	v_lshl_add_u64 v[80:81], v[80:81], 0, 2
	v_lshl_add_u64 v[82:83], v[82:83], 0, 2
	s_andn2_b64 s[16:17], s[16:17], exec
	s_or_b64 s[36:37], s[18:19], s[12:13]
                                        ; implicit-def: $sgpr44_sgpr45
	s_branch .LBB632_1182
.LBB632_1185:
	s_or_b64 exec, exec, s[28:29]
	v_cndmask_b32_e64 v15, v15, v71, s[34:35]
	v_cndmask_b32_e64 v14, v14, v70, s[34:35]
.LBB632_1186:
	s_or_b64 exec, exec, s[26:27]
	v_mov_b64_e32 v[70:71], v[14:15]
.LBB632_1187:
	s_or_b64 exec, exec, s[24:25]
	v_mov_b64_e32 v[14:15], v[70:71]
.LBB632_1188:
	s_or_b64 exec, exec, s[22:23]
.LBB632_1189:
	s_or_b64 exec, exec, s[20:21]
	v_and_b32_e32 v102, 0x3c0, v31
	v_or_b32_e32 v70, 32, v102
	v_min_u32_e32 v100, v1, v70
	v_add_u32_e32 v70, 32, v100
	v_min_u32_e32 v101, v1, v70
	v_and_b32_e32 v70, 56, v31
	v_min_u32_e32 v103, v1, v70
	v_sub_u32_e32 v70, v100, v102
	v_sub_u32_e32 v71, v101, v100
	v_sub_u32_e64 v112, v103, v71 clamp
	v_min_u32_e32 v113, v103, v70
	v_cmp_lt_u32_e64 s[12:13], v112, v113
	; wave barrier
	flat_store_dwordx4 v[68:69], v[24:27]
	flat_store_dwordx4 v[68:69], v[20:23] offset:16
	flat_store_dwordx4 v[68:69], v[16:19] offset:32
	;; [unrolled: 1-line block ×3, first 2 shown]
	; wave barrier
	s_and_saveexec_b64 s[20:21], s[12:13]
	s_cbranch_execz .LBB632_1199
; %bb.1190:
	v_lshlrev_b32_e32 v70, 3, v102
	v_mov_b32_e32 v71, 0
	v_lshl_add_u64 v[80:81], v[66:67], 0, v[70:71]
	v_lshlrev_b32_e32 v70, 3, v100
	v_lshl_add_u64 v[82:83], v[66:67], 0, v[70:71]
	s_mov_b64 s[22:23], 0
	s_branch .LBB632_1193
.LBB632_1191:                           ;   in Loop: Header=BB632_1193 Depth=1
	s_or_b64 exec, exec, s[26:27]
	s_and_b64 s[12:13], s[28:29], exec
.LBB632_1192:                           ;   in Loop: Header=BB632_1193 Depth=1
	s_or_b64 exec, exec, s[24:25]
	v_add_u32_e32 v70, 1, v84
	v_cndmask_b32_e64 v113, v113, v84, s[12:13]
	v_cndmask_b32_e64 v112, v70, v112, s[12:13]
	v_cmp_ge_u32_e64 s[12:13], v112, v113
	s_or_b64 s[22:23], s[12:13], s[22:23]
	s_andn2_b64 exec, exec, s[22:23]
	s_cbranch_execz .LBB632_1198
.LBB632_1193:                           ; =>This Loop Header: Depth=1
                                        ;     Child Loop BB632_1196 Depth 2
	v_add_u32_e32 v70, v113, v112
	v_lshrrev_b32_e32 v84, 1, v70
	s_mov_b64 s[12:13], 0
	s_and_saveexec_b64 s[24:25], s[8:9]
	s_cbranch_execz .LBB632_1192
; %bb.1194:                             ;   in Loop: Header=BB632_1193 Depth=1
	v_mov_b32_e32 v85, v71
	v_xad_u32 v70, v84, -1, v103
	v_lshl_add_u64 v[86:87], v[84:85], 3, v[80:81]
	v_lshl_add_u64 v[96:97], v[70:71], 3, v[82:83]
	flat_load_dwordx2 v[86:87], v[86:87]
	s_mov_b64 s[26:27], 0
	flat_load_dwordx2 v[96:97], v[96:97]
                                        ; implicit-def: $sgpr28_sgpr29
                                        ; implicit-def: $sgpr34_sgpr35
                                        ; implicit-def: $sgpr36_sgpr37
                                        ; implicit-def: $sgpr16_sgpr17
                                        ; implicit-def: $sgpr42_sgpr43
	s_waitcnt vmcnt(0) lgkmcnt(0)
	v_mul_lo_u32 v70, v64, v87
	v_mul_lo_u32 v85, v65, v86
	v_mad_u64_u32 v[86:87], s[12:13], v64, v86, v[8:9]
	v_mul_lo_u32 v98, v64, v97
	v_mul_lo_u32 v99, v65, v96
	v_mad_u64_u32 v[96:97], s[12:13], v64, v96, v[8:9]
	v_add3_u32 v87, v85, v87, v70
	v_add3_u32 v97, v99, v97, v98
	v_mov_b64_e32 v[98:99], v[6:7]
	s_branch .LBB632_1196
.LBB632_1195:                           ;   in Loop: Header=BB632_1196 Depth=2
	s_or_b64 exec, exec, s[44:45]
	s_and_b64 s[12:13], exec, s[34:35]
	s_or_b64 s[26:27], s[12:13], s[26:27]
	s_andn2_b64 s[12:13], s[42:43], exec
	s_and_b64 s[18:19], s[36:37], exec
	s_or_b64 s[42:43], s[12:13], s[18:19]
	s_andn2_b64 s[12:13], s[28:29], exec
	s_and_b64 s[18:19], s[16:17], exec
	s_or_b64 s[28:29], s[12:13], s[18:19]
	s_andn2_b64 exec, exec, s[26:27]
	s_cbranch_execz .LBB632_1191
.LBB632_1196:                           ;   Parent Loop BB632_1193 Depth=1
                                        ; =>  This Inner Loop Header: Depth=2
	flat_load_ushort v70, v[96:97]
	flat_load_ushort v85, v[86:87]
	s_andn2_b64 s[44:45], s[16:17], exec
	s_andn2_b64 s[36:37], s[36:37], exec
	s_or_b64 s[34:35], s[34:35], exec
	s_waitcnt vmcnt(0) lgkmcnt(0)
	v_cmp_le_i16_e64 s[16:17], v70, v85
	v_cmp_lt_i16_e64 s[12:13], v70, v85
	s_and_b64 s[16:17], s[16:17], s[42:43]
	s_or_b64 s[46:47], s[12:13], s[16:17]
	s_and_b64 s[12:13], s[46:47], exec
	v_cmp_eq_u16_e64 s[18:19], v70, v85
	s_or_b64 s[16:17], s[44:45], s[12:13]
	s_and_saveexec_b64 s[44:45], s[18:19]
	s_cbranch_execz .LBB632_1195
; %bb.1197:                             ;   in Loop: Header=BB632_1196 Depth=2
	v_lshl_add_u64 v[98:99], v[98:99], 0, -1
	v_cmp_eq_u64_e64 s[12:13], 0, v[98:99]
	s_andn2_b64 s[18:19], s[36:37], exec
	s_and_b64 s[36:37], s[46:47], exec
	s_or_b64 s[36:37], s[18:19], s[36:37]
	s_andn2_b64 s[18:19], s[34:35], exec
	s_and_b64 s[12:13], s[12:13], exec
	v_lshl_add_u64 v[86:87], v[86:87], 0, 2
	v_lshl_add_u64 v[96:97], v[96:97], 0, 2
	s_andn2_b64 s[16:17], s[16:17], exec
	s_or_b64 s[34:35], s[18:19], s[12:13]
                                        ; implicit-def: $sgpr42_sgpr43
	s_branch .LBB632_1195
.LBB632_1198:
	s_or_b64 exec, exec, s[22:23]
.LBB632_1199:
	s_or_b64 exec, exec, s[20:21]
	v_add_u32_e32 v71, v100, v103
	v_add_u32_e32 v70, v112, v102
	v_sub_u32_e32 v80, v71, v112
	v_cmp_le_u32_e64 s[12:13], v70, v100
	v_cmp_le_u32_e64 s[16:17], v80, v101
	s_or_b64 s[12:13], s[12:13], s[16:17]
	s_and_saveexec_b64 s[20:21], s[12:13]
	s_cbranch_execz .LBB632_1283
; %bb.1200:
	v_cmp_ge_u32_e64 s[16:17], v70, v100
	v_cmp_lt_u32_e64 s[12:13], v70, v100
                                        ; implicit-def: $vgpr12_vgpr13
	s_and_saveexec_b64 s[18:19], s[12:13]
	s_cbranch_execz .LBB632_1202
; %bb.1201:
	v_mov_b32_e32 v71, 0
	v_lshl_add_u64 v[12:13], v[70:71], 3, v[66:67]
	flat_load_dwordx2 v[12:13], v[12:13]
.LBB632_1202:
	s_or_b64 exec, exec, s[18:19]
	v_cmp_ge_u32_e64 s[22:23], v80, v101
	v_cmp_lt_u32_e64 s[12:13], v80, v101
                                        ; implicit-def: $vgpr14_vgpr15
	s_and_saveexec_b64 s[18:19], s[12:13]
	s_cbranch_execz .LBB632_1204
; %bb.1203:
	v_mov_b32_e32 v81, 0
	v_lshl_add_u64 v[14:15], v[80:81], 3, v[66:67]
	flat_load_dwordx2 v[14:15], v[14:15]
.LBB632_1204:
	s_or_b64 exec, exec, s[18:19]
	s_or_b64 s[12:13], s[16:17], s[22:23]
	s_xor_b64 s[12:13], s[12:13], -1
	s_and_saveexec_b64 s[24:25], s[12:13]
	s_cbranch_execz .LBB632_1212
; %bb.1205:
	s_mov_b64 s[12:13], 0
	s_and_saveexec_b64 s[26:27], s[8:9]
	s_cbranch_execz .LBB632_1211
; %bb.1206:
	s_waitcnt vmcnt(0) lgkmcnt(0)
	v_mul_lo_u32 v18, v13, v6
	v_mul_lo_u32 v19, v12, v7
	v_mad_u64_u32 v[16:17], s[12:13], v12, v6, 0
	v_add3_u32 v17, v17, v19, v18
	v_mul_lo_u32 v20, v15, v6
	v_mul_lo_u32 v21, v14, v7
	v_mad_u64_u32 v[18:19], s[12:13], v14, v6, 0
	v_add3_u32 v19, v19, v21, v20
	v_lshl_add_u64 v[16:17], v[16:17], 1, v[8:9]
	v_lshl_add_u64 v[18:19], v[18:19], 1, v[8:9]
	s_mov_b64 s[28:29], 0
	v_mov_b64_e32 v[20:21], v[6:7]
                                        ; implicit-def: $sgpr34_sgpr35
                                        ; implicit-def: $sgpr36_sgpr37
                                        ; implicit-def: $sgpr42_sgpr43
                                        ; implicit-def: $sgpr16_sgpr17
                                        ; implicit-def: $sgpr44_sgpr45
	s_branch .LBB632_1208
.LBB632_1207:                           ;   in Loop: Header=BB632_1208 Depth=1
	s_or_b64 exec, exec, s[46:47]
	s_and_b64 s[12:13], exec, s[36:37]
	s_or_b64 s[28:29], s[12:13], s[28:29]
	s_andn2_b64 s[12:13], s[44:45], exec
	s_and_b64 s[18:19], s[42:43], exec
	s_or_b64 s[44:45], s[12:13], s[18:19]
	s_andn2_b64 s[12:13], s[34:35], exec
	s_and_b64 s[18:19], s[16:17], exec
	s_or_b64 s[34:35], s[12:13], s[18:19]
	s_andn2_b64 exec, exec, s[28:29]
	s_cbranch_execz .LBB632_1210
.LBB632_1208:                           ; =>This Inner Loop Header: Depth=1
	flat_load_ushort v22, v[18:19]
	flat_load_ushort v23, v[16:17]
	s_andn2_b64 s[46:47], s[16:17], exec
	s_andn2_b64 s[42:43], s[42:43], exec
	s_or_b64 s[36:37], s[36:37], exec
	s_waitcnt vmcnt(0) lgkmcnt(0)
	v_cmp_le_i16_e64 s[16:17], v22, v23
	v_cmp_lt_i16_e64 s[12:13], v22, v23
	s_and_b64 s[16:17], s[16:17], s[44:45]
	s_or_b64 s[48:49], s[12:13], s[16:17]
	s_and_b64 s[12:13], s[48:49], exec
	v_cmp_eq_u16_e64 s[18:19], v22, v23
	s_or_b64 s[16:17], s[46:47], s[12:13]
	s_and_saveexec_b64 s[46:47], s[18:19]
	s_cbranch_execz .LBB632_1207
; %bb.1209:                             ;   in Loop: Header=BB632_1208 Depth=1
	v_lshl_add_u64 v[20:21], v[20:21], 0, -1
	v_cmp_eq_u64_e64 s[12:13], 0, v[20:21]
	s_andn2_b64 s[18:19], s[42:43], exec
	s_and_b64 s[42:43], s[48:49], exec
	s_or_b64 s[42:43], s[18:19], s[42:43]
	s_andn2_b64 s[18:19], s[36:37], exec
	s_and_b64 s[12:13], s[12:13], exec
	v_lshl_add_u64 v[16:17], v[16:17], 0, 2
	v_lshl_add_u64 v[18:19], v[18:19], 0, 2
	s_andn2_b64 s[16:17], s[16:17], exec
	s_or_b64 s[36:37], s[18:19], s[12:13]
                                        ; implicit-def: $sgpr44_sgpr45
	s_branch .LBB632_1207
.LBB632_1210:
	s_or_b64 exec, exec, s[28:29]
	s_and_b64 s[12:13], s[34:35], exec
.LBB632_1211:
	s_or_b64 exec, exec, s[26:27]
	s_xor_b64 s[12:13], s[12:13], -1
	s_andn2_b64 s[16:17], s[22:23], exec
	s_and_b64 s[12:13], s[12:13], exec
	s_or_b64 s[22:23], s[16:17], s[12:13]
.LBB632_1212:
	s_or_b64 exec, exec, s[24:25]
	v_cndmask_b32_e64 v16, v80, v70, s[22:23]
	v_cndmask_b32_e64 v17, v101, v100, s[22:23]
	v_add_u32_e32 v20, 1, v16
	v_add_u32_e32 v16, -1, v17
	v_min_u32_e32 v16, v20, v16
	v_mov_b32_e32 v17, 0
	v_lshl_add_u64 v[18:19], v[16:17], 3, v[66:67]
	flat_load_dwordx2 v[18:19], v[18:19]
	v_cndmask_b32_e64 v27, v20, v80, s[22:23]
	s_mov_b64 s[24:25], -1
	v_cndmask_b32_e64 v70, v70, v20, s[22:23]
	v_cmp_lt_u32_e64 s[12:13], v27, v101
	s_mov_b64 s[26:27], -1
	s_waitcnt vmcnt(0) lgkmcnt(0)
	v_cndmask_b32_e64 v24, v19, v15, s[22:23]
	v_cndmask_b32_e64 v25, v18, v14, s[22:23]
	;; [unrolled: 1-line block ×4, first 2 shown]
	s_and_saveexec_b64 s[28:29], s[12:13]
	s_cbranch_execz .LBB632_1222
; %bb.1213:
	v_cmp_lt_u32_e64 s[12:13], v70, v100
	s_mov_b64 s[16:17], 0
	s_and_saveexec_b64 s[26:27], s[12:13]
	s_cbranch_execz .LBB632_1221
; %bb.1214:
	s_mov_b64 s[12:13], 0
	s_and_saveexec_b64 s[34:35], s[8:9]
	s_cbranch_execz .LBB632_1220
; %bb.1215:
	v_mul_lo_u32 v16, v26, v6
	v_mul_lo_u32 v20, v80, v7
	v_mad_u64_u32 v[18:19], s[12:13], v80, v6, 0
	v_add3_u32 v19, v19, v20, v16
	v_mul_lo_u32 v16, v24, v6
	v_mul_lo_u32 v22, v25, v7
	v_mad_u64_u32 v[20:21], s[12:13], v25, v6, 0
	v_add3_u32 v21, v21, v22, v16
	v_lshl_add_u64 v[18:19], v[18:19], 1, v[8:9]
	v_lshl_add_u64 v[20:21], v[20:21], 1, v[8:9]
	s_mov_b64 s[36:37], 0
	v_mov_b64_e32 v[22:23], v[6:7]
                                        ; implicit-def: $sgpr42_sgpr43
                                        ; implicit-def: $sgpr44_sgpr45
                                        ; implicit-def: $sgpr46_sgpr47
                                        ; implicit-def: $sgpr16_sgpr17
                                        ; implicit-def: $sgpr48_sgpr49
	s_branch .LBB632_1217
.LBB632_1216:                           ;   in Loop: Header=BB632_1217 Depth=1
	s_or_b64 exec, exec, s[50:51]
	s_and_b64 s[12:13], exec, s[44:45]
	s_or_b64 s[36:37], s[12:13], s[36:37]
	s_andn2_b64 s[12:13], s[48:49], exec
	s_and_b64 s[18:19], s[46:47], exec
	s_or_b64 s[48:49], s[12:13], s[18:19]
	s_andn2_b64 s[12:13], s[42:43], exec
	s_and_b64 s[18:19], s[16:17], exec
	s_or_b64 s[42:43], s[12:13], s[18:19]
	s_andn2_b64 exec, exec, s[36:37]
	s_cbranch_execz .LBB632_1219
.LBB632_1217:                           ; =>This Inner Loop Header: Depth=1
	flat_load_ushort v16, v[20:21]
	flat_load_ushort v71, v[18:19]
	s_andn2_b64 s[50:51], s[16:17], exec
	s_andn2_b64 s[46:47], s[46:47], exec
	s_or_b64 s[44:45], s[44:45], exec
	s_waitcnt vmcnt(0) lgkmcnt(0)
	v_cmp_le_i16_e64 s[16:17], v16, v71
	v_cmp_lt_i16_e64 s[12:13], v16, v71
	s_and_b64 s[16:17], s[16:17], s[48:49]
	s_or_b64 s[52:53], s[12:13], s[16:17]
	s_and_b64 s[12:13], s[52:53], exec
	v_cmp_eq_u16_e64 s[18:19], v16, v71
	s_or_b64 s[16:17], s[50:51], s[12:13]
	s_and_saveexec_b64 s[50:51], s[18:19]
	s_cbranch_execz .LBB632_1216
; %bb.1218:                             ;   in Loop: Header=BB632_1217 Depth=1
	v_lshl_add_u64 v[22:23], v[22:23], 0, -1
	v_cmp_eq_u64_e64 s[12:13], 0, v[22:23]
	s_andn2_b64 s[18:19], s[46:47], exec
	s_and_b64 s[46:47], s[52:53], exec
	s_or_b64 s[46:47], s[18:19], s[46:47]
	s_andn2_b64 s[18:19], s[44:45], exec
	s_and_b64 s[12:13], s[12:13], exec
	v_lshl_add_u64 v[18:19], v[18:19], 0, 2
	v_lshl_add_u64 v[20:21], v[20:21], 0, 2
	s_andn2_b64 s[16:17], s[16:17], exec
	s_or_b64 s[44:45], s[18:19], s[12:13]
                                        ; implicit-def: $sgpr48_sgpr49
	s_branch .LBB632_1216
.LBB632_1219:
	s_or_b64 exec, exec, s[36:37]
	s_and_b64 s[12:13], s[42:43], exec
.LBB632_1220:
	s_or_b64 exec, exec, s[34:35]
	s_xor_b64 s[12:13], s[12:13], -1
	s_and_b64 s[16:17], s[12:13], exec
.LBB632_1221:
	s_or_b64 exec, exec, s[26:27]
	s_orn2_b64 s[26:27], s[16:17], exec
.LBB632_1222:
	s_or_b64 exec, exec, s[28:29]
	v_cndmask_b32_e64 v16, v27, v70, s[26:27]
	v_cndmask_b32_e64 v18, v101, v100, s[26:27]
	v_add_u32_e32 v19, 1, v16
	v_add_u32_e32 v16, -1, v18
	v_min_u32_e32 v16, v19, v16
	v_lshl_add_u64 v[16:17], v[16:17], 3, v[66:67]
	flat_load_dwordx2 v[16:17], v[16:17]
	v_cndmask_b32_e64 v22, v19, v27, s[26:27]
	v_cndmask_b32_e64 v23, v70, v19, s[26:27]
	v_cmp_lt_u32_e64 s[12:13], v22, v101
	s_waitcnt vmcnt(0) lgkmcnt(0)
	v_cndmask_b32_e64 v27, v17, v24, s[26:27]
	v_cndmask_b32_e64 v81, v16, v25, s[26:27]
	;; [unrolled: 1-line block ×4, first 2 shown]
	s_and_saveexec_b64 s[28:29], s[12:13]
	s_cbranch_execz .LBB632_1232
; %bb.1223:
	v_cmp_lt_u32_e64 s[12:13], v23, v100
	s_mov_b64 s[16:17], 0
	s_and_saveexec_b64 s[24:25], s[12:13]
	s_cbranch_execz .LBB632_1231
; %bb.1224:
	s_mov_b64 s[12:13], 0
	s_and_saveexec_b64 s[34:35], s[8:9]
	s_cbranch_execz .LBB632_1230
; %bb.1225:
	v_mul_lo_u32 v18, v82, v6
	v_mul_lo_u32 v19, v83, v7
	v_mad_u64_u32 v[16:17], s[12:13], v83, v6, 0
	v_add3_u32 v17, v17, v19, v18
	v_mul_lo_u32 v20, v27, v6
	v_mul_lo_u32 v21, v81, v7
	v_mad_u64_u32 v[18:19], s[12:13], v81, v6, 0
	v_add3_u32 v19, v19, v21, v20
	v_lshl_add_u64 v[16:17], v[16:17], 1, v[8:9]
	v_lshl_add_u64 v[18:19], v[18:19], 1, v[8:9]
	s_mov_b64 s[36:37], 0
	v_mov_b64_e32 v[20:21], v[6:7]
                                        ; implicit-def: $sgpr42_sgpr43
                                        ; implicit-def: $sgpr44_sgpr45
                                        ; implicit-def: $sgpr46_sgpr47
                                        ; implicit-def: $sgpr16_sgpr17
                                        ; implicit-def: $sgpr48_sgpr49
	s_branch .LBB632_1227
.LBB632_1226:                           ;   in Loop: Header=BB632_1227 Depth=1
	s_or_b64 exec, exec, s[50:51]
	s_and_b64 s[12:13], exec, s[44:45]
	s_or_b64 s[36:37], s[12:13], s[36:37]
	s_andn2_b64 s[12:13], s[48:49], exec
	s_and_b64 s[18:19], s[46:47], exec
	s_or_b64 s[48:49], s[12:13], s[18:19]
	s_andn2_b64 s[12:13], s[42:43], exec
	s_and_b64 s[18:19], s[16:17], exec
	s_or_b64 s[42:43], s[12:13], s[18:19]
	s_andn2_b64 exec, exec, s[36:37]
	s_cbranch_execz .LBB632_1229
.LBB632_1227:                           ; =>This Inner Loop Header: Depth=1
	flat_load_ushort v70, v[18:19]
	flat_load_ushort v71, v[16:17]
	s_andn2_b64 s[50:51], s[16:17], exec
	s_andn2_b64 s[46:47], s[46:47], exec
	s_or_b64 s[44:45], s[44:45], exec
	s_waitcnt vmcnt(0) lgkmcnt(0)
	v_cmp_le_i16_e64 s[16:17], v70, v71
	v_cmp_lt_i16_e64 s[12:13], v70, v71
	s_and_b64 s[16:17], s[16:17], s[48:49]
	s_or_b64 s[52:53], s[12:13], s[16:17]
	s_and_b64 s[12:13], s[52:53], exec
	v_cmp_eq_u16_e64 s[18:19], v70, v71
	s_or_b64 s[16:17], s[50:51], s[12:13]
	s_and_saveexec_b64 s[50:51], s[18:19]
	s_cbranch_execz .LBB632_1226
; %bb.1228:                             ;   in Loop: Header=BB632_1227 Depth=1
	v_lshl_add_u64 v[20:21], v[20:21], 0, -1
	v_cmp_eq_u64_e64 s[12:13], 0, v[20:21]
	s_andn2_b64 s[18:19], s[46:47], exec
	s_and_b64 s[46:47], s[52:53], exec
	s_or_b64 s[46:47], s[18:19], s[46:47]
	s_andn2_b64 s[18:19], s[44:45], exec
	s_and_b64 s[12:13], s[12:13], exec
	v_lshl_add_u64 v[16:17], v[16:17], 0, 2
	v_lshl_add_u64 v[18:19], v[18:19], 0, 2
	s_andn2_b64 s[16:17], s[16:17], exec
	s_or_b64 s[44:45], s[18:19], s[12:13]
                                        ; implicit-def: $sgpr48_sgpr49
	s_branch .LBB632_1226
.LBB632_1229:
	s_or_b64 exec, exec, s[36:37]
	s_and_b64 s[12:13], s[42:43], exec
.LBB632_1230:
	s_or_b64 exec, exec, s[34:35]
	s_xor_b64 s[12:13], s[12:13], -1
	s_and_b64 s[16:17], s[12:13], exec
.LBB632_1231:
	s_or_b64 exec, exec, s[24:25]
	s_orn2_b64 s[24:25], s[16:17], exec
.LBB632_1232:
	s_or_b64 exec, exec, s[28:29]
	v_cndmask_b32_e64 v16, v22, v23, s[24:25]
	v_cndmask_b32_e64 v17, v101, v100, s[24:25]
	v_add_u32_e32 v20, 1, v16
	v_add_u32_e32 v16, -1, v17
	v_min_u32_e32 v16, v20, v16
	v_mov_b32_e32 v17, 0
	v_lshl_add_u64 v[18:19], v[16:17], 3, v[66:67]
	flat_load_dwordx2 v[18:19], v[18:19]
	v_cndmask_b32_e64 v70, v20, v22, s[24:25]
	s_mov_b64 s[28:29], -1
	v_cndmask_b32_e64 v71, v23, v20, s[24:25]
	v_cmp_lt_u32_e64 s[12:13], v70, v101
	s_mov_b64 s[34:35], -1
	s_waitcnt vmcnt(0) lgkmcnt(0)
	v_cndmask_b32_e64 v84, v19, v27, s[24:25]
	v_cndmask_b32_e64 v85, v18, v81, s[24:25]
	v_cndmask_b32_e64 v86, v82, v19, s[24:25]
	v_cndmask_b32_e64 v87, v83, v18, s[24:25]
	s_and_saveexec_b64 s[36:37], s[12:13]
	s_cbranch_execz .LBB632_1242
; %bb.1233:
	v_cmp_lt_u32_e64 s[12:13], v71, v100
	s_mov_b64 s[16:17], 0
	s_and_saveexec_b64 s[34:35], s[12:13]
	s_cbranch_execz .LBB632_1241
; %bb.1234:
	s_mov_b64 s[12:13], -1
	s_and_saveexec_b64 s[42:43], s[8:9]
	s_cbranch_execz .LBB632_1240
; %bb.1235:
	v_mul_lo_u32 v16, v86, v6
	v_mul_lo_u32 v20, v87, v7
	v_mad_u64_u32 v[18:19], s[12:13], v87, v6, 0
	v_add3_u32 v19, v19, v20, v16
	v_mul_lo_u32 v16, v84, v6
	v_mul_lo_u32 v22, v85, v7
	v_mad_u64_u32 v[20:21], s[12:13], v85, v6, 0
	v_add3_u32 v21, v21, v22, v16
	v_lshl_add_u64 v[18:19], v[18:19], 1, v[8:9]
	v_lshl_add_u64 v[20:21], v[20:21], 1, v[8:9]
	s_mov_b64 s[44:45], 0
	v_mov_b64_e32 v[22:23], v[6:7]
                                        ; implicit-def: $sgpr46_sgpr47
                                        ; implicit-def: $sgpr48_sgpr49
                                        ; implicit-def: $sgpr16_sgpr17
                                        ; implicit-def: $sgpr50_sgpr51
                                        ; implicit-def: $sgpr52_sgpr53
	s_branch .LBB632_1237
.LBB632_1236:                           ;   in Loop: Header=BB632_1237 Depth=1
	s_or_b64 exec, exec, s[54:55]
	s_and_b64 s[12:13], exec, s[48:49]
	s_or_b64 s[44:45], s[12:13], s[44:45]
	s_andn2_b64 s[12:13], s[52:53], exec
	s_and_b64 s[18:19], s[50:51], exec
	s_or_b64 s[52:53], s[12:13], s[18:19]
	s_andn2_b64 s[12:13], s[46:47], exec
	s_and_b64 s[18:19], s[16:17], exec
	s_or_b64 s[46:47], s[12:13], s[18:19]
	s_andn2_b64 exec, exec, s[44:45]
	s_cbranch_execz .LBB632_1239
.LBB632_1237:                           ; =>This Inner Loop Header: Depth=1
	flat_load_ushort v16, v[20:21]
	flat_load_ushort v96, v[18:19]
	s_andn2_b64 s[54:55], s[16:17], exec
	s_andn2_b64 s[50:51], s[50:51], exec
	s_or_b64 s[48:49], s[48:49], exec
	s_waitcnt vmcnt(0) lgkmcnt(0)
	v_cmp_le_i16_e64 s[16:17], v16, v96
	v_cmp_lt_i16_e64 s[12:13], v16, v96
	s_and_b64 s[16:17], s[16:17], s[52:53]
	s_or_b64 s[56:57], s[12:13], s[16:17]
	s_and_b64 s[12:13], s[56:57], exec
	v_cmp_eq_u16_e64 s[18:19], v16, v96
	s_or_b64 s[16:17], s[54:55], s[12:13]
	s_and_saveexec_b64 s[54:55], s[18:19]
	s_cbranch_execz .LBB632_1236
; %bb.1238:                             ;   in Loop: Header=BB632_1237 Depth=1
	v_lshl_add_u64 v[22:23], v[22:23], 0, -1
	v_cmp_eq_u64_e64 s[12:13], 0, v[22:23]
	s_andn2_b64 s[18:19], s[50:51], exec
	s_and_b64 s[50:51], s[56:57], exec
	s_or_b64 s[50:51], s[18:19], s[50:51]
	s_andn2_b64 s[18:19], s[48:49], exec
	s_and_b64 s[12:13], s[12:13], exec
	v_lshl_add_u64 v[18:19], v[18:19], 0, 2
	v_lshl_add_u64 v[20:21], v[20:21], 0, 2
	s_andn2_b64 s[16:17], s[16:17], exec
	s_or_b64 s[48:49], s[18:19], s[12:13]
                                        ; implicit-def: $sgpr52_sgpr53
	s_branch .LBB632_1236
.LBB632_1239:
	s_or_b64 exec, exec, s[44:45]
	s_xor_b64 s[12:13], s[46:47], -1
	s_orn2_b64 s[12:13], s[12:13], exec
.LBB632_1240:
	s_or_b64 exec, exec, s[42:43]
	s_and_b64 s[16:17], s[12:13], exec
.LBB632_1241:
	s_or_b64 exec, exec, s[34:35]
	s_orn2_b64 s[34:35], s[16:17], exec
.LBB632_1242:
	s_or_b64 exec, exec, s[36:37]
	v_cndmask_b32_e64 v16, v70, v71, s[34:35]
	v_cndmask_b32_e64 v18, v101, v100, s[34:35]
	v_add_u32_e32 v19, 1, v16
	v_add_u32_e32 v16, -1, v18
	v_min_u32_e32 v16, v19, v16
	v_lshl_add_u64 v[16:17], v[16:17], 3, v[66:67]
	flat_load_dwordx2 v[16:17], v[16:17]
	v_cndmask_b32_e64 v22, v19, v70, s[34:35]
	v_cndmask_b32_e64 v23, v71, v19, s[34:35]
	v_cmp_lt_u32_e64 s[12:13], v22, v101
	s_waitcnt vmcnt(0) lgkmcnt(0)
	v_cndmask_b32_e64 v96, v17, v84, s[34:35]
	v_cndmask_b32_e64 v97, v16, v85, s[34:35]
	;; [unrolled: 1-line block ×4, first 2 shown]
	s_and_saveexec_b64 s[36:37], s[12:13]
	s_cbranch_execz .LBB632_1252
; %bb.1243:
	v_cmp_lt_u32_e64 s[12:13], v23, v100
	s_mov_b64 s[16:17], 0
	s_and_saveexec_b64 s[28:29], s[12:13]
	s_cbranch_execz .LBB632_1251
; %bb.1244:
	s_mov_b64 s[12:13], -1
	s_and_saveexec_b64 s[42:43], s[8:9]
	s_cbranch_execz .LBB632_1250
; %bb.1245:
	v_mul_lo_u32 v18, v98, v6
	v_mul_lo_u32 v19, v99, v7
	v_mad_u64_u32 v[16:17], s[12:13], v99, v6, 0
	v_add3_u32 v17, v17, v19, v18
	v_mul_lo_u32 v20, v96, v6
	v_mul_lo_u32 v21, v97, v7
	v_mad_u64_u32 v[18:19], s[12:13], v97, v6, 0
	v_add3_u32 v19, v19, v21, v20
	v_lshl_add_u64 v[16:17], v[16:17], 1, v[8:9]
	v_lshl_add_u64 v[18:19], v[18:19], 1, v[8:9]
	s_mov_b64 s[44:45], 0
	v_mov_b64_e32 v[20:21], v[6:7]
                                        ; implicit-def: $sgpr46_sgpr47
                                        ; implicit-def: $sgpr48_sgpr49
                                        ; implicit-def: $sgpr16_sgpr17
                                        ; implicit-def: $sgpr50_sgpr51
                                        ; implicit-def: $sgpr52_sgpr53
	s_branch .LBB632_1247
.LBB632_1246:                           ;   in Loop: Header=BB632_1247 Depth=1
	s_or_b64 exec, exec, s[54:55]
	s_and_b64 s[12:13], exec, s[48:49]
	s_or_b64 s[44:45], s[12:13], s[44:45]
	s_andn2_b64 s[12:13], s[52:53], exec
	s_and_b64 s[18:19], s[50:51], exec
	s_or_b64 s[52:53], s[12:13], s[18:19]
	s_andn2_b64 s[12:13], s[46:47], exec
	s_and_b64 s[18:19], s[16:17], exec
	s_or_b64 s[46:47], s[12:13], s[18:19]
	s_andn2_b64 exec, exec, s[44:45]
	s_cbranch_execz .LBB632_1249
.LBB632_1247:                           ; =>This Inner Loop Header: Depth=1
	flat_load_ushort v70, v[18:19]
	flat_load_ushort v71, v[16:17]
	s_andn2_b64 s[54:55], s[16:17], exec
	s_andn2_b64 s[50:51], s[50:51], exec
	s_or_b64 s[48:49], s[48:49], exec
	s_waitcnt vmcnt(0) lgkmcnt(0)
	v_cmp_le_i16_e64 s[16:17], v70, v71
	v_cmp_lt_i16_e64 s[12:13], v70, v71
	s_and_b64 s[16:17], s[16:17], s[52:53]
	s_or_b64 s[56:57], s[12:13], s[16:17]
	s_and_b64 s[12:13], s[56:57], exec
	v_cmp_eq_u16_e64 s[18:19], v70, v71
	s_or_b64 s[16:17], s[54:55], s[12:13]
	s_and_saveexec_b64 s[54:55], s[18:19]
	s_cbranch_execz .LBB632_1246
; %bb.1248:                             ;   in Loop: Header=BB632_1247 Depth=1
	v_lshl_add_u64 v[20:21], v[20:21], 0, -1
	v_cmp_eq_u64_e64 s[12:13], 0, v[20:21]
	s_andn2_b64 s[18:19], s[50:51], exec
	s_and_b64 s[50:51], s[56:57], exec
	s_or_b64 s[50:51], s[18:19], s[50:51]
	s_andn2_b64 s[18:19], s[48:49], exec
	s_and_b64 s[12:13], s[12:13], exec
	v_lshl_add_u64 v[16:17], v[16:17], 0, 2
	v_lshl_add_u64 v[18:19], v[18:19], 0, 2
	s_andn2_b64 s[16:17], s[16:17], exec
	s_or_b64 s[48:49], s[18:19], s[12:13]
                                        ; implicit-def: $sgpr52_sgpr53
	s_branch .LBB632_1246
.LBB632_1249:
	s_or_b64 exec, exec, s[44:45]
	s_xor_b64 s[12:13], s[46:47], -1
	s_orn2_b64 s[12:13], s[12:13], exec
.LBB632_1250:
	s_or_b64 exec, exec, s[42:43]
	s_and_b64 s[16:17], s[12:13], exec
.LBB632_1251:
	s_or_b64 exec, exec, s[28:29]
	s_orn2_b64 s[28:29], s[16:17], exec
.LBB632_1252:
	s_or_b64 exec, exec, s[36:37]
	v_cndmask_b32_e64 v16, v22, v23, s[28:29]
	v_cndmask_b32_e64 v17, v101, v100, s[28:29]
	v_add_u32_e32 v20, 1, v16
	v_add_u32_e32 v16, -1, v17
	v_min_u32_e32 v16, v20, v16
	v_mov_b32_e32 v17, 0
	v_lshl_add_u64 v[18:19], v[16:17], 3, v[66:67]
	flat_load_dwordx2 v[18:19], v[18:19]
	v_cndmask_b32_e64 v70, v20, v22, s[28:29]
	s_mov_b64 s[36:37], -1
	v_cndmask_b32_e64 v71, v23, v20, s[28:29]
	v_cmp_lt_u32_e64 s[12:13], v70, v101
	s_mov_b64 s[42:43], -1
	s_waitcnt vmcnt(0) lgkmcnt(0)
	v_cndmask_b32_e64 v102, v19, v96, s[28:29]
	v_cndmask_b32_e64 v103, v18, v97, s[28:29]
	;; [unrolled: 1-line block ×4, first 2 shown]
	s_and_saveexec_b64 s[44:45], s[12:13]
	s_cbranch_execz .LBB632_1262
; %bb.1253:
	v_cmp_lt_u32_e64 s[12:13], v71, v100
	s_mov_b64 s[16:17], 0
	s_and_saveexec_b64 s[42:43], s[12:13]
	s_cbranch_execz .LBB632_1261
; %bb.1254:
	s_mov_b64 s[12:13], -1
	s_and_saveexec_b64 s[46:47], s[8:9]
	s_cbranch_execz .LBB632_1260
; %bb.1255:
	v_mul_lo_u32 v16, v112, v6
	v_mul_lo_u32 v20, v113, v7
	v_mad_u64_u32 v[18:19], s[12:13], v113, v6, 0
	v_add3_u32 v19, v19, v20, v16
	v_mul_lo_u32 v16, v102, v6
	v_mul_lo_u32 v22, v103, v7
	v_mad_u64_u32 v[20:21], s[12:13], v103, v6, 0
	v_add3_u32 v21, v21, v22, v16
	v_lshl_add_u64 v[18:19], v[18:19], 1, v[8:9]
	v_lshl_add_u64 v[20:21], v[20:21], 1, v[8:9]
	s_mov_b64 s[48:49], 0
	v_mov_b64_e32 v[22:23], v[6:7]
                                        ; implicit-def: $sgpr50_sgpr51
                                        ; implicit-def: $sgpr52_sgpr53
                                        ; implicit-def: $sgpr16_sgpr17
                                        ; implicit-def: $sgpr54_sgpr55
                                        ; implicit-def: $sgpr56_sgpr57
	s_branch .LBB632_1257
.LBB632_1256:                           ;   in Loop: Header=BB632_1257 Depth=1
	s_or_b64 exec, exec, s[58:59]
	s_and_b64 s[12:13], exec, s[52:53]
	s_or_b64 s[48:49], s[12:13], s[48:49]
	s_andn2_b64 s[12:13], s[56:57], exec
	s_and_b64 s[18:19], s[54:55], exec
	s_or_b64 s[56:57], s[12:13], s[18:19]
	s_andn2_b64 s[12:13], s[50:51], exec
	s_and_b64 s[18:19], s[16:17], exec
	s_or_b64 s[50:51], s[12:13], s[18:19]
	s_andn2_b64 exec, exec, s[48:49]
	s_cbranch_execz .LBB632_1259
.LBB632_1257:                           ; =>This Inner Loop Header: Depth=1
	flat_load_ushort v16, v[20:21]
	flat_load_ushort v114, v[18:19]
	s_andn2_b64 s[58:59], s[16:17], exec
	s_andn2_b64 s[54:55], s[54:55], exec
	s_or_b64 s[52:53], s[52:53], exec
	s_waitcnt vmcnt(0) lgkmcnt(0)
	v_cmp_le_i16_e64 s[16:17], v16, v114
	v_cmp_lt_i16_e64 s[12:13], v16, v114
	s_and_b64 s[16:17], s[16:17], s[56:57]
	s_or_b64 s[60:61], s[12:13], s[16:17]
	s_and_b64 s[12:13], s[60:61], exec
	v_cmp_eq_u16_e64 s[18:19], v16, v114
	s_or_b64 s[16:17], s[58:59], s[12:13]
	s_and_saveexec_b64 s[58:59], s[18:19]
	s_cbranch_execz .LBB632_1256
; %bb.1258:                             ;   in Loop: Header=BB632_1257 Depth=1
	v_lshl_add_u64 v[22:23], v[22:23], 0, -1
	v_cmp_eq_u64_e64 s[12:13], 0, v[22:23]
	s_andn2_b64 s[18:19], s[54:55], exec
	s_and_b64 s[54:55], s[60:61], exec
	s_or_b64 s[54:55], s[18:19], s[54:55]
	s_andn2_b64 s[18:19], s[52:53], exec
	s_and_b64 s[12:13], s[12:13], exec
	v_lshl_add_u64 v[18:19], v[18:19], 0, 2
	v_lshl_add_u64 v[20:21], v[20:21], 0, 2
	s_andn2_b64 s[16:17], s[16:17], exec
	s_or_b64 s[52:53], s[18:19], s[12:13]
                                        ; implicit-def: $sgpr56_sgpr57
	s_branch .LBB632_1256
.LBB632_1259:
	s_or_b64 exec, exec, s[48:49]
	s_xor_b64 s[12:13], s[50:51], -1
	s_orn2_b64 s[12:13], s[12:13], exec
.LBB632_1260:
	s_or_b64 exec, exec, s[46:47]
	s_and_b64 s[16:17], s[12:13], exec
.LBB632_1261:
	s_or_b64 exec, exec, s[42:43]
	s_orn2_b64 s[42:43], s[16:17], exec
.LBB632_1262:
	s_or_b64 exec, exec, s[44:45]
	v_cndmask_b32_e64 v16, v70, v71, s[42:43]
	v_cndmask_b32_e64 v18, v101, v100, s[42:43]
	v_add_u32_e32 v19, 1, v16
	v_add_u32_e32 v16, -1, v18
	v_min_u32_e32 v16, v19, v16
	v_lshl_add_u64 v[16:17], v[16:17], 3, v[66:67]
	flat_load_dwordx2 v[16:17], v[16:17]
	v_cndmask_b32_e64 v117, v19, v70, s[42:43]
	v_cndmask_b32_e64 v114, v71, v19, s[42:43]
	v_cmp_lt_u32_e64 s[12:13], v117, v101
	s_waitcnt vmcnt(0) lgkmcnt(0)
	v_cndmask_b32_e64 v115, v17, v102, s[42:43]
	v_cndmask_b32_e64 v116, v16, v103, s[42:43]
	;; [unrolled: 1-line block ×4, first 2 shown]
	s_and_saveexec_b64 s[44:45], s[12:13]
	s_cbranch_execz .LBB632_1272
; %bb.1263:
	v_cmp_lt_u32_e64 s[12:13], v114, v100
	s_mov_b64 s[16:17], 0
	s_and_saveexec_b64 s[36:37], s[12:13]
	s_cbranch_execz .LBB632_1271
; %bb.1264:
	s_mov_b64 s[12:13], -1
	s_and_saveexec_b64 s[46:47], s[8:9]
	s_cbranch_execz .LBB632_1270
; %bb.1265:
	v_mul_lo_u32 v18, v118, v6
	v_mul_lo_u32 v19, v119, v7
	v_mad_u64_u32 v[16:17], s[12:13], v119, v6, 0
	v_add3_u32 v17, v17, v19, v18
	v_mul_lo_u32 v20, v115, v6
	v_mul_lo_u32 v21, v116, v7
	v_mad_u64_u32 v[18:19], s[12:13], v116, v6, 0
	v_add3_u32 v19, v19, v21, v20
	v_lshl_add_u64 v[16:17], v[16:17], 1, v[8:9]
	v_lshl_add_u64 v[18:19], v[18:19], 1, v[8:9]
	s_mov_b64 s[48:49], 0
	v_mov_b64_e32 v[20:21], v[6:7]
                                        ; implicit-def: $sgpr50_sgpr51
                                        ; implicit-def: $sgpr52_sgpr53
                                        ; implicit-def: $sgpr16_sgpr17
                                        ; implicit-def: $sgpr54_sgpr55
                                        ; implicit-def: $sgpr56_sgpr57
	s_branch .LBB632_1267
.LBB632_1266:                           ;   in Loop: Header=BB632_1267 Depth=1
	s_or_b64 exec, exec, s[58:59]
	s_and_b64 s[12:13], exec, s[52:53]
	s_or_b64 s[48:49], s[12:13], s[48:49]
	s_andn2_b64 s[12:13], s[56:57], exec
	s_and_b64 s[18:19], s[54:55], exec
	s_or_b64 s[56:57], s[12:13], s[18:19]
	s_andn2_b64 s[12:13], s[50:51], exec
	s_and_b64 s[18:19], s[16:17], exec
	s_or_b64 s[50:51], s[12:13], s[18:19]
	s_andn2_b64 exec, exec, s[48:49]
	s_cbranch_execz .LBB632_1269
.LBB632_1267:                           ; =>This Inner Loop Header: Depth=1
	flat_load_ushort v22, v[18:19]
	flat_load_ushort v23, v[16:17]
	s_andn2_b64 s[58:59], s[16:17], exec
	s_andn2_b64 s[54:55], s[54:55], exec
	s_or_b64 s[52:53], s[52:53], exec
	s_waitcnt vmcnt(0) lgkmcnt(0)
	v_cmp_le_i16_e64 s[16:17], v22, v23
	v_cmp_lt_i16_e64 s[12:13], v22, v23
	s_and_b64 s[16:17], s[16:17], s[56:57]
	s_or_b64 s[60:61], s[12:13], s[16:17]
	s_and_b64 s[12:13], s[60:61], exec
	v_cmp_eq_u16_e64 s[18:19], v22, v23
	s_or_b64 s[16:17], s[58:59], s[12:13]
	s_and_saveexec_b64 s[58:59], s[18:19]
	s_cbranch_execz .LBB632_1266
; %bb.1268:                             ;   in Loop: Header=BB632_1267 Depth=1
	v_lshl_add_u64 v[20:21], v[20:21], 0, -1
	v_cmp_eq_u64_e64 s[12:13], 0, v[20:21]
	s_andn2_b64 s[18:19], s[54:55], exec
	s_and_b64 s[54:55], s[60:61], exec
	s_or_b64 s[54:55], s[18:19], s[54:55]
	s_andn2_b64 s[18:19], s[52:53], exec
	s_and_b64 s[12:13], s[12:13], exec
	v_lshl_add_u64 v[16:17], v[16:17], 0, 2
	v_lshl_add_u64 v[18:19], v[18:19], 0, 2
	s_andn2_b64 s[16:17], s[16:17], exec
	s_or_b64 s[52:53], s[18:19], s[12:13]
                                        ; implicit-def: $sgpr56_sgpr57
	s_branch .LBB632_1266
.LBB632_1269:
	s_or_b64 exec, exec, s[48:49]
	s_xor_b64 s[12:13], s[50:51], -1
	s_orn2_b64 s[12:13], s[12:13], exec
.LBB632_1270:
	s_or_b64 exec, exec, s[46:47]
	s_and_b64 s[16:17], s[12:13], exec
.LBB632_1271:
	s_or_b64 exec, exec, s[36:37]
	s_orn2_b64 s[36:37], s[16:17], exec
.LBB632_1272:
	s_or_b64 exec, exec, s[44:45]
	v_cndmask_b32_e64 v16, v117, v114, s[36:37]
	v_cndmask_b32_e64 v17, v101, v100, s[36:37]
	v_add_u32_e32 v128, 1, v16
	v_add_u32_e32 v16, -1, v17
	v_min_u32_e32 v16, v128, v16
	v_mov_b32_e32 v17, 0
	v_lshl_add_u64 v[16:17], v[16:17], 3, v[66:67]
	flat_load_dwordx2 v[70:71], v[16:17]
	v_cndmask_b32_e64 v21, v27, v82, s[24:25]
	v_cndmask_b32_e64 v27, v24, v26, s[26:27]
	;; [unrolled: 1-line block ×15, first 2 shown]
	v_cmp_lt_u32_e64 s[12:13], v80, v101
	s_waitcnt vmcnt(0) lgkmcnt(0)
	v_cndmask_b32_e64 v15, v118, v71, s[36:37]
	v_cndmask_b32_e64 v14, v119, v70, s[36:37]
	s_and_saveexec_b64 s[22:23], s[12:13]
	s_cbranch_execz .LBB632_1282
; %bb.1273:
	v_cndmask_b32_e64 v80, v114, v128, s[36:37]
	v_cndmask_b32_e64 v71, v71, v115, s[36:37]
	;; [unrolled: 1-line block ×3, first 2 shown]
	v_cmp_lt_u32_e64 s[12:13], v80, v100
	s_and_saveexec_b64 s[24:25], s[12:13]
	s_cbranch_execz .LBB632_1281
; %bb.1274:
	s_and_saveexec_b64 s[26:27], s[8:9]
	s_cbranch_execz .LBB632_1280
; %bb.1275:
	v_mul_lo_u32 v82, v15, v6
	v_mul_lo_u32 v83, v14, v7
	v_mad_u64_u32 v[80:81], s[12:13], v14, v6, 0
	v_add3_u32 v81, v81, v83, v82
	v_mul_lo_u32 v84, v71, v6
	v_mul_lo_u32 v85, v70, v7
	v_mad_u64_u32 v[82:83], s[12:13], v70, v6, 0
	v_add3_u32 v83, v83, v85, v84
	v_lshl_add_u64 v[80:81], v[80:81], 1, v[8:9]
	v_lshl_add_u64 v[82:83], v[82:83], 1, v[8:9]
	s_mov_b64 s[28:29], 0
	v_mov_b64_e32 v[84:85], v[6:7]
                                        ; implicit-def: $sgpr34_sgpr35
                                        ; implicit-def: $sgpr36_sgpr37
                                        ; implicit-def: $sgpr16_sgpr17
                                        ; implicit-def: $sgpr42_sgpr43
                                        ; implicit-def: $sgpr44_sgpr45
	s_branch .LBB632_1277
.LBB632_1276:                           ;   in Loop: Header=BB632_1277 Depth=1
	s_or_b64 exec, exec, s[46:47]
	s_and_b64 s[12:13], exec, s[36:37]
	s_or_b64 s[28:29], s[12:13], s[28:29]
	s_andn2_b64 s[12:13], s[44:45], exec
	s_and_b64 s[18:19], s[42:43], exec
	s_or_b64 s[44:45], s[12:13], s[18:19]
	s_andn2_b64 s[12:13], s[34:35], exec
	s_and_b64 s[18:19], s[16:17], exec
	s_or_b64 s[34:35], s[12:13], s[18:19]
	s_andn2_b64 exec, exec, s[28:29]
	s_cbranch_execz .LBB632_1279
.LBB632_1277:                           ; =>This Inner Loop Header: Depth=1
	flat_load_ushort v86, v[82:83]
	flat_load_ushort v87, v[80:81]
	s_andn2_b64 s[46:47], s[16:17], exec
	s_andn2_b64 s[42:43], s[42:43], exec
	s_or_b64 s[36:37], s[36:37], exec
	s_waitcnt vmcnt(0) lgkmcnt(0)
	v_cmp_le_i16_e64 s[16:17], v86, v87
	v_cmp_lt_i16_e64 s[12:13], v86, v87
	s_and_b64 s[16:17], s[16:17], s[44:45]
	s_or_b64 s[48:49], s[12:13], s[16:17]
	s_and_b64 s[12:13], s[48:49], exec
	v_cmp_eq_u16_e64 s[18:19], v86, v87
	s_or_b64 s[16:17], s[46:47], s[12:13]
	s_and_saveexec_b64 s[46:47], s[18:19]
	s_cbranch_execz .LBB632_1276
; %bb.1278:                             ;   in Loop: Header=BB632_1277 Depth=1
	v_lshl_add_u64 v[84:85], v[84:85], 0, -1
	v_cmp_eq_u64_e64 s[12:13], 0, v[84:85]
	s_andn2_b64 s[18:19], s[42:43], exec
	s_and_b64 s[42:43], s[48:49], exec
	s_or_b64 s[42:43], s[18:19], s[42:43]
	s_andn2_b64 s[18:19], s[36:37], exec
	s_and_b64 s[12:13], s[12:13], exec
	v_lshl_add_u64 v[80:81], v[80:81], 0, 2
	v_lshl_add_u64 v[82:83], v[82:83], 0, 2
	s_andn2_b64 s[16:17], s[16:17], exec
	s_or_b64 s[36:37], s[18:19], s[12:13]
                                        ; implicit-def: $sgpr44_sgpr45
	s_branch .LBB632_1276
.LBB632_1279:
	s_or_b64 exec, exec, s[28:29]
	v_cndmask_b32_e64 v15, v15, v71, s[34:35]
	v_cndmask_b32_e64 v14, v14, v70, s[34:35]
.LBB632_1280:
	s_or_b64 exec, exec, s[26:27]
	v_mov_b64_e32 v[70:71], v[14:15]
.LBB632_1281:
	s_or_b64 exec, exec, s[24:25]
	v_mov_b64_e32 v[14:15], v[70:71]
.LBB632_1282:
	s_or_b64 exec, exec, s[22:23]
.LBB632_1283:
	s_or_b64 exec, exec, s[20:21]
	v_and_b32_e32 v100, 0x380, v31
	; wave barrier
	flat_store_dwordx4 v[68:69], v[24:27]
	flat_store_dwordx4 v[68:69], v[20:23] offset:16
	flat_store_dwordx4 v[68:69], v[16:19] offset:32
	;; [unrolled: 1-line block ×3, first 2 shown]
	v_or_b32_e32 v68, 64, v100
	v_min_u32_e32 v98, v1, v68
	v_add_u32_e32 v68, 64, v98
	v_min_u32_e32 v99, v1, v68
	v_and_b32_e32 v31, 0x78, v31
	v_min_u32_e32 v1, v1, v31
	v_sub_u32_e32 v68, v98, v100
	v_sub_u32_e32 v31, v99, v98
	v_sub_u32_e64 v31, v1, v31 clamp
	v_min_u32_e32 v101, v1, v68
	v_cmp_lt_u32_e64 s[12:13], v31, v101
	; wave barrier
	s_and_saveexec_b64 s[20:21], s[12:13]
	s_cbranch_execz .LBB632_1293
; %bb.1284:
	v_lshlrev_b32_e32 v68, 3, v100
	v_mov_b32_e32 v69, 0
	v_lshl_add_u64 v[70:71], v[66:67], 0, v[68:69]
	v_lshlrev_b32_e32 v68, 3, v98
	v_lshl_add_u64 v[80:81], v[66:67], 0, v[68:69]
	s_mov_b64 s[22:23], 0
	s_branch .LBB632_1287
.LBB632_1285:                           ;   in Loop: Header=BB632_1287 Depth=1
	s_or_b64 exec, exec, s[26:27]
	s_and_b64 s[12:13], s[28:29], exec
.LBB632_1286:                           ;   in Loop: Header=BB632_1287 Depth=1
	s_or_b64 exec, exec, s[24:25]
	v_add_u32_e32 v68, 1, v82
	v_cndmask_b32_e64 v101, v101, v82, s[12:13]
	v_cndmask_b32_e64 v31, v68, v31, s[12:13]
	v_cmp_ge_u32_e64 s[12:13], v31, v101
	s_or_b64 s[22:23], s[12:13], s[22:23]
	s_andn2_b64 exec, exec, s[22:23]
	s_cbranch_execz .LBB632_1292
.LBB632_1287:                           ; =>This Loop Header: Depth=1
                                        ;     Child Loop BB632_1290 Depth 2
	v_add_u32_e32 v68, v101, v31
	v_lshrrev_b32_e32 v82, 1, v68
	s_mov_b64 s[12:13], 0
	s_and_saveexec_b64 s[24:25], s[8:9]
	s_cbranch_execz .LBB632_1286
; %bb.1288:                             ;   in Loop: Header=BB632_1287 Depth=1
	v_mov_b32_e32 v83, v69
	v_xad_u32 v68, v82, -1, v1
	v_lshl_add_u64 v[84:85], v[82:83], 3, v[70:71]
	v_lshl_add_u64 v[86:87], v[68:69], 3, v[80:81]
	flat_load_dwordx2 v[84:85], v[84:85]
	s_mov_b64 s[26:27], 0
	flat_load_dwordx2 v[86:87], v[86:87]
                                        ; implicit-def: $sgpr28_sgpr29
                                        ; implicit-def: $sgpr34_sgpr35
                                        ; implicit-def: $sgpr36_sgpr37
                                        ; implicit-def: $sgpr16_sgpr17
                                        ; implicit-def: $sgpr42_sgpr43
	s_waitcnt vmcnt(0) lgkmcnt(0)
	v_mul_lo_u32 v68, v64, v85
	v_mul_lo_u32 v83, v65, v84
	v_mad_u64_u32 v[84:85], s[12:13], v64, v84, v[8:9]
	v_mul_lo_u32 v96, v64, v87
	v_mul_lo_u32 v97, v65, v86
	v_mad_u64_u32 v[86:87], s[12:13], v64, v86, v[8:9]
	v_add3_u32 v85, v83, v85, v68
	v_add3_u32 v87, v97, v87, v96
	v_mov_b64_e32 v[96:97], v[6:7]
	s_branch .LBB632_1290
.LBB632_1289:                           ;   in Loop: Header=BB632_1290 Depth=2
	s_or_b64 exec, exec, s[44:45]
	s_and_b64 s[12:13], exec, s[34:35]
	s_or_b64 s[26:27], s[12:13], s[26:27]
	s_andn2_b64 s[12:13], s[42:43], exec
	s_and_b64 s[18:19], s[36:37], exec
	s_or_b64 s[42:43], s[12:13], s[18:19]
	s_andn2_b64 s[12:13], s[28:29], exec
	s_and_b64 s[18:19], s[16:17], exec
	s_or_b64 s[28:29], s[12:13], s[18:19]
	s_andn2_b64 exec, exec, s[26:27]
	s_cbranch_execz .LBB632_1285
.LBB632_1290:                           ;   Parent Loop BB632_1287 Depth=1
                                        ; =>  This Inner Loop Header: Depth=2
	flat_load_ushort v68, v[86:87]
	flat_load_ushort v83, v[84:85]
	s_andn2_b64 s[44:45], s[16:17], exec
	s_andn2_b64 s[36:37], s[36:37], exec
	s_or_b64 s[34:35], s[34:35], exec
	s_waitcnt vmcnt(0) lgkmcnt(0)
	v_cmp_le_i16_e64 s[16:17], v68, v83
	v_cmp_lt_i16_e64 s[12:13], v68, v83
	s_and_b64 s[16:17], s[16:17], s[42:43]
	s_or_b64 s[46:47], s[12:13], s[16:17]
	s_and_b64 s[12:13], s[46:47], exec
	v_cmp_eq_u16_e64 s[18:19], v68, v83
	s_or_b64 s[16:17], s[44:45], s[12:13]
	s_and_saveexec_b64 s[44:45], s[18:19]
	s_cbranch_execz .LBB632_1289
; %bb.1291:                             ;   in Loop: Header=BB632_1290 Depth=2
	v_lshl_add_u64 v[96:97], v[96:97], 0, -1
	v_cmp_eq_u64_e64 s[12:13], 0, v[96:97]
	s_andn2_b64 s[18:19], s[36:37], exec
	s_and_b64 s[36:37], s[46:47], exec
	s_or_b64 s[36:37], s[18:19], s[36:37]
	s_andn2_b64 s[18:19], s[34:35], exec
	s_and_b64 s[12:13], s[12:13], exec
	v_lshl_add_u64 v[84:85], v[84:85], 0, 2
	v_lshl_add_u64 v[86:87], v[86:87], 0, 2
	s_andn2_b64 s[16:17], s[16:17], exec
	s_or_b64 s[34:35], s[18:19], s[12:13]
                                        ; implicit-def: $sgpr42_sgpr43
	s_branch .LBB632_1289
.LBB632_1292:
	s_or_b64 exec, exec, s[22:23]
.LBB632_1293:
	s_or_b64 exec, exec, s[20:21]
	v_add_u32_e32 v1, v98, v1
	v_add_u32_e32 v68, v31, v100
	v_sub_u32_e32 v70, v1, v31
	v_cmp_le_u32_e64 s[12:13], v68, v98
	v_cmp_le_u32_e64 s[16:17], v70, v99
	s_or_b64 s[12:13], s[12:13], s[16:17]
	s_and_saveexec_b64 s[20:21], s[12:13]
	s_cbranch_execz .LBB632_1377
; %bb.1294:
	v_cmp_ge_u32_e64 s[16:17], v68, v98
	v_cmp_lt_u32_e64 s[12:13], v68, v98
                                        ; implicit-def: $vgpr12_vgpr13
	s_and_saveexec_b64 s[18:19], s[12:13]
	s_cbranch_execz .LBB632_1296
; %bb.1295:
	v_mov_b32_e32 v69, 0
	v_lshl_add_u64 v[12:13], v[68:69], 3, v[66:67]
	flat_load_dwordx2 v[12:13], v[12:13]
.LBB632_1296:
	s_or_b64 exec, exec, s[18:19]
	v_cmp_ge_u32_e64 s[22:23], v70, v99
	v_cmp_lt_u32_e64 s[12:13], v70, v99
                                        ; implicit-def: $vgpr14_vgpr15
	s_and_saveexec_b64 s[18:19], s[12:13]
	s_cbranch_execz .LBB632_1298
; %bb.1297:
	v_mov_b32_e32 v71, 0
	v_lshl_add_u64 v[14:15], v[70:71], 3, v[66:67]
	flat_load_dwordx2 v[14:15], v[14:15]
.LBB632_1298:
	s_or_b64 exec, exec, s[18:19]
	s_or_b64 s[12:13], s[16:17], s[22:23]
	s_xor_b64 s[12:13], s[12:13], -1
	s_and_saveexec_b64 s[24:25], s[12:13]
	s_cbranch_execz .LBB632_1306
; %bb.1299:
	s_mov_b64 s[12:13], 0
	s_and_saveexec_b64 s[26:27], s[8:9]
	s_cbranch_execz .LBB632_1305
; %bb.1300:
	s_waitcnt vmcnt(0) lgkmcnt(0)
	v_mul_lo_u32 v1, v13, v6
	v_mul_lo_u32 v18, v12, v7
	v_mad_u64_u32 v[16:17], s[12:13], v12, v6, 0
	v_add3_u32 v17, v17, v18, v1
	v_mul_lo_u32 v1, v15, v6
	v_mul_lo_u32 v20, v14, v7
	v_mad_u64_u32 v[18:19], s[12:13], v14, v6, 0
	v_add3_u32 v19, v19, v20, v1
	v_lshl_add_u64 v[16:17], v[16:17], 1, v[8:9]
	v_lshl_add_u64 v[18:19], v[18:19], 1, v[8:9]
	s_mov_b64 s[28:29], 0
	v_mov_b64_e32 v[20:21], v[6:7]
                                        ; implicit-def: $sgpr34_sgpr35
                                        ; implicit-def: $sgpr36_sgpr37
                                        ; implicit-def: $sgpr42_sgpr43
                                        ; implicit-def: $sgpr16_sgpr17
                                        ; implicit-def: $sgpr44_sgpr45
	s_branch .LBB632_1302
.LBB632_1301:                           ;   in Loop: Header=BB632_1302 Depth=1
	s_or_b64 exec, exec, s[46:47]
	s_and_b64 s[12:13], exec, s[36:37]
	s_or_b64 s[28:29], s[12:13], s[28:29]
	s_andn2_b64 s[12:13], s[44:45], exec
	s_and_b64 s[18:19], s[42:43], exec
	s_or_b64 s[44:45], s[12:13], s[18:19]
	s_andn2_b64 s[12:13], s[34:35], exec
	s_and_b64 s[18:19], s[16:17], exec
	s_or_b64 s[34:35], s[12:13], s[18:19]
	s_andn2_b64 exec, exec, s[28:29]
	s_cbranch_execz .LBB632_1304
.LBB632_1302:                           ; =>This Inner Loop Header: Depth=1
	flat_load_ushort v1, v[18:19]
	flat_load_ushort v22, v[16:17]
	s_andn2_b64 s[46:47], s[16:17], exec
	s_andn2_b64 s[42:43], s[42:43], exec
	s_or_b64 s[36:37], s[36:37], exec
	s_waitcnt vmcnt(0) lgkmcnt(0)
	v_cmp_le_i16_e64 s[16:17], v1, v22
	v_cmp_lt_i16_e64 s[12:13], v1, v22
	s_and_b64 s[16:17], s[16:17], s[44:45]
	s_or_b64 s[48:49], s[12:13], s[16:17]
	s_and_b64 s[12:13], s[48:49], exec
	v_cmp_eq_u16_e64 s[18:19], v1, v22
	s_or_b64 s[16:17], s[46:47], s[12:13]
	s_and_saveexec_b64 s[46:47], s[18:19]
	s_cbranch_execz .LBB632_1301
; %bb.1303:                             ;   in Loop: Header=BB632_1302 Depth=1
	v_lshl_add_u64 v[20:21], v[20:21], 0, -1
	v_cmp_eq_u64_e64 s[12:13], 0, v[20:21]
	s_andn2_b64 s[18:19], s[42:43], exec
	s_and_b64 s[42:43], s[48:49], exec
	s_or_b64 s[42:43], s[18:19], s[42:43]
	s_andn2_b64 s[18:19], s[36:37], exec
	s_and_b64 s[12:13], s[12:13], exec
	v_lshl_add_u64 v[16:17], v[16:17], 0, 2
	v_lshl_add_u64 v[18:19], v[18:19], 0, 2
	s_andn2_b64 s[16:17], s[16:17], exec
	s_or_b64 s[36:37], s[18:19], s[12:13]
                                        ; implicit-def: $sgpr44_sgpr45
	s_branch .LBB632_1301
.LBB632_1304:
	s_or_b64 exec, exec, s[28:29]
	s_and_b64 s[12:13], s[34:35], exec
.LBB632_1305:
	s_or_b64 exec, exec, s[26:27]
	s_xor_b64 s[12:13], s[12:13], -1
	s_andn2_b64 s[16:17], s[22:23], exec
	s_and_b64 s[12:13], s[12:13], exec
	s_or_b64 s[22:23], s[16:17], s[12:13]
.LBB632_1306:
	s_or_b64 exec, exec, s[24:25]
	v_cndmask_b32_e64 v1, v70, v68, s[22:23]
	v_cndmask_b32_e64 v16, v99, v98, s[22:23]
	v_add_u32_e32 v1, 1, v1
	v_add_u32_e32 v16, -1, v16
	v_min_u32_e32 v16, v1, v16
	v_mov_b32_e32 v17, 0
	v_lshl_add_u64 v[18:19], v[16:17], 3, v[66:67]
	flat_load_dwordx2 v[18:19], v[18:19]
	v_cndmask_b32_e64 v27, v1, v70, s[22:23]
	s_mov_b64 s[24:25], -1
	v_cndmask_b32_e64 v31, v68, v1, s[22:23]
	v_cmp_lt_u32_e64 s[12:13], v27, v99
	s_mov_b64 s[26:27], -1
	s_waitcnt vmcnt(0) lgkmcnt(0)
	v_cndmask_b32_e64 v1, v19, v15, s[22:23]
	v_cndmask_b32_e64 v24, v18, v14, s[22:23]
	v_cndmask_b32_e64 v25, v13, v19, s[22:23]
	v_cndmask_b32_e64 v26, v12, v18, s[22:23]
	s_and_saveexec_b64 s[28:29], s[12:13]
	s_cbranch_execz .LBB632_1316
; %bb.1307:
	v_cmp_lt_u32_e64 s[12:13], v31, v98
	s_mov_b64 s[16:17], 0
	s_and_saveexec_b64 s[26:27], s[12:13]
	s_cbranch_execz .LBB632_1315
; %bb.1308:
	s_mov_b64 s[12:13], 0
	s_and_saveexec_b64 s[34:35], s[8:9]
	s_cbranch_execz .LBB632_1314
; %bb.1309:
	v_mul_lo_u32 v16, v25, v6
	v_mul_lo_u32 v20, v26, v7
	v_mad_u64_u32 v[18:19], s[12:13], v26, v6, 0
	v_add3_u32 v19, v19, v20, v16
	v_mul_lo_u32 v16, v1, v6
	v_mul_lo_u32 v22, v24, v7
	v_mad_u64_u32 v[20:21], s[12:13], v24, v6, 0
	v_add3_u32 v21, v21, v22, v16
	v_lshl_add_u64 v[18:19], v[18:19], 1, v[8:9]
	v_lshl_add_u64 v[20:21], v[20:21], 1, v[8:9]
	s_mov_b64 s[36:37], 0
	v_mov_b64_e32 v[22:23], v[6:7]
                                        ; implicit-def: $sgpr42_sgpr43
                                        ; implicit-def: $sgpr44_sgpr45
                                        ; implicit-def: $sgpr46_sgpr47
                                        ; implicit-def: $sgpr16_sgpr17
                                        ; implicit-def: $sgpr48_sgpr49
	s_branch .LBB632_1311
.LBB632_1310:                           ;   in Loop: Header=BB632_1311 Depth=1
	s_or_b64 exec, exec, s[50:51]
	s_and_b64 s[12:13], exec, s[44:45]
	s_or_b64 s[36:37], s[12:13], s[36:37]
	s_andn2_b64 s[12:13], s[48:49], exec
	s_and_b64 s[18:19], s[46:47], exec
	s_or_b64 s[48:49], s[12:13], s[18:19]
	s_andn2_b64 s[12:13], s[42:43], exec
	s_and_b64 s[18:19], s[16:17], exec
	s_or_b64 s[42:43], s[12:13], s[18:19]
	s_andn2_b64 exec, exec, s[36:37]
	s_cbranch_execz .LBB632_1313
.LBB632_1311:                           ; =>This Inner Loop Header: Depth=1
	flat_load_ushort v16, v[20:21]
	flat_load_ushort v68, v[18:19]
	s_andn2_b64 s[50:51], s[16:17], exec
	s_andn2_b64 s[46:47], s[46:47], exec
	s_or_b64 s[44:45], s[44:45], exec
	s_waitcnt vmcnt(0) lgkmcnt(0)
	v_cmp_le_i16_e64 s[16:17], v16, v68
	v_cmp_lt_i16_e64 s[12:13], v16, v68
	s_and_b64 s[16:17], s[16:17], s[48:49]
	s_or_b64 s[52:53], s[12:13], s[16:17]
	s_and_b64 s[12:13], s[52:53], exec
	v_cmp_eq_u16_e64 s[18:19], v16, v68
	s_or_b64 s[16:17], s[50:51], s[12:13]
	s_and_saveexec_b64 s[50:51], s[18:19]
	s_cbranch_execz .LBB632_1310
; %bb.1312:                             ;   in Loop: Header=BB632_1311 Depth=1
	v_lshl_add_u64 v[22:23], v[22:23], 0, -1
	v_cmp_eq_u64_e64 s[12:13], 0, v[22:23]
	s_andn2_b64 s[18:19], s[46:47], exec
	s_and_b64 s[46:47], s[52:53], exec
	s_or_b64 s[46:47], s[18:19], s[46:47]
	s_andn2_b64 s[18:19], s[44:45], exec
	s_and_b64 s[12:13], s[12:13], exec
	v_lshl_add_u64 v[18:19], v[18:19], 0, 2
	v_lshl_add_u64 v[20:21], v[20:21], 0, 2
	s_andn2_b64 s[16:17], s[16:17], exec
	s_or_b64 s[44:45], s[18:19], s[12:13]
                                        ; implicit-def: $sgpr48_sgpr49
	s_branch .LBB632_1310
.LBB632_1313:
	s_or_b64 exec, exec, s[36:37]
	s_and_b64 s[12:13], s[42:43], exec
.LBB632_1314:
	s_or_b64 exec, exec, s[34:35]
	s_xor_b64 s[12:13], s[12:13], -1
	s_and_b64 s[16:17], s[12:13], exec
.LBB632_1315:
	s_or_b64 exec, exec, s[26:27]
	s_orn2_b64 s[26:27], s[16:17], exec
.LBB632_1316:
	s_or_b64 exec, exec, s[28:29]
	v_cndmask_b32_e64 v16, v27, v31, s[26:27]
	v_cndmask_b32_e64 v18, v99, v98, s[26:27]
	v_add_u32_e32 v19, 1, v16
	v_add_u32_e32 v16, -1, v18
	v_min_u32_e32 v16, v19, v16
	v_lshl_add_u64 v[16:17], v[16:17], 3, v[66:67]
	flat_load_dwordx2 v[16:17], v[16:17]
	v_cndmask_b32_e64 v22, v19, v27, s[26:27]
	v_cndmask_b32_e64 v23, v31, v19, s[26:27]
	v_cmp_lt_u32_e64 s[12:13], v22, v99
	s_waitcnt vmcnt(0) lgkmcnt(0)
	v_cndmask_b32_e64 v27, v17, v1, s[26:27]
	v_cndmask_b32_e64 v31, v16, v24, s[26:27]
	v_cndmask_b32_e64 v68, v25, v17, s[26:27]
	v_cndmask_b32_e64 v69, v26, v16, s[26:27]
	s_and_saveexec_b64 s[28:29], s[12:13]
	s_cbranch_execz .LBB632_1326
; %bb.1317:
	v_cmp_lt_u32_e64 s[12:13], v23, v98
	s_mov_b64 s[16:17], 0
	s_and_saveexec_b64 s[24:25], s[12:13]
	s_cbranch_execz .LBB632_1325
; %bb.1318:
	s_mov_b64 s[12:13], 0
	s_and_saveexec_b64 s[34:35], s[8:9]
	s_cbranch_execz .LBB632_1324
; %bb.1319:
	v_mul_lo_u32 v18, v68, v6
	v_mul_lo_u32 v19, v69, v7
	v_mad_u64_u32 v[16:17], s[12:13], v69, v6, 0
	v_add3_u32 v17, v17, v19, v18
	v_mul_lo_u32 v20, v27, v6
	v_mul_lo_u32 v21, v31, v7
	v_mad_u64_u32 v[18:19], s[12:13], v31, v6, 0
	v_add3_u32 v19, v19, v21, v20
	v_lshl_add_u64 v[16:17], v[16:17], 1, v[8:9]
	v_lshl_add_u64 v[18:19], v[18:19], 1, v[8:9]
	s_mov_b64 s[36:37], 0
	v_mov_b64_e32 v[20:21], v[6:7]
                                        ; implicit-def: $sgpr42_sgpr43
                                        ; implicit-def: $sgpr44_sgpr45
                                        ; implicit-def: $sgpr46_sgpr47
                                        ; implicit-def: $sgpr16_sgpr17
                                        ; implicit-def: $sgpr48_sgpr49
	s_branch .LBB632_1321
.LBB632_1320:                           ;   in Loop: Header=BB632_1321 Depth=1
	s_or_b64 exec, exec, s[50:51]
	s_and_b64 s[12:13], exec, s[44:45]
	s_or_b64 s[36:37], s[12:13], s[36:37]
	s_andn2_b64 s[12:13], s[48:49], exec
	s_and_b64 s[18:19], s[46:47], exec
	s_or_b64 s[48:49], s[12:13], s[18:19]
	s_andn2_b64 s[12:13], s[42:43], exec
	s_and_b64 s[18:19], s[16:17], exec
	s_or_b64 s[42:43], s[12:13], s[18:19]
	s_andn2_b64 exec, exec, s[36:37]
	s_cbranch_execz .LBB632_1323
.LBB632_1321:                           ; =>This Inner Loop Header: Depth=1
	flat_load_ushort v70, v[18:19]
	flat_load_ushort v71, v[16:17]
	s_andn2_b64 s[50:51], s[16:17], exec
	s_andn2_b64 s[46:47], s[46:47], exec
	s_or_b64 s[44:45], s[44:45], exec
	s_waitcnt vmcnt(0) lgkmcnt(0)
	v_cmp_le_i16_e64 s[16:17], v70, v71
	v_cmp_lt_i16_e64 s[12:13], v70, v71
	s_and_b64 s[16:17], s[16:17], s[48:49]
	s_or_b64 s[52:53], s[12:13], s[16:17]
	s_and_b64 s[12:13], s[52:53], exec
	v_cmp_eq_u16_e64 s[18:19], v70, v71
	s_or_b64 s[16:17], s[50:51], s[12:13]
	s_and_saveexec_b64 s[50:51], s[18:19]
	s_cbranch_execz .LBB632_1320
; %bb.1322:                             ;   in Loop: Header=BB632_1321 Depth=1
	v_lshl_add_u64 v[20:21], v[20:21], 0, -1
	v_cmp_eq_u64_e64 s[12:13], 0, v[20:21]
	s_andn2_b64 s[18:19], s[46:47], exec
	s_and_b64 s[46:47], s[52:53], exec
	s_or_b64 s[46:47], s[18:19], s[46:47]
	s_andn2_b64 s[18:19], s[44:45], exec
	s_and_b64 s[12:13], s[12:13], exec
	v_lshl_add_u64 v[16:17], v[16:17], 0, 2
	v_lshl_add_u64 v[18:19], v[18:19], 0, 2
	s_andn2_b64 s[16:17], s[16:17], exec
	s_or_b64 s[44:45], s[18:19], s[12:13]
                                        ; implicit-def: $sgpr48_sgpr49
	s_branch .LBB632_1320
.LBB632_1323:
	s_or_b64 exec, exec, s[36:37]
	s_and_b64 s[12:13], s[42:43], exec
.LBB632_1324:
	s_or_b64 exec, exec, s[34:35]
	s_xor_b64 s[12:13], s[12:13], -1
	s_and_b64 s[16:17], s[12:13], exec
.LBB632_1325:
	s_or_b64 exec, exec, s[24:25]
	s_orn2_b64 s[24:25], s[16:17], exec
.LBB632_1326:
	s_or_b64 exec, exec, s[28:29]
	v_cndmask_b32_e64 v16, v22, v23, s[24:25]
	v_cndmask_b32_e64 v17, v99, v98, s[24:25]
	v_add_u32_e32 v20, 1, v16
	v_add_u32_e32 v16, -1, v17
	v_min_u32_e32 v16, v20, v16
	v_mov_b32_e32 v17, 0
	v_lshl_add_u64 v[18:19], v[16:17], 3, v[66:67]
	flat_load_dwordx2 v[18:19], v[18:19]
	v_cndmask_b32_e64 v82, v20, v22, s[24:25]
	s_mov_b64 s[28:29], -1
	v_cndmask_b32_e64 v83, v23, v20, s[24:25]
	v_cmp_lt_u32_e64 s[12:13], v82, v99
	s_mov_b64 s[34:35], -1
	s_waitcnt vmcnt(0) lgkmcnt(0)
	v_cndmask_b32_e64 v70, v19, v27, s[24:25]
	v_cndmask_b32_e64 v71, v18, v31, s[24:25]
	v_cndmask_b32_e64 v80, v68, v19, s[24:25]
	v_cndmask_b32_e64 v81, v69, v18, s[24:25]
	s_and_saveexec_b64 s[36:37], s[12:13]
	s_cbranch_execz .LBB632_1336
; %bb.1327:
	v_cmp_lt_u32_e64 s[12:13], v83, v98
	s_mov_b64 s[16:17], 0
	s_and_saveexec_b64 s[34:35], s[12:13]
	s_cbranch_execz .LBB632_1335
; %bb.1328:
	s_mov_b64 s[12:13], -1
	s_and_saveexec_b64 s[42:43], s[8:9]
	s_cbranch_execz .LBB632_1334
; %bb.1329:
	v_mul_lo_u32 v16, v80, v6
	v_mul_lo_u32 v20, v81, v7
	v_mad_u64_u32 v[18:19], s[12:13], v81, v6, 0
	v_add3_u32 v19, v19, v20, v16
	v_mul_lo_u32 v16, v70, v6
	v_mul_lo_u32 v22, v71, v7
	v_mad_u64_u32 v[20:21], s[12:13], v71, v6, 0
	v_add3_u32 v21, v21, v22, v16
	v_lshl_add_u64 v[18:19], v[18:19], 1, v[8:9]
	v_lshl_add_u64 v[20:21], v[20:21], 1, v[8:9]
	s_mov_b64 s[44:45], 0
	v_mov_b64_e32 v[22:23], v[6:7]
                                        ; implicit-def: $sgpr46_sgpr47
                                        ; implicit-def: $sgpr48_sgpr49
                                        ; implicit-def: $sgpr16_sgpr17
                                        ; implicit-def: $sgpr50_sgpr51
                                        ; implicit-def: $sgpr52_sgpr53
	s_branch .LBB632_1331
.LBB632_1330:                           ;   in Loop: Header=BB632_1331 Depth=1
	s_or_b64 exec, exec, s[54:55]
	s_and_b64 s[12:13], exec, s[48:49]
	s_or_b64 s[44:45], s[12:13], s[44:45]
	s_andn2_b64 s[12:13], s[52:53], exec
	s_and_b64 s[18:19], s[50:51], exec
	s_or_b64 s[52:53], s[12:13], s[18:19]
	s_andn2_b64 s[12:13], s[46:47], exec
	s_and_b64 s[18:19], s[16:17], exec
	s_or_b64 s[46:47], s[12:13], s[18:19]
	s_andn2_b64 exec, exec, s[44:45]
	s_cbranch_execz .LBB632_1333
.LBB632_1331:                           ; =>This Inner Loop Header: Depth=1
	flat_load_ushort v16, v[20:21]
	flat_load_ushort v84, v[18:19]
	s_andn2_b64 s[54:55], s[16:17], exec
	s_andn2_b64 s[50:51], s[50:51], exec
	s_or_b64 s[48:49], s[48:49], exec
	s_waitcnt vmcnt(0) lgkmcnt(0)
	v_cmp_le_i16_e64 s[16:17], v16, v84
	v_cmp_lt_i16_e64 s[12:13], v16, v84
	s_and_b64 s[16:17], s[16:17], s[52:53]
	s_or_b64 s[56:57], s[12:13], s[16:17]
	s_and_b64 s[12:13], s[56:57], exec
	v_cmp_eq_u16_e64 s[18:19], v16, v84
	s_or_b64 s[16:17], s[54:55], s[12:13]
	s_and_saveexec_b64 s[54:55], s[18:19]
	s_cbranch_execz .LBB632_1330
; %bb.1332:                             ;   in Loop: Header=BB632_1331 Depth=1
	v_lshl_add_u64 v[22:23], v[22:23], 0, -1
	v_cmp_eq_u64_e64 s[12:13], 0, v[22:23]
	s_andn2_b64 s[18:19], s[50:51], exec
	s_and_b64 s[50:51], s[56:57], exec
	s_or_b64 s[50:51], s[18:19], s[50:51]
	s_andn2_b64 s[18:19], s[48:49], exec
	s_and_b64 s[12:13], s[12:13], exec
	v_lshl_add_u64 v[18:19], v[18:19], 0, 2
	v_lshl_add_u64 v[20:21], v[20:21], 0, 2
	s_andn2_b64 s[16:17], s[16:17], exec
	s_or_b64 s[48:49], s[18:19], s[12:13]
                                        ; implicit-def: $sgpr52_sgpr53
	s_branch .LBB632_1330
.LBB632_1333:
	s_or_b64 exec, exec, s[44:45]
	s_xor_b64 s[12:13], s[46:47], -1
	s_orn2_b64 s[12:13], s[12:13], exec
.LBB632_1334:
	s_or_b64 exec, exec, s[42:43]
	s_and_b64 s[16:17], s[12:13], exec
.LBB632_1335:
	s_or_b64 exec, exec, s[34:35]
	s_orn2_b64 s[34:35], s[16:17], exec
.LBB632_1336:
	s_or_b64 exec, exec, s[36:37]
	v_cndmask_b32_e64 v16, v82, v83, s[34:35]
	v_cndmask_b32_e64 v18, v99, v98, s[34:35]
	v_add_u32_e32 v19, 1, v16
	v_add_u32_e32 v16, -1, v18
	v_min_u32_e32 v16, v19, v16
	v_lshl_add_u64 v[16:17], v[16:17], 3, v[66:67]
	flat_load_dwordx2 v[16:17], v[16:17]
	v_cndmask_b32_e64 v22, v19, v82, s[34:35]
	v_cndmask_b32_e64 v23, v83, v19, s[34:35]
	v_cmp_lt_u32_e64 s[12:13], v22, v99
	s_waitcnt vmcnt(0) lgkmcnt(0)
	v_cndmask_b32_e64 v82, v17, v70, s[34:35]
	v_cndmask_b32_e64 v83, v16, v71, s[34:35]
	;; [unrolled: 1-line block ×4, first 2 shown]
	s_and_saveexec_b64 s[36:37], s[12:13]
	s_cbranch_execz .LBB632_1346
; %bb.1337:
	v_cmp_lt_u32_e64 s[12:13], v23, v98
	s_mov_b64 s[16:17], 0
	s_and_saveexec_b64 s[28:29], s[12:13]
	s_cbranch_execz .LBB632_1345
; %bb.1338:
	s_mov_b64 s[12:13], -1
	s_and_saveexec_b64 s[42:43], s[8:9]
	s_cbranch_execz .LBB632_1344
; %bb.1339:
	v_mul_lo_u32 v18, v84, v6
	v_mul_lo_u32 v19, v85, v7
	v_mad_u64_u32 v[16:17], s[12:13], v85, v6, 0
	v_add3_u32 v17, v17, v19, v18
	v_mul_lo_u32 v20, v82, v6
	v_mul_lo_u32 v21, v83, v7
	v_mad_u64_u32 v[18:19], s[12:13], v83, v6, 0
	v_add3_u32 v19, v19, v21, v20
	v_lshl_add_u64 v[16:17], v[16:17], 1, v[8:9]
	v_lshl_add_u64 v[18:19], v[18:19], 1, v[8:9]
	s_mov_b64 s[44:45], 0
	v_mov_b64_e32 v[20:21], v[6:7]
                                        ; implicit-def: $sgpr46_sgpr47
                                        ; implicit-def: $sgpr48_sgpr49
                                        ; implicit-def: $sgpr16_sgpr17
                                        ; implicit-def: $sgpr50_sgpr51
                                        ; implicit-def: $sgpr52_sgpr53
	s_branch .LBB632_1341
.LBB632_1340:                           ;   in Loop: Header=BB632_1341 Depth=1
	s_or_b64 exec, exec, s[54:55]
	s_and_b64 s[12:13], exec, s[48:49]
	s_or_b64 s[44:45], s[12:13], s[44:45]
	s_andn2_b64 s[12:13], s[52:53], exec
	s_and_b64 s[18:19], s[50:51], exec
	s_or_b64 s[52:53], s[12:13], s[18:19]
	s_andn2_b64 s[12:13], s[46:47], exec
	s_and_b64 s[18:19], s[16:17], exec
	s_or_b64 s[46:47], s[12:13], s[18:19]
	s_andn2_b64 exec, exec, s[44:45]
	s_cbranch_execz .LBB632_1343
.LBB632_1341:                           ; =>This Inner Loop Header: Depth=1
	flat_load_ushort v86, v[18:19]
	flat_load_ushort v87, v[16:17]
	s_andn2_b64 s[54:55], s[16:17], exec
	s_andn2_b64 s[50:51], s[50:51], exec
	s_or_b64 s[48:49], s[48:49], exec
	s_waitcnt vmcnt(0) lgkmcnt(0)
	v_cmp_le_i16_e64 s[16:17], v86, v87
	v_cmp_lt_i16_e64 s[12:13], v86, v87
	s_and_b64 s[16:17], s[16:17], s[52:53]
	s_or_b64 s[56:57], s[12:13], s[16:17]
	s_and_b64 s[12:13], s[56:57], exec
	v_cmp_eq_u16_e64 s[18:19], v86, v87
	s_or_b64 s[16:17], s[54:55], s[12:13]
	s_and_saveexec_b64 s[54:55], s[18:19]
	s_cbranch_execz .LBB632_1340
; %bb.1342:                             ;   in Loop: Header=BB632_1341 Depth=1
	v_lshl_add_u64 v[20:21], v[20:21], 0, -1
	v_cmp_eq_u64_e64 s[12:13], 0, v[20:21]
	s_andn2_b64 s[18:19], s[50:51], exec
	s_and_b64 s[50:51], s[56:57], exec
	s_or_b64 s[50:51], s[18:19], s[50:51]
	s_andn2_b64 s[18:19], s[48:49], exec
	s_and_b64 s[12:13], s[12:13], exec
	v_lshl_add_u64 v[16:17], v[16:17], 0, 2
	v_lshl_add_u64 v[18:19], v[18:19], 0, 2
	s_andn2_b64 s[16:17], s[16:17], exec
	s_or_b64 s[48:49], s[18:19], s[12:13]
                                        ; implicit-def: $sgpr52_sgpr53
	s_branch .LBB632_1340
.LBB632_1343:
	s_or_b64 exec, exec, s[44:45]
	s_xor_b64 s[12:13], s[46:47], -1
	s_orn2_b64 s[12:13], s[12:13], exec
.LBB632_1344:
	s_or_b64 exec, exec, s[42:43]
	s_and_b64 s[16:17], s[12:13], exec
.LBB632_1345:
	s_or_b64 exec, exec, s[28:29]
	s_orn2_b64 s[28:29], s[16:17], exec
.LBB632_1346:
	s_or_b64 exec, exec, s[36:37]
	v_cndmask_b32_e64 v16, v22, v23, s[28:29]
	v_cndmask_b32_e64 v17, v99, v98, s[28:29]
	v_add_u32_e32 v20, 1, v16
	v_add_u32_e32 v16, -1, v17
	v_min_u32_e32 v16, v20, v16
	v_mov_b32_e32 v17, 0
	v_lshl_add_u64 v[18:19], v[16:17], 3, v[66:67]
	flat_load_dwordx2 v[18:19], v[18:19]
	v_cndmask_b32_e64 v100, v20, v22, s[28:29]
	s_mov_b64 s[36:37], -1
	v_cndmask_b32_e64 v101, v23, v20, s[28:29]
	v_cmp_lt_u32_e64 s[12:13], v100, v99
	s_mov_b64 s[42:43], -1
	s_waitcnt vmcnt(0) lgkmcnt(0)
	v_cndmask_b32_e64 v86, v19, v82, s[28:29]
	v_cndmask_b32_e64 v87, v18, v83, s[28:29]
	;; [unrolled: 1-line block ×4, first 2 shown]
	s_and_saveexec_b64 s[44:45], s[12:13]
	s_cbranch_execz .LBB632_1356
; %bb.1347:
	v_cmp_lt_u32_e64 s[12:13], v101, v98
	s_mov_b64 s[16:17], 0
	s_and_saveexec_b64 s[42:43], s[12:13]
	s_cbranch_execz .LBB632_1355
; %bb.1348:
	s_mov_b64 s[12:13], -1
	s_and_saveexec_b64 s[46:47], s[8:9]
	s_cbranch_execz .LBB632_1354
; %bb.1349:
	v_mul_lo_u32 v16, v96, v6
	v_mul_lo_u32 v20, v97, v7
	v_mad_u64_u32 v[18:19], s[12:13], v97, v6, 0
	v_add3_u32 v19, v19, v20, v16
	v_mul_lo_u32 v16, v86, v6
	v_mul_lo_u32 v22, v87, v7
	v_mad_u64_u32 v[20:21], s[12:13], v87, v6, 0
	v_add3_u32 v21, v21, v22, v16
	v_lshl_add_u64 v[18:19], v[18:19], 1, v[8:9]
	v_lshl_add_u64 v[20:21], v[20:21], 1, v[8:9]
	s_mov_b64 s[48:49], 0
	v_mov_b64_e32 v[22:23], v[6:7]
                                        ; implicit-def: $sgpr50_sgpr51
                                        ; implicit-def: $sgpr52_sgpr53
                                        ; implicit-def: $sgpr16_sgpr17
                                        ; implicit-def: $sgpr54_sgpr55
                                        ; implicit-def: $sgpr56_sgpr57
	s_branch .LBB632_1351
.LBB632_1350:                           ;   in Loop: Header=BB632_1351 Depth=1
	s_or_b64 exec, exec, s[58:59]
	s_and_b64 s[12:13], exec, s[52:53]
	s_or_b64 s[48:49], s[12:13], s[48:49]
	s_andn2_b64 s[12:13], s[56:57], exec
	s_and_b64 s[18:19], s[54:55], exec
	s_or_b64 s[56:57], s[12:13], s[18:19]
	s_andn2_b64 s[12:13], s[50:51], exec
	s_and_b64 s[18:19], s[16:17], exec
	s_or_b64 s[50:51], s[12:13], s[18:19]
	s_andn2_b64 exec, exec, s[48:49]
	s_cbranch_execz .LBB632_1353
.LBB632_1351:                           ; =>This Inner Loop Header: Depth=1
	flat_load_ushort v16, v[20:21]
	flat_load_ushort v102, v[18:19]
	s_andn2_b64 s[58:59], s[16:17], exec
	s_andn2_b64 s[54:55], s[54:55], exec
	s_or_b64 s[52:53], s[52:53], exec
	s_waitcnt vmcnt(0) lgkmcnt(0)
	v_cmp_le_i16_e64 s[16:17], v16, v102
	v_cmp_lt_i16_e64 s[12:13], v16, v102
	s_and_b64 s[16:17], s[16:17], s[56:57]
	s_or_b64 s[60:61], s[12:13], s[16:17]
	s_and_b64 s[12:13], s[60:61], exec
	v_cmp_eq_u16_e64 s[18:19], v16, v102
	s_or_b64 s[16:17], s[58:59], s[12:13]
	s_and_saveexec_b64 s[58:59], s[18:19]
	s_cbranch_execz .LBB632_1350
; %bb.1352:                             ;   in Loop: Header=BB632_1351 Depth=1
	v_lshl_add_u64 v[22:23], v[22:23], 0, -1
	v_cmp_eq_u64_e64 s[12:13], 0, v[22:23]
	s_andn2_b64 s[18:19], s[54:55], exec
	s_and_b64 s[54:55], s[60:61], exec
	s_or_b64 s[54:55], s[18:19], s[54:55]
	s_andn2_b64 s[18:19], s[52:53], exec
	s_and_b64 s[12:13], s[12:13], exec
	v_lshl_add_u64 v[18:19], v[18:19], 0, 2
	v_lshl_add_u64 v[20:21], v[20:21], 0, 2
	s_andn2_b64 s[16:17], s[16:17], exec
	s_or_b64 s[52:53], s[18:19], s[12:13]
                                        ; implicit-def: $sgpr56_sgpr57
	s_branch .LBB632_1350
.LBB632_1353:
	s_or_b64 exec, exec, s[48:49]
	s_xor_b64 s[12:13], s[50:51], -1
	s_orn2_b64 s[12:13], s[12:13], exec
.LBB632_1354:
	s_or_b64 exec, exec, s[46:47]
	s_and_b64 s[16:17], s[12:13], exec
.LBB632_1355:
	s_or_b64 exec, exec, s[42:43]
	s_orn2_b64 s[42:43], s[16:17], exec
.LBB632_1356:
	s_or_b64 exec, exec, s[44:45]
	v_cndmask_b32_e64 v16, v100, v101, s[42:43]
	v_cndmask_b32_e64 v18, v99, v98, s[42:43]
	v_add_u32_e32 v19, 1, v16
	v_add_u32_e32 v16, -1, v18
	v_min_u32_e32 v16, v19, v16
	v_lshl_add_u64 v[16:17], v[16:17], 3, v[66:67]
	flat_load_dwordx2 v[16:17], v[16:17]
	v_cndmask_b32_e64 v103, v19, v100, s[42:43]
	v_cndmask_b32_e64 v100, v101, v19, s[42:43]
	v_cmp_lt_u32_e64 s[12:13], v103, v99
	s_waitcnt vmcnt(0) lgkmcnt(0)
	v_cndmask_b32_e64 v101, v17, v86, s[42:43]
	v_cndmask_b32_e64 v102, v16, v87, s[42:43]
	;; [unrolled: 1-line block ×4, first 2 shown]
	s_and_saveexec_b64 s[44:45], s[12:13]
	s_cbranch_execz .LBB632_1366
; %bb.1357:
	v_cmp_lt_u32_e64 s[12:13], v100, v98
	s_mov_b64 s[16:17], 0
	s_and_saveexec_b64 s[36:37], s[12:13]
	s_cbranch_execz .LBB632_1365
; %bb.1358:
	s_mov_b64 s[12:13], -1
	s_and_saveexec_b64 s[46:47], s[8:9]
	s_cbranch_execz .LBB632_1364
; %bb.1359:
	v_mul_lo_u32 v18, v112, v6
	v_mul_lo_u32 v19, v113, v7
	v_mad_u64_u32 v[16:17], s[12:13], v113, v6, 0
	v_add3_u32 v17, v17, v19, v18
	v_mul_lo_u32 v20, v101, v6
	v_mul_lo_u32 v21, v102, v7
	v_mad_u64_u32 v[18:19], s[12:13], v102, v6, 0
	v_add3_u32 v19, v19, v21, v20
	v_lshl_add_u64 v[16:17], v[16:17], 1, v[8:9]
	v_lshl_add_u64 v[18:19], v[18:19], 1, v[8:9]
	s_mov_b64 s[48:49], 0
	v_mov_b64_e32 v[20:21], v[6:7]
                                        ; implicit-def: $sgpr50_sgpr51
                                        ; implicit-def: $sgpr52_sgpr53
                                        ; implicit-def: $sgpr16_sgpr17
                                        ; implicit-def: $sgpr54_sgpr55
                                        ; implicit-def: $sgpr56_sgpr57
	s_branch .LBB632_1361
.LBB632_1360:                           ;   in Loop: Header=BB632_1361 Depth=1
	s_or_b64 exec, exec, s[58:59]
	s_and_b64 s[12:13], exec, s[52:53]
	s_or_b64 s[48:49], s[12:13], s[48:49]
	s_andn2_b64 s[12:13], s[56:57], exec
	s_and_b64 s[18:19], s[54:55], exec
	s_or_b64 s[56:57], s[12:13], s[18:19]
	s_andn2_b64 s[12:13], s[50:51], exec
	s_and_b64 s[18:19], s[16:17], exec
	s_or_b64 s[50:51], s[12:13], s[18:19]
	s_andn2_b64 exec, exec, s[48:49]
	s_cbranch_execz .LBB632_1363
.LBB632_1361:                           ; =>This Inner Loop Header: Depth=1
	flat_load_ushort v22, v[18:19]
	flat_load_ushort v23, v[16:17]
	s_andn2_b64 s[58:59], s[16:17], exec
	s_andn2_b64 s[54:55], s[54:55], exec
	s_or_b64 s[52:53], s[52:53], exec
	s_waitcnt vmcnt(0) lgkmcnt(0)
	v_cmp_le_i16_e64 s[16:17], v22, v23
	v_cmp_lt_i16_e64 s[12:13], v22, v23
	s_and_b64 s[16:17], s[16:17], s[56:57]
	s_or_b64 s[60:61], s[12:13], s[16:17]
	s_and_b64 s[12:13], s[60:61], exec
	v_cmp_eq_u16_e64 s[18:19], v22, v23
	s_or_b64 s[16:17], s[58:59], s[12:13]
	s_and_saveexec_b64 s[58:59], s[18:19]
	s_cbranch_execz .LBB632_1360
; %bb.1362:                             ;   in Loop: Header=BB632_1361 Depth=1
	v_lshl_add_u64 v[20:21], v[20:21], 0, -1
	v_cmp_eq_u64_e64 s[12:13], 0, v[20:21]
	s_andn2_b64 s[18:19], s[54:55], exec
	s_and_b64 s[54:55], s[60:61], exec
	s_or_b64 s[54:55], s[18:19], s[54:55]
	s_andn2_b64 s[18:19], s[52:53], exec
	s_and_b64 s[12:13], s[12:13], exec
	v_lshl_add_u64 v[16:17], v[16:17], 0, 2
	v_lshl_add_u64 v[18:19], v[18:19], 0, 2
	s_andn2_b64 s[16:17], s[16:17], exec
	s_or_b64 s[52:53], s[18:19], s[12:13]
                                        ; implicit-def: $sgpr56_sgpr57
	s_branch .LBB632_1360
.LBB632_1363:
	s_or_b64 exec, exec, s[48:49]
	s_xor_b64 s[12:13], s[50:51], -1
	s_orn2_b64 s[12:13], s[12:13], exec
.LBB632_1364:
	s_or_b64 exec, exec, s[46:47]
	s_and_b64 s[16:17], s[12:13], exec
.LBB632_1365:
	s_or_b64 exec, exec, s[36:37]
	s_orn2_b64 s[36:37], s[16:17], exec
.LBB632_1366:
	s_or_b64 exec, exec, s[44:45]
	v_cndmask_b32_e64 v16, v103, v100, s[36:37]
	v_cndmask_b32_e64 v17, v99, v98, s[36:37]
	v_add_u32_e32 v114, 1, v16
	v_add_u32_e32 v16, -1, v17
	v_min_u32_e32 v16, v114, v16
	v_mov_b32_e32 v17, 0
	v_lshl_add_u64 v[16:17], v[16:17], 3, v[66:67]
	flat_load_dwordx2 v[66:67], v[16:17]
	v_cndmask_b32_e64 v21, v27, v68, s[24:25]
	v_cndmask_b32_e64 v27, v1, v25, s[26:27]
	v_cndmask_b32_e64 v1, v114, v103, s[36:37]
	v_cndmask_b32_e64 v19, v86, v96, s[42:43]
	v_cndmask_b32_e64 v18, v87, v97, s[42:43]
	v_cndmask_b32_e64 v17, v82, v84, s[28:29]
	v_cndmask_b32_e64 v16, v83, v85, s[28:29]
	v_cndmask_b32_e64 v23, v70, v80, s[34:35]
	v_cndmask_b32_e64 v22, v71, v81, s[34:35]
	v_cndmask_b32_e64 v20, v31, v69, s[24:25]
	v_cndmask_b32_e64 v26, v24, v26, s[26:27]
	v_cndmask_b32_e64 v25, v15, v13, s[22:23]
	v_cndmask_b32_e64 v24, v14, v12, s[22:23]
	v_cndmask_b32_e64 v13, v101, v112, s[36:37]
	v_cndmask_b32_e64 v12, v102, v113, s[36:37]
	v_cmp_lt_u32_e64 s[12:13], v1, v99
	s_waitcnt vmcnt(0) lgkmcnt(0)
	v_cndmask_b32_e64 v15, v112, v67, s[36:37]
	v_cndmask_b32_e64 v14, v113, v66, s[36:37]
	s_and_saveexec_b64 s[22:23], s[12:13]
	s_cbranch_execz .LBB632_1376
; %bb.1367:
	v_cndmask_b32_e64 v1, v100, v114, s[36:37]
	v_cndmask_b32_e64 v67, v67, v101, s[36:37]
	;; [unrolled: 1-line block ×3, first 2 shown]
	v_cmp_lt_u32_e64 s[12:13], v1, v98
	s_and_saveexec_b64 s[24:25], s[12:13]
	s_cbranch_execz .LBB632_1375
; %bb.1368:
	s_and_saveexec_b64 s[26:27], s[8:9]
	s_cbranch_execz .LBB632_1374
; %bb.1369:
	v_mul_lo_u32 v1, v15, v6
	v_mul_lo_u32 v31, v14, v7
	v_mad_u64_u32 v[68:69], s[12:13], v14, v6, 0
	v_add3_u32 v69, v69, v31, v1
	v_mul_lo_u32 v1, v67, v6
	v_mul_lo_u32 v31, v66, v7
	v_mad_u64_u32 v[70:71], s[12:13], v66, v6, 0
	v_add3_u32 v71, v71, v31, v1
	v_lshl_add_u64 v[68:69], v[68:69], 1, v[8:9]
	v_lshl_add_u64 v[70:71], v[70:71], 1, v[8:9]
	s_mov_b64 s[28:29], 0
	v_mov_b64_e32 v[80:81], v[6:7]
                                        ; implicit-def: $sgpr34_sgpr35
                                        ; implicit-def: $sgpr36_sgpr37
                                        ; implicit-def: $sgpr16_sgpr17
                                        ; implicit-def: $sgpr42_sgpr43
                                        ; implicit-def: $sgpr44_sgpr45
	s_branch .LBB632_1371
.LBB632_1370:                           ;   in Loop: Header=BB632_1371 Depth=1
	s_or_b64 exec, exec, s[46:47]
	s_and_b64 s[12:13], exec, s[36:37]
	s_or_b64 s[28:29], s[12:13], s[28:29]
	s_andn2_b64 s[12:13], s[44:45], exec
	s_and_b64 s[18:19], s[42:43], exec
	s_or_b64 s[44:45], s[12:13], s[18:19]
	s_andn2_b64 s[12:13], s[34:35], exec
	s_and_b64 s[18:19], s[16:17], exec
	s_or_b64 s[34:35], s[12:13], s[18:19]
	s_andn2_b64 exec, exec, s[28:29]
	s_cbranch_execz .LBB632_1373
.LBB632_1371:                           ; =>This Inner Loop Header: Depth=1
	flat_load_ushort v1, v[70:71]
	flat_load_ushort v31, v[68:69]
	s_andn2_b64 s[46:47], s[16:17], exec
	s_andn2_b64 s[42:43], s[42:43], exec
	s_or_b64 s[36:37], s[36:37], exec
	s_waitcnt vmcnt(0) lgkmcnt(0)
	v_cmp_le_i16_e64 s[16:17], v1, v31
	v_cmp_lt_i16_e64 s[12:13], v1, v31
	s_and_b64 s[16:17], s[16:17], s[44:45]
	s_or_b64 s[48:49], s[12:13], s[16:17]
	s_and_b64 s[12:13], s[48:49], exec
	v_cmp_eq_u16_e64 s[18:19], v1, v31
	s_or_b64 s[16:17], s[46:47], s[12:13]
	s_and_saveexec_b64 s[46:47], s[18:19]
	s_cbranch_execz .LBB632_1370
; %bb.1372:                             ;   in Loop: Header=BB632_1371 Depth=1
	v_lshl_add_u64 v[80:81], v[80:81], 0, -1
	v_cmp_eq_u64_e64 s[12:13], 0, v[80:81]
	s_andn2_b64 s[18:19], s[42:43], exec
	s_and_b64 s[42:43], s[48:49], exec
	s_or_b64 s[42:43], s[18:19], s[42:43]
	s_andn2_b64 s[18:19], s[36:37], exec
	s_and_b64 s[12:13], s[12:13], exec
	v_lshl_add_u64 v[68:69], v[68:69], 0, 2
	v_lshl_add_u64 v[70:71], v[70:71], 0, 2
	s_andn2_b64 s[16:17], s[16:17], exec
	s_or_b64 s[36:37], s[18:19], s[12:13]
                                        ; implicit-def: $sgpr44_sgpr45
	s_branch .LBB632_1370
.LBB632_1373:
	s_or_b64 exec, exec, s[28:29]
	v_cndmask_b32_e64 v15, v15, v67, s[34:35]
	v_cndmask_b32_e64 v14, v14, v66, s[34:35]
.LBB632_1374:
	s_or_b64 exec, exec, s[26:27]
	v_mov_b64_e32 v[66:67], v[14:15]
.LBB632_1375:
	s_or_b64 exec, exec, s[24:25]
	v_mov_b64_e32 v[14:15], v[66:67]
.LBB632_1376:
	s_or_b64 exec, exec, s[22:23]
.LBB632_1377:
	s_or_b64 exec, exec, s[20:21]
	s_movk_i32 s68, 0x80
	v_cmp_lt_u32_e64 s[12:13], s68, v0
	; wave barrier
	s_waitcnt lgkmcnt(0)
	s_barrier
	s_and_saveexec_b64 s[20:21], s[12:13]
	s_cbranch_execz .LBB632_1475
; %bb.1378:
	v_lshlrev_b32_e32 v66, 3, v30
	v_mov_b32_e32 v67, 0
	v_lshl_add_u64 v[68:69], v[10:11], 0, v[66:67]
	s_mov_b64 s[22:23], 0
	s_branch .LBB632_1384
.LBB632_1379:                           ;   in Loop: Header=BB632_1384 Depth=1
	s_or_b64 exec, exec, s[54:55]
	v_cndmask_b32_e64 v15, v15, v17, s[56:57]
	v_cndmask_b32_e64 v14, v14, v16, s[56:57]
.LBB632_1380:                           ;   in Loop: Header=BB632_1384 Depth=1
	s_or_b64 exec, exec, s[52:53]
	v_mov_b64_e32 v[16:17], v[14:15]
.LBB632_1381:                           ;   in Loop: Header=BB632_1384 Depth=1
	s_or_b64 exec, exec, s[50:51]
	v_mov_b64_e32 v[14:15], v[16:17]
.LBB632_1382:                           ;   in Loop: Header=BB632_1384 Depth=1
	s_or_b64 exec, exec, s[48:49]
	v_cndmask_b32_e64 v19, v100, v102, s[46:47]
	v_cndmask_b32_e64 v18, v101, v103, s[46:47]
	v_cndmask_b32_e64 v17, v96, v98, s[36:37]
	v_cndmask_b32_e64 v16, v97, v99, s[36:37]
	v_cndmask_b32_e64 v23, v84, v86, s[42:43]
	v_cndmask_b32_e64 v22, v85, v87, s[42:43]
	v_cndmask_b32_e64 v21, v80, v82, s[28:29]
	v_cndmask_b32_e64 v20, v81, v83, s[28:29]
	v_cndmask_b32_e64 v27, v26, v27, s[34:35]
	v_cndmask_b32_e64 v26, v31, v71, s[34:35]
	v_cndmask_b32_e64 v25, v25, v13, s[26:27]
	v_cndmask_b32_e64 v24, v24, v12, s[26:27]
	v_cndmask_b32_e64 v13, v112, v114, s[44:45]
	v_cndmask_b32_e64 v12, v113, v115, s[44:45]
.LBB632_1383:                           ;   in Loop: Header=BB632_1384 Depth=1
	s_or_b64 exec, exec, s[24:25]
	v_cmp_ge_u32_e64 s[12:13], s68, v0
	s_or_b64 s[22:23], s[12:13], s[22:23]
	s_barrier
	s_andn2_b64 exec, exec, s[22:23]
	s_cbranch_execz .LBB632_1474
.LBB632_1384:                           ; =>This Loop Header: Depth=1
                                        ;     Child Loop BB632_1388 Depth 2
                                        ;       Child Loop BB632_1391 Depth 3
                                        ;     Child Loop BB632_1403 Depth 2
                                        ;     Child Loop BB632_1412 Depth 2
	;; [unrolled: 1-line block ×8, first 2 shown]
	s_mov_b32 s12, s68
	s_lshl_b32 s68, s68, 1
	s_sub_i32 s16, 0, s68
	v_and_b32_e32 v31, s16, v30
	v_add_u32_e32 v1, s12, v31
	v_min_u32_e32 v70, v1, v0
	s_add_i32 s13, s68, -1
	v_add_u32_e32 v1, s12, v70
	v_min_u32_e32 v1, v1, v0
	v_and_b32_e32 v66, s13, v30
	v_min_u32_e32 v100, v66, v0
	v_sub_u32_e32 v66, v70, v31
	v_sub_u32_e32 v71, v1, v70
	v_sub_u32_e64 v101, v100, v71 clamp
	v_min_u32_e32 v102, v100, v66
	v_cmp_lt_u32_e64 s[12:13], v101, v102
	flat_store_dwordx4 v[68:69], v[24:27]
	flat_store_dwordx4 v[68:69], v[20:23] offset:16
	flat_store_dwordx4 v[68:69], v[16:19] offset:32
	;; [unrolled: 1-line block ×3, first 2 shown]
	s_waitcnt lgkmcnt(0)
	s_barrier
	s_and_saveexec_b64 s[24:25], s[12:13]
	s_cbranch_execz .LBB632_1394
; %bb.1385:                             ;   in Loop: Header=BB632_1384 Depth=1
	v_lshlrev_b32_e32 v66, 3, v31
	v_mov_b32_e32 v71, v67
	v_lshl_add_u64 v[80:81], v[10:11], 0, v[66:67]
	v_lshl_add_u64 v[82:83], v[70:71], 3, v[10:11]
	s_mov_b64 s[26:27], 0
	s_branch .LBB632_1388
.LBB632_1386:                           ;   in Loop: Header=BB632_1388 Depth=2
	s_or_b64 exec, exec, s[34:35]
	s_and_b64 s[12:13], s[36:37], exec
.LBB632_1387:                           ;   in Loop: Header=BB632_1388 Depth=2
	s_or_b64 exec, exec, s[28:29]
	v_add_u32_e32 v66, 1, v84
	v_cndmask_b32_e64 v102, v102, v84, s[12:13]
	v_cndmask_b32_e64 v101, v66, v101, s[12:13]
	v_cmp_ge_u32_e64 s[12:13], v101, v102
	s_or_b64 s[26:27], s[12:13], s[26:27]
	s_andn2_b64 exec, exec, s[26:27]
	s_cbranch_execz .LBB632_1393
.LBB632_1388:                           ;   Parent Loop BB632_1384 Depth=1
                                        ; =>  This Loop Header: Depth=2
                                        ;       Child Loop BB632_1391 Depth 3
	v_add_u32_e32 v66, v102, v101
	v_lshrrev_b32_e32 v84, 1, v66
	s_mov_b64 s[12:13], 0
	s_and_saveexec_b64 s[28:29], s[8:9]
	s_cbranch_execz .LBB632_1387
; %bb.1389:                             ;   in Loop: Header=BB632_1388 Depth=2
	v_mov_b32_e32 v85, v67
	v_xad_u32 v66, v84, -1, v100
	v_lshl_add_u64 v[86:87], v[84:85], 3, v[80:81]
	v_lshl_add_u64 v[96:97], v[66:67], 3, v[82:83]
	flat_load_dwordx2 v[86:87], v[86:87]
	s_mov_b64 s[34:35], 0
	flat_load_dwordx2 v[96:97], v[96:97]
                                        ; implicit-def: $sgpr36_sgpr37
                                        ; implicit-def: $sgpr42_sgpr43
                                        ; implicit-def: $sgpr44_sgpr45
                                        ; implicit-def: $sgpr16_sgpr17
                                        ; implicit-def: $sgpr46_sgpr47
	s_waitcnt vmcnt(0) lgkmcnt(0)
	v_mul_lo_u32 v66, v64, v87
	v_mul_lo_u32 v71, v65, v86
	v_mad_u64_u32 v[86:87], s[12:13], v64, v86, v[8:9]
	v_mul_lo_u32 v85, v64, v97
	v_mul_lo_u32 v98, v65, v96
	v_mad_u64_u32 v[96:97], s[12:13], v64, v96, v[8:9]
	v_add3_u32 v87, v71, v87, v66
	v_add3_u32 v97, v98, v97, v85
	v_mov_b64_e32 v[98:99], v[6:7]
	s_branch .LBB632_1391
.LBB632_1390:                           ;   in Loop: Header=BB632_1391 Depth=3
	s_or_b64 exec, exec, s[48:49]
	s_and_b64 s[12:13], exec, s[42:43]
	s_or_b64 s[34:35], s[12:13], s[34:35]
	s_andn2_b64 s[12:13], s[46:47], exec
	s_and_b64 s[18:19], s[44:45], exec
	s_or_b64 s[46:47], s[12:13], s[18:19]
	s_andn2_b64 s[12:13], s[36:37], exec
	s_and_b64 s[18:19], s[16:17], exec
	s_or_b64 s[36:37], s[12:13], s[18:19]
	s_andn2_b64 exec, exec, s[34:35]
	s_cbranch_execz .LBB632_1386
.LBB632_1391:                           ;   Parent Loop BB632_1384 Depth=1
                                        ;     Parent Loop BB632_1388 Depth=2
                                        ; =>    This Inner Loop Header: Depth=3
	flat_load_ushort v66, v[96:97]
	flat_load_ushort v71, v[86:87]
	s_andn2_b64 s[48:49], s[16:17], exec
	s_andn2_b64 s[44:45], s[44:45], exec
	s_or_b64 s[42:43], s[42:43], exec
	s_waitcnt vmcnt(0) lgkmcnt(0)
	v_cmp_le_i16_e64 s[16:17], v66, v71
	v_cmp_lt_i16_e64 s[12:13], v66, v71
	s_and_b64 s[16:17], s[16:17], s[46:47]
	s_or_b64 s[50:51], s[12:13], s[16:17]
	s_and_b64 s[12:13], s[50:51], exec
	v_cmp_eq_u16_e64 s[18:19], v66, v71
	s_or_b64 s[16:17], s[48:49], s[12:13]
	s_and_saveexec_b64 s[48:49], s[18:19]
	s_cbranch_execz .LBB632_1390
; %bb.1392:                             ;   in Loop: Header=BB632_1391 Depth=3
	v_lshl_add_u64 v[98:99], v[98:99], 0, -1
	v_cmp_eq_u64_e64 s[12:13], 0, v[98:99]
	s_andn2_b64 s[18:19], s[44:45], exec
	s_and_b64 s[44:45], s[50:51], exec
	s_or_b64 s[44:45], s[18:19], s[44:45]
	s_andn2_b64 s[18:19], s[42:43], exec
	s_and_b64 s[12:13], s[12:13], exec
	v_lshl_add_u64 v[86:87], v[86:87], 0, 2
	v_lshl_add_u64 v[96:97], v[96:97], 0, 2
	s_andn2_b64 s[16:17], s[16:17], exec
	s_or_b64 s[42:43], s[18:19], s[12:13]
                                        ; implicit-def: $sgpr46_sgpr47
	s_branch .LBB632_1390
.LBB632_1393:                           ;   in Loop: Header=BB632_1384 Depth=1
	s_or_b64 exec, exec, s[26:27]
.LBB632_1394:                           ;   in Loop: Header=BB632_1384 Depth=1
	s_or_b64 exec, exec, s[24:25]
	v_sub_u32_e32 v66, v100, v101
	v_add_u32_e32 v80, v101, v31
	v_add_u32_e32 v82, v66, v70
	v_cmp_le_u32_e64 s[12:13], v80, v70
	v_cmp_le_u32_e64 s[16:17], v82, v1
	s_or_b64 s[12:13], s[12:13], s[16:17]
	s_and_saveexec_b64 s[24:25], s[12:13]
	s_cbranch_execz .LBB632_1383
; %bb.1395:                             ;   in Loop: Header=BB632_1384 Depth=1
	v_cmp_ge_u32_e64 s[16:17], v80, v70
	v_cmp_lt_u32_e64 s[12:13], v80, v70
                                        ; implicit-def: $vgpr12_vgpr13
	s_and_saveexec_b64 s[18:19], s[12:13]
	s_cbranch_execz .LBB632_1397
; %bb.1396:                             ;   in Loop: Header=BB632_1384 Depth=1
	v_mov_b32_e32 v81, v67
	v_lshl_add_u64 v[12:13], v[80:81], 3, v[10:11]
	flat_load_dwordx2 v[12:13], v[12:13]
.LBB632_1397:                           ;   in Loop: Header=BB632_1384 Depth=1
	s_or_b64 exec, exec, s[18:19]
	v_cmp_ge_u32_e64 s[26:27], v82, v1
	v_cmp_lt_u32_e64 s[12:13], v82, v1
                                        ; implicit-def: $vgpr24_vgpr25
	s_and_saveexec_b64 s[18:19], s[12:13]
	s_cbranch_execz .LBB632_1399
; %bb.1398:                             ;   in Loop: Header=BB632_1384 Depth=1
	v_mov_b32_e32 v83, v67
	v_lshl_add_u64 v[14:15], v[82:83], 3, v[10:11]
	flat_load_dwordx2 v[24:25], v[14:15]
.LBB632_1399:                           ;   in Loop: Header=BB632_1384 Depth=1
	s_or_b64 exec, exec, s[18:19]
	s_or_b64 s[12:13], s[16:17], s[26:27]
	s_xor_b64 s[12:13], s[12:13], -1
	s_and_saveexec_b64 s[28:29], s[12:13]
	s_cbranch_execz .LBB632_1407
; %bb.1400:                             ;   in Loop: Header=BB632_1384 Depth=1
	s_mov_b64 s[12:13], 0
	s_and_saveexec_b64 s[34:35], s[8:9]
	s_cbranch_execz .LBB632_1406
; %bb.1401:                             ;   in Loop: Header=BB632_1384 Depth=1
	s_waitcnt vmcnt(0) lgkmcnt(0)
	v_mad_u64_u32 v[14:15], s[12:13], v64, v12, v[8:9]
	v_mul_lo_u32 v16, v64, v13
	v_mul_lo_u32 v17, v65, v12
	v_add3_u32 v15, v17, v15, v16
	v_mad_u64_u32 v[16:17], s[12:13], v64, v24, v[8:9]
	v_mul_lo_u32 v18, v64, v25
	v_mul_lo_u32 v19, v65, v24
	v_add3_u32 v17, v19, v17, v18
	s_mov_b64 s[36:37], 0
	v_mov_b64_e32 v[18:19], v[6:7]
                                        ; implicit-def: $sgpr42_sgpr43
                                        ; implicit-def: $sgpr44_sgpr45
                                        ; implicit-def: $sgpr46_sgpr47
                                        ; implicit-def: $sgpr16_sgpr17
                                        ; implicit-def: $sgpr48_sgpr49
	s_branch .LBB632_1403
.LBB632_1402:                           ;   in Loop: Header=BB632_1403 Depth=2
	s_or_b64 exec, exec, s[50:51]
	s_and_b64 s[12:13], exec, s[44:45]
	s_or_b64 s[36:37], s[12:13], s[36:37]
	s_andn2_b64 s[12:13], s[48:49], exec
	s_and_b64 s[18:19], s[46:47], exec
	s_or_b64 s[48:49], s[12:13], s[18:19]
	s_andn2_b64 s[12:13], s[42:43], exec
	s_and_b64 s[18:19], s[16:17], exec
	s_or_b64 s[42:43], s[12:13], s[18:19]
	s_andn2_b64 exec, exec, s[36:37]
	s_cbranch_execz .LBB632_1405
.LBB632_1403:                           ;   Parent Loop BB632_1384 Depth=1
                                        ; =>  This Inner Loop Header: Depth=2
	flat_load_ushort v20, v[16:17]
	flat_load_ushort v21, v[14:15]
	s_andn2_b64 s[50:51], s[16:17], exec
	s_andn2_b64 s[46:47], s[46:47], exec
	s_or_b64 s[44:45], s[44:45], exec
	s_waitcnt vmcnt(0) lgkmcnt(0)
	v_cmp_le_i16_e64 s[16:17], v20, v21
	v_cmp_lt_i16_e64 s[12:13], v20, v21
	s_and_b64 s[16:17], s[16:17], s[48:49]
	s_or_b64 s[52:53], s[12:13], s[16:17]
	s_and_b64 s[12:13], s[52:53], exec
	v_cmp_eq_u16_e64 s[18:19], v20, v21
	s_or_b64 s[16:17], s[50:51], s[12:13]
	s_and_saveexec_b64 s[50:51], s[18:19]
	s_cbranch_execz .LBB632_1402
; %bb.1404:                             ;   in Loop: Header=BB632_1403 Depth=2
	v_lshl_add_u64 v[18:19], v[18:19], 0, -1
	v_cmp_eq_u64_e64 s[12:13], 0, v[18:19]
	s_andn2_b64 s[18:19], s[46:47], exec
	s_and_b64 s[46:47], s[52:53], exec
	s_or_b64 s[46:47], s[18:19], s[46:47]
	s_andn2_b64 s[18:19], s[44:45], exec
	s_and_b64 s[12:13], s[12:13], exec
	v_lshl_add_u64 v[14:15], v[14:15], 0, 2
	v_lshl_add_u64 v[16:17], v[16:17], 0, 2
	s_andn2_b64 s[16:17], s[16:17], exec
	s_or_b64 s[44:45], s[18:19], s[12:13]
                                        ; implicit-def: $sgpr48_sgpr49
	s_branch .LBB632_1402
.LBB632_1405:                           ;   in Loop: Header=BB632_1384 Depth=1
	s_or_b64 exec, exec, s[36:37]
	s_and_b64 s[12:13], s[42:43], exec
.LBB632_1406:                           ;   in Loop: Header=BB632_1384 Depth=1
	s_or_b64 exec, exec, s[34:35]
	s_xor_b64 s[12:13], s[12:13], -1
	s_andn2_b64 s[16:17], s[26:27], exec
	s_and_b64 s[12:13], s[12:13], exec
	s_or_b64 s[26:27], s[16:17], s[12:13]
.LBB632_1407:                           ;   in Loop: Header=BB632_1384 Depth=1
	s_or_b64 exec, exec, s[28:29]
	v_cndmask_b32_e64 v14, v82, v80, s[26:27]
	v_cndmask_b32_e64 v15, v1, v70, s[26:27]
	v_add_u32_e32 v16, 1, v14
	v_add_u32_e32 v14, -1, v15
	v_min_u32_e32 v66, v16, v14
	v_lshl_add_u64 v[14:15], v[66:67], 3, v[10:11]
	flat_load_dwordx2 v[14:15], v[14:15]
	v_cndmask_b32_e64 v20, v16, v82, s[26:27]
	s_mov_b64 s[28:29], -1
	v_cndmask_b32_e64 v21, v80, v16, s[26:27]
	v_cmp_lt_u32_e64 s[12:13], v20, v1
	s_mov_b64 s[34:35], -1
	s_waitcnt vmcnt(0) lgkmcnt(0)
	v_cndmask_b32_e64 v26, v15, v25, s[26:27]
	v_cndmask_b32_e64 v31, v14, v24, s[26:27]
	;; [unrolled: 1-line block ×4, first 2 shown]
	s_and_saveexec_b64 s[36:37], s[12:13]
	s_cbranch_execz .LBB632_1417
; %bb.1408:                             ;   in Loop: Header=BB632_1384 Depth=1
	v_cmp_lt_u32_e64 s[12:13], v21, v70
	s_mov_b64 s[16:17], 0
	s_and_saveexec_b64 s[34:35], s[12:13]
	s_cbranch_execz .LBB632_1416
; %bb.1409:                             ;   in Loop: Header=BB632_1384 Depth=1
	s_mov_b64 s[12:13], 0
	s_and_saveexec_b64 s[42:43], s[8:9]
	s_cbranch_execz .LBB632_1415
; %bb.1410:                             ;   in Loop: Header=BB632_1384 Depth=1
	v_mad_u64_u32 v[14:15], s[12:13], v64, v71, v[8:9]
	v_mul_lo_u32 v16, v64, v27
	v_mul_lo_u32 v17, v65, v71
	v_add3_u32 v15, v17, v15, v16
	v_mad_u64_u32 v[16:17], s[12:13], v64, v31, v[8:9]
	v_mul_lo_u32 v18, v64, v26
	v_mul_lo_u32 v19, v65, v31
	v_add3_u32 v17, v19, v17, v18
	s_mov_b64 s[44:45], 0
	v_mov_b64_e32 v[18:19], v[6:7]
                                        ; implicit-def: $sgpr46_sgpr47
                                        ; implicit-def: $sgpr48_sgpr49
                                        ; implicit-def: $sgpr50_sgpr51
                                        ; implicit-def: $sgpr16_sgpr17
                                        ; implicit-def: $sgpr52_sgpr53
	s_branch .LBB632_1412
.LBB632_1411:                           ;   in Loop: Header=BB632_1412 Depth=2
	s_or_b64 exec, exec, s[54:55]
	s_and_b64 s[12:13], exec, s[48:49]
	s_or_b64 s[44:45], s[12:13], s[44:45]
	s_andn2_b64 s[12:13], s[52:53], exec
	s_and_b64 s[18:19], s[50:51], exec
	s_or_b64 s[52:53], s[12:13], s[18:19]
	s_andn2_b64 s[12:13], s[46:47], exec
	s_and_b64 s[18:19], s[16:17], exec
	s_or_b64 s[46:47], s[12:13], s[18:19]
	s_andn2_b64 exec, exec, s[44:45]
	s_cbranch_execz .LBB632_1414
.LBB632_1412:                           ;   Parent Loop BB632_1384 Depth=1
                                        ; =>  This Inner Loop Header: Depth=2
	flat_load_ushort v22, v[16:17]
	flat_load_ushort v23, v[14:15]
	s_andn2_b64 s[54:55], s[16:17], exec
	s_andn2_b64 s[50:51], s[50:51], exec
	s_or_b64 s[48:49], s[48:49], exec
	s_waitcnt vmcnt(0) lgkmcnt(0)
	v_cmp_le_i16_e64 s[16:17], v22, v23
	v_cmp_lt_i16_e64 s[12:13], v22, v23
	s_and_b64 s[16:17], s[16:17], s[52:53]
	s_or_b64 s[56:57], s[12:13], s[16:17]
	s_and_b64 s[12:13], s[56:57], exec
	v_cmp_eq_u16_e64 s[18:19], v22, v23
	s_or_b64 s[16:17], s[54:55], s[12:13]
	s_and_saveexec_b64 s[54:55], s[18:19]
	s_cbranch_execz .LBB632_1411
; %bb.1413:                             ;   in Loop: Header=BB632_1412 Depth=2
	v_lshl_add_u64 v[18:19], v[18:19], 0, -1
	v_cmp_eq_u64_e64 s[12:13], 0, v[18:19]
	s_andn2_b64 s[18:19], s[50:51], exec
	s_and_b64 s[50:51], s[56:57], exec
	s_or_b64 s[50:51], s[18:19], s[50:51]
	s_andn2_b64 s[18:19], s[48:49], exec
	s_and_b64 s[12:13], s[12:13], exec
	v_lshl_add_u64 v[14:15], v[14:15], 0, 2
	v_lshl_add_u64 v[16:17], v[16:17], 0, 2
	s_andn2_b64 s[16:17], s[16:17], exec
	s_or_b64 s[48:49], s[18:19], s[12:13]
                                        ; implicit-def: $sgpr52_sgpr53
	s_branch .LBB632_1411
.LBB632_1414:                           ;   in Loop: Header=BB632_1384 Depth=1
	s_or_b64 exec, exec, s[44:45]
	s_and_b64 s[12:13], s[46:47], exec
.LBB632_1415:                           ;   in Loop: Header=BB632_1384 Depth=1
	s_or_b64 exec, exec, s[42:43]
	s_xor_b64 s[12:13], s[12:13], -1
	s_and_b64 s[16:17], s[12:13], exec
.LBB632_1416:                           ;   in Loop: Header=BB632_1384 Depth=1
	s_or_b64 exec, exec, s[34:35]
	s_orn2_b64 s[34:35], s[16:17], exec
.LBB632_1417:                           ;   in Loop: Header=BB632_1384 Depth=1
	s_or_b64 exec, exec, s[36:37]
	v_cndmask_b32_e64 v14, v20, v21, s[34:35]
	v_cndmask_b32_e64 v15, v1, v70, s[34:35]
	v_add_u32_e32 v16, 1, v14
	v_add_u32_e32 v14, -1, v15
	v_min_u32_e32 v66, v16, v14
	v_lshl_add_u64 v[14:15], v[66:67], 3, v[10:11]
	flat_load_dwordx2 v[14:15], v[14:15]
	v_cndmask_b32_e64 v20, v16, v20, s[34:35]
	v_cndmask_b32_e64 v21, v21, v16, s[34:35]
	v_cmp_lt_u32_e64 s[12:13], v20, v1
	s_waitcnt vmcnt(0) lgkmcnt(0)
	v_cndmask_b32_e64 v80, v15, v26, s[34:35]
	v_cndmask_b32_e64 v81, v14, v31, s[34:35]
	;; [unrolled: 1-line block ×4, first 2 shown]
	s_and_saveexec_b64 s[36:37], s[12:13]
	s_cbranch_execz .LBB632_1427
; %bb.1418:                             ;   in Loop: Header=BB632_1384 Depth=1
	v_cmp_lt_u32_e64 s[12:13], v21, v70
	s_mov_b64 s[16:17], 0
	s_and_saveexec_b64 s[28:29], s[12:13]
	s_cbranch_execz .LBB632_1426
; %bb.1419:                             ;   in Loop: Header=BB632_1384 Depth=1
	s_mov_b64 s[12:13], 0
	s_and_saveexec_b64 s[42:43], s[8:9]
	s_cbranch_execz .LBB632_1425
; %bb.1420:                             ;   in Loop: Header=BB632_1384 Depth=1
	v_mad_u64_u32 v[14:15], s[12:13], v64, v83, v[8:9]
	v_mul_lo_u32 v16, v64, v82
	v_mul_lo_u32 v17, v65, v83
	v_add3_u32 v15, v17, v15, v16
	v_mad_u64_u32 v[16:17], s[12:13], v64, v81, v[8:9]
	v_mul_lo_u32 v18, v64, v80
	v_mul_lo_u32 v19, v65, v81
	v_add3_u32 v17, v19, v17, v18
	s_mov_b64 s[44:45], 0
	v_mov_b64_e32 v[18:19], v[6:7]
                                        ; implicit-def: $sgpr46_sgpr47
                                        ; implicit-def: $sgpr48_sgpr49
                                        ; implicit-def: $sgpr50_sgpr51
                                        ; implicit-def: $sgpr16_sgpr17
                                        ; implicit-def: $sgpr52_sgpr53
	s_branch .LBB632_1422
.LBB632_1421:                           ;   in Loop: Header=BB632_1422 Depth=2
	s_or_b64 exec, exec, s[54:55]
	s_and_b64 s[12:13], exec, s[48:49]
	s_or_b64 s[44:45], s[12:13], s[44:45]
	s_andn2_b64 s[12:13], s[52:53], exec
	s_and_b64 s[18:19], s[50:51], exec
	s_or_b64 s[52:53], s[12:13], s[18:19]
	s_andn2_b64 s[12:13], s[46:47], exec
	s_and_b64 s[18:19], s[16:17], exec
	s_or_b64 s[46:47], s[12:13], s[18:19]
	s_andn2_b64 exec, exec, s[44:45]
	s_cbranch_execz .LBB632_1424
.LBB632_1422:                           ;   Parent Loop BB632_1384 Depth=1
                                        ; =>  This Inner Loop Header: Depth=2
	flat_load_ushort v22, v[16:17]
	flat_load_ushort v23, v[14:15]
	s_andn2_b64 s[54:55], s[16:17], exec
	s_andn2_b64 s[50:51], s[50:51], exec
	s_or_b64 s[48:49], s[48:49], exec
	s_waitcnt vmcnt(0) lgkmcnt(0)
	v_cmp_le_i16_e64 s[16:17], v22, v23
	v_cmp_lt_i16_e64 s[12:13], v22, v23
	s_and_b64 s[16:17], s[16:17], s[52:53]
	s_or_b64 s[56:57], s[12:13], s[16:17]
	s_and_b64 s[12:13], s[56:57], exec
	v_cmp_eq_u16_e64 s[18:19], v22, v23
	s_or_b64 s[16:17], s[54:55], s[12:13]
	s_and_saveexec_b64 s[54:55], s[18:19]
	s_cbranch_execz .LBB632_1421
; %bb.1423:                             ;   in Loop: Header=BB632_1422 Depth=2
	v_lshl_add_u64 v[18:19], v[18:19], 0, -1
	v_cmp_eq_u64_e64 s[12:13], 0, v[18:19]
	s_andn2_b64 s[18:19], s[50:51], exec
	s_and_b64 s[50:51], s[56:57], exec
	s_or_b64 s[50:51], s[18:19], s[50:51]
	s_andn2_b64 s[18:19], s[48:49], exec
	s_and_b64 s[12:13], s[12:13], exec
	v_lshl_add_u64 v[14:15], v[14:15], 0, 2
	v_lshl_add_u64 v[16:17], v[16:17], 0, 2
	s_andn2_b64 s[16:17], s[16:17], exec
	s_or_b64 s[48:49], s[18:19], s[12:13]
                                        ; implicit-def: $sgpr52_sgpr53
	s_branch .LBB632_1421
.LBB632_1424:                           ;   in Loop: Header=BB632_1384 Depth=1
	s_or_b64 exec, exec, s[44:45]
	s_and_b64 s[12:13], s[46:47], exec
.LBB632_1425:                           ;   in Loop: Header=BB632_1384 Depth=1
	s_or_b64 exec, exec, s[42:43]
	s_xor_b64 s[12:13], s[12:13], -1
	s_and_b64 s[16:17], s[12:13], exec
.LBB632_1426:                           ;   in Loop: Header=BB632_1384 Depth=1
	s_or_b64 exec, exec, s[28:29]
	s_orn2_b64 s[28:29], s[16:17], exec
.LBB632_1427:                           ;   in Loop: Header=BB632_1384 Depth=1
	s_or_b64 exec, exec, s[36:37]
	v_cndmask_b32_e64 v14, v20, v21, s[28:29]
	v_cndmask_b32_e64 v15, v1, v70, s[28:29]
	v_add_u32_e32 v16, 1, v14
	v_add_u32_e32 v14, -1, v15
	v_min_u32_e32 v66, v16, v14
	v_lshl_add_u64 v[14:15], v[66:67], 3, v[10:11]
	flat_load_dwordx2 v[14:15], v[14:15]
	v_cndmask_b32_e64 v20, v16, v20, s[28:29]
	s_mov_b64 s[36:37], -1
	v_cndmask_b32_e64 v21, v21, v16, s[28:29]
	v_cmp_lt_u32_e64 s[12:13], v20, v1
	s_mov_b64 s[42:43], -1
	s_waitcnt vmcnt(0) lgkmcnt(0)
	v_cndmask_b32_e64 v84, v15, v80, s[28:29]
	v_cndmask_b32_e64 v85, v14, v81, s[28:29]
	v_cndmask_b32_e64 v86, v82, v15, s[28:29]
	v_cndmask_b32_e64 v87, v83, v14, s[28:29]
	s_and_saveexec_b64 s[44:45], s[12:13]
	s_cbranch_execz .LBB632_1437
; %bb.1428:                             ;   in Loop: Header=BB632_1384 Depth=1
	v_cmp_lt_u32_e64 s[12:13], v21, v70
	s_mov_b64 s[16:17], 0
	s_and_saveexec_b64 s[42:43], s[12:13]
	s_cbranch_execz .LBB632_1436
; %bb.1429:                             ;   in Loop: Header=BB632_1384 Depth=1
	s_mov_b64 s[12:13], -1
	s_and_saveexec_b64 s[46:47], s[8:9]
	s_cbranch_execz .LBB632_1435
; %bb.1430:                             ;   in Loop: Header=BB632_1384 Depth=1
	v_mad_u64_u32 v[14:15], s[12:13], v64, v87, v[8:9]
	v_mul_lo_u32 v16, v64, v86
	v_mul_lo_u32 v17, v65, v87
	v_add3_u32 v15, v17, v15, v16
	v_mad_u64_u32 v[16:17], s[12:13], v64, v85, v[8:9]
	v_mul_lo_u32 v18, v64, v84
	v_mul_lo_u32 v19, v65, v85
	v_add3_u32 v17, v19, v17, v18
	s_mov_b64 s[48:49], 0
	v_mov_b64_e32 v[18:19], v[6:7]
                                        ; implicit-def: $sgpr50_sgpr51
                                        ; implicit-def: $sgpr52_sgpr53
                                        ; implicit-def: $sgpr16_sgpr17
                                        ; implicit-def: $sgpr54_sgpr55
                                        ; implicit-def: $sgpr56_sgpr57
	s_branch .LBB632_1432
.LBB632_1431:                           ;   in Loop: Header=BB632_1432 Depth=2
	s_or_b64 exec, exec, s[58:59]
	s_and_b64 s[12:13], exec, s[52:53]
	s_or_b64 s[48:49], s[12:13], s[48:49]
	s_andn2_b64 s[12:13], s[56:57], exec
	s_and_b64 s[18:19], s[54:55], exec
	s_or_b64 s[56:57], s[12:13], s[18:19]
	s_andn2_b64 s[12:13], s[50:51], exec
	s_and_b64 s[18:19], s[16:17], exec
	s_or_b64 s[50:51], s[12:13], s[18:19]
	s_andn2_b64 exec, exec, s[48:49]
	s_cbranch_execz .LBB632_1434
.LBB632_1432:                           ;   Parent Loop BB632_1384 Depth=1
                                        ; =>  This Inner Loop Header: Depth=2
	flat_load_ushort v22, v[16:17]
	flat_load_ushort v23, v[14:15]
	s_andn2_b64 s[58:59], s[16:17], exec
	s_andn2_b64 s[54:55], s[54:55], exec
	s_or_b64 s[52:53], s[52:53], exec
	s_waitcnt vmcnt(0) lgkmcnt(0)
	v_cmp_le_i16_e64 s[16:17], v22, v23
	v_cmp_lt_i16_e64 s[12:13], v22, v23
	s_and_b64 s[16:17], s[16:17], s[56:57]
	s_or_b64 s[60:61], s[12:13], s[16:17]
	s_and_b64 s[12:13], s[60:61], exec
	v_cmp_eq_u16_e64 s[18:19], v22, v23
	s_or_b64 s[16:17], s[58:59], s[12:13]
	s_and_saveexec_b64 s[58:59], s[18:19]
	s_cbranch_execz .LBB632_1431
; %bb.1433:                             ;   in Loop: Header=BB632_1432 Depth=2
	v_lshl_add_u64 v[18:19], v[18:19], 0, -1
	v_cmp_eq_u64_e64 s[12:13], 0, v[18:19]
	s_andn2_b64 s[18:19], s[54:55], exec
	s_and_b64 s[54:55], s[60:61], exec
	s_or_b64 s[54:55], s[18:19], s[54:55]
	s_andn2_b64 s[18:19], s[52:53], exec
	s_and_b64 s[12:13], s[12:13], exec
	v_lshl_add_u64 v[14:15], v[14:15], 0, 2
	v_lshl_add_u64 v[16:17], v[16:17], 0, 2
	s_andn2_b64 s[16:17], s[16:17], exec
	s_or_b64 s[52:53], s[18:19], s[12:13]
                                        ; implicit-def: $sgpr56_sgpr57
	s_branch .LBB632_1431
.LBB632_1434:                           ;   in Loop: Header=BB632_1384 Depth=1
	s_or_b64 exec, exec, s[48:49]
	s_xor_b64 s[12:13], s[50:51], -1
	s_orn2_b64 s[12:13], s[12:13], exec
.LBB632_1435:                           ;   in Loop: Header=BB632_1384 Depth=1
	s_or_b64 exec, exec, s[46:47]
	s_and_b64 s[16:17], s[12:13], exec
.LBB632_1436:                           ;   in Loop: Header=BB632_1384 Depth=1
	s_or_b64 exec, exec, s[42:43]
	s_orn2_b64 s[42:43], s[16:17], exec
.LBB632_1437:                           ;   in Loop: Header=BB632_1384 Depth=1
	s_or_b64 exec, exec, s[44:45]
	v_cndmask_b32_e64 v14, v20, v21, s[42:43]
	v_cndmask_b32_e64 v15, v1, v70, s[42:43]
	v_add_u32_e32 v16, 1, v14
	v_add_u32_e32 v14, -1, v15
	v_min_u32_e32 v66, v16, v14
	v_lshl_add_u64 v[14:15], v[66:67], 3, v[10:11]
	flat_load_dwordx2 v[14:15], v[14:15]
	v_cndmask_b32_e64 v20, v16, v20, s[42:43]
	v_cndmask_b32_e64 v21, v21, v16, s[42:43]
	v_cmp_lt_u32_e64 s[12:13], v20, v1
	s_waitcnt vmcnt(0) lgkmcnt(0)
	v_cndmask_b32_e64 v96, v15, v84, s[42:43]
	v_cndmask_b32_e64 v97, v14, v85, s[42:43]
	;; [unrolled: 1-line block ×4, first 2 shown]
	s_and_saveexec_b64 s[44:45], s[12:13]
	s_cbranch_execz .LBB632_1447
; %bb.1438:                             ;   in Loop: Header=BB632_1384 Depth=1
	v_cmp_lt_u32_e64 s[12:13], v21, v70
	s_mov_b64 s[16:17], 0
	s_and_saveexec_b64 s[36:37], s[12:13]
	s_cbranch_execz .LBB632_1446
; %bb.1439:                             ;   in Loop: Header=BB632_1384 Depth=1
	s_mov_b64 s[12:13], -1
	s_and_saveexec_b64 s[46:47], s[8:9]
	s_cbranch_execz .LBB632_1445
; %bb.1440:                             ;   in Loop: Header=BB632_1384 Depth=1
	v_mad_u64_u32 v[14:15], s[12:13], v64, v99, v[8:9]
	v_mul_lo_u32 v16, v64, v98
	v_mul_lo_u32 v17, v65, v99
	v_add3_u32 v15, v17, v15, v16
	v_mad_u64_u32 v[16:17], s[12:13], v64, v97, v[8:9]
	v_mul_lo_u32 v18, v64, v96
	v_mul_lo_u32 v19, v65, v97
	v_add3_u32 v17, v19, v17, v18
	s_mov_b64 s[48:49], 0
	v_mov_b64_e32 v[18:19], v[6:7]
                                        ; implicit-def: $sgpr50_sgpr51
                                        ; implicit-def: $sgpr52_sgpr53
                                        ; implicit-def: $sgpr16_sgpr17
                                        ; implicit-def: $sgpr54_sgpr55
                                        ; implicit-def: $sgpr56_sgpr57
	s_branch .LBB632_1442
.LBB632_1441:                           ;   in Loop: Header=BB632_1442 Depth=2
	s_or_b64 exec, exec, s[58:59]
	s_and_b64 s[12:13], exec, s[52:53]
	s_or_b64 s[48:49], s[12:13], s[48:49]
	s_andn2_b64 s[12:13], s[56:57], exec
	s_and_b64 s[18:19], s[54:55], exec
	s_or_b64 s[56:57], s[12:13], s[18:19]
	s_andn2_b64 s[12:13], s[50:51], exec
	s_and_b64 s[18:19], s[16:17], exec
	s_or_b64 s[50:51], s[12:13], s[18:19]
	s_andn2_b64 exec, exec, s[48:49]
	s_cbranch_execz .LBB632_1444
.LBB632_1442:                           ;   Parent Loop BB632_1384 Depth=1
                                        ; =>  This Inner Loop Header: Depth=2
	flat_load_ushort v22, v[16:17]
	flat_load_ushort v23, v[14:15]
	s_andn2_b64 s[58:59], s[16:17], exec
	s_andn2_b64 s[54:55], s[54:55], exec
	s_or_b64 s[52:53], s[52:53], exec
	s_waitcnt vmcnt(0) lgkmcnt(0)
	v_cmp_le_i16_e64 s[16:17], v22, v23
	v_cmp_lt_i16_e64 s[12:13], v22, v23
	s_and_b64 s[16:17], s[16:17], s[56:57]
	s_or_b64 s[60:61], s[12:13], s[16:17]
	s_and_b64 s[12:13], s[60:61], exec
	v_cmp_eq_u16_e64 s[18:19], v22, v23
	s_or_b64 s[16:17], s[58:59], s[12:13]
	s_and_saveexec_b64 s[58:59], s[18:19]
	s_cbranch_execz .LBB632_1441
; %bb.1443:                             ;   in Loop: Header=BB632_1442 Depth=2
	v_lshl_add_u64 v[18:19], v[18:19], 0, -1
	v_cmp_eq_u64_e64 s[12:13], 0, v[18:19]
	s_andn2_b64 s[18:19], s[54:55], exec
	s_and_b64 s[54:55], s[60:61], exec
	s_or_b64 s[54:55], s[18:19], s[54:55]
	s_andn2_b64 s[18:19], s[52:53], exec
	s_and_b64 s[12:13], s[12:13], exec
	v_lshl_add_u64 v[14:15], v[14:15], 0, 2
	v_lshl_add_u64 v[16:17], v[16:17], 0, 2
	s_andn2_b64 s[16:17], s[16:17], exec
	s_or_b64 s[52:53], s[18:19], s[12:13]
                                        ; implicit-def: $sgpr56_sgpr57
	s_branch .LBB632_1441
.LBB632_1444:                           ;   in Loop: Header=BB632_1384 Depth=1
	s_or_b64 exec, exec, s[48:49]
	s_xor_b64 s[12:13], s[50:51], -1
	s_orn2_b64 s[12:13], s[12:13], exec
.LBB632_1445:                           ;   in Loop: Header=BB632_1384 Depth=1
	s_or_b64 exec, exec, s[46:47]
	s_and_b64 s[16:17], s[12:13], exec
.LBB632_1446:                           ;   in Loop: Header=BB632_1384 Depth=1
	s_or_b64 exec, exec, s[36:37]
	s_orn2_b64 s[36:37], s[16:17], exec
.LBB632_1447:                           ;   in Loop: Header=BB632_1384 Depth=1
	s_or_b64 exec, exec, s[44:45]
	v_cndmask_b32_e64 v14, v20, v21, s[36:37]
	v_cndmask_b32_e64 v15, v1, v70, s[36:37]
	v_add_u32_e32 v16, 1, v14
	v_add_u32_e32 v14, -1, v15
	v_min_u32_e32 v66, v16, v14
	v_lshl_add_u64 v[14:15], v[66:67], 3, v[10:11]
	flat_load_dwordx2 v[14:15], v[14:15]
	v_cndmask_b32_e64 v20, v16, v20, s[36:37]
	s_mov_b64 s[44:45], -1
	v_cndmask_b32_e64 v21, v21, v16, s[36:37]
	v_cmp_lt_u32_e64 s[12:13], v20, v1
	s_mov_b64 s[46:47], -1
	s_waitcnt vmcnt(0) lgkmcnt(0)
	v_cndmask_b32_e64 v100, v15, v96, s[36:37]
	v_cndmask_b32_e64 v101, v14, v97, s[36:37]
	;; [unrolled: 1-line block ×4, first 2 shown]
	s_and_saveexec_b64 s[48:49], s[12:13]
	s_cbranch_execz .LBB632_1457
; %bb.1448:                             ;   in Loop: Header=BB632_1384 Depth=1
	v_cmp_lt_u32_e64 s[12:13], v21, v70
	s_mov_b64 s[16:17], 0
	s_and_saveexec_b64 s[46:47], s[12:13]
	s_cbranch_execz .LBB632_1456
; %bb.1449:                             ;   in Loop: Header=BB632_1384 Depth=1
	s_mov_b64 s[12:13], -1
	s_and_saveexec_b64 s[50:51], s[8:9]
	s_cbranch_execz .LBB632_1455
; %bb.1450:                             ;   in Loop: Header=BB632_1384 Depth=1
	v_mad_u64_u32 v[14:15], s[12:13], v64, v103, v[8:9]
	v_mul_lo_u32 v16, v64, v102
	v_mul_lo_u32 v17, v65, v103
	v_add3_u32 v15, v17, v15, v16
	v_mad_u64_u32 v[16:17], s[12:13], v64, v101, v[8:9]
	v_mul_lo_u32 v18, v64, v100
	v_mul_lo_u32 v19, v65, v101
	v_add3_u32 v17, v19, v17, v18
	s_mov_b64 s[52:53], 0
	v_mov_b64_e32 v[18:19], v[6:7]
                                        ; implicit-def: $sgpr54_sgpr55
                                        ; implicit-def: $sgpr56_sgpr57
                                        ; implicit-def: $sgpr16_sgpr17
                                        ; implicit-def: $sgpr58_sgpr59
                                        ; implicit-def: $sgpr60_sgpr61
	s_branch .LBB632_1452
.LBB632_1451:                           ;   in Loop: Header=BB632_1452 Depth=2
	s_or_b64 exec, exec, s[62:63]
	s_and_b64 s[12:13], exec, s[56:57]
	s_or_b64 s[52:53], s[12:13], s[52:53]
	s_andn2_b64 s[12:13], s[60:61], exec
	s_and_b64 s[18:19], s[58:59], exec
	s_or_b64 s[60:61], s[12:13], s[18:19]
	s_andn2_b64 s[12:13], s[54:55], exec
	s_and_b64 s[18:19], s[16:17], exec
	s_or_b64 s[54:55], s[12:13], s[18:19]
	s_andn2_b64 exec, exec, s[52:53]
	s_cbranch_execz .LBB632_1454
.LBB632_1452:                           ;   Parent Loop BB632_1384 Depth=1
                                        ; =>  This Inner Loop Header: Depth=2
	flat_load_ushort v22, v[16:17]
	flat_load_ushort v23, v[14:15]
	s_andn2_b64 s[62:63], s[16:17], exec
	s_andn2_b64 s[58:59], s[58:59], exec
	s_or_b64 s[56:57], s[56:57], exec
	s_waitcnt vmcnt(0) lgkmcnt(0)
	v_cmp_le_i16_e64 s[16:17], v22, v23
	v_cmp_lt_i16_e64 s[12:13], v22, v23
	s_and_b64 s[16:17], s[16:17], s[60:61]
	s_or_b64 s[64:65], s[12:13], s[16:17]
	s_and_b64 s[12:13], s[64:65], exec
	v_cmp_eq_u16_e64 s[18:19], v22, v23
	s_or_b64 s[16:17], s[62:63], s[12:13]
	s_and_saveexec_b64 s[62:63], s[18:19]
	s_cbranch_execz .LBB632_1451
; %bb.1453:                             ;   in Loop: Header=BB632_1452 Depth=2
	v_lshl_add_u64 v[18:19], v[18:19], 0, -1
	v_cmp_eq_u64_e64 s[12:13], 0, v[18:19]
	s_andn2_b64 s[18:19], s[58:59], exec
	s_and_b64 s[58:59], s[64:65], exec
	s_or_b64 s[58:59], s[18:19], s[58:59]
	s_andn2_b64 s[18:19], s[56:57], exec
	s_and_b64 s[12:13], s[12:13], exec
	v_lshl_add_u64 v[14:15], v[14:15], 0, 2
	v_lshl_add_u64 v[16:17], v[16:17], 0, 2
	s_andn2_b64 s[16:17], s[16:17], exec
	s_or_b64 s[56:57], s[18:19], s[12:13]
                                        ; implicit-def: $sgpr60_sgpr61
	s_branch .LBB632_1451
.LBB632_1454:                           ;   in Loop: Header=BB632_1384 Depth=1
	s_or_b64 exec, exec, s[52:53]
	s_xor_b64 s[12:13], s[54:55], -1
	s_orn2_b64 s[12:13], s[12:13], exec
.LBB632_1455:                           ;   in Loop: Header=BB632_1384 Depth=1
	s_or_b64 exec, exec, s[50:51]
	s_and_b64 s[16:17], s[12:13], exec
.LBB632_1456:                           ;   in Loop: Header=BB632_1384 Depth=1
	s_or_b64 exec, exec, s[46:47]
	s_orn2_b64 s[46:47], s[16:17], exec
.LBB632_1457:                           ;   in Loop: Header=BB632_1384 Depth=1
	s_or_b64 exec, exec, s[48:49]
	v_cndmask_b32_e64 v14, v20, v21, s[46:47]
	v_cndmask_b32_e64 v15, v1, v70, s[46:47]
	v_add_u32_e32 v16, 1, v14
	v_add_u32_e32 v14, -1, v15
	v_min_u32_e32 v66, v16, v14
	v_lshl_add_u64 v[14:15], v[66:67], 3, v[10:11]
	flat_load_dwordx2 v[14:15], v[14:15]
	v_cndmask_b32_e64 v22, v16, v20, s[46:47]
	v_cndmask_b32_e64 v20, v21, v16, s[46:47]
	v_cmp_lt_u32_e64 s[12:13], v22, v1
	s_waitcnt vmcnt(0) lgkmcnt(0)
	v_cndmask_b32_e64 v112, v15, v100, s[46:47]
	v_cndmask_b32_e64 v113, v14, v101, s[46:47]
	;; [unrolled: 1-line block ×4, first 2 shown]
	s_and_saveexec_b64 s[48:49], s[12:13]
	s_cbranch_execz .LBB632_1467
; %bb.1458:                             ;   in Loop: Header=BB632_1384 Depth=1
	v_cmp_lt_u32_e64 s[12:13], v20, v70
	s_mov_b64 s[16:17], 0
	s_and_saveexec_b64 s[44:45], s[12:13]
	s_cbranch_execz .LBB632_1466
; %bb.1459:                             ;   in Loop: Header=BB632_1384 Depth=1
	s_mov_b64 s[12:13], -1
	s_and_saveexec_b64 s[50:51], s[8:9]
	s_cbranch_execz .LBB632_1465
; %bb.1460:                             ;   in Loop: Header=BB632_1384 Depth=1
	v_mad_u64_u32 v[14:15], s[12:13], v64, v115, v[8:9]
	v_mul_lo_u32 v16, v64, v114
	v_mul_lo_u32 v17, v65, v115
	v_add3_u32 v15, v17, v15, v16
	v_mad_u64_u32 v[16:17], s[12:13], v64, v113, v[8:9]
	v_mul_lo_u32 v18, v64, v112
	v_mul_lo_u32 v19, v65, v113
	v_add3_u32 v17, v19, v17, v18
	s_mov_b64 s[52:53], 0
	v_mov_b64_e32 v[18:19], v[6:7]
                                        ; implicit-def: $sgpr54_sgpr55
                                        ; implicit-def: $sgpr56_sgpr57
                                        ; implicit-def: $sgpr16_sgpr17
                                        ; implicit-def: $sgpr58_sgpr59
                                        ; implicit-def: $sgpr60_sgpr61
	s_branch .LBB632_1462
.LBB632_1461:                           ;   in Loop: Header=BB632_1462 Depth=2
	s_or_b64 exec, exec, s[62:63]
	s_and_b64 s[12:13], exec, s[56:57]
	s_or_b64 s[52:53], s[12:13], s[52:53]
	s_andn2_b64 s[12:13], s[60:61], exec
	s_and_b64 s[18:19], s[58:59], exec
	s_or_b64 s[60:61], s[12:13], s[18:19]
	s_andn2_b64 s[12:13], s[54:55], exec
	s_and_b64 s[18:19], s[16:17], exec
	s_or_b64 s[54:55], s[12:13], s[18:19]
	s_andn2_b64 exec, exec, s[52:53]
	s_cbranch_execz .LBB632_1464
.LBB632_1462:                           ;   Parent Loop BB632_1384 Depth=1
                                        ; =>  This Inner Loop Header: Depth=2
	flat_load_ushort v21, v[16:17]
	flat_load_ushort v23, v[14:15]
	s_andn2_b64 s[62:63], s[16:17], exec
	s_andn2_b64 s[58:59], s[58:59], exec
	s_or_b64 s[56:57], s[56:57], exec
	s_waitcnt vmcnt(0) lgkmcnt(0)
	v_cmp_le_i16_e64 s[16:17], v21, v23
	v_cmp_lt_i16_e64 s[12:13], v21, v23
	s_and_b64 s[16:17], s[16:17], s[60:61]
	s_or_b64 s[64:65], s[12:13], s[16:17]
	s_and_b64 s[12:13], s[64:65], exec
	v_cmp_eq_u16_e64 s[18:19], v21, v23
	s_or_b64 s[16:17], s[62:63], s[12:13]
	s_and_saveexec_b64 s[62:63], s[18:19]
	s_cbranch_execz .LBB632_1461
; %bb.1463:                             ;   in Loop: Header=BB632_1462 Depth=2
	v_lshl_add_u64 v[18:19], v[18:19], 0, -1
	v_cmp_eq_u64_e64 s[12:13], 0, v[18:19]
	s_andn2_b64 s[18:19], s[58:59], exec
	s_and_b64 s[58:59], s[64:65], exec
	s_or_b64 s[58:59], s[18:19], s[58:59]
	s_andn2_b64 s[18:19], s[56:57], exec
	s_and_b64 s[12:13], s[12:13], exec
	v_lshl_add_u64 v[14:15], v[14:15], 0, 2
	v_lshl_add_u64 v[16:17], v[16:17], 0, 2
	s_andn2_b64 s[16:17], s[16:17], exec
	s_or_b64 s[56:57], s[18:19], s[12:13]
                                        ; implicit-def: $sgpr60_sgpr61
	s_branch .LBB632_1461
.LBB632_1464:                           ;   in Loop: Header=BB632_1384 Depth=1
	s_or_b64 exec, exec, s[52:53]
	s_xor_b64 s[12:13], s[54:55], -1
	s_orn2_b64 s[12:13], s[12:13], exec
.LBB632_1465:                           ;   in Loop: Header=BB632_1384 Depth=1
	s_or_b64 exec, exec, s[50:51]
	s_and_b64 s[16:17], s[12:13], exec
.LBB632_1466:                           ;   in Loop: Header=BB632_1384 Depth=1
	s_or_b64 exec, exec, s[44:45]
	s_orn2_b64 s[44:45], s[16:17], exec
.LBB632_1467:                           ;   in Loop: Header=BB632_1384 Depth=1
	s_or_b64 exec, exec, s[48:49]
	v_cndmask_b32_e64 v14, v22, v20, s[44:45]
	v_cndmask_b32_e64 v15, v1, v70, s[44:45]
	v_add_u32_e32 v18, 1, v14
	v_add_u32_e32 v14, -1, v15
	v_min_u32_e32 v66, v18, v14
	v_lshl_add_u64 v[14:15], v[66:67], 3, v[10:11]
	flat_load_dwordx2 v[16:17], v[14:15]
	v_cndmask_b32_e64 v19, v18, v22, s[44:45]
	v_cmp_lt_u32_e64 s[12:13], v19, v1
	s_waitcnt vmcnt(0) lgkmcnt(0)
	v_cndmask_b32_e64 v15, v114, v17, s[44:45]
	v_cndmask_b32_e64 v14, v115, v16, s[44:45]
	s_and_saveexec_b64 s[48:49], s[12:13]
	s_cbranch_execz .LBB632_1382
; %bb.1468:                             ;   in Loop: Header=BB632_1384 Depth=1
	v_cndmask_b32_e64 v1, v20, v18, s[44:45]
	v_cndmask_b32_e64 v17, v17, v112, s[44:45]
	;; [unrolled: 1-line block ×3, first 2 shown]
	v_cmp_lt_u32_e64 s[12:13], v1, v70
	s_and_saveexec_b64 s[50:51], s[12:13]
	s_cbranch_execz .LBB632_1381
; %bb.1469:                             ;   in Loop: Header=BB632_1384 Depth=1
	s_and_saveexec_b64 s[52:53], s[8:9]
	s_cbranch_execz .LBB632_1380
; %bb.1470:                             ;   in Loop: Header=BB632_1384 Depth=1
	v_mad_u64_u32 v[18:19], s[12:13], v64, v14, v[8:9]
	v_mul_lo_u32 v1, v64, v15
	v_mul_lo_u32 v20, v65, v14
	v_add3_u32 v19, v20, v19, v1
	v_mad_u64_u32 v[20:21], s[12:13], v64, v16, v[8:9]
	v_mul_lo_u32 v1, v64, v17
	v_mul_lo_u32 v22, v65, v16
	v_add3_u32 v21, v22, v21, v1
	s_mov_b64 s[54:55], 0
	v_mov_b64_e32 v[22:23], v[6:7]
                                        ; implicit-def: $sgpr56_sgpr57
                                        ; implicit-def: $sgpr58_sgpr59
                                        ; implicit-def: $sgpr16_sgpr17
                                        ; implicit-def: $sgpr60_sgpr61
                                        ; implicit-def: $sgpr62_sgpr63
	s_branch .LBB632_1472
.LBB632_1471:                           ;   in Loop: Header=BB632_1472 Depth=2
	s_or_b64 exec, exec, s[64:65]
	s_and_b64 s[12:13], exec, s[58:59]
	s_or_b64 s[54:55], s[12:13], s[54:55]
	s_andn2_b64 s[12:13], s[62:63], exec
	s_and_b64 s[18:19], s[60:61], exec
	s_or_b64 s[62:63], s[12:13], s[18:19]
	s_andn2_b64 s[12:13], s[56:57], exec
	s_and_b64 s[18:19], s[16:17], exec
	s_or_b64 s[56:57], s[12:13], s[18:19]
	s_andn2_b64 exec, exec, s[54:55]
	s_cbranch_execz .LBB632_1379
.LBB632_1472:                           ;   Parent Loop BB632_1384 Depth=1
                                        ; =>  This Inner Loop Header: Depth=2
	flat_load_ushort v1, v[20:21]
	flat_load_ushort v66, v[18:19]
	s_andn2_b64 s[64:65], s[16:17], exec
	s_andn2_b64 s[60:61], s[60:61], exec
	s_or_b64 s[58:59], s[58:59], exec
	s_waitcnt vmcnt(0) lgkmcnt(0)
	v_cmp_le_i16_e64 s[16:17], v1, v66
	v_cmp_lt_i16_e64 s[12:13], v1, v66
	s_and_b64 s[16:17], s[16:17], s[62:63]
	s_or_b64 s[66:67], s[12:13], s[16:17]
	s_and_b64 s[12:13], s[66:67], exec
	v_cmp_eq_u16_e64 s[18:19], v1, v66
	s_or_b64 s[16:17], s[64:65], s[12:13]
	s_and_saveexec_b64 s[64:65], s[18:19]
	s_cbranch_execz .LBB632_1471
; %bb.1473:                             ;   in Loop: Header=BB632_1472 Depth=2
	v_lshl_add_u64 v[22:23], v[22:23], 0, -1
	v_cmp_eq_u64_e64 s[12:13], 0, v[22:23]
	s_andn2_b64 s[18:19], s[60:61], exec
	s_and_b64 s[60:61], s[66:67], exec
	s_or_b64 s[60:61], s[18:19], s[60:61]
	s_andn2_b64 s[18:19], s[58:59], exec
	s_and_b64 s[12:13], s[12:13], exec
	v_lshl_add_u64 v[18:19], v[18:19], 0, 2
	v_lshl_add_u64 v[20:21], v[20:21], 0, 2
	s_andn2_b64 s[16:17], s[16:17], exec
	s_or_b64 s[58:59], s[18:19], s[12:13]
                                        ; implicit-def: $sgpr62_sgpr63
	s_branch .LBB632_1471
.LBB632_1474:
	s_or_b64 exec, exec, s[22:23]
.LBB632_1475:
	s_or_b64 exec, exec, s[20:21]
	s_barrier
	flat_store_dwordx4 v[54:55], v[24:27]
	flat_store_dwordx4 v[54:55], v[20:23] offset:16
	flat_store_dwordx4 v[54:55], v[16:19] offset:32
	;; [unrolled: 1-line block ×3, first 2 shown]
	s_waitcnt lgkmcnt(0)
	s_barrier
	flat_load_dwordx2 v[18:19], v[32:33] offset:2048
	flat_load_dwordx2 v[16:17], v[34:35]
	flat_load_dwordx2 v[14:15], v[36:37]
	;; [unrolled: 1-line block ×6, first 2 shown]
	v_mov_b32_e32 v31, 0
	v_lshl_add_u64 v[8:9], v[4:5], 0, v[30:31]
	s_and_saveexec_b64 s[8:9], vcc
	s_cbranch_execnz .LBB632_1484
; %bb.1476:
	s_or_b64 exec, exec, s[8:9]
	s_and_saveexec_b64 s[8:9], s[0:1]
	s_cbranch_execnz .LBB632_1485
.LBB632_1477:
	s_or_b64 exec, exec, s[8:9]
	s_and_saveexec_b64 s[0:1], s[2:3]
	s_cbranch_execnz .LBB632_1486
.LBB632_1478:
	s_or_b64 exec, exec, s[0:1]
	s_and_saveexec_b64 s[0:1], s[4:5]
	s_cbranch_execnz .LBB632_1487
.LBB632_1479:
	s_or_b64 exec, exec, s[0:1]
	s_and_saveexec_b64 s[0:1], s[6:7]
	s_cbranch_execnz .LBB632_1488
.LBB632_1480:
	s_or_b64 exec, exec, s[0:1]
	s_and_saveexec_b64 s[0:1], s[30:31]
	s_cbranch_execnz .LBB632_1489
.LBB632_1481:
	s_or_b64 exec, exec, s[0:1]
	s_and_saveexec_b64 s[0:1], s[10:11]
	s_cbranch_execz .LBB632_1483
.LBB632_1482:
	v_add_co_u32_e32 v2, vcc, 0x3000, v8
	s_nop 1
	v_addc_co_u32_e32 v3, vcc, 0, v9, vcc
	s_waitcnt vmcnt(0) lgkmcnt(0)
	flat_store_dwordx2 v[2:3], v[0:1]
.LBB632_1483:
	s_or_b64 exec, exec, s[0:1]
	s_andn2_b64 s[0:1], s[38:39], exec
	s_and_b64 s[2:3], s[14:15], exec
	s_or_b64 s[38:39], s[0:1], s[2:3]
	s_or_b64 exec, exec, s[40:41]
	s_and_saveexec_b64 s[0:1], s[38:39]
	s_cbranch_execnz .LBB632_3
	s_branch .LBB632_4
.LBB632_1484:
	flat_load_dwordx2 v[2:3], v[2:3]
	s_waitcnt vmcnt(0) lgkmcnt(0)
	flat_store_dwordx2 v[8:9], v[2:3]
	s_or_b64 exec, exec, s[8:9]
	s_and_saveexec_b64 s[8:9], s[0:1]
	s_cbranch_execz .LBB632_1477
.LBB632_1485:
	s_waitcnt vmcnt(0) lgkmcnt(0)
	flat_store_dwordx2 v[8:9], v[18:19] offset:2048
	s_or_b64 exec, exec, s[8:9]
	s_and_saveexec_b64 s[0:1], s[2:3]
	s_cbranch_execz .LBB632_1478
.LBB632_1486:
	v_add_co_u32_e32 v2, vcc, 0x1000, v8
	s_nop 1
	v_addc_co_u32_e32 v3, vcc, 0, v9, vcc
	s_waitcnt vmcnt(0) lgkmcnt(0)
	flat_store_dwordx2 v[2:3], v[16:17]
	s_or_b64 exec, exec, s[0:1]
	s_and_saveexec_b64 s[0:1], s[4:5]
	s_cbranch_execz .LBB632_1479
.LBB632_1487:
	v_add_co_u32_e32 v2, vcc, 0x1000, v8
	s_nop 1
	v_addc_co_u32_e32 v3, vcc, 0, v9, vcc
	s_waitcnt vmcnt(0) lgkmcnt(0)
	flat_store_dwordx2 v[2:3], v[14:15] offset:2048
	s_or_b64 exec, exec, s[0:1]
	s_and_saveexec_b64 s[0:1], s[6:7]
	s_cbranch_execz .LBB632_1480
.LBB632_1488:
	v_add_co_u32_e32 v2, vcc, 0x2000, v8
	s_nop 1
	v_addc_co_u32_e32 v3, vcc, 0, v9, vcc
	s_waitcnt vmcnt(0) lgkmcnt(0)
	flat_store_dwordx2 v[2:3], v[10:11]
	s_or_b64 exec, exec, s[0:1]
	s_and_saveexec_b64 s[0:1], s[30:31]
	s_cbranch_execz .LBB632_1481
.LBB632_1489:
	v_add_co_u32_e32 v2, vcc, 0x2000, v8
	s_nop 1
	v_addc_co_u32_e32 v3, vcc, 0, v9, vcc
	s_waitcnt vmcnt(0) lgkmcnt(0)
	flat_store_dwordx2 v[2:3], v[6:7] offset:2048
	s_or_b64 exec, exec, s[0:1]
	s_and_saveexec_b64 s[0:1], s[10:11]
	s_cbranch_execnz .LBB632_1482
	s_branch .LBB632_1483
.Lfunc_end632:
	.size	_ZN7rocprim17ROCPRIM_400000_NS6detail15block_sort_implIlNS0_10empty_typeELj256ELj8ELNS0_4arch9wavefront6targetE1EvE4sortIPlS9_PS3_SA_ZN2at6native12_GLOBAL__N_124unique_dim_cuda_templateIsEESt5tupleIJNSB_6TensorESG_SG_EERKSG_lbbbEUlllE_EEvjbT_T0_T1_T2_T3_RNS7_12storage_typeE, .Lfunc_end632-_ZN7rocprim17ROCPRIM_400000_NS6detail15block_sort_implIlNS0_10empty_typeELj256ELj8ELNS0_4arch9wavefront6targetE1EvE4sortIPlS9_PS3_SA_ZN2at6native12_GLOBAL__N_124unique_dim_cuda_templateIsEESt5tupleIJNSB_6TensorESG_SG_EERKSG_lbbbEUlllE_EEvjbT_T0_T1_T2_T3_RNS7_12storage_typeE
                                        ; -- End function
	.section	.AMDGPU.csdata,"",@progbits
; Function info:
; codeLenInByte = 67096
; NumSgprs: 75
; NumVgprs: 129
; NumAgprs: 0
; TotalNumVgprs: 129
; ScratchSize: 8
; MemoryBound: 1
	.section	.text._ZN7rocprim17ROCPRIM_400000_NS6detail17trampoline_kernelINS0_14default_configENS1_37merge_sort_block_sort_config_selectorIlNS0_10empty_typeEEEZNS1_21merge_sort_block_sortIS3_PlS8_PS5_S9_ZN2at6native12_GLOBAL__N_124unique_dim_cuda_templateIsEESt5tupleIJNSA_6TensorESF_SF_EERKSF_lbbbEUlllE_EE10hipError_tT0_T1_T2_T3_mRjT4_P12ihipStream_tbNS1_7vsmem_tEEUlT_E_NS1_11comp_targetILNS1_3genE5ELNS1_11target_archE942ELNS1_3gpuE9ELNS1_3repE0EEENS1_30default_config_static_selectorELNS0_4arch9wavefront6targetE1EEEvSM_,"axG",@progbits,_ZN7rocprim17ROCPRIM_400000_NS6detail17trampoline_kernelINS0_14default_configENS1_37merge_sort_block_sort_config_selectorIlNS0_10empty_typeEEEZNS1_21merge_sort_block_sortIS3_PlS8_PS5_S9_ZN2at6native12_GLOBAL__N_124unique_dim_cuda_templateIsEESt5tupleIJNSA_6TensorESF_SF_EERKSF_lbbbEUlllE_EE10hipError_tT0_T1_T2_T3_mRjT4_P12ihipStream_tbNS1_7vsmem_tEEUlT_E_NS1_11comp_targetILNS1_3genE5ELNS1_11target_archE942ELNS1_3gpuE9ELNS1_3repE0EEENS1_30default_config_static_selectorELNS0_4arch9wavefront6targetE1EEEvSM_,comdat
	.globl	_ZN7rocprim17ROCPRIM_400000_NS6detail17trampoline_kernelINS0_14default_configENS1_37merge_sort_block_sort_config_selectorIlNS0_10empty_typeEEEZNS1_21merge_sort_block_sortIS3_PlS8_PS5_S9_ZN2at6native12_GLOBAL__N_124unique_dim_cuda_templateIsEESt5tupleIJNSA_6TensorESF_SF_EERKSF_lbbbEUlllE_EE10hipError_tT0_T1_T2_T3_mRjT4_P12ihipStream_tbNS1_7vsmem_tEEUlT_E_NS1_11comp_targetILNS1_3genE5ELNS1_11target_archE942ELNS1_3gpuE9ELNS1_3repE0EEENS1_30default_config_static_selectorELNS0_4arch9wavefront6targetE1EEEvSM_ ; -- Begin function _ZN7rocprim17ROCPRIM_400000_NS6detail17trampoline_kernelINS0_14default_configENS1_37merge_sort_block_sort_config_selectorIlNS0_10empty_typeEEEZNS1_21merge_sort_block_sortIS3_PlS8_PS5_S9_ZN2at6native12_GLOBAL__N_124unique_dim_cuda_templateIsEESt5tupleIJNSA_6TensorESF_SF_EERKSF_lbbbEUlllE_EE10hipError_tT0_T1_T2_T3_mRjT4_P12ihipStream_tbNS1_7vsmem_tEEUlT_E_NS1_11comp_targetILNS1_3genE5ELNS1_11target_archE942ELNS1_3gpuE9ELNS1_3repE0EEENS1_30default_config_static_selectorELNS0_4arch9wavefront6targetE1EEEvSM_
	.p2align	8
	.type	_ZN7rocprim17ROCPRIM_400000_NS6detail17trampoline_kernelINS0_14default_configENS1_37merge_sort_block_sort_config_selectorIlNS0_10empty_typeEEEZNS1_21merge_sort_block_sortIS3_PlS8_PS5_S9_ZN2at6native12_GLOBAL__N_124unique_dim_cuda_templateIsEESt5tupleIJNSA_6TensorESF_SF_EERKSF_lbbbEUlllE_EE10hipError_tT0_T1_T2_T3_mRjT4_P12ihipStream_tbNS1_7vsmem_tEEUlT_E_NS1_11comp_targetILNS1_3genE5ELNS1_11target_archE942ELNS1_3gpuE9ELNS1_3repE0EEENS1_30default_config_static_selectorELNS0_4arch9wavefront6targetE1EEEvSM_,@function
_ZN7rocprim17ROCPRIM_400000_NS6detail17trampoline_kernelINS0_14default_configENS1_37merge_sort_block_sort_config_selectorIlNS0_10empty_typeEEEZNS1_21merge_sort_block_sortIS3_PlS8_PS5_S9_ZN2at6native12_GLOBAL__N_124unique_dim_cuda_templateIsEESt5tupleIJNSA_6TensorESF_SF_EERKSF_lbbbEUlllE_EE10hipError_tT0_T1_T2_T3_mRjT4_P12ihipStream_tbNS1_7vsmem_tEEUlT_E_NS1_11comp_targetILNS1_3genE5ELNS1_11target_archE942ELNS1_3gpuE9ELNS1_3repE0EEENS1_30default_config_static_selectorELNS0_4arch9wavefront6targetE1EEEvSM_: ; @_ZN7rocprim17ROCPRIM_400000_NS6detail17trampoline_kernelINS0_14default_configENS1_37merge_sort_block_sort_config_selectorIlNS0_10empty_typeEEEZNS1_21merge_sort_block_sortIS3_PlS8_PS5_S9_ZN2at6native12_GLOBAL__N_124unique_dim_cuda_templateIsEESt5tupleIJNSA_6TensorESF_SF_EERKSF_lbbbEUlllE_EE10hipError_tT0_T1_T2_T3_mRjT4_P12ihipStream_tbNS1_7vsmem_tEEUlT_E_NS1_11comp_targetILNS1_3genE5ELNS1_11target_archE942ELNS1_3gpuE9ELNS1_3repE0EEENS1_30default_config_static_selectorELNS0_4arch9wavefront6targetE1EEEvSM_
; %bb.0:
	s_load_dwordx2 s[6:7], s[0:1], 0x48
	s_load_dword s5, s[0:1], 0x0
	s_mov_b32 s32, 0
	s_waitcnt lgkmcnt(0)
	s_mul_i32 s4, s7, s4
	s_add_i32 s4, s4, s3
	s_mul_i32 s4, s4, s6
	s_add_i32 s4, s4, s2
	s_cmp_ge_u32 s4, s5
	s_cbranch_scc1 .LBB633_2
; %bb.1:
	s_load_dwordx4 s[8:11], s[0:1], 0x18
	s_load_dwordx2 s[6:7], s[0:1], 0x8
	s_load_dwordx4 s[16:19], s[0:1], 0x38
	s_mov_b32 s5, 0
	s_lshl_b64 s[12:13], s[4:5], 14
	s_waitcnt lgkmcnt(0)
	s_add_u32 s10, s10, s12
	s_addc_u32 s11, s11, s13
	s_add_u32 s14, s8, s12
	s_addc_u32 s15, s9, s13
	s_lshr_b64 s[8:9], s[6:7], 11
	s_cmp_eq_u64 s[8:9], s[4:5]
	s_cselect_b64 s[8:9], -1, 0
	s_lshl_b32 s4, s4, 11
	s_sub_i32 s6, s6, s4
	v_cndmask_b32_e64 v1, 0, 1, s[8:9]
	s_add_u32 s8, s0, 0x48
	s_addc_u32 s9, s1, 0
	s_mov_b64 s[0:1], src_shared_base
	s_mov_b32 s12, s2
	s_mov_b32 s13, s3
	v_mov_b32_e32 v31, v0
	v_mov_b32_e32 v0, s6
	;; [unrolled: 1-line block ×12, first 2 shown]
	s_getpc_b64 s[4:5]
	s_add_u32 s4, s4, _ZN7rocprim17ROCPRIM_400000_NS6detail15block_sort_implIlNS0_10empty_typeELj256ELj8ELNS0_4arch9wavefront6targetE1EvE4sortIPlS9_PS3_SA_ZN2at6native12_GLOBAL__N_124unique_dim_cuda_templateIsEESt5tupleIJNSB_6TensorESG_SG_EERKSG_lbbbEUlllE_EEvjbT_T0_T1_T2_T3_RNS7_12storage_typeE@rel32@lo+4
	s_addc_u32 s5, s5, _ZN7rocprim17ROCPRIM_400000_NS6detail15block_sort_implIlNS0_10empty_typeELj256ELj8ELNS0_4arch9wavefront6targetE1EvE4sortIPlS9_PS3_SA_ZN2at6native12_GLOBAL__N_124unique_dim_cuda_templateIsEESt5tupleIJNSB_6TensorESG_SG_EERKSG_lbbbEUlllE_EEvjbT_T0_T1_T2_T3_RNS7_12storage_typeE@rel32@hi+12
	s_swappc_b64 s[30:31], s[4:5]
.LBB633_2:
	s_endpgm
	.section	.rodata,"a",@progbits
	.p2align	6, 0x0
	.amdhsa_kernel _ZN7rocprim17ROCPRIM_400000_NS6detail17trampoline_kernelINS0_14default_configENS1_37merge_sort_block_sort_config_selectorIlNS0_10empty_typeEEEZNS1_21merge_sort_block_sortIS3_PlS8_PS5_S9_ZN2at6native12_GLOBAL__N_124unique_dim_cuda_templateIsEESt5tupleIJNSA_6TensorESF_SF_EERKSF_lbbbEUlllE_EE10hipError_tT0_T1_T2_T3_mRjT4_P12ihipStream_tbNS1_7vsmem_tEEUlT_E_NS1_11comp_targetILNS1_3genE5ELNS1_11target_archE942ELNS1_3gpuE9ELNS1_3repE0EEENS1_30default_config_static_selectorELNS0_4arch9wavefront6targetE1EEEvSM_
		.amdhsa_group_segment_fixed_size 16896
		.amdhsa_private_segment_fixed_size 8
		.amdhsa_kernarg_size 328
		.amdhsa_user_sgpr_count 2
		.amdhsa_user_sgpr_dispatch_ptr 0
		.amdhsa_user_sgpr_queue_ptr 0
		.amdhsa_user_sgpr_kernarg_segment_ptr 1
		.amdhsa_user_sgpr_dispatch_id 0
		.amdhsa_user_sgpr_kernarg_preload_length 0
		.amdhsa_user_sgpr_kernarg_preload_offset 0
		.amdhsa_user_sgpr_private_segment_size 0
		.amdhsa_uses_dynamic_stack 0
		.amdhsa_enable_private_segment 1
		.amdhsa_system_sgpr_workgroup_id_x 1
		.amdhsa_system_sgpr_workgroup_id_y 1
		.amdhsa_system_sgpr_workgroup_id_z 1
		.amdhsa_system_sgpr_workgroup_info 0
		.amdhsa_system_vgpr_workitem_id 2
		.amdhsa_next_free_vgpr 129
		.amdhsa_next_free_sgpr 69
		.amdhsa_accum_offset 132
		.amdhsa_reserve_vcc 1
		.amdhsa_float_round_mode_32 0
		.amdhsa_float_round_mode_16_64 0
		.amdhsa_float_denorm_mode_32 3
		.amdhsa_float_denorm_mode_16_64 3
		.amdhsa_dx10_clamp 1
		.amdhsa_ieee_mode 1
		.amdhsa_fp16_overflow 0
		.amdhsa_tg_split 0
		.amdhsa_exception_fp_ieee_invalid_op 0
		.amdhsa_exception_fp_denorm_src 0
		.amdhsa_exception_fp_ieee_div_zero 0
		.amdhsa_exception_fp_ieee_overflow 0
		.amdhsa_exception_fp_ieee_underflow 0
		.amdhsa_exception_fp_ieee_inexact 0
		.amdhsa_exception_int_div_zero 0
	.end_amdhsa_kernel
	.section	.text._ZN7rocprim17ROCPRIM_400000_NS6detail17trampoline_kernelINS0_14default_configENS1_37merge_sort_block_sort_config_selectorIlNS0_10empty_typeEEEZNS1_21merge_sort_block_sortIS3_PlS8_PS5_S9_ZN2at6native12_GLOBAL__N_124unique_dim_cuda_templateIsEESt5tupleIJNSA_6TensorESF_SF_EERKSF_lbbbEUlllE_EE10hipError_tT0_T1_T2_T3_mRjT4_P12ihipStream_tbNS1_7vsmem_tEEUlT_E_NS1_11comp_targetILNS1_3genE5ELNS1_11target_archE942ELNS1_3gpuE9ELNS1_3repE0EEENS1_30default_config_static_selectorELNS0_4arch9wavefront6targetE1EEEvSM_,"axG",@progbits,_ZN7rocprim17ROCPRIM_400000_NS6detail17trampoline_kernelINS0_14default_configENS1_37merge_sort_block_sort_config_selectorIlNS0_10empty_typeEEEZNS1_21merge_sort_block_sortIS3_PlS8_PS5_S9_ZN2at6native12_GLOBAL__N_124unique_dim_cuda_templateIsEESt5tupleIJNSA_6TensorESF_SF_EERKSF_lbbbEUlllE_EE10hipError_tT0_T1_T2_T3_mRjT4_P12ihipStream_tbNS1_7vsmem_tEEUlT_E_NS1_11comp_targetILNS1_3genE5ELNS1_11target_archE942ELNS1_3gpuE9ELNS1_3repE0EEENS1_30default_config_static_selectorELNS0_4arch9wavefront6targetE1EEEvSM_,comdat
.Lfunc_end633:
	.size	_ZN7rocprim17ROCPRIM_400000_NS6detail17trampoline_kernelINS0_14default_configENS1_37merge_sort_block_sort_config_selectorIlNS0_10empty_typeEEEZNS1_21merge_sort_block_sortIS3_PlS8_PS5_S9_ZN2at6native12_GLOBAL__N_124unique_dim_cuda_templateIsEESt5tupleIJNSA_6TensorESF_SF_EERKSF_lbbbEUlllE_EE10hipError_tT0_T1_T2_T3_mRjT4_P12ihipStream_tbNS1_7vsmem_tEEUlT_E_NS1_11comp_targetILNS1_3genE5ELNS1_11target_archE942ELNS1_3gpuE9ELNS1_3repE0EEENS1_30default_config_static_selectorELNS0_4arch9wavefront6targetE1EEEvSM_, .Lfunc_end633-_ZN7rocprim17ROCPRIM_400000_NS6detail17trampoline_kernelINS0_14default_configENS1_37merge_sort_block_sort_config_selectorIlNS0_10empty_typeEEEZNS1_21merge_sort_block_sortIS3_PlS8_PS5_S9_ZN2at6native12_GLOBAL__N_124unique_dim_cuda_templateIsEESt5tupleIJNSA_6TensorESF_SF_EERKSF_lbbbEUlllE_EE10hipError_tT0_T1_T2_T3_mRjT4_P12ihipStream_tbNS1_7vsmem_tEEUlT_E_NS1_11comp_targetILNS1_3genE5ELNS1_11target_archE942ELNS1_3gpuE9ELNS1_3repE0EEENS1_30default_config_static_selectorELNS0_4arch9wavefront6targetE1EEEvSM_
                                        ; -- End function
	.section	.AMDGPU.csdata,"",@progbits
; Kernel info:
; codeLenInByte = 228
; NumSgprs: 75
; NumVgprs: 129
; NumAgprs: 0
; TotalNumVgprs: 129
; ScratchSize: 8
; MemoryBound: 0
; FloatMode: 240
; IeeeMode: 1
; LDSByteSize: 16896 bytes/workgroup (compile time only)
; SGPRBlocks: 9
; VGPRBlocks: 16
; NumSGPRsForWavesPerEU: 75
; NumVGPRsForWavesPerEU: 129
; AccumOffset: 132
; Occupancy: 3
; WaveLimiterHint : 1
; COMPUTE_PGM_RSRC2:SCRATCH_EN: 1
; COMPUTE_PGM_RSRC2:USER_SGPR: 2
; COMPUTE_PGM_RSRC2:TRAP_HANDLER: 0
; COMPUTE_PGM_RSRC2:TGID_X_EN: 1
; COMPUTE_PGM_RSRC2:TGID_Y_EN: 1
; COMPUTE_PGM_RSRC2:TGID_Z_EN: 1
; COMPUTE_PGM_RSRC2:TIDIG_COMP_CNT: 2
; COMPUTE_PGM_RSRC3_GFX90A:ACCUM_OFFSET: 32
; COMPUTE_PGM_RSRC3_GFX90A:TG_SPLIT: 0
	.section	.text._ZN7rocprim17ROCPRIM_400000_NS6detail17trampoline_kernelINS0_14default_configENS1_37merge_sort_block_sort_config_selectorIlNS0_10empty_typeEEEZNS1_21merge_sort_block_sortIS3_PlS8_PS5_S9_ZN2at6native12_GLOBAL__N_124unique_dim_cuda_templateIsEESt5tupleIJNSA_6TensorESF_SF_EERKSF_lbbbEUlllE_EE10hipError_tT0_T1_T2_T3_mRjT4_P12ihipStream_tbNS1_7vsmem_tEEUlT_E_NS1_11comp_targetILNS1_3genE4ELNS1_11target_archE910ELNS1_3gpuE8ELNS1_3repE0EEENS1_30default_config_static_selectorELNS0_4arch9wavefront6targetE1EEEvSM_,"axG",@progbits,_ZN7rocprim17ROCPRIM_400000_NS6detail17trampoline_kernelINS0_14default_configENS1_37merge_sort_block_sort_config_selectorIlNS0_10empty_typeEEEZNS1_21merge_sort_block_sortIS3_PlS8_PS5_S9_ZN2at6native12_GLOBAL__N_124unique_dim_cuda_templateIsEESt5tupleIJNSA_6TensorESF_SF_EERKSF_lbbbEUlllE_EE10hipError_tT0_T1_T2_T3_mRjT4_P12ihipStream_tbNS1_7vsmem_tEEUlT_E_NS1_11comp_targetILNS1_3genE4ELNS1_11target_archE910ELNS1_3gpuE8ELNS1_3repE0EEENS1_30default_config_static_selectorELNS0_4arch9wavefront6targetE1EEEvSM_,comdat
	.globl	_ZN7rocprim17ROCPRIM_400000_NS6detail17trampoline_kernelINS0_14default_configENS1_37merge_sort_block_sort_config_selectorIlNS0_10empty_typeEEEZNS1_21merge_sort_block_sortIS3_PlS8_PS5_S9_ZN2at6native12_GLOBAL__N_124unique_dim_cuda_templateIsEESt5tupleIJNSA_6TensorESF_SF_EERKSF_lbbbEUlllE_EE10hipError_tT0_T1_T2_T3_mRjT4_P12ihipStream_tbNS1_7vsmem_tEEUlT_E_NS1_11comp_targetILNS1_3genE4ELNS1_11target_archE910ELNS1_3gpuE8ELNS1_3repE0EEENS1_30default_config_static_selectorELNS0_4arch9wavefront6targetE1EEEvSM_ ; -- Begin function _ZN7rocprim17ROCPRIM_400000_NS6detail17trampoline_kernelINS0_14default_configENS1_37merge_sort_block_sort_config_selectorIlNS0_10empty_typeEEEZNS1_21merge_sort_block_sortIS3_PlS8_PS5_S9_ZN2at6native12_GLOBAL__N_124unique_dim_cuda_templateIsEESt5tupleIJNSA_6TensorESF_SF_EERKSF_lbbbEUlllE_EE10hipError_tT0_T1_T2_T3_mRjT4_P12ihipStream_tbNS1_7vsmem_tEEUlT_E_NS1_11comp_targetILNS1_3genE4ELNS1_11target_archE910ELNS1_3gpuE8ELNS1_3repE0EEENS1_30default_config_static_selectorELNS0_4arch9wavefront6targetE1EEEvSM_
	.p2align	8
	.type	_ZN7rocprim17ROCPRIM_400000_NS6detail17trampoline_kernelINS0_14default_configENS1_37merge_sort_block_sort_config_selectorIlNS0_10empty_typeEEEZNS1_21merge_sort_block_sortIS3_PlS8_PS5_S9_ZN2at6native12_GLOBAL__N_124unique_dim_cuda_templateIsEESt5tupleIJNSA_6TensorESF_SF_EERKSF_lbbbEUlllE_EE10hipError_tT0_T1_T2_T3_mRjT4_P12ihipStream_tbNS1_7vsmem_tEEUlT_E_NS1_11comp_targetILNS1_3genE4ELNS1_11target_archE910ELNS1_3gpuE8ELNS1_3repE0EEENS1_30default_config_static_selectorELNS0_4arch9wavefront6targetE1EEEvSM_,@function
_ZN7rocprim17ROCPRIM_400000_NS6detail17trampoline_kernelINS0_14default_configENS1_37merge_sort_block_sort_config_selectorIlNS0_10empty_typeEEEZNS1_21merge_sort_block_sortIS3_PlS8_PS5_S9_ZN2at6native12_GLOBAL__N_124unique_dim_cuda_templateIsEESt5tupleIJNSA_6TensorESF_SF_EERKSF_lbbbEUlllE_EE10hipError_tT0_T1_T2_T3_mRjT4_P12ihipStream_tbNS1_7vsmem_tEEUlT_E_NS1_11comp_targetILNS1_3genE4ELNS1_11target_archE910ELNS1_3gpuE8ELNS1_3repE0EEENS1_30default_config_static_selectorELNS0_4arch9wavefront6targetE1EEEvSM_: ; @_ZN7rocprim17ROCPRIM_400000_NS6detail17trampoline_kernelINS0_14default_configENS1_37merge_sort_block_sort_config_selectorIlNS0_10empty_typeEEEZNS1_21merge_sort_block_sortIS3_PlS8_PS5_S9_ZN2at6native12_GLOBAL__N_124unique_dim_cuda_templateIsEESt5tupleIJNSA_6TensorESF_SF_EERKSF_lbbbEUlllE_EE10hipError_tT0_T1_T2_T3_mRjT4_P12ihipStream_tbNS1_7vsmem_tEEUlT_E_NS1_11comp_targetILNS1_3genE4ELNS1_11target_archE910ELNS1_3gpuE8ELNS1_3repE0EEENS1_30default_config_static_selectorELNS0_4arch9wavefront6targetE1EEEvSM_
; %bb.0:
	.section	.rodata,"a",@progbits
	.p2align	6, 0x0
	.amdhsa_kernel _ZN7rocprim17ROCPRIM_400000_NS6detail17trampoline_kernelINS0_14default_configENS1_37merge_sort_block_sort_config_selectorIlNS0_10empty_typeEEEZNS1_21merge_sort_block_sortIS3_PlS8_PS5_S9_ZN2at6native12_GLOBAL__N_124unique_dim_cuda_templateIsEESt5tupleIJNSA_6TensorESF_SF_EERKSF_lbbbEUlllE_EE10hipError_tT0_T1_T2_T3_mRjT4_P12ihipStream_tbNS1_7vsmem_tEEUlT_E_NS1_11comp_targetILNS1_3genE4ELNS1_11target_archE910ELNS1_3gpuE8ELNS1_3repE0EEENS1_30default_config_static_selectorELNS0_4arch9wavefront6targetE1EEEvSM_
		.amdhsa_group_segment_fixed_size 0
		.amdhsa_private_segment_fixed_size 0
		.amdhsa_kernarg_size 72
		.amdhsa_user_sgpr_count 2
		.amdhsa_user_sgpr_dispatch_ptr 0
		.amdhsa_user_sgpr_queue_ptr 0
		.amdhsa_user_sgpr_kernarg_segment_ptr 1
		.amdhsa_user_sgpr_dispatch_id 0
		.amdhsa_user_sgpr_kernarg_preload_length 0
		.amdhsa_user_sgpr_kernarg_preload_offset 0
		.amdhsa_user_sgpr_private_segment_size 0
		.amdhsa_uses_dynamic_stack 0
		.amdhsa_enable_private_segment 0
		.amdhsa_system_sgpr_workgroup_id_x 1
		.amdhsa_system_sgpr_workgroup_id_y 0
		.amdhsa_system_sgpr_workgroup_id_z 0
		.amdhsa_system_sgpr_workgroup_info 0
		.amdhsa_system_vgpr_workitem_id 0
		.amdhsa_next_free_vgpr 1
		.amdhsa_next_free_sgpr 0
		.amdhsa_accum_offset 4
		.amdhsa_reserve_vcc 0
		.amdhsa_float_round_mode_32 0
		.amdhsa_float_round_mode_16_64 0
		.amdhsa_float_denorm_mode_32 3
		.amdhsa_float_denorm_mode_16_64 3
		.amdhsa_dx10_clamp 1
		.amdhsa_ieee_mode 1
		.amdhsa_fp16_overflow 0
		.amdhsa_tg_split 0
		.amdhsa_exception_fp_ieee_invalid_op 0
		.amdhsa_exception_fp_denorm_src 0
		.amdhsa_exception_fp_ieee_div_zero 0
		.amdhsa_exception_fp_ieee_overflow 0
		.amdhsa_exception_fp_ieee_underflow 0
		.amdhsa_exception_fp_ieee_inexact 0
		.amdhsa_exception_int_div_zero 0
	.end_amdhsa_kernel
	.section	.text._ZN7rocprim17ROCPRIM_400000_NS6detail17trampoline_kernelINS0_14default_configENS1_37merge_sort_block_sort_config_selectorIlNS0_10empty_typeEEEZNS1_21merge_sort_block_sortIS3_PlS8_PS5_S9_ZN2at6native12_GLOBAL__N_124unique_dim_cuda_templateIsEESt5tupleIJNSA_6TensorESF_SF_EERKSF_lbbbEUlllE_EE10hipError_tT0_T1_T2_T3_mRjT4_P12ihipStream_tbNS1_7vsmem_tEEUlT_E_NS1_11comp_targetILNS1_3genE4ELNS1_11target_archE910ELNS1_3gpuE8ELNS1_3repE0EEENS1_30default_config_static_selectorELNS0_4arch9wavefront6targetE1EEEvSM_,"axG",@progbits,_ZN7rocprim17ROCPRIM_400000_NS6detail17trampoline_kernelINS0_14default_configENS1_37merge_sort_block_sort_config_selectorIlNS0_10empty_typeEEEZNS1_21merge_sort_block_sortIS3_PlS8_PS5_S9_ZN2at6native12_GLOBAL__N_124unique_dim_cuda_templateIsEESt5tupleIJNSA_6TensorESF_SF_EERKSF_lbbbEUlllE_EE10hipError_tT0_T1_T2_T3_mRjT4_P12ihipStream_tbNS1_7vsmem_tEEUlT_E_NS1_11comp_targetILNS1_3genE4ELNS1_11target_archE910ELNS1_3gpuE8ELNS1_3repE0EEENS1_30default_config_static_selectorELNS0_4arch9wavefront6targetE1EEEvSM_,comdat
.Lfunc_end634:
	.size	_ZN7rocprim17ROCPRIM_400000_NS6detail17trampoline_kernelINS0_14default_configENS1_37merge_sort_block_sort_config_selectorIlNS0_10empty_typeEEEZNS1_21merge_sort_block_sortIS3_PlS8_PS5_S9_ZN2at6native12_GLOBAL__N_124unique_dim_cuda_templateIsEESt5tupleIJNSA_6TensorESF_SF_EERKSF_lbbbEUlllE_EE10hipError_tT0_T1_T2_T3_mRjT4_P12ihipStream_tbNS1_7vsmem_tEEUlT_E_NS1_11comp_targetILNS1_3genE4ELNS1_11target_archE910ELNS1_3gpuE8ELNS1_3repE0EEENS1_30default_config_static_selectorELNS0_4arch9wavefront6targetE1EEEvSM_, .Lfunc_end634-_ZN7rocprim17ROCPRIM_400000_NS6detail17trampoline_kernelINS0_14default_configENS1_37merge_sort_block_sort_config_selectorIlNS0_10empty_typeEEEZNS1_21merge_sort_block_sortIS3_PlS8_PS5_S9_ZN2at6native12_GLOBAL__N_124unique_dim_cuda_templateIsEESt5tupleIJNSA_6TensorESF_SF_EERKSF_lbbbEUlllE_EE10hipError_tT0_T1_T2_T3_mRjT4_P12ihipStream_tbNS1_7vsmem_tEEUlT_E_NS1_11comp_targetILNS1_3genE4ELNS1_11target_archE910ELNS1_3gpuE8ELNS1_3repE0EEENS1_30default_config_static_selectorELNS0_4arch9wavefront6targetE1EEEvSM_
                                        ; -- End function
	.section	.AMDGPU.csdata,"",@progbits
; Kernel info:
; codeLenInByte = 0
; NumSgprs: 6
; NumVgprs: 0
; NumAgprs: 0
; TotalNumVgprs: 0
; ScratchSize: 0
; MemoryBound: 0
; FloatMode: 240
; IeeeMode: 1
; LDSByteSize: 0 bytes/workgroup (compile time only)
; SGPRBlocks: 0
; VGPRBlocks: 0
; NumSGPRsForWavesPerEU: 6
; NumVGPRsForWavesPerEU: 1
; AccumOffset: 4
; Occupancy: 8
; WaveLimiterHint : 0
; COMPUTE_PGM_RSRC2:SCRATCH_EN: 0
; COMPUTE_PGM_RSRC2:USER_SGPR: 2
; COMPUTE_PGM_RSRC2:TRAP_HANDLER: 0
; COMPUTE_PGM_RSRC2:TGID_X_EN: 1
; COMPUTE_PGM_RSRC2:TGID_Y_EN: 0
; COMPUTE_PGM_RSRC2:TGID_Z_EN: 0
; COMPUTE_PGM_RSRC2:TIDIG_COMP_CNT: 0
; COMPUTE_PGM_RSRC3_GFX90A:ACCUM_OFFSET: 0
; COMPUTE_PGM_RSRC3_GFX90A:TG_SPLIT: 0
	.section	.text._ZN7rocprim17ROCPRIM_400000_NS6detail17trampoline_kernelINS0_14default_configENS1_37merge_sort_block_sort_config_selectorIlNS0_10empty_typeEEEZNS1_21merge_sort_block_sortIS3_PlS8_PS5_S9_ZN2at6native12_GLOBAL__N_124unique_dim_cuda_templateIsEESt5tupleIJNSA_6TensorESF_SF_EERKSF_lbbbEUlllE_EE10hipError_tT0_T1_T2_T3_mRjT4_P12ihipStream_tbNS1_7vsmem_tEEUlT_E_NS1_11comp_targetILNS1_3genE3ELNS1_11target_archE908ELNS1_3gpuE7ELNS1_3repE0EEENS1_30default_config_static_selectorELNS0_4arch9wavefront6targetE1EEEvSM_,"axG",@progbits,_ZN7rocprim17ROCPRIM_400000_NS6detail17trampoline_kernelINS0_14default_configENS1_37merge_sort_block_sort_config_selectorIlNS0_10empty_typeEEEZNS1_21merge_sort_block_sortIS3_PlS8_PS5_S9_ZN2at6native12_GLOBAL__N_124unique_dim_cuda_templateIsEESt5tupleIJNSA_6TensorESF_SF_EERKSF_lbbbEUlllE_EE10hipError_tT0_T1_T2_T3_mRjT4_P12ihipStream_tbNS1_7vsmem_tEEUlT_E_NS1_11comp_targetILNS1_3genE3ELNS1_11target_archE908ELNS1_3gpuE7ELNS1_3repE0EEENS1_30default_config_static_selectorELNS0_4arch9wavefront6targetE1EEEvSM_,comdat
	.globl	_ZN7rocprim17ROCPRIM_400000_NS6detail17trampoline_kernelINS0_14default_configENS1_37merge_sort_block_sort_config_selectorIlNS0_10empty_typeEEEZNS1_21merge_sort_block_sortIS3_PlS8_PS5_S9_ZN2at6native12_GLOBAL__N_124unique_dim_cuda_templateIsEESt5tupleIJNSA_6TensorESF_SF_EERKSF_lbbbEUlllE_EE10hipError_tT0_T1_T2_T3_mRjT4_P12ihipStream_tbNS1_7vsmem_tEEUlT_E_NS1_11comp_targetILNS1_3genE3ELNS1_11target_archE908ELNS1_3gpuE7ELNS1_3repE0EEENS1_30default_config_static_selectorELNS0_4arch9wavefront6targetE1EEEvSM_ ; -- Begin function _ZN7rocprim17ROCPRIM_400000_NS6detail17trampoline_kernelINS0_14default_configENS1_37merge_sort_block_sort_config_selectorIlNS0_10empty_typeEEEZNS1_21merge_sort_block_sortIS3_PlS8_PS5_S9_ZN2at6native12_GLOBAL__N_124unique_dim_cuda_templateIsEESt5tupleIJNSA_6TensorESF_SF_EERKSF_lbbbEUlllE_EE10hipError_tT0_T1_T2_T3_mRjT4_P12ihipStream_tbNS1_7vsmem_tEEUlT_E_NS1_11comp_targetILNS1_3genE3ELNS1_11target_archE908ELNS1_3gpuE7ELNS1_3repE0EEENS1_30default_config_static_selectorELNS0_4arch9wavefront6targetE1EEEvSM_
	.p2align	8
	.type	_ZN7rocprim17ROCPRIM_400000_NS6detail17trampoline_kernelINS0_14default_configENS1_37merge_sort_block_sort_config_selectorIlNS0_10empty_typeEEEZNS1_21merge_sort_block_sortIS3_PlS8_PS5_S9_ZN2at6native12_GLOBAL__N_124unique_dim_cuda_templateIsEESt5tupleIJNSA_6TensorESF_SF_EERKSF_lbbbEUlllE_EE10hipError_tT0_T1_T2_T3_mRjT4_P12ihipStream_tbNS1_7vsmem_tEEUlT_E_NS1_11comp_targetILNS1_3genE3ELNS1_11target_archE908ELNS1_3gpuE7ELNS1_3repE0EEENS1_30default_config_static_selectorELNS0_4arch9wavefront6targetE1EEEvSM_,@function
_ZN7rocprim17ROCPRIM_400000_NS6detail17trampoline_kernelINS0_14default_configENS1_37merge_sort_block_sort_config_selectorIlNS0_10empty_typeEEEZNS1_21merge_sort_block_sortIS3_PlS8_PS5_S9_ZN2at6native12_GLOBAL__N_124unique_dim_cuda_templateIsEESt5tupleIJNSA_6TensorESF_SF_EERKSF_lbbbEUlllE_EE10hipError_tT0_T1_T2_T3_mRjT4_P12ihipStream_tbNS1_7vsmem_tEEUlT_E_NS1_11comp_targetILNS1_3genE3ELNS1_11target_archE908ELNS1_3gpuE7ELNS1_3repE0EEENS1_30default_config_static_selectorELNS0_4arch9wavefront6targetE1EEEvSM_: ; @_ZN7rocprim17ROCPRIM_400000_NS6detail17trampoline_kernelINS0_14default_configENS1_37merge_sort_block_sort_config_selectorIlNS0_10empty_typeEEEZNS1_21merge_sort_block_sortIS3_PlS8_PS5_S9_ZN2at6native12_GLOBAL__N_124unique_dim_cuda_templateIsEESt5tupleIJNSA_6TensorESF_SF_EERKSF_lbbbEUlllE_EE10hipError_tT0_T1_T2_T3_mRjT4_P12ihipStream_tbNS1_7vsmem_tEEUlT_E_NS1_11comp_targetILNS1_3genE3ELNS1_11target_archE908ELNS1_3gpuE7ELNS1_3repE0EEENS1_30default_config_static_selectorELNS0_4arch9wavefront6targetE1EEEvSM_
; %bb.0:
	.section	.rodata,"a",@progbits
	.p2align	6, 0x0
	.amdhsa_kernel _ZN7rocprim17ROCPRIM_400000_NS6detail17trampoline_kernelINS0_14default_configENS1_37merge_sort_block_sort_config_selectorIlNS0_10empty_typeEEEZNS1_21merge_sort_block_sortIS3_PlS8_PS5_S9_ZN2at6native12_GLOBAL__N_124unique_dim_cuda_templateIsEESt5tupleIJNSA_6TensorESF_SF_EERKSF_lbbbEUlllE_EE10hipError_tT0_T1_T2_T3_mRjT4_P12ihipStream_tbNS1_7vsmem_tEEUlT_E_NS1_11comp_targetILNS1_3genE3ELNS1_11target_archE908ELNS1_3gpuE7ELNS1_3repE0EEENS1_30default_config_static_selectorELNS0_4arch9wavefront6targetE1EEEvSM_
		.amdhsa_group_segment_fixed_size 0
		.amdhsa_private_segment_fixed_size 0
		.amdhsa_kernarg_size 72
		.amdhsa_user_sgpr_count 2
		.amdhsa_user_sgpr_dispatch_ptr 0
		.amdhsa_user_sgpr_queue_ptr 0
		.amdhsa_user_sgpr_kernarg_segment_ptr 1
		.amdhsa_user_sgpr_dispatch_id 0
		.amdhsa_user_sgpr_kernarg_preload_length 0
		.amdhsa_user_sgpr_kernarg_preload_offset 0
		.amdhsa_user_sgpr_private_segment_size 0
		.amdhsa_uses_dynamic_stack 0
		.amdhsa_enable_private_segment 0
		.amdhsa_system_sgpr_workgroup_id_x 1
		.amdhsa_system_sgpr_workgroup_id_y 0
		.amdhsa_system_sgpr_workgroup_id_z 0
		.amdhsa_system_sgpr_workgroup_info 0
		.amdhsa_system_vgpr_workitem_id 0
		.amdhsa_next_free_vgpr 1
		.amdhsa_next_free_sgpr 0
		.amdhsa_accum_offset 4
		.amdhsa_reserve_vcc 0
		.amdhsa_float_round_mode_32 0
		.amdhsa_float_round_mode_16_64 0
		.amdhsa_float_denorm_mode_32 3
		.amdhsa_float_denorm_mode_16_64 3
		.amdhsa_dx10_clamp 1
		.amdhsa_ieee_mode 1
		.amdhsa_fp16_overflow 0
		.amdhsa_tg_split 0
		.amdhsa_exception_fp_ieee_invalid_op 0
		.amdhsa_exception_fp_denorm_src 0
		.amdhsa_exception_fp_ieee_div_zero 0
		.amdhsa_exception_fp_ieee_overflow 0
		.amdhsa_exception_fp_ieee_underflow 0
		.amdhsa_exception_fp_ieee_inexact 0
		.amdhsa_exception_int_div_zero 0
	.end_amdhsa_kernel
	.section	.text._ZN7rocprim17ROCPRIM_400000_NS6detail17trampoline_kernelINS0_14default_configENS1_37merge_sort_block_sort_config_selectorIlNS0_10empty_typeEEEZNS1_21merge_sort_block_sortIS3_PlS8_PS5_S9_ZN2at6native12_GLOBAL__N_124unique_dim_cuda_templateIsEESt5tupleIJNSA_6TensorESF_SF_EERKSF_lbbbEUlllE_EE10hipError_tT0_T1_T2_T3_mRjT4_P12ihipStream_tbNS1_7vsmem_tEEUlT_E_NS1_11comp_targetILNS1_3genE3ELNS1_11target_archE908ELNS1_3gpuE7ELNS1_3repE0EEENS1_30default_config_static_selectorELNS0_4arch9wavefront6targetE1EEEvSM_,"axG",@progbits,_ZN7rocprim17ROCPRIM_400000_NS6detail17trampoline_kernelINS0_14default_configENS1_37merge_sort_block_sort_config_selectorIlNS0_10empty_typeEEEZNS1_21merge_sort_block_sortIS3_PlS8_PS5_S9_ZN2at6native12_GLOBAL__N_124unique_dim_cuda_templateIsEESt5tupleIJNSA_6TensorESF_SF_EERKSF_lbbbEUlllE_EE10hipError_tT0_T1_T2_T3_mRjT4_P12ihipStream_tbNS1_7vsmem_tEEUlT_E_NS1_11comp_targetILNS1_3genE3ELNS1_11target_archE908ELNS1_3gpuE7ELNS1_3repE0EEENS1_30default_config_static_selectorELNS0_4arch9wavefront6targetE1EEEvSM_,comdat
.Lfunc_end635:
	.size	_ZN7rocprim17ROCPRIM_400000_NS6detail17trampoline_kernelINS0_14default_configENS1_37merge_sort_block_sort_config_selectorIlNS0_10empty_typeEEEZNS1_21merge_sort_block_sortIS3_PlS8_PS5_S9_ZN2at6native12_GLOBAL__N_124unique_dim_cuda_templateIsEESt5tupleIJNSA_6TensorESF_SF_EERKSF_lbbbEUlllE_EE10hipError_tT0_T1_T2_T3_mRjT4_P12ihipStream_tbNS1_7vsmem_tEEUlT_E_NS1_11comp_targetILNS1_3genE3ELNS1_11target_archE908ELNS1_3gpuE7ELNS1_3repE0EEENS1_30default_config_static_selectorELNS0_4arch9wavefront6targetE1EEEvSM_, .Lfunc_end635-_ZN7rocprim17ROCPRIM_400000_NS6detail17trampoline_kernelINS0_14default_configENS1_37merge_sort_block_sort_config_selectorIlNS0_10empty_typeEEEZNS1_21merge_sort_block_sortIS3_PlS8_PS5_S9_ZN2at6native12_GLOBAL__N_124unique_dim_cuda_templateIsEESt5tupleIJNSA_6TensorESF_SF_EERKSF_lbbbEUlllE_EE10hipError_tT0_T1_T2_T3_mRjT4_P12ihipStream_tbNS1_7vsmem_tEEUlT_E_NS1_11comp_targetILNS1_3genE3ELNS1_11target_archE908ELNS1_3gpuE7ELNS1_3repE0EEENS1_30default_config_static_selectorELNS0_4arch9wavefront6targetE1EEEvSM_
                                        ; -- End function
	.section	.AMDGPU.csdata,"",@progbits
; Kernel info:
; codeLenInByte = 0
; NumSgprs: 6
; NumVgprs: 0
; NumAgprs: 0
; TotalNumVgprs: 0
; ScratchSize: 0
; MemoryBound: 0
; FloatMode: 240
; IeeeMode: 1
; LDSByteSize: 0 bytes/workgroup (compile time only)
; SGPRBlocks: 0
; VGPRBlocks: 0
; NumSGPRsForWavesPerEU: 6
; NumVGPRsForWavesPerEU: 1
; AccumOffset: 4
; Occupancy: 8
; WaveLimiterHint : 0
; COMPUTE_PGM_RSRC2:SCRATCH_EN: 0
; COMPUTE_PGM_RSRC2:USER_SGPR: 2
; COMPUTE_PGM_RSRC2:TRAP_HANDLER: 0
; COMPUTE_PGM_RSRC2:TGID_X_EN: 1
; COMPUTE_PGM_RSRC2:TGID_Y_EN: 0
; COMPUTE_PGM_RSRC2:TGID_Z_EN: 0
; COMPUTE_PGM_RSRC2:TIDIG_COMP_CNT: 0
; COMPUTE_PGM_RSRC3_GFX90A:ACCUM_OFFSET: 0
; COMPUTE_PGM_RSRC3_GFX90A:TG_SPLIT: 0
	.section	.text._ZN7rocprim17ROCPRIM_400000_NS6detail17trampoline_kernelINS0_14default_configENS1_37merge_sort_block_sort_config_selectorIlNS0_10empty_typeEEEZNS1_21merge_sort_block_sortIS3_PlS8_PS5_S9_ZN2at6native12_GLOBAL__N_124unique_dim_cuda_templateIsEESt5tupleIJNSA_6TensorESF_SF_EERKSF_lbbbEUlllE_EE10hipError_tT0_T1_T2_T3_mRjT4_P12ihipStream_tbNS1_7vsmem_tEEUlT_E_NS1_11comp_targetILNS1_3genE2ELNS1_11target_archE906ELNS1_3gpuE6ELNS1_3repE0EEENS1_30default_config_static_selectorELNS0_4arch9wavefront6targetE1EEEvSM_,"axG",@progbits,_ZN7rocprim17ROCPRIM_400000_NS6detail17trampoline_kernelINS0_14default_configENS1_37merge_sort_block_sort_config_selectorIlNS0_10empty_typeEEEZNS1_21merge_sort_block_sortIS3_PlS8_PS5_S9_ZN2at6native12_GLOBAL__N_124unique_dim_cuda_templateIsEESt5tupleIJNSA_6TensorESF_SF_EERKSF_lbbbEUlllE_EE10hipError_tT0_T1_T2_T3_mRjT4_P12ihipStream_tbNS1_7vsmem_tEEUlT_E_NS1_11comp_targetILNS1_3genE2ELNS1_11target_archE906ELNS1_3gpuE6ELNS1_3repE0EEENS1_30default_config_static_selectorELNS0_4arch9wavefront6targetE1EEEvSM_,comdat
	.globl	_ZN7rocprim17ROCPRIM_400000_NS6detail17trampoline_kernelINS0_14default_configENS1_37merge_sort_block_sort_config_selectorIlNS0_10empty_typeEEEZNS1_21merge_sort_block_sortIS3_PlS8_PS5_S9_ZN2at6native12_GLOBAL__N_124unique_dim_cuda_templateIsEESt5tupleIJNSA_6TensorESF_SF_EERKSF_lbbbEUlllE_EE10hipError_tT0_T1_T2_T3_mRjT4_P12ihipStream_tbNS1_7vsmem_tEEUlT_E_NS1_11comp_targetILNS1_3genE2ELNS1_11target_archE906ELNS1_3gpuE6ELNS1_3repE0EEENS1_30default_config_static_selectorELNS0_4arch9wavefront6targetE1EEEvSM_ ; -- Begin function _ZN7rocprim17ROCPRIM_400000_NS6detail17trampoline_kernelINS0_14default_configENS1_37merge_sort_block_sort_config_selectorIlNS0_10empty_typeEEEZNS1_21merge_sort_block_sortIS3_PlS8_PS5_S9_ZN2at6native12_GLOBAL__N_124unique_dim_cuda_templateIsEESt5tupleIJNSA_6TensorESF_SF_EERKSF_lbbbEUlllE_EE10hipError_tT0_T1_T2_T3_mRjT4_P12ihipStream_tbNS1_7vsmem_tEEUlT_E_NS1_11comp_targetILNS1_3genE2ELNS1_11target_archE906ELNS1_3gpuE6ELNS1_3repE0EEENS1_30default_config_static_selectorELNS0_4arch9wavefront6targetE1EEEvSM_
	.p2align	8
	.type	_ZN7rocprim17ROCPRIM_400000_NS6detail17trampoline_kernelINS0_14default_configENS1_37merge_sort_block_sort_config_selectorIlNS0_10empty_typeEEEZNS1_21merge_sort_block_sortIS3_PlS8_PS5_S9_ZN2at6native12_GLOBAL__N_124unique_dim_cuda_templateIsEESt5tupleIJNSA_6TensorESF_SF_EERKSF_lbbbEUlllE_EE10hipError_tT0_T1_T2_T3_mRjT4_P12ihipStream_tbNS1_7vsmem_tEEUlT_E_NS1_11comp_targetILNS1_3genE2ELNS1_11target_archE906ELNS1_3gpuE6ELNS1_3repE0EEENS1_30default_config_static_selectorELNS0_4arch9wavefront6targetE1EEEvSM_,@function
_ZN7rocprim17ROCPRIM_400000_NS6detail17trampoline_kernelINS0_14default_configENS1_37merge_sort_block_sort_config_selectorIlNS0_10empty_typeEEEZNS1_21merge_sort_block_sortIS3_PlS8_PS5_S9_ZN2at6native12_GLOBAL__N_124unique_dim_cuda_templateIsEESt5tupleIJNSA_6TensorESF_SF_EERKSF_lbbbEUlllE_EE10hipError_tT0_T1_T2_T3_mRjT4_P12ihipStream_tbNS1_7vsmem_tEEUlT_E_NS1_11comp_targetILNS1_3genE2ELNS1_11target_archE906ELNS1_3gpuE6ELNS1_3repE0EEENS1_30default_config_static_selectorELNS0_4arch9wavefront6targetE1EEEvSM_: ; @_ZN7rocprim17ROCPRIM_400000_NS6detail17trampoline_kernelINS0_14default_configENS1_37merge_sort_block_sort_config_selectorIlNS0_10empty_typeEEEZNS1_21merge_sort_block_sortIS3_PlS8_PS5_S9_ZN2at6native12_GLOBAL__N_124unique_dim_cuda_templateIsEESt5tupleIJNSA_6TensorESF_SF_EERKSF_lbbbEUlllE_EE10hipError_tT0_T1_T2_T3_mRjT4_P12ihipStream_tbNS1_7vsmem_tEEUlT_E_NS1_11comp_targetILNS1_3genE2ELNS1_11target_archE906ELNS1_3gpuE6ELNS1_3repE0EEENS1_30default_config_static_selectorELNS0_4arch9wavefront6targetE1EEEvSM_
; %bb.0:
	.section	.rodata,"a",@progbits
	.p2align	6, 0x0
	.amdhsa_kernel _ZN7rocprim17ROCPRIM_400000_NS6detail17trampoline_kernelINS0_14default_configENS1_37merge_sort_block_sort_config_selectorIlNS0_10empty_typeEEEZNS1_21merge_sort_block_sortIS3_PlS8_PS5_S9_ZN2at6native12_GLOBAL__N_124unique_dim_cuda_templateIsEESt5tupleIJNSA_6TensorESF_SF_EERKSF_lbbbEUlllE_EE10hipError_tT0_T1_T2_T3_mRjT4_P12ihipStream_tbNS1_7vsmem_tEEUlT_E_NS1_11comp_targetILNS1_3genE2ELNS1_11target_archE906ELNS1_3gpuE6ELNS1_3repE0EEENS1_30default_config_static_selectorELNS0_4arch9wavefront6targetE1EEEvSM_
		.amdhsa_group_segment_fixed_size 0
		.amdhsa_private_segment_fixed_size 0
		.amdhsa_kernarg_size 72
		.amdhsa_user_sgpr_count 2
		.amdhsa_user_sgpr_dispatch_ptr 0
		.amdhsa_user_sgpr_queue_ptr 0
		.amdhsa_user_sgpr_kernarg_segment_ptr 1
		.amdhsa_user_sgpr_dispatch_id 0
		.amdhsa_user_sgpr_kernarg_preload_length 0
		.amdhsa_user_sgpr_kernarg_preload_offset 0
		.amdhsa_user_sgpr_private_segment_size 0
		.amdhsa_uses_dynamic_stack 0
		.amdhsa_enable_private_segment 0
		.amdhsa_system_sgpr_workgroup_id_x 1
		.amdhsa_system_sgpr_workgroup_id_y 0
		.amdhsa_system_sgpr_workgroup_id_z 0
		.amdhsa_system_sgpr_workgroup_info 0
		.amdhsa_system_vgpr_workitem_id 0
		.amdhsa_next_free_vgpr 1
		.amdhsa_next_free_sgpr 0
		.amdhsa_accum_offset 4
		.amdhsa_reserve_vcc 0
		.amdhsa_float_round_mode_32 0
		.amdhsa_float_round_mode_16_64 0
		.amdhsa_float_denorm_mode_32 3
		.amdhsa_float_denorm_mode_16_64 3
		.amdhsa_dx10_clamp 1
		.amdhsa_ieee_mode 1
		.amdhsa_fp16_overflow 0
		.amdhsa_tg_split 0
		.amdhsa_exception_fp_ieee_invalid_op 0
		.amdhsa_exception_fp_denorm_src 0
		.amdhsa_exception_fp_ieee_div_zero 0
		.amdhsa_exception_fp_ieee_overflow 0
		.amdhsa_exception_fp_ieee_underflow 0
		.amdhsa_exception_fp_ieee_inexact 0
		.amdhsa_exception_int_div_zero 0
	.end_amdhsa_kernel
	.section	.text._ZN7rocprim17ROCPRIM_400000_NS6detail17trampoline_kernelINS0_14default_configENS1_37merge_sort_block_sort_config_selectorIlNS0_10empty_typeEEEZNS1_21merge_sort_block_sortIS3_PlS8_PS5_S9_ZN2at6native12_GLOBAL__N_124unique_dim_cuda_templateIsEESt5tupleIJNSA_6TensorESF_SF_EERKSF_lbbbEUlllE_EE10hipError_tT0_T1_T2_T3_mRjT4_P12ihipStream_tbNS1_7vsmem_tEEUlT_E_NS1_11comp_targetILNS1_3genE2ELNS1_11target_archE906ELNS1_3gpuE6ELNS1_3repE0EEENS1_30default_config_static_selectorELNS0_4arch9wavefront6targetE1EEEvSM_,"axG",@progbits,_ZN7rocprim17ROCPRIM_400000_NS6detail17trampoline_kernelINS0_14default_configENS1_37merge_sort_block_sort_config_selectorIlNS0_10empty_typeEEEZNS1_21merge_sort_block_sortIS3_PlS8_PS5_S9_ZN2at6native12_GLOBAL__N_124unique_dim_cuda_templateIsEESt5tupleIJNSA_6TensorESF_SF_EERKSF_lbbbEUlllE_EE10hipError_tT0_T1_T2_T3_mRjT4_P12ihipStream_tbNS1_7vsmem_tEEUlT_E_NS1_11comp_targetILNS1_3genE2ELNS1_11target_archE906ELNS1_3gpuE6ELNS1_3repE0EEENS1_30default_config_static_selectorELNS0_4arch9wavefront6targetE1EEEvSM_,comdat
.Lfunc_end636:
	.size	_ZN7rocprim17ROCPRIM_400000_NS6detail17trampoline_kernelINS0_14default_configENS1_37merge_sort_block_sort_config_selectorIlNS0_10empty_typeEEEZNS1_21merge_sort_block_sortIS3_PlS8_PS5_S9_ZN2at6native12_GLOBAL__N_124unique_dim_cuda_templateIsEESt5tupleIJNSA_6TensorESF_SF_EERKSF_lbbbEUlllE_EE10hipError_tT0_T1_T2_T3_mRjT4_P12ihipStream_tbNS1_7vsmem_tEEUlT_E_NS1_11comp_targetILNS1_3genE2ELNS1_11target_archE906ELNS1_3gpuE6ELNS1_3repE0EEENS1_30default_config_static_selectorELNS0_4arch9wavefront6targetE1EEEvSM_, .Lfunc_end636-_ZN7rocprim17ROCPRIM_400000_NS6detail17trampoline_kernelINS0_14default_configENS1_37merge_sort_block_sort_config_selectorIlNS0_10empty_typeEEEZNS1_21merge_sort_block_sortIS3_PlS8_PS5_S9_ZN2at6native12_GLOBAL__N_124unique_dim_cuda_templateIsEESt5tupleIJNSA_6TensorESF_SF_EERKSF_lbbbEUlllE_EE10hipError_tT0_T1_T2_T3_mRjT4_P12ihipStream_tbNS1_7vsmem_tEEUlT_E_NS1_11comp_targetILNS1_3genE2ELNS1_11target_archE906ELNS1_3gpuE6ELNS1_3repE0EEENS1_30default_config_static_selectorELNS0_4arch9wavefront6targetE1EEEvSM_
                                        ; -- End function
	.section	.AMDGPU.csdata,"",@progbits
; Kernel info:
; codeLenInByte = 0
; NumSgprs: 6
; NumVgprs: 0
; NumAgprs: 0
; TotalNumVgprs: 0
; ScratchSize: 0
; MemoryBound: 0
; FloatMode: 240
; IeeeMode: 1
; LDSByteSize: 0 bytes/workgroup (compile time only)
; SGPRBlocks: 0
; VGPRBlocks: 0
; NumSGPRsForWavesPerEU: 6
; NumVGPRsForWavesPerEU: 1
; AccumOffset: 4
; Occupancy: 8
; WaveLimiterHint : 0
; COMPUTE_PGM_RSRC2:SCRATCH_EN: 0
; COMPUTE_PGM_RSRC2:USER_SGPR: 2
; COMPUTE_PGM_RSRC2:TRAP_HANDLER: 0
; COMPUTE_PGM_RSRC2:TGID_X_EN: 1
; COMPUTE_PGM_RSRC2:TGID_Y_EN: 0
; COMPUTE_PGM_RSRC2:TGID_Z_EN: 0
; COMPUTE_PGM_RSRC2:TIDIG_COMP_CNT: 0
; COMPUTE_PGM_RSRC3_GFX90A:ACCUM_OFFSET: 0
; COMPUTE_PGM_RSRC3_GFX90A:TG_SPLIT: 0
	.section	.text._ZN7rocprim17ROCPRIM_400000_NS6detail17trampoline_kernelINS0_14default_configENS1_37merge_sort_block_sort_config_selectorIlNS0_10empty_typeEEEZNS1_21merge_sort_block_sortIS3_PlS8_PS5_S9_ZN2at6native12_GLOBAL__N_124unique_dim_cuda_templateIsEESt5tupleIJNSA_6TensorESF_SF_EERKSF_lbbbEUlllE_EE10hipError_tT0_T1_T2_T3_mRjT4_P12ihipStream_tbNS1_7vsmem_tEEUlT_E_NS1_11comp_targetILNS1_3genE10ELNS1_11target_archE1201ELNS1_3gpuE5ELNS1_3repE0EEENS1_30default_config_static_selectorELNS0_4arch9wavefront6targetE1EEEvSM_,"axG",@progbits,_ZN7rocprim17ROCPRIM_400000_NS6detail17trampoline_kernelINS0_14default_configENS1_37merge_sort_block_sort_config_selectorIlNS0_10empty_typeEEEZNS1_21merge_sort_block_sortIS3_PlS8_PS5_S9_ZN2at6native12_GLOBAL__N_124unique_dim_cuda_templateIsEESt5tupleIJNSA_6TensorESF_SF_EERKSF_lbbbEUlllE_EE10hipError_tT0_T1_T2_T3_mRjT4_P12ihipStream_tbNS1_7vsmem_tEEUlT_E_NS1_11comp_targetILNS1_3genE10ELNS1_11target_archE1201ELNS1_3gpuE5ELNS1_3repE0EEENS1_30default_config_static_selectorELNS0_4arch9wavefront6targetE1EEEvSM_,comdat
	.globl	_ZN7rocprim17ROCPRIM_400000_NS6detail17trampoline_kernelINS0_14default_configENS1_37merge_sort_block_sort_config_selectorIlNS0_10empty_typeEEEZNS1_21merge_sort_block_sortIS3_PlS8_PS5_S9_ZN2at6native12_GLOBAL__N_124unique_dim_cuda_templateIsEESt5tupleIJNSA_6TensorESF_SF_EERKSF_lbbbEUlllE_EE10hipError_tT0_T1_T2_T3_mRjT4_P12ihipStream_tbNS1_7vsmem_tEEUlT_E_NS1_11comp_targetILNS1_3genE10ELNS1_11target_archE1201ELNS1_3gpuE5ELNS1_3repE0EEENS1_30default_config_static_selectorELNS0_4arch9wavefront6targetE1EEEvSM_ ; -- Begin function _ZN7rocprim17ROCPRIM_400000_NS6detail17trampoline_kernelINS0_14default_configENS1_37merge_sort_block_sort_config_selectorIlNS0_10empty_typeEEEZNS1_21merge_sort_block_sortIS3_PlS8_PS5_S9_ZN2at6native12_GLOBAL__N_124unique_dim_cuda_templateIsEESt5tupleIJNSA_6TensorESF_SF_EERKSF_lbbbEUlllE_EE10hipError_tT0_T1_T2_T3_mRjT4_P12ihipStream_tbNS1_7vsmem_tEEUlT_E_NS1_11comp_targetILNS1_3genE10ELNS1_11target_archE1201ELNS1_3gpuE5ELNS1_3repE0EEENS1_30default_config_static_selectorELNS0_4arch9wavefront6targetE1EEEvSM_
	.p2align	8
	.type	_ZN7rocprim17ROCPRIM_400000_NS6detail17trampoline_kernelINS0_14default_configENS1_37merge_sort_block_sort_config_selectorIlNS0_10empty_typeEEEZNS1_21merge_sort_block_sortIS3_PlS8_PS5_S9_ZN2at6native12_GLOBAL__N_124unique_dim_cuda_templateIsEESt5tupleIJNSA_6TensorESF_SF_EERKSF_lbbbEUlllE_EE10hipError_tT0_T1_T2_T3_mRjT4_P12ihipStream_tbNS1_7vsmem_tEEUlT_E_NS1_11comp_targetILNS1_3genE10ELNS1_11target_archE1201ELNS1_3gpuE5ELNS1_3repE0EEENS1_30default_config_static_selectorELNS0_4arch9wavefront6targetE1EEEvSM_,@function
_ZN7rocprim17ROCPRIM_400000_NS6detail17trampoline_kernelINS0_14default_configENS1_37merge_sort_block_sort_config_selectorIlNS0_10empty_typeEEEZNS1_21merge_sort_block_sortIS3_PlS8_PS5_S9_ZN2at6native12_GLOBAL__N_124unique_dim_cuda_templateIsEESt5tupleIJNSA_6TensorESF_SF_EERKSF_lbbbEUlllE_EE10hipError_tT0_T1_T2_T3_mRjT4_P12ihipStream_tbNS1_7vsmem_tEEUlT_E_NS1_11comp_targetILNS1_3genE10ELNS1_11target_archE1201ELNS1_3gpuE5ELNS1_3repE0EEENS1_30default_config_static_selectorELNS0_4arch9wavefront6targetE1EEEvSM_: ; @_ZN7rocprim17ROCPRIM_400000_NS6detail17trampoline_kernelINS0_14default_configENS1_37merge_sort_block_sort_config_selectorIlNS0_10empty_typeEEEZNS1_21merge_sort_block_sortIS3_PlS8_PS5_S9_ZN2at6native12_GLOBAL__N_124unique_dim_cuda_templateIsEESt5tupleIJNSA_6TensorESF_SF_EERKSF_lbbbEUlllE_EE10hipError_tT0_T1_T2_T3_mRjT4_P12ihipStream_tbNS1_7vsmem_tEEUlT_E_NS1_11comp_targetILNS1_3genE10ELNS1_11target_archE1201ELNS1_3gpuE5ELNS1_3repE0EEENS1_30default_config_static_selectorELNS0_4arch9wavefront6targetE1EEEvSM_
; %bb.0:
	.section	.rodata,"a",@progbits
	.p2align	6, 0x0
	.amdhsa_kernel _ZN7rocprim17ROCPRIM_400000_NS6detail17trampoline_kernelINS0_14default_configENS1_37merge_sort_block_sort_config_selectorIlNS0_10empty_typeEEEZNS1_21merge_sort_block_sortIS3_PlS8_PS5_S9_ZN2at6native12_GLOBAL__N_124unique_dim_cuda_templateIsEESt5tupleIJNSA_6TensorESF_SF_EERKSF_lbbbEUlllE_EE10hipError_tT0_T1_T2_T3_mRjT4_P12ihipStream_tbNS1_7vsmem_tEEUlT_E_NS1_11comp_targetILNS1_3genE10ELNS1_11target_archE1201ELNS1_3gpuE5ELNS1_3repE0EEENS1_30default_config_static_selectorELNS0_4arch9wavefront6targetE1EEEvSM_
		.amdhsa_group_segment_fixed_size 0
		.amdhsa_private_segment_fixed_size 0
		.amdhsa_kernarg_size 72
		.amdhsa_user_sgpr_count 2
		.amdhsa_user_sgpr_dispatch_ptr 0
		.amdhsa_user_sgpr_queue_ptr 0
		.amdhsa_user_sgpr_kernarg_segment_ptr 1
		.amdhsa_user_sgpr_dispatch_id 0
		.amdhsa_user_sgpr_kernarg_preload_length 0
		.amdhsa_user_sgpr_kernarg_preload_offset 0
		.amdhsa_user_sgpr_private_segment_size 0
		.amdhsa_uses_dynamic_stack 0
		.amdhsa_enable_private_segment 0
		.amdhsa_system_sgpr_workgroup_id_x 1
		.amdhsa_system_sgpr_workgroup_id_y 0
		.amdhsa_system_sgpr_workgroup_id_z 0
		.amdhsa_system_sgpr_workgroup_info 0
		.amdhsa_system_vgpr_workitem_id 0
		.amdhsa_next_free_vgpr 1
		.amdhsa_next_free_sgpr 0
		.amdhsa_accum_offset 4
		.amdhsa_reserve_vcc 0
		.amdhsa_float_round_mode_32 0
		.amdhsa_float_round_mode_16_64 0
		.amdhsa_float_denorm_mode_32 3
		.amdhsa_float_denorm_mode_16_64 3
		.amdhsa_dx10_clamp 1
		.amdhsa_ieee_mode 1
		.amdhsa_fp16_overflow 0
		.amdhsa_tg_split 0
		.amdhsa_exception_fp_ieee_invalid_op 0
		.amdhsa_exception_fp_denorm_src 0
		.amdhsa_exception_fp_ieee_div_zero 0
		.amdhsa_exception_fp_ieee_overflow 0
		.amdhsa_exception_fp_ieee_underflow 0
		.amdhsa_exception_fp_ieee_inexact 0
		.amdhsa_exception_int_div_zero 0
	.end_amdhsa_kernel
	.section	.text._ZN7rocprim17ROCPRIM_400000_NS6detail17trampoline_kernelINS0_14default_configENS1_37merge_sort_block_sort_config_selectorIlNS0_10empty_typeEEEZNS1_21merge_sort_block_sortIS3_PlS8_PS5_S9_ZN2at6native12_GLOBAL__N_124unique_dim_cuda_templateIsEESt5tupleIJNSA_6TensorESF_SF_EERKSF_lbbbEUlllE_EE10hipError_tT0_T1_T2_T3_mRjT4_P12ihipStream_tbNS1_7vsmem_tEEUlT_E_NS1_11comp_targetILNS1_3genE10ELNS1_11target_archE1201ELNS1_3gpuE5ELNS1_3repE0EEENS1_30default_config_static_selectorELNS0_4arch9wavefront6targetE1EEEvSM_,"axG",@progbits,_ZN7rocprim17ROCPRIM_400000_NS6detail17trampoline_kernelINS0_14default_configENS1_37merge_sort_block_sort_config_selectorIlNS0_10empty_typeEEEZNS1_21merge_sort_block_sortIS3_PlS8_PS5_S9_ZN2at6native12_GLOBAL__N_124unique_dim_cuda_templateIsEESt5tupleIJNSA_6TensorESF_SF_EERKSF_lbbbEUlllE_EE10hipError_tT0_T1_T2_T3_mRjT4_P12ihipStream_tbNS1_7vsmem_tEEUlT_E_NS1_11comp_targetILNS1_3genE10ELNS1_11target_archE1201ELNS1_3gpuE5ELNS1_3repE0EEENS1_30default_config_static_selectorELNS0_4arch9wavefront6targetE1EEEvSM_,comdat
.Lfunc_end637:
	.size	_ZN7rocprim17ROCPRIM_400000_NS6detail17trampoline_kernelINS0_14default_configENS1_37merge_sort_block_sort_config_selectorIlNS0_10empty_typeEEEZNS1_21merge_sort_block_sortIS3_PlS8_PS5_S9_ZN2at6native12_GLOBAL__N_124unique_dim_cuda_templateIsEESt5tupleIJNSA_6TensorESF_SF_EERKSF_lbbbEUlllE_EE10hipError_tT0_T1_T2_T3_mRjT4_P12ihipStream_tbNS1_7vsmem_tEEUlT_E_NS1_11comp_targetILNS1_3genE10ELNS1_11target_archE1201ELNS1_3gpuE5ELNS1_3repE0EEENS1_30default_config_static_selectorELNS0_4arch9wavefront6targetE1EEEvSM_, .Lfunc_end637-_ZN7rocprim17ROCPRIM_400000_NS6detail17trampoline_kernelINS0_14default_configENS1_37merge_sort_block_sort_config_selectorIlNS0_10empty_typeEEEZNS1_21merge_sort_block_sortIS3_PlS8_PS5_S9_ZN2at6native12_GLOBAL__N_124unique_dim_cuda_templateIsEESt5tupleIJNSA_6TensorESF_SF_EERKSF_lbbbEUlllE_EE10hipError_tT0_T1_T2_T3_mRjT4_P12ihipStream_tbNS1_7vsmem_tEEUlT_E_NS1_11comp_targetILNS1_3genE10ELNS1_11target_archE1201ELNS1_3gpuE5ELNS1_3repE0EEENS1_30default_config_static_selectorELNS0_4arch9wavefront6targetE1EEEvSM_
                                        ; -- End function
	.section	.AMDGPU.csdata,"",@progbits
; Kernel info:
; codeLenInByte = 0
; NumSgprs: 6
; NumVgprs: 0
; NumAgprs: 0
; TotalNumVgprs: 0
; ScratchSize: 0
; MemoryBound: 0
; FloatMode: 240
; IeeeMode: 1
; LDSByteSize: 0 bytes/workgroup (compile time only)
; SGPRBlocks: 0
; VGPRBlocks: 0
; NumSGPRsForWavesPerEU: 6
; NumVGPRsForWavesPerEU: 1
; AccumOffset: 4
; Occupancy: 8
; WaveLimiterHint : 0
; COMPUTE_PGM_RSRC2:SCRATCH_EN: 0
; COMPUTE_PGM_RSRC2:USER_SGPR: 2
; COMPUTE_PGM_RSRC2:TRAP_HANDLER: 0
; COMPUTE_PGM_RSRC2:TGID_X_EN: 1
; COMPUTE_PGM_RSRC2:TGID_Y_EN: 0
; COMPUTE_PGM_RSRC2:TGID_Z_EN: 0
; COMPUTE_PGM_RSRC2:TIDIG_COMP_CNT: 0
; COMPUTE_PGM_RSRC3_GFX90A:ACCUM_OFFSET: 0
; COMPUTE_PGM_RSRC3_GFX90A:TG_SPLIT: 0
	.section	.text._ZN7rocprim17ROCPRIM_400000_NS6detail17trampoline_kernelINS0_14default_configENS1_37merge_sort_block_sort_config_selectorIlNS0_10empty_typeEEEZNS1_21merge_sort_block_sortIS3_PlS8_PS5_S9_ZN2at6native12_GLOBAL__N_124unique_dim_cuda_templateIsEESt5tupleIJNSA_6TensorESF_SF_EERKSF_lbbbEUlllE_EE10hipError_tT0_T1_T2_T3_mRjT4_P12ihipStream_tbNS1_7vsmem_tEEUlT_E_NS1_11comp_targetILNS1_3genE10ELNS1_11target_archE1200ELNS1_3gpuE4ELNS1_3repE0EEENS1_30default_config_static_selectorELNS0_4arch9wavefront6targetE1EEEvSM_,"axG",@progbits,_ZN7rocprim17ROCPRIM_400000_NS6detail17trampoline_kernelINS0_14default_configENS1_37merge_sort_block_sort_config_selectorIlNS0_10empty_typeEEEZNS1_21merge_sort_block_sortIS3_PlS8_PS5_S9_ZN2at6native12_GLOBAL__N_124unique_dim_cuda_templateIsEESt5tupleIJNSA_6TensorESF_SF_EERKSF_lbbbEUlllE_EE10hipError_tT0_T1_T2_T3_mRjT4_P12ihipStream_tbNS1_7vsmem_tEEUlT_E_NS1_11comp_targetILNS1_3genE10ELNS1_11target_archE1200ELNS1_3gpuE4ELNS1_3repE0EEENS1_30default_config_static_selectorELNS0_4arch9wavefront6targetE1EEEvSM_,comdat
	.globl	_ZN7rocprim17ROCPRIM_400000_NS6detail17trampoline_kernelINS0_14default_configENS1_37merge_sort_block_sort_config_selectorIlNS0_10empty_typeEEEZNS1_21merge_sort_block_sortIS3_PlS8_PS5_S9_ZN2at6native12_GLOBAL__N_124unique_dim_cuda_templateIsEESt5tupleIJNSA_6TensorESF_SF_EERKSF_lbbbEUlllE_EE10hipError_tT0_T1_T2_T3_mRjT4_P12ihipStream_tbNS1_7vsmem_tEEUlT_E_NS1_11comp_targetILNS1_3genE10ELNS1_11target_archE1200ELNS1_3gpuE4ELNS1_3repE0EEENS1_30default_config_static_selectorELNS0_4arch9wavefront6targetE1EEEvSM_ ; -- Begin function _ZN7rocprim17ROCPRIM_400000_NS6detail17trampoline_kernelINS0_14default_configENS1_37merge_sort_block_sort_config_selectorIlNS0_10empty_typeEEEZNS1_21merge_sort_block_sortIS3_PlS8_PS5_S9_ZN2at6native12_GLOBAL__N_124unique_dim_cuda_templateIsEESt5tupleIJNSA_6TensorESF_SF_EERKSF_lbbbEUlllE_EE10hipError_tT0_T1_T2_T3_mRjT4_P12ihipStream_tbNS1_7vsmem_tEEUlT_E_NS1_11comp_targetILNS1_3genE10ELNS1_11target_archE1200ELNS1_3gpuE4ELNS1_3repE0EEENS1_30default_config_static_selectorELNS0_4arch9wavefront6targetE1EEEvSM_
	.p2align	8
	.type	_ZN7rocprim17ROCPRIM_400000_NS6detail17trampoline_kernelINS0_14default_configENS1_37merge_sort_block_sort_config_selectorIlNS0_10empty_typeEEEZNS1_21merge_sort_block_sortIS3_PlS8_PS5_S9_ZN2at6native12_GLOBAL__N_124unique_dim_cuda_templateIsEESt5tupleIJNSA_6TensorESF_SF_EERKSF_lbbbEUlllE_EE10hipError_tT0_T1_T2_T3_mRjT4_P12ihipStream_tbNS1_7vsmem_tEEUlT_E_NS1_11comp_targetILNS1_3genE10ELNS1_11target_archE1200ELNS1_3gpuE4ELNS1_3repE0EEENS1_30default_config_static_selectorELNS0_4arch9wavefront6targetE1EEEvSM_,@function
_ZN7rocprim17ROCPRIM_400000_NS6detail17trampoline_kernelINS0_14default_configENS1_37merge_sort_block_sort_config_selectorIlNS0_10empty_typeEEEZNS1_21merge_sort_block_sortIS3_PlS8_PS5_S9_ZN2at6native12_GLOBAL__N_124unique_dim_cuda_templateIsEESt5tupleIJNSA_6TensorESF_SF_EERKSF_lbbbEUlllE_EE10hipError_tT0_T1_T2_T3_mRjT4_P12ihipStream_tbNS1_7vsmem_tEEUlT_E_NS1_11comp_targetILNS1_3genE10ELNS1_11target_archE1200ELNS1_3gpuE4ELNS1_3repE0EEENS1_30default_config_static_selectorELNS0_4arch9wavefront6targetE1EEEvSM_: ; @_ZN7rocprim17ROCPRIM_400000_NS6detail17trampoline_kernelINS0_14default_configENS1_37merge_sort_block_sort_config_selectorIlNS0_10empty_typeEEEZNS1_21merge_sort_block_sortIS3_PlS8_PS5_S9_ZN2at6native12_GLOBAL__N_124unique_dim_cuda_templateIsEESt5tupleIJNSA_6TensorESF_SF_EERKSF_lbbbEUlllE_EE10hipError_tT0_T1_T2_T3_mRjT4_P12ihipStream_tbNS1_7vsmem_tEEUlT_E_NS1_11comp_targetILNS1_3genE10ELNS1_11target_archE1200ELNS1_3gpuE4ELNS1_3repE0EEENS1_30default_config_static_selectorELNS0_4arch9wavefront6targetE1EEEvSM_
; %bb.0:
	.section	.rodata,"a",@progbits
	.p2align	6, 0x0
	.amdhsa_kernel _ZN7rocprim17ROCPRIM_400000_NS6detail17trampoline_kernelINS0_14default_configENS1_37merge_sort_block_sort_config_selectorIlNS0_10empty_typeEEEZNS1_21merge_sort_block_sortIS3_PlS8_PS5_S9_ZN2at6native12_GLOBAL__N_124unique_dim_cuda_templateIsEESt5tupleIJNSA_6TensorESF_SF_EERKSF_lbbbEUlllE_EE10hipError_tT0_T1_T2_T3_mRjT4_P12ihipStream_tbNS1_7vsmem_tEEUlT_E_NS1_11comp_targetILNS1_3genE10ELNS1_11target_archE1200ELNS1_3gpuE4ELNS1_3repE0EEENS1_30default_config_static_selectorELNS0_4arch9wavefront6targetE1EEEvSM_
		.amdhsa_group_segment_fixed_size 0
		.amdhsa_private_segment_fixed_size 0
		.amdhsa_kernarg_size 72
		.amdhsa_user_sgpr_count 2
		.amdhsa_user_sgpr_dispatch_ptr 0
		.amdhsa_user_sgpr_queue_ptr 0
		.amdhsa_user_sgpr_kernarg_segment_ptr 1
		.amdhsa_user_sgpr_dispatch_id 0
		.amdhsa_user_sgpr_kernarg_preload_length 0
		.amdhsa_user_sgpr_kernarg_preload_offset 0
		.amdhsa_user_sgpr_private_segment_size 0
		.amdhsa_uses_dynamic_stack 0
		.amdhsa_enable_private_segment 0
		.amdhsa_system_sgpr_workgroup_id_x 1
		.amdhsa_system_sgpr_workgroup_id_y 0
		.amdhsa_system_sgpr_workgroup_id_z 0
		.amdhsa_system_sgpr_workgroup_info 0
		.amdhsa_system_vgpr_workitem_id 0
		.amdhsa_next_free_vgpr 1
		.amdhsa_next_free_sgpr 0
		.amdhsa_accum_offset 4
		.amdhsa_reserve_vcc 0
		.amdhsa_float_round_mode_32 0
		.amdhsa_float_round_mode_16_64 0
		.amdhsa_float_denorm_mode_32 3
		.amdhsa_float_denorm_mode_16_64 3
		.amdhsa_dx10_clamp 1
		.amdhsa_ieee_mode 1
		.amdhsa_fp16_overflow 0
		.amdhsa_tg_split 0
		.amdhsa_exception_fp_ieee_invalid_op 0
		.amdhsa_exception_fp_denorm_src 0
		.amdhsa_exception_fp_ieee_div_zero 0
		.amdhsa_exception_fp_ieee_overflow 0
		.amdhsa_exception_fp_ieee_underflow 0
		.amdhsa_exception_fp_ieee_inexact 0
		.amdhsa_exception_int_div_zero 0
	.end_amdhsa_kernel
	.section	.text._ZN7rocprim17ROCPRIM_400000_NS6detail17trampoline_kernelINS0_14default_configENS1_37merge_sort_block_sort_config_selectorIlNS0_10empty_typeEEEZNS1_21merge_sort_block_sortIS3_PlS8_PS5_S9_ZN2at6native12_GLOBAL__N_124unique_dim_cuda_templateIsEESt5tupleIJNSA_6TensorESF_SF_EERKSF_lbbbEUlllE_EE10hipError_tT0_T1_T2_T3_mRjT4_P12ihipStream_tbNS1_7vsmem_tEEUlT_E_NS1_11comp_targetILNS1_3genE10ELNS1_11target_archE1200ELNS1_3gpuE4ELNS1_3repE0EEENS1_30default_config_static_selectorELNS0_4arch9wavefront6targetE1EEEvSM_,"axG",@progbits,_ZN7rocprim17ROCPRIM_400000_NS6detail17trampoline_kernelINS0_14default_configENS1_37merge_sort_block_sort_config_selectorIlNS0_10empty_typeEEEZNS1_21merge_sort_block_sortIS3_PlS8_PS5_S9_ZN2at6native12_GLOBAL__N_124unique_dim_cuda_templateIsEESt5tupleIJNSA_6TensorESF_SF_EERKSF_lbbbEUlllE_EE10hipError_tT0_T1_T2_T3_mRjT4_P12ihipStream_tbNS1_7vsmem_tEEUlT_E_NS1_11comp_targetILNS1_3genE10ELNS1_11target_archE1200ELNS1_3gpuE4ELNS1_3repE0EEENS1_30default_config_static_selectorELNS0_4arch9wavefront6targetE1EEEvSM_,comdat
.Lfunc_end638:
	.size	_ZN7rocprim17ROCPRIM_400000_NS6detail17trampoline_kernelINS0_14default_configENS1_37merge_sort_block_sort_config_selectorIlNS0_10empty_typeEEEZNS1_21merge_sort_block_sortIS3_PlS8_PS5_S9_ZN2at6native12_GLOBAL__N_124unique_dim_cuda_templateIsEESt5tupleIJNSA_6TensorESF_SF_EERKSF_lbbbEUlllE_EE10hipError_tT0_T1_T2_T3_mRjT4_P12ihipStream_tbNS1_7vsmem_tEEUlT_E_NS1_11comp_targetILNS1_3genE10ELNS1_11target_archE1200ELNS1_3gpuE4ELNS1_3repE0EEENS1_30default_config_static_selectorELNS0_4arch9wavefront6targetE1EEEvSM_, .Lfunc_end638-_ZN7rocprim17ROCPRIM_400000_NS6detail17trampoline_kernelINS0_14default_configENS1_37merge_sort_block_sort_config_selectorIlNS0_10empty_typeEEEZNS1_21merge_sort_block_sortIS3_PlS8_PS5_S9_ZN2at6native12_GLOBAL__N_124unique_dim_cuda_templateIsEESt5tupleIJNSA_6TensorESF_SF_EERKSF_lbbbEUlllE_EE10hipError_tT0_T1_T2_T3_mRjT4_P12ihipStream_tbNS1_7vsmem_tEEUlT_E_NS1_11comp_targetILNS1_3genE10ELNS1_11target_archE1200ELNS1_3gpuE4ELNS1_3repE0EEENS1_30default_config_static_selectorELNS0_4arch9wavefront6targetE1EEEvSM_
                                        ; -- End function
	.section	.AMDGPU.csdata,"",@progbits
; Kernel info:
; codeLenInByte = 0
; NumSgprs: 6
; NumVgprs: 0
; NumAgprs: 0
; TotalNumVgprs: 0
; ScratchSize: 0
; MemoryBound: 0
; FloatMode: 240
; IeeeMode: 1
; LDSByteSize: 0 bytes/workgroup (compile time only)
; SGPRBlocks: 0
; VGPRBlocks: 0
; NumSGPRsForWavesPerEU: 6
; NumVGPRsForWavesPerEU: 1
; AccumOffset: 4
; Occupancy: 8
; WaveLimiterHint : 0
; COMPUTE_PGM_RSRC2:SCRATCH_EN: 0
; COMPUTE_PGM_RSRC2:USER_SGPR: 2
; COMPUTE_PGM_RSRC2:TRAP_HANDLER: 0
; COMPUTE_PGM_RSRC2:TGID_X_EN: 1
; COMPUTE_PGM_RSRC2:TGID_Y_EN: 0
; COMPUTE_PGM_RSRC2:TGID_Z_EN: 0
; COMPUTE_PGM_RSRC2:TIDIG_COMP_CNT: 0
; COMPUTE_PGM_RSRC3_GFX90A:ACCUM_OFFSET: 0
; COMPUTE_PGM_RSRC3_GFX90A:TG_SPLIT: 0
	.section	.text._ZN7rocprim17ROCPRIM_400000_NS6detail17trampoline_kernelINS0_14default_configENS1_37merge_sort_block_sort_config_selectorIlNS0_10empty_typeEEEZNS1_21merge_sort_block_sortIS3_PlS8_PS5_S9_ZN2at6native12_GLOBAL__N_124unique_dim_cuda_templateIsEESt5tupleIJNSA_6TensorESF_SF_EERKSF_lbbbEUlllE_EE10hipError_tT0_T1_T2_T3_mRjT4_P12ihipStream_tbNS1_7vsmem_tEEUlT_E_NS1_11comp_targetILNS1_3genE9ELNS1_11target_archE1100ELNS1_3gpuE3ELNS1_3repE0EEENS1_30default_config_static_selectorELNS0_4arch9wavefront6targetE1EEEvSM_,"axG",@progbits,_ZN7rocprim17ROCPRIM_400000_NS6detail17trampoline_kernelINS0_14default_configENS1_37merge_sort_block_sort_config_selectorIlNS0_10empty_typeEEEZNS1_21merge_sort_block_sortIS3_PlS8_PS5_S9_ZN2at6native12_GLOBAL__N_124unique_dim_cuda_templateIsEESt5tupleIJNSA_6TensorESF_SF_EERKSF_lbbbEUlllE_EE10hipError_tT0_T1_T2_T3_mRjT4_P12ihipStream_tbNS1_7vsmem_tEEUlT_E_NS1_11comp_targetILNS1_3genE9ELNS1_11target_archE1100ELNS1_3gpuE3ELNS1_3repE0EEENS1_30default_config_static_selectorELNS0_4arch9wavefront6targetE1EEEvSM_,comdat
	.globl	_ZN7rocprim17ROCPRIM_400000_NS6detail17trampoline_kernelINS0_14default_configENS1_37merge_sort_block_sort_config_selectorIlNS0_10empty_typeEEEZNS1_21merge_sort_block_sortIS3_PlS8_PS5_S9_ZN2at6native12_GLOBAL__N_124unique_dim_cuda_templateIsEESt5tupleIJNSA_6TensorESF_SF_EERKSF_lbbbEUlllE_EE10hipError_tT0_T1_T2_T3_mRjT4_P12ihipStream_tbNS1_7vsmem_tEEUlT_E_NS1_11comp_targetILNS1_3genE9ELNS1_11target_archE1100ELNS1_3gpuE3ELNS1_3repE0EEENS1_30default_config_static_selectorELNS0_4arch9wavefront6targetE1EEEvSM_ ; -- Begin function _ZN7rocprim17ROCPRIM_400000_NS6detail17trampoline_kernelINS0_14default_configENS1_37merge_sort_block_sort_config_selectorIlNS0_10empty_typeEEEZNS1_21merge_sort_block_sortIS3_PlS8_PS5_S9_ZN2at6native12_GLOBAL__N_124unique_dim_cuda_templateIsEESt5tupleIJNSA_6TensorESF_SF_EERKSF_lbbbEUlllE_EE10hipError_tT0_T1_T2_T3_mRjT4_P12ihipStream_tbNS1_7vsmem_tEEUlT_E_NS1_11comp_targetILNS1_3genE9ELNS1_11target_archE1100ELNS1_3gpuE3ELNS1_3repE0EEENS1_30default_config_static_selectorELNS0_4arch9wavefront6targetE1EEEvSM_
	.p2align	8
	.type	_ZN7rocprim17ROCPRIM_400000_NS6detail17trampoline_kernelINS0_14default_configENS1_37merge_sort_block_sort_config_selectorIlNS0_10empty_typeEEEZNS1_21merge_sort_block_sortIS3_PlS8_PS5_S9_ZN2at6native12_GLOBAL__N_124unique_dim_cuda_templateIsEESt5tupleIJNSA_6TensorESF_SF_EERKSF_lbbbEUlllE_EE10hipError_tT0_T1_T2_T3_mRjT4_P12ihipStream_tbNS1_7vsmem_tEEUlT_E_NS1_11comp_targetILNS1_3genE9ELNS1_11target_archE1100ELNS1_3gpuE3ELNS1_3repE0EEENS1_30default_config_static_selectorELNS0_4arch9wavefront6targetE1EEEvSM_,@function
_ZN7rocprim17ROCPRIM_400000_NS6detail17trampoline_kernelINS0_14default_configENS1_37merge_sort_block_sort_config_selectorIlNS0_10empty_typeEEEZNS1_21merge_sort_block_sortIS3_PlS8_PS5_S9_ZN2at6native12_GLOBAL__N_124unique_dim_cuda_templateIsEESt5tupleIJNSA_6TensorESF_SF_EERKSF_lbbbEUlllE_EE10hipError_tT0_T1_T2_T3_mRjT4_P12ihipStream_tbNS1_7vsmem_tEEUlT_E_NS1_11comp_targetILNS1_3genE9ELNS1_11target_archE1100ELNS1_3gpuE3ELNS1_3repE0EEENS1_30default_config_static_selectorELNS0_4arch9wavefront6targetE1EEEvSM_: ; @_ZN7rocprim17ROCPRIM_400000_NS6detail17trampoline_kernelINS0_14default_configENS1_37merge_sort_block_sort_config_selectorIlNS0_10empty_typeEEEZNS1_21merge_sort_block_sortIS3_PlS8_PS5_S9_ZN2at6native12_GLOBAL__N_124unique_dim_cuda_templateIsEESt5tupleIJNSA_6TensorESF_SF_EERKSF_lbbbEUlllE_EE10hipError_tT0_T1_T2_T3_mRjT4_P12ihipStream_tbNS1_7vsmem_tEEUlT_E_NS1_11comp_targetILNS1_3genE9ELNS1_11target_archE1100ELNS1_3gpuE3ELNS1_3repE0EEENS1_30default_config_static_selectorELNS0_4arch9wavefront6targetE1EEEvSM_
; %bb.0:
	.section	.rodata,"a",@progbits
	.p2align	6, 0x0
	.amdhsa_kernel _ZN7rocprim17ROCPRIM_400000_NS6detail17trampoline_kernelINS0_14default_configENS1_37merge_sort_block_sort_config_selectorIlNS0_10empty_typeEEEZNS1_21merge_sort_block_sortIS3_PlS8_PS5_S9_ZN2at6native12_GLOBAL__N_124unique_dim_cuda_templateIsEESt5tupleIJNSA_6TensorESF_SF_EERKSF_lbbbEUlllE_EE10hipError_tT0_T1_T2_T3_mRjT4_P12ihipStream_tbNS1_7vsmem_tEEUlT_E_NS1_11comp_targetILNS1_3genE9ELNS1_11target_archE1100ELNS1_3gpuE3ELNS1_3repE0EEENS1_30default_config_static_selectorELNS0_4arch9wavefront6targetE1EEEvSM_
		.amdhsa_group_segment_fixed_size 0
		.amdhsa_private_segment_fixed_size 0
		.amdhsa_kernarg_size 72
		.amdhsa_user_sgpr_count 2
		.amdhsa_user_sgpr_dispatch_ptr 0
		.amdhsa_user_sgpr_queue_ptr 0
		.amdhsa_user_sgpr_kernarg_segment_ptr 1
		.amdhsa_user_sgpr_dispatch_id 0
		.amdhsa_user_sgpr_kernarg_preload_length 0
		.amdhsa_user_sgpr_kernarg_preload_offset 0
		.amdhsa_user_sgpr_private_segment_size 0
		.amdhsa_uses_dynamic_stack 0
		.amdhsa_enable_private_segment 0
		.amdhsa_system_sgpr_workgroup_id_x 1
		.amdhsa_system_sgpr_workgroup_id_y 0
		.amdhsa_system_sgpr_workgroup_id_z 0
		.amdhsa_system_sgpr_workgroup_info 0
		.amdhsa_system_vgpr_workitem_id 0
		.amdhsa_next_free_vgpr 1
		.amdhsa_next_free_sgpr 0
		.amdhsa_accum_offset 4
		.amdhsa_reserve_vcc 0
		.amdhsa_float_round_mode_32 0
		.amdhsa_float_round_mode_16_64 0
		.amdhsa_float_denorm_mode_32 3
		.amdhsa_float_denorm_mode_16_64 3
		.amdhsa_dx10_clamp 1
		.amdhsa_ieee_mode 1
		.amdhsa_fp16_overflow 0
		.amdhsa_tg_split 0
		.amdhsa_exception_fp_ieee_invalid_op 0
		.amdhsa_exception_fp_denorm_src 0
		.amdhsa_exception_fp_ieee_div_zero 0
		.amdhsa_exception_fp_ieee_overflow 0
		.amdhsa_exception_fp_ieee_underflow 0
		.amdhsa_exception_fp_ieee_inexact 0
		.amdhsa_exception_int_div_zero 0
	.end_amdhsa_kernel
	.section	.text._ZN7rocprim17ROCPRIM_400000_NS6detail17trampoline_kernelINS0_14default_configENS1_37merge_sort_block_sort_config_selectorIlNS0_10empty_typeEEEZNS1_21merge_sort_block_sortIS3_PlS8_PS5_S9_ZN2at6native12_GLOBAL__N_124unique_dim_cuda_templateIsEESt5tupleIJNSA_6TensorESF_SF_EERKSF_lbbbEUlllE_EE10hipError_tT0_T1_T2_T3_mRjT4_P12ihipStream_tbNS1_7vsmem_tEEUlT_E_NS1_11comp_targetILNS1_3genE9ELNS1_11target_archE1100ELNS1_3gpuE3ELNS1_3repE0EEENS1_30default_config_static_selectorELNS0_4arch9wavefront6targetE1EEEvSM_,"axG",@progbits,_ZN7rocprim17ROCPRIM_400000_NS6detail17trampoline_kernelINS0_14default_configENS1_37merge_sort_block_sort_config_selectorIlNS0_10empty_typeEEEZNS1_21merge_sort_block_sortIS3_PlS8_PS5_S9_ZN2at6native12_GLOBAL__N_124unique_dim_cuda_templateIsEESt5tupleIJNSA_6TensorESF_SF_EERKSF_lbbbEUlllE_EE10hipError_tT0_T1_T2_T3_mRjT4_P12ihipStream_tbNS1_7vsmem_tEEUlT_E_NS1_11comp_targetILNS1_3genE9ELNS1_11target_archE1100ELNS1_3gpuE3ELNS1_3repE0EEENS1_30default_config_static_selectorELNS0_4arch9wavefront6targetE1EEEvSM_,comdat
.Lfunc_end639:
	.size	_ZN7rocprim17ROCPRIM_400000_NS6detail17trampoline_kernelINS0_14default_configENS1_37merge_sort_block_sort_config_selectorIlNS0_10empty_typeEEEZNS1_21merge_sort_block_sortIS3_PlS8_PS5_S9_ZN2at6native12_GLOBAL__N_124unique_dim_cuda_templateIsEESt5tupleIJNSA_6TensorESF_SF_EERKSF_lbbbEUlllE_EE10hipError_tT0_T1_T2_T3_mRjT4_P12ihipStream_tbNS1_7vsmem_tEEUlT_E_NS1_11comp_targetILNS1_3genE9ELNS1_11target_archE1100ELNS1_3gpuE3ELNS1_3repE0EEENS1_30default_config_static_selectorELNS0_4arch9wavefront6targetE1EEEvSM_, .Lfunc_end639-_ZN7rocprim17ROCPRIM_400000_NS6detail17trampoline_kernelINS0_14default_configENS1_37merge_sort_block_sort_config_selectorIlNS0_10empty_typeEEEZNS1_21merge_sort_block_sortIS3_PlS8_PS5_S9_ZN2at6native12_GLOBAL__N_124unique_dim_cuda_templateIsEESt5tupleIJNSA_6TensorESF_SF_EERKSF_lbbbEUlllE_EE10hipError_tT0_T1_T2_T3_mRjT4_P12ihipStream_tbNS1_7vsmem_tEEUlT_E_NS1_11comp_targetILNS1_3genE9ELNS1_11target_archE1100ELNS1_3gpuE3ELNS1_3repE0EEENS1_30default_config_static_selectorELNS0_4arch9wavefront6targetE1EEEvSM_
                                        ; -- End function
	.section	.AMDGPU.csdata,"",@progbits
; Kernel info:
; codeLenInByte = 0
; NumSgprs: 6
; NumVgprs: 0
; NumAgprs: 0
; TotalNumVgprs: 0
; ScratchSize: 0
; MemoryBound: 0
; FloatMode: 240
; IeeeMode: 1
; LDSByteSize: 0 bytes/workgroup (compile time only)
; SGPRBlocks: 0
; VGPRBlocks: 0
; NumSGPRsForWavesPerEU: 6
; NumVGPRsForWavesPerEU: 1
; AccumOffset: 4
; Occupancy: 8
; WaveLimiterHint : 0
; COMPUTE_PGM_RSRC2:SCRATCH_EN: 0
; COMPUTE_PGM_RSRC2:USER_SGPR: 2
; COMPUTE_PGM_RSRC2:TRAP_HANDLER: 0
; COMPUTE_PGM_RSRC2:TGID_X_EN: 1
; COMPUTE_PGM_RSRC2:TGID_Y_EN: 0
; COMPUTE_PGM_RSRC2:TGID_Z_EN: 0
; COMPUTE_PGM_RSRC2:TIDIG_COMP_CNT: 0
; COMPUTE_PGM_RSRC3_GFX90A:ACCUM_OFFSET: 0
; COMPUTE_PGM_RSRC3_GFX90A:TG_SPLIT: 0
	.section	.text._ZN7rocprim17ROCPRIM_400000_NS6detail17trampoline_kernelINS0_14default_configENS1_37merge_sort_block_sort_config_selectorIlNS0_10empty_typeEEEZNS1_21merge_sort_block_sortIS3_PlS8_PS5_S9_ZN2at6native12_GLOBAL__N_124unique_dim_cuda_templateIsEESt5tupleIJNSA_6TensorESF_SF_EERKSF_lbbbEUlllE_EE10hipError_tT0_T1_T2_T3_mRjT4_P12ihipStream_tbNS1_7vsmem_tEEUlT_E_NS1_11comp_targetILNS1_3genE8ELNS1_11target_archE1030ELNS1_3gpuE2ELNS1_3repE0EEENS1_30default_config_static_selectorELNS0_4arch9wavefront6targetE1EEEvSM_,"axG",@progbits,_ZN7rocprim17ROCPRIM_400000_NS6detail17trampoline_kernelINS0_14default_configENS1_37merge_sort_block_sort_config_selectorIlNS0_10empty_typeEEEZNS1_21merge_sort_block_sortIS3_PlS8_PS5_S9_ZN2at6native12_GLOBAL__N_124unique_dim_cuda_templateIsEESt5tupleIJNSA_6TensorESF_SF_EERKSF_lbbbEUlllE_EE10hipError_tT0_T1_T2_T3_mRjT4_P12ihipStream_tbNS1_7vsmem_tEEUlT_E_NS1_11comp_targetILNS1_3genE8ELNS1_11target_archE1030ELNS1_3gpuE2ELNS1_3repE0EEENS1_30default_config_static_selectorELNS0_4arch9wavefront6targetE1EEEvSM_,comdat
	.globl	_ZN7rocprim17ROCPRIM_400000_NS6detail17trampoline_kernelINS0_14default_configENS1_37merge_sort_block_sort_config_selectorIlNS0_10empty_typeEEEZNS1_21merge_sort_block_sortIS3_PlS8_PS5_S9_ZN2at6native12_GLOBAL__N_124unique_dim_cuda_templateIsEESt5tupleIJNSA_6TensorESF_SF_EERKSF_lbbbEUlllE_EE10hipError_tT0_T1_T2_T3_mRjT4_P12ihipStream_tbNS1_7vsmem_tEEUlT_E_NS1_11comp_targetILNS1_3genE8ELNS1_11target_archE1030ELNS1_3gpuE2ELNS1_3repE0EEENS1_30default_config_static_selectorELNS0_4arch9wavefront6targetE1EEEvSM_ ; -- Begin function _ZN7rocprim17ROCPRIM_400000_NS6detail17trampoline_kernelINS0_14default_configENS1_37merge_sort_block_sort_config_selectorIlNS0_10empty_typeEEEZNS1_21merge_sort_block_sortIS3_PlS8_PS5_S9_ZN2at6native12_GLOBAL__N_124unique_dim_cuda_templateIsEESt5tupleIJNSA_6TensorESF_SF_EERKSF_lbbbEUlllE_EE10hipError_tT0_T1_T2_T3_mRjT4_P12ihipStream_tbNS1_7vsmem_tEEUlT_E_NS1_11comp_targetILNS1_3genE8ELNS1_11target_archE1030ELNS1_3gpuE2ELNS1_3repE0EEENS1_30default_config_static_selectorELNS0_4arch9wavefront6targetE1EEEvSM_
	.p2align	8
	.type	_ZN7rocprim17ROCPRIM_400000_NS6detail17trampoline_kernelINS0_14default_configENS1_37merge_sort_block_sort_config_selectorIlNS0_10empty_typeEEEZNS1_21merge_sort_block_sortIS3_PlS8_PS5_S9_ZN2at6native12_GLOBAL__N_124unique_dim_cuda_templateIsEESt5tupleIJNSA_6TensorESF_SF_EERKSF_lbbbEUlllE_EE10hipError_tT0_T1_T2_T3_mRjT4_P12ihipStream_tbNS1_7vsmem_tEEUlT_E_NS1_11comp_targetILNS1_3genE8ELNS1_11target_archE1030ELNS1_3gpuE2ELNS1_3repE0EEENS1_30default_config_static_selectorELNS0_4arch9wavefront6targetE1EEEvSM_,@function
_ZN7rocprim17ROCPRIM_400000_NS6detail17trampoline_kernelINS0_14default_configENS1_37merge_sort_block_sort_config_selectorIlNS0_10empty_typeEEEZNS1_21merge_sort_block_sortIS3_PlS8_PS5_S9_ZN2at6native12_GLOBAL__N_124unique_dim_cuda_templateIsEESt5tupleIJNSA_6TensorESF_SF_EERKSF_lbbbEUlllE_EE10hipError_tT0_T1_T2_T3_mRjT4_P12ihipStream_tbNS1_7vsmem_tEEUlT_E_NS1_11comp_targetILNS1_3genE8ELNS1_11target_archE1030ELNS1_3gpuE2ELNS1_3repE0EEENS1_30default_config_static_selectorELNS0_4arch9wavefront6targetE1EEEvSM_: ; @_ZN7rocprim17ROCPRIM_400000_NS6detail17trampoline_kernelINS0_14default_configENS1_37merge_sort_block_sort_config_selectorIlNS0_10empty_typeEEEZNS1_21merge_sort_block_sortIS3_PlS8_PS5_S9_ZN2at6native12_GLOBAL__N_124unique_dim_cuda_templateIsEESt5tupleIJNSA_6TensorESF_SF_EERKSF_lbbbEUlllE_EE10hipError_tT0_T1_T2_T3_mRjT4_P12ihipStream_tbNS1_7vsmem_tEEUlT_E_NS1_11comp_targetILNS1_3genE8ELNS1_11target_archE1030ELNS1_3gpuE2ELNS1_3repE0EEENS1_30default_config_static_selectorELNS0_4arch9wavefront6targetE1EEEvSM_
; %bb.0:
	.section	.rodata,"a",@progbits
	.p2align	6, 0x0
	.amdhsa_kernel _ZN7rocprim17ROCPRIM_400000_NS6detail17trampoline_kernelINS0_14default_configENS1_37merge_sort_block_sort_config_selectorIlNS0_10empty_typeEEEZNS1_21merge_sort_block_sortIS3_PlS8_PS5_S9_ZN2at6native12_GLOBAL__N_124unique_dim_cuda_templateIsEESt5tupleIJNSA_6TensorESF_SF_EERKSF_lbbbEUlllE_EE10hipError_tT0_T1_T2_T3_mRjT4_P12ihipStream_tbNS1_7vsmem_tEEUlT_E_NS1_11comp_targetILNS1_3genE8ELNS1_11target_archE1030ELNS1_3gpuE2ELNS1_3repE0EEENS1_30default_config_static_selectorELNS0_4arch9wavefront6targetE1EEEvSM_
		.amdhsa_group_segment_fixed_size 0
		.amdhsa_private_segment_fixed_size 0
		.amdhsa_kernarg_size 72
		.amdhsa_user_sgpr_count 2
		.amdhsa_user_sgpr_dispatch_ptr 0
		.amdhsa_user_sgpr_queue_ptr 0
		.amdhsa_user_sgpr_kernarg_segment_ptr 1
		.amdhsa_user_sgpr_dispatch_id 0
		.amdhsa_user_sgpr_kernarg_preload_length 0
		.amdhsa_user_sgpr_kernarg_preload_offset 0
		.amdhsa_user_sgpr_private_segment_size 0
		.amdhsa_uses_dynamic_stack 0
		.amdhsa_enable_private_segment 0
		.amdhsa_system_sgpr_workgroup_id_x 1
		.amdhsa_system_sgpr_workgroup_id_y 0
		.amdhsa_system_sgpr_workgroup_id_z 0
		.amdhsa_system_sgpr_workgroup_info 0
		.amdhsa_system_vgpr_workitem_id 0
		.amdhsa_next_free_vgpr 1
		.amdhsa_next_free_sgpr 0
		.amdhsa_accum_offset 4
		.amdhsa_reserve_vcc 0
		.amdhsa_float_round_mode_32 0
		.amdhsa_float_round_mode_16_64 0
		.amdhsa_float_denorm_mode_32 3
		.amdhsa_float_denorm_mode_16_64 3
		.amdhsa_dx10_clamp 1
		.amdhsa_ieee_mode 1
		.amdhsa_fp16_overflow 0
		.amdhsa_tg_split 0
		.amdhsa_exception_fp_ieee_invalid_op 0
		.amdhsa_exception_fp_denorm_src 0
		.amdhsa_exception_fp_ieee_div_zero 0
		.amdhsa_exception_fp_ieee_overflow 0
		.amdhsa_exception_fp_ieee_underflow 0
		.amdhsa_exception_fp_ieee_inexact 0
		.amdhsa_exception_int_div_zero 0
	.end_amdhsa_kernel
	.section	.text._ZN7rocprim17ROCPRIM_400000_NS6detail17trampoline_kernelINS0_14default_configENS1_37merge_sort_block_sort_config_selectorIlNS0_10empty_typeEEEZNS1_21merge_sort_block_sortIS3_PlS8_PS5_S9_ZN2at6native12_GLOBAL__N_124unique_dim_cuda_templateIsEESt5tupleIJNSA_6TensorESF_SF_EERKSF_lbbbEUlllE_EE10hipError_tT0_T1_T2_T3_mRjT4_P12ihipStream_tbNS1_7vsmem_tEEUlT_E_NS1_11comp_targetILNS1_3genE8ELNS1_11target_archE1030ELNS1_3gpuE2ELNS1_3repE0EEENS1_30default_config_static_selectorELNS0_4arch9wavefront6targetE1EEEvSM_,"axG",@progbits,_ZN7rocprim17ROCPRIM_400000_NS6detail17trampoline_kernelINS0_14default_configENS1_37merge_sort_block_sort_config_selectorIlNS0_10empty_typeEEEZNS1_21merge_sort_block_sortIS3_PlS8_PS5_S9_ZN2at6native12_GLOBAL__N_124unique_dim_cuda_templateIsEESt5tupleIJNSA_6TensorESF_SF_EERKSF_lbbbEUlllE_EE10hipError_tT0_T1_T2_T3_mRjT4_P12ihipStream_tbNS1_7vsmem_tEEUlT_E_NS1_11comp_targetILNS1_3genE8ELNS1_11target_archE1030ELNS1_3gpuE2ELNS1_3repE0EEENS1_30default_config_static_selectorELNS0_4arch9wavefront6targetE1EEEvSM_,comdat
.Lfunc_end640:
	.size	_ZN7rocprim17ROCPRIM_400000_NS6detail17trampoline_kernelINS0_14default_configENS1_37merge_sort_block_sort_config_selectorIlNS0_10empty_typeEEEZNS1_21merge_sort_block_sortIS3_PlS8_PS5_S9_ZN2at6native12_GLOBAL__N_124unique_dim_cuda_templateIsEESt5tupleIJNSA_6TensorESF_SF_EERKSF_lbbbEUlllE_EE10hipError_tT0_T1_T2_T3_mRjT4_P12ihipStream_tbNS1_7vsmem_tEEUlT_E_NS1_11comp_targetILNS1_3genE8ELNS1_11target_archE1030ELNS1_3gpuE2ELNS1_3repE0EEENS1_30default_config_static_selectorELNS0_4arch9wavefront6targetE1EEEvSM_, .Lfunc_end640-_ZN7rocprim17ROCPRIM_400000_NS6detail17trampoline_kernelINS0_14default_configENS1_37merge_sort_block_sort_config_selectorIlNS0_10empty_typeEEEZNS1_21merge_sort_block_sortIS3_PlS8_PS5_S9_ZN2at6native12_GLOBAL__N_124unique_dim_cuda_templateIsEESt5tupleIJNSA_6TensorESF_SF_EERKSF_lbbbEUlllE_EE10hipError_tT0_T1_T2_T3_mRjT4_P12ihipStream_tbNS1_7vsmem_tEEUlT_E_NS1_11comp_targetILNS1_3genE8ELNS1_11target_archE1030ELNS1_3gpuE2ELNS1_3repE0EEENS1_30default_config_static_selectorELNS0_4arch9wavefront6targetE1EEEvSM_
                                        ; -- End function
	.section	.AMDGPU.csdata,"",@progbits
; Kernel info:
; codeLenInByte = 0
; NumSgprs: 6
; NumVgprs: 0
; NumAgprs: 0
; TotalNumVgprs: 0
; ScratchSize: 0
; MemoryBound: 0
; FloatMode: 240
; IeeeMode: 1
; LDSByteSize: 0 bytes/workgroup (compile time only)
; SGPRBlocks: 0
; VGPRBlocks: 0
; NumSGPRsForWavesPerEU: 6
; NumVGPRsForWavesPerEU: 1
; AccumOffset: 4
; Occupancy: 8
; WaveLimiterHint : 0
; COMPUTE_PGM_RSRC2:SCRATCH_EN: 0
; COMPUTE_PGM_RSRC2:USER_SGPR: 2
; COMPUTE_PGM_RSRC2:TRAP_HANDLER: 0
; COMPUTE_PGM_RSRC2:TGID_X_EN: 1
; COMPUTE_PGM_RSRC2:TGID_Y_EN: 0
; COMPUTE_PGM_RSRC2:TGID_Z_EN: 0
; COMPUTE_PGM_RSRC2:TIDIG_COMP_CNT: 0
; COMPUTE_PGM_RSRC3_GFX90A:ACCUM_OFFSET: 0
; COMPUTE_PGM_RSRC3_GFX90A:TG_SPLIT: 0
	.section	.text._ZN7rocprim17ROCPRIM_400000_NS6detail17trampoline_kernelINS0_14default_configENS1_38merge_sort_block_merge_config_selectorIlNS0_10empty_typeEEEZZNS1_27merge_sort_block_merge_implIS3_PlPS5_mZN2at6native12_GLOBAL__N_124unique_dim_cuda_templateIsEESt5tupleIJNSA_6TensorESF_SF_EERKSF_lbbbEUlllE_EE10hipError_tT0_T1_T2_jT3_P12ihipStream_tbPNSt15iterator_traitsISL_E10value_typeEPNSR_ISM_E10value_typeEPSN_NS1_7vsmem_tEENKUlT_SL_SM_SN_E_clIS8_S8_S9_S9_EESK_S10_SL_SM_SN_EUlS10_E_NS1_11comp_targetILNS1_3genE0ELNS1_11target_archE4294967295ELNS1_3gpuE0ELNS1_3repE0EEENS1_48merge_mergepath_partition_config_static_selectorELNS0_4arch9wavefront6targetE1EEEvSM_,"axG",@progbits,_ZN7rocprim17ROCPRIM_400000_NS6detail17trampoline_kernelINS0_14default_configENS1_38merge_sort_block_merge_config_selectorIlNS0_10empty_typeEEEZZNS1_27merge_sort_block_merge_implIS3_PlPS5_mZN2at6native12_GLOBAL__N_124unique_dim_cuda_templateIsEESt5tupleIJNSA_6TensorESF_SF_EERKSF_lbbbEUlllE_EE10hipError_tT0_T1_T2_jT3_P12ihipStream_tbPNSt15iterator_traitsISL_E10value_typeEPNSR_ISM_E10value_typeEPSN_NS1_7vsmem_tEENKUlT_SL_SM_SN_E_clIS8_S8_S9_S9_EESK_S10_SL_SM_SN_EUlS10_E_NS1_11comp_targetILNS1_3genE0ELNS1_11target_archE4294967295ELNS1_3gpuE0ELNS1_3repE0EEENS1_48merge_mergepath_partition_config_static_selectorELNS0_4arch9wavefront6targetE1EEEvSM_,comdat
	.globl	_ZN7rocprim17ROCPRIM_400000_NS6detail17trampoline_kernelINS0_14default_configENS1_38merge_sort_block_merge_config_selectorIlNS0_10empty_typeEEEZZNS1_27merge_sort_block_merge_implIS3_PlPS5_mZN2at6native12_GLOBAL__N_124unique_dim_cuda_templateIsEESt5tupleIJNSA_6TensorESF_SF_EERKSF_lbbbEUlllE_EE10hipError_tT0_T1_T2_jT3_P12ihipStream_tbPNSt15iterator_traitsISL_E10value_typeEPNSR_ISM_E10value_typeEPSN_NS1_7vsmem_tEENKUlT_SL_SM_SN_E_clIS8_S8_S9_S9_EESK_S10_SL_SM_SN_EUlS10_E_NS1_11comp_targetILNS1_3genE0ELNS1_11target_archE4294967295ELNS1_3gpuE0ELNS1_3repE0EEENS1_48merge_mergepath_partition_config_static_selectorELNS0_4arch9wavefront6targetE1EEEvSM_ ; -- Begin function _ZN7rocprim17ROCPRIM_400000_NS6detail17trampoline_kernelINS0_14default_configENS1_38merge_sort_block_merge_config_selectorIlNS0_10empty_typeEEEZZNS1_27merge_sort_block_merge_implIS3_PlPS5_mZN2at6native12_GLOBAL__N_124unique_dim_cuda_templateIsEESt5tupleIJNSA_6TensorESF_SF_EERKSF_lbbbEUlllE_EE10hipError_tT0_T1_T2_jT3_P12ihipStream_tbPNSt15iterator_traitsISL_E10value_typeEPNSR_ISM_E10value_typeEPSN_NS1_7vsmem_tEENKUlT_SL_SM_SN_E_clIS8_S8_S9_S9_EESK_S10_SL_SM_SN_EUlS10_E_NS1_11comp_targetILNS1_3genE0ELNS1_11target_archE4294967295ELNS1_3gpuE0ELNS1_3repE0EEENS1_48merge_mergepath_partition_config_static_selectorELNS0_4arch9wavefront6targetE1EEEvSM_
	.p2align	8
	.type	_ZN7rocprim17ROCPRIM_400000_NS6detail17trampoline_kernelINS0_14default_configENS1_38merge_sort_block_merge_config_selectorIlNS0_10empty_typeEEEZZNS1_27merge_sort_block_merge_implIS3_PlPS5_mZN2at6native12_GLOBAL__N_124unique_dim_cuda_templateIsEESt5tupleIJNSA_6TensorESF_SF_EERKSF_lbbbEUlllE_EE10hipError_tT0_T1_T2_jT3_P12ihipStream_tbPNSt15iterator_traitsISL_E10value_typeEPNSR_ISM_E10value_typeEPSN_NS1_7vsmem_tEENKUlT_SL_SM_SN_E_clIS8_S8_S9_S9_EESK_S10_SL_SM_SN_EUlS10_E_NS1_11comp_targetILNS1_3genE0ELNS1_11target_archE4294967295ELNS1_3gpuE0ELNS1_3repE0EEENS1_48merge_mergepath_partition_config_static_selectorELNS0_4arch9wavefront6targetE1EEEvSM_,@function
_ZN7rocprim17ROCPRIM_400000_NS6detail17trampoline_kernelINS0_14default_configENS1_38merge_sort_block_merge_config_selectorIlNS0_10empty_typeEEEZZNS1_27merge_sort_block_merge_implIS3_PlPS5_mZN2at6native12_GLOBAL__N_124unique_dim_cuda_templateIsEESt5tupleIJNSA_6TensorESF_SF_EERKSF_lbbbEUlllE_EE10hipError_tT0_T1_T2_jT3_P12ihipStream_tbPNSt15iterator_traitsISL_E10value_typeEPNSR_ISM_E10value_typeEPSN_NS1_7vsmem_tEENKUlT_SL_SM_SN_E_clIS8_S8_S9_S9_EESK_S10_SL_SM_SN_EUlS10_E_NS1_11comp_targetILNS1_3genE0ELNS1_11target_archE4294967295ELNS1_3gpuE0ELNS1_3repE0EEENS1_48merge_mergepath_partition_config_static_selectorELNS0_4arch9wavefront6targetE1EEEvSM_: ; @_ZN7rocprim17ROCPRIM_400000_NS6detail17trampoline_kernelINS0_14default_configENS1_38merge_sort_block_merge_config_selectorIlNS0_10empty_typeEEEZZNS1_27merge_sort_block_merge_implIS3_PlPS5_mZN2at6native12_GLOBAL__N_124unique_dim_cuda_templateIsEESt5tupleIJNSA_6TensorESF_SF_EERKSF_lbbbEUlllE_EE10hipError_tT0_T1_T2_jT3_P12ihipStream_tbPNSt15iterator_traitsISL_E10value_typeEPNSR_ISM_E10value_typeEPSN_NS1_7vsmem_tEENKUlT_SL_SM_SN_E_clIS8_S8_S9_S9_EESK_S10_SL_SM_SN_EUlS10_E_NS1_11comp_targetILNS1_3genE0ELNS1_11target_archE4294967295ELNS1_3gpuE0ELNS1_3repE0EEENS1_48merge_mergepath_partition_config_static_selectorELNS0_4arch9wavefront6targetE1EEEvSM_
; %bb.0:
	.section	.rodata,"a",@progbits
	.p2align	6, 0x0
	.amdhsa_kernel _ZN7rocprim17ROCPRIM_400000_NS6detail17trampoline_kernelINS0_14default_configENS1_38merge_sort_block_merge_config_selectorIlNS0_10empty_typeEEEZZNS1_27merge_sort_block_merge_implIS3_PlPS5_mZN2at6native12_GLOBAL__N_124unique_dim_cuda_templateIsEESt5tupleIJNSA_6TensorESF_SF_EERKSF_lbbbEUlllE_EE10hipError_tT0_T1_T2_jT3_P12ihipStream_tbPNSt15iterator_traitsISL_E10value_typeEPNSR_ISM_E10value_typeEPSN_NS1_7vsmem_tEENKUlT_SL_SM_SN_E_clIS8_S8_S9_S9_EESK_S10_SL_SM_SN_EUlS10_E_NS1_11comp_targetILNS1_3genE0ELNS1_11target_archE4294967295ELNS1_3gpuE0ELNS1_3repE0EEENS1_48merge_mergepath_partition_config_static_selectorELNS0_4arch9wavefront6targetE1EEEvSM_
		.amdhsa_group_segment_fixed_size 0
		.amdhsa_private_segment_fixed_size 0
		.amdhsa_kernarg_size 56
		.amdhsa_user_sgpr_count 2
		.amdhsa_user_sgpr_dispatch_ptr 0
		.amdhsa_user_sgpr_queue_ptr 0
		.amdhsa_user_sgpr_kernarg_segment_ptr 1
		.amdhsa_user_sgpr_dispatch_id 0
		.amdhsa_user_sgpr_kernarg_preload_length 0
		.amdhsa_user_sgpr_kernarg_preload_offset 0
		.amdhsa_user_sgpr_private_segment_size 0
		.amdhsa_uses_dynamic_stack 0
		.amdhsa_enable_private_segment 0
		.amdhsa_system_sgpr_workgroup_id_x 1
		.amdhsa_system_sgpr_workgroup_id_y 0
		.amdhsa_system_sgpr_workgroup_id_z 0
		.amdhsa_system_sgpr_workgroup_info 0
		.amdhsa_system_vgpr_workitem_id 0
		.amdhsa_next_free_vgpr 1
		.amdhsa_next_free_sgpr 0
		.amdhsa_accum_offset 4
		.amdhsa_reserve_vcc 0
		.amdhsa_float_round_mode_32 0
		.amdhsa_float_round_mode_16_64 0
		.amdhsa_float_denorm_mode_32 3
		.amdhsa_float_denorm_mode_16_64 3
		.amdhsa_dx10_clamp 1
		.amdhsa_ieee_mode 1
		.amdhsa_fp16_overflow 0
		.amdhsa_tg_split 0
		.amdhsa_exception_fp_ieee_invalid_op 0
		.amdhsa_exception_fp_denorm_src 0
		.amdhsa_exception_fp_ieee_div_zero 0
		.amdhsa_exception_fp_ieee_overflow 0
		.amdhsa_exception_fp_ieee_underflow 0
		.amdhsa_exception_fp_ieee_inexact 0
		.amdhsa_exception_int_div_zero 0
	.end_amdhsa_kernel
	.section	.text._ZN7rocprim17ROCPRIM_400000_NS6detail17trampoline_kernelINS0_14default_configENS1_38merge_sort_block_merge_config_selectorIlNS0_10empty_typeEEEZZNS1_27merge_sort_block_merge_implIS3_PlPS5_mZN2at6native12_GLOBAL__N_124unique_dim_cuda_templateIsEESt5tupleIJNSA_6TensorESF_SF_EERKSF_lbbbEUlllE_EE10hipError_tT0_T1_T2_jT3_P12ihipStream_tbPNSt15iterator_traitsISL_E10value_typeEPNSR_ISM_E10value_typeEPSN_NS1_7vsmem_tEENKUlT_SL_SM_SN_E_clIS8_S8_S9_S9_EESK_S10_SL_SM_SN_EUlS10_E_NS1_11comp_targetILNS1_3genE0ELNS1_11target_archE4294967295ELNS1_3gpuE0ELNS1_3repE0EEENS1_48merge_mergepath_partition_config_static_selectorELNS0_4arch9wavefront6targetE1EEEvSM_,"axG",@progbits,_ZN7rocprim17ROCPRIM_400000_NS6detail17trampoline_kernelINS0_14default_configENS1_38merge_sort_block_merge_config_selectorIlNS0_10empty_typeEEEZZNS1_27merge_sort_block_merge_implIS3_PlPS5_mZN2at6native12_GLOBAL__N_124unique_dim_cuda_templateIsEESt5tupleIJNSA_6TensorESF_SF_EERKSF_lbbbEUlllE_EE10hipError_tT0_T1_T2_jT3_P12ihipStream_tbPNSt15iterator_traitsISL_E10value_typeEPNSR_ISM_E10value_typeEPSN_NS1_7vsmem_tEENKUlT_SL_SM_SN_E_clIS8_S8_S9_S9_EESK_S10_SL_SM_SN_EUlS10_E_NS1_11comp_targetILNS1_3genE0ELNS1_11target_archE4294967295ELNS1_3gpuE0ELNS1_3repE0EEENS1_48merge_mergepath_partition_config_static_selectorELNS0_4arch9wavefront6targetE1EEEvSM_,comdat
.Lfunc_end641:
	.size	_ZN7rocprim17ROCPRIM_400000_NS6detail17trampoline_kernelINS0_14default_configENS1_38merge_sort_block_merge_config_selectorIlNS0_10empty_typeEEEZZNS1_27merge_sort_block_merge_implIS3_PlPS5_mZN2at6native12_GLOBAL__N_124unique_dim_cuda_templateIsEESt5tupleIJNSA_6TensorESF_SF_EERKSF_lbbbEUlllE_EE10hipError_tT0_T1_T2_jT3_P12ihipStream_tbPNSt15iterator_traitsISL_E10value_typeEPNSR_ISM_E10value_typeEPSN_NS1_7vsmem_tEENKUlT_SL_SM_SN_E_clIS8_S8_S9_S9_EESK_S10_SL_SM_SN_EUlS10_E_NS1_11comp_targetILNS1_3genE0ELNS1_11target_archE4294967295ELNS1_3gpuE0ELNS1_3repE0EEENS1_48merge_mergepath_partition_config_static_selectorELNS0_4arch9wavefront6targetE1EEEvSM_, .Lfunc_end641-_ZN7rocprim17ROCPRIM_400000_NS6detail17trampoline_kernelINS0_14default_configENS1_38merge_sort_block_merge_config_selectorIlNS0_10empty_typeEEEZZNS1_27merge_sort_block_merge_implIS3_PlPS5_mZN2at6native12_GLOBAL__N_124unique_dim_cuda_templateIsEESt5tupleIJNSA_6TensorESF_SF_EERKSF_lbbbEUlllE_EE10hipError_tT0_T1_T2_jT3_P12ihipStream_tbPNSt15iterator_traitsISL_E10value_typeEPNSR_ISM_E10value_typeEPSN_NS1_7vsmem_tEENKUlT_SL_SM_SN_E_clIS8_S8_S9_S9_EESK_S10_SL_SM_SN_EUlS10_E_NS1_11comp_targetILNS1_3genE0ELNS1_11target_archE4294967295ELNS1_3gpuE0ELNS1_3repE0EEENS1_48merge_mergepath_partition_config_static_selectorELNS0_4arch9wavefront6targetE1EEEvSM_
                                        ; -- End function
	.section	.AMDGPU.csdata,"",@progbits
; Kernel info:
; codeLenInByte = 0
; NumSgprs: 6
; NumVgprs: 0
; NumAgprs: 0
; TotalNumVgprs: 0
; ScratchSize: 0
; MemoryBound: 0
; FloatMode: 240
; IeeeMode: 1
; LDSByteSize: 0 bytes/workgroup (compile time only)
; SGPRBlocks: 0
; VGPRBlocks: 0
; NumSGPRsForWavesPerEU: 6
; NumVGPRsForWavesPerEU: 1
; AccumOffset: 4
; Occupancy: 8
; WaveLimiterHint : 0
; COMPUTE_PGM_RSRC2:SCRATCH_EN: 0
; COMPUTE_PGM_RSRC2:USER_SGPR: 2
; COMPUTE_PGM_RSRC2:TRAP_HANDLER: 0
; COMPUTE_PGM_RSRC2:TGID_X_EN: 1
; COMPUTE_PGM_RSRC2:TGID_Y_EN: 0
; COMPUTE_PGM_RSRC2:TGID_Z_EN: 0
; COMPUTE_PGM_RSRC2:TIDIG_COMP_CNT: 0
; COMPUTE_PGM_RSRC3_GFX90A:ACCUM_OFFSET: 0
; COMPUTE_PGM_RSRC3_GFX90A:TG_SPLIT: 0
	.section	.text._ZN7rocprim17ROCPRIM_400000_NS6detail17trampoline_kernelINS0_14default_configENS1_38merge_sort_block_merge_config_selectorIlNS0_10empty_typeEEEZZNS1_27merge_sort_block_merge_implIS3_PlPS5_mZN2at6native12_GLOBAL__N_124unique_dim_cuda_templateIsEESt5tupleIJNSA_6TensorESF_SF_EERKSF_lbbbEUlllE_EE10hipError_tT0_T1_T2_jT3_P12ihipStream_tbPNSt15iterator_traitsISL_E10value_typeEPNSR_ISM_E10value_typeEPSN_NS1_7vsmem_tEENKUlT_SL_SM_SN_E_clIS8_S8_S9_S9_EESK_S10_SL_SM_SN_EUlS10_E_NS1_11comp_targetILNS1_3genE10ELNS1_11target_archE1201ELNS1_3gpuE5ELNS1_3repE0EEENS1_48merge_mergepath_partition_config_static_selectorELNS0_4arch9wavefront6targetE1EEEvSM_,"axG",@progbits,_ZN7rocprim17ROCPRIM_400000_NS6detail17trampoline_kernelINS0_14default_configENS1_38merge_sort_block_merge_config_selectorIlNS0_10empty_typeEEEZZNS1_27merge_sort_block_merge_implIS3_PlPS5_mZN2at6native12_GLOBAL__N_124unique_dim_cuda_templateIsEESt5tupleIJNSA_6TensorESF_SF_EERKSF_lbbbEUlllE_EE10hipError_tT0_T1_T2_jT3_P12ihipStream_tbPNSt15iterator_traitsISL_E10value_typeEPNSR_ISM_E10value_typeEPSN_NS1_7vsmem_tEENKUlT_SL_SM_SN_E_clIS8_S8_S9_S9_EESK_S10_SL_SM_SN_EUlS10_E_NS1_11comp_targetILNS1_3genE10ELNS1_11target_archE1201ELNS1_3gpuE5ELNS1_3repE0EEENS1_48merge_mergepath_partition_config_static_selectorELNS0_4arch9wavefront6targetE1EEEvSM_,comdat
	.globl	_ZN7rocprim17ROCPRIM_400000_NS6detail17trampoline_kernelINS0_14default_configENS1_38merge_sort_block_merge_config_selectorIlNS0_10empty_typeEEEZZNS1_27merge_sort_block_merge_implIS3_PlPS5_mZN2at6native12_GLOBAL__N_124unique_dim_cuda_templateIsEESt5tupleIJNSA_6TensorESF_SF_EERKSF_lbbbEUlllE_EE10hipError_tT0_T1_T2_jT3_P12ihipStream_tbPNSt15iterator_traitsISL_E10value_typeEPNSR_ISM_E10value_typeEPSN_NS1_7vsmem_tEENKUlT_SL_SM_SN_E_clIS8_S8_S9_S9_EESK_S10_SL_SM_SN_EUlS10_E_NS1_11comp_targetILNS1_3genE10ELNS1_11target_archE1201ELNS1_3gpuE5ELNS1_3repE0EEENS1_48merge_mergepath_partition_config_static_selectorELNS0_4arch9wavefront6targetE1EEEvSM_ ; -- Begin function _ZN7rocprim17ROCPRIM_400000_NS6detail17trampoline_kernelINS0_14default_configENS1_38merge_sort_block_merge_config_selectorIlNS0_10empty_typeEEEZZNS1_27merge_sort_block_merge_implIS3_PlPS5_mZN2at6native12_GLOBAL__N_124unique_dim_cuda_templateIsEESt5tupleIJNSA_6TensorESF_SF_EERKSF_lbbbEUlllE_EE10hipError_tT0_T1_T2_jT3_P12ihipStream_tbPNSt15iterator_traitsISL_E10value_typeEPNSR_ISM_E10value_typeEPSN_NS1_7vsmem_tEENKUlT_SL_SM_SN_E_clIS8_S8_S9_S9_EESK_S10_SL_SM_SN_EUlS10_E_NS1_11comp_targetILNS1_3genE10ELNS1_11target_archE1201ELNS1_3gpuE5ELNS1_3repE0EEENS1_48merge_mergepath_partition_config_static_selectorELNS0_4arch9wavefront6targetE1EEEvSM_
	.p2align	8
	.type	_ZN7rocprim17ROCPRIM_400000_NS6detail17trampoline_kernelINS0_14default_configENS1_38merge_sort_block_merge_config_selectorIlNS0_10empty_typeEEEZZNS1_27merge_sort_block_merge_implIS3_PlPS5_mZN2at6native12_GLOBAL__N_124unique_dim_cuda_templateIsEESt5tupleIJNSA_6TensorESF_SF_EERKSF_lbbbEUlllE_EE10hipError_tT0_T1_T2_jT3_P12ihipStream_tbPNSt15iterator_traitsISL_E10value_typeEPNSR_ISM_E10value_typeEPSN_NS1_7vsmem_tEENKUlT_SL_SM_SN_E_clIS8_S8_S9_S9_EESK_S10_SL_SM_SN_EUlS10_E_NS1_11comp_targetILNS1_3genE10ELNS1_11target_archE1201ELNS1_3gpuE5ELNS1_3repE0EEENS1_48merge_mergepath_partition_config_static_selectorELNS0_4arch9wavefront6targetE1EEEvSM_,@function
_ZN7rocprim17ROCPRIM_400000_NS6detail17trampoline_kernelINS0_14default_configENS1_38merge_sort_block_merge_config_selectorIlNS0_10empty_typeEEEZZNS1_27merge_sort_block_merge_implIS3_PlPS5_mZN2at6native12_GLOBAL__N_124unique_dim_cuda_templateIsEESt5tupleIJNSA_6TensorESF_SF_EERKSF_lbbbEUlllE_EE10hipError_tT0_T1_T2_jT3_P12ihipStream_tbPNSt15iterator_traitsISL_E10value_typeEPNSR_ISM_E10value_typeEPSN_NS1_7vsmem_tEENKUlT_SL_SM_SN_E_clIS8_S8_S9_S9_EESK_S10_SL_SM_SN_EUlS10_E_NS1_11comp_targetILNS1_3genE10ELNS1_11target_archE1201ELNS1_3gpuE5ELNS1_3repE0EEENS1_48merge_mergepath_partition_config_static_selectorELNS0_4arch9wavefront6targetE1EEEvSM_: ; @_ZN7rocprim17ROCPRIM_400000_NS6detail17trampoline_kernelINS0_14default_configENS1_38merge_sort_block_merge_config_selectorIlNS0_10empty_typeEEEZZNS1_27merge_sort_block_merge_implIS3_PlPS5_mZN2at6native12_GLOBAL__N_124unique_dim_cuda_templateIsEESt5tupleIJNSA_6TensorESF_SF_EERKSF_lbbbEUlllE_EE10hipError_tT0_T1_T2_jT3_P12ihipStream_tbPNSt15iterator_traitsISL_E10value_typeEPNSR_ISM_E10value_typeEPSN_NS1_7vsmem_tEENKUlT_SL_SM_SN_E_clIS8_S8_S9_S9_EESK_S10_SL_SM_SN_EUlS10_E_NS1_11comp_targetILNS1_3genE10ELNS1_11target_archE1201ELNS1_3gpuE5ELNS1_3repE0EEENS1_48merge_mergepath_partition_config_static_selectorELNS0_4arch9wavefront6targetE1EEEvSM_
; %bb.0:
	.section	.rodata,"a",@progbits
	.p2align	6, 0x0
	.amdhsa_kernel _ZN7rocprim17ROCPRIM_400000_NS6detail17trampoline_kernelINS0_14default_configENS1_38merge_sort_block_merge_config_selectorIlNS0_10empty_typeEEEZZNS1_27merge_sort_block_merge_implIS3_PlPS5_mZN2at6native12_GLOBAL__N_124unique_dim_cuda_templateIsEESt5tupleIJNSA_6TensorESF_SF_EERKSF_lbbbEUlllE_EE10hipError_tT0_T1_T2_jT3_P12ihipStream_tbPNSt15iterator_traitsISL_E10value_typeEPNSR_ISM_E10value_typeEPSN_NS1_7vsmem_tEENKUlT_SL_SM_SN_E_clIS8_S8_S9_S9_EESK_S10_SL_SM_SN_EUlS10_E_NS1_11comp_targetILNS1_3genE10ELNS1_11target_archE1201ELNS1_3gpuE5ELNS1_3repE0EEENS1_48merge_mergepath_partition_config_static_selectorELNS0_4arch9wavefront6targetE1EEEvSM_
		.amdhsa_group_segment_fixed_size 0
		.amdhsa_private_segment_fixed_size 0
		.amdhsa_kernarg_size 56
		.amdhsa_user_sgpr_count 2
		.amdhsa_user_sgpr_dispatch_ptr 0
		.amdhsa_user_sgpr_queue_ptr 0
		.amdhsa_user_sgpr_kernarg_segment_ptr 1
		.amdhsa_user_sgpr_dispatch_id 0
		.amdhsa_user_sgpr_kernarg_preload_length 0
		.amdhsa_user_sgpr_kernarg_preload_offset 0
		.amdhsa_user_sgpr_private_segment_size 0
		.amdhsa_uses_dynamic_stack 0
		.amdhsa_enable_private_segment 0
		.amdhsa_system_sgpr_workgroup_id_x 1
		.amdhsa_system_sgpr_workgroup_id_y 0
		.amdhsa_system_sgpr_workgroup_id_z 0
		.amdhsa_system_sgpr_workgroup_info 0
		.amdhsa_system_vgpr_workitem_id 0
		.amdhsa_next_free_vgpr 1
		.amdhsa_next_free_sgpr 0
		.amdhsa_accum_offset 4
		.amdhsa_reserve_vcc 0
		.amdhsa_float_round_mode_32 0
		.amdhsa_float_round_mode_16_64 0
		.amdhsa_float_denorm_mode_32 3
		.amdhsa_float_denorm_mode_16_64 3
		.amdhsa_dx10_clamp 1
		.amdhsa_ieee_mode 1
		.amdhsa_fp16_overflow 0
		.amdhsa_tg_split 0
		.amdhsa_exception_fp_ieee_invalid_op 0
		.amdhsa_exception_fp_denorm_src 0
		.amdhsa_exception_fp_ieee_div_zero 0
		.amdhsa_exception_fp_ieee_overflow 0
		.amdhsa_exception_fp_ieee_underflow 0
		.amdhsa_exception_fp_ieee_inexact 0
		.amdhsa_exception_int_div_zero 0
	.end_amdhsa_kernel
	.section	.text._ZN7rocprim17ROCPRIM_400000_NS6detail17trampoline_kernelINS0_14default_configENS1_38merge_sort_block_merge_config_selectorIlNS0_10empty_typeEEEZZNS1_27merge_sort_block_merge_implIS3_PlPS5_mZN2at6native12_GLOBAL__N_124unique_dim_cuda_templateIsEESt5tupleIJNSA_6TensorESF_SF_EERKSF_lbbbEUlllE_EE10hipError_tT0_T1_T2_jT3_P12ihipStream_tbPNSt15iterator_traitsISL_E10value_typeEPNSR_ISM_E10value_typeEPSN_NS1_7vsmem_tEENKUlT_SL_SM_SN_E_clIS8_S8_S9_S9_EESK_S10_SL_SM_SN_EUlS10_E_NS1_11comp_targetILNS1_3genE10ELNS1_11target_archE1201ELNS1_3gpuE5ELNS1_3repE0EEENS1_48merge_mergepath_partition_config_static_selectorELNS0_4arch9wavefront6targetE1EEEvSM_,"axG",@progbits,_ZN7rocprim17ROCPRIM_400000_NS6detail17trampoline_kernelINS0_14default_configENS1_38merge_sort_block_merge_config_selectorIlNS0_10empty_typeEEEZZNS1_27merge_sort_block_merge_implIS3_PlPS5_mZN2at6native12_GLOBAL__N_124unique_dim_cuda_templateIsEESt5tupleIJNSA_6TensorESF_SF_EERKSF_lbbbEUlllE_EE10hipError_tT0_T1_T2_jT3_P12ihipStream_tbPNSt15iterator_traitsISL_E10value_typeEPNSR_ISM_E10value_typeEPSN_NS1_7vsmem_tEENKUlT_SL_SM_SN_E_clIS8_S8_S9_S9_EESK_S10_SL_SM_SN_EUlS10_E_NS1_11comp_targetILNS1_3genE10ELNS1_11target_archE1201ELNS1_3gpuE5ELNS1_3repE0EEENS1_48merge_mergepath_partition_config_static_selectorELNS0_4arch9wavefront6targetE1EEEvSM_,comdat
.Lfunc_end642:
	.size	_ZN7rocprim17ROCPRIM_400000_NS6detail17trampoline_kernelINS0_14default_configENS1_38merge_sort_block_merge_config_selectorIlNS0_10empty_typeEEEZZNS1_27merge_sort_block_merge_implIS3_PlPS5_mZN2at6native12_GLOBAL__N_124unique_dim_cuda_templateIsEESt5tupleIJNSA_6TensorESF_SF_EERKSF_lbbbEUlllE_EE10hipError_tT0_T1_T2_jT3_P12ihipStream_tbPNSt15iterator_traitsISL_E10value_typeEPNSR_ISM_E10value_typeEPSN_NS1_7vsmem_tEENKUlT_SL_SM_SN_E_clIS8_S8_S9_S9_EESK_S10_SL_SM_SN_EUlS10_E_NS1_11comp_targetILNS1_3genE10ELNS1_11target_archE1201ELNS1_3gpuE5ELNS1_3repE0EEENS1_48merge_mergepath_partition_config_static_selectorELNS0_4arch9wavefront6targetE1EEEvSM_, .Lfunc_end642-_ZN7rocprim17ROCPRIM_400000_NS6detail17trampoline_kernelINS0_14default_configENS1_38merge_sort_block_merge_config_selectorIlNS0_10empty_typeEEEZZNS1_27merge_sort_block_merge_implIS3_PlPS5_mZN2at6native12_GLOBAL__N_124unique_dim_cuda_templateIsEESt5tupleIJNSA_6TensorESF_SF_EERKSF_lbbbEUlllE_EE10hipError_tT0_T1_T2_jT3_P12ihipStream_tbPNSt15iterator_traitsISL_E10value_typeEPNSR_ISM_E10value_typeEPSN_NS1_7vsmem_tEENKUlT_SL_SM_SN_E_clIS8_S8_S9_S9_EESK_S10_SL_SM_SN_EUlS10_E_NS1_11comp_targetILNS1_3genE10ELNS1_11target_archE1201ELNS1_3gpuE5ELNS1_3repE0EEENS1_48merge_mergepath_partition_config_static_selectorELNS0_4arch9wavefront6targetE1EEEvSM_
                                        ; -- End function
	.section	.AMDGPU.csdata,"",@progbits
; Kernel info:
; codeLenInByte = 0
; NumSgprs: 6
; NumVgprs: 0
; NumAgprs: 0
; TotalNumVgprs: 0
; ScratchSize: 0
; MemoryBound: 0
; FloatMode: 240
; IeeeMode: 1
; LDSByteSize: 0 bytes/workgroup (compile time only)
; SGPRBlocks: 0
; VGPRBlocks: 0
; NumSGPRsForWavesPerEU: 6
; NumVGPRsForWavesPerEU: 1
; AccumOffset: 4
; Occupancy: 8
; WaveLimiterHint : 0
; COMPUTE_PGM_RSRC2:SCRATCH_EN: 0
; COMPUTE_PGM_RSRC2:USER_SGPR: 2
; COMPUTE_PGM_RSRC2:TRAP_HANDLER: 0
; COMPUTE_PGM_RSRC2:TGID_X_EN: 1
; COMPUTE_PGM_RSRC2:TGID_Y_EN: 0
; COMPUTE_PGM_RSRC2:TGID_Z_EN: 0
; COMPUTE_PGM_RSRC2:TIDIG_COMP_CNT: 0
; COMPUTE_PGM_RSRC3_GFX90A:ACCUM_OFFSET: 0
; COMPUTE_PGM_RSRC3_GFX90A:TG_SPLIT: 0
	.section	.text._ZN7rocprim17ROCPRIM_400000_NS6detail17trampoline_kernelINS0_14default_configENS1_38merge_sort_block_merge_config_selectorIlNS0_10empty_typeEEEZZNS1_27merge_sort_block_merge_implIS3_PlPS5_mZN2at6native12_GLOBAL__N_124unique_dim_cuda_templateIsEESt5tupleIJNSA_6TensorESF_SF_EERKSF_lbbbEUlllE_EE10hipError_tT0_T1_T2_jT3_P12ihipStream_tbPNSt15iterator_traitsISL_E10value_typeEPNSR_ISM_E10value_typeEPSN_NS1_7vsmem_tEENKUlT_SL_SM_SN_E_clIS8_S8_S9_S9_EESK_S10_SL_SM_SN_EUlS10_E_NS1_11comp_targetILNS1_3genE5ELNS1_11target_archE942ELNS1_3gpuE9ELNS1_3repE0EEENS1_48merge_mergepath_partition_config_static_selectorELNS0_4arch9wavefront6targetE1EEEvSM_,"axG",@progbits,_ZN7rocprim17ROCPRIM_400000_NS6detail17trampoline_kernelINS0_14default_configENS1_38merge_sort_block_merge_config_selectorIlNS0_10empty_typeEEEZZNS1_27merge_sort_block_merge_implIS3_PlPS5_mZN2at6native12_GLOBAL__N_124unique_dim_cuda_templateIsEESt5tupleIJNSA_6TensorESF_SF_EERKSF_lbbbEUlllE_EE10hipError_tT0_T1_T2_jT3_P12ihipStream_tbPNSt15iterator_traitsISL_E10value_typeEPNSR_ISM_E10value_typeEPSN_NS1_7vsmem_tEENKUlT_SL_SM_SN_E_clIS8_S8_S9_S9_EESK_S10_SL_SM_SN_EUlS10_E_NS1_11comp_targetILNS1_3genE5ELNS1_11target_archE942ELNS1_3gpuE9ELNS1_3repE0EEENS1_48merge_mergepath_partition_config_static_selectorELNS0_4arch9wavefront6targetE1EEEvSM_,comdat
	.globl	_ZN7rocprim17ROCPRIM_400000_NS6detail17trampoline_kernelINS0_14default_configENS1_38merge_sort_block_merge_config_selectorIlNS0_10empty_typeEEEZZNS1_27merge_sort_block_merge_implIS3_PlPS5_mZN2at6native12_GLOBAL__N_124unique_dim_cuda_templateIsEESt5tupleIJNSA_6TensorESF_SF_EERKSF_lbbbEUlllE_EE10hipError_tT0_T1_T2_jT3_P12ihipStream_tbPNSt15iterator_traitsISL_E10value_typeEPNSR_ISM_E10value_typeEPSN_NS1_7vsmem_tEENKUlT_SL_SM_SN_E_clIS8_S8_S9_S9_EESK_S10_SL_SM_SN_EUlS10_E_NS1_11comp_targetILNS1_3genE5ELNS1_11target_archE942ELNS1_3gpuE9ELNS1_3repE0EEENS1_48merge_mergepath_partition_config_static_selectorELNS0_4arch9wavefront6targetE1EEEvSM_ ; -- Begin function _ZN7rocprim17ROCPRIM_400000_NS6detail17trampoline_kernelINS0_14default_configENS1_38merge_sort_block_merge_config_selectorIlNS0_10empty_typeEEEZZNS1_27merge_sort_block_merge_implIS3_PlPS5_mZN2at6native12_GLOBAL__N_124unique_dim_cuda_templateIsEESt5tupleIJNSA_6TensorESF_SF_EERKSF_lbbbEUlllE_EE10hipError_tT0_T1_T2_jT3_P12ihipStream_tbPNSt15iterator_traitsISL_E10value_typeEPNSR_ISM_E10value_typeEPSN_NS1_7vsmem_tEENKUlT_SL_SM_SN_E_clIS8_S8_S9_S9_EESK_S10_SL_SM_SN_EUlS10_E_NS1_11comp_targetILNS1_3genE5ELNS1_11target_archE942ELNS1_3gpuE9ELNS1_3repE0EEENS1_48merge_mergepath_partition_config_static_selectorELNS0_4arch9wavefront6targetE1EEEvSM_
	.p2align	8
	.type	_ZN7rocprim17ROCPRIM_400000_NS6detail17trampoline_kernelINS0_14default_configENS1_38merge_sort_block_merge_config_selectorIlNS0_10empty_typeEEEZZNS1_27merge_sort_block_merge_implIS3_PlPS5_mZN2at6native12_GLOBAL__N_124unique_dim_cuda_templateIsEESt5tupleIJNSA_6TensorESF_SF_EERKSF_lbbbEUlllE_EE10hipError_tT0_T1_T2_jT3_P12ihipStream_tbPNSt15iterator_traitsISL_E10value_typeEPNSR_ISM_E10value_typeEPSN_NS1_7vsmem_tEENKUlT_SL_SM_SN_E_clIS8_S8_S9_S9_EESK_S10_SL_SM_SN_EUlS10_E_NS1_11comp_targetILNS1_3genE5ELNS1_11target_archE942ELNS1_3gpuE9ELNS1_3repE0EEENS1_48merge_mergepath_partition_config_static_selectorELNS0_4arch9wavefront6targetE1EEEvSM_,@function
_ZN7rocprim17ROCPRIM_400000_NS6detail17trampoline_kernelINS0_14default_configENS1_38merge_sort_block_merge_config_selectorIlNS0_10empty_typeEEEZZNS1_27merge_sort_block_merge_implIS3_PlPS5_mZN2at6native12_GLOBAL__N_124unique_dim_cuda_templateIsEESt5tupleIJNSA_6TensorESF_SF_EERKSF_lbbbEUlllE_EE10hipError_tT0_T1_T2_jT3_P12ihipStream_tbPNSt15iterator_traitsISL_E10value_typeEPNSR_ISM_E10value_typeEPSN_NS1_7vsmem_tEENKUlT_SL_SM_SN_E_clIS8_S8_S9_S9_EESK_S10_SL_SM_SN_EUlS10_E_NS1_11comp_targetILNS1_3genE5ELNS1_11target_archE942ELNS1_3gpuE9ELNS1_3repE0EEENS1_48merge_mergepath_partition_config_static_selectorELNS0_4arch9wavefront6targetE1EEEvSM_: ; @_ZN7rocprim17ROCPRIM_400000_NS6detail17trampoline_kernelINS0_14default_configENS1_38merge_sort_block_merge_config_selectorIlNS0_10empty_typeEEEZZNS1_27merge_sort_block_merge_implIS3_PlPS5_mZN2at6native12_GLOBAL__N_124unique_dim_cuda_templateIsEESt5tupleIJNSA_6TensorESF_SF_EERKSF_lbbbEUlllE_EE10hipError_tT0_T1_T2_jT3_P12ihipStream_tbPNSt15iterator_traitsISL_E10value_typeEPNSR_ISM_E10value_typeEPSN_NS1_7vsmem_tEENKUlT_SL_SM_SN_E_clIS8_S8_S9_S9_EESK_S10_SL_SM_SN_EUlS10_E_NS1_11comp_targetILNS1_3genE5ELNS1_11target_archE942ELNS1_3gpuE9ELNS1_3repE0EEENS1_48merge_mergepath_partition_config_static_selectorELNS0_4arch9wavefront6targetE1EEEvSM_
; %bb.0:
	s_load_dword s3, s[0:1], 0x0
	v_lshl_or_b32 v0, s2, 7, v0
	s_waitcnt lgkmcnt(0)
	v_cmp_gt_u32_e32 vcc, s3, v0
	s_and_saveexec_b64 s[2:3], vcc
	s_cbranch_execz .LBB643_12
; %bb.1:
	s_load_dwordx4 s[12:15], s[0:1], 0x8
	s_load_dwordx8 s[4:11], s[0:1], 0x18
	v_mov_b32_e32 v5, 0
	v_mov_b32_e32 v7, v5
	s_waitcnt lgkmcnt(0)
	v_mov_b32_e32 v1, s12
	v_alignbit_b32 v1, s13, v1, 9
	v_and_b32_e32 v1, -2, v1
	v_add_u32_e32 v2, -1, v1
	v_sub_u32_e32 v1, 0, v1
	v_and_b32_e32 v4, v0, v1
	v_lshlrev_b64 v[8:9], 10, v[4:5]
	v_mov_b32_e32 v1, s15
	v_cmp_lt_u64_e32 vcc, s[14:15], v[8:9]
	v_mov_b32_e32 v4, s14
	v_and_b32_e32 v6, v2, v0
	v_cndmask_b32_e32 v3, v9, v1, vcc
	v_cndmask_b32_e32 v2, v8, v4, vcc
	v_lshl_add_u64 v[8:9], v[8:9], 0, s[12:13]
	v_cmp_lt_u64_e32 vcc, s[14:15], v[8:9]
	s_nop 1
	v_cndmask_b32_e32 v11, v9, v1, vcc
	v_cndmask_b32_e32 v10, v8, v4, vcc
	v_lshl_add_u64 v[8:9], v[10:11], 0, s[12:13]
	v_cmp_lt_u64_e32 vcc, s[14:15], v[8:9]
	s_nop 1
	v_cndmask_b32_e32 v14, v8, v4, vcc
	v_cndmask_b32_e32 v1, v9, v1, vcc
	v_sub_co_u32_e32 v8, vcc, v14, v2
	v_lshlrev_b64 v[4:5], 10, v[6:7]
	s_nop 0
	v_subb_co_u32_e32 v9, vcc, v1, v3, vcc
	v_cmp_lt_u64_e32 vcc, v[8:9], v[4:5]
	s_nop 1
	v_cndmask_b32_e32 v13, v5, v9, vcc
	v_cndmask_b32_e32 v12, v4, v8, vcc
	v_sub_co_u32_e32 v6, vcc, v10, v2
	s_nop 1
	v_subb_co_u32_e32 v7, vcc, v11, v3, vcc
	v_sub_co_u32_e32 v4, vcc, v10, v14
	s_nop 1
	v_subb_co_u32_e32 v5, vcc, v11, v1, vcc
	v_lshl_add_u64 v[4:5], v[12:13], 0, v[4:5]
	v_cmp_gt_u64_e32 vcc, v[4:5], v[12:13]
	s_nop 1
	v_cndmask_b32_e64 v5, v5, 0, vcc
	v_cndmask_b32_e64 v4, v4, 0, vcc
	v_cmp_lt_u64_e32 vcc, v[12:13], v[6:7]
	s_nop 1
	v_cndmask_b32_e32 v7, v7, v13, vcc
	v_cndmask_b32_e32 v6, v6, v12, vcc
	v_cmp_lt_u64_e32 vcc, v[4:5], v[6:7]
	s_and_saveexec_b64 s[12:13], vcc
	s_cbranch_execz .LBB643_11
; %bb.2:
	v_cmp_gt_i64_e64 s[0:1], s[6:7], 0
	v_lshl_add_u64 v[10:11], v[10:11], 3, s[4:5]
	v_lshl_add_u64 v[8:9], v[2:3], 3, s[4:5]
	v_cndmask_b32_e64 v1, 0, 1, s[0:1]
	v_lshl_add_u64 v[10:11], v[12:13], 3, v[10:11]
	s_mov_b64 s[14:15], 0
	s_lshl_b64 s[16:17], s[6:7], 1
	v_cmp_ne_u32_e64 s[0:1], 1, v1
	s_branch .LBB643_5
.LBB643_3:                              ;   in Loop: Header=BB643_5 Depth=1
	s_or_b64 exec, exec, s[20:21]
.LBB643_4:                              ;   in Loop: Header=BB643_5 Depth=1
	v_lshl_add_u64 v[14:15], v[12:13], 0, 1
	v_cndmask_b32_e64 v7, v7, v13, s[18:19]
	v_cndmask_b32_e64 v6, v6, v12, s[18:19]
	v_cndmask_b32_e64 v5, v15, v5, s[18:19]
	v_cndmask_b32_e64 v4, v14, v4, s[18:19]
	v_cmp_ge_u64_e32 vcc, v[4:5], v[6:7]
	s_or_b64 s[14:15], vcc, s[14:15]
	s_andn2_b64 exec, exec, s[14:15]
	s_cbranch_execz .LBB643_10
.LBB643_5:                              ; =>This Loop Header: Depth=1
                                        ;     Child Loop BB643_8 Depth 2
	v_lshl_add_u64 v[12:13], v[6:7], 0, v[4:5]
	v_lshrrev_b64 v[12:13], 1, v[12:13]
	s_and_b64 vcc, exec, s[0:1]
	s_mov_b64 s[18:19], 0
	s_cbranch_vccnz .LBB643_4
; %bb.6:                                ;   in Loop: Header=BB643_5 Depth=1
	v_not_b32_e32 v15, v13
	v_not_b32_e32 v14, v12
	v_lshl_add_u64 v[14:15], v[14:15], 3, v[10:11]
	v_lshl_add_u64 v[16:17], v[12:13], 3, v[8:9]
	global_load_dwordx2 v[14:15], v[14:15], off
	v_mov_b64_e32 v[18:19], s[8:9]
	global_load_dwordx2 v[16:17], v[16:17], off
	s_mov_b64 s[20:21], 0
	s_mov_b64 s[26:27], s[6:7]
                                        ; implicit-def: $sgpr18_sgpr19
                                        ; implicit-def: $sgpr22_sgpr23
                                        ; implicit-def: $sgpr24_sgpr25
                                        ; implicit-def: $sgpr2_sgpr3
                                        ; implicit-def: $sgpr28_sgpr29
	s_waitcnt vmcnt(1)
	v_mul_lo_u32 v1, s16, v15
	v_mul_lo_u32 v20, s17, v14
	v_mad_u64_u32 v[14:15], s[4:5], s16, v14, v[18:19]
	s_waitcnt vmcnt(0)
	v_mul_lo_u32 v21, s16, v17
	v_mul_lo_u32 v22, s17, v16
	v_mad_u64_u32 v[16:17], s[4:5], s16, v16, v[18:19]
	v_add3_u32 v15, v20, v15, v1
	v_add3_u32 v17, v22, v17, v21
	s_branch .LBB643_8
.LBB643_7:                              ;   in Loop: Header=BB643_8 Depth=2
	s_or_b64 exec, exec, s[30:31]
	s_and_b64 s[4:5], exec, s[22:23]
	s_or_b64 s[20:21], s[4:5], s[20:21]
	s_andn2_b64 s[4:5], s[28:29], exec
	s_and_b64 s[28:29], s[24:25], exec
	s_or_b64 s[28:29], s[4:5], s[28:29]
	s_andn2_b64 s[4:5], s[18:19], exec
	s_and_b64 s[18:19], s[2:3], exec
	s_or_b64 s[18:19], s[4:5], s[18:19]
	s_andn2_b64 exec, exec, s[20:21]
	s_cbranch_execz .LBB643_3
.LBB643_8:                              ;   Parent Loop BB643_5 Depth=1
                                        ; =>  This Inner Loop Header: Depth=2
	global_load_ushort v1, v[14:15], off
	global_load_ushort v18, v[16:17], off
	s_andn2_b64 s[30:31], s[2:3], exec
	s_andn2_b64 s[24:25], s[24:25], exec
	s_or_b64 s[22:23], s[22:23], exec
	s_waitcnt vmcnt(0)
	v_cmp_le_i16_e64 s[2:3], v1, v18
	v_cmp_lt_i16_e32 vcc, v1, v18
	s_and_b64 s[2:3], s[2:3], s[28:29]
	s_or_b64 s[34:35], vcc, s[2:3]
	s_and_b64 s[2:3], s[34:35], exec
	v_cmp_eq_u16_e64 s[4:5], v1, v18
	s_or_b64 s[2:3], s[30:31], s[2:3]
	s_and_saveexec_b64 s[30:31], s[4:5]
	s_cbranch_execz .LBB643_7
; %bb.9:                                ;   in Loop: Header=BB643_8 Depth=2
	s_add_u32 s26, s26, -1
	s_addc_u32 s27, s27, -1
	s_cmp_eq_u64 s[26:27], 0
	s_cselect_b64 s[4:5], -1, 0
	s_andn2_b64 s[24:25], s[24:25], exec
	s_and_b64 s[28:29], s[34:35], exec
	s_andn2_b64 s[22:23], s[22:23], exec
	s_and_b64 s[4:5], s[4:5], exec
	v_lshl_add_u64 v[14:15], v[14:15], 0, 2
	v_lshl_add_u64 v[16:17], v[16:17], 0, 2
	s_andn2_b64 s[2:3], s[2:3], exec
	s_or_b64 s[24:25], s[24:25], s[28:29]
	s_or_b64 s[22:23], s[22:23], s[4:5]
                                        ; implicit-def: $sgpr28_sgpr29
	s_branch .LBB643_7
.LBB643_10:
	s_or_b64 exec, exec, s[14:15]
.LBB643_11:
	s_or_b64 exec, exec, s[12:13]
	v_mov_b32_e32 v6, s10
	v_mov_b32_e32 v7, s11
	;; [unrolled: 1-line block ×3, first 2 shown]
	v_lshl_add_u64 v[2:3], v[4:5], 0, v[2:3]
	v_lshl_add_u64 v[0:1], v[0:1], 3, v[6:7]
	global_store_dwordx2 v[0:1], v[2:3], off
.LBB643_12:
	s_endpgm
	.section	.rodata,"a",@progbits
	.p2align	6, 0x0
	.amdhsa_kernel _ZN7rocprim17ROCPRIM_400000_NS6detail17trampoline_kernelINS0_14default_configENS1_38merge_sort_block_merge_config_selectorIlNS0_10empty_typeEEEZZNS1_27merge_sort_block_merge_implIS3_PlPS5_mZN2at6native12_GLOBAL__N_124unique_dim_cuda_templateIsEESt5tupleIJNSA_6TensorESF_SF_EERKSF_lbbbEUlllE_EE10hipError_tT0_T1_T2_jT3_P12ihipStream_tbPNSt15iterator_traitsISL_E10value_typeEPNSR_ISM_E10value_typeEPSN_NS1_7vsmem_tEENKUlT_SL_SM_SN_E_clIS8_S8_S9_S9_EESK_S10_SL_SM_SN_EUlS10_E_NS1_11comp_targetILNS1_3genE5ELNS1_11target_archE942ELNS1_3gpuE9ELNS1_3repE0EEENS1_48merge_mergepath_partition_config_static_selectorELNS0_4arch9wavefront6targetE1EEEvSM_
		.amdhsa_group_segment_fixed_size 0
		.amdhsa_private_segment_fixed_size 0
		.amdhsa_kernarg_size 56
		.amdhsa_user_sgpr_count 2
		.amdhsa_user_sgpr_dispatch_ptr 0
		.amdhsa_user_sgpr_queue_ptr 0
		.amdhsa_user_sgpr_kernarg_segment_ptr 1
		.amdhsa_user_sgpr_dispatch_id 0
		.amdhsa_user_sgpr_kernarg_preload_length 0
		.amdhsa_user_sgpr_kernarg_preload_offset 0
		.amdhsa_user_sgpr_private_segment_size 0
		.amdhsa_uses_dynamic_stack 0
		.amdhsa_enable_private_segment 0
		.amdhsa_system_sgpr_workgroup_id_x 1
		.amdhsa_system_sgpr_workgroup_id_y 0
		.amdhsa_system_sgpr_workgroup_id_z 0
		.amdhsa_system_sgpr_workgroup_info 0
		.amdhsa_system_vgpr_workitem_id 0
		.amdhsa_next_free_vgpr 23
		.amdhsa_next_free_sgpr 36
		.amdhsa_accum_offset 24
		.amdhsa_reserve_vcc 1
		.amdhsa_float_round_mode_32 0
		.amdhsa_float_round_mode_16_64 0
		.amdhsa_float_denorm_mode_32 3
		.amdhsa_float_denorm_mode_16_64 3
		.amdhsa_dx10_clamp 1
		.amdhsa_ieee_mode 1
		.amdhsa_fp16_overflow 0
		.amdhsa_tg_split 0
		.amdhsa_exception_fp_ieee_invalid_op 0
		.amdhsa_exception_fp_denorm_src 0
		.amdhsa_exception_fp_ieee_div_zero 0
		.amdhsa_exception_fp_ieee_overflow 0
		.amdhsa_exception_fp_ieee_underflow 0
		.amdhsa_exception_fp_ieee_inexact 0
		.amdhsa_exception_int_div_zero 0
	.end_amdhsa_kernel
	.section	.text._ZN7rocprim17ROCPRIM_400000_NS6detail17trampoline_kernelINS0_14default_configENS1_38merge_sort_block_merge_config_selectorIlNS0_10empty_typeEEEZZNS1_27merge_sort_block_merge_implIS3_PlPS5_mZN2at6native12_GLOBAL__N_124unique_dim_cuda_templateIsEESt5tupleIJNSA_6TensorESF_SF_EERKSF_lbbbEUlllE_EE10hipError_tT0_T1_T2_jT3_P12ihipStream_tbPNSt15iterator_traitsISL_E10value_typeEPNSR_ISM_E10value_typeEPSN_NS1_7vsmem_tEENKUlT_SL_SM_SN_E_clIS8_S8_S9_S9_EESK_S10_SL_SM_SN_EUlS10_E_NS1_11comp_targetILNS1_3genE5ELNS1_11target_archE942ELNS1_3gpuE9ELNS1_3repE0EEENS1_48merge_mergepath_partition_config_static_selectorELNS0_4arch9wavefront6targetE1EEEvSM_,"axG",@progbits,_ZN7rocprim17ROCPRIM_400000_NS6detail17trampoline_kernelINS0_14default_configENS1_38merge_sort_block_merge_config_selectorIlNS0_10empty_typeEEEZZNS1_27merge_sort_block_merge_implIS3_PlPS5_mZN2at6native12_GLOBAL__N_124unique_dim_cuda_templateIsEESt5tupleIJNSA_6TensorESF_SF_EERKSF_lbbbEUlllE_EE10hipError_tT0_T1_T2_jT3_P12ihipStream_tbPNSt15iterator_traitsISL_E10value_typeEPNSR_ISM_E10value_typeEPSN_NS1_7vsmem_tEENKUlT_SL_SM_SN_E_clIS8_S8_S9_S9_EESK_S10_SL_SM_SN_EUlS10_E_NS1_11comp_targetILNS1_3genE5ELNS1_11target_archE942ELNS1_3gpuE9ELNS1_3repE0EEENS1_48merge_mergepath_partition_config_static_selectorELNS0_4arch9wavefront6targetE1EEEvSM_,comdat
.Lfunc_end643:
	.size	_ZN7rocprim17ROCPRIM_400000_NS6detail17trampoline_kernelINS0_14default_configENS1_38merge_sort_block_merge_config_selectorIlNS0_10empty_typeEEEZZNS1_27merge_sort_block_merge_implIS3_PlPS5_mZN2at6native12_GLOBAL__N_124unique_dim_cuda_templateIsEESt5tupleIJNSA_6TensorESF_SF_EERKSF_lbbbEUlllE_EE10hipError_tT0_T1_T2_jT3_P12ihipStream_tbPNSt15iterator_traitsISL_E10value_typeEPNSR_ISM_E10value_typeEPSN_NS1_7vsmem_tEENKUlT_SL_SM_SN_E_clIS8_S8_S9_S9_EESK_S10_SL_SM_SN_EUlS10_E_NS1_11comp_targetILNS1_3genE5ELNS1_11target_archE942ELNS1_3gpuE9ELNS1_3repE0EEENS1_48merge_mergepath_partition_config_static_selectorELNS0_4arch9wavefront6targetE1EEEvSM_, .Lfunc_end643-_ZN7rocprim17ROCPRIM_400000_NS6detail17trampoline_kernelINS0_14default_configENS1_38merge_sort_block_merge_config_selectorIlNS0_10empty_typeEEEZZNS1_27merge_sort_block_merge_implIS3_PlPS5_mZN2at6native12_GLOBAL__N_124unique_dim_cuda_templateIsEESt5tupleIJNSA_6TensorESF_SF_EERKSF_lbbbEUlllE_EE10hipError_tT0_T1_T2_jT3_P12ihipStream_tbPNSt15iterator_traitsISL_E10value_typeEPNSR_ISM_E10value_typeEPSN_NS1_7vsmem_tEENKUlT_SL_SM_SN_E_clIS8_S8_S9_S9_EESK_S10_SL_SM_SN_EUlS10_E_NS1_11comp_targetILNS1_3genE5ELNS1_11target_archE942ELNS1_3gpuE9ELNS1_3repE0EEENS1_48merge_mergepath_partition_config_static_selectorELNS0_4arch9wavefront6targetE1EEEvSM_
                                        ; -- End function
	.section	.AMDGPU.csdata,"",@progbits
; Kernel info:
; codeLenInByte = 796
; NumSgprs: 42
; NumVgprs: 23
; NumAgprs: 0
; TotalNumVgprs: 23
; ScratchSize: 0
; MemoryBound: 0
; FloatMode: 240
; IeeeMode: 1
; LDSByteSize: 0 bytes/workgroup (compile time only)
; SGPRBlocks: 5
; VGPRBlocks: 2
; NumSGPRsForWavesPerEU: 42
; NumVGPRsForWavesPerEU: 23
; AccumOffset: 24
; Occupancy: 8
; WaveLimiterHint : 0
; COMPUTE_PGM_RSRC2:SCRATCH_EN: 0
; COMPUTE_PGM_RSRC2:USER_SGPR: 2
; COMPUTE_PGM_RSRC2:TRAP_HANDLER: 0
; COMPUTE_PGM_RSRC2:TGID_X_EN: 1
; COMPUTE_PGM_RSRC2:TGID_Y_EN: 0
; COMPUTE_PGM_RSRC2:TGID_Z_EN: 0
; COMPUTE_PGM_RSRC2:TIDIG_COMP_CNT: 0
; COMPUTE_PGM_RSRC3_GFX90A:ACCUM_OFFSET: 5
; COMPUTE_PGM_RSRC3_GFX90A:TG_SPLIT: 0
	.section	.text._ZN7rocprim17ROCPRIM_400000_NS6detail17trampoline_kernelINS0_14default_configENS1_38merge_sort_block_merge_config_selectorIlNS0_10empty_typeEEEZZNS1_27merge_sort_block_merge_implIS3_PlPS5_mZN2at6native12_GLOBAL__N_124unique_dim_cuda_templateIsEESt5tupleIJNSA_6TensorESF_SF_EERKSF_lbbbEUlllE_EE10hipError_tT0_T1_T2_jT3_P12ihipStream_tbPNSt15iterator_traitsISL_E10value_typeEPNSR_ISM_E10value_typeEPSN_NS1_7vsmem_tEENKUlT_SL_SM_SN_E_clIS8_S8_S9_S9_EESK_S10_SL_SM_SN_EUlS10_E_NS1_11comp_targetILNS1_3genE4ELNS1_11target_archE910ELNS1_3gpuE8ELNS1_3repE0EEENS1_48merge_mergepath_partition_config_static_selectorELNS0_4arch9wavefront6targetE1EEEvSM_,"axG",@progbits,_ZN7rocprim17ROCPRIM_400000_NS6detail17trampoline_kernelINS0_14default_configENS1_38merge_sort_block_merge_config_selectorIlNS0_10empty_typeEEEZZNS1_27merge_sort_block_merge_implIS3_PlPS5_mZN2at6native12_GLOBAL__N_124unique_dim_cuda_templateIsEESt5tupleIJNSA_6TensorESF_SF_EERKSF_lbbbEUlllE_EE10hipError_tT0_T1_T2_jT3_P12ihipStream_tbPNSt15iterator_traitsISL_E10value_typeEPNSR_ISM_E10value_typeEPSN_NS1_7vsmem_tEENKUlT_SL_SM_SN_E_clIS8_S8_S9_S9_EESK_S10_SL_SM_SN_EUlS10_E_NS1_11comp_targetILNS1_3genE4ELNS1_11target_archE910ELNS1_3gpuE8ELNS1_3repE0EEENS1_48merge_mergepath_partition_config_static_selectorELNS0_4arch9wavefront6targetE1EEEvSM_,comdat
	.globl	_ZN7rocprim17ROCPRIM_400000_NS6detail17trampoline_kernelINS0_14default_configENS1_38merge_sort_block_merge_config_selectorIlNS0_10empty_typeEEEZZNS1_27merge_sort_block_merge_implIS3_PlPS5_mZN2at6native12_GLOBAL__N_124unique_dim_cuda_templateIsEESt5tupleIJNSA_6TensorESF_SF_EERKSF_lbbbEUlllE_EE10hipError_tT0_T1_T2_jT3_P12ihipStream_tbPNSt15iterator_traitsISL_E10value_typeEPNSR_ISM_E10value_typeEPSN_NS1_7vsmem_tEENKUlT_SL_SM_SN_E_clIS8_S8_S9_S9_EESK_S10_SL_SM_SN_EUlS10_E_NS1_11comp_targetILNS1_3genE4ELNS1_11target_archE910ELNS1_3gpuE8ELNS1_3repE0EEENS1_48merge_mergepath_partition_config_static_selectorELNS0_4arch9wavefront6targetE1EEEvSM_ ; -- Begin function _ZN7rocprim17ROCPRIM_400000_NS6detail17trampoline_kernelINS0_14default_configENS1_38merge_sort_block_merge_config_selectorIlNS0_10empty_typeEEEZZNS1_27merge_sort_block_merge_implIS3_PlPS5_mZN2at6native12_GLOBAL__N_124unique_dim_cuda_templateIsEESt5tupleIJNSA_6TensorESF_SF_EERKSF_lbbbEUlllE_EE10hipError_tT0_T1_T2_jT3_P12ihipStream_tbPNSt15iterator_traitsISL_E10value_typeEPNSR_ISM_E10value_typeEPSN_NS1_7vsmem_tEENKUlT_SL_SM_SN_E_clIS8_S8_S9_S9_EESK_S10_SL_SM_SN_EUlS10_E_NS1_11comp_targetILNS1_3genE4ELNS1_11target_archE910ELNS1_3gpuE8ELNS1_3repE0EEENS1_48merge_mergepath_partition_config_static_selectorELNS0_4arch9wavefront6targetE1EEEvSM_
	.p2align	8
	.type	_ZN7rocprim17ROCPRIM_400000_NS6detail17trampoline_kernelINS0_14default_configENS1_38merge_sort_block_merge_config_selectorIlNS0_10empty_typeEEEZZNS1_27merge_sort_block_merge_implIS3_PlPS5_mZN2at6native12_GLOBAL__N_124unique_dim_cuda_templateIsEESt5tupleIJNSA_6TensorESF_SF_EERKSF_lbbbEUlllE_EE10hipError_tT0_T1_T2_jT3_P12ihipStream_tbPNSt15iterator_traitsISL_E10value_typeEPNSR_ISM_E10value_typeEPSN_NS1_7vsmem_tEENKUlT_SL_SM_SN_E_clIS8_S8_S9_S9_EESK_S10_SL_SM_SN_EUlS10_E_NS1_11comp_targetILNS1_3genE4ELNS1_11target_archE910ELNS1_3gpuE8ELNS1_3repE0EEENS1_48merge_mergepath_partition_config_static_selectorELNS0_4arch9wavefront6targetE1EEEvSM_,@function
_ZN7rocprim17ROCPRIM_400000_NS6detail17trampoline_kernelINS0_14default_configENS1_38merge_sort_block_merge_config_selectorIlNS0_10empty_typeEEEZZNS1_27merge_sort_block_merge_implIS3_PlPS5_mZN2at6native12_GLOBAL__N_124unique_dim_cuda_templateIsEESt5tupleIJNSA_6TensorESF_SF_EERKSF_lbbbEUlllE_EE10hipError_tT0_T1_T2_jT3_P12ihipStream_tbPNSt15iterator_traitsISL_E10value_typeEPNSR_ISM_E10value_typeEPSN_NS1_7vsmem_tEENKUlT_SL_SM_SN_E_clIS8_S8_S9_S9_EESK_S10_SL_SM_SN_EUlS10_E_NS1_11comp_targetILNS1_3genE4ELNS1_11target_archE910ELNS1_3gpuE8ELNS1_3repE0EEENS1_48merge_mergepath_partition_config_static_selectorELNS0_4arch9wavefront6targetE1EEEvSM_: ; @_ZN7rocprim17ROCPRIM_400000_NS6detail17trampoline_kernelINS0_14default_configENS1_38merge_sort_block_merge_config_selectorIlNS0_10empty_typeEEEZZNS1_27merge_sort_block_merge_implIS3_PlPS5_mZN2at6native12_GLOBAL__N_124unique_dim_cuda_templateIsEESt5tupleIJNSA_6TensorESF_SF_EERKSF_lbbbEUlllE_EE10hipError_tT0_T1_T2_jT3_P12ihipStream_tbPNSt15iterator_traitsISL_E10value_typeEPNSR_ISM_E10value_typeEPSN_NS1_7vsmem_tEENKUlT_SL_SM_SN_E_clIS8_S8_S9_S9_EESK_S10_SL_SM_SN_EUlS10_E_NS1_11comp_targetILNS1_3genE4ELNS1_11target_archE910ELNS1_3gpuE8ELNS1_3repE0EEENS1_48merge_mergepath_partition_config_static_selectorELNS0_4arch9wavefront6targetE1EEEvSM_
; %bb.0:
	.section	.rodata,"a",@progbits
	.p2align	6, 0x0
	.amdhsa_kernel _ZN7rocprim17ROCPRIM_400000_NS6detail17trampoline_kernelINS0_14default_configENS1_38merge_sort_block_merge_config_selectorIlNS0_10empty_typeEEEZZNS1_27merge_sort_block_merge_implIS3_PlPS5_mZN2at6native12_GLOBAL__N_124unique_dim_cuda_templateIsEESt5tupleIJNSA_6TensorESF_SF_EERKSF_lbbbEUlllE_EE10hipError_tT0_T1_T2_jT3_P12ihipStream_tbPNSt15iterator_traitsISL_E10value_typeEPNSR_ISM_E10value_typeEPSN_NS1_7vsmem_tEENKUlT_SL_SM_SN_E_clIS8_S8_S9_S9_EESK_S10_SL_SM_SN_EUlS10_E_NS1_11comp_targetILNS1_3genE4ELNS1_11target_archE910ELNS1_3gpuE8ELNS1_3repE0EEENS1_48merge_mergepath_partition_config_static_selectorELNS0_4arch9wavefront6targetE1EEEvSM_
		.amdhsa_group_segment_fixed_size 0
		.amdhsa_private_segment_fixed_size 0
		.amdhsa_kernarg_size 56
		.amdhsa_user_sgpr_count 2
		.amdhsa_user_sgpr_dispatch_ptr 0
		.amdhsa_user_sgpr_queue_ptr 0
		.amdhsa_user_sgpr_kernarg_segment_ptr 1
		.amdhsa_user_sgpr_dispatch_id 0
		.amdhsa_user_sgpr_kernarg_preload_length 0
		.amdhsa_user_sgpr_kernarg_preload_offset 0
		.amdhsa_user_sgpr_private_segment_size 0
		.amdhsa_uses_dynamic_stack 0
		.amdhsa_enable_private_segment 0
		.amdhsa_system_sgpr_workgroup_id_x 1
		.amdhsa_system_sgpr_workgroup_id_y 0
		.amdhsa_system_sgpr_workgroup_id_z 0
		.amdhsa_system_sgpr_workgroup_info 0
		.amdhsa_system_vgpr_workitem_id 0
		.amdhsa_next_free_vgpr 1
		.amdhsa_next_free_sgpr 0
		.amdhsa_accum_offset 4
		.amdhsa_reserve_vcc 0
		.amdhsa_float_round_mode_32 0
		.amdhsa_float_round_mode_16_64 0
		.amdhsa_float_denorm_mode_32 3
		.amdhsa_float_denorm_mode_16_64 3
		.amdhsa_dx10_clamp 1
		.amdhsa_ieee_mode 1
		.amdhsa_fp16_overflow 0
		.amdhsa_tg_split 0
		.amdhsa_exception_fp_ieee_invalid_op 0
		.amdhsa_exception_fp_denorm_src 0
		.amdhsa_exception_fp_ieee_div_zero 0
		.amdhsa_exception_fp_ieee_overflow 0
		.amdhsa_exception_fp_ieee_underflow 0
		.amdhsa_exception_fp_ieee_inexact 0
		.amdhsa_exception_int_div_zero 0
	.end_amdhsa_kernel
	.section	.text._ZN7rocprim17ROCPRIM_400000_NS6detail17trampoline_kernelINS0_14default_configENS1_38merge_sort_block_merge_config_selectorIlNS0_10empty_typeEEEZZNS1_27merge_sort_block_merge_implIS3_PlPS5_mZN2at6native12_GLOBAL__N_124unique_dim_cuda_templateIsEESt5tupleIJNSA_6TensorESF_SF_EERKSF_lbbbEUlllE_EE10hipError_tT0_T1_T2_jT3_P12ihipStream_tbPNSt15iterator_traitsISL_E10value_typeEPNSR_ISM_E10value_typeEPSN_NS1_7vsmem_tEENKUlT_SL_SM_SN_E_clIS8_S8_S9_S9_EESK_S10_SL_SM_SN_EUlS10_E_NS1_11comp_targetILNS1_3genE4ELNS1_11target_archE910ELNS1_3gpuE8ELNS1_3repE0EEENS1_48merge_mergepath_partition_config_static_selectorELNS0_4arch9wavefront6targetE1EEEvSM_,"axG",@progbits,_ZN7rocprim17ROCPRIM_400000_NS6detail17trampoline_kernelINS0_14default_configENS1_38merge_sort_block_merge_config_selectorIlNS0_10empty_typeEEEZZNS1_27merge_sort_block_merge_implIS3_PlPS5_mZN2at6native12_GLOBAL__N_124unique_dim_cuda_templateIsEESt5tupleIJNSA_6TensorESF_SF_EERKSF_lbbbEUlllE_EE10hipError_tT0_T1_T2_jT3_P12ihipStream_tbPNSt15iterator_traitsISL_E10value_typeEPNSR_ISM_E10value_typeEPSN_NS1_7vsmem_tEENKUlT_SL_SM_SN_E_clIS8_S8_S9_S9_EESK_S10_SL_SM_SN_EUlS10_E_NS1_11comp_targetILNS1_3genE4ELNS1_11target_archE910ELNS1_3gpuE8ELNS1_3repE0EEENS1_48merge_mergepath_partition_config_static_selectorELNS0_4arch9wavefront6targetE1EEEvSM_,comdat
.Lfunc_end644:
	.size	_ZN7rocprim17ROCPRIM_400000_NS6detail17trampoline_kernelINS0_14default_configENS1_38merge_sort_block_merge_config_selectorIlNS0_10empty_typeEEEZZNS1_27merge_sort_block_merge_implIS3_PlPS5_mZN2at6native12_GLOBAL__N_124unique_dim_cuda_templateIsEESt5tupleIJNSA_6TensorESF_SF_EERKSF_lbbbEUlllE_EE10hipError_tT0_T1_T2_jT3_P12ihipStream_tbPNSt15iterator_traitsISL_E10value_typeEPNSR_ISM_E10value_typeEPSN_NS1_7vsmem_tEENKUlT_SL_SM_SN_E_clIS8_S8_S9_S9_EESK_S10_SL_SM_SN_EUlS10_E_NS1_11comp_targetILNS1_3genE4ELNS1_11target_archE910ELNS1_3gpuE8ELNS1_3repE0EEENS1_48merge_mergepath_partition_config_static_selectorELNS0_4arch9wavefront6targetE1EEEvSM_, .Lfunc_end644-_ZN7rocprim17ROCPRIM_400000_NS6detail17trampoline_kernelINS0_14default_configENS1_38merge_sort_block_merge_config_selectorIlNS0_10empty_typeEEEZZNS1_27merge_sort_block_merge_implIS3_PlPS5_mZN2at6native12_GLOBAL__N_124unique_dim_cuda_templateIsEESt5tupleIJNSA_6TensorESF_SF_EERKSF_lbbbEUlllE_EE10hipError_tT0_T1_T2_jT3_P12ihipStream_tbPNSt15iterator_traitsISL_E10value_typeEPNSR_ISM_E10value_typeEPSN_NS1_7vsmem_tEENKUlT_SL_SM_SN_E_clIS8_S8_S9_S9_EESK_S10_SL_SM_SN_EUlS10_E_NS1_11comp_targetILNS1_3genE4ELNS1_11target_archE910ELNS1_3gpuE8ELNS1_3repE0EEENS1_48merge_mergepath_partition_config_static_selectorELNS0_4arch9wavefront6targetE1EEEvSM_
                                        ; -- End function
	.section	.AMDGPU.csdata,"",@progbits
; Kernel info:
; codeLenInByte = 0
; NumSgprs: 6
; NumVgprs: 0
; NumAgprs: 0
; TotalNumVgprs: 0
; ScratchSize: 0
; MemoryBound: 0
; FloatMode: 240
; IeeeMode: 1
; LDSByteSize: 0 bytes/workgroup (compile time only)
; SGPRBlocks: 0
; VGPRBlocks: 0
; NumSGPRsForWavesPerEU: 6
; NumVGPRsForWavesPerEU: 1
; AccumOffset: 4
; Occupancy: 8
; WaveLimiterHint : 0
; COMPUTE_PGM_RSRC2:SCRATCH_EN: 0
; COMPUTE_PGM_RSRC2:USER_SGPR: 2
; COMPUTE_PGM_RSRC2:TRAP_HANDLER: 0
; COMPUTE_PGM_RSRC2:TGID_X_EN: 1
; COMPUTE_PGM_RSRC2:TGID_Y_EN: 0
; COMPUTE_PGM_RSRC2:TGID_Z_EN: 0
; COMPUTE_PGM_RSRC2:TIDIG_COMP_CNT: 0
; COMPUTE_PGM_RSRC3_GFX90A:ACCUM_OFFSET: 0
; COMPUTE_PGM_RSRC3_GFX90A:TG_SPLIT: 0
	.section	.text._ZN7rocprim17ROCPRIM_400000_NS6detail17trampoline_kernelINS0_14default_configENS1_38merge_sort_block_merge_config_selectorIlNS0_10empty_typeEEEZZNS1_27merge_sort_block_merge_implIS3_PlPS5_mZN2at6native12_GLOBAL__N_124unique_dim_cuda_templateIsEESt5tupleIJNSA_6TensorESF_SF_EERKSF_lbbbEUlllE_EE10hipError_tT0_T1_T2_jT3_P12ihipStream_tbPNSt15iterator_traitsISL_E10value_typeEPNSR_ISM_E10value_typeEPSN_NS1_7vsmem_tEENKUlT_SL_SM_SN_E_clIS8_S8_S9_S9_EESK_S10_SL_SM_SN_EUlS10_E_NS1_11comp_targetILNS1_3genE3ELNS1_11target_archE908ELNS1_3gpuE7ELNS1_3repE0EEENS1_48merge_mergepath_partition_config_static_selectorELNS0_4arch9wavefront6targetE1EEEvSM_,"axG",@progbits,_ZN7rocprim17ROCPRIM_400000_NS6detail17trampoline_kernelINS0_14default_configENS1_38merge_sort_block_merge_config_selectorIlNS0_10empty_typeEEEZZNS1_27merge_sort_block_merge_implIS3_PlPS5_mZN2at6native12_GLOBAL__N_124unique_dim_cuda_templateIsEESt5tupleIJNSA_6TensorESF_SF_EERKSF_lbbbEUlllE_EE10hipError_tT0_T1_T2_jT3_P12ihipStream_tbPNSt15iterator_traitsISL_E10value_typeEPNSR_ISM_E10value_typeEPSN_NS1_7vsmem_tEENKUlT_SL_SM_SN_E_clIS8_S8_S9_S9_EESK_S10_SL_SM_SN_EUlS10_E_NS1_11comp_targetILNS1_3genE3ELNS1_11target_archE908ELNS1_3gpuE7ELNS1_3repE0EEENS1_48merge_mergepath_partition_config_static_selectorELNS0_4arch9wavefront6targetE1EEEvSM_,comdat
	.globl	_ZN7rocprim17ROCPRIM_400000_NS6detail17trampoline_kernelINS0_14default_configENS1_38merge_sort_block_merge_config_selectorIlNS0_10empty_typeEEEZZNS1_27merge_sort_block_merge_implIS3_PlPS5_mZN2at6native12_GLOBAL__N_124unique_dim_cuda_templateIsEESt5tupleIJNSA_6TensorESF_SF_EERKSF_lbbbEUlllE_EE10hipError_tT0_T1_T2_jT3_P12ihipStream_tbPNSt15iterator_traitsISL_E10value_typeEPNSR_ISM_E10value_typeEPSN_NS1_7vsmem_tEENKUlT_SL_SM_SN_E_clIS8_S8_S9_S9_EESK_S10_SL_SM_SN_EUlS10_E_NS1_11comp_targetILNS1_3genE3ELNS1_11target_archE908ELNS1_3gpuE7ELNS1_3repE0EEENS1_48merge_mergepath_partition_config_static_selectorELNS0_4arch9wavefront6targetE1EEEvSM_ ; -- Begin function _ZN7rocprim17ROCPRIM_400000_NS6detail17trampoline_kernelINS0_14default_configENS1_38merge_sort_block_merge_config_selectorIlNS0_10empty_typeEEEZZNS1_27merge_sort_block_merge_implIS3_PlPS5_mZN2at6native12_GLOBAL__N_124unique_dim_cuda_templateIsEESt5tupleIJNSA_6TensorESF_SF_EERKSF_lbbbEUlllE_EE10hipError_tT0_T1_T2_jT3_P12ihipStream_tbPNSt15iterator_traitsISL_E10value_typeEPNSR_ISM_E10value_typeEPSN_NS1_7vsmem_tEENKUlT_SL_SM_SN_E_clIS8_S8_S9_S9_EESK_S10_SL_SM_SN_EUlS10_E_NS1_11comp_targetILNS1_3genE3ELNS1_11target_archE908ELNS1_3gpuE7ELNS1_3repE0EEENS1_48merge_mergepath_partition_config_static_selectorELNS0_4arch9wavefront6targetE1EEEvSM_
	.p2align	8
	.type	_ZN7rocprim17ROCPRIM_400000_NS6detail17trampoline_kernelINS0_14default_configENS1_38merge_sort_block_merge_config_selectorIlNS0_10empty_typeEEEZZNS1_27merge_sort_block_merge_implIS3_PlPS5_mZN2at6native12_GLOBAL__N_124unique_dim_cuda_templateIsEESt5tupleIJNSA_6TensorESF_SF_EERKSF_lbbbEUlllE_EE10hipError_tT0_T1_T2_jT3_P12ihipStream_tbPNSt15iterator_traitsISL_E10value_typeEPNSR_ISM_E10value_typeEPSN_NS1_7vsmem_tEENKUlT_SL_SM_SN_E_clIS8_S8_S9_S9_EESK_S10_SL_SM_SN_EUlS10_E_NS1_11comp_targetILNS1_3genE3ELNS1_11target_archE908ELNS1_3gpuE7ELNS1_3repE0EEENS1_48merge_mergepath_partition_config_static_selectorELNS0_4arch9wavefront6targetE1EEEvSM_,@function
_ZN7rocprim17ROCPRIM_400000_NS6detail17trampoline_kernelINS0_14default_configENS1_38merge_sort_block_merge_config_selectorIlNS0_10empty_typeEEEZZNS1_27merge_sort_block_merge_implIS3_PlPS5_mZN2at6native12_GLOBAL__N_124unique_dim_cuda_templateIsEESt5tupleIJNSA_6TensorESF_SF_EERKSF_lbbbEUlllE_EE10hipError_tT0_T1_T2_jT3_P12ihipStream_tbPNSt15iterator_traitsISL_E10value_typeEPNSR_ISM_E10value_typeEPSN_NS1_7vsmem_tEENKUlT_SL_SM_SN_E_clIS8_S8_S9_S9_EESK_S10_SL_SM_SN_EUlS10_E_NS1_11comp_targetILNS1_3genE3ELNS1_11target_archE908ELNS1_3gpuE7ELNS1_3repE0EEENS1_48merge_mergepath_partition_config_static_selectorELNS0_4arch9wavefront6targetE1EEEvSM_: ; @_ZN7rocprim17ROCPRIM_400000_NS6detail17trampoline_kernelINS0_14default_configENS1_38merge_sort_block_merge_config_selectorIlNS0_10empty_typeEEEZZNS1_27merge_sort_block_merge_implIS3_PlPS5_mZN2at6native12_GLOBAL__N_124unique_dim_cuda_templateIsEESt5tupleIJNSA_6TensorESF_SF_EERKSF_lbbbEUlllE_EE10hipError_tT0_T1_T2_jT3_P12ihipStream_tbPNSt15iterator_traitsISL_E10value_typeEPNSR_ISM_E10value_typeEPSN_NS1_7vsmem_tEENKUlT_SL_SM_SN_E_clIS8_S8_S9_S9_EESK_S10_SL_SM_SN_EUlS10_E_NS1_11comp_targetILNS1_3genE3ELNS1_11target_archE908ELNS1_3gpuE7ELNS1_3repE0EEENS1_48merge_mergepath_partition_config_static_selectorELNS0_4arch9wavefront6targetE1EEEvSM_
; %bb.0:
	.section	.rodata,"a",@progbits
	.p2align	6, 0x0
	.amdhsa_kernel _ZN7rocprim17ROCPRIM_400000_NS6detail17trampoline_kernelINS0_14default_configENS1_38merge_sort_block_merge_config_selectorIlNS0_10empty_typeEEEZZNS1_27merge_sort_block_merge_implIS3_PlPS5_mZN2at6native12_GLOBAL__N_124unique_dim_cuda_templateIsEESt5tupleIJNSA_6TensorESF_SF_EERKSF_lbbbEUlllE_EE10hipError_tT0_T1_T2_jT3_P12ihipStream_tbPNSt15iterator_traitsISL_E10value_typeEPNSR_ISM_E10value_typeEPSN_NS1_7vsmem_tEENKUlT_SL_SM_SN_E_clIS8_S8_S9_S9_EESK_S10_SL_SM_SN_EUlS10_E_NS1_11comp_targetILNS1_3genE3ELNS1_11target_archE908ELNS1_3gpuE7ELNS1_3repE0EEENS1_48merge_mergepath_partition_config_static_selectorELNS0_4arch9wavefront6targetE1EEEvSM_
		.amdhsa_group_segment_fixed_size 0
		.amdhsa_private_segment_fixed_size 0
		.amdhsa_kernarg_size 56
		.amdhsa_user_sgpr_count 2
		.amdhsa_user_sgpr_dispatch_ptr 0
		.amdhsa_user_sgpr_queue_ptr 0
		.amdhsa_user_sgpr_kernarg_segment_ptr 1
		.amdhsa_user_sgpr_dispatch_id 0
		.amdhsa_user_sgpr_kernarg_preload_length 0
		.amdhsa_user_sgpr_kernarg_preload_offset 0
		.amdhsa_user_sgpr_private_segment_size 0
		.amdhsa_uses_dynamic_stack 0
		.amdhsa_enable_private_segment 0
		.amdhsa_system_sgpr_workgroup_id_x 1
		.amdhsa_system_sgpr_workgroup_id_y 0
		.amdhsa_system_sgpr_workgroup_id_z 0
		.amdhsa_system_sgpr_workgroup_info 0
		.amdhsa_system_vgpr_workitem_id 0
		.amdhsa_next_free_vgpr 1
		.amdhsa_next_free_sgpr 0
		.amdhsa_accum_offset 4
		.amdhsa_reserve_vcc 0
		.amdhsa_float_round_mode_32 0
		.amdhsa_float_round_mode_16_64 0
		.amdhsa_float_denorm_mode_32 3
		.amdhsa_float_denorm_mode_16_64 3
		.amdhsa_dx10_clamp 1
		.amdhsa_ieee_mode 1
		.amdhsa_fp16_overflow 0
		.amdhsa_tg_split 0
		.amdhsa_exception_fp_ieee_invalid_op 0
		.amdhsa_exception_fp_denorm_src 0
		.amdhsa_exception_fp_ieee_div_zero 0
		.amdhsa_exception_fp_ieee_overflow 0
		.amdhsa_exception_fp_ieee_underflow 0
		.amdhsa_exception_fp_ieee_inexact 0
		.amdhsa_exception_int_div_zero 0
	.end_amdhsa_kernel
	.section	.text._ZN7rocprim17ROCPRIM_400000_NS6detail17trampoline_kernelINS0_14default_configENS1_38merge_sort_block_merge_config_selectorIlNS0_10empty_typeEEEZZNS1_27merge_sort_block_merge_implIS3_PlPS5_mZN2at6native12_GLOBAL__N_124unique_dim_cuda_templateIsEESt5tupleIJNSA_6TensorESF_SF_EERKSF_lbbbEUlllE_EE10hipError_tT0_T1_T2_jT3_P12ihipStream_tbPNSt15iterator_traitsISL_E10value_typeEPNSR_ISM_E10value_typeEPSN_NS1_7vsmem_tEENKUlT_SL_SM_SN_E_clIS8_S8_S9_S9_EESK_S10_SL_SM_SN_EUlS10_E_NS1_11comp_targetILNS1_3genE3ELNS1_11target_archE908ELNS1_3gpuE7ELNS1_3repE0EEENS1_48merge_mergepath_partition_config_static_selectorELNS0_4arch9wavefront6targetE1EEEvSM_,"axG",@progbits,_ZN7rocprim17ROCPRIM_400000_NS6detail17trampoline_kernelINS0_14default_configENS1_38merge_sort_block_merge_config_selectorIlNS0_10empty_typeEEEZZNS1_27merge_sort_block_merge_implIS3_PlPS5_mZN2at6native12_GLOBAL__N_124unique_dim_cuda_templateIsEESt5tupleIJNSA_6TensorESF_SF_EERKSF_lbbbEUlllE_EE10hipError_tT0_T1_T2_jT3_P12ihipStream_tbPNSt15iterator_traitsISL_E10value_typeEPNSR_ISM_E10value_typeEPSN_NS1_7vsmem_tEENKUlT_SL_SM_SN_E_clIS8_S8_S9_S9_EESK_S10_SL_SM_SN_EUlS10_E_NS1_11comp_targetILNS1_3genE3ELNS1_11target_archE908ELNS1_3gpuE7ELNS1_3repE0EEENS1_48merge_mergepath_partition_config_static_selectorELNS0_4arch9wavefront6targetE1EEEvSM_,comdat
.Lfunc_end645:
	.size	_ZN7rocprim17ROCPRIM_400000_NS6detail17trampoline_kernelINS0_14default_configENS1_38merge_sort_block_merge_config_selectorIlNS0_10empty_typeEEEZZNS1_27merge_sort_block_merge_implIS3_PlPS5_mZN2at6native12_GLOBAL__N_124unique_dim_cuda_templateIsEESt5tupleIJNSA_6TensorESF_SF_EERKSF_lbbbEUlllE_EE10hipError_tT0_T1_T2_jT3_P12ihipStream_tbPNSt15iterator_traitsISL_E10value_typeEPNSR_ISM_E10value_typeEPSN_NS1_7vsmem_tEENKUlT_SL_SM_SN_E_clIS8_S8_S9_S9_EESK_S10_SL_SM_SN_EUlS10_E_NS1_11comp_targetILNS1_3genE3ELNS1_11target_archE908ELNS1_3gpuE7ELNS1_3repE0EEENS1_48merge_mergepath_partition_config_static_selectorELNS0_4arch9wavefront6targetE1EEEvSM_, .Lfunc_end645-_ZN7rocprim17ROCPRIM_400000_NS6detail17trampoline_kernelINS0_14default_configENS1_38merge_sort_block_merge_config_selectorIlNS0_10empty_typeEEEZZNS1_27merge_sort_block_merge_implIS3_PlPS5_mZN2at6native12_GLOBAL__N_124unique_dim_cuda_templateIsEESt5tupleIJNSA_6TensorESF_SF_EERKSF_lbbbEUlllE_EE10hipError_tT0_T1_T2_jT3_P12ihipStream_tbPNSt15iterator_traitsISL_E10value_typeEPNSR_ISM_E10value_typeEPSN_NS1_7vsmem_tEENKUlT_SL_SM_SN_E_clIS8_S8_S9_S9_EESK_S10_SL_SM_SN_EUlS10_E_NS1_11comp_targetILNS1_3genE3ELNS1_11target_archE908ELNS1_3gpuE7ELNS1_3repE0EEENS1_48merge_mergepath_partition_config_static_selectorELNS0_4arch9wavefront6targetE1EEEvSM_
                                        ; -- End function
	.section	.AMDGPU.csdata,"",@progbits
; Kernel info:
; codeLenInByte = 0
; NumSgprs: 6
; NumVgprs: 0
; NumAgprs: 0
; TotalNumVgprs: 0
; ScratchSize: 0
; MemoryBound: 0
; FloatMode: 240
; IeeeMode: 1
; LDSByteSize: 0 bytes/workgroup (compile time only)
; SGPRBlocks: 0
; VGPRBlocks: 0
; NumSGPRsForWavesPerEU: 6
; NumVGPRsForWavesPerEU: 1
; AccumOffset: 4
; Occupancy: 8
; WaveLimiterHint : 0
; COMPUTE_PGM_RSRC2:SCRATCH_EN: 0
; COMPUTE_PGM_RSRC2:USER_SGPR: 2
; COMPUTE_PGM_RSRC2:TRAP_HANDLER: 0
; COMPUTE_PGM_RSRC2:TGID_X_EN: 1
; COMPUTE_PGM_RSRC2:TGID_Y_EN: 0
; COMPUTE_PGM_RSRC2:TGID_Z_EN: 0
; COMPUTE_PGM_RSRC2:TIDIG_COMP_CNT: 0
; COMPUTE_PGM_RSRC3_GFX90A:ACCUM_OFFSET: 0
; COMPUTE_PGM_RSRC3_GFX90A:TG_SPLIT: 0
	.section	.text._ZN7rocprim17ROCPRIM_400000_NS6detail17trampoline_kernelINS0_14default_configENS1_38merge_sort_block_merge_config_selectorIlNS0_10empty_typeEEEZZNS1_27merge_sort_block_merge_implIS3_PlPS5_mZN2at6native12_GLOBAL__N_124unique_dim_cuda_templateIsEESt5tupleIJNSA_6TensorESF_SF_EERKSF_lbbbEUlllE_EE10hipError_tT0_T1_T2_jT3_P12ihipStream_tbPNSt15iterator_traitsISL_E10value_typeEPNSR_ISM_E10value_typeEPSN_NS1_7vsmem_tEENKUlT_SL_SM_SN_E_clIS8_S8_S9_S9_EESK_S10_SL_SM_SN_EUlS10_E_NS1_11comp_targetILNS1_3genE2ELNS1_11target_archE906ELNS1_3gpuE6ELNS1_3repE0EEENS1_48merge_mergepath_partition_config_static_selectorELNS0_4arch9wavefront6targetE1EEEvSM_,"axG",@progbits,_ZN7rocprim17ROCPRIM_400000_NS6detail17trampoline_kernelINS0_14default_configENS1_38merge_sort_block_merge_config_selectorIlNS0_10empty_typeEEEZZNS1_27merge_sort_block_merge_implIS3_PlPS5_mZN2at6native12_GLOBAL__N_124unique_dim_cuda_templateIsEESt5tupleIJNSA_6TensorESF_SF_EERKSF_lbbbEUlllE_EE10hipError_tT0_T1_T2_jT3_P12ihipStream_tbPNSt15iterator_traitsISL_E10value_typeEPNSR_ISM_E10value_typeEPSN_NS1_7vsmem_tEENKUlT_SL_SM_SN_E_clIS8_S8_S9_S9_EESK_S10_SL_SM_SN_EUlS10_E_NS1_11comp_targetILNS1_3genE2ELNS1_11target_archE906ELNS1_3gpuE6ELNS1_3repE0EEENS1_48merge_mergepath_partition_config_static_selectorELNS0_4arch9wavefront6targetE1EEEvSM_,comdat
	.globl	_ZN7rocprim17ROCPRIM_400000_NS6detail17trampoline_kernelINS0_14default_configENS1_38merge_sort_block_merge_config_selectorIlNS0_10empty_typeEEEZZNS1_27merge_sort_block_merge_implIS3_PlPS5_mZN2at6native12_GLOBAL__N_124unique_dim_cuda_templateIsEESt5tupleIJNSA_6TensorESF_SF_EERKSF_lbbbEUlllE_EE10hipError_tT0_T1_T2_jT3_P12ihipStream_tbPNSt15iterator_traitsISL_E10value_typeEPNSR_ISM_E10value_typeEPSN_NS1_7vsmem_tEENKUlT_SL_SM_SN_E_clIS8_S8_S9_S9_EESK_S10_SL_SM_SN_EUlS10_E_NS1_11comp_targetILNS1_3genE2ELNS1_11target_archE906ELNS1_3gpuE6ELNS1_3repE0EEENS1_48merge_mergepath_partition_config_static_selectorELNS0_4arch9wavefront6targetE1EEEvSM_ ; -- Begin function _ZN7rocprim17ROCPRIM_400000_NS6detail17trampoline_kernelINS0_14default_configENS1_38merge_sort_block_merge_config_selectorIlNS0_10empty_typeEEEZZNS1_27merge_sort_block_merge_implIS3_PlPS5_mZN2at6native12_GLOBAL__N_124unique_dim_cuda_templateIsEESt5tupleIJNSA_6TensorESF_SF_EERKSF_lbbbEUlllE_EE10hipError_tT0_T1_T2_jT3_P12ihipStream_tbPNSt15iterator_traitsISL_E10value_typeEPNSR_ISM_E10value_typeEPSN_NS1_7vsmem_tEENKUlT_SL_SM_SN_E_clIS8_S8_S9_S9_EESK_S10_SL_SM_SN_EUlS10_E_NS1_11comp_targetILNS1_3genE2ELNS1_11target_archE906ELNS1_3gpuE6ELNS1_3repE0EEENS1_48merge_mergepath_partition_config_static_selectorELNS0_4arch9wavefront6targetE1EEEvSM_
	.p2align	8
	.type	_ZN7rocprim17ROCPRIM_400000_NS6detail17trampoline_kernelINS0_14default_configENS1_38merge_sort_block_merge_config_selectorIlNS0_10empty_typeEEEZZNS1_27merge_sort_block_merge_implIS3_PlPS5_mZN2at6native12_GLOBAL__N_124unique_dim_cuda_templateIsEESt5tupleIJNSA_6TensorESF_SF_EERKSF_lbbbEUlllE_EE10hipError_tT0_T1_T2_jT3_P12ihipStream_tbPNSt15iterator_traitsISL_E10value_typeEPNSR_ISM_E10value_typeEPSN_NS1_7vsmem_tEENKUlT_SL_SM_SN_E_clIS8_S8_S9_S9_EESK_S10_SL_SM_SN_EUlS10_E_NS1_11comp_targetILNS1_3genE2ELNS1_11target_archE906ELNS1_3gpuE6ELNS1_3repE0EEENS1_48merge_mergepath_partition_config_static_selectorELNS0_4arch9wavefront6targetE1EEEvSM_,@function
_ZN7rocprim17ROCPRIM_400000_NS6detail17trampoline_kernelINS0_14default_configENS1_38merge_sort_block_merge_config_selectorIlNS0_10empty_typeEEEZZNS1_27merge_sort_block_merge_implIS3_PlPS5_mZN2at6native12_GLOBAL__N_124unique_dim_cuda_templateIsEESt5tupleIJNSA_6TensorESF_SF_EERKSF_lbbbEUlllE_EE10hipError_tT0_T1_T2_jT3_P12ihipStream_tbPNSt15iterator_traitsISL_E10value_typeEPNSR_ISM_E10value_typeEPSN_NS1_7vsmem_tEENKUlT_SL_SM_SN_E_clIS8_S8_S9_S9_EESK_S10_SL_SM_SN_EUlS10_E_NS1_11comp_targetILNS1_3genE2ELNS1_11target_archE906ELNS1_3gpuE6ELNS1_3repE0EEENS1_48merge_mergepath_partition_config_static_selectorELNS0_4arch9wavefront6targetE1EEEvSM_: ; @_ZN7rocprim17ROCPRIM_400000_NS6detail17trampoline_kernelINS0_14default_configENS1_38merge_sort_block_merge_config_selectorIlNS0_10empty_typeEEEZZNS1_27merge_sort_block_merge_implIS3_PlPS5_mZN2at6native12_GLOBAL__N_124unique_dim_cuda_templateIsEESt5tupleIJNSA_6TensorESF_SF_EERKSF_lbbbEUlllE_EE10hipError_tT0_T1_T2_jT3_P12ihipStream_tbPNSt15iterator_traitsISL_E10value_typeEPNSR_ISM_E10value_typeEPSN_NS1_7vsmem_tEENKUlT_SL_SM_SN_E_clIS8_S8_S9_S9_EESK_S10_SL_SM_SN_EUlS10_E_NS1_11comp_targetILNS1_3genE2ELNS1_11target_archE906ELNS1_3gpuE6ELNS1_3repE0EEENS1_48merge_mergepath_partition_config_static_selectorELNS0_4arch9wavefront6targetE1EEEvSM_
; %bb.0:
	.section	.rodata,"a",@progbits
	.p2align	6, 0x0
	.amdhsa_kernel _ZN7rocprim17ROCPRIM_400000_NS6detail17trampoline_kernelINS0_14default_configENS1_38merge_sort_block_merge_config_selectorIlNS0_10empty_typeEEEZZNS1_27merge_sort_block_merge_implIS3_PlPS5_mZN2at6native12_GLOBAL__N_124unique_dim_cuda_templateIsEESt5tupleIJNSA_6TensorESF_SF_EERKSF_lbbbEUlllE_EE10hipError_tT0_T1_T2_jT3_P12ihipStream_tbPNSt15iterator_traitsISL_E10value_typeEPNSR_ISM_E10value_typeEPSN_NS1_7vsmem_tEENKUlT_SL_SM_SN_E_clIS8_S8_S9_S9_EESK_S10_SL_SM_SN_EUlS10_E_NS1_11comp_targetILNS1_3genE2ELNS1_11target_archE906ELNS1_3gpuE6ELNS1_3repE0EEENS1_48merge_mergepath_partition_config_static_selectorELNS0_4arch9wavefront6targetE1EEEvSM_
		.amdhsa_group_segment_fixed_size 0
		.amdhsa_private_segment_fixed_size 0
		.amdhsa_kernarg_size 56
		.amdhsa_user_sgpr_count 2
		.amdhsa_user_sgpr_dispatch_ptr 0
		.amdhsa_user_sgpr_queue_ptr 0
		.amdhsa_user_sgpr_kernarg_segment_ptr 1
		.amdhsa_user_sgpr_dispatch_id 0
		.amdhsa_user_sgpr_kernarg_preload_length 0
		.amdhsa_user_sgpr_kernarg_preload_offset 0
		.amdhsa_user_sgpr_private_segment_size 0
		.amdhsa_uses_dynamic_stack 0
		.amdhsa_enable_private_segment 0
		.amdhsa_system_sgpr_workgroup_id_x 1
		.amdhsa_system_sgpr_workgroup_id_y 0
		.amdhsa_system_sgpr_workgroup_id_z 0
		.amdhsa_system_sgpr_workgroup_info 0
		.amdhsa_system_vgpr_workitem_id 0
		.amdhsa_next_free_vgpr 1
		.amdhsa_next_free_sgpr 0
		.amdhsa_accum_offset 4
		.amdhsa_reserve_vcc 0
		.amdhsa_float_round_mode_32 0
		.amdhsa_float_round_mode_16_64 0
		.amdhsa_float_denorm_mode_32 3
		.amdhsa_float_denorm_mode_16_64 3
		.amdhsa_dx10_clamp 1
		.amdhsa_ieee_mode 1
		.amdhsa_fp16_overflow 0
		.amdhsa_tg_split 0
		.amdhsa_exception_fp_ieee_invalid_op 0
		.amdhsa_exception_fp_denorm_src 0
		.amdhsa_exception_fp_ieee_div_zero 0
		.amdhsa_exception_fp_ieee_overflow 0
		.amdhsa_exception_fp_ieee_underflow 0
		.amdhsa_exception_fp_ieee_inexact 0
		.amdhsa_exception_int_div_zero 0
	.end_amdhsa_kernel
	.section	.text._ZN7rocprim17ROCPRIM_400000_NS6detail17trampoline_kernelINS0_14default_configENS1_38merge_sort_block_merge_config_selectorIlNS0_10empty_typeEEEZZNS1_27merge_sort_block_merge_implIS3_PlPS5_mZN2at6native12_GLOBAL__N_124unique_dim_cuda_templateIsEESt5tupleIJNSA_6TensorESF_SF_EERKSF_lbbbEUlllE_EE10hipError_tT0_T1_T2_jT3_P12ihipStream_tbPNSt15iterator_traitsISL_E10value_typeEPNSR_ISM_E10value_typeEPSN_NS1_7vsmem_tEENKUlT_SL_SM_SN_E_clIS8_S8_S9_S9_EESK_S10_SL_SM_SN_EUlS10_E_NS1_11comp_targetILNS1_3genE2ELNS1_11target_archE906ELNS1_3gpuE6ELNS1_3repE0EEENS1_48merge_mergepath_partition_config_static_selectorELNS0_4arch9wavefront6targetE1EEEvSM_,"axG",@progbits,_ZN7rocprim17ROCPRIM_400000_NS6detail17trampoline_kernelINS0_14default_configENS1_38merge_sort_block_merge_config_selectorIlNS0_10empty_typeEEEZZNS1_27merge_sort_block_merge_implIS3_PlPS5_mZN2at6native12_GLOBAL__N_124unique_dim_cuda_templateIsEESt5tupleIJNSA_6TensorESF_SF_EERKSF_lbbbEUlllE_EE10hipError_tT0_T1_T2_jT3_P12ihipStream_tbPNSt15iterator_traitsISL_E10value_typeEPNSR_ISM_E10value_typeEPSN_NS1_7vsmem_tEENKUlT_SL_SM_SN_E_clIS8_S8_S9_S9_EESK_S10_SL_SM_SN_EUlS10_E_NS1_11comp_targetILNS1_3genE2ELNS1_11target_archE906ELNS1_3gpuE6ELNS1_3repE0EEENS1_48merge_mergepath_partition_config_static_selectorELNS0_4arch9wavefront6targetE1EEEvSM_,comdat
.Lfunc_end646:
	.size	_ZN7rocprim17ROCPRIM_400000_NS6detail17trampoline_kernelINS0_14default_configENS1_38merge_sort_block_merge_config_selectorIlNS0_10empty_typeEEEZZNS1_27merge_sort_block_merge_implIS3_PlPS5_mZN2at6native12_GLOBAL__N_124unique_dim_cuda_templateIsEESt5tupleIJNSA_6TensorESF_SF_EERKSF_lbbbEUlllE_EE10hipError_tT0_T1_T2_jT3_P12ihipStream_tbPNSt15iterator_traitsISL_E10value_typeEPNSR_ISM_E10value_typeEPSN_NS1_7vsmem_tEENKUlT_SL_SM_SN_E_clIS8_S8_S9_S9_EESK_S10_SL_SM_SN_EUlS10_E_NS1_11comp_targetILNS1_3genE2ELNS1_11target_archE906ELNS1_3gpuE6ELNS1_3repE0EEENS1_48merge_mergepath_partition_config_static_selectorELNS0_4arch9wavefront6targetE1EEEvSM_, .Lfunc_end646-_ZN7rocprim17ROCPRIM_400000_NS6detail17trampoline_kernelINS0_14default_configENS1_38merge_sort_block_merge_config_selectorIlNS0_10empty_typeEEEZZNS1_27merge_sort_block_merge_implIS3_PlPS5_mZN2at6native12_GLOBAL__N_124unique_dim_cuda_templateIsEESt5tupleIJNSA_6TensorESF_SF_EERKSF_lbbbEUlllE_EE10hipError_tT0_T1_T2_jT3_P12ihipStream_tbPNSt15iterator_traitsISL_E10value_typeEPNSR_ISM_E10value_typeEPSN_NS1_7vsmem_tEENKUlT_SL_SM_SN_E_clIS8_S8_S9_S9_EESK_S10_SL_SM_SN_EUlS10_E_NS1_11comp_targetILNS1_3genE2ELNS1_11target_archE906ELNS1_3gpuE6ELNS1_3repE0EEENS1_48merge_mergepath_partition_config_static_selectorELNS0_4arch9wavefront6targetE1EEEvSM_
                                        ; -- End function
	.section	.AMDGPU.csdata,"",@progbits
; Kernel info:
; codeLenInByte = 0
; NumSgprs: 6
; NumVgprs: 0
; NumAgprs: 0
; TotalNumVgprs: 0
; ScratchSize: 0
; MemoryBound: 0
; FloatMode: 240
; IeeeMode: 1
; LDSByteSize: 0 bytes/workgroup (compile time only)
; SGPRBlocks: 0
; VGPRBlocks: 0
; NumSGPRsForWavesPerEU: 6
; NumVGPRsForWavesPerEU: 1
; AccumOffset: 4
; Occupancy: 8
; WaveLimiterHint : 0
; COMPUTE_PGM_RSRC2:SCRATCH_EN: 0
; COMPUTE_PGM_RSRC2:USER_SGPR: 2
; COMPUTE_PGM_RSRC2:TRAP_HANDLER: 0
; COMPUTE_PGM_RSRC2:TGID_X_EN: 1
; COMPUTE_PGM_RSRC2:TGID_Y_EN: 0
; COMPUTE_PGM_RSRC2:TGID_Z_EN: 0
; COMPUTE_PGM_RSRC2:TIDIG_COMP_CNT: 0
; COMPUTE_PGM_RSRC3_GFX90A:ACCUM_OFFSET: 0
; COMPUTE_PGM_RSRC3_GFX90A:TG_SPLIT: 0
	.section	.text._ZN7rocprim17ROCPRIM_400000_NS6detail17trampoline_kernelINS0_14default_configENS1_38merge_sort_block_merge_config_selectorIlNS0_10empty_typeEEEZZNS1_27merge_sort_block_merge_implIS3_PlPS5_mZN2at6native12_GLOBAL__N_124unique_dim_cuda_templateIsEESt5tupleIJNSA_6TensorESF_SF_EERKSF_lbbbEUlllE_EE10hipError_tT0_T1_T2_jT3_P12ihipStream_tbPNSt15iterator_traitsISL_E10value_typeEPNSR_ISM_E10value_typeEPSN_NS1_7vsmem_tEENKUlT_SL_SM_SN_E_clIS8_S8_S9_S9_EESK_S10_SL_SM_SN_EUlS10_E_NS1_11comp_targetILNS1_3genE9ELNS1_11target_archE1100ELNS1_3gpuE3ELNS1_3repE0EEENS1_48merge_mergepath_partition_config_static_selectorELNS0_4arch9wavefront6targetE1EEEvSM_,"axG",@progbits,_ZN7rocprim17ROCPRIM_400000_NS6detail17trampoline_kernelINS0_14default_configENS1_38merge_sort_block_merge_config_selectorIlNS0_10empty_typeEEEZZNS1_27merge_sort_block_merge_implIS3_PlPS5_mZN2at6native12_GLOBAL__N_124unique_dim_cuda_templateIsEESt5tupleIJNSA_6TensorESF_SF_EERKSF_lbbbEUlllE_EE10hipError_tT0_T1_T2_jT3_P12ihipStream_tbPNSt15iterator_traitsISL_E10value_typeEPNSR_ISM_E10value_typeEPSN_NS1_7vsmem_tEENKUlT_SL_SM_SN_E_clIS8_S8_S9_S9_EESK_S10_SL_SM_SN_EUlS10_E_NS1_11comp_targetILNS1_3genE9ELNS1_11target_archE1100ELNS1_3gpuE3ELNS1_3repE0EEENS1_48merge_mergepath_partition_config_static_selectorELNS0_4arch9wavefront6targetE1EEEvSM_,comdat
	.globl	_ZN7rocprim17ROCPRIM_400000_NS6detail17trampoline_kernelINS0_14default_configENS1_38merge_sort_block_merge_config_selectorIlNS0_10empty_typeEEEZZNS1_27merge_sort_block_merge_implIS3_PlPS5_mZN2at6native12_GLOBAL__N_124unique_dim_cuda_templateIsEESt5tupleIJNSA_6TensorESF_SF_EERKSF_lbbbEUlllE_EE10hipError_tT0_T1_T2_jT3_P12ihipStream_tbPNSt15iterator_traitsISL_E10value_typeEPNSR_ISM_E10value_typeEPSN_NS1_7vsmem_tEENKUlT_SL_SM_SN_E_clIS8_S8_S9_S9_EESK_S10_SL_SM_SN_EUlS10_E_NS1_11comp_targetILNS1_3genE9ELNS1_11target_archE1100ELNS1_3gpuE3ELNS1_3repE0EEENS1_48merge_mergepath_partition_config_static_selectorELNS0_4arch9wavefront6targetE1EEEvSM_ ; -- Begin function _ZN7rocprim17ROCPRIM_400000_NS6detail17trampoline_kernelINS0_14default_configENS1_38merge_sort_block_merge_config_selectorIlNS0_10empty_typeEEEZZNS1_27merge_sort_block_merge_implIS3_PlPS5_mZN2at6native12_GLOBAL__N_124unique_dim_cuda_templateIsEESt5tupleIJNSA_6TensorESF_SF_EERKSF_lbbbEUlllE_EE10hipError_tT0_T1_T2_jT3_P12ihipStream_tbPNSt15iterator_traitsISL_E10value_typeEPNSR_ISM_E10value_typeEPSN_NS1_7vsmem_tEENKUlT_SL_SM_SN_E_clIS8_S8_S9_S9_EESK_S10_SL_SM_SN_EUlS10_E_NS1_11comp_targetILNS1_3genE9ELNS1_11target_archE1100ELNS1_3gpuE3ELNS1_3repE0EEENS1_48merge_mergepath_partition_config_static_selectorELNS0_4arch9wavefront6targetE1EEEvSM_
	.p2align	8
	.type	_ZN7rocprim17ROCPRIM_400000_NS6detail17trampoline_kernelINS0_14default_configENS1_38merge_sort_block_merge_config_selectorIlNS0_10empty_typeEEEZZNS1_27merge_sort_block_merge_implIS3_PlPS5_mZN2at6native12_GLOBAL__N_124unique_dim_cuda_templateIsEESt5tupleIJNSA_6TensorESF_SF_EERKSF_lbbbEUlllE_EE10hipError_tT0_T1_T2_jT3_P12ihipStream_tbPNSt15iterator_traitsISL_E10value_typeEPNSR_ISM_E10value_typeEPSN_NS1_7vsmem_tEENKUlT_SL_SM_SN_E_clIS8_S8_S9_S9_EESK_S10_SL_SM_SN_EUlS10_E_NS1_11comp_targetILNS1_3genE9ELNS1_11target_archE1100ELNS1_3gpuE3ELNS1_3repE0EEENS1_48merge_mergepath_partition_config_static_selectorELNS0_4arch9wavefront6targetE1EEEvSM_,@function
_ZN7rocprim17ROCPRIM_400000_NS6detail17trampoline_kernelINS0_14default_configENS1_38merge_sort_block_merge_config_selectorIlNS0_10empty_typeEEEZZNS1_27merge_sort_block_merge_implIS3_PlPS5_mZN2at6native12_GLOBAL__N_124unique_dim_cuda_templateIsEESt5tupleIJNSA_6TensorESF_SF_EERKSF_lbbbEUlllE_EE10hipError_tT0_T1_T2_jT3_P12ihipStream_tbPNSt15iterator_traitsISL_E10value_typeEPNSR_ISM_E10value_typeEPSN_NS1_7vsmem_tEENKUlT_SL_SM_SN_E_clIS8_S8_S9_S9_EESK_S10_SL_SM_SN_EUlS10_E_NS1_11comp_targetILNS1_3genE9ELNS1_11target_archE1100ELNS1_3gpuE3ELNS1_3repE0EEENS1_48merge_mergepath_partition_config_static_selectorELNS0_4arch9wavefront6targetE1EEEvSM_: ; @_ZN7rocprim17ROCPRIM_400000_NS6detail17trampoline_kernelINS0_14default_configENS1_38merge_sort_block_merge_config_selectorIlNS0_10empty_typeEEEZZNS1_27merge_sort_block_merge_implIS3_PlPS5_mZN2at6native12_GLOBAL__N_124unique_dim_cuda_templateIsEESt5tupleIJNSA_6TensorESF_SF_EERKSF_lbbbEUlllE_EE10hipError_tT0_T1_T2_jT3_P12ihipStream_tbPNSt15iterator_traitsISL_E10value_typeEPNSR_ISM_E10value_typeEPSN_NS1_7vsmem_tEENKUlT_SL_SM_SN_E_clIS8_S8_S9_S9_EESK_S10_SL_SM_SN_EUlS10_E_NS1_11comp_targetILNS1_3genE9ELNS1_11target_archE1100ELNS1_3gpuE3ELNS1_3repE0EEENS1_48merge_mergepath_partition_config_static_selectorELNS0_4arch9wavefront6targetE1EEEvSM_
; %bb.0:
	.section	.rodata,"a",@progbits
	.p2align	6, 0x0
	.amdhsa_kernel _ZN7rocprim17ROCPRIM_400000_NS6detail17trampoline_kernelINS0_14default_configENS1_38merge_sort_block_merge_config_selectorIlNS0_10empty_typeEEEZZNS1_27merge_sort_block_merge_implIS3_PlPS5_mZN2at6native12_GLOBAL__N_124unique_dim_cuda_templateIsEESt5tupleIJNSA_6TensorESF_SF_EERKSF_lbbbEUlllE_EE10hipError_tT0_T1_T2_jT3_P12ihipStream_tbPNSt15iterator_traitsISL_E10value_typeEPNSR_ISM_E10value_typeEPSN_NS1_7vsmem_tEENKUlT_SL_SM_SN_E_clIS8_S8_S9_S9_EESK_S10_SL_SM_SN_EUlS10_E_NS1_11comp_targetILNS1_3genE9ELNS1_11target_archE1100ELNS1_3gpuE3ELNS1_3repE0EEENS1_48merge_mergepath_partition_config_static_selectorELNS0_4arch9wavefront6targetE1EEEvSM_
		.amdhsa_group_segment_fixed_size 0
		.amdhsa_private_segment_fixed_size 0
		.amdhsa_kernarg_size 56
		.amdhsa_user_sgpr_count 2
		.amdhsa_user_sgpr_dispatch_ptr 0
		.amdhsa_user_sgpr_queue_ptr 0
		.amdhsa_user_sgpr_kernarg_segment_ptr 1
		.amdhsa_user_sgpr_dispatch_id 0
		.amdhsa_user_sgpr_kernarg_preload_length 0
		.amdhsa_user_sgpr_kernarg_preload_offset 0
		.amdhsa_user_sgpr_private_segment_size 0
		.amdhsa_uses_dynamic_stack 0
		.amdhsa_enable_private_segment 0
		.amdhsa_system_sgpr_workgroup_id_x 1
		.amdhsa_system_sgpr_workgroup_id_y 0
		.amdhsa_system_sgpr_workgroup_id_z 0
		.amdhsa_system_sgpr_workgroup_info 0
		.amdhsa_system_vgpr_workitem_id 0
		.amdhsa_next_free_vgpr 1
		.amdhsa_next_free_sgpr 0
		.amdhsa_accum_offset 4
		.amdhsa_reserve_vcc 0
		.amdhsa_float_round_mode_32 0
		.amdhsa_float_round_mode_16_64 0
		.amdhsa_float_denorm_mode_32 3
		.amdhsa_float_denorm_mode_16_64 3
		.amdhsa_dx10_clamp 1
		.amdhsa_ieee_mode 1
		.amdhsa_fp16_overflow 0
		.amdhsa_tg_split 0
		.amdhsa_exception_fp_ieee_invalid_op 0
		.amdhsa_exception_fp_denorm_src 0
		.amdhsa_exception_fp_ieee_div_zero 0
		.amdhsa_exception_fp_ieee_overflow 0
		.amdhsa_exception_fp_ieee_underflow 0
		.amdhsa_exception_fp_ieee_inexact 0
		.amdhsa_exception_int_div_zero 0
	.end_amdhsa_kernel
	.section	.text._ZN7rocprim17ROCPRIM_400000_NS6detail17trampoline_kernelINS0_14default_configENS1_38merge_sort_block_merge_config_selectorIlNS0_10empty_typeEEEZZNS1_27merge_sort_block_merge_implIS3_PlPS5_mZN2at6native12_GLOBAL__N_124unique_dim_cuda_templateIsEESt5tupleIJNSA_6TensorESF_SF_EERKSF_lbbbEUlllE_EE10hipError_tT0_T1_T2_jT3_P12ihipStream_tbPNSt15iterator_traitsISL_E10value_typeEPNSR_ISM_E10value_typeEPSN_NS1_7vsmem_tEENKUlT_SL_SM_SN_E_clIS8_S8_S9_S9_EESK_S10_SL_SM_SN_EUlS10_E_NS1_11comp_targetILNS1_3genE9ELNS1_11target_archE1100ELNS1_3gpuE3ELNS1_3repE0EEENS1_48merge_mergepath_partition_config_static_selectorELNS0_4arch9wavefront6targetE1EEEvSM_,"axG",@progbits,_ZN7rocprim17ROCPRIM_400000_NS6detail17trampoline_kernelINS0_14default_configENS1_38merge_sort_block_merge_config_selectorIlNS0_10empty_typeEEEZZNS1_27merge_sort_block_merge_implIS3_PlPS5_mZN2at6native12_GLOBAL__N_124unique_dim_cuda_templateIsEESt5tupleIJNSA_6TensorESF_SF_EERKSF_lbbbEUlllE_EE10hipError_tT0_T1_T2_jT3_P12ihipStream_tbPNSt15iterator_traitsISL_E10value_typeEPNSR_ISM_E10value_typeEPSN_NS1_7vsmem_tEENKUlT_SL_SM_SN_E_clIS8_S8_S9_S9_EESK_S10_SL_SM_SN_EUlS10_E_NS1_11comp_targetILNS1_3genE9ELNS1_11target_archE1100ELNS1_3gpuE3ELNS1_3repE0EEENS1_48merge_mergepath_partition_config_static_selectorELNS0_4arch9wavefront6targetE1EEEvSM_,comdat
.Lfunc_end647:
	.size	_ZN7rocprim17ROCPRIM_400000_NS6detail17trampoline_kernelINS0_14default_configENS1_38merge_sort_block_merge_config_selectorIlNS0_10empty_typeEEEZZNS1_27merge_sort_block_merge_implIS3_PlPS5_mZN2at6native12_GLOBAL__N_124unique_dim_cuda_templateIsEESt5tupleIJNSA_6TensorESF_SF_EERKSF_lbbbEUlllE_EE10hipError_tT0_T1_T2_jT3_P12ihipStream_tbPNSt15iterator_traitsISL_E10value_typeEPNSR_ISM_E10value_typeEPSN_NS1_7vsmem_tEENKUlT_SL_SM_SN_E_clIS8_S8_S9_S9_EESK_S10_SL_SM_SN_EUlS10_E_NS1_11comp_targetILNS1_3genE9ELNS1_11target_archE1100ELNS1_3gpuE3ELNS1_3repE0EEENS1_48merge_mergepath_partition_config_static_selectorELNS0_4arch9wavefront6targetE1EEEvSM_, .Lfunc_end647-_ZN7rocprim17ROCPRIM_400000_NS6detail17trampoline_kernelINS0_14default_configENS1_38merge_sort_block_merge_config_selectorIlNS0_10empty_typeEEEZZNS1_27merge_sort_block_merge_implIS3_PlPS5_mZN2at6native12_GLOBAL__N_124unique_dim_cuda_templateIsEESt5tupleIJNSA_6TensorESF_SF_EERKSF_lbbbEUlllE_EE10hipError_tT0_T1_T2_jT3_P12ihipStream_tbPNSt15iterator_traitsISL_E10value_typeEPNSR_ISM_E10value_typeEPSN_NS1_7vsmem_tEENKUlT_SL_SM_SN_E_clIS8_S8_S9_S9_EESK_S10_SL_SM_SN_EUlS10_E_NS1_11comp_targetILNS1_3genE9ELNS1_11target_archE1100ELNS1_3gpuE3ELNS1_3repE0EEENS1_48merge_mergepath_partition_config_static_selectorELNS0_4arch9wavefront6targetE1EEEvSM_
                                        ; -- End function
	.section	.AMDGPU.csdata,"",@progbits
; Kernel info:
; codeLenInByte = 0
; NumSgprs: 6
; NumVgprs: 0
; NumAgprs: 0
; TotalNumVgprs: 0
; ScratchSize: 0
; MemoryBound: 0
; FloatMode: 240
; IeeeMode: 1
; LDSByteSize: 0 bytes/workgroup (compile time only)
; SGPRBlocks: 0
; VGPRBlocks: 0
; NumSGPRsForWavesPerEU: 6
; NumVGPRsForWavesPerEU: 1
; AccumOffset: 4
; Occupancy: 8
; WaveLimiterHint : 0
; COMPUTE_PGM_RSRC2:SCRATCH_EN: 0
; COMPUTE_PGM_RSRC2:USER_SGPR: 2
; COMPUTE_PGM_RSRC2:TRAP_HANDLER: 0
; COMPUTE_PGM_RSRC2:TGID_X_EN: 1
; COMPUTE_PGM_RSRC2:TGID_Y_EN: 0
; COMPUTE_PGM_RSRC2:TGID_Z_EN: 0
; COMPUTE_PGM_RSRC2:TIDIG_COMP_CNT: 0
; COMPUTE_PGM_RSRC3_GFX90A:ACCUM_OFFSET: 0
; COMPUTE_PGM_RSRC3_GFX90A:TG_SPLIT: 0
	.section	.text._ZN7rocprim17ROCPRIM_400000_NS6detail17trampoline_kernelINS0_14default_configENS1_38merge_sort_block_merge_config_selectorIlNS0_10empty_typeEEEZZNS1_27merge_sort_block_merge_implIS3_PlPS5_mZN2at6native12_GLOBAL__N_124unique_dim_cuda_templateIsEESt5tupleIJNSA_6TensorESF_SF_EERKSF_lbbbEUlllE_EE10hipError_tT0_T1_T2_jT3_P12ihipStream_tbPNSt15iterator_traitsISL_E10value_typeEPNSR_ISM_E10value_typeEPSN_NS1_7vsmem_tEENKUlT_SL_SM_SN_E_clIS8_S8_S9_S9_EESK_S10_SL_SM_SN_EUlS10_E_NS1_11comp_targetILNS1_3genE8ELNS1_11target_archE1030ELNS1_3gpuE2ELNS1_3repE0EEENS1_48merge_mergepath_partition_config_static_selectorELNS0_4arch9wavefront6targetE1EEEvSM_,"axG",@progbits,_ZN7rocprim17ROCPRIM_400000_NS6detail17trampoline_kernelINS0_14default_configENS1_38merge_sort_block_merge_config_selectorIlNS0_10empty_typeEEEZZNS1_27merge_sort_block_merge_implIS3_PlPS5_mZN2at6native12_GLOBAL__N_124unique_dim_cuda_templateIsEESt5tupleIJNSA_6TensorESF_SF_EERKSF_lbbbEUlllE_EE10hipError_tT0_T1_T2_jT3_P12ihipStream_tbPNSt15iterator_traitsISL_E10value_typeEPNSR_ISM_E10value_typeEPSN_NS1_7vsmem_tEENKUlT_SL_SM_SN_E_clIS8_S8_S9_S9_EESK_S10_SL_SM_SN_EUlS10_E_NS1_11comp_targetILNS1_3genE8ELNS1_11target_archE1030ELNS1_3gpuE2ELNS1_3repE0EEENS1_48merge_mergepath_partition_config_static_selectorELNS0_4arch9wavefront6targetE1EEEvSM_,comdat
	.globl	_ZN7rocprim17ROCPRIM_400000_NS6detail17trampoline_kernelINS0_14default_configENS1_38merge_sort_block_merge_config_selectorIlNS0_10empty_typeEEEZZNS1_27merge_sort_block_merge_implIS3_PlPS5_mZN2at6native12_GLOBAL__N_124unique_dim_cuda_templateIsEESt5tupleIJNSA_6TensorESF_SF_EERKSF_lbbbEUlllE_EE10hipError_tT0_T1_T2_jT3_P12ihipStream_tbPNSt15iterator_traitsISL_E10value_typeEPNSR_ISM_E10value_typeEPSN_NS1_7vsmem_tEENKUlT_SL_SM_SN_E_clIS8_S8_S9_S9_EESK_S10_SL_SM_SN_EUlS10_E_NS1_11comp_targetILNS1_3genE8ELNS1_11target_archE1030ELNS1_3gpuE2ELNS1_3repE0EEENS1_48merge_mergepath_partition_config_static_selectorELNS0_4arch9wavefront6targetE1EEEvSM_ ; -- Begin function _ZN7rocprim17ROCPRIM_400000_NS6detail17trampoline_kernelINS0_14default_configENS1_38merge_sort_block_merge_config_selectorIlNS0_10empty_typeEEEZZNS1_27merge_sort_block_merge_implIS3_PlPS5_mZN2at6native12_GLOBAL__N_124unique_dim_cuda_templateIsEESt5tupleIJNSA_6TensorESF_SF_EERKSF_lbbbEUlllE_EE10hipError_tT0_T1_T2_jT3_P12ihipStream_tbPNSt15iterator_traitsISL_E10value_typeEPNSR_ISM_E10value_typeEPSN_NS1_7vsmem_tEENKUlT_SL_SM_SN_E_clIS8_S8_S9_S9_EESK_S10_SL_SM_SN_EUlS10_E_NS1_11comp_targetILNS1_3genE8ELNS1_11target_archE1030ELNS1_3gpuE2ELNS1_3repE0EEENS1_48merge_mergepath_partition_config_static_selectorELNS0_4arch9wavefront6targetE1EEEvSM_
	.p2align	8
	.type	_ZN7rocprim17ROCPRIM_400000_NS6detail17trampoline_kernelINS0_14default_configENS1_38merge_sort_block_merge_config_selectorIlNS0_10empty_typeEEEZZNS1_27merge_sort_block_merge_implIS3_PlPS5_mZN2at6native12_GLOBAL__N_124unique_dim_cuda_templateIsEESt5tupleIJNSA_6TensorESF_SF_EERKSF_lbbbEUlllE_EE10hipError_tT0_T1_T2_jT3_P12ihipStream_tbPNSt15iterator_traitsISL_E10value_typeEPNSR_ISM_E10value_typeEPSN_NS1_7vsmem_tEENKUlT_SL_SM_SN_E_clIS8_S8_S9_S9_EESK_S10_SL_SM_SN_EUlS10_E_NS1_11comp_targetILNS1_3genE8ELNS1_11target_archE1030ELNS1_3gpuE2ELNS1_3repE0EEENS1_48merge_mergepath_partition_config_static_selectorELNS0_4arch9wavefront6targetE1EEEvSM_,@function
_ZN7rocprim17ROCPRIM_400000_NS6detail17trampoline_kernelINS0_14default_configENS1_38merge_sort_block_merge_config_selectorIlNS0_10empty_typeEEEZZNS1_27merge_sort_block_merge_implIS3_PlPS5_mZN2at6native12_GLOBAL__N_124unique_dim_cuda_templateIsEESt5tupleIJNSA_6TensorESF_SF_EERKSF_lbbbEUlllE_EE10hipError_tT0_T1_T2_jT3_P12ihipStream_tbPNSt15iterator_traitsISL_E10value_typeEPNSR_ISM_E10value_typeEPSN_NS1_7vsmem_tEENKUlT_SL_SM_SN_E_clIS8_S8_S9_S9_EESK_S10_SL_SM_SN_EUlS10_E_NS1_11comp_targetILNS1_3genE8ELNS1_11target_archE1030ELNS1_3gpuE2ELNS1_3repE0EEENS1_48merge_mergepath_partition_config_static_selectorELNS0_4arch9wavefront6targetE1EEEvSM_: ; @_ZN7rocprim17ROCPRIM_400000_NS6detail17trampoline_kernelINS0_14default_configENS1_38merge_sort_block_merge_config_selectorIlNS0_10empty_typeEEEZZNS1_27merge_sort_block_merge_implIS3_PlPS5_mZN2at6native12_GLOBAL__N_124unique_dim_cuda_templateIsEESt5tupleIJNSA_6TensorESF_SF_EERKSF_lbbbEUlllE_EE10hipError_tT0_T1_T2_jT3_P12ihipStream_tbPNSt15iterator_traitsISL_E10value_typeEPNSR_ISM_E10value_typeEPSN_NS1_7vsmem_tEENKUlT_SL_SM_SN_E_clIS8_S8_S9_S9_EESK_S10_SL_SM_SN_EUlS10_E_NS1_11comp_targetILNS1_3genE8ELNS1_11target_archE1030ELNS1_3gpuE2ELNS1_3repE0EEENS1_48merge_mergepath_partition_config_static_selectorELNS0_4arch9wavefront6targetE1EEEvSM_
; %bb.0:
	.section	.rodata,"a",@progbits
	.p2align	6, 0x0
	.amdhsa_kernel _ZN7rocprim17ROCPRIM_400000_NS6detail17trampoline_kernelINS0_14default_configENS1_38merge_sort_block_merge_config_selectorIlNS0_10empty_typeEEEZZNS1_27merge_sort_block_merge_implIS3_PlPS5_mZN2at6native12_GLOBAL__N_124unique_dim_cuda_templateIsEESt5tupleIJNSA_6TensorESF_SF_EERKSF_lbbbEUlllE_EE10hipError_tT0_T1_T2_jT3_P12ihipStream_tbPNSt15iterator_traitsISL_E10value_typeEPNSR_ISM_E10value_typeEPSN_NS1_7vsmem_tEENKUlT_SL_SM_SN_E_clIS8_S8_S9_S9_EESK_S10_SL_SM_SN_EUlS10_E_NS1_11comp_targetILNS1_3genE8ELNS1_11target_archE1030ELNS1_3gpuE2ELNS1_3repE0EEENS1_48merge_mergepath_partition_config_static_selectorELNS0_4arch9wavefront6targetE1EEEvSM_
		.amdhsa_group_segment_fixed_size 0
		.amdhsa_private_segment_fixed_size 0
		.amdhsa_kernarg_size 56
		.amdhsa_user_sgpr_count 2
		.amdhsa_user_sgpr_dispatch_ptr 0
		.amdhsa_user_sgpr_queue_ptr 0
		.amdhsa_user_sgpr_kernarg_segment_ptr 1
		.amdhsa_user_sgpr_dispatch_id 0
		.amdhsa_user_sgpr_kernarg_preload_length 0
		.amdhsa_user_sgpr_kernarg_preload_offset 0
		.amdhsa_user_sgpr_private_segment_size 0
		.amdhsa_uses_dynamic_stack 0
		.amdhsa_enable_private_segment 0
		.amdhsa_system_sgpr_workgroup_id_x 1
		.amdhsa_system_sgpr_workgroup_id_y 0
		.amdhsa_system_sgpr_workgroup_id_z 0
		.amdhsa_system_sgpr_workgroup_info 0
		.amdhsa_system_vgpr_workitem_id 0
		.amdhsa_next_free_vgpr 1
		.amdhsa_next_free_sgpr 0
		.amdhsa_accum_offset 4
		.amdhsa_reserve_vcc 0
		.amdhsa_float_round_mode_32 0
		.amdhsa_float_round_mode_16_64 0
		.amdhsa_float_denorm_mode_32 3
		.amdhsa_float_denorm_mode_16_64 3
		.amdhsa_dx10_clamp 1
		.amdhsa_ieee_mode 1
		.amdhsa_fp16_overflow 0
		.amdhsa_tg_split 0
		.amdhsa_exception_fp_ieee_invalid_op 0
		.amdhsa_exception_fp_denorm_src 0
		.amdhsa_exception_fp_ieee_div_zero 0
		.amdhsa_exception_fp_ieee_overflow 0
		.amdhsa_exception_fp_ieee_underflow 0
		.amdhsa_exception_fp_ieee_inexact 0
		.amdhsa_exception_int_div_zero 0
	.end_amdhsa_kernel
	.section	.text._ZN7rocprim17ROCPRIM_400000_NS6detail17trampoline_kernelINS0_14default_configENS1_38merge_sort_block_merge_config_selectorIlNS0_10empty_typeEEEZZNS1_27merge_sort_block_merge_implIS3_PlPS5_mZN2at6native12_GLOBAL__N_124unique_dim_cuda_templateIsEESt5tupleIJNSA_6TensorESF_SF_EERKSF_lbbbEUlllE_EE10hipError_tT0_T1_T2_jT3_P12ihipStream_tbPNSt15iterator_traitsISL_E10value_typeEPNSR_ISM_E10value_typeEPSN_NS1_7vsmem_tEENKUlT_SL_SM_SN_E_clIS8_S8_S9_S9_EESK_S10_SL_SM_SN_EUlS10_E_NS1_11comp_targetILNS1_3genE8ELNS1_11target_archE1030ELNS1_3gpuE2ELNS1_3repE0EEENS1_48merge_mergepath_partition_config_static_selectorELNS0_4arch9wavefront6targetE1EEEvSM_,"axG",@progbits,_ZN7rocprim17ROCPRIM_400000_NS6detail17trampoline_kernelINS0_14default_configENS1_38merge_sort_block_merge_config_selectorIlNS0_10empty_typeEEEZZNS1_27merge_sort_block_merge_implIS3_PlPS5_mZN2at6native12_GLOBAL__N_124unique_dim_cuda_templateIsEESt5tupleIJNSA_6TensorESF_SF_EERKSF_lbbbEUlllE_EE10hipError_tT0_T1_T2_jT3_P12ihipStream_tbPNSt15iterator_traitsISL_E10value_typeEPNSR_ISM_E10value_typeEPSN_NS1_7vsmem_tEENKUlT_SL_SM_SN_E_clIS8_S8_S9_S9_EESK_S10_SL_SM_SN_EUlS10_E_NS1_11comp_targetILNS1_3genE8ELNS1_11target_archE1030ELNS1_3gpuE2ELNS1_3repE0EEENS1_48merge_mergepath_partition_config_static_selectorELNS0_4arch9wavefront6targetE1EEEvSM_,comdat
.Lfunc_end648:
	.size	_ZN7rocprim17ROCPRIM_400000_NS6detail17trampoline_kernelINS0_14default_configENS1_38merge_sort_block_merge_config_selectorIlNS0_10empty_typeEEEZZNS1_27merge_sort_block_merge_implIS3_PlPS5_mZN2at6native12_GLOBAL__N_124unique_dim_cuda_templateIsEESt5tupleIJNSA_6TensorESF_SF_EERKSF_lbbbEUlllE_EE10hipError_tT0_T1_T2_jT3_P12ihipStream_tbPNSt15iterator_traitsISL_E10value_typeEPNSR_ISM_E10value_typeEPSN_NS1_7vsmem_tEENKUlT_SL_SM_SN_E_clIS8_S8_S9_S9_EESK_S10_SL_SM_SN_EUlS10_E_NS1_11comp_targetILNS1_3genE8ELNS1_11target_archE1030ELNS1_3gpuE2ELNS1_3repE0EEENS1_48merge_mergepath_partition_config_static_selectorELNS0_4arch9wavefront6targetE1EEEvSM_, .Lfunc_end648-_ZN7rocprim17ROCPRIM_400000_NS6detail17trampoline_kernelINS0_14default_configENS1_38merge_sort_block_merge_config_selectorIlNS0_10empty_typeEEEZZNS1_27merge_sort_block_merge_implIS3_PlPS5_mZN2at6native12_GLOBAL__N_124unique_dim_cuda_templateIsEESt5tupleIJNSA_6TensorESF_SF_EERKSF_lbbbEUlllE_EE10hipError_tT0_T1_T2_jT3_P12ihipStream_tbPNSt15iterator_traitsISL_E10value_typeEPNSR_ISM_E10value_typeEPSN_NS1_7vsmem_tEENKUlT_SL_SM_SN_E_clIS8_S8_S9_S9_EESK_S10_SL_SM_SN_EUlS10_E_NS1_11comp_targetILNS1_3genE8ELNS1_11target_archE1030ELNS1_3gpuE2ELNS1_3repE0EEENS1_48merge_mergepath_partition_config_static_selectorELNS0_4arch9wavefront6targetE1EEEvSM_
                                        ; -- End function
	.section	.AMDGPU.csdata,"",@progbits
; Kernel info:
; codeLenInByte = 0
; NumSgprs: 6
; NumVgprs: 0
; NumAgprs: 0
; TotalNumVgprs: 0
; ScratchSize: 0
; MemoryBound: 0
; FloatMode: 240
; IeeeMode: 1
; LDSByteSize: 0 bytes/workgroup (compile time only)
; SGPRBlocks: 0
; VGPRBlocks: 0
; NumSGPRsForWavesPerEU: 6
; NumVGPRsForWavesPerEU: 1
; AccumOffset: 4
; Occupancy: 8
; WaveLimiterHint : 0
; COMPUTE_PGM_RSRC2:SCRATCH_EN: 0
; COMPUTE_PGM_RSRC2:USER_SGPR: 2
; COMPUTE_PGM_RSRC2:TRAP_HANDLER: 0
; COMPUTE_PGM_RSRC2:TGID_X_EN: 1
; COMPUTE_PGM_RSRC2:TGID_Y_EN: 0
; COMPUTE_PGM_RSRC2:TGID_Z_EN: 0
; COMPUTE_PGM_RSRC2:TIDIG_COMP_CNT: 0
; COMPUTE_PGM_RSRC3_GFX90A:ACCUM_OFFSET: 0
; COMPUTE_PGM_RSRC3_GFX90A:TG_SPLIT: 0
	.section	.text._ZN7rocprim17ROCPRIM_400000_NS6detail17trampoline_kernelINS0_14default_configENS1_38merge_sort_block_merge_config_selectorIlNS0_10empty_typeEEEZZNS1_27merge_sort_block_merge_implIS3_PlPS5_mZN2at6native12_GLOBAL__N_124unique_dim_cuda_templateIsEESt5tupleIJNSA_6TensorESF_SF_EERKSF_lbbbEUlllE_EE10hipError_tT0_T1_T2_jT3_P12ihipStream_tbPNSt15iterator_traitsISL_E10value_typeEPNSR_ISM_E10value_typeEPSN_NS1_7vsmem_tEENKUlT_SL_SM_SN_E_clIS8_S8_S9_S9_EESK_S10_SL_SM_SN_EUlS10_E0_NS1_11comp_targetILNS1_3genE0ELNS1_11target_archE4294967295ELNS1_3gpuE0ELNS1_3repE0EEENS1_38merge_mergepath_config_static_selectorELNS0_4arch9wavefront6targetE1EEEvSM_,"axG",@progbits,_ZN7rocprim17ROCPRIM_400000_NS6detail17trampoline_kernelINS0_14default_configENS1_38merge_sort_block_merge_config_selectorIlNS0_10empty_typeEEEZZNS1_27merge_sort_block_merge_implIS3_PlPS5_mZN2at6native12_GLOBAL__N_124unique_dim_cuda_templateIsEESt5tupleIJNSA_6TensorESF_SF_EERKSF_lbbbEUlllE_EE10hipError_tT0_T1_T2_jT3_P12ihipStream_tbPNSt15iterator_traitsISL_E10value_typeEPNSR_ISM_E10value_typeEPSN_NS1_7vsmem_tEENKUlT_SL_SM_SN_E_clIS8_S8_S9_S9_EESK_S10_SL_SM_SN_EUlS10_E0_NS1_11comp_targetILNS1_3genE0ELNS1_11target_archE4294967295ELNS1_3gpuE0ELNS1_3repE0EEENS1_38merge_mergepath_config_static_selectorELNS0_4arch9wavefront6targetE1EEEvSM_,comdat
	.globl	_ZN7rocprim17ROCPRIM_400000_NS6detail17trampoline_kernelINS0_14default_configENS1_38merge_sort_block_merge_config_selectorIlNS0_10empty_typeEEEZZNS1_27merge_sort_block_merge_implIS3_PlPS5_mZN2at6native12_GLOBAL__N_124unique_dim_cuda_templateIsEESt5tupleIJNSA_6TensorESF_SF_EERKSF_lbbbEUlllE_EE10hipError_tT0_T1_T2_jT3_P12ihipStream_tbPNSt15iterator_traitsISL_E10value_typeEPNSR_ISM_E10value_typeEPSN_NS1_7vsmem_tEENKUlT_SL_SM_SN_E_clIS8_S8_S9_S9_EESK_S10_SL_SM_SN_EUlS10_E0_NS1_11comp_targetILNS1_3genE0ELNS1_11target_archE4294967295ELNS1_3gpuE0ELNS1_3repE0EEENS1_38merge_mergepath_config_static_selectorELNS0_4arch9wavefront6targetE1EEEvSM_ ; -- Begin function _ZN7rocprim17ROCPRIM_400000_NS6detail17trampoline_kernelINS0_14default_configENS1_38merge_sort_block_merge_config_selectorIlNS0_10empty_typeEEEZZNS1_27merge_sort_block_merge_implIS3_PlPS5_mZN2at6native12_GLOBAL__N_124unique_dim_cuda_templateIsEESt5tupleIJNSA_6TensorESF_SF_EERKSF_lbbbEUlllE_EE10hipError_tT0_T1_T2_jT3_P12ihipStream_tbPNSt15iterator_traitsISL_E10value_typeEPNSR_ISM_E10value_typeEPSN_NS1_7vsmem_tEENKUlT_SL_SM_SN_E_clIS8_S8_S9_S9_EESK_S10_SL_SM_SN_EUlS10_E0_NS1_11comp_targetILNS1_3genE0ELNS1_11target_archE4294967295ELNS1_3gpuE0ELNS1_3repE0EEENS1_38merge_mergepath_config_static_selectorELNS0_4arch9wavefront6targetE1EEEvSM_
	.p2align	8
	.type	_ZN7rocprim17ROCPRIM_400000_NS6detail17trampoline_kernelINS0_14default_configENS1_38merge_sort_block_merge_config_selectorIlNS0_10empty_typeEEEZZNS1_27merge_sort_block_merge_implIS3_PlPS5_mZN2at6native12_GLOBAL__N_124unique_dim_cuda_templateIsEESt5tupleIJNSA_6TensorESF_SF_EERKSF_lbbbEUlllE_EE10hipError_tT0_T1_T2_jT3_P12ihipStream_tbPNSt15iterator_traitsISL_E10value_typeEPNSR_ISM_E10value_typeEPSN_NS1_7vsmem_tEENKUlT_SL_SM_SN_E_clIS8_S8_S9_S9_EESK_S10_SL_SM_SN_EUlS10_E0_NS1_11comp_targetILNS1_3genE0ELNS1_11target_archE4294967295ELNS1_3gpuE0ELNS1_3repE0EEENS1_38merge_mergepath_config_static_selectorELNS0_4arch9wavefront6targetE1EEEvSM_,@function
_ZN7rocprim17ROCPRIM_400000_NS6detail17trampoline_kernelINS0_14default_configENS1_38merge_sort_block_merge_config_selectorIlNS0_10empty_typeEEEZZNS1_27merge_sort_block_merge_implIS3_PlPS5_mZN2at6native12_GLOBAL__N_124unique_dim_cuda_templateIsEESt5tupleIJNSA_6TensorESF_SF_EERKSF_lbbbEUlllE_EE10hipError_tT0_T1_T2_jT3_P12ihipStream_tbPNSt15iterator_traitsISL_E10value_typeEPNSR_ISM_E10value_typeEPSN_NS1_7vsmem_tEENKUlT_SL_SM_SN_E_clIS8_S8_S9_S9_EESK_S10_SL_SM_SN_EUlS10_E0_NS1_11comp_targetILNS1_3genE0ELNS1_11target_archE4294967295ELNS1_3gpuE0ELNS1_3repE0EEENS1_38merge_mergepath_config_static_selectorELNS0_4arch9wavefront6targetE1EEEvSM_: ; @_ZN7rocprim17ROCPRIM_400000_NS6detail17trampoline_kernelINS0_14default_configENS1_38merge_sort_block_merge_config_selectorIlNS0_10empty_typeEEEZZNS1_27merge_sort_block_merge_implIS3_PlPS5_mZN2at6native12_GLOBAL__N_124unique_dim_cuda_templateIsEESt5tupleIJNSA_6TensorESF_SF_EERKSF_lbbbEUlllE_EE10hipError_tT0_T1_T2_jT3_P12ihipStream_tbPNSt15iterator_traitsISL_E10value_typeEPNSR_ISM_E10value_typeEPSN_NS1_7vsmem_tEENKUlT_SL_SM_SN_E_clIS8_S8_S9_S9_EESK_S10_SL_SM_SN_EUlS10_E0_NS1_11comp_targetILNS1_3genE0ELNS1_11target_archE4294967295ELNS1_3gpuE0ELNS1_3repE0EEENS1_38merge_mergepath_config_static_selectorELNS0_4arch9wavefront6targetE1EEEvSM_
; %bb.0:
	.section	.rodata,"a",@progbits
	.p2align	6, 0x0
	.amdhsa_kernel _ZN7rocprim17ROCPRIM_400000_NS6detail17trampoline_kernelINS0_14default_configENS1_38merge_sort_block_merge_config_selectorIlNS0_10empty_typeEEEZZNS1_27merge_sort_block_merge_implIS3_PlPS5_mZN2at6native12_GLOBAL__N_124unique_dim_cuda_templateIsEESt5tupleIJNSA_6TensorESF_SF_EERKSF_lbbbEUlllE_EE10hipError_tT0_T1_T2_jT3_P12ihipStream_tbPNSt15iterator_traitsISL_E10value_typeEPNSR_ISM_E10value_typeEPSN_NS1_7vsmem_tEENKUlT_SL_SM_SN_E_clIS8_S8_S9_S9_EESK_S10_SL_SM_SN_EUlS10_E0_NS1_11comp_targetILNS1_3genE0ELNS1_11target_archE4294967295ELNS1_3gpuE0ELNS1_3repE0EEENS1_38merge_mergepath_config_static_selectorELNS0_4arch9wavefront6targetE1EEEvSM_
		.amdhsa_group_segment_fixed_size 0
		.amdhsa_private_segment_fixed_size 0
		.amdhsa_kernarg_size 88
		.amdhsa_user_sgpr_count 2
		.amdhsa_user_sgpr_dispatch_ptr 0
		.amdhsa_user_sgpr_queue_ptr 0
		.amdhsa_user_sgpr_kernarg_segment_ptr 1
		.amdhsa_user_sgpr_dispatch_id 0
		.amdhsa_user_sgpr_kernarg_preload_length 0
		.amdhsa_user_sgpr_kernarg_preload_offset 0
		.amdhsa_user_sgpr_private_segment_size 0
		.amdhsa_uses_dynamic_stack 0
		.amdhsa_enable_private_segment 0
		.amdhsa_system_sgpr_workgroup_id_x 1
		.amdhsa_system_sgpr_workgroup_id_y 0
		.amdhsa_system_sgpr_workgroup_id_z 0
		.amdhsa_system_sgpr_workgroup_info 0
		.amdhsa_system_vgpr_workitem_id 0
		.amdhsa_next_free_vgpr 1
		.amdhsa_next_free_sgpr 0
		.amdhsa_accum_offset 4
		.amdhsa_reserve_vcc 0
		.amdhsa_float_round_mode_32 0
		.amdhsa_float_round_mode_16_64 0
		.amdhsa_float_denorm_mode_32 3
		.amdhsa_float_denorm_mode_16_64 3
		.amdhsa_dx10_clamp 1
		.amdhsa_ieee_mode 1
		.amdhsa_fp16_overflow 0
		.amdhsa_tg_split 0
		.amdhsa_exception_fp_ieee_invalid_op 0
		.amdhsa_exception_fp_denorm_src 0
		.amdhsa_exception_fp_ieee_div_zero 0
		.amdhsa_exception_fp_ieee_overflow 0
		.amdhsa_exception_fp_ieee_underflow 0
		.amdhsa_exception_fp_ieee_inexact 0
		.amdhsa_exception_int_div_zero 0
	.end_amdhsa_kernel
	.section	.text._ZN7rocprim17ROCPRIM_400000_NS6detail17trampoline_kernelINS0_14default_configENS1_38merge_sort_block_merge_config_selectorIlNS0_10empty_typeEEEZZNS1_27merge_sort_block_merge_implIS3_PlPS5_mZN2at6native12_GLOBAL__N_124unique_dim_cuda_templateIsEESt5tupleIJNSA_6TensorESF_SF_EERKSF_lbbbEUlllE_EE10hipError_tT0_T1_T2_jT3_P12ihipStream_tbPNSt15iterator_traitsISL_E10value_typeEPNSR_ISM_E10value_typeEPSN_NS1_7vsmem_tEENKUlT_SL_SM_SN_E_clIS8_S8_S9_S9_EESK_S10_SL_SM_SN_EUlS10_E0_NS1_11comp_targetILNS1_3genE0ELNS1_11target_archE4294967295ELNS1_3gpuE0ELNS1_3repE0EEENS1_38merge_mergepath_config_static_selectorELNS0_4arch9wavefront6targetE1EEEvSM_,"axG",@progbits,_ZN7rocprim17ROCPRIM_400000_NS6detail17trampoline_kernelINS0_14default_configENS1_38merge_sort_block_merge_config_selectorIlNS0_10empty_typeEEEZZNS1_27merge_sort_block_merge_implIS3_PlPS5_mZN2at6native12_GLOBAL__N_124unique_dim_cuda_templateIsEESt5tupleIJNSA_6TensorESF_SF_EERKSF_lbbbEUlllE_EE10hipError_tT0_T1_T2_jT3_P12ihipStream_tbPNSt15iterator_traitsISL_E10value_typeEPNSR_ISM_E10value_typeEPSN_NS1_7vsmem_tEENKUlT_SL_SM_SN_E_clIS8_S8_S9_S9_EESK_S10_SL_SM_SN_EUlS10_E0_NS1_11comp_targetILNS1_3genE0ELNS1_11target_archE4294967295ELNS1_3gpuE0ELNS1_3repE0EEENS1_38merge_mergepath_config_static_selectorELNS0_4arch9wavefront6targetE1EEEvSM_,comdat
.Lfunc_end649:
	.size	_ZN7rocprim17ROCPRIM_400000_NS6detail17trampoline_kernelINS0_14default_configENS1_38merge_sort_block_merge_config_selectorIlNS0_10empty_typeEEEZZNS1_27merge_sort_block_merge_implIS3_PlPS5_mZN2at6native12_GLOBAL__N_124unique_dim_cuda_templateIsEESt5tupleIJNSA_6TensorESF_SF_EERKSF_lbbbEUlllE_EE10hipError_tT0_T1_T2_jT3_P12ihipStream_tbPNSt15iterator_traitsISL_E10value_typeEPNSR_ISM_E10value_typeEPSN_NS1_7vsmem_tEENKUlT_SL_SM_SN_E_clIS8_S8_S9_S9_EESK_S10_SL_SM_SN_EUlS10_E0_NS1_11comp_targetILNS1_3genE0ELNS1_11target_archE4294967295ELNS1_3gpuE0ELNS1_3repE0EEENS1_38merge_mergepath_config_static_selectorELNS0_4arch9wavefront6targetE1EEEvSM_, .Lfunc_end649-_ZN7rocprim17ROCPRIM_400000_NS6detail17trampoline_kernelINS0_14default_configENS1_38merge_sort_block_merge_config_selectorIlNS0_10empty_typeEEEZZNS1_27merge_sort_block_merge_implIS3_PlPS5_mZN2at6native12_GLOBAL__N_124unique_dim_cuda_templateIsEESt5tupleIJNSA_6TensorESF_SF_EERKSF_lbbbEUlllE_EE10hipError_tT0_T1_T2_jT3_P12ihipStream_tbPNSt15iterator_traitsISL_E10value_typeEPNSR_ISM_E10value_typeEPSN_NS1_7vsmem_tEENKUlT_SL_SM_SN_E_clIS8_S8_S9_S9_EESK_S10_SL_SM_SN_EUlS10_E0_NS1_11comp_targetILNS1_3genE0ELNS1_11target_archE4294967295ELNS1_3gpuE0ELNS1_3repE0EEENS1_38merge_mergepath_config_static_selectorELNS0_4arch9wavefront6targetE1EEEvSM_
                                        ; -- End function
	.section	.AMDGPU.csdata,"",@progbits
; Kernel info:
; codeLenInByte = 0
; NumSgprs: 6
; NumVgprs: 0
; NumAgprs: 0
; TotalNumVgprs: 0
; ScratchSize: 0
; MemoryBound: 0
; FloatMode: 240
; IeeeMode: 1
; LDSByteSize: 0 bytes/workgroup (compile time only)
; SGPRBlocks: 0
; VGPRBlocks: 0
; NumSGPRsForWavesPerEU: 6
; NumVGPRsForWavesPerEU: 1
; AccumOffset: 4
; Occupancy: 8
; WaveLimiterHint : 0
; COMPUTE_PGM_RSRC2:SCRATCH_EN: 0
; COMPUTE_PGM_RSRC2:USER_SGPR: 2
; COMPUTE_PGM_RSRC2:TRAP_HANDLER: 0
; COMPUTE_PGM_RSRC2:TGID_X_EN: 1
; COMPUTE_PGM_RSRC2:TGID_Y_EN: 0
; COMPUTE_PGM_RSRC2:TGID_Z_EN: 0
; COMPUTE_PGM_RSRC2:TIDIG_COMP_CNT: 0
; COMPUTE_PGM_RSRC3_GFX90A:ACCUM_OFFSET: 0
; COMPUTE_PGM_RSRC3_GFX90A:TG_SPLIT: 0
	.section	.text._ZN7rocprim17ROCPRIM_400000_NS6detail17trampoline_kernelINS0_14default_configENS1_38merge_sort_block_merge_config_selectorIlNS0_10empty_typeEEEZZNS1_27merge_sort_block_merge_implIS3_PlPS5_mZN2at6native12_GLOBAL__N_124unique_dim_cuda_templateIsEESt5tupleIJNSA_6TensorESF_SF_EERKSF_lbbbEUlllE_EE10hipError_tT0_T1_T2_jT3_P12ihipStream_tbPNSt15iterator_traitsISL_E10value_typeEPNSR_ISM_E10value_typeEPSN_NS1_7vsmem_tEENKUlT_SL_SM_SN_E_clIS8_S8_S9_S9_EESK_S10_SL_SM_SN_EUlS10_E0_NS1_11comp_targetILNS1_3genE10ELNS1_11target_archE1201ELNS1_3gpuE5ELNS1_3repE0EEENS1_38merge_mergepath_config_static_selectorELNS0_4arch9wavefront6targetE1EEEvSM_,"axG",@progbits,_ZN7rocprim17ROCPRIM_400000_NS6detail17trampoline_kernelINS0_14default_configENS1_38merge_sort_block_merge_config_selectorIlNS0_10empty_typeEEEZZNS1_27merge_sort_block_merge_implIS3_PlPS5_mZN2at6native12_GLOBAL__N_124unique_dim_cuda_templateIsEESt5tupleIJNSA_6TensorESF_SF_EERKSF_lbbbEUlllE_EE10hipError_tT0_T1_T2_jT3_P12ihipStream_tbPNSt15iterator_traitsISL_E10value_typeEPNSR_ISM_E10value_typeEPSN_NS1_7vsmem_tEENKUlT_SL_SM_SN_E_clIS8_S8_S9_S9_EESK_S10_SL_SM_SN_EUlS10_E0_NS1_11comp_targetILNS1_3genE10ELNS1_11target_archE1201ELNS1_3gpuE5ELNS1_3repE0EEENS1_38merge_mergepath_config_static_selectorELNS0_4arch9wavefront6targetE1EEEvSM_,comdat
	.globl	_ZN7rocprim17ROCPRIM_400000_NS6detail17trampoline_kernelINS0_14default_configENS1_38merge_sort_block_merge_config_selectorIlNS0_10empty_typeEEEZZNS1_27merge_sort_block_merge_implIS3_PlPS5_mZN2at6native12_GLOBAL__N_124unique_dim_cuda_templateIsEESt5tupleIJNSA_6TensorESF_SF_EERKSF_lbbbEUlllE_EE10hipError_tT0_T1_T2_jT3_P12ihipStream_tbPNSt15iterator_traitsISL_E10value_typeEPNSR_ISM_E10value_typeEPSN_NS1_7vsmem_tEENKUlT_SL_SM_SN_E_clIS8_S8_S9_S9_EESK_S10_SL_SM_SN_EUlS10_E0_NS1_11comp_targetILNS1_3genE10ELNS1_11target_archE1201ELNS1_3gpuE5ELNS1_3repE0EEENS1_38merge_mergepath_config_static_selectorELNS0_4arch9wavefront6targetE1EEEvSM_ ; -- Begin function _ZN7rocprim17ROCPRIM_400000_NS6detail17trampoline_kernelINS0_14default_configENS1_38merge_sort_block_merge_config_selectorIlNS0_10empty_typeEEEZZNS1_27merge_sort_block_merge_implIS3_PlPS5_mZN2at6native12_GLOBAL__N_124unique_dim_cuda_templateIsEESt5tupleIJNSA_6TensorESF_SF_EERKSF_lbbbEUlllE_EE10hipError_tT0_T1_T2_jT3_P12ihipStream_tbPNSt15iterator_traitsISL_E10value_typeEPNSR_ISM_E10value_typeEPSN_NS1_7vsmem_tEENKUlT_SL_SM_SN_E_clIS8_S8_S9_S9_EESK_S10_SL_SM_SN_EUlS10_E0_NS1_11comp_targetILNS1_3genE10ELNS1_11target_archE1201ELNS1_3gpuE5ELNS1_3repE0EEENS1_38merge_mergepath_config_static_selectorELNS0_4arch9wavefront6targetE1EEEvSM_
	.p2align	8
	.type	_ZN7rocprim17ROCPRIM_400000_NS6detail17trampoline_kernelINS0_14default_configENS1_38merge_sort_block_merge_config_selectorIlNS0_10empty_typeEEEZZNS1_27merge_sort_block_merge_implIS3_PlPS5_mZN2at6native12_GLOBAL__N_124unique_dim_cuda_templateIsEESt5tupleIJNSA_6TensorESF_SF_EERKSF_lbbbEUlllE_EE10hipError_tT0_T1_T2_jT3_P12ihipStream_tbPNSt15iterator_traitsISL_E10value_typeEPNSR_ISM_E10value_typeEPSN_NS1_7vsmem_tEENKUlT_SL_SM_SN_E_clIS8_S8_S9_S9_EESK_S10_SL_SM_SN_EUlS10_E0_NS1_11comp_targetILNS1_3genE10ELNS1_11target_archE1201ELNS1_3gpuE5ELNS1_3repE0EEENS1_38merge_mergepath_config_static_selectorELNS0_4arch9wavefront6targetE1EEEvSM_,@function
_ZN7rocprim17ROCPRIM_400000_NS6detail17trampoline_kernelINS0_14default_configENS1_38merge_sort_block_merge_config_selectorIlNS0_10empty_typeEEEZZNS1_27merge_sort_block_merge_implIS3_PlPS5_mZN2at6native12_GLOBAL__N_124unique_dim_cuda_templateIsEESt5tupleIJNSA_6TensorESF_SF_EERKSF_lbbbEUlllE_EE10hipError_tT0_T1_T2_jT3_P12ihipStream_tbPNSt15iterator_traitsISL_E10value_typeEPNSR_ISM_E10value_typeEPSN_NS1_7vsmem_tEENKUlT_SL_SM_SN_E_clIS8_S8_S9_S9_EESK_S10_SL_SM_SN_EUlS10_E0_NS1_11comp_targetILNS1_3genE10ELNS1_11target_archE1201ELNS1_3gpuE5ELNS1_3repE0EEENS1_38merge_mergepath_config_static_selectorELNS0_4arch9wavefront6targetE1EEEvSM_: ; @_ZN7rocprim17ROCPRIM_400000_NS6detail17trampoline_kernelINS0_14default_configENS1_38merge_sort_block_merge_config_selectorIlNS0_10empty_typeEEEZZNS1_27merge_sort_block_merge_implIS3_PlPS5_mZN2at6native12_GLOBAL__N_124unique_dim_cuda_templateIsEESt5tupleIJNSA_6TensorESF_SF_EERKSF_lbbbEUlllE_EE10hipError_tT0_T1_T2_jT3_P12ihipStream_tbPNSt15iterator_traitsISL_E10value_typeEPNSR_ISM_E10value_typeEPSN_NS1_7vsmem_tEENKUlT_SL_SM_SN_E_clIS8_S8_S9_S9_EESK_S10_SL_SM_SN_EUlS10_E0_NS1_11comp_targetILNS1_3genE10ELNS1_11target_archE1201ELNS1_3gpuE5ELNS1_3repE0EEENS1_38merge_mergepath_config_static_selectorELNS0_4arch9wavefront6targetE1EEEvSM_
; %bb.0:
	.section	.rodata,"a",@progbits
	.p2align	6, 0x0
	.amdhsa_kernel _ZN7rocprim17ROCPRIM_400000_NS6detail17trampoline_kernelINS0_14default_configENS1_38merge_sort_block_merge_config_selectorIlNS0_10empty_typeEEEZZNS1_27merge_sort_block_merge_implIS3_PlPS5_mZN2at6native12_GLOBAL__N_124unique_dim_cuda_templateIsEESt5tupleIJNSA_6TensorESF_SF_EERKSF_lbbbEUlllE_EE10hipError_tT0_T1_T2_jT3_P12ihipStream_tbPNSt15iterator_traitsISL_E10value_typeEPNSR_ISM_E10value_typeEPSN_NS1_7vsmem_tEENKUlT_SL_SM_SN_E_clIS8_S8_S9_S9_EESK_S10_SL_SM_SN_EUlS10_E0_NS1_11comp_targetILNS1_3genE10ELNS1_11target_archE1201ELNS1_3gpuE5ELNS1_3repE0EEENS1_38merge_mergepath_config_static_selectorELNS0_4arch9wavefront6targetE1EEEvSM_
		.amdhsa_group_segment_fixed_size 0
		.amdhsa_private_segment_fixed_size 0
		.amdhsa_kernarg_size 88
		.amdhsa_user_sgpr_count 2
		.amdhsa_user_sgpr_dispatch_ptr 0
		.amdhsa_user_sgpr_queue_ptr 0
		.amdhsa_user_sgpr_kernarg_segment_ptr 1
		.amdhsa_user_sgpr_dispatch_id 0
		.amdhsa_user_sgpr_kernarg_preload_length 0
		.amdhsa_user_sgpr_kernarg_preload_offset 0
		.amdhsa_user_sgpr_private_segment_size 0
		.amdhsa_uses_dynamic_stack 0
		.amdhsa_enable_private_segment 0
		.amdhsa_system_sgpr_workgroup_id_x 1
		.amdhsa_system_sgpr_workgroup_id_y 0
		.amdhsa_system_sgpr_workgroup_id_z 0
		.amdhsa_system_sgpr_workgroup_info 0
		.amdhsa_system_vgpr_workitem_id 0
		.amdhsa_next_free_vgpr 1
		.amdhsa_next_free_sgpr 0
		.amdhsa_accum_offset 4
		.amdhsa_reserve_vcc 0
		.amdhsa_float_round_mode_32 0
		.amdhsa_float_round_mode_16_64 0
		.amdhsa_float_denorm_mode_32 3
		.amdhsa_float_denorm_mode_16_64 3
		.amdhsa_dx10_clamp 1
		.amdhsa_ieee_mode 1
		.amdhsa_fp16_overflow 0
		.amdhsa_tg_split 0
		.amdhsa_exception_fp_ieee_invalid_op 0
		.amdhsa_exception_fp_denorm_src 0
		.amdhsa_exception_fp_ieee_div_zero 0
		.amdhsa_exception_fp_ieee_overflow 0
		.amdhsa_exception_fp_ieee_underflow 0
		.amdhsa_exception_fp_ieee_inexact 0
		.amdhsa_exception_int_div_zero 0
	.end_amdhsa_kernel
	.section	.text._ZN7rocprim17ROCPRIM_400000_NS6detail17trampoline_kernelINS0_14default_configENS1_38merge_sort_block_merge_config_selectorIlNS0_10empty_typeEEEZZNS1_27merge_sort_block_merge_implIS3_PlPS5_mZN2at6native12_GLOBAL__N_124unique_dim_cuda_templateIsEESt5tupleIJNSA_6TensorESF_SF_EERKSF_lbbbEUlllE_EE10hipError_tT0_T1_T2_jT3_P12ihipStream_tbPNSt15iterator_traitsISL_E10value_typeEPNSR_ISM_E10value_typeEPSN_NS1_7vsmem_tEENKUlT_SL_SM_SN_E_clIS8_S8_S9_S9_EESK_S10_SL_SM_SN_EUlS10_E0_NS1_11comp_targetILNS1_3genE10ELNS1_11target_archE1201ELNS1_3gpuE5ELNS1_3repE0EEENS1_38merge_mergepath_config_static_selectorELNS0_4arch9wavefront6targetE1EEEvSM_,"axG",@progbits,_ZN7rocprim17ROCPRIM_400000_NS6detail17trampoline_kernelINS0_14default_configENS1_38merge_sort_block_merge_config_selectorIlNS0_10empty_typeEEEZZNS1_27merge_sort_block_merge_implIS3_PlPS5_mZN2at6native12_GLOBAL__N_124unique_dim_cuda_templateIsEESt5tupleIJNSA_6TensorESF_SF_EERKSF_lbbbEUlllE_EE10hipError_tT0_T1_T2_jT3_P12ihipStream_tbPNSt15iterator_traitsISL_E10value_typeEPNSR_ISM_E10value_typeEPSN_NS1_7vsmem_tEENKUlT_SL_SM_SN_E_clIS8_S8_S9_S9_EESK_S10_SL_SM_SN_EUlS10_E0_NS1_11comp_targetILNS1_3genE10ELNS1_11target_archE1201ELNS1_3gpuE5ELNS1_3repE0EEENS1_38merge_mergepath_config_static_selectorELNS0_4arch9wavefront6targetE1EEEvSM_,comdat
.Lfunc_end650:
	.size	_ZN7rocprim17ROCPRIM_400000_NS6detail17trampoline_kernelINS0_14default_configENS1_38merge_sort_block_merge_config_selectorIlNS0_10empty_typeEEEZZNS1_27merge_sort_block_merge_implIS3_PlPS5_mZN2at6native12_GLOBAL__N_124unique_dim_cuda_templateIsEESt5tupleIJNSA_6TensorESF_SF_EERKSF_lbbbEUlllE_EE10hipError_tT0_T1_T2_jT3_P12ihipStream_tbPNSt15iterator_traitsISL_E10value_typeEPNSR_ISM_E10value_typeEPSN_NS1_7vsmem_tEENKUlT_SL_SM_SN_E_clIS8_S8_S9_S9_EESK_S10_SL_SM_SN_EUlS10_E0_NS1_11comp_targetILNS1_3genE10ELNS1_11target_archE1201ELNS1_3gpuE5ELNS1_3repE0EEENS1_38merge_mergepath_config_static_selectorELNS0_4arch9wavefront6targetE1EEEvSM_, .Lfunc_end650-_ZN7rocprim17ROCPRIM_400000_NS6detail17trampoline_kernelINS0_14default_configENS1_38merge_sort_block_merge_config_selectorIlNS0_10empty_typeEEEZZNS1_27merge_sort_block_merge_implIS3_PlPS5_mZN2at6native12_GLOBAL__N_124unique_dim_cuda_templateIsEESt5tupleIJNSA_6TensorESF_SF_EERKSF_lbbbEUlllE_EE10hipError_tT0_T1_T2_jT3_P12ihipStream_tbPNSt15iterator_traitsISL_E10value_typeEPNSR_ISM_E10value_typeEPSN_NS1_7vsmem_tEENKUlT_SL_SM_SN_E_clIS8_S8_S9_S9_EESK_S10_SL_SM_SN_EUlS10_E0_NS1_11comp_targetILNS1_3genE10ELNS1_11target_archE1201ELNS1_3gpuE5ELNS1_3repE0EEENS1_38merge_mergepath_config_static_selectorELNS0_4arch9wavefront6targetE1EEEvSM_
                                        ; -- End function
	.section	.AMDGPU.csdata,"",@progbits
; Kernel info:
; codeLenInByte = 0
; NumSgprs: 6
; NumVgprs: 0
; NumAgprs: 0
; TotalNumVgprs: 0
; ScratchSize: 0
; MemoryBound: 0
; FloatMode: 240
; IeeeMode: 1
; LDSByteSize: 0 bytes/workgroup (compile time only)
; SGPRBlocks: 0
; VGPRBlocks: 0
; NumSGPRsForWavesPerEU: 6
; NumVGPRsForWavesPerEU: 1
; AccumOffset: 4
; Occupancy: 8
; WaveLimiterHint : 0
; COMPUTE_PGM_RSRC2:SCRATCH_EN: 0
; COMPUTE_PGM_RSRC2:USER_SGPR: 2
; COMPUTE_PGM_RSRC2:TRAP_HANDLER: 0
; COMPUTE_PGM_RSRC2:TGID_X_EN: 1
; COMPUTE_PGM_RSRC2:TGID_Y_EN: 0
; COMPUTE_PGM_RSRC2:TGID_Z_EN: 0
; COMPUTE_PGM_RSRC2:TIDIG_COMP_CNT: 0
; COMPUTE_PGM_RSRC3_GFX90A:ACCUM_OFFSET: 0
; COMPUTE_PGM_RSRC3_GFX90A:TG_SPLIT: 0
	.section	.text._ZN7rocprim17ROCPRIM_400000_NS6detail17trampoline_kernelINS0_14default_configENS1_38merge_sort_block_merge_config_selectorIlNS0_10empty_typeEEEZZNS1_27merge_sort_block_merge_implIS3_PlPS5_mZN2at6native12_GLOBAL__N_124unique_dim_cuda_templateIsEESt5tupleIJNSA_6TensorESF_SF_EERKSF_lbbbEUlllE_EE10hipError_tT0_T1_T2_jT3_P12ihipStream_tbPNSt15iterator_traitsISL_E10value_typeEPNSR_ISM_E10value_typeEPSN_NS1_7vsmem_tEENKUlT_SL_SM_SN_E_clIS8_S8_S9_S9_EESK_S10_SL_SM_SN_EUlS10_E0_NS1_11comp_targetILNS1_3genE5ELNS1_11target_archE942ELNS1_3gpuE9ELNS1_3repE0EEENS1_38merge_mergepath_config_static_selectorELNS0_4arch9wavefront6targetE1EEEvSM_,"axG",@progbits,_ZN7rocprim17ROCPRIM_400000_NS6detail17trampoline_kernelINS0_14default_configENS1_38merge_sort_block_merge_config_selectorIlNS0_10empty_typeEEEZZNS1_27merge_sort_block_merge_implIS3_PlPS5_mZN2at6native12_GLOBAL__N_124unique_dim_cuda_templateIsEESt5tupleIJNSA_6TensorESF_SF_EERKSF_lbbbEUlllE_EE10hipError_tT0_T1_T2_jT3_P12ihipStream_tbPNSt15iterator_traitsISL_E10value_typeEPNSR_ISM_E10value_typeEPSN_NS1_7vsmem_tEENKUlT_SL_SM_SN_E_clIS8_S8_S9_S9_EESK_S10_SL_SM_SN_EUlS10_E0_NS1_11comp_targetILNS1_3genE5ELNS1_11target_archE942ELNS1_3gpuE9ELNS1_3repE0EEENS1_38merge_mergepath_config_static_selectorELNS0_4arch9wavefront6targetE1EEEvSM_,comdat
	.globl	_ZN7rocprim17ROCPRIM_400000_NS6detail17trampoline_kernelINS0_14default_configENS1_38merge_sort_block_merge_config_selectorIlNS0_10empty_typeEEEZZNS1_27merge_sort_block_merge_implIS3_PlPS5_mZN2at6native12_GLOBAL__N_124unique_dim_cuda_templateIsEESt5tupleIJNSA_6TensorESF_SF_EERKSF_lbbbEUlllE_EE10hipError_tT0_T1_T2_jT3_P12ihipStream_tbPNSt15iterator_traitsISL_E10value_typeEPNSR_ISM_E10value_typeEPSN_NS1_7vsmem_tEENKUlT_SL_SM_SN_E_clIS8_S8_S9_S9_EESK_S10_SL_SM_SN_EUlS10_E0_NS1_11comp_targetILNS1_3genE5ELNS1_11target_archE942ELNS1_3gpuE9ELNS1_3repE0EEENS1_38merge_mergepath_config_static_selectorELNS0_4arch9wavefront6targetE1EEEvSM_ ; -- Begin function _ZN7rocprim17ROCPRIM_400000_NS6detail17trampoline_kernelINS0_14default_configENS1_38merge_sort_block_merge_config_selectorIlNS0_10empty_typeEEEZZNS1_27merge_sort_block_merge_implIS3_PlPS5_mZN2at6native12_GLOBAL__N_124unique_dim_cuda_templateIsEESt5tupleIJNSA_6TensorESF_SF_EERKSF_lbbbEUlllE_EE10hipError_tT0_T1_T2_jT3_P12ihipStream_tbPNSt15iterator_traitsISL_E10value_typeEPNSR_ISM_E10value_typeEPSN_NS1_7vsmem_tEENKUlT_SL_SM_SN_E_clIS8_S8_S9_S9_EESK_S10_SL_SM_SN_EUlS10_E0_NS1_11comp_targetILNS1_3genE5ELNS1_11target_archE942ELNS1_3gpuE9ELNS1_3repE0EEENS1_38merge_mergepath_config_static_selectorELNS0_4arch9wavefront6targetE1EEEvSM_
	.p2align	8
	.type	_ZN7rocprim17ROCPRIM_400000_NS6detail17trampoline_kernelINS0_14default_configENS1_38merge_sort_block_merge_config_selectorIlNS0_10empty_typeEEEZZNS1_27merge_sort_block_merge_implIS3_PlPS5_mZN2at6native12_GLOBAL__N_124unique_dim_cuda_templateIsEESt5tupleIJNSA_6TensorESF_SF_EERKSF_lbbbEUlllE_EE10hipError_tT0_T1_T2_jT3_P12ihipStream_tbPNSt15iterator_traitsISL_E10value_typeEPNSR_ISM_E10value_typeEPSN_NS1_7vsmem_tEENKUlT_SL_SM_SN_E_clIS8_S8_S9_S9_EESK_S10_SL_SM_SN_EUlS10_E0_NS1_11comp_targetILNS1_3genE5ELNS1_11target_archE942ELNS1_3gpuE9ELNS1_3repE0EEENS1_38merge_mergepath_config_static_selectorELNS0_4arch9wavefront6targetE1EEEvSM_,@function
_ZN7rocprim17ROCPRIM_400000_NS6detail17trampoline_kernelINS0_14default_configENS1_38merge_sort_block_merge_config_selectorIlNS0_10empty_typeEEEZZNS1_27merge_sort_block_merge_implIS3_PlPS5_mZN2at6native12_GLOBAL__N_124unique_dim_cuda_templateIsEESt5tupleIJNSA_6TensorESF_SF_EERKSF_lbbbEUlllE_EE10hipError_tT0_T1_T2_jT3_P12ihipStream_tbPNSt15iterator_traitsISL_E10value_typeEPNSR_ISM_E10value_typeEPSN_NS1_7vsmem_tEENKUlT_SL_SM_SN_E_clIS8_S8_S9_S9_EESK_S10_SL_SM_SN_EUlS10_E0_NS1_11comp_targetILNS1_3genE5ELNS1_11target_archE942ELNS1_3gpuE9ELNS1_3repE0EEENS1_38merge_mergepath_config_static_selectorELNS0_4arch9wavefront6targetE1EEEvSM_: ; @_ZN7rocprim17ROCPRIM_400000_NS6detail17trampoline_kernelINS0_14default_configENS1_38merge_sort_block_merge_config_selectorIlNS0_10empty_typeEEEZZNS1_27merge_sort_block_merge_implIS3_PlPS5_mZN2at6native12_GLOBAL__N_124unique_dim_cuda_templateIsEESt5tupleIJNSA_6TensorESF_SF_EERKSF_lbbbEUlllE_EE10hipError_tT0_T1_T2_jT3_P12ihipStream_tbPNSt15iterator_traitsISL_E10value_typeEPNSR_ISM_E10value_typeEPSN_NS1_7vsmem_tEENKUlT_SL_SM_SN_E_clIS8_S8_S9_S9_EESK_S10_SL_SM_SN_EUlS10_E0_NS1_11comp_targetILNS1_3genE5ELNS1_11target_archE942ELNS1_3gpuE9ELNS1_3repE0EEENS1_38merge_mergepath_config_static_selectorELNS0_4arch9wavefront6targetE1EEEvSM_
; %bb.0:
	s_load_dwordx2 s[24:25], s[0:1], 0x58
	s_load_dword s5, s[0:1], 0x38
	s_add_u32 s22, s0, 0x58
	s_addc_u32 s23, s1, 0
	s_waitcnt lgkmcnt(0)
	s_mul_i32 s4, s25, s4
	s_add_i32 s3, s4, s3
	s_mul_i32 s3, s3, s24
	s_add_i32 s20, s3, s2
	s_cmp_ge_u32 s20, s5
	s_cbranch_scc1 .LBB651_138
; %bb.1:
	s_load_dwordx2 s[4:5], s[0:1], 0x50
	s_load_dwordx4 s[12:15], s[0:1], 0x8
	s_load_dwordx4 s[8:11], s[0:1], 0x28
	s_mov_b32 s21, 0
	s_lshl_b64 s[6:7], s[20:21], 3
	s_waitcnt lgkmcnt(0)
	s_add_u32 s4, s4, s6
	s_addc_u32 s5, s5, s7
	v_mov_b32_e32 v1, s10
	v_alignbit_b32 v1, s11, v1, 9
	v_and_b32_e32 v1, -2, v1
	v_sub_u32_e32 v1, 0, v1
	s_load_dwordx4 s[16:19], s[4:5], 0x0
	v_and_b32_e32 v2, s20, v1
	v_mov_b32_e32 v3, 0
	v_lshlrev_b64 v[6:7], 10, v[2:3]
	s_lshl_b64 s[6:7], s[20:21], 10
	v_mov_b32_e32 v5, s7
	v_sub_co_u32_e32 v4, vcc, s6, v6
	v_lshlrev_b64 v[2:3], 11, v[2:3]
	s_nop 0
	v_subb_co_u32_e32 v5, vcc, v5, v7, vcc
	v_lshl_add_u64 v[8:9], v[2:3], 0, s[10:11]
	v_lshl_add_u64 v[2:3], v[8:9], 0, v[4:5]
	s_waitcnt lgkmcnt(0)
	v_mov_b32_e32 v5, s19
	v_subrev_co_u32_e32 v4, vcc, s18, v2
	s_mov_b64 s[4:5], 0x400
	s_nop 0
	v_subb_co_u32_e32 v5, vcc, v3, v5, vcc
	v_or_b32_e32 v1, s20, v1
	v_lshl_add_u64 v[10:11], v[4:5], 0, s[4:5]
	v_cmp_ne_u32_e32 vcc, -1, v1
	v_cmp_lt_u64_e64 s[4:5], s[8:9], v[10:11]
	s_cbranch_vccz .LBB651_3
; %bb.2:
	v_mov_b32_e32 v1, s8
	v_mov_b64_e32 v[4:5], s[18:19]
	v_cndmask_b32_e64 v6, v10, v1, s[4:5]
	s_branch .LBB651_4
.LBB651_3:
	v_sub_co_u32_e32 v6, vcc, v8, v6
	v_mov_b32_e32 v1, s8
	s_nop 0
	v_subb_co_u32_e32 v7, vcc, v9, v7, vcc
	v_cmp_lt_u64_e32 vcc, s[8:9], v[6:7]
	s_nop 1
	v_cndmask_b32_e32 v4, v6, v1, vcc
	v_lshl_add_u64 v[6:7], v[6:7], 0, s[10:11]
	v_cmp_lt_u64_e32 vcc, s[8:9], v[6:7]
	s_nop 1
	v_cndmask_b32_e32 v6, v6, v1, vcc
.LBB651_4:
	s_lshr_b64 s[18:19], s[8:9], 10
	s_cmp_lg_u64 s[18:19], s[20:21]
	s_cselect_b64 s[10:11], -1, 0
	s_lshl_b64 s[4:5], s[16:17], 3
	s_add_u32 s4, s12, s4
	s_addc_u32 s5, s13, s5
	s_cmp_lt_u32 s2, s24
	v_mov_b32_e32 v19, 0
	s_cselect_b32 s2, 12, 18
	global_load_dword v5, v19, s[22:23] offset:14
	s_add_u32 s2, s22, s2
	s_addc_u32 s3, s23, 0
	global_load_ushort v7, v19, s[2:3]
	v_mov_b32_e32 v8, s17
	v_subrev_co_u32_e32 v2, vcc, s16, v2
	v_mov_b32_e32 v9, s9
	s_nop 0
	v_subb_co_u32_e32 v3, vcc, v3, v8, vcc
	v_mov_b32_e32 v10, s8
	v_cmp_lt_u64_e32 vcc, s[8:9], v[2:3]
	v_subrev_u32_e32 v1, s16, v4
	s_cmp_eq_u64 s[18:19], s[20:21]
	v_cndmask_b32_e32 v3, v3, v9, vcc
	v_cndmask_b32_e32 v2, v2, v10, vcc
	v_sub_u32_e32 v25, v6, v2
	v_lshlrev_b64 v[2:3], 3, v[2:3]
	v_lshl_add_u64 v[20:21], s[12:13], 0, v[2:3]
	v_lshlrev_b32_e32 v18, 3, v0
	s_waitcnt vmcnt(1)
	v_lshrrev_b32_e32 v2, 16, v5
	v_and_b32_e32 v3, 0xffff, v5
	v_mul_lo_u32 v2, v3, v2
	s_waitcnt vmcnt(0)
	v_mul_lo_u32 v26, v2, v7
	s_cbranch_scc1 .LBB651_6
; %bb.5:
	v_sub_u32_e32 v4, v0, v1
	v_mov_b32_e32 v5, v19
	v_add_u32_e32 v6, v26, v0
	v_lshl_add_u64 v[2:3], s[4:5], 0, v[18:19]
	v_lshl_add_u64 v[4:5], v[4:5], 3, v[20:21]
	v_cmp_lt_u32_e32 vcc, v0, v1
	v_mov_b32_e32 v7, v19
	v_sub_u32_e32 v8, v6, v1
	v_mov_b32_e32 v9, v19
	v_cndmask_b32_e32 v3, v5, v3, vcc
	v_cndmask_b32_e32 v2, v4, v2, vcc
	v_lshl_add_u64 v[4:5], v[6:7], 3, s[4:5]
	v_lshl_add_u64 v[8:9], v[8:9], 3, v[20:21]
	v_cmp_lt_u32_e32 vcc, v6, v1
	v_mov_b32_e32 v11, v19
	v_mov_b32_e32 v13, v19
	v_cndmask_b32_e32 v4, v8, v4, vcc
	v_add_u32_e32 v8, v6, v26
	v_cndmask_b32_e32 v5, v9, v5, vcc
	v_mov_b32_e32 v9, v19
	v_sub_u32_e32 v10, v8, v1
	v_lshl_add_u64 v[6:7], v[8:9], 3, s[4:5]
	v_lshl_add_u64 v[10:11], v[10:11], 3, v[20:21]
	v_cmp_lt_u32_e32 vcc, v8, v1
	v_mov_b32_e32 v15, v19
	v_mov_b32_e32 v17, v19
	v_cndmask_b32_e32 v6, v10, v6, vcc
	v_add_u32_e32 v10, v8, v26
	v_cndmask_b32_e32 v7, v11, v7, vcc
	v_mov_b32_e32 v11, v19
	v_sub_u32_e32 v12, v10, v1
	;; [unrolled: 10-line block ×3, first 2 shown]
	v_lshl_add_u64 v[10:11], v[12:13], 3, s[4:5]
	v_lshl_add_u64 v[14:15], v[14:15], 3, v[20:21]
	v_cmp_lt_u32_e32 vcc, v12, v1
	global_load_dwordx2 v[2:3], v[2:3], off
	v_add_u32_e32 v24, v1, v25
	v_cndmask_b32_e32 v10, v14, v10, vcc
	v_add_u32_e32 v14, v12, v26
	v_cndmask_b32_e32 v11, v15, v11, vcc
	v_mov_b32_e32 v15, v19
	v_sub_u32_e32 v16, v14, v1
	v_lshl_add_u64 v[12:13], v[14:15], 3, s[4:5]
	v_lshl_add_u64 v[16:17], v[16:17], 3, v[20:21]
	v_cmp_lt_u32_e32 vcc, v14, v1
	global_load_dwordx2 v[4:5], v[4:5], off
	s_nop 0
	v_cndmask_b32_e32 v13, v17, v13, vcc
	v_cndmask_b32_e32 v12, v16, v12, vcc
	v_add_u32_e32 v16, v14, v26
	v_mov_b32_e32 v17, v19
	v_lshl_add_u64 v[14:15], v[16:17], 3, s[4:5]
	v_sub_u32_e32 v22, v16, v1
	v_cmp_lt_u32_e32 vcc, v16, v1
	v_add_u32_e32 v16, v16, v26
	v_lshl_add_u64 v[22:23], v[22:23], 3, v[20:21]
	v_sub_u32_e32 v28, v16, v1
	v_cndmask_b32_e32 v15, v23, v15, vcc
	v_cndmask_b32_e32 v14, v22, v14, vcc
	v_lshl_add_u64 v[22:23], v[16:17], 3, s[4:5]
	v_lshl_add_u64 v[28:29], v[28:29], 3, v[20:21]
	v_cmp_lt_u32_e32 vcc, v16, v1
	global_load_dwordx2 v[6:7], v[6:7], off
	s_nop 0
	v_cndmask_b32_e32 v17, v29, v23, vcc
	v_cndmask_b32_e32 v16, v28, v22, vcc
	global_load_dwordx2 v[8:9], v[8:9], off
	s_nop 0
	global_load_dwordx2 v[10:11], v[10:11], off
	s_nop 0
	;; [unrolled: 2-line block ×4, first 2 shown]
	global_load_dwordx2 v[16:17], v[16:17], off
	s_cbranch_execz .LBB651_7
	s_branch .LBB651_24
.LBB651_6:
                                        ; implicit-def: $vgpr2_vgpr3_vgpr4_vgpr5_vgpr6_vgpr7_vgpr8_vgpr9_vgpr10_vgpr11_vgpr12_vgpr13_vgpr14_vgpr15_vgpr16_vgpr17
                                        ; implicit-def: $vgpr24
.LBB651_7:
	v_add_u32_e32 v24, v1, v25
	v_cmp_lt_u32_e32 vcc, v0, v24
                                        ; implicit-def: $vgpr2_vgpr3_vgpr4_vgpr5_vgpr6_vgpr7_vgpr8_vgpr9_vgpr10_vgpr11_vgpr12_vgpr13_vgpr14_vgpr15_vgpr16_vgpr17
	s_and_saveexec_b64 s[2:3], vcc
	s_cbranch_execz .LBB651_9
; %bb.8:
	v_mov_b32_e32 v19, 0
	s_waitcnt vmcnt(6)
	v_sub_u32_e32 v4, v0, v1
	v_mov_b32_e32 v5, v19
	v_lshl_add_u64 v[2:3], s[4:5], 0, v[18:19]
	v_lshl_add_u64 v[4:5], v[4:5], 3, v[20:21]
	v_cmp_lt_u32_e32 vcc, v0, v1
	s_nop 1
	v_cndmask_b32_e32 v3, v5, v3, vcc
	v_cndmask_b32_e32 v2, v4, v2, vcc
	global_load_dwordx2 v[2:3], v[2:3], off
.LBB651_9:
	s_or_b64 exec, exec, s[2:3]
	v_add_u32_e32 v22, v26, v0
	v_cmp_lt_u32_e32 vcc, v22, v24
	s_and_saveexec_b64 s[2:3], vcc
	s_cbranch_execz .LBB651_11
; %bb.10:
	v_mov_b32_e32 v23, 0
	v_sub_u32_e32 v28, v22, v1
	v_mov_b32_e32 v29, v23
	s_waitcnt vmcnt(6)
	v_lshl_add_u64 v[4:5], v[22:23], 3, s[4:5]
	v_lshl_add_u64 v[28:29], v[28:29], 3, v[20:21]
	v_cmp_lt_u32_e32 vcc, v22, v1
	s_nop 1
	v_cndmask_b32_e32 v5, v29, v5, vcc
	v_cndmask_b32_e32 v4, v28, v4, vcc
	global_load_dwordx2 v[4:5], v[4:5], off
.LBB651_11:
	s_or_b64 exec, exec, s[2:3]
	v_add_u32_e32 v22, v22, v26
	v_cmp_lt_u32_e32 vcc, v22, v24
	s_and_saveexec_b64 s[2:3], vcc
	s_cbranch_execz .LBB651_13
; %bb.12:
	v_mov_b32_e32 v23, 0
	v_sub_u32_e32 v28, v22, v1
	v_mov_b32_e32 v29, v23
	s_waitcnt vmcnt(5)
	v_lshl_add_u64 v[6:7], v[22:23], 3, s[4:5]
	v_lshl_add_u64 v[28:29], v[28:29], 3, v[20:21]
	v_cmp_lt_u32_e32 vcc, v22, v1
	s_nop 1
	v_cndmask_b32_e32 v7, v29, v7, vcc
	v_cndmask_b32_e32 v6, v28, v6, vcc
	global_load_dwordx2 v[6:7], v[6:7], off
.LBB651_13:
	s_or_b64 exec, exec, s[2:3]
	v_add_u32_e32 v22, v22, v26
	v_cmp_lt_u32_e32 vcc, v22, v24
	s_and_saveexec_b64 s[2:3], vcc
	s_cbranch_execz .LBB651_15
; %bb.14:
	v_mov_b32_e32 v23, 0
	v_sub_u32_e32 v28, v22, v1
	v_mov_b32_e32 v29, v23
	s_waitcnt vmcnt(4)
	v_lshl_add_u64 v[8:9], v[22:23], 3, s[4:5]
	v_lshl_add_u64 v[28:29], v[28:29], 3, v[20:21]
	v_cmp_lt_u32_e32 vcc, v22, v1
	s_nop 1
	v_cndmask_b32_e32 v9, v29, v9, vcc
	v_cndmask_b32_e32 v8, v28, v8, vcc
	global_load_dwordx2 v[8:9], v[8:9], off
.LBB651_15:
	s_or_b64 exec, exec, s[2:3]
	v_add_u32_e32 v22, v22, v26
	v_cmp_lt_u32_e32 vcc, v22, v24
	s_and_saveexec_b64 s[2:3], vcc
	s_cbranch_execz .LBB651_17
; %bb.16:
	v_mov_b32_e32 v23, 0
	v_sub_u32_e32 v28, v22, v1
	v_mov_b32_e32 v29, v23
	s_waitcnt vmcnt(3)
	v_lshl_add_u64 v[10:11], v[22:23], 3, s[4:5]
	v_lshl_add_u64 v[28:29], v[28:29], 3, v[20:21]
	v_cmp_lt_u32_e32 vcc, v22, v1
	s_nop 1
	v_cndmask_b32_e32 v11, v29, v11, vcc
	v_cndmask_b32_e32 v10, v28, v10, vcc
	global_load_dwordx2 v[10:11], v[10:11], off
.LBB651_17:
	s_or_b64 exec, exec, s[2:3]
	v_add_u32_e32 v22, v22, v26
	v_cmp_lt_u32_e32 vcc, v22, v24
	s_and_saveexec_b64 s[2:3], vcc
	s_cbranch_execz .LBB651_19
; %bb.18:
	v_mov_b32_e32 v23, 0
	v_sub_u32_e32 v28, v22, v1
	v_mov_b32_e32 v29, v23
	s_waitcnt vmcnt(2)
	v_lshl_add_u64 v[12:13], v[22:23], 3, s[4:5]
	v_lshl_add_u64 v[28:29], v[28:29], 3, v[20:21]
	v_cmp_lt_u32_e32 vcc, v22, v1
	s_nop 1
	v_cndmask_b32_e32 v13, v29, v13, vcc
	v_cndmask_b32_e32 v12, v28, v12, vcc
	global_load_dwordx2 v[12:13], v[12:13], off
.LBB651_19:
	s_or_b64 exec, exec, s[2:3]
	v_add_u32_e32 v22, v22, v26
	v_cmp_lt_u32_e32 vcc, v22, v24
	s_and_saveexec_b64 s[2:3], vcc
	s_cbranch_execz .LBB651_21
; %bb.20:
	v_mov_b32_e32 v23, 0
	v_sub_u32_e32 v28, v22, v1
	v_mov_b32_e32 v29, v23
	s_waitcnt vmcnt(1)
	v_lshl_add_u64 v[14:15], v[22:23], 3, s[4:5]
	v_lshl_add_u64 v[28:29], v[28:29], 3, v[20:21]
	v_cmp_lt_u32_e32 vcc, v22, v1
	s_nop 1
	v_cndmask_b32_e32 v15, v29, v15, vcc
	v_cndmask_b32_e32 v14, v28, v14, vcc
	global_load_dwordx2 v[14:15], v[14:15], off
.LBB651_21:
	s_or_b64 exec, exec, s[2:3]
	v_add_u32_e32 v22, v22, v26
	v_cmp_lt_u32_e32 vcc, v22, v24
	s_and_saveexec_b64 s[2:3], vcc
	s_cbranch_execz .LBB651_23
; %bb.22:
	v_mov_b32_e32 v23, 0
	s_waitcnt vmcnt(0)
	v_lshl_add_u64 v[16:17], v[22:23], 3, s[4:5]
	v_cmp_lt_u32_e32 vcc, v22, v1
	v_sub_u32_e32 v22, v22, v1
	v_lshl_add_u64 v[20:21], v[22:23], 3, v[20:21]
	v_cndmask_b32_e32 v17, v21, v17, vcc
	v_cndmask_b32_e32 v16, v20, v16, vcc
	global_load_dwordx2 v[16:17], v[16:17], off
.LBB651_23:
	s_or_b64 exec, exec, s[2:3]
.LBB651_24:
	s_load_dwordx4 s[16:19], s[0:1], 0x40
	v_min_u32_e32 v19, v24, v18
	v_sub_u32_e64 v25, v19, v25 clamp
	v_min_u32_e32 v26, v19, v1
	v_cmp_lt_u32_e32 vcc, v25, v26
	s_waitcnt vmcnt(0)
	ds_write2st64_b64 v18, v[2:3], v[4:5] offset1:2
	ds_write2st64_b64 v18, v[6:7], v[8:9] offset0:4 offset1:6
	ds_write2st64_b64 v18, v[10:11], v[12:13] offset0:8 offset1:10
	;; [unrolled: 1-line block ×3, first 2 shown]
	s_waitcnt lgkmcnt(0)
	s_barrier
	s_and_saveexec_b64 s[12:13], vcc
	s_cbranch_execz .LBB651_34
; %bb.25:
	v_lshlrev_b32_e32 v20, 3, v19
	v_cmp_gt_i64_e64 s[0:1], s[16:17], 0
	v_lshl_add_u32 v27, v1, 3, v20
	s_mov_b64 s[20:21], 0
	v_cndmask_b32_e64 v20, 0, 1, s[0:1]
	s_lshl_b64 s[22:23], s[16:17], 1
	v_cmp_ne_u32_e64 s[0:1], 1, v20
	s_branch .LBB651_28
.LBB651_26:                             ;   in Loop: Header=BB651_28 Depth=1
	s_or_b64 exec, exec, s[26:27]
.LBB651_27:                             ;   in Loop: Header=BB651_28 Depth=1
	v_add_u32_e32 v20, 1, v28
	v_cndmask_b32_e64 v26, v26, v28, s[24:25]
	v_cndmask_b32_e64 v25, v20, v25, s[24:25]
	v_cmp_ge_u32_e32 vcc, v25, v26
	s_or_b64 s[20:21], vcc, s[20:21]
	s_andn2_b64 exec, exec, s[20:21]
	s_cbranch_execz .LBB651_33
.LBB651_28:                             ; =>This Loop Header: Depth=1
                                        ;     Child Loop BB651_31 Depth 2
	v_add_u32_e32 v20, v26, v25
	v_lshrrev_b32_e32 v28, 1, v20
	s_and_b64 vcc, exec, s[0:1]
	s_mov_b64 s[24:25], 0
	s_cbranch_vccnz .LBB651_27
; %bb.29:                               ;   in Loop: Header=BB651_28 Depth=1
	v_not_b32_e32 v20, v28
	v_lshl_add_u32 v20, v20, 3, v27
	ds_read_b64 v[20:21], v20
	v_lshlrev_b32_e32 v29, 3, v28
	ds_read_b64 v[30:31], v29
	v_mov_b64_e32 v[22:23], s[18:19]
	s_mov_b64 s[26:27], 0
	s_waitcnt lgkmcnt(1)
	v_mul_lo_u32 v29, s22, v21
	v_mul_lo_u32 v32, s23, v20
	v_mad_u64_u32 v[20:21], s[2:3], s22, v20, v[22:23]
	v_add3_u32 v21, v32, v21, v29
	s_waitcnt lgkmcnt(0)
	v_mul_lo_u32 v29, s22, v31
	v_mul_lo_u32 v31, s23, v30
	v_mad_u64_u32 v[22:23], s[2:3], s22, v30, v[22:23]
	v_add3_u32 v23, v31, v23, v29
	s_mov_b64 s[34:35], s[16:17]
                                        ; implicit-def: $sgpr24_sgpr25
                                        ; implicit-def: $sgpr28_sgpr29
                                        ; implicit-def: $sgpr30_sgpr31
                                        ; implicit-def: $sgpr2_sgpr3
                                        ; implicit-def: $sgpr36_sgpr37
	s_branch .LBB651_31
.LBB651_30:                             ;   in Loop: Header=BB651_31 Depth=2
	s_or_b64 exec, exec, s[38:39]
	s_and_b64 s[4:5], exec, s[28:29]
	s_or_b64 s[26:27], s[4:5], s[26:27]
	s_andn2_b64 s[4:5], s[36:37], exec
	s_and_b64 s[36:37], s[30:31], exec
	s_or_b64 s[36:37], s[4:5], s[36:37]
	s_andn2_b64 s[4:5], s[24:25], exec
	s_and_b64 s[24:25], s[2:3], exec
	s_or_b64 s[24:25], s[4:5], s[24:25]
	s_andn2_b64 exec, exec, s[26:27]
	s_cbranch_execz .LBB651_26
.LBB651_31:                             ;   Parent Loop BB651_28 Depth=1
                                        ; =>  This Inner Loop Header: Depth=2
	global_load_ushort v29, v[20:21], off
	global_load_ushort v30, v[22:23], off
	s_andn2_b64 s[38:39], s[2:3], exec
	s_andn2_b64 s[30:31], s[30:31], exec
	s_or_b64 s[28:29], s[28:29], exec
	s_waitcnt vmcnt(0)
	v_cmp_le_i16_e64 s[2:3], v29, v30
	v_cmp_lt_i16_e32 vcc, v29, v30
	s_and_b64 s[2:3], s[2:3], s[36:37]
	s_or_b64 s[40:41], vcc, s[2:3]
	s_and_b64 s[2:3], s[40:41], exec
	v_cmp_eq_u16_e64 s[4:5], v29, v30
	s_or_b64 s[2:3], s[38:39], s[2:3]
	s_and_saveexec_b64 s[38:39], s[4:5]
	s_cbranch_execz .LBB651_30
; %bb.32:                               ;   in Loop: Header=BB651_31 Depth=2
	s_add_u32 s34, s34, -1
	s_addc_u32 s35, s35, -1
	s_cmp_eq_u64 s[34:35], 0
	s_cselect_b64 s[4:5], -1, 0
	s_andn2_b64 s[30:31], s[30:31], exec
	s_and_b64 s[36:37], s[40:41], exec
	s_andn2_b64 s[28:29], s[28:29], exec
	s_and_b64 s[4:5], s[4:5], exec
	v_lshl_add_u64 v[20:21], v[20:21], 0, 2
	v_lshl_add_u64 v[22:23], v[22:23], 0, 2
	s_andn2_b64 s[2:3], s[2:3], exec
	s_or_b64 s[30:31], s[30:31], s[36:37]
	s_or_b64 s[28:29], s[28:29], s[4:5]
                                        ; implicit-def: $sgpr36_sgpr37
	s_branch .LBB651_30
.LBB651_33:
	s_or_b64 exec, exec, s[20:21]
.LBB651_34:
	s_or_b64 exec, exec, s[12:13]
	v_sub_u32_e32 v19, v19, v25
	v_add_u32_e32 v21, v19, v1
	v_cmp_le_u32_e32 vcc, v25, v1
	v_cmp_le_u32_e64 s[0:1], v21, v24
	s_or_b64 s[0:1], vcc, s[0:1]
	s_and_saveexec_b64 s[4:5], s[0:1]
	s_cbranch_execz .LBB651_124
; %bb.35:
	v_cmp_ge_u32_e32 vcc, v25, v1
	v_cmp_lt_u32_e64 s[0:1], v25, v1
                                        ; implicit-def: $vgpr2_vgpr3
	s_and_saveexec_b64 s[2:3], s[0:1]
	s_cbranch_execz .LBB651_37
; %bb.36:
	v_lshlrev_b32_e32 v2, 3, v25
	ds_read_b64 v[2:3], v2
.LBB651_37:
	s_or_b64 exec, exec, s[2:3]
	v_cmp_ge_u32_e64 s[20:21], v21, v24
	v_cmp_lt_u32_e64 s[0:1], v21, v24
                                        ; implicit-def: $vgpr14_vgpr15
	s_and_saveexec_b64 s[2:3], s[0:1]
	s_cbranch_execz .LBB651_39
; %bb.38:
	v_lshlrev_b32_e32 v4, 3, v21
	ds_read_b64 v[14:15], v4
.LBB651_39:
	s_or_b64 exec, exec, s[2:3]
	s_or_b64 s[0:1], vcc, s[20:21]
	s_mov_b64 s[24:25], 0
	v_cmp_gt_i64_e64 s[12:13], s[16:17], 0
	s_xor_b64 s[0:1], s[0:1], -1
	s_and_saveexec_b64 s[22:23], s[0:1]
	s_cbranch_execz .LBB651_47
; %bb.40:
	s_andn2_b64 vcc, exec, s[12:13]
	s_cbranch_vccnz .LBB651_46
; %bb.41:
	s_waitcnt lgkmcnt(0)
	v_mul_lo_u32 v6, v15, s16
	v_mul_lo_u32 v7, v14, s17
	v_mad_u64_u32 v[4:5], s[0:1], v14, s16, 0
	v_add3_u32 v5, v5, v7, v6
	v_mul_lo_u32 v8, v3, s16
	v_mul_lo_u32 v9, v2, s17
	v_mad_u64_u32 v[6:7], s[0:1], v2, s16, 0
	v_add3_u32 v7, v7, v9, v8
	v_lshl_add_u64 v[4:5], v[4:5], 1, s[18:19]
	v_lshl_add_u64 v[6:7], v[6:7], 1, s[18:19]
	s_mov_b64 s[26:27], 0
	s_mov_b64 s[34:35], s[16:17]
                                        ; implicit-def: $sgpr24_sgpr25
                                        ; implicit-def: $sgpr28_sgpr29
                                        ; implicit-def: $sgpr30_sgpr31
                                        ; implicit-def: $sgpr0_sgpr1
                                        ; implicit-def: $sgpr36_sgpr37
	s_branch .LBB651_43
.LBB651_42:                             ;   in Loop: Header=BB651_43 Depth=1
	s_or_b64 exec, exec, s[38:39]
	s_and_b64 s[2:3], exec, s[28:29]
	s_or_b64 s[26:27], s[2:3], s[26:27]
	s_andn2_b64 s[2:3], s[36:37], exec
	s_and_b64 s[36:37], s[30:31], exec
	s_or_b64 s[36:37], s[2:3], s[36:37]
	s_andn2_b64 s[2:3], s[24:25], exec
	s_and_b64 s[24:25], s[0:1], exec
	s_or_b64 s[24:25], s[2:3], s[24:25]
	s_andn2_b64 exec, exec, s[26:27]
	s_cbranch_execz .LBB651_45
.LBB651_43:                             ; =>This Inner Loop Header: Depth=1
	global_load_ushort v8, v[4:5], off
	global_load_ushort v9, v[6:7], off
	s_andn2_b64 s[38:39], s[0:1], exec
	s_andn2_b64 s[30:31], s[30:31], exec
	s_or_b64 s[28:29], s[28:29], exec
	s_waitcnt vmcnt(0)
	v_cmp_le_i16_e64 s[0:1], v8, v9
	v_cmp_lt_i16_e32 vcc, v8, v9
	s_and_b64 s[0:1], s[0:1], s[36:37]
	s_or_b64 s[40:41], vcc, s[0:1]
	s_and_b64 s[0:1], s[40:41], exec
	v_cmp_eq_u16_e64 s[2:3], v8, v9
	s_or_b64 s[0:1], s[38:39], s[0:1]
	s_and_saveexec_b64 s[38:39], s[2:3]
	s_cbranch_execz .LBB651_42
; %bb.44:                               ;   in Loop: Header=BB651_43 Depth=1
	s_add_u32 s34, s34, -1
	s_addc_u32 s35, s35, -1
	s_cmp_eq_u64 s[34:35], 0
	s_cselect_b64 s[2:3], -1, 0
	s_andn2_b64 s[30:31], s[30:31], exec
	s_and_b64 s[36:37], s[40:41], exec
	s_andn2_b64 s[28:29], s[28:29], exec
	s_and_b64 s[2:3], s[2:3], exec
	v_lshl_add_u64 v[4:5], v[4:5], 0, 2
	v_lshl_add_u64 v[6:7], v[6:7], 0, 2
	s_andn2_b64 s[0:1], s[0:1], exec
	s_or_b64 s[30:31], s[30:31], s[36:37]
	s_or_b64 s[28:29], s[28:29], s[2:3]
                                        ; implicit-def: $sgpr36_sgpr37
	s_branch .LBB651_42
.LBB651_45:
	s_or_b64 exec, exec, s[26:27]
.LBB651_46:
	s_xor_b64 s[0:1], s[24:25], -1
	s_andn2_b64 s[2:3], s[20:21], exec
	s_and_b64 s[0:1], s[0:1], exec
	s_or_b64 s[20:21], s[2:3], s[0:1]
.LBB651_47:
	s_or_b64 exec, exec, s[22:23]
	v_cndmask_b32_e64 v4, v21, v25, s[20:21]
	v_cndmask_b32_e64 v5, v24, v1, s[20:21]
	v_add_u32_e32 v6, 1, v4
	v_add_u32_e32 v4, -1, v5
	v_min_u32_e32 v4, v6, v4
	v_lshlrev_b32_e32 v4, 3, v4
	ds_read_b64 v[4:5], v4
	v_cndmask_b32_e64 v8, v6, v21, s[20:21]
	v_cndmask_b32_e64 v9, v25, v6, s[20:21]
	v_cmp_lt_u32_e32 vcc, v8, v24
	s_mov_b64 s[24:25], -1
	s_waitcnt lgkmcnt(0)
	v_cndmask_b32_e64 v16, v5, v15, s[20:21]
	v_cndmask_b32_e64 v17, v4, v14, s[20:21]
	;; [unrolled: 1-line block ×4, first 2 shown]
	s_mov_b64 s[22:23], -1
	s_and_saveexec_b64 s[26:27], vcc
	s_cbranch_execz .LBB651_58
; %bb.48:
	v_cmp_lt_u32_e32 vcc, v9, v1
	s_mov_b64 s[0:1], 0
	s_and_saveexec_b64 s[22:23], vcc
	s_cbranch_execz .LBB651_57
; %bb.49:
	s_andn2_b64 vcc, exec, s[12:13]
	s_cbranch_vccnz .LBB651_55
; %bb.50:
	v_mul_lo_u32 v6, v16, s16
	v_mul_lo_u32 v7, v17, s17
	v_mad_u64_u32 v[4:5], s[0:1], v17, s16, 0
	v_add3_u32 v5, v5, v7, v6
	v_mul_lo_u32 v10, v19, s16
	v_mul_lo_u32 v11, v20, s17
	v_mad_u64_u32 v[6:7], s[0:1], v20, s16, 0
	v_add3_u32 v7, v7, v11, v10
	v_lshl_add_u64 v[4:5], v[4:5], 1, s[18:19]
	v_lshl_add_u64 v[6:7], v[6:7], 1, s[18:19]
	s_mov_b64 s[30:31], 0
	s_mov_b64 s[38:39], s[16:17]
                                        ; implicit-def: $sgpr28_sgpr29
                                        ; implicit-def: $sgpr34_sgpr35
                                        ; implicit-def: $sgpr36_sgpr37
                                        ; implicit-def: $sgpr0_sgpr1
                                        ; implicit-def: $sgpr40_sgpr41
	s_branch .LBB651_52
.LBB651_51:                             ;   in Loop: Header=BB651_52 Depth=1
	s_or_b64 exec, exec, s[42:43]
	s_and_b64 s[2:3], exec, s[34:35]
	s_or_b64 s[30:31], s[2:3], s[30:31]
	s_andn2_b64 s[2:3], s[40:41], exec
	s_and_b64 s[40:41], s[36:37], exec
	s_or_b64 s[40:41], s[2:3], s[40:41]
	s_andn2_b64 s[2:3], s[28:29], exec
	s_and_b64 s[28:29], s[0:1], exec
	s_or_b64 s[28:29], s[2:3], s[28:29]
	s_andn2_b64 exec, exec, s[30:31]
	s_cbranch_execz .LBB651_54
.LBB651_52:                             ; =>This Inner Loop Header: Depth=1
	global_load_ushort v10, v[4:5], off
	global_load_ushort v11, v[6:7], off
	s_andn2_b64 s[42:43], s[0:1], exec
	s_andn2_b64 s[36:37], s[36:37], exec
	s_or_b64 s[34:35], s[34:35], exec
	s_waitcnt vmcnt(0)
	v_cmp_le_i16_e64 s[0:1], v10, v11
	v_cmp_lt_i16_e32 vcc, v10, v11
	s_and_b64 s[0:1], s[0:1], s[40:41]
	s_or_b64 s[44:45], vcc, s[0:1]
	s_and_b64 s[0:1], s[44:45], exec
	v_cmp_eq_u16_e64 s[2:3], v10, v11
	s_or_b64 s[0:1], s[42:43], s[0:1]
	s_and_saveexec_b64 s[42:43], s[2:3]
	s_cbranch_execz .LBB651_51
; %bb.53:                               ;   in Loop: Header=BB651_52 Depth=1
	s_add_u32 s38, s38, -1
	s_addc_u32 s39, s39, -1
	s_cmp_eq_u64 s[38:39], 0
	s_cselect_b64 s[2:3], -1, 0
	s_andn2_b64 s[36:37], s[36:37], exec
	s_and_b64 s[40:41], s[44:45], exec
	s_andn2_b64 s[34:35], s[34:35], exec
	s_and_b64 s[2:3], s[2:3], exec
	v_lshl_add_u64 v[4:5], v[4:5], 0, 2
	v_lshl_add_u64 v[6:7], v[6:7], 0, 2
	s_andn2_b64 s[0:1], s[0:1], exec
	s_or_b64 s[36:37], s[36:37], s[40:41]
	s_or_b64 s[34:35], s[34:35], s[2:3]
                                        ; implicit-def: $sgpr40_sgpr41
	s_branch .LBB651_51
.LBB651_54:
	s_or_b64 exec, exec, s[30:31]
	s_branch .LBB651_56
.LBB651_55:
	s_mov_b64 s[28:29], 0
.LBB651_56:
	s_xor_b64 s[0:1], s[28:29], -1
	s_and_b64 s[0:1], s[0:1], exec
.LBB651_57:
	s_or_b64 exec, exec, s[22:23]
	s_orn2_b64 s[22:23], s[0:1], exec
.LBB651_58:
	s_or_b64 exec, exec, s[26:27]
	v_cndmask_b32_e64 v4, v8, v9, s[22:23]
	v_cndmask_b32_e64 v5, v24, v1, s[22:23]
	v_add_u32_e32 v6, 1, v4
	v_add_u32_e32 v4, -1, v5
	v_min_u32_e32 v4, v6, v4
	v_lshlrev_b32_e32 v4, 3, v4
	ds_read_b64 v[4:5], v4
	v_cndmask_b32_e64 v10, v6, v8, s[22:23]
	v_cndmask_b32_e64 v11, v9, v6, s[22:23]
	v_cmp_lt_u32_e32 vcc, v10, v24
	s_waitcnt lgkmcnt(0)
	v_cndmask_b32_e64 v21, v5, v16, s[22:23]
	v_cndmask_b32_e64 v22, v4, v17, s[22:23]
	;; [unrolled: 1-line block ×4, first 2 shown]
	s_and_saveexec_b64 s[26:27], vcc
	s_cbranch_execz .LBB651_69
; %bb.59:
	v_cmp_lt_u32_e32 vcc, v11, v1
	s_mov_b64 s[0:1], 0
	s_and_saveexec_b64 s[24:25], vcc
	s_cbranch_execz .LBB651_68
; %bb.60:
	s_andn2_b64 vcc, exec, s[12:13]
	s_cbranch_vccnz .LBB651_66
; %bb.61:
	v_mul_lo_u32 v6, v21, s16
	v_mul_lo_u32 v7, v22, s17
	v_mad_u64_u32 v[4:5], s[0:1], v22, s16, 0
	v_add3_u32 v5, v5, v7, v6
	v_mul_lo_u32 v8, v23, s16
	v_mul_lo_u32 v9, v25, s17
	v_mad_u64_u32 v[6:7], s[0:1], v25, s16, 0
	v_add3_u32 v7, v7, v9, v8
	v_lshl_add_u64 v[4:5], v[4:5], 1, s[18:19]
	v_lshl_add_u64 v[6:7], v[6:7], 1, s[18:19]
	s_mov_b64 s[30:31], 0
	s_mov_b64 s[38:39], s[16:17]
                                        ; implicit-def: $sgpr28_sgpr29
                                        ; implicit-def: $sgpr34_sgpr35
                                        ; implicit-def: $sgpr36_sgpr37
                                        ; implicit-def: $sgpr0_sgpr1
                                        ; implicit-def: $sgpr40_sgpr41
	s_branch .LBB651_63
.LBB651_62:                             ;   in Loop: Header=BB651_63 Depth=1
	s_or_b64 exec, exec, s[42:43]
	s_and_b64 s[2:3], exec, s[34:35]
	s_or_b64 s[30:31], s[2:3], s[30:31]
	s_andn2_b64 s[2:3], s[40:41], exec
	s_and_b64 s[40:41], s[36:37], exec
	s_or_b64 s[40:41], s[2:3], s[40:41]
	s_andn2_b64 s[2:3], s[28:29], exec
	s_and_b64 s[28:29], s[0:1], exec
	s_or_b64 s[28:29], s[2:3], s[28:29]
	s_andn2_b64 exec, exec, s[30:31]
	s_cbranch_execz .LBB651_65
.LBB651_63:                             ; =>This Inner Loop Header: Depth=1
	global_load_ushort v8, v[4:5], off
	global_load_ushort v9, v[6:7], off
	s_andn2_b64 s[42:43], s[0:1], exec
	s_andn2_b64 s[36:37], s[36:37], exec
	s_or_b64 s[34:35], s[34:35], exec
	s_waitcnt vmcnt(0)
	v_cmp_le_i16_e64 s[0:1], v8, v9
	v_cmp_lt_i16_e32 vcc, v8, v9
	s_and_b64 s[0:1], s[0:1], s[40:41]
	s_or_b64 s[44:45], vcc, s[0:1]
	s_and_b64 s[0:1], s[44:45], exec
	v_cmp_eq_u16_e64 s[2:3], v8, v9
	s_or_b64 s[0:1], s[42:43], s[0:1]
	s_and_saveexec_b64 s[42:43], s[2:3]
	s_cbranch_execz .LBB651_62
; %bb.64:                               ;   in Loop: Header=BB651_63 Depth=1
	s_add_u32 s38, s38, -1
	s_addc_u32 s39, s39, -1
	s_cmp_eq_u64 s[38:39], 0
	s_cselect_b64 s[2:3], -1, 0
	s_andn2_b64 s[36:37], s[36:37], exec
	s_and_b64 s[40:41], s[44:45], exec
	s_andn2_b64 s[34:35], s[34:35], exec
	s_and_b64 s[2:3], s[2:3], exec
	v_lshl_add_u64 v[4:5], v[4:5], 0, 2
	v_lshl_add_u64 v[6:7], v[6:7], 0, 2
	s_andn2_b64 s[0:1], s[0:1], exec
	s_or_b64 s[36:37], s[36:37], s[40:41]
	s_or_b64 s[34:35], s[34:35], s[2:3]
                                        ; implicit-def: $sgpr40_sgpr41
	s_branch .LBB651_62
.LBB651_65:
	s_or_b64 exec, exec, s[30:31]
	s_branch .LBB651_67
.LBB651_66:
	s_mov_b64 s[28:29], 0
.LBB651_67:
	s_xor_b64 s[0:1], s[28:29], -1
	s_and_b64 s[0:1], s[0:1], exec
.LBB651_68:
	s_or_b64 exec, exec, s[24:25]
	s_orn2_b64 s[24:25], s[0:1], exec
.LBB651_69:
	s_or_b64 exec, exec, s[26:27]
	v_cndmask_b32_e64 v4, v10, v11, s[24:25]
	v_cndmask_b32_e64 v5, v24, v1, s[24:25]
	v_add_u32_e32 v6, 1, v4
	v_add_u32_e32 v4, -1, v5
	v_min_u32_e32 v4, v6, v4
	v_lshlrev_b32_e32 v4, 3, v4
	ds_read_b64 v[4:5], v4
	v_cndmask_b32_e64 v12, v6, v10, s[24:25]
	v_cndmask_b32_e64 v13, v11, v6, s[24:25]
	v_cmp_lt_u32_e32 vcc, v12, v24
	s_mov_b64 s[28:29], -1
	s_waitcnt lgkmcnt(0)
	v_cndmask_b32_e64 v8, v5, v21, s[24:25]
	v_cndmask_b32_e64 v26, v4, v22, s[24:25]
	;; [unrolled: 1-line block ×4, first 2 shown]
	s_mov_b64 s[26:27], -1
	s_and_saveexec_b64 s[30:31], vcc
	s_cbranch_execz .LBB651_80
; %bb.70:
	v_cmp_lt_u32_e32 vcc, v13, v1
	s_mov_b64 s[0:1], 0
	s_and_saveexec_b64 s[26:27], vcc
	s_cbranch_execz .LBB651_79
; %bb.71:
	s_andn2_b64 vcc, exec, s[12:13]
	s_cbranch_vccnz .LBB651_77
; %bb.72:
	v_mul_lo_u32 v6, v8, s16
	v_mul_lo_u32 v7, v26, s17
	v_mad_u64_u32 v[4:5], s[0:1], v26, s16, 0
	v_add3_u32 v5, v5, v7, v6
	v_mul_lo_u32 v10, v9, s16
	v_mul_lo_u32 v11, v27, s17
	v_mad_u64_u32 v[6:7], s[0:1], v27, s16, 0
	v_add3_u32 v7, v7, v11, v10
	v_lshl_add_u64 v[4:5], v[4:5], 1, s[18:19]
	v_lshl_add_u64 v[6:7], v[6:7], 1, s[18:19]
	s_mov_b64 s[34:35], 0
	s_mov_b64 s[42:43], s[16:17]
                                        ; implicit-def: $sgpr36_sgpr37
                                        ; implicit-def: $sgpr38_sgpr39
                                        ; implicit-def: $sgpr0_sgpr1
                                        ; implicit-def: $sgpr40_sgpr41
                                        ; implicit-def: $sgpr44_sgpr45
	s_branch .LBB651_74
.LBB651_73:                             ;   in Loop: Header=BB651_74 Depth=1
	s_or_b64 exec, exec, s[46:47]
	s_and_b64 s[2:3], exec, s[38:39]
	s_or_b64 s[34:35], s[2:3], s[34:35]
	s_andn2_b64 s[2:3], s[44:45], exec
	s_and_b64 s[44:45], s[40:41], exec
	s_or_b64 s[44:45], s[2:3], s[44:45]
	s_andn2_b64 s[2:3], s[36:37], exec
	s_and_b64 s[36:37], s[0:1], exec
	s_or_b64 s[36:37], s[2:3], s[36:37]
	s_andn2_b64 exec, exec, s[34:35]
	s_cbranch_execz .LBB651_76
.LBB651_74:                             ; =>This Inner Loop Header: Depth=1
	global_load_ushort v10, v[4:5], off
	global_load_ushort v11, v[6:7], off
	s_andn2_b64 s[46:47], s[0:1], exec
	s_andn2_b64 s[40:41], s[40:41], exec
	s_or_b64 s[38:39], s[38:39], exec
	s_waitcnt vmcnt(0)
	v_cmp_le_i16_e64 s[0:1], v10, v11
	v_cmp_lt_i16_e32 vcc, v10, v11
	s_and_b64 s[0:1], s[0:1], s[44:45]
	s_or_b64 s[48:49], vcc, s[0:1]
	s_and_b64 s[0:1], s[48:49], exec
	v_cmp_eq_u16_e64 s[2:3], v10, v11
	s_or_b64 s[0:1], s[46:47], s[0:1]
	s_and_saveexec_b64 s[46:47], s[2:3]
	s_cbranch_execz .LBB651_73
; %bb.75:                               ;   in Loop: Header=BB651_74 Depth=1
	s_add_u32 s42, s42, -1
	s_addc_u32 s43, s43, -1
	s_cmp_eq_u64 s[42:43], 0
	s_cselect_b64 s[2:3], -1, 0
	s_andn2_b64 s[40:41], s[40:41], exec
	s_and_b64 s[44:45], s[48:49], exec
	s_andn2_b64 s[38:39], s[38:39], exec
	s_and_b64 s[2:3], s[2:3], exec
	v_lshl_add_u64 v[4:5], v[4:5], 0, 2
	v_lshl_add_u64 v[6:7], v[6:7], 0, 2
	s_or_b64 s[40:41], s[40:41], s[44:45]
	s_andn2_b64 s[0:1], s[0:1], exec
	s_or_b64 s[38:39], s[38:39], s[2:3]
                                        ; implicit-def: $sgpr44_sgpr45
	s_branch .LBB651_73
.LBB651_76:
	s_or_b64 exec, exec, s[34:35]
	s_xor_b64 s[0:1], s[36:37], -1
	s_branch .LBB651_78
.LBB651_77:
	s_mov_b64 s[0:1], -1
.LBB651_78:
	s_and_b64 s[0:1], s[0:1], exec
.LBB651_79:
	s_or_b64 exec, exec, s[26:27]
	s_orn2_b64 s[26:27], s[0:1], exec
.LBB651_80:
	s_or_b64 exec, exec, s[30:31]
	v_cndmask_b32_e64 v4, v12, v13, s[26:27]
	v_cndmask_b32_e64 v5, v24, v1, s[26:27]
	v_add_u32_e32 v6, 1, v4
	v_add_u32_e32 v4, -1, v5
	v_min_u32_e32 v4, v6, v4
	v_lshlrev_b32_e32 v4, 3, v4
	ds_read_b64 v[4:5], v4
	v_cndmask_b32_e64 v32, v6, v12, s[26:27]
	v_cndmask_b32_e64 v33, v13, v6, s[26:27]
	v_cmp_lt_u32_e32 vcc, v32, v24
	s_waitcnt lgkmcnt(0)
	v_cndmask_b32_e64 v10, v5, v8, s[26:27]
	v_cndmask_b32_e64 v28, v4, v26, s[26:27]
	;; [unrolled: 1-line block ×4, first 2 shown]
	s_and_saveexec_b64 s[30:31], vcc
	s_cbranch_execz .LBB651_91
; %bb.81:
	v_cmp_lt_u32_e32 vcc, v33, v1
	s_mov_b64 s[0:1], 0
	s_and_saveexec_b64 s[28:29], vcc
	s_cbranch_execz .LBB651_90
; %bb.82:
	s_andn2_b64 vcc, exec, s[12:13]
	s_cbranch_vccnz .LBB651_88
; %bb.83:
	v_mul_lo_u32 v6, v10, s16
	v_mul_lo_u32 v7, v28, s17
	v_mad_u64_u32 v[4:5], s[0:1], v28, s16, 0
	v_add3_u32 v5, v5, v7, v6
	v_mul_lo_u32 v12, v11, s16
	v_mul_lo_u32 v13, v29, s17
	v_mad_u64_u32 v[6:7], s[0:1], v29, s16, 0
	v_add3_u32 v7, v7, v13, v12
	v_lshl_add_u64 v[4:5], v[4:5], 1, s[18:19]
	v_lshl_add_u64 v[6:7], v[6:7], 1, s[18:19]
	s_mov_b64 s[34:35], 0
	s_mov_b64 s[42:43], s[16:17]
                                        ; implicit-def: $sgpr36_sgpr37
                                        ; implicit-def: $sgpr38_sgpr39
                                        ; implicit-def: $sgpr0_sgpr1
                                        ; implicit-def: $sgpr40_sgpr41
                                        ; implicit-def: $sgpr44_sgpr45
	s_branch .LBB651_85
.LBB651_84:                             ;   in Loop: Header=BB651_85 Depth=1
	s_or_b64 exec, exec, s[46:47]
	s_and_b64 s[2:3], exec, s[38:39]
	s_or_b64 s[34:35], s[2:3], s[34:35]
	s_andn2_b64 s[2:3], s[44:45], exec
	s_and_b64 s[44:45], s[40:41], exec
	s_or_b64 s[44:45], s[2:3], s[44:45]
	s_andn2_b64 s[2:3], s[36:37], exec
	s_and_b64 s[36:37], s[0:1], exec
	s_or_b64 s[36:37], s[2:3], s[36:37]
	s_andn2_b64 exec, exec, s[34:35]
	s_cbranch_execz .LBB651_87
.LBB651_85:                             ; =>This Inner Loop Header: Depth=1
	global_load_ushort v12, v[4:5], off
	global_load_ushort v13, v[6:7], off
	s_andn2_b64 s[46:47], s[0:1], exec
	s_andn2_b64 s[40:41], s[40:41], exec
	s_or_b64 s[38:39], s[38:39], exec
	s_waitcnt vmcnt(0)
	v_cmp_le_i16_e64 s[0:1], v12, v13
	v_cmp_lt_i16_e32 vcc, v12, v13
	s_and_b64 s[0:1], s[0:1], s[44:45]
	s_or_b64 s[48:49], vcc, s[0:1]
	s_and_b64 s[0:1], s[48:49], exec
	v_cmp_eq_u16_e64 s[2:3], v12, v13
	s_or_b64 s[0:1], s[46:47], s[0:1]
	s_and_saveexec_b64 s[46:47], s[2:3]
	s_cbranch_execz .LBB651_84
; %bb.86:                               ;   in Loop: Header=BB651_85 Depth=1
	s_add_u32 s42, s42, -1
	s_addc_u32 s43, s43, -1
	s_cmp_eq_u64 s[42:43], 0
	s_cselect_b64 s[2:3], -1, 0
	s_andn2_b64 s[40:41], s[40:41], exec
	s_and_b64 s[44:45], s[48:49], exec
	s_andn2_b64 s[38:39], s[38:39], exec
	s_and_b64 s[2:3], s[2:3], exec
	v_lshl_add_u64 v[4:5], v[4:5], 0, 2
	v_lshl_add_u64 v[6:7], v[6:7], 0, 2
	s_or_b64 s[40:41], s[40:41], s[44:45]
	s_andn2_b64 s[0:1], s[0:1], exec
	s_or_b64 s[38:39], s[38:39], s[2:3]
                                        ; implicit-def: $sgpr44_sgpr45
	s_branch .LBB651_84
.LBB651_87:
	s_or_b64 exec, exec, s[34:35]
	s_xor_b64 s[0:1], s[36:37], -1
	s_branch .LBB651_89
.LBB651_88:
	s_mov_b64 s[0:1], -1
.LBB651_89:
	s_and_b64 s[0:1], s[0:1], exec
.LBB651_90:
	s_or_b64 exec, exec, s[28:29]
	s_orn2_b64 s[28:29], s[0:1], exec
.LBB651_91:
	s_or_b64 exec, exec, s[30:31]
	v_cndmask_b32_e64 v4, v32, v33, s[28:29]
	v_cndmask_b32_e64 v5, v24, v1, s[28:29]
	v_add_u32_e32 v6, 1, v4
	v_add_u32_e32 v4, -1, v5
	v_min_u32_e32 v4, v6, v4
	v_lshlrev_b32_e32 v4, 3, v4
	ds_read_b64 v[4:5], v4
	v_cndmask_b32_e64 v34, v6, v32, s[28:29]
	v_cndmask_b32_e64 v38, v33, v6, s[28:29]
	v_cmp_lt_u32_e32 vcc, v34, v24
	s_mov_b64 s[30:31], -1
	s_waitcnt lgkmcnt(0)
	v_cndmask_b32_e64 v12, v5, v10, s[28:29]
	v_cndmask_b32_e64 v30, v4, v28, s[28:29]
	;; [unrolled: 1-line block ×4, first 2 shown]
	s_mov_b64 s[34:35], -1
	s_and_saveexec_b64 s[36:37], vcc
	s_cbranch_execz .LBB651_102
; %bb.92:
	v_cmp_lt_u32_e32 vcc, v38, v1
	s_mov_b64 s[0:1], 0
	s_and_saveexec_b64 s[34:35], vcc
	s_cbranch_execz .LBB651_101
; %bb.93:
	s_andn2_b64 vcc, exec, s[12:13]
	s_cbranch_vccnz .LBB651_99
; %bb.94:
	v_mul_lo_u32 v6, v12, s16
	v_mul_lo_u32 v7, v30, s17
	v_mad_u64_u32 v[4:5], s[0:1], v30, s16, 0
	v_add3_u32 v5, v5, v7, v6
	v_mul_lo_u32 v32, v13, s16
	v_mul_lo_u32 v33, v31, s17
	v_mad_u64_u32 v[6:7], s[0:1], v31, s16, 0
	v_add3_u32 v7, v7, v33, v32
	v_lshl_add_u64 v[4:5], v[4:5], 1, s[18:19]
	v_lshl_add_u64 v[6:7], v[6:7], 1, s[18:19]
	s_mov_b64 s[38:39], 0
	s_mov_b64 s[46:47], s[16:17]
                                        ; implicit-def: $sgpr40_sgpr41
                                        ; implicit-def: $sgpr42_sgpr43
                                        ; implicit-def: $sgpr0_sgpr1
                                        ; implicit-def: $sgpr44_sgpr45
                                        ; implicit-def: $sgpr48_sgpr49
	s_branch .LBB651_96
.LBB651_95:                             ;   in Loop: Header=BB651_96 Depth=1
	s_or_b64 exec, exec, s[50:51]
	s_and_b64 s[2:3], exec, s[42:43]
	s_or_b64 s[38:39], s[2:3], s[38:39]
	s_andn2_b64 s[2:3], s[48:49], exec
	s_and_b64 s[48:49], s[44:45], exec
	s_or_b64 s[48:49], s[2:3], s[48:49]
	s_andn2_b64 s[2:3], s[40:41], exec
	s_and_b64 s[40:41], s[0:1], exec
	s_or_b64 s[40:41], s[2:3], s[40:41]
	s_andn2_b64 exec, exec, s[38:39]
	s_cbranch_execz .LBB651_98
.LBB651_96:                             ; =>This Inner Loop Header: Depth=1
	global_load_ushort v32, v[4:5], off
	global_load_ushort v33, v[6:7], off
	s_andn2_b64 s[50:51], s[0:1], exec
	s_andn2_b64 s[44:45], s[44:45], exec
	s_or_b64 s[42:43], s[42:43], exec
	s_waitcnt vmcnt(0)
	v_cmp_le_i16_e64 s[0:1], v32, v33
	v_cmp_lt_i16_e32 vcc, v32, v33
	s_and_b64 s[0:1], s[0:1], s[48:49]
	s_or_b64 s[52:53], vcc, s[0:1]
	s_and_b64 s[0:1], s[52:53], exec
	v_cmp_eq_u16_e64 s[2:3], v32, v33
	s_or_b64 s[0:1], s[50:51], s[0:1]
	s_and_saveexec_b64 s[50:51], s[2:3]
	s_cbranch_execz .LBB651_95
; %bb.97:                               ;   in Loop: Header=BB651_96 Depth=1
	s_add_u32 s46, s46, -1
	s_addc_u32 s47, s47, -1
	s_cmp_eq_u64 s[46:47], 0
	s_cselect_b64 s[2:3], -1, 0
	s_andn2_b64 s[44:45], s[44:45], exec
	s_and_b64 s[48:49], s[52:53], exec
	s_andn2_b64 s[42:43], s[42:43], exec
	s_and_b64 s[2:3], s[2:3], exec
	v_lshl_add_u64 v[4:5], v[4:5], 0, 2
	v_lshl_add_u64 v[6:7], v[6:7], 0, 2
	s_or_b64 s[44:45], s[44:45], s[48:49]
	s_andn2_b64 s[0:1], s[0:1], exec
	s_or_b64 s[42:43], s[42:43], s[2:3]
                                        ; implicit-def: $sgpr48_sgpr49
	s_branch .LBB651_95
.LBB651_98:
	s_or_b64 exec, exec, s[38:39]
	s_xor_b64 s[0:1], s[40:41], -1
	s_branch .LBB651_100
.LBB651_99:
	s_mov_b64 s[0:1], -1
.LBB651_100:
	s_and_b64 s[0:1], s[0:1], exec
.LBB651_101:
	s_or_b64 exec, exec, s[34:35]
	s_orn2_b64 s[34:35], s[0:1], exec
.LBB651_102:
	s_or_b64 exec, exec, s[36:37]
	v_cndmask_b32_e64 v4, v34, v38, s[34:35]
	v_cndmask_b32_e64 v5, v24, v1, s[34:35]
	v_add_u32_e32 v6, 1, v4
	v_add_u32_e32 v4, -1, v5
	v_min_u32_e32 v4, v6, v4
	v_lshlrev_b32_e32 v4, 3, v4
	ds_read_b64 v[4:5], v4
	v_cndmask_b32_e64 v35, v6, v34, s[34:35]
	v_cndmask_b32_e64 v34, v38, v6, s[34:35]
	v_cmp_lt_u32_e32 vcc, v35, v24
	s_waitcnt lgkmcnt(0)
	v_cndmask_b32_e64 v32, v5, v12, s[34:35]
	v_cndmask_b32_e64 v33, v4, v30, s[34:35]
	;; [unrolled: 1-line block ×4, first 2 shown]
	s_and_saveexec_b64 s[36:37], vcc
	s_cbranch_execz .LBB651_113
; %bb.103:
	v_cmp_lt_u32_e32 vcc, v34, v1
	s_mov_b64 s[0:1], 0
	s_and_saveexec_b64 s[30:31], vcc
	s_cbranch_execz .LBB651_112
; %bb.104:
	s_andn2_b64 vcc, exec, s[12:13]
	s_cbranch_vccnz .LBB651_110
; %bb.105:
	v_mul_lo_u32 v6, v32, s16
	v_mul_lo_u32 v7, v33, s17
	v_mad_u64_u32 v[4:5], s[0:1], v33, s16, 0
	v_add3_u32 v5, v5, v7, v6
	v_mul_lo_u32 v38, v36, s16
	v_mul_lo_u32 v39, v37, s17
	v_mad_u64_u32 v[6:7], s[0:1], v37, s16, 0
	v_add3_u32 v7, v7, v39, v38
	v_lshl_add_u64 v[4:5], v[4:5], 1, s[18:19]
	v_lshl_add_u64 v[6:7], v[6:7], 1, s[18:19]
	s_mov_b64 s[38:39], 0
	s_mov_b64 s[46:47], s[16:17]
                                        ; implicit-def: $sgpr40_sgpr41
                                        ; implicit-def: $sgpr42_sgpr43
                                        ; implicit-def: $sgpr0_sgpr1
                                        ; implicit-def: $sgpr44_sgpr45
                                        ; implicit-def: $sgpr48_sgpr49
	s_branch .LBB651_107
.LBB651_106:                            ;   in Loop: Header=BB651_107 Depth=1
	s_or_b64 exec, exec, s[50:51]
	s_and_b64 s[2:3], exec, s[42:43]
	s_or_b64 s[38:39], s[2:3], s[38:39]
	s_andn2_b64 s[2:3], s[48:49], exec
	s_and_b64 s[48:49], s[44:45], exec
	s_or_b64 s[48:49], s[2:3], s[48:49]
	s_andn2_b64 s[2:3], s[40:41], exec
	s_and_b64 s[40:41], s[0:1], exec
	s_or_b64 s[40:41], s[2:3], s[40:41]
	s_andn2_b64 exec, exec, s[38:39]
	s_cbranch_execz .LBB651_109
.LBB651_107:                            ; =>This Inner Loop Header: Depth=1
	global_load_ushort v38, v[4:5], off
	global_load_ushort v39, v[6:7], off
	s_andn2_b64 s[50:51], s[0:1], exec
	s_andn2_b64 s[44:45], s[44:45], exec
	s_or_b64 s[42:43], s[42:43], exec
	s_waitcnt vmcnt(0)
	v_cmp_le_i16_e64 s[0:1], v38, v39
	v_cmp_lt_i16_e32 vcc, v38, v39
	s_and_b64 s[0:1], s[0:1], s[48:49]
	s_or_b64 s[52:53], vcc, s[0:1]
	s_and_b64 s[0:1], s[52:53], exec
	v_cmp_eq_u16_e64 s[2:3], v38, v39
	s_or_b64 s[0:1], s[50:51], s[0:1]
	s_and_saveexec_b64 s[50:51], s[2:3]
	s_cbranch_execz .LBB651_106
; %bb.108:                              ;   in Loop: Header=BB651_107 Depth=1
	s_add_u32 s46, s46, -1
	s_addc_u32 s47, s47, -1
	s_cmp_eq_u64 s[46:47], 0
	s_cselect_b64 s[2:3], -1, 0
	s_andn2_b64 s[44:45], s[44:45], exec
	s_and_b64 s[48:49], s[52:53], exec
	s_andn2_b64 s[42:43], s[42:43], exec
	s_and_b64 s[2:3], s[2:3], exec
	v_lshl_add_u64 v[4:5], v[4:5], 0, 2
	v_lshl_add_u64 v[6:7], v[6:7], 0, 2
	s_or_b64 s[44:45], s[44:45], s[48:49]
	s_andn2_b64 s[0:1], s[0:1], exec
	s_or_b64 s[42:43], s[42:43], s[2:3]
                                        ; implicit-def: $sgpr48_sgpr49
	s_branch .LBB651_106
.LBB651_109:
	s_or_b64 exec, exec, s[38:39]
	s_xor_b64 s[0:1], s[40:41], -1
	s_branch .LBB651_111
.LBB651_110:
	s_mov_b64 s[0:1], -1
.LBB651_111:
	s_and_b64 s[0:1], s[0:1], exec
.LBB651_112:
	s_or_b64 exec, exec, s[30:31]
	s_orn2_b64 s[30:31], s[0:1], exec
.LBB651_113:
	s_or_b64 exec, exec, s[36:37]
	v_cndmask_b32_e64 v5, v16, v19, s[22:23]
	v_cndmask_b32_e64 v4, v17, v20, s[22:23]
	;; [unrolled: 1-line block ×4, first 2 shown]
	v_add_u32_e32 v19, 1, v16
	v_add_u32_e32 v16, -1, v17
	v_min_u32_e32 v16, v19, v16
	v_lshlrev_b32_e32 v16, 3, v16
	v_cndmask_b32_e64 v7, v21, v23, s[24:25]
	ds_read_b64 v[20:21], v16
	v_cndmask_b32_e64 v6, v22, v25, s[24:25]
	v_cndmask_b32_e64 v22, v19, v35, s[30:31]
	;; [unrolled: 1-line block ×12, first 2 shown]
	s_waitcnt lgkmcnt(0)
	v_cndmask_b32_e64 v17, v36, v21, s[30:31]
	v_cndmask_b32_e64 v16, v37, v20, s[30:31]
	v_cmp_lt_u32_e32 vcc, v22, v24
	s_and_saveexec_b64 s[20:21], vcc
	s_cbranch_execz .LBB651_123
; %bb.114:
	v_cndmask_b32_e64 v19, v34, v19, s[30:31]
	v_cndmask_b32_e64 v21, v21, v32, s[30:31]
	;; [unrolled: 1-line block ×3, first 2 shown]
	v_cmp_lt_u32_e32 vcc, v19, v1
	s_and_saveexec_b64 s[22:23], vcc
	s_cbranch_execz .LBB651_122
; %bb.115:
	s_andn2_b64 vcc, exec, s[12:13]
	s_cbranch_vccnz .LBB651_121
; %bb.116:
	v_mul_lo_u32 v1, v21, s16
	v_mul_lo_u32 v19, v20, s17
	v_mad_u64_u32 v[22:23], s[0:1], v20, s16, 0
	v_add3_u32 v23, v23, v19, v1
	v_mul_lo_u32 v1, v17, s16
	v_mul_lo_u32 v19, v16, s17
	v_mad_u64_u32 v[24:25], s[0:1], v16, s16, 0
	v_add3_u32 v25, v25, v19, v1
	v_lshl_add_u64 v[22:23], v[22:23], 1, s[18:19]
	v_lshl_add_u64 v[24:25], v[24:25], 1, s[18:19]
	s_mov_b64 s[12:13], 0
                                        ; implicit-def: $sgpr18_sgpr19
                                        ; implicit-def: $sgpr24_sgpr25
                                        ; implicit-def: $sgpr0_sgpr1
                                        ; implicit-def: $sgpr26_sgpr27
                                        ; implicit-def: $sgpr28_sgpr29
	s_branch .LBB651_118
.LBB651_117:                            ;   in Loop: Header=BB651_118 Depth=1
	s_or_b64 exec, exec, s[30:31]
	s_and_b64 s[2:3], exec, s[24:25]
	s_or_b64 s[12:13], s[2:3], s[12:13]
	s_andn2_b64 s[2:3], s[28:29], exec
	s_and_b64 s[28:29], s[26:27], exec
	s_or_b64 s[28:29], s[2:3], s[28:29]
	s_andn2_b64 s[2:3], s[18:19], exec
	s_and_b64 s[18:19], s[0:1], exec
	s_or_b64 s[18:19], s[2:3], s[18:19]
	s_andn2_b64 exec, exec, s[12:13]
	s_cbranch_execz .LBB651_120
.LBB651_118:                            ; =>This Inner Loop Header: Depth=1
	global_load_ushort v1, v[22:23], off
	global_load_ushort v19, v[24:25], off
	s_andn2_b64 s[30:31], s[0:1], exec
	s_andn2_b64 s[26:27], s[26:27], exec
	s_or_b64 s[24:25], s[24:25], exec
	s_waitcnt vmcnt(0)
	v_cmp_le_i16_e64 s[0:1], v1, v19
	v_cmp_lt_i16_e32 vcc, v1, v19
	s_and_b64 s[0:1], s[0:1], s[28:29]
	s_or_b64 s[34:35], vcc, s[0:1]
	s_and_b64 s[0:1], s[34:35], exec
	v_cmp_eq_u16_e64 s[2:3], v1, v19
	s_or_b64 s[0:1], s[30:31], s[0:1]
	s_and_saveexec_b64 s[30:31], s[2:3]
	s_cbranch_execz .LBB651_117
; %bb.119:                              ;   in Loop: Header=BB651_118 Depth=1
	s_add_u32 s16, s16, -1
	s_addc_u32 s17, s17, -1
	s_cmp_eq_u64 s[16:17], 0
	s_cselect_b64 s[2:3], -1, 0
	s_andn2_b64 s[26:27], s[26:27], exec
	s_and_b64 s[28:29], s[34:35], exec
	s_andn2_b64 s[24:25], s[24:25], exec
	s_and_b64 s[2:3], s[2:3], exec
	v_lshl_add_u64 v[22:23], v[22:23], 0, 2
	v_lshl_add_u64 v[24:25], v[24:25], 0, 2
	s_or_b64 s[26:27], s[26:27], s[28:29]
	s_andn2_b64 s[0:1], s[0:1], exec
	s_or_b64 s[24:25], s[24:25], s[2:3]
                                        ; implicit-def: $sgpr28_sgpr29
	s_branch .LBB651_117
.LBB651_120:
	s_or_b64 exec, exec, s[12:13]
	v_cndmask_b32_e64 v17, v17, v21, s[18:19]
	v_cndmask_b32_e64 v16, v16, v20, s[18:19]
.LBB651_121:
	v_mov_b64_e32 v[20:21], v[16:17]
.LBB651_122:
	s_or_b64 exec, exec, s[22:23]
	v_mov_b64_e32 v[16:17], v[20:21]
.LBB651_123:
	s_or_b64 exec, exec, s[20:21]
.LBB651_124:
	s_or_b64 exec, exec, s[4:5]
	v_lshrrev_b32_e32 v1, 2, v0
	v_lshlrev_b32_e32 v19, 3, v18
	v_lshl_add_u32 v19, v1, 3, v19
	v_and_b32_e32 v1, 24, v1
	v_or_b32_e32 v25, 0x80, v0
	v_add_u32_e32 v26, v18, v1
	v_lshrrev_b32_e32 v1, 2, v25
	v_and_b32_e32 v1, 56, v1
	v_or_b32_e32 v24, 0x100, v0
	s_barrier
	s_barrier
	ds_write2_b64 v19, v[2:3], v[4:5] offset1:1
	ds_write2_b64 v19, v[6:7], v[8:9] offset0:2 offset1:3
	ds_write2_b64 v19, v[10:11], v[12:13] offset0:4 offset1:5
	;; [unrolled: 1-line block ×3, first 2 shown]
	v_add_u32_e32 v6, v18, v1
	v_lshrrev_b32_e32 v1, 2, v24
	v_and_b32_e32 v1, 0x58, v1
	v_or_b32_e32 v23, 0x180, v0
	v_add_u32_e32 v7, v18, v1
	v_lshrrev_b32_e32 v1, 2, v23
	v_and_b32_e32 v1, 0x78, v1
	v_or_b32_e32 v22, 0x200, v0
	;; [unrolled: 4-line block ×4, first 2 shown]
	v_add_u32_e32 v27, v18, v1
	v_lshrrev_b32_e32 v1, 2, v20
	v_and_b32_e32 v1, 0xd8, v1
	s_lshl_b64 s[0:1], s[6:7], 3
	v_add_u32_e32 v28, v18, v1
	v_or_b32_e32 v1, 0x380, v0
	s_add_u32 s0, s14, s0
	v_lshrrev_b32_e32 v2, 2, v1
	s_addc_u32 s1, s15, s1
	v_and_b32_e32 v2, 0xf8, v2
	v_mov_b32_e32 v19, 0
	v_add_u32_e32 v29, v18, v2
	v_lshl_add_u64 v[2:3], s[0:1], 0, v[18:19]
	s_and_b64 vcc, exec, s[10:11]
	s_waitcnt lgkmcnt(0)
	s_cbranch_vccz .LBB651_126
; %bb.125:
	s_barrier
	ds_read_b64 v[10:11], v26
	ds_read_b64 v[12:13], v6 offset:1024
	ds_read_b64 v[14:15], v7 offset:2048
	;; [unrolled: 1-line block ×7, first 2 shown]
	s_waitcnt lgkmcnt(7)
	global_store_dwordx2 v[2:3], v[10:11], off
	s_waitcnt lgkmcnt(6)
	global_store_dwordx2 v[2:3], v[12:13], off offset:1024
	s_waitcnt lgkmcnt(5)
	global_store_dwordx2 v[2:3], v[14:15], off offset:2048
	;; [unrolled: 2-line block ×3, first 2 shown]
	v_add_co_u32_e32 v10, vcc, 0x1000, v2
	s_nop 1
	v_addc_co_u32_e32 v11, vcc, 0, v3, vcc
	s_waitcnt lgkmcnt(3)
	global_store_dwordx2 v[10:11], v[18:19], off
	s_waitcnt lgkmcnt(2)
	global_store_dwordx2 v[10:11], v[30:31], off offset:1024
	s_waitcnt lgkmcnt(1)
	global_store_dwordx2 v[10:11], v[32:33], off offset:2048
	s_mov_b64 s[0:1], -1
	s_cbranch_execz .LBB651_127
	s_branch .LBB651_136
.LBB651_126:
	s_mov_b64 s[0:1], 0
                                        ; implicit-def: $vgpr4_vgpr5
.LBB651_127:
	s_barrier
	s_waitcnt lgkmcnt(0)
	ds_read_b64 v[16:17], v6 offset:1024
	ds_read_b64 v[14:15], v7 offset:2048
	ds_read_b64 v[12:13], v8 offset:3072
	ds_read_b64 v[10:11], v9 offset:4096
	ds_read_b64 v[8:9], v27 offset:5120
	ds_read_b64 v[6:7], v28 offset:6144
	ds_read_b64 v[4:5], v29 offset:7168
	s_sub_i32 s2, s8, s6
	v_cmp_gt_u32_e32 vcc, s2, v0
	s_and_saveexec_b64 s[0:1], vcc
	s_cbranch_execnz .LBB651_139
; %bb.128:
	s_or_b64 exec, exec, s[0:1]
	v_cmp_gt_u32_e32 vcc, s2, v25
	s_and_saveexec_b64 s[0:1], vcc
	s_cbranch_execnz .LBB651_140
.LBB651_129:
	s_or_b64 exec, exec, s[0:1]
	v_cmp_gt_u32_e32 vcc, s2, v24
	s_and_saveexec_b64 s[0:1], vcc
	s_cbranch_execnz .LBB651_141
.LBB651_130:
	s_or_b64 exec, exec, s[0:1]
	v_cmp_gt_u32_e32 vcc, s2, v23
	s_and_saveexec_b64 s[0:1], vcc
	s_cbranch_execnz .LBB651_142
.LBB651_131:
	s_or_b64 exec, exec, s[0:1]
	v_cmp_gt_u32_e32 vcc, s2, v22
	s_and_saveexec_b64 s[0:1], vcc
	s_cbranch_execnz .LBB651_143
.LBB651_132:
	s_or_b64 exec, exec, s[0:1]
	v_cmp_gt_u32_e32 vcc, s2, v21
	s_and_saveexec_b64 s[0:1], vcc
	s_cbranch_execnz .LBB651_144
.LBB651_133:
	s_or_b64 exec, exec, s[0:1]
	v_cmp_gt_u32_e32 vcc, s2, v20
	s_and_saveexec_b64 s[0:1], vcc
	s_cbranch_execz .LBB651_135
.LBB651_134:
	s_waitcnt lgkmcnt(2)
	v_add_co_u32_e32 v8, vcc, 0x1000, v2
	s_nop 1
	v_addc_co_u32_e32 v9, vcc, 0, v3, vcc
	s_waitcnt lgkmcnt(1)
	global_store_dwordx2 v[8:9], v[6:7], off offset:2048
.LBB651_135:
	s_or_b64 exec, exec, s[0:1]
	v_cmp_gt_u32_e64 s[0:1], s2, v1
.LBB651_136:
	s_and_saveexec_b64 s[2:3], s[0:1]
	s_cbranch_execz .LBB651_138
; %bb.137:
	v_add_co_u32_e32 v0, vcc, 0x1000, v2
	s_nop 1
	v_addc_co_u32_e32 v1, vcc, 0, v3, vcc
	s_waitcnt lgkmcnt(0)
	global_store_dwordx2 v[0:1], v[4:5], off offset:3072
.LBB651_138:
	s_endpgm
.LBB651_139:
	ds_read_b64 v[18:19], v26
	s_waitcnt lgkmcnt(0)
	global_store_dwordx2 v[2:3], v[18:19], off
	s_or_b64 exec, exec, s[0:1]
	v_cmp_gt_u32_e32 vcc, s2, v25
	s_and_saveexec_b64 s[0:1], vcc
	s_cbranch_execz .LBB651_129
.LBB651_140:
	s_waitcnt lgkmcnt(6)
	global_store_dwordx2 v[2:3], v[16:17], off offset:1024
	s_or_b64 exec, exec, s[0:1]
	v_cmp_gt_u32_e32 vcc, s2, v24
	s_and_saveexec_b64 s[0:1], vcc
	s_cbranch_execz .LBB651_130
.LBB651_141:
	s_waitcnt lgkmcnt(5)
	global_store_dwordx2 v[2:3], v[14:15], off offset:2048
	s_or_b64 exec, exec, s[0:1]
	v_cmp_gt_u32_e32 vcc, s2, v23
	s_and_saveexec_b64 s[0:1], vcc
	s_cbranch_execz .LBB651_131
.LBB651_142:
	s_waitcnt lgkmcnt(4)
	global_store_dwordx2 v[2:3], v[12:13], off offset:3072
	s_or_b64 exec, exec, s[0:1]
	v_cmp_gt_u32_e32 vcc, s2, v22
	s_and_saveexec_b64 s[0:1], vcc
	s_cbranch_execz .LBB651_132
.LBB651_143:
	s_waitcnt lgkmcnt(4)
	v_add_co_u32_e32 v12, vcc, 0x1000, v2
	s_nop 1
	v_addc_co_u32_e32 v13, vcc, 0, v3, vcc
	s_waitcnt lgkmcnt(3)
	global_store_dwordx2 v[12:13], v[10:11], off
	s_or_b64 exec, exec, s[0:1]
	v_cmp_gt_u32_e32 vcc, s2, v21
	s_and_saveexec_b64 s[0:1], vcc
	s_cbranch_execz .LBB651_133
.LBB651_144:
	s_waitcnt lgkmcnt(3)
	v_add_co_u32_e32 v10, vcc, 0x1000, v2
	s_nop 1
	v_addc_co_u32_e32 v11, vcc, 0, v3, vcc
	s_waitcnt lgkmcnt(2)
	global_store_dwordx2 v[10:11], v[8:9], off offset:1024
	s_or_b64 exec, exec, s[0:1]
	v_cmp_gt_u32_e32 vcc, s2, v20
	s_and_saveexec_b64 s[0:1], vcc
	s_cbranch_execnz .LBB651_134
	s_branch .LBB651_135
	.section	.rodata,"a",@progbits
	.p2align	6, 0x0
	.amdhsa_kernel _ZN7rocprim17ROCPRIM_400000_NS6detail17trampoline_kernelINS0_14default_configENS1_38merge_sort_block_merge_config_selectorIlNS0_10empty_typeEEEZZNS1_27merge_sort_block_merge_implIS3_PlPS5_mZN2at6native12_GLOBAL__N_124unique_dim_cuda_templateIsEESt5tupleIJNSA_6TensorESF_SF_EERKSF_lbbbEUlllE_EE10hipError_tT0_T1_T2_jT3_P12ihipStream_tbPNSt15iterator_traitsISL_E10value_typeEPNSR_ISM_E10value_typeEPSN_NS1_7vsmem_tEENKUlT_SL_SM_SN_E_clIS8_S8_S9_S9_EESK_S10_SL_SM_SN_EUlS10_E0_NS1_11comp_targetILNS1_3genE5ELNS1_11target_archE942ELNS1_3gpuE9ELNS1_3repE0EEENS1_38merge_mergepath_config_static_selectorELNS0_4arch9wavefront6targetE1EEEvSM_
		.amdhsa_group_segment_fixed_size 8448
		.amdhsa_private_segment_fixed_size 0
		.amdhsa_kernarg_size 344
		.amdhsa_user_sgpr_count 2
		.amdhsa_user_sgpr_dispatch_ptr 0
		.amdhsa_user_sgpr_queue_ptr 0
		.amdhsa_user_sgpr_kernarg_segment_ptr 1
		.amdhsa_user_sgpr_dispatch_id 0
		.amdhsa_user_sgpr_kernarg_preload_length 0
		.amdhsa_user_sgpr_kernarg_preload_offset 0
		.amdhsa_user_sgpr_private_segment_size 0
		.amdhsa_uses_dynamic_stack 0
		.amdhsa_enable_private_segment 0
		.amdhsa_system_sgpr_workgroup_id_x 1
		.amdhsa_system_sgpr_workgroup_id_y 1
		.amdhsa_system_sgpr_workgroup_id_z 1
		.amdhsa_system_sgpr_workgroup_info 0
		.amdhsa_system_vgpr_workitem_id 0
		.amdhsa_next_free_vgpr 40
		.amdhsa_next_free_sgpr 54
		.amdhsa_accum_offset 40
		.amdhsa_reserve_vcc 1
		.amdhsa_float_round_mode_32 0
		.amdhsa_float_round_mode_16_64 0
		.amdhsa_float_denorm_mode_32 3
		.amdhsa_float_denorm_mode_16_64 3
		.amdhsa_dx10_clamp 1
		.amdhsa_ieee_mode 1
		.amdhsa_fp16_overflow 0
		.amdhsa_tg_split 0
		.amdhsa_exception_fp_ieee_invalid_op 0
		.amdhsa_exception_fp_denorm_src 0
		.amdhsa_exception_fp_ieee_div_zero 0
		.amdhsa_exception_fp_ieee_overflow 0
		.amdhsa_exception_fp_ieee_underflow 0
		.amdhsa_exception_fp_ieee_inexact 0
		.amdhsa_exception_int_div_zero 0
	.end_amdhsa_kernel
	.section	.text._ZN7rocprim17ROCPRIM_400000_NS6detail17trampoline_kernelINS0_14default_configENS1_38merge_sort_block_merge_config_selectorIlNS0_10empty_typeEEEZZNS1_27merge_sort_block_merge_implIS3_PlPS5_mZN2at6native12_GLOBAL__N_124unique_dim_cuda_templateIsEESt5tupleIJNSA_6TensorESF_SF_EERKSF_lbbbEUlllE_EE10hipError_tT0_T1_T2_jT3_P12ihipStream_tbPNSt15iterator_traitsISL_E10value_typeEPNSR_ISM_E10value_typeEPSN_NS1_7vsmem_tEENKUlT_SL_SM_SN_E_clIS8_S8_S9_S9_EESK_S10_SL_SM_SN_EUlS10_E0_NS1_11comp_targetILNS1_3genE5ELNS1_11target_archE942ELNS1_3gpuE9ELNS1_3repE0EEENS1_38merge_mergepath_config_static_selectorELNS0_4arch9wavefront6targetE1EEEvSM_,"axG",@progbits,_ZN7rocprim17ROCPRIM_400000_NS6detail17trampoline_kernelINS0_14default_configENS1_38merge_sort_block_merge_config_selectorIlNS0_10empty_typeEEEZZNS1_27merge_sort_block_merge_implIS3_PlPS5_mZN2at6native12_GLOBAL__N_124unique_dim_cuda_templateIsEESt5tupleIJNSA_6TensorESF_SF_EERKSF_lbbbEUlllE_EE10hipError_tT0_T1_T2_jT3_P12ihipStream_tbPNSt15iterator_traitsISL_E10value_typeEPNSR_ISM_E10value_typeEPSN_NS1_7vsmem_tEENKUlT_SL_SM_SN_E_clIS8_S8_S9_S9_EESK_S10_SL_SM_SN_EUlS10_E0_NS1_11comp_targetILNS1_3genE5ELNS1_11target_archE942ELNS1_3gpuE9ELNS1_3repE0EEENS1_38merge_mergepath_config_static_selectorELNS0_4arch9wavefront6targetE1EEEvSM_,comdat
.Lfunc_end651:
	.size	_ZN7rocprim17ROCPRIM_400000_NS6detail17trampoline_kernelINS0_14default_configENS1_38merge_sort_block_merge_config_selectorIlNS0_10empty_typeEEEZZNS1_27merge_sort_block_merge_implIS3_PlPS5_mZN2at6native12_GLOBAL__N_124unique_dim_cuda_templateIsEESt5tupleIJNSA_6TensorESF_SF_EERKSF_lbbbEUlllE_EE10hipError_tT0_T1_T2_jT3_P12ihipStream_tbPNSt15iterator_traitsISL_E10value_typeEPNSR_ISM_E10value_typeEPSN_NS1_7vsmem_tEENKUlT_SL_SM_SN_E_clIS8_S8_S9_S9_EESK_S10_SL_SM_SN_EUlS10_E0_NS1_11comp_targetILNS1_3genE5ELNS1_11target_archE942ELNS1_3gpuE9ELNS1_3repE0EEENS1_38merge_mergepath_config_static_selectorELNS0_4arch9wavefront6targetE1EEEvSM_, .Lfunc_end651-_ZN7rocprim17ROCPRIM_400000_NS6detail17trampoline_kernelINS0_14default_configENS1_38merge_sort_block_merge_config_selectorIlNS0_10empty_typeEEEZZNS1_27merge_sort_block_merge_implIS3_PlPS5_mZN2at6native12_GLOBAL__N_124unique_dim_cuda_templateIsEESt5tupleIJNSA_6TensorESF_SF_EERKSF_lbbbEUlllE_EE10hipError_tT0_T1_T2_jT3_P12ihipStream_tbPNSt15iterator_traitsISL_E10value_typeEPNSR_ISM_E10value_typeEPSN_NS1_7vsmem_tEENKUlT_SL_SM_SN_E_clIS8_S8_S9_S9_EESK_S10_SL_SM_SN_EUlS10_E0_NS1_11comp_targetILNS1_3genE5ELNS1_11target_archE942ELNS1_3gpuE9ELNS1_3repE0EEENS1_38merge_mergepath_config_static_selectorELNS0_4arch9wavefront6targetE1EEEvSM_
                                        ; -- End function
	.section	.AMDGPU.csdata,"",@progbits
; Kernel info:
; codeLenInByte = 6584
; NumSgprs: 60
; NumVgprs: 40
; NumAgprs: 0
; TotalNumVgprs: 40
; ScratchSize: 0
; MemoryBound: 0
; FloatMode: 240
; IeeeMode: 1
; LDSByteSize: 8448 bytes/workgroup (compile time only)
; SGPRBlocks: 7
; VGPRBlocks: 4
; NumSGPRsForWavesPerEU: 60
; NumVGPRsForWavesPerEU: 40
; AccumOffset: 40
; Occupancy: 4
; WaveLimiterHint : 1
; COMPUTE_PGM_RSRC2:SCRATCH_EN: 0
; COMPUTE_PGM_RSRC2:USER_SGPR: 2
; COMPUTE_PGM_RSRC2:TRAP_HANDLER: 0
; COMPUTE_PGM_RSRC2:TGID_X_EN: 1
; COMPUTE_PGM_RSRC2:TGID_Y_EN: 1
; COMPUTE_PGM_RSRC2:TGID_Z_EN: 1
; COMPUTE_PGM_RSRC2:TIDIG_COMP_CNT: 0
; COMPUTE_PGM_RSRC3_GFX90A:ACCUM_OFFSET: 9
; COMPUTE_PGM_RSRC3_GFX90A:TG_SPLIT: 0
	.section	.text._ZN7rocprim17ROCPRIM_400000_NS6detail17trampoline_kernelINS0_14default_configENS1_38merge_sort_block_merge_config_selectorIlNS0_10empty_typeEEEZZNS1_27merge_sort_block_merge_implIS3_PlPS5_mZN2at6native12_GLOBAL__N_124unique_dim_cuda_templateIsEESt5tupleIJNSA_6TensorESF_SF_EERKSF_lbbbEUlllE_EE10hipError_tT0_T1_T2_jT3_P12ihipStream_tbPNSt15iterator_traitsISL_E10value_typeEPNSR_ISM_E10value_typeEPSN_NS1_7vsmem_tEENKUlT_SL_SM_SN_E_clIS8_S8_S9_S9_EESK_S10_SL_SM_SN_EUlS10_E0_NS1_11comp_targetILNS1_3genE4ELNS1_11target_archE910ELNS1_3gpuE8ELNS1_3repE0EEENS1_38merge_mergepath_config_static_selectorELNS0_4arch9wavefront6targetE1EEEvSM_,"axG",@progbits,_ZN7rocprim17ROCPRIM_400000_NS6detail17trampoline_kernelINS0_14default_configENS1_38merge_sort_block_merge_config_selectorIlNS0_10empty_typeEEEZZNS1_27merge_sort_block_merge_implIS3_PlPS5_mZN2at6native12_GLOBAL__N_124unique_dim_cuda_templateIsEESt5tupleIJNSA_6TensorESF_SF_EERKSF_lbbbEUlllE_EE10hipError_tT0_T1_T2_jT3_P12ihipStream_tbPNSt15iterator_traitsISL_E10value_typeEPNSR_ISM_E10value_typeEPSN_NS1_7vsmem_tEENKUlT_SL_SM_SN_E_clIS8_S8_S9_S9_EESK_S10_SL_SM_SN_EUlS10_E0_NS1_11comp_targetILNS1_3genE4ELNS1_11target_archE910ELNS1_3gpuE8ELNS1_3repE0EEENS1_38merge_mergepath_config_static_selectorELNS0_4arch9wavefront6targetE1EEEvSM_,comdat
	.globl	_ZN7rocprim17ROCPRIM_400000_NS6detail17trampoline_kernelINS0_14default_configENS1_38merge_sort_block_merge_config_selectorIlNS0_10empty_typeEEEZZNS1_27merge_sort_block_merge_implIS3_PlPS5_mZN2at6native12_GLOBAL__N_124unique_dim_cuda_templateIsEESt5tupleIJNSA_6TensorESF_SF_EERKSF_lbbbEUlllE_EE10hipError_tT0_T1_T2_jT3_P12ihipStream_tbPNSt15iterator_traitsISL_E10value_typeEPNSR_ISM_E10value_typeEPSN_NS1_7vsmem_tEENKUlT_SL_SM_SN_E_clIS8_S8_S9_S9_EESK_S10_SL_SM_SN_EUlS10_E0_NS1_11comp_targetILNS1_3genE4ELNS1_11target_archE910ELNS1_3gpuE8ELNS1_3repE0EEENS1_38merge_mergepath_config_static_selectorELNS0_4arch9wavefront6targetE1EEEvSM_ ; -- Begin function _ZN7rocprim17ROCPRIM_400000_NS6detail17trampoline_kernelINS0_14default_configENS1_38merge_sort_block_merge_config_selectorIlNS0_10empty_typeEEEZZNS1_27merge_sort_block_merge_implIS3_PlPS5_mZN2at6native12_GLOBAL__N_124unique_dim_cuda_templateIsEESt5tupleIJNSA_6TensorESF_SF_EERKSF_lbbbEUlllE_EE10hipError_tT0_T1_T2_jT3_P12ihipStream_tbPNSt15iterator_traitsISL_E10value_typeEPNSR_ISM_E10value_typeEPSN_NS1_7vsmem_tEENKUlT_SL_SM_SN_E_clIS8_S8_S9_S9_EESK_S10_SL_SM_SN_EUlS10_E0_NS1_11comp_targetILNS1_3genE4ELNS1_11target_archE910ELNS1_3gpuE8ELNS1_3repE0EEENS1_38merge_mergepath_config_static_selectorELNS0_4arch9wavefront6targetE1EEEvSM_
	.p2align	8
	.type	_ZN7rocprim17ROCPRIM_400000_NS6detail17trampoline_kernelINS0_14default_configENS1_38merge_sort_block_merge_config_selectorIlNS0_10empty_typeEEEZZNS1_27merge_sort_block_merge_implIS3_PlPS5_mZN2at6native12_GLOBAL__N_124unique_dim_cuda_templateIsEESt5tupleIJNSA_6TensorESF_SF_EERKSF_lbbbEUlllE_EE10hipError_tT0_T1_T2_jT3_P12ihipStream_tbPNSt15iterator_traitsISL_E10value_typeEPNSR_ISM_E10value_typeEPSN_NS1_7vsmem_tEENKUlT_SL_SM_SN_E_clIS8_S8_S9_S9_EESK_S10_SL_SM_SN_EUlS10_E0_NS1_11comp_targetILNS1_3genE4ELNS1_11target_archE910ELNS1_3gpuE8ELNS1_3repE0EEENS1_38merge_mergepath_config_static_selectorELNS0_4arch9wavefront6targetE1EEEvSM_,@function
_ZN7rocprim17ROCPRIM_400000_NS6detail17trampoline_kernelINS0_14default_configENS1_38merge_sort_block_merge_config_selectorIlNS0_10empty_typeEEEZZNS1_27merge_sort_block_merge_implIS3_PlPS5_mZN2at6native12_GLOBAL__N_124unique_dim_cuda_templateIsEESt5tupleIJNSA_6TensorESF_SF_EERKSF_lbbbEUlllE_EE10hipError_tT0_T1_T2_jT3_P12ihipStream_tbPNSt15iterator_traitsISL_E10value_typeEPNSR_ISM_E10value_typeEPSN_NS1_7vsmem_tEENKUlT_SL_SM_SN_E_clIS8_S8_S9_S9_EESK_S10_SL_SM_SN_EUlS10_E0_NS1_11comp_targetILNS1_3genE4ELNS1_11target_archE910ELNS1_3gpuE8ELNS1_3repE0EEENS1_38merge_mergepath_config_static_selectorELNS0_4arch9wavefront6targetE1EEEvSM_: ; @_ZN7rocprim17ROCPRIM_400000_NS6detail17trampoline_kernelINS0_14default_configENS1_38merge_sort_block_merge_config_selectorIlNS0_10empty_typeEEEZZNS1_27merge_sort_block_merge_implIS3_PlPS5_mZN2at6native12_GLOBAL__N_124unique_dim_cuda_templateIsEESt5tupleIJNSA_6TensorESF_SF_EERKSF_lbbbEUlllE_EE10hipError_tT0_T1_T2_jT3_P12ihipStream_tbPNSt15iterator_traitsISL_E10value_typeEPNSR_ISM_E10value_typeEPSN_NS1_7vsmem_tEENKUlT_SL_SM_SN_E_clIS8_S8_S9_S9_EESK_S10_SL_SM_SN_EUlS10_E0_NS1_11comp_targetILNS1_3genE4ELNS1_11target_archE910ELNS1_3gpuE8ELNS1_3repE0EEENS1_38merge_mergepath_config_static_selectorELNS0_4arch9wavefront6targetE1EEEvSM_
; %bb.0:
	.section	.rodata,"a",@progbits
	.p2align	6, 0x0
	.amdhsa_kernel _ZN7rocprim17ROCPRIM_400000_NS6detail17trampoline_kernelINS0_14default_configENS1_38merge_sort_block_merge_config_selectorIlNS0_10empty_typeEEEZZNS1_27merge_sort_block_merge_implIS3_PlPS5_mZN2at6native12_GLOBAL__N_124unique_dim_cuda_templateIsEESt5tupleIJNSA_6TensorESF_SF_EERKSF_lbbbEUlllE_EE10hipError_tT0_T1_T2_jT3_P12ihipStream_tbPNSt15iterator_traitsISL_E10value_typeEPNSR_ISM_E10value_typeEPSN_NS1_7vsmem_tEENKUlT_SL_SM_SN_E_clIS8_S8_S9_S9_EESK_S10_SL_SM_SN_EUlS10_E0_NS1_11comp_targetILNS1_3genE4ELNS1_11target_archE910ELNS1_3gpuE8ELNS1_3repE0EEENS1_38merge_mergepath_config_static_selectorELNS0_4arch9wavefront6targetE1EEEvSM_
		.amdhsa_group_segment_fixed_size 0
		.amdhsa_private_segment_fixed_size 0
		.amdhsa_kernarg_size 88
		.amdhsa_user_sgpr_count 2
		.amdhsa_user_sgpr_dispatch_ptr 0
		.amdhsa_user_sgpr_queue_ptr 0
		.amdhsa_user_sgpr_kernarg_segment_ptr 1
		.amdhsa_user_sgpr_dispatch_id 0
		.amdhsa_user_sgpr_kernarg_preload_length 0
		.amdhsa_user_sgpr_kernarg_preload_offset 0
		.amdhsa_user_sgpr_private_segment_size 0
		.amdhsa_uses_dynamic_stack 0
		.amdhsa_enable_private_segment 0
		.amdhsa_system_sgpr_workgroup_id_x 1
		.amdhsa_system_sgpr_workgroup_id_y 0
		.amdhsa_system_sgpr_workgroup_id_z 0
		.amdhsa_system_sgpr_workgroup_info 0
		.amdhsa_system_vgpr_workitem_id 0
		.amdhsa_next_free_vgpr 1
		.amdhsa_next_free_sgpr 0
		.amdhsa_accum_offset 4
		.amdhsa_reserve_vcc 0
		.amdhsa_float_round_mode_32 0
		.amdhsa_float_round_mode_16_64 0
		.amdhsa_float_denorm_mode_32 3
		.amdhsa_float_denorm_mode_16_64 3
		.amdhsa_dx10_clamp 1
		.amdhsa_ieee_mode 1
		.amdhsa_fp16_overflow 0
		.amdhsa_tg_split 0
		.amdhsa_exception_fp_ieee_invalid_op 0
		.amdhsa_exception_fp_denorm_src 0
		.amdhsa_exception_fp_ieee_div_zero 0
		.amdhsa_exception_fp_ieee_overflow 0
		.amdhsa_exception_fp_ieee_underflow 0
		.amdhsa_exception_fp_ieee_inexact 0
		.amdhsa_exception_int_div_zero 0
	.end_amdhsa_kernel
	.section	.text._ZN7rocprim17ROCPRIM_400000_NS6detail17trampoline_kernelINS0_14default_configENS1_38merge_sort_block_merge_config_selectorIlNS0_10empty_typeEEEZZNS1_27merge_sort_block_merge_implIS3_PlPS5_mZN2at6native12_GLOBAL__N_124unique_dim_cuda_templateIsEESt5tupleIJNSA_6TensorESF_SF_EERKSF_lbbbEUlllE_EE10hipError_tT0_T1_T2_jT3_P12ihipStream_tbPNSt15iterator_traitsISL_E10value_typeEPNSR_ISM_E10value_typeEPSN_NS1_7vsmem_tEENKUlT_SL_SM_SN_E_clIS8_S8_S9_S9_EESK_S10_SL_SM_SN_EUlS10_E0_NS1_11comp_targetILNS1_3genE4ELNS1_11target_archE910ELNS1_3gpuE8ELNS1_3repE0EEENS1_38merge_mergepath_config_static_selectorELNS0_4arch9wavefront6targetE1EEEvSM_,"axG",@progbits,_ZN7rocprim17ROCPRIM_400000_NS6detail17trampoline_kernelINS0_14default_configENS1_38merge_sort_block_merge_config_selectorIlNS0_10empty_typeEEEZZNS1_27merge_sort_block_merge_implIS3_PlPS5_mZN2at6native12_GLOBAL__N_124unique_dim_cuda_templateIsEESt5tupleIJNSA_6TensorESF_SF_EERKSF_lbbbEUlllE_EE10hipError_tT0_T1_T2_jT3_P12ihipStream_tbPNSt15iterator_traitsISL_E10value_typeEPNSR_ISM_E10value_typeEPSN_NS1_7vsmem_tEENKUlT_SL_SM_SN_E_clIS8_S8_S9_S9_EESK_S10_SL_SM_SN_EUlS10_E0_NS1_11comp_targetILNS1_3genE4ELNS1_11target_archE910ELNS1_3gpuE8ELNS1_3repE0EEENS1_38merge_mergepath_config_static_selectorELNS0_4arch9wavefront6targetE1EEEvSM_,comdat
.Lfunc_end652:
	.size	_ZN7rocprim17ROCPRIM_400000_NS6detail17trampoline_kernelINS0_14default_configENS1_38merge_sort_block_merge_config_selectorIlNS0_10empty_typeEEEZZNS1_27merge_sort_block_merge_implIS3_PlPS5_mZN2at6native12_GLOBAL__N_124unique_dim_cuda_templateIsEESt5tupleIJNSA_6TensorESF_SF_EERKSF_lbbbEUlllE_EE10hipError_tT0_T1_T2_jT3_P12ihipStream_tbPNSt15iterator_traitsISL_E10value_typeEPNSR_ISM_E10value_typeEPSN_NS1_7vsmem_tEENKUlT_SL_SM_SN_E_clIS8_S8_S9_S9_EESK_S10_SL_SM_SN_EUlS10_E0_NS1_11comp_targetILNS1_3genE4ELNS1_11target_archE910ELNS1_3gpuE8ELNS1_3repE0EEENS1_38merge_mergepath_config_static_selectorELNS0_4arch9wavefront6targetE1EEEvSM_, .Lfunc_end652-_ZN7rocprim17ROCPRIM_400000_NS6detail17trampoline_kernelINS0_14default_configENS1_38merge_sort_block_merge_config_selectorIlNS0_10empty_typeEEEZZNS1_27merge_sort_block_merge_implIS3_PlPS5_mZN2at6native12_GLOBAL__N_124unique_dim_cuda_templateIsEESt5tupleIJNSA_6TensorESF_SF_EERKSF_lbbbEUlllE_EE10hipError_tT0_T1_T2_jT3_P12ihipStream_tbPNSt15iterator_traitsISL_E10value_typeEPNSR_ISM_E10value_typeEPSN_NS1_7vsmem_tEENKUlT_SL_SM_SN_E_clIS8_S8_S9_S9_EESK_S10_SL_SM_SN_EUlS10_E0_NS1_11comp_targetILNS1_3genE4ELNS1_11target_archE910ELNS1_3gpuE8ELNS1_3repE0EEENS1_38merge_mergepath_config_static_selectorELNS0_4arch9wavefront6targetE1EEEvSM_
                                        ; -- End function
	.section	.AMDGPU.csdata,"",@progbits
; Kernel info:
; codeLenInByte = 0
; NumSgprs: 6
; NumVgprs: 0
; NumAgprs: 0
; TotalNumVgprs: 0
; ScratchSize: 0
; MemoryBound: 0
; FloatMode: 240
; IeeeMode: 1
; LDSByteSize: 0 bytes/workgroup (compile time only)
; SGPRBlocks: 0
; VGPRBlocks: 0
; NumSGPRsForWavesPerEU: 6
; NumVGPRsForWavesPerEU: 1
; AccumOffset: 4
; Occupancy: 8
; WaveLimiterHint : 0
; COMPUTE_PGM_RSRC2:SCRATCH_EN: 0
; COMPUTE_PGM_RSRC2:USER_SGPR: 2
; COMPUTE_PGM_RSRC2:TRAP_HANDLER: 0
; COMPUTE_PGM_RSRC2:TGID_X_EN: 1
; COMPUTE_PGM_RSRC2:TGID_Y_EN: 0
; COMPUTE_PGM_RSRC2:TGID_Z_EN: 0
; COMPUTE_PGM_RSRC2:TIDIG_COMP_CNT: 0
; COMPUTE_PGM_RSRC3_GFX90A:ACCUM_OFFSET: 0
; COMPUTE_PGM_RSRC3_GFX90A:TG_SPLIT: 0
	.section	.text._ZN7rocprim17ROCPRIM_400000_NS6detail17trampoline_kernelINS0_14default_configENS1_38merge_sort_block_merge_config_selectorIlNS0_10empty_typeEEEZZNS1_27merge_sort_block_merge_implIS3_PlPS5_mZN2at6native12_GLOBAL__N_124unique_dim_cuda_templateIsEESt5tupleIJNSA_6TensorESF_SF_EERKSF_lbbbEUlllE_EE10hipError_tT0_T1_T2_jT3_P12ihipStream_tbPNSt15iterator_traitsISL_E10value_typeEPNSR_ISM_E10value_typeEPSN_NS1_7vsmem_tEENKUlT_SL_SM_SN_E_clIS8_S8_S9_S9_EESK_S10_SL_SM_SN_EUlS10_E0_NS1_11comp_targetILNS1_3genE3ELNS1_11target_archE908ELNS1_3gpuE7ELNS1_3repE0EEENS1_38merge_mergepath_config_static_selectorELNS0_4arch9wavefront6targetE1EEEvSM_,"axG",@progbits,_ZN7rocprim17ROCPRIM_400000_NS6detail17trampoline_kernelINS0_14default_configENS1_38merge_sort_block_merge_config_selectorIlNS0_10empty_typeEEEZZNS1_27merge_sort_block_merge_implIS3_PlPS5_mZN2at6native12_GLOBAL__N_124unique_dim_cuda_templateIsEESt5tupleIJNSA_6TensorESF_SF_EERKSF_lbbbEUlllE_EE10hipError_tT0_T1_T2_jT3_P12ihipStream_tbPNSt15iterator_traitsISL_E10value_typeEPNSR_ISM_E10value_typeEPSN_NS1_7vsmem_tEENKUlT_SL_SM_SN_E_clIS8_S8_S9_S9_EESK_S10_SL_SM_SN_EUlS10_E0_NS1_11comp_targetILNS1_3genE3ELNS1_11target_archE908ELNS1_3gpuE7ELNS1_3repE0EEENS1_38merge_mergepath_config_static_selectorELNS0_4arch9wavefront6targetE1EEEvSM_,comdat
	.globl	_ZN7rocprim17ROCPRIM_400000_NS6detail17trampoline_kernelINS0_14default_configENS1_38merge_sort_block_merge_config_selectorIlNS0_10empty_typeEEEZZNS1_27merge_sort_block_merge_implIS3_PlPS5_mZN2at6native12_GLOBAL__N_124unique_dim_cuda_templateIsEESt5tupleIJNSA_6TensorESF_SF_EERKSF_lbbbEUlllE_EE10hipError_tT0_T1_T2_jT3_P12ihipStream_tbPNSt15iterator_traitsISL_E10value_typeEPNSR_ISM_E10value_typeEPSN_NS1_7vsmem_tEENKUlT_SL_SM_SN_E_clIS8_S8_S9_S9_EESK_S10_SL_SM_SN_EUlS10_E0_NS1_11comp_targetILNS1_3genE3ELNS1_11target_archE908ELNS1_3gpuE7ELNS1_3repE0EEENS1_38merge_mergepath_config_static_selectorELNS0_4arch9wavefront6targetE1EEEvSM_ ; -- Begin function _ZN7rocprim17ROCPRIM_400000_NS6detail17trampoline_kernelINS0_14default_configENS1_38merge_sort_block_merge_config_selectorIlNS0_10empty_typeEEEZZNS1_27merge_sort_block_merge_implIS3_PlPS5_mZN2at6native12_GLOBAL__N_124unique_dim_cuda_templateIsEESt5tupleIJNSA_6TensorESF_SF_EERKSF_lbbbEUlllE_EE10hipError_tT0_T1_T2_jT3_P12ihipStream_tbPNSt15iterator_traitsISL_E10value_typeEPNSR_ISM_E10value_typeEPSN_NS1_7vsmem_tEENKUlT_SL_SM_SN_E_clIS8_S8_S9_S9_EESK_S10_SL_SM_SN_EUlS10_E0_NS1_11comp_targetILNS1_3genE3ELNS1_11target_archE908ELNS1_3gpuE7ELNS1_3repE0EEENS1_38merge_mergepath_config_static_selectorELNS0_4arch9wavefront6targetE1EEEvSM_
	.p2align	8
	.type	_ZN7rocprim17ROCPRIM_400000_NS6detail17trampoline_kernelINS0_14default_configENS1_38merge_sort_block_merge_config_selectorIlNS0_10empty_typeEEEZZNS1_27merge_sort_block_merge_implIS3_PlPS5_mZN2at6native12_GLOBAL__N_124unique_dim_cuda_templateIsEESt5tupleIJNSA_6TensorESF_SF_EERKSF_lbbbEUlllE_EE10hipError_tT0_T1_T2_jT3_P12ihipStream_tbPNSt15iterator_traitsISL_E10value_typeEPNSR_ISM_E10value_typeEPSN_NS1_7vsmem_tEENKUlT_SL_SM_SN_E_clIS8_S8_S9_S9_EESK_S10_SL_SM_SN_EUlS10_E0_NS1_11comp_targetILNS1_3genE3ELNS1_11target_archE908ELNS1_3gpuE7ELNS1_3repE0EEENS1_38merge_mergepath_config_static_selectorELNS0_4arch9wavefront6targetE1EEEvSM_,@function
_ZN7rocprim17ROCPRIM_400000_NS6detail17trampoline_kernelINS0_14default_configENS1_38merge_sort_block_merge_config_selectorIlNS0_10empty_typeEEEZZNS1_27merge_sort_block_merge_implIS3_PlPS5_mZN2at6native12_GLOBAL__N_124unique_dim_cuda_templateIsEESt5tupleIJNSA_6TensorESF_SF_EERKSF_lbbbEUlllE_EE10hipError_tT0_T1_T2_jT3_P12ihipStream_tbPNSt15iterator_traitsISL_E10value_typeEPNSR_ISM_E10value_typeEPSN_NS1_7vsmem_tEENKUlT_SL_SM_SN_E_clIS8_S8_S9_S9_EESK_S10_SL_SM_SN_EUlS10_E0_NS1_11comp_targetILNS1_3genE3ELNS1_11target_archE908ELNS1_3gpuE7ELNS1_3repE0EEENS1_38merge_mergepath_config_static_selectorELNS0_4arch9wavefront6targetE1EEEvSM_: ; @_ZN7rocprim17ROCPRIM_400000_NS6detail17trampoline_kernelINS0_14default_configENS1_38merge_sort_block_merge_config_selectorIlNS0_10empty_typeEEEZZNS1_27merge_sort_block_merge_implIS3_PlPS5_mZN2at6native12_GLOBAL__N_124unique_dim_cuda_templateIsEESt5tupleIJNSA_6TensorESF_SF_EERKSF_lbbbEUlllE_EE10hipError_tT0_T1_T2_jT3_P12ihipStream_tbPNSt15iterator_traitsISL_E10value_typeEPNSR_ISM_E10value_typeEPSN_NS1_7vsmem_tEENKUlT_SL_SM_SN_E_clIS8_S8_S9_S9_EESK_S10_SL_SM_SN_EUlS10_E0_NS1_11comp_targetILNS1_3genE3ELNS1_11target_archE908ELNS1_3gpuE7ELNS1_3repE0EEENS1_38merge_mergepath_config_static_selectorELNS0_4arch9wavefront6targetE1EEEvSM_
; %bb.0:
	.section	.rodata,"a",@progbits
	.p2align	6, 0x0
	.amdhsa_kernel _ZN7rocprim17ROCPRIM_400000_NS6detail17trampoline_kernelINS0_14default_configENS1_38merge_sort_block_merge_config_selectorIlNS0_10empty_typeEEEZZNS1_27merge_sort_block_merge_implIS3_PlPS5_mZN2at6native12_GLOBAL__N_124unique_dim_cuda_templateIsEESt5tupleIJNSA_6TensorESF_SF_EERKSF_lbbbEUlllE_EE10hipError_tT0_T1_T2_jT3_P12ihipStream_tbPNSt15iterator_traitsISL_E10value_typeEPNSR_ISM_E10value_typeEPSN_NS1_7vsmem_tEENKUlT_SL_SM_SN_E_clIS8_S8_S9_S9_EESK_S10_SL_SM_SN_EUlS10_E0_NS1_11comp_targetILNS1_3genE3ELNS1_11target_archE908ELNS1_3gpuE7ELNS1_3repE0EEENS1_38merge_mergepath_config_static_selectorELNS0_4arch9wavefront6targetE1EEEvSM_
		.amdhsa_group_segment_fixed_size 0
		.amdhsa_private_segment_fixed_size 0
		.amdhsa_kernarg_size 88
		.amdhsa_user_sgpr_count 2
		.amdhsa_user_sgpr_dispatch_ptr 0
		.amdhsa_user_sgpr_queue_ptr 0
		.amdhsa_user_sgpr_kernarg_segment_ptr 1
		.amdhsa_user_sgpr_dispatch_id 0
		.amdhsa_user_sgpr_kernarg_preload_length 0
		.amdhsa_user_sgpr_kernarg_preload_offset 0
		.amdhsa_user_sgpr_private_segment_size 0
		.amdhsa_uses_dynamic_stack 0
		.amdhsa_enable_private_segment 0
		.amdhsa_system_sgpr_workgroup_id_x 1
		.amdhsa_system_sgpr_workgroup_id_y 0
		.amdhsa_system_sgpr_workgroup_id_z 0
		.amdhsa_system_sgpr_workgroup_info 0
		.amdhsa_system_vgpr_workitem_id 0
		.amdhsa_next_free_vgpr 1
		.amdhsa_next_free_sgpr 0
		.amdhsa_accum_offset 4
		.amdhsa_reserve_vcc 0
		.amdhsa_float_round_mode_32 0
		.amdhsa_float_round_mode_16_64 0
		.amdhsa_float_denorm_mode_32 3
		.amdhsa_float_denorm_mode_16_64 3
		.amdhsa_dx10_clamp 1
		.amdhsa_ieee_mode 1
		.amdhsa_fp16_overflow 0
		.amdhsa_tg_split 0
		.amdhsa_exception_fp_ieee_invalid_op 0
		.amdhsa_exception_fp_denorm_src 0
		.amdhsa_exception_fp_ieee_div_zero 0
		.amdhsa_exception_fp_ieee_overflow 0
		.amdhsa_exception_fp_ieee_underflow 0
		.amdhsa_exception_fp_ieee_inexact 0
		.amdhsa_exception_int_div_zero 0
	.end_amdhsa_kernel
	.section	.text._ZN7rocprim17ROCPRIM_400000_NS6detail17trampoline_kernelINS0_14default_configENS1_38merge_sort_block_merge_config_selectorIlNS0_10empty_typeEEEZZNS1_27merge_sort_block_merge_implIS3_PlPS5_mZN2at6native12_GLOBAL__N_124unique_dim_cuda_templateIsEESt5tupleIJNSA_6TensorESF_SF_EERKSF_lbbbEUlllE_EE10hipError_tT0_T1_T2_jT3_P12ihipStream_tbPNSt15iterator_traitsISL_E10value_typeEPNSR_ISM_E10value_typeEPSN_NS1_7vsmem_tEENKUlT_SL_SM_SN_E_clIS8_S8_S9_S9_EESK_S10_SL_SM_SN_EUlS10_E0_NS1_11comp_targetILNS1_3genE3ELNS1_11target_archE908ELNS1_3gpuE7ELNS1_3repE0EEENS1_38merge_mergepath_config_static_selectorELNS0_4arch9wavefront6targetE1EEEvSM_,"axG",@progbits,_ZN7rocprim17ROCPRIM_400000_NS6detail17trampoline_kernelINS0_14default_configENS1_38merge_sort_block_merge_config_selectorIlNS0_10empty_typeEEEZZNS1_27merge_sort_block_merge_implIS3_PlPS5_mZN2at6native12_GLOBAL__N_124unique_dim_cuda_templateIsEESt5tupleIJNSA_6TensorESF_SF_EERKSF_lbbbEUlllE_EE10hipError_tT0_T1_T2_jT3_P12ihipStream_tbPNSt15iterator_traitsISL_E10value_typeEPNSR_ISM_E10value_typeEPSN_NS1_7vsmem_tEENKUlT_SL_SM_SN_E_clIS8_S8_S9_S9_EESK_S10_SL_SM_SN_EUlS10_E0_NS1_11comp_targetILNS1_3genE3ELNS1_11target_archE908ELNS1_3gpuE7ELNS1_3repE0EEENS1_38merge_mergepath_config_static_selectorELNS0_4arch9wavefront6targetE1EEEvSM_,comdat
.Lfunc_end653:
	.size	_ZN7rocprim17ROCPRIM_400000_NS6detail17trampoline_kernelINS0_14default_configENS1_38merge_sort_block_merge_config_selectorIlNS0_10empty_typeEEEZZNS1_27merge_sort_block_merge_implIS3_PlPS5_mZN2at6native12_GLOBAL__N_124unique_dim_cuda_templateIsEESt5tupleIJNSA_6TensorESF_SF_EERKSF_lbbbEUlllE_EE10hipError_tT0_T1_T2_jT3_P12ihipStream_tbPNSt15iterator_traitsISL_E10value_typeEPNSR_ISM_E10value_typeEPSN_NS1_7vsmem_tEENKUlT_SL_SM_SN_E_clIS8_S8_S9_S9_EESK_S10_SL_SM_SN_EUlS10_E0_NS1_11comp_targetILNS1_3genE3ELNS1_11target_archE908ELNS1_3gpuE7ELNS1_3repE0EEENS1_38merge_mergepath_config_static_selectorELNS0_4arch9wavefront6targetE1EEEvSM_, .Lfunc_end653-_ZN7rocprim17ROCPRIM_400000_NS6detail17trampoline_kernelINS0_14default_configENS1_38merge_sort_block_merge_config_selectorIlNS0_10empty_typeEEEZZNS1_27merge_sort_block_merge_implIS3_PlPS5_mZN2at6native12_GLOBAL__N_124unique_dim_cuda_templateIsEESt5tupleIJNSA_6TensorESF_SF_EERKSF_lbbbEUlllE_EE10hipError_tT0_T1_T2_jT3_P12ihipStream_tbPNSt15iterator_traitsISL_E10value_typeEPNSR_ISM_E10value_typeEPSN_NS1_7vsmem_tEENKUlT_SL_SM_SN_E_clIS8_S8_S9_S9_EESK_S10_SL_SM_SN_EUlS10_E0_NS1_11comp_targetILNS1_3genE3ELNS1_11target_archE908ELNS1_3gpuE7ELNS1_3repE0EEENS1_38merge_mergepath_config_static_selectorELNS0_4arch9wavefront6targetE1EEEvSM_
                                        ; -- End function
	.section	.AMDGPU.csdata,"",@progbits
; Kernel info:
; codeLenInByte = 0
; NumSgprs: 6
; NumVgprs: 0
; NumAgprs: 0
; TotalNumVgprs: 0
; ScratchSize: 0
; MemoryBound: 0
; FloatMode: 240
; IeeeMode: 1
; LDSByteSize: 0 bytes/workgroup (compile time only)
; SGPRBlocks: 0
; VGPRBlocks: 0
; NumSGPRsForWavesPerEU: 6
; NumVGPRsForWavesPerEU: 1
; AccumOffset: 4
; Occupancy: 8
; WaveLimiterHint : 0
; COMPUTE_PGM_RSRC2:SCRATCH_EN: 0
; COMPUTE_PGM_RSRC2:USER_SGPR: 2
; COMPUTE_PGM_RSRC2:TRAP_HANDLER: 0
; COMPUTE_PGM_RSRC2:TGID_X_EN: 1
; COMPUTE_PGM_RSRC2:TGID_Y_EN: 0
; COMPUTE_PGM_RSRC2:TGID_Z_EN: 0
; COMPUTE_PGM_RSRC2:TIDIG_COMP_CNT: 0
; COMPUTE_PGM_RSRC3_GFX90A:ACCUM_OFFSET: 0
; COMPUTE_PGM_RSRC3_GFX90A:TG_SPLIT: 0
	.section	.text._ZN7rocprim17ROCPRIM_400000_NS6detail17trampoline_kernelINS0_14default_configENS1_38merge_sort_block_merge_config_selectorIlNS0_10empty_typeEEEZZNS1_27merge_sort_block_merge_implIS3_PlPS5_mZN2at6native12_GLOBAL__N_124unique_dim_cuda_templateIsEESt5tupleIJNSA_6TensorESF_SF_EERKSF_lbbbEUlllE_EE10hipError_tT0_T1_T2_jT3_P12ihipStream_tbPNSt15iterator_traitsISL_E10value_typeEPNSR_ISM_E10value_typeEPSN_NS1_7vsmem_tEENKUlT_SL_SM_SN_E_clIS8_S8_S9_S9_EESK_S10_SL_SM_SN_EUlS10_E0_NS1_11comp_targetILNS1_3genE2ELNS1_11target_archE906ELNS1_3gpuE6ELNS1_3repE0EEENS1_38merge_mergepath_config_static_selectorELNS0_4arch9wavefront6targetE1EEEvSM_,"axG",@progbits,_ZN7rocprim17ROCPRIM_400000_NS6detail17trampoline_kernelINS0_14default_configENS1_38merge_sort_block_merge_config_selectorIlNS0_10empty_typeEEEZZNS1_27merge_sort_block_merge_implIS3_PlPS5_mZN2at6native12_GLOBAL__N_124unique_dim_cuda_templateIsEESt5tupleIJNSA_6TensorESF_SF_EERKSF_lbbbEUlllE_EE10hipError_tT0_T1_T2_jT3_P12ihipStream_tbPNSt15iterator_traitsISL_E10value_typeEPNSR_ISM_E10value_typeEPSN_NS1_7vsmem_tEENKUlT_SL_SM_SN_E_clIS8_S8_S9_S9_EESK_S10_SL_SM_SN_EUlS10_E0_NS1_11comp_targetILNS1_3genE2ELNS1_11target_archE906ELNS1_3gpuE6ELNS1_3repE0EEENS1_38merge_mergepath_config_static_selectorELNS0_4arch9wavefront6targetE1EEEvSM_,comdat
	.globl	_ZN7rocprim17ROCPRIM_400000_NS6detail17trampoline_kernelINS0_14default_configENS1_38merge_sort_block_merge_config_selectorIlNS0_10empty_typeEEEZZNS1_27merge_sort_block_merge_implIS3_PlPS5_mZN2at6native12_GLOBAL__N_124unique_dim_cuda_templateIsEESt5tupleIJNSA_6TensorESF_SF_EERKSF_lbbbEUlllE_EE10hipError_tT0_T1_T2_jT3_P12ihipStream_tbPNSt15iterator_traitsISL_E10value_typeEPNSR_ISM_E10value_typeEPSN_NS1_7vsmem_tEENKUlT_SL_SM_SN_E_clIS8_S8_S9_S9_EESK_S10_SL_SM_SN_EUlS10_E0_NS1_11comp_targetILNS1_3genE2ELNS1_11target_archE906ELNS1_3gpuE6ELNS1_3repE0EEENS1_38merge_mergepath_config_static_selectorELNS0_4arch9wavefront6targetE1EEEvSM_ ; -- Begin function _ZN7rocprim17ROCPRIM_400000_NS6detail17trampoline_kernelINS0_14default_configENS1_38merge_sort_block_merge_config_selectorIlNS0_10empty_typeEEEZZNS1_27merge_sort_block_merge_implIS3_PlPS5_mZN2at6native12_GLOBAL__N_124unique_dim_cuda_templateIsEESt5tupleIJNSA_6TensorESF_SF_EERKSF_lbbbEUlllE_EE10hipError_tT0_T1_T2_jT3_P12ihipStream_tbPNSt15iterator_traitsISL_E10value_typeEPNSR_ISM_E10value_typeEPSN_NS1_7vsmem_tEENKUlT_SL_SM_SN_E_clIS8_S8_S9_S9_EESK_S10_SL_SM_SN_EUlS10_E0_NS1_11comp_targetILNS1_3genE2ELNS1_11target_archE906ELNS1_3gpuE6ELNS1_3repE0EEENS1_38merge_mergepath_config_static_selectorELNS0_4arch9wavefront6targetE1EEEvSM_
	.p2align	8
	.type	_ZN7rocprim17ROCPRIM_400000_NS6detail17trampoline_kernelINS0_14default_configENS1_38merge_sort_block_merge_config_selectorIlNS0_10empty_typeEEEZZNS1_27merge_sort_block_merge_implIS3_PlPS5_mZN2at6native12_GLOBAL__N_124unique_dim_cuda_templateIsEESt5tupleIJNSA_6TensorESF_SF_EERKSF_lbbbEUlllE_EE10hipError_tT0_T1_T2_jT3_P12ihipStream_tbPNSt15iterator_traitsISL_E10value_typeEPNSR_ISM_E10value_typeEPSN_NS1_7vsmem_tEENKUlT_SL_SM_SN_E_clIS8_S8_S9_S9_EESK_S10_SL_SM_SN_EUlS10_E0_NS1_11comp_targetILNS1_3genE2ELNS1_11target_archE906ELNS1_3gpuE6ELNS1_3repE0EEENS1_38merge_mergepath_config_static_selectorELNS0_4arch9wavefront6targetE1EEEvSM_,@function
_ZN7rocprim17ROCPRIM_400000_NS6detail17trampoline_kernelINS0_14default_configENS1_38merge_sort_block_merge_config_selectorIlNS0_10empty_typeEEEZZNS1_27merge_sort_block_merge_implIS3_PlPS5_mZN2at6native12_GLOBAL__N_124unique_dim_cuda_templateIsEESt5tupleIJNSA_6TensorESF_SF_EERKSF_lbbbEUlllE_EE10hipError_tT0_T1_T2_jT3_P12ihipStream_tbPNSt15iterator_traitsISL_E10value_typeEPNSR_ISM_E10value_typeEPSN_NS1_7vsmem_tEENKUlT_SL_SM_SN_E_clIS8_S8_S9_S9_EESK_S10_SL_SM_SN_EUlS10_E0_NS1_11comp_targetILNS1_3genE2ELNS1_11target_archE906ELNS1_3gpuE6ELNS1_3repE0EEENS1_38merge_mergepath_config_static_selectorELNS0_4arch9wavefront6targetE1EEEvSM_: ; @_ZN7rocprim17ROCPRIM_400000_NS6detail17trampoline_kernelINS0_14default_configENS1_38merge_sort_block_merge_config_selectorIlNS0_10empty_typeEEEZZNS1_27merge_sort_block_merge_implIS3_PlPS5_mZN2at6native12_GLOBAL__N_124unique_dim_cuda_templateIsEESt5tupleIJNSA_6TensorESF_SF_EERKSF_lbbbEUlllE_EE10hipError_tT0_T1_T2_jT3_P12ihipStream_tbPNSt15iterator_traitsISL_E10value_typeEPNSR_ISM_E10value_typeEPSN_NS1_7vsmem_tEENKUlT_SL_SM_SN_E_clIS8_S8_S9_S9_EESK_S10_SL_SM_SN_EUlS10_E0_NS1_11comp_targetILNS1_3genE2ELNS1_11target_archE906ELNS1_3gpuE6ELNS1_3repE0EEENS1_38merge_mergepath_config_static_selectorELNS0_4arch9wavefront6targetE1EEEvSM_
; %bb.0:
	.section	.rodata,"a",@progbits
	.p2align	6, 0x0
	.amdhsa_kernel _ZN7rocprim17ROCPRIM_400000_NS6detail17trampoline_kernelINS0_14default_configENS1_38merge_sort_block_merge_config_selectorIlNS0_10empty_typeEEEZZNS1_27merge_sort_block_merge_implIS3_PlPS5_mZN2at6native12_GLOBAL__N_124unique_dim_cuda_templateIsEESt5tupleIJNSA_6TensorESF_SF_EERKSF_lbbbEUlllE_EE10hipError_tT0_T1_T2_jT3_P12ihipStream_tbPNSt15iterator_traitsISL_E10value_typeEPNSR_ISM_E10value_typeEPSN_NS1_7vsmem_tEENKUlT_SL_SM_SN_E_clIS8_S8_S9_S9_EESK_S10_SL_SM_SN_EUlS10_E0_NS1_11comp_targetILNS1_3genE2ELNS1_11target_archE906ELNS1_3gpuE6ELNS1_3repE0EEENS1_38merge_mergepath_config_static_selectorELNS0_4arch9wavefront6targetE1EEEvSM_
		.amdhsa_group_segment_fixed_size 0
		.amdhsa_private_segment_fixed_size 0
		.amdhsa_kernarg_size 88
		.amdhsa_user_sgpr_count 2
		.amdhsa_user_sgpr_dispatch_ptr 0
		.amdhsa_user_sgpr_queue_ptr 0
		.amdhsa_user_sgpr_kernarg_segment_ptr 1
		.amdhsa_user_sgpr_dispatch_id 0
		.amdhsa_user_sgpr_kernarg_preload_length 0
		.amdhsa_user_sgpr_kernarg_preload_offset 0
		.amdhsa_user_sgpr_private_segment_size 0
		.amdhsa_uses_dynamic_stack 0
		.amdhsa_enable_private_segment 0
		.amdhsa_system_sgpr_workgroup_id_x 1
		.amdhsa_system_sgpr_workgroup_id_y 0
		.amdhsa_system_sgpr_workgroup_id_z 0
		.amdhsa_system_sgpr_workgroup_info 0
		.amdhsa_system_vgpr_workitem_id 0
		.amdhsa_next_free_vgpr 1
		.amdhsa_next_free_sgpr 0
		.amdhsa_accum_offset 4
		.amdhsa_reserve_vcc 0
		.amdhsa_float_round_mode_32 0
		.amdhsa_float_round_mode_16_64 0
		.amdhsa_float_denorm_mode_32 3
		.amdhsa_float_denorm_mode_16_64 3
		.amdhsa_dx10_clamp 1
		.amdhsa_ieee_mode 1
		.amdhsa_fp16_overflow 0
		.amdhsa_tg_split 0
		.amdhsa_exception_fp_ieee_invalid_op 0
		.amdhsa_exception_fp_denorm_src 0
		.amdhsa_exception_fp_ieee_div_zero 0
		.amdhsa_exception_fp_ieee_overflow 0
		.amdhsa_exception_fp_ieee_underflow 0
		.amdhsa_exception_fp_ieee_inexact 0
		.amdhsa_exception_int_div_zero 0
	.end_amdhsa_kernel
	.section	.text._ZN7rocprim17ROCPRIM_400000_NS6detail17trampoline_kernelINS0_14default_configENS1_38merge_sort_block_merge_config_selectorIlNS0_10empty_typeEEEZZNS1_27merge_sort_block_merge_implIS3_PlPS5_mZN2at6native12_GLOBAL__N_124unique_dim_cuda_templateIsEESt5tupleIJNSA_6TensorESF_SF_EERKSF_lbbbEUlllE_EE10hipError_tT0_T1_T2_jT3_P12ihipStream_tbPNSt15iterator_traitsISL_E10value_typeEPNSR_ISM_E10value_typeEPSN_NS1_7vsmem_tEENKUlT_SL_SM_SN_E_clIS8_S8_S9_S9_EESK_S10_SL_SM_SN_EUlS10_E0_NS1_11comp_targetILNS1_3genE2ELNS1_11target_archE906ELNS1_3gpuE6ELNS1_3repE0EEENS1_38merge_mergepath_config_static_selectorELNS0_4arch9wavefront6targetE1EEEvSM_,"axG",@progbits,_ZN7rocprim17ROCPRIM_400000_NS6detail17trampoline_kernelINS0_14default_configENS1_38merge_sort_block_merge_config_selectorIlNS0_10empty_typeEEEZZNS1_27merge_sort_block_merge_implIS3_PlPS5_mZN2at6native12_GLOBAL__N_124unique_dim_cuda_templateIsEESt5tupleIJNSA_6TensorESF_SF_EERKSF_lbbbEUlllE_EE10hipError_tT0_T1_T2_jT3_P12ihipStream_tbPNSt15iterator_traitsISL_E10value_typeEPNSR_ISM_E10value_typeEPSN_NS1_7vsmem_tEENKUlT_SL_SM_SN_E_clIS8_S8_S9_S9_EESK_S10_SL_SM_SN_EUlS10_E0_NS1_11comp_targetILNS1_3genE2ELNS1_11target_archE906ELNS1_3gpuE6ELNS1_3repE0EEENS1_38merge_mergepath_config_static_selectorELNS0_4arch9wavefront6targetE1EEEvSM_,comdat
.Lfunc_end654:
	.size	_ZN7rocprim17ROCPRIM_400000_NS6detail17trampoline_kernelINS0_14default_configENS1_38merge_sort_block_merge_config_selectorIlNS0_10empty_typeEEEZZNS1_27merge_sort_block_merge_implIS3_PlPS5_mZN2at6native12_GLOBAL__N_124unique_dim_cuda_templateIsEESt5tupleIJNSA_6TensorESF_SF_EERKSF_lbbbEUlllE_EE10hipError_tT0_T1_T2_jT3_P12ihipStream_tbPNSt15iterator_traitsISL_E10value_typeEPNSR_ISM_E10value_typeEPSN_NS1_7vsmem_tEENKUlT_SL_SM_SN_E_clIS8_S8_S9_S9_EESK_S10_SL_SM_SN_EUlS10_E0_NS1_11comp_targetILNS1_3genE2ELNS1_11target_archE906ELNS1_3gpuE6ELNS1_3repE0EEENS1_38merge_mergepath_config_static_selectorELNS0_4arch9wavefront6targetE1EEEvSM_, .Lfunc_end654-_ZN7rocprim17ROCPRIM_400000_NS6detail17trampoline_kernelINS0_14default_configENS1_38merge_sort_block_merge_config_selectorIlNS0_10empty_typeEEEZZNS1_27merge_sort_block_merge_implIS3_PlPS5_mZN2at6native12_GLOBAL__N_124unique_dim_cuda_templateIsEESt5tupleIJNSA_6TensorESF_SF_EERKSF_lbbbEUlllE_EE10hipError_tT0_T1_T2_jT3_P12ihipStream_tbPNSt15iterator_traitsISL_E10value_typeEPNSR_ISM_E10value_typeEPSN_NS1_7vsmem_tEENKUlT_SL_SM_SN_E_clIS8_S8_S9_S9_EESK_S10_SL_SM_SN_EUlS10_E0_NS1_11comp_targetILNS1_3genE2ELNS1_11target_archE906ELNS1_3gpuE6ELNS1_3repE0EEENS1_38merge_mergepath_config_static_selectorELNS0_4arch9wavefront6targetE1EEEvSM_
                                        ; -- End function
	.section	.AMDGPU.csdata,"",@progbits
; Kernel info:
; codeLenInByte = 0
; NumSgprs: 6
; NumVgprs: 0
; NumAgprs: 0
; TotalNumVgprs: 0
; ScratchSize: 0
; MemoryBound: 0
; FloatMode: 240
; IeeeMode: 1
; LDSByteSize: 0 bytes/workgroup (compile time only)
; SGPRBlocks: 0
; VGPRBlocks: 0
; NumSGPRsForWavesPerEU: 6
; NumVGPRsForWavesPerEU: 1
; AccumOffset: 4
; Occupancy: 8
; WaveLimiterHint : 0
; COMPUTE_PGM_RSRC2:SCRATCH_EN: 0
; COMPUTE_PGM_RSRC2:USER_SGPR: 2
; COMPUTE_PGM_RSRC2:TRAP_HANDLER: 0
; COMPUTE_PGM_RSRC2:TGID_X_EN: 1
; COMPUTE_PGM_RSRC2:TGID_Y_EN: 0
; COMPUTE_PGM_RSRC2:TGID_Z_EN: 0
; COMPUTE_PGM_RSRC2:TIDIG_COMP_CNT: 0
; COMPUTE_PGM_RSRC3_GFX90A:ACCUM_OFFSET: 0
; COMPUTE_PGM_RSRC3_GFX90A:TG_SPLIT: 0
	.section	.text._ZN7rocprim17ROCPRIM_400000_NS6detail17trampoline_kernelINS0_14default_configENS1_38merge_sort_block_merge_config_selectorIlNS0_10empty_typeEEEZZNS1_27merge_sort_block_merge_implIS3_PlPS5_mZN2at6native12_GLOBAL__N_124unique_dim_cuda_templateIsEESt5tupleIJNSA_6TensorESF_SF_EERKSF_lbbbEUlllE_EE10hipError_tT0_T1_T2_jT3_P12ihipStream_tbPNSt15iterator_traitsISL_E10value_typeEPNSR_ISM_E10value_typeEPSN_NS1_7vsmem_tEENKUlT_SL_SM_SN_E_clIS8_S8_S9_S9_EESK_S10_SL_SM_SN_EUlS10_E0_NS1_11comp_targetILNS1_3genE9ELNS1_11target_archE1100ELNS1_3gpuE3ELNS1_3repE0EEENS1_38merge_mergepath_config_static_selectorELNS0_4arch9wavefront6targetE1EEEvSM_,"axG",@progbits,_ZN7rocprim17ROCPRIM_400000_NS6detail17trampoline_kernelINS0_14default_configENS1_38merge_sort_block_merge_config_selectorIlNS0_10empty_typeEEEZZNS1_27merge_sort_block_merge_implIS3_PlPS5_mZN2at6native12_GLOBAL__N_124unique_dim_cuda_templateIsEESt5tupleIJNSA_6TensorESF_SF_EERKSF_lbbbEUlllE_EE10hipError_tT0_T1_T2_jT3_P12ihipStream_tbPNSt15iterator_traitsISL_E10value_typeEPNSR_ISM_E10value_typeEPSN_NS1_7vsmem_tEENKUlT_SL_SM_SN_E_clIS8_S8_S9_S9_EESK_S10_SL_SM_SN_EUlS10_E0_NS1_11comp_targetILNS1_3genE9ELNS1_11target_archE1100ELNS1_3gpuE3ELNS1_3repE0EEENS1_38merge_mergepath_config_static_selectorELNS0_4arch9wavefront6targetE1EEEvSM_,comdat
	.globl	_ZN7rocprim17ROCPRIM_400000_NS6detail17trampoline_kernelINS0_14default_configENS1_38merge_sort_block_merge_config_selectorIlNS0_10empty_typeEEEZZNS1_27merge_sort_block_merge_implIS3_PlPS5_mZN2at6native12_GLOBAL__N_124unique_dim_cuda_templateIsEESt5tupleIJNSA_6TensorESF_SF_EERKSF_lbbbEUlllE_EE10hipError_tT0_T1_T2_jT3_P12ihipStream_tbPNSt15iterator_traitsISL_E10value_typeEPNSR_ISM_E10value_typeEPSN_NS1_7vsmem_tEENKUlT_SL_SM_SN_E_clIS8_S8_S9_S9_EESK_S10_SL_SM_SN_EUlS10_E0_NS1_11comp_targetILNS1_3genE9ELNS1_11target_archE1100ELNS1_3gpuE3ELNS1_3repE0EEENS1_38merge_mergepath_config_static_selectorELNS0_4arch9wavefront6targetE1EEEvSM_ ; -- Begin function _ZN7rocprim17ROCPRIM_400000_NS6detail17trampoline_kernelINS0_14default_configENS1_38merge_sort_block_merge_config_selectorIlNS0_10empty_typeEEEZZNS1_27merge_sort_block_merge_implIS3_PlPS5_mZN2at6native12_GLOBAL__N_124unique_dim_cuda_templateIsEESt5tupleIJNSA_6TensorESF_SF_EERKSF_lbbbEUlllE_EE10hipError_tT0_T1_T2_jT3_P12ihipStream_tbPNSt15iterator_traitsISL_E10value_typeEPNSR_ISM_E10value_typeEPSN_NS1_7vsmem_tEENKUlT_SL_SM_SN_E_clIS8_S8_S9_S9_EESK_S10_SL_SM_SN_EUlS10_E0_NS1_11comp_targetILNS1_3genE9ELNS1_11target_archE1100ELNS1_3gpuE3ELNS1_3repE0EEENS1_38merge_mergepath_config_static_selectorELNS0_4arch9wavefront6targetE1EEEvSM_
	.p2align	8
	.type	_ZN7rocprim17ROCPRIM_400000_NS6detail17trampoline_kernelINS0_14default_configENS1_38merge_sort_block_merge_config_selectorIlNS0_10empty_typeEEEZZNS1_27merge_sort_block_merge_implIS3_PlPS5_mZN2at6native12_GLOBAL__N_124unique_dim_cuda_templateIsEESt5tupleIJNSA_6TensorESF_SF_EERKSF_lbbbEUlllE_EE10hipError_tT0_T1_T2_jT3_P12ihipStream_tbPNSt15iterator_traitsISL_E10value_typeEPNSR_ISM_E10value_typeEPSN_NS1_7vsmem_tEENKUlT_SL_SM_SN_E_clIS8_S8_S9_S9_EESK_S10_SL_SM_SN_EUlS10_E0_NS1_11comp_targetILNS1_3genE9ELNS1_11target_archE1100ELNS1_3gpuE3ELNS1_3repE0EEENS1_38merge_mergepath_config_static_selectorELNS0_4arch9wavefront6targetE1EEEvSM_,@function
_ZN7rocprim17ROCPRIM_400000_NS6detail17trampoline_kernelINS0_14default_configENS1_38merge_sort_block_merge_config_selectorIlNS0_10empty_typeEEEZZNS1_27merge_sort_block_merge_implIS3_PlPS5_mZN2at6native12_GLOBAL__N_124unique_dim_cuda_templateIsEESt5tupleIJNSA_6TensorESF_SF_EERKSF_lbbbEUlllE_EE10hipError_tT0_T1_T2_jT3_P12ihipStream_tbPNSt15iterator_traitsISL_E10value_typeEPNSR_ISM_E10value_typeEPSN_NS1_7vsmem_tEENKUlT_SL_SM_SN_E_clIS8_S8_S9_S9_EESK_S10_SL_SM_SN_EUlS10_E0_NS1_11comp_targetILNS1_3genE9ELNS1_11target_archE1100ELNS1_3gpuE3ELNS1_3repE0EEENS1_38merge_mergepath_config_static_selectorELNS0_4arch9wavefront6targetE1EEEvSM_: ; @_ZN7rocprim17ROCPRIM_400000_NS6detail17trampoline_kernelINS0_14default_configENS1_38merge_sort_block_merge_config_selectorIlNS0_10empty_typeEEEZZNS1_27merge_sort_block_merge_implIS3_PlPS5_mZN2at6native12_GLOBAL__N_124unique_dim_cuda_templateIsEESt5tupleIJNSA_6TensorESF_SF_EERKSF_lbbbEUlllE_EE10hipError_tT0_T1_T2_jT3_P12ihipStream_tbPNSt15iterator_traitsISL_E10value_typeEPNSR_ISM_E10value_typeEPSN_NS1_7vsmem_tEENKUlT_SL_SM_SN_E_clIS8_S8_S9_S9_EESK_S10_SL_SM_SN_EUlS10_E0_NS1_11comp_targetILNS1_3genE9ELNS1_11target_archE1100ELNS1_3gpuE3ELNS1_3repE0EEENS1_38merge_mergepath_config_static_selectorELNS0_4arch9wavefront6targetE1EEEvSM_
; %bb.0:
	.section	.rodata,"a",@progbits
	.p2align	6, 0x0
	.amdhsa_kernel _ZN7rocprim17ROCPRIM_400000_NS6detail17trampoline_kernelINS0_14default_configENS1_38merge_sort_block_merge_config_selectorIlNS0_10empty_typeEEEZZNS1_27merge_sort_block_merge_implIS3_PlPS5_mZN2at6native12_GLOBAL__N_124unique_dim_cuda_templateIsEESt5tupleIJNSA_6TensorESF_SF_EERKSF_lbbbEUlllE_EE10hipError_tT0_T1_T2_jT3_P12ihipStream_tbPNSt15iterator_traitsISL_E10value_typeEPNSR_ISM_E10value_typeEPSN_NS1_7vsmem_tEENKUlT_SL_SM_SN_E_clIS8_S8_S9_S9_EESK_S10_SL_SM_SN_EUlS10_E0_NS1_11comp_targetILNS1_3genE9ELNS1_11target_archE1100ELNS1_3gpuE3ELNS1_3repE0EEENS1_38merge_mergepath_config_static_selectorELNS0_4arch9wavefront6targetE1EEEvSM_
		.amdhsa_group_segment_fixed_size 0
		.amdhsa_private_segment_fixed_size 0
		.amdhsa_kernarg_size 88
		.amdhsa_user_sgpr_count 2
		.amdhsa_user_sgpr_dispatch_ptr 0
		.amdhsa_user_sgpr_queue_ptr 0
		.amdhsa_user_sgpr_kernarg_segment_ptr 1
		.amdhsa_user_sgpr_dispatch_id 0
		.amdhsa_user_sgpr_kernarg_preload_length 0
		.amdhsa_user_sgpr_kernarg_preload_offset 0
		.amdhsa_user_sgpr_private_segment_size 0
		.amdhsa_uses_dynamic_stack 0
		.amdhsa_enable_private_segment 0
		.amdhsa_system_sgpr_workgroup_id_x 1
		.amdhsa_system_sgpr_workgroup_id_y 0
		.amdhsa_system_sgpr_workgroup_id_z 0
		.amdhsa_system_sgpr_workgroup_info 0
		.amdhsa_system_vgpr_workitem_id 0
		.amdhsa_next_free_vgpr 1
		.amdhsa_next_free_sgpr 0
		.amdhsa_accum_offset 4
		.amdhsa_reserve_vcc 0
		.amdhsa_float_round_mode_32 0
		.amdhsa_float_round_mode_16_64 0
		.amdhsa_float_denorm_mode_32 3
		.amdhsa_float_denorm_mode_16_64 3
		.amdhsa_dx10_clamp 1
		.amdhsa_ieee_mode 1
		.amdhsa_fp16_overflow 0
		.amdhsa_tg_split 0
		.amdhsa_exception_fp_ieee_invalid_op 0
		.amdhsa_exception_fp_denorm_src 0
		.amdhsa_exception_fp_ieee_div_zero 0
		.amdhsa_exception_fp_ieee_overflow 0
		.amdhsa_exception_fp_ieee_underflow 0
		.amdhsa_exception_fp_ieee_inexact 0
		.amdhsa_exception_int_div_zero 0
	.end_amdhsa_kernel
	.section	.text._ZN7rocprim17ROCPRIM_400000_NS6detail17trampoline_kernelINS0_14default_configENS1_38merge_sort_block_merge_config_selectorIlNS0_10empty_typeEEEZZNS1_27merge_sort_block_merge_implIS3_PlPS5_mZN2at6native12_GLOBAL__N_124unique_dim_cuda_templateIsEESt5tupleIJNSA_6TensorESF_SF_EERKSF_lbbbEUlllE_EE10hipError_tT0_T1_T2_jT3_P12ihipStream_tbPNSt15iterator_traitsISL_E10value_typeEPNSR_ISM_E10value_typeEPSN_NS1_7vsmem_tEENKUlT_SL_SM_SN_E_clIS8_S8_S9_S9_EESK_S10_SL_SM_SN_EUlS10_E0_NS1_11comp_targetILNS1_3genE9ELNS1_11target_archE1100ELNS1_3gpuE3ELNS1_3repE0EEENS1_38merge_mergepath_config_static_selectorELNS0_4arch9wavefront6targetE1EEEvSM_,"axG",@progbits,_ZN7rocprim17ROCPRIM_400000_NS6detail17trampoline_kernelINS0_14default_configENS1_38merge_sort_block_merge_config_selectorIlNS0_10empty_typeEEEZZNS1_27merge_sort_block_merge_implIS3_PlPS5_mZN2at6native12_GLOBAL__N_124unique_dim_cuda_templateIsEESt5tupleIJNSA_6TensorESF_SF_EERKSF_lbbbEUlllE_EE10hipError_tT0_T1_T2_jT3_P12ihipStream_tbPNSt15iterator_traitsISL_E10value_typeEPNSR_ISM_E10value_typeEPSN_NS1_7vsmem_tEENKUlT_SL_SM_SN_E_clIS8_S8_S9_S9_EESK_S10_SL_SM_SN_EUlS10_E0_NS1_11comp_targetILNS1_3genE9ELNS1_11target_archE1100ELNS1_3gpuE3ELNS1_3repE0EEENS1_38merge_mergepath_config_static_selectorELNS0_4arch9wavefront6targetE1EEEvSM_,comdat
.Lfunc_end655:
	.size	_ZN7rocprim17ROCPRIM_400000_NS6detail17trampoline_kernelINS0_14default_configENS1_38merge_sort_block_merge_config_selectorIlNS0_10empty_typeEEEZZNS1_27merge_sort_block_merge_implIS3_PlPS5_mZN2at6native12_GLOBAL__N_124unique_dim_cuda_templateIsEESt5tupleIJNSA_6TensorESF_SF_EERKSF_lbbbEUlllE_EE10hipError_tT0_T1_T2_jT3_P12ihipStream_tbPNSt15iterator_traitsISL_E10value_typeEPNSR_ISM_E10value_typeEPSN_NS1_7vsmem_tEENKUlT_SL_SM_SN_E_clIS8_S8_S9_S9_EESK_S10_SL_SM_SN_EUlS10_E0_NS1_11comp_targetILNS1_3genE9ELNS1_11target_archE1100ELNS1_3gpuE3ELNS1_3repE0EEENS1_38merge_mergepath_config_static_selectorELNS0_4arch9wavefront6targetE1EEEvSM_, .Lfunc_end655-_ZN7rocprim17ROCPRIM_400000_NS6detail17trampoline_kernelINS0_14default_configENS1_38merge_sort_block_merge_config_selectorIlNS0_10empty_typeEEEZZNS1_27merge_sort_block_merge_implIS3_PlPS5_mZN2at6native12_GLOBAL__N_124unique_dim_cuda_templateIsEESt5tupleIJNSA_6TensorESF_SF_EERKSF_lbbbEUlllE_EE10hipError_tT0_T1_T2_jT3_P12ihipStream_tbPNSt15iterator_traitsISL_E10value_typeEPNSR_ISM_E10value_typeEPSN_NS1_7vsmem_tEENKUlT_SL_SM_SN_E_clIS8_S8_S9_S9_EESK_S10_SL_SM_SN_EUlS10_E0_NS1_11comp_targetILNS1_3genE9ELNS1_11target_archE1100ELNS1_3gpuE3ELNS1_3repE0EEENS1_38merge_mergepath_config_static_selectorELNS0_4arch9wavefront6targetE1EEEvSM_
                                        ; -- End function
	.section	.AMDGPU.csdata,"",@progbits
; Kernel info:
; codeLenInByte = 0
; NumSgprs: 6
; NumVgprs: 0
; NumAgprs: 0
; TotalNumVgprs: 0
; ScratchSize: 0
; MemoryBound: 0
; FloatMode: 240
; IeeeMode: 1
; LDSByteSize: 0 bytes/workgroup (compile time only)
; SGPRBlocks: 0
; VGPRBlocks: 0
; NumSGPRsForWavesPerEU: 6
; NumVGPRsForWavesPerEU: 1
; AccumOffset: 4
; Occupancy: 8
; WaveLimiterHint : 0
; COMPUTE_PGM_RSRC2:SCRATCH_EN: 0
; COMPUTE_PGM_RSRC2:USER_SGPR: 2
; COMPUTE_PGM_RSRC2:TRAP_HANDLER: 0
; COMPUTE_PGM_RSRC2:TGID_X_EN: 1
; COMPUTE_PGM_RSRC2:TGID_Y_EN: 0
; COMPUTE_PGM_RSRC2:TGID_Z_EN: 0
; COMPUTE_PGM_RSRC2:TIDIG_COMP_CNT: 0
; COMPUTE_PGM_RSRC3_GFX90A:ACCUM_OFFSET: 0
; COMPUTE_PGM_RSRC3_GFX90A:TG_SPLIT: 0
	.section	.text._ZN7rocprim17ROCPRIM_400000_NS6detail17trampoline_kernelINS0_14default_configENS1_38merge_sort_block_merge_config_selectorIlNS0_10empty_typeEEEZZNS1_27merge_sort_block_merge_implIS3_PlPS5_mZN2at6native12_GLOBAL__N_124unique_dim_cuda_templateIsEESt5tupleIJNSA_6TensorESF_SF_EERKSF_lbbbEUlllE_EE10hipError_tT0_T1_T2_jT3_P12ihipStream_tbPNSt15iterator_traitsISL_E10value_typeEPNSR_ISM_E10value_typeEPSN_NS1_7vsmem_tEENKUlT_SL_SM_SN_E_clIS8_S8_S9_S9_EESK_S10_SL_SM_SN_EUlS10_E0_NS1_11comp_targetILNS1_3genE8ELNS1_11target_archE1030ELNS1_3gpuE2ELNS1_3repE0EEENS1_38merge_mergepath_config_static_selectorELNS0_4arch9wavefront6targetE1EEEvSM_,"axG",@progbits,_ZN7rocprim17ROCPRIM_400000_NS6detail17trampoline_kernelINS0_14default_configENS1_38merge_sort_block_merge_config_selectorIlNS0_10empty_typeEEEZZNS1_27merge_sort_block_merge_implIS3_PlPS5_mZN2at6native12_GLOBAL__N_124unique_dim_cuda_templateIsEESt5tupleIJNSA_6TensorESF_SF_EERKSF_lbbbEUlllE_EE10hipError_tT0_T1_T2_jT3_P12ihipStream_tbPNSt15iterator_traitsISL_E10value_typeEPNSR_ISM_E10value_typeEPSN_NS1_7vsmem_tEENKUlT_SL_SM_SN_E_clIS8_S8_S9_S9_EESK_S10_SL_SM_SN_EUlS10_E0_NS1_11comp_targetILNS1_3genE8ELNS1_11target_archE1030ELNS1_3gpuE2ELNS1_3repE0EEENS1_38merge_mergepath_config_static_selectorELNS0_4arch9wavefront6targetE1EEEvSM_,comdat
	.globl	_ZN7rocprim17ROCPRIM_400000_NS6detail17trampoline_kernelINS0_14default_configENS1_38merge_sort_block_merge_config_selectorIlNS0_10empty_typeEEEZZNS1_27merge_sort_block_merge_implIS3_PlPS5_mZN2at6native12_GLOBAL__N_124unique_dim_cuda_templateIsEESt5tupleIJNSA_6TensorESF_SF_EERKSF_lbbbEUlllE_EE10hipError_tT0_T1_T2_jT3_P12ihipStream_tbPNSt15iterator_traitsISL_E10value_typeEPNSR_ISM_E10value_typeEPSN_NS1_7vsmem_tEENKUlT_SL_SM_SN_E_clIS8_S8_S9_S9_EESK_S10_SL_SM_SN_EUlS10_E0_NS1_11comp_targetILNS1_3genE8ELNS1_11target_archE1030ELNS1_3gpuE2ELNS1_3repE0EEENS1_38merge_mergepath_config_static_selectorELNS0_4arch9wavefront6targetE1EEEvSM_ ; -- Begin function _ZN7rocprim17ROCPRIM_400000_NS6detail17trampoline_kernelINS0_14default_configENS1_38merge_sort_block_merge_config_selectorIlNS0_10empty_typeEEEZZNS1_27merge_sort_block_merge_implIS3_PlPS5_mZN2at6native12_GLOBAL__N_124unique_dim_cuda_templateIsEESt5tupleIJNSA_6TensorESF_SF_EERKSF_lbbbEUlllE_EE10hipError_tT0_T1_T2_jT3_P12ihipStream_tbPNSt15iterator_traitsISL_E10value_typeEPNSR_ISM_E10value_typeEPSN_NS1_7vsmem_tEENKUlT_SL_SM_SN_E_clIS8_S8_S9_S9_EESK_S10_SL_SM_SN_EUlS10_E0_NS1_11comp_targetILNS1_3genE8ELNS1_11target_archE1030ELNS1_3gpuE2ELNS1_3repE0EEENS1_38merge_mergepath_config_static_selectorELNS0_4arch9wavefront6targetE1EEEvSM_
	.p2align	8
	.type	_ZN7rocprim17ROCPRIM_400000_NS6detail17trampoline_kernelINS0_14default_configENS1_38merge_sort_block_merge_config_selectorIlNS0_10empty_typeEEEZZNS1_27merge_sort_block_merge_implIS3_PlPS5_mZN2at6native12_GLOBAL__N_124unique_dim_cuda_templateIsEESt5tupleIJNSA_6TensorESF_SF_EERKSF_lbbbEUlllE_EE10hipError_tT0_T1_T2_jT3_P12ihipStream_tbPNSt15iterator_traitsISL_E10value_typeEPNSR_ISM_E10value_typeEPSN_NS1_7vsmem_tEENKUlT_SL_SM_SN_E_clIS8_S8_S9_S9_EESK_S10_SL_SM_SN_EUlS10_E0_NS1_11comp_targetILNS1_3genE8ELNS1_11target_archE1030ELNS1_3gpuE2ELNS1_3repE0EEENS1_38merge_mergepath_config_static_selectorELNS0_4arch9wavefront6targetE1EEEvSM_,@function
_ZN7rocprim17ROCPRIM_400000_NS6detail17trampoline_kernelINS0_14default_configENS1_38merge_sort_block_merge_config_selectorIlNS0_10empty_typeEEEZZNS1_27merge_sort_block_merge_implIS3_PlPS5_mZN2at6native12_GLOBAL__N_124unique_dim_cuda_templateIsEESt5tupleIJNSA_6TensorESF_SF_EERKSF_lbbbEUlllE_EE10hipError_tT0_T1_T2_jT3_P12ihipStream_tbPNSt15iterator_traitsISL_E10value_typeEPNSR_ISM_E10value_typeEPSN_NS1_7vsmem_tEENKUlT_SL_SM_SN_E_clIS8_S8_S9_S9_EESK_S10_SL_SM_SN_EUlS10_E0_NS1_11comp_targetILNS1_3genE8ELNS1_11target_archE1030ELNS1_3gpuE2ELNS1_3repE0EEENS1_38merge_mergepath_config_static_selectorELNS0_4arch9wavefront6targetE1EEEvSM_: ; @_ZN7rocprim17ROCPRIM_400000_NS6detail17trampoline_kernelINS0_14default_configENS1_38merge_sort_block_merge_config_selectorIlNS0_10empty_typeEEEZZNS1_27merge_sort_block_merge_implIS3_PlPS5_mZN2at6native12_GLOBAL__N_124unique_dim_cuda_templateIsEESt5tupleIJNSA_6TensorESF_SF_EERKSF_lbbbEUlllE_EE10hipError_tT0_T1_T2_jT3_P12ihipStream_tbPNSt15iterator_traitsISL_E10value_typeEPNSR_ISM_E10value_typeEPSN_NS1_7vsmem_tEENKUlT_SL_SM_SN_E_clIS8_S8_S9_S9_EESK_S10_SL_SM_SN_EUlS10_E0_NS1_11comp_targetILNS1_3genE8ELNS1_11target_archE1030ELNS1_3gpuE2ELNS1_3repE0EEENS1_38merge_mergepath_config_static_selectorELNS0_4arch9wavefront6targetE1EEEvSM_
; %bb.0:
	.section	.rodata,"a",@progbits
	.p2align	6, 0x0
	.amdhsa_kernel _ZN7rocprim17ROCPRIM_400000_NS6detail17trampoline_kernelINS0_14default_configENS1_38merge_sort_block_merge_config_selectorIlNS0_10empty_typeEEEZZNS1_27merge_sort_block_merge_implIS3_PlPS5_mZN2at6native12_GLOBAL__N_124unique_dim_cuda_templateIsEESt5tupleIJNSA_6TensorESF_SF_EERKSF_lbbbEUlllE_EE10hipError_tT0_T1_T2_jT3_P12ihipStream_tbPNSt15iterator_traitsISL_E10value_typeEPNSR_ISM_E10value_typeEPSN_NS1_7vsmem_tEENKUlT_SL_SM_SN_E_clIS8_S8_S9_S9_EESK_S10_SL_SM_SN_EUlS10_E0_NS1_11comp_targetILNS1_3genE8ELNS1_11target_archE1030ELNS1_3gpuE2ELNS1_3repE0EEENS1_38merge_mergepath_config_static_selectorELNS0_4arch9wavefront6targetE1EEEvSM_
		.amdhsa_group_segment_fixed_size 0
		.amdhsa_private_segment_fixed_size 0
		.amdhsa_kernarg_size 88
		.amdhsa_user_sgpr_count 2
		.amdhsa_user_sgpr_dispatch_ptr 0
		.amdhsa_user_sgpr_queue_ptr 0
		.amdhsa_user_sgpr_kernarg_segment_ptr 1
		.amdhsa_user_sgpr_dispatch_id 0
		.amdhsa_user_sgpr_kernarg_preload_length 0
		.amdhsa_user_sgpr_kernarg_preload_offset 0
		.amdhsa_user_sgpr_private_segment_size 0
		.amdhsa_uses_dynamic_stack 0
		.amdhsa_enable_private_segment 0
		.amdhsa_system_sgpr_workgroup_id_x 1
		.amdhsa_system_sgpr_workgroup_id_y 0
		.amdhsa_system_sgpr_workgroup_id_z 0
		.amdhsa_system_sgpr_workgroup_info 0
		.amdhsa_system_vgpr_workitem_id 0
		.amdhsa_next_free_vgpr 1
		.amdhsa_next_free_sgpr 0
		.amdhsa_accum_offset 4
		.amdhsa_reserve_vcc 0
		.amdhsa_float_round_mode_32 0
		.amdhsa_float_round_mode_16_64 0
		.amdhsa_float_denorm_mode_32 3
		.amdhsa_float_denorm_mode_16_64 3
		.amdhsa_dx10_clamp 1
		.amdhsa_ieee_mode 1
		.amdhsa_fp16_overflow 0
		.amdhsa_tg_split 0
		.amdhsa_exception_fp_ieee_invalid_op 0
		.amdhsa_exception_fp_denorm_src 0
		.amdhsa_exception_fp_ieee_div_zero 0
		.amdhsa_exception_fp_ieee_overflow 0
		.amdhsa_exception_fp_ieee_underflow 0
		.amdhsa_exception_fp_ieee_inexact 0
		.amdhsa_exception_int_div_zero 0
	.end_amdhsa_kernel
	.section	.text._ZN7rocprim17ROCPRIM_400000_NS6detail17trampoline_kernelINS0_14default_configENS1_38merge_sort_block_merge_config_selectorIlNS0_10empty_typeEEEZZNS1_27merge_sort_block_merge_implIS3_PlPS5_mZN2at6native12_GLOBAL__N_124unique_dim_cuda_templateIsEESt5tupleIJNSA_6TensorESF_SF_EERKSF_lbbbEUlllE_EE10hipError_tT0_T1_T2_jT3_P12ihipStream_tbPNSt15iterator_traitsISL_E10value_typeEPNSR_ISM_E10value_typeEPSN_NS1_7vsmem_tEENKUlT_SL_SM_SN_E_clIS8_S8_S9_S9_EESK_S10_SL_SM_SN_EUlS10_E0_NS1_11comp_targetILNS1_3genE8ELNS1_11target_archE1030ELNS1_3gpuE2ELNS1_3repE0EEENS1_38merge_mergepath_config_static_selectorELNS0_4arch9wavefront6targetE1EEEvSM_,"axG",@progbits,_ZN7rocprim17ROCPRIM_400000_NS6detail17trampoline_kernelINS0_14default_configENS1_38merge_sort_block_merge_config_selectorIlNS0_10empty_typeEEEZZNS1_27merge_sort_block_merge_implIS3_PlPS5_mZN2at6native12_GLOBAL__N_124unique_dim_cuda_templateIsEESt5tupleIJNSA_6TensorESF_SF_EERKSF_lbbbEUlllE_EE10hipError_tT0_T1_T2_jT3_P12ihipStream_tbPNSt15iterator_traitsISL_E10value_typeEPNSR_ISM_E10value_typeEPSN_NS1_7vsmem_tEENKUlT_SL_SM_SN_E_clIS8_S8_S9_S9_EESK_S10_SL_SM_SN_EUlS10_E0_NS1_11comp_targetILNS1_3genE8ELNS1_11target_archE1030ELNS1_3gpuE2ELNS1_3repE0EEENS1_38merge_mergepath_config_static_selectorELNS0_4arch9wavefront6targetE1EEEvSM_,comdat
.Lfunc_end656:
	.size	_ZN7rocprim17ROCPRIM_400000_NS6detail17trampoline_kernelINS0_14default_configENS1_38merge_sort_block_merge_config_selectorIlNS0_10empty_typeEEEZZNS1_27merge_sort_block_merge_implIS3_PlPS5_mZN2at6native12_GLOBAL__N_124unique_dim_cuda_templateIsEESt5tupleIJNSA_6TensorESF_SF_EERKSF_lbbbEUlllE_EE10hipError_tT0_T1_T2_jT3_P12ihipStream_tbPNSt15iterator_traitsISL_E10value_typeEPNSR_ISM_E10value_typeEPSN_NS1_7vsmem_tEENKUlT_SL_SM_SN_E_clIS8_S8_S9_S9_EESK_S10_SL_SM_SN_EUlS10_E0_NS1_11comp_targetILNS1_3genE8ELNS1_11target_archE1030ELNS1_3gpuE2ELNS1_3repE0EEENS1_38merge_mergepath_config_static_selectorELNS0_4arch9wavefront6targetE1EEEvSM_, .Lfunc_end656-_ZN7rocprim17ROCPRIM_400000_NS6detail17trampoline_kernelINS0_14default_configENS1_38merge_sort_block_merge_config_selectorIlNS0_10empty_typeEEEZZNS1_27merge_sort_block_merge_implIS3_PlPS5_mZN2at6native12_GLOBAL__N_124unique_dim_cuda_templateIsEESt5tupleIJNSA_6TensorESF_SF_EERKSF_lbbbEUlllE_EE10hipError_tT0_T1_T2_jT3_P12ihipStream_tbPNSt15iterator_traitsISL_E10value_typeEPNSR_ISM_E10value_typeEPSN_NS1_7vsmem_tEENKUlT_SL_SM_SN_E_clIS8_S8_S9_S9_EESK_S10_SL_SM_SN_EUlS10_E0_NS1_11comp_targetILNS1_3genE8ELNS1_11target_archE1030ELNS1_3gpuE2ELNS1_3repE0EEENS1_38merge_mergepath_config_static_selectorELNS0_4arch9wavefront6targetE1EEEvSM_
                                        ; -- End function
	.section	.AMDGPU.csdata,"",@progbits
; Kernel info:
; codeLenInByte = 0
; NumSgprs: 6
; NumVgprs: 0
; NumAgprs: 0
; TotalNumVgprs: 0
; ScratchSize: 0
; MemoryBound: 0
; FloatMode: 240
; IeeeMode: 1
; LDSByteSize: 0 bytes/workgroup (compile time only)
; SGPRBlocks: 0
; VGPRBlocks: 0
; NumSGPRsForWavesPerEU: 6
; NumVGPRsForWavesPerEU: 1
; AccumOffset: 4
; Occupancy: 8
; WaveLimiterHint : 0
; COMPUTE_PGM_RSRC2:SCRATCH_EN: 0
; COMPUTE_PGM_RSRC2:USER_SGPR: 2
; COMPUTE_PGM_RSRC2:TRAP_HANDLER: 0
; COMPUTE_PGM_RSRC2:TGID_X_EN: 1
; COMPUTE_PGM_RSRC2:TGID_Y_EN: 0
; COMPUTE_PGM_RSRC2:TGID_Z_EN: 0
; COMPUTE_PGM_RSRC2:TIDIG_COMP_CNT: 0
; COMPUTE_PGM_RSRC3_GFX90A:ACCUM_OFFSET: 0
; COMPUTE_PGM_RSRC3_GFX90A:TG_SPLIT: 0
	.section	.text._ZN7rocprim17ROCPRIM_400000_NS6detail17trampoline_kernelINS0_14default_configENS1_38merge_sort_block_merge_config_selectorIlNS0_10empty_typeEEEZZNS1_27merge_sort_block_merge_implIS3_PlPS5_mZN2at6native12_GLOBAL__N_124unique_dim_cuda_templateIsEESt5tupleIJNSA_6TensorESF_SF_EERKSF_lbbbEUlllE_EE10hipError_tT0_T1_T2_jT3_P12ihipStream_tbPNSt15iterator_traitsISL_E10value_typeEPNSR_ISM_E10value_typeEPSN_NS1_7vsmem_tEENKUlT_SL_SM_SN_E_clIS8_S8_S9_S9_EESK_S10_SL_SM_SN_EUlS10_E1_NS1_11comp_targetILNS1_3genE0ELNS1_11target_archE4294967295ELNS1_3gpuE0ELNS1_3repE0EEENS1_36merge_oddeven_config_static_selectorELNS0_4arch9wavefront6targetE1EEEvSM_,"axG",@progbits,_ZN7rocprim17ROCPRIM_400000_NS6detail17trampoline_kernelINS0_14default_configENS1_38merge_sort_block_merge_config_selectorIlNS0_10empty_typeEEEZZNS1_27merge_sort_block_merge_implIS3_PlPS5_mZN2at6native12_GLOBAL__N_124unique_dim_cuda_templateIsEESt5tupleIJNSA_6TensorESF_SF_EERKSF_lbbbEUlllE_EE10hipError_tT0_T1_T2_jT3_P12ihipStream_tbPNSt15iterator_traitsISL_E10value_typeEPNSR_ISM_E10value_typeEPSN_NS1_7vsmem_tEENKUlT_SL_SM_SN_E_clIS8_S8_S9_S9_EESK_S10_SL_SM_SN_EUlS10_E1_NS1_11comp_targetILNS1_3genE0ELNS1_11target_archE4294967295ELNS1_3gpuE0ELNS1_3repE0EEENS1_36merge_oddeven_config_static_selectorELNS0_4arch9wavefront6targetE1EEEvSM_,comdat
	.globl	_ZN7rocprim17ROCPRIM_400000_NS6detail17trampoline_kernelINS0_14default_configENS1_38merge_sort_block_merge_config_selectorIlNS0_10empty_typeEEEZZNS1_27merge_sort_block_merge_implIS3_PlPS5_mZN2at6native12_GLOBAL__N_124unique_dim_cuda_templateIsEESt5tupleIJNSA_6TensorESF_SF_EERKSF_lbbbEUlllE_EE10hipError_tT0_T1_T2_jT3_P12ihipStream_tbPNSt15iterator_traitsISL_E10value_typeEPNSR_ISM_E10value_typeEPSN_NS1_7vsmem_tEENKUlT_SL_SM_SN_E_clIS8_S8_S9_S9_EESK_S10_SL_SM_SN_EUlS10_E1_NS1_11comp_targetILNS1_3genE0ELNS1_11target_archE4294967295ELNS1_3gpuE0ELNS1_3repE0EEENS1_36merge_oddeven_config_static_selectorELNS0_4arch9wavefront6targetE1EEEvSM_ ; -- Begin function _ZN7rocprim17ROCPRIM_400000_NS6detail17trampoline_kernelINS0_14default_configENS1_38merge_sort_block_merge_config_selectorIlNS0_10empty_typeEEEZZNS1_27merge_sort_block_merge_implIS3_PlPS5_mZN2at6native12_GLOBAL__N_124unique_dim_cuda_templateIsEESt5tupleIJNSA_6TensorESF_SF_EERKSF_lbbbEUlllE_EE10hipError_tT0_T1_T2_jT3_P12ihipStream_tbPNSt15iterator_traitsISL_E10value_typeEPNSR_ISM_E10value_typeEPSN_NS1_7vsmem_tEENKUlT_SL_SM_SN_E_clIS8_S8_S9_S9_EESK_S10_SL_SM_SN_EUlS10_E1_NS1_11comp_targetILNS1_3genE0ELNS1_11target_archE4294967295ELNS1_3gpuE0ELNS1_3repE0EEENS1_36merge_oddeven_config_static_selectorELNS0_4arch9wavefront6targetE1EEEvSM_
	.p2align	8
	.type	_ZN7rocprim17ROCPRIM_400000_NS6detail17trampoline_kernelINS0_14default_configENS1_38merge_sort_block_merge_config_selectorIlNS0_10empty_typeEEEZZNS1_27merge_sort_block_merge_implIS3_PlPS5_mZN2at6native12_GLOBAL__N_124unique_dim_cuda_templateIsEESt5tupleIJNSA_6TensorESF_SF_EERKSF_lbbbEUlllE_EE10hipError_tT0_T1_T2_jT3_P12ihipStream_tbPNSt15iterator_traitsISL_E10value_typeEPNSR_ISM_E10value_typeEPSN_NS1_7vsmem_tEENKUlT_SL_SM_SN_E_clIS8_S8_S9_S9_EESK_S10_SL_SM_SN_EUlS10_E1_NS1_11comp_targetILNS1_3genE0ELNS1_11target_archE4294967295ELNS1_3gpuE0ELNS1_3repE0EEENS1_36merge_oddeven_config_static_selectorELNS0_4arch9wavefront6targetE1EEEvSM_,@function
_ZN7rocprim17ROCPRIM_400000_NS6detail17trampoline_kernelINS0_14default_configENS1_38merge_sort_block_merge_config_selectorIlNS0_10empty_typeEEEZZNS1_27merge_sort_block_merge_implIS3_PlPS5_mZN2at6native12_GLOBAL__N_124unique_dim_cuda_templateIsEESt5tupleIJNSA_6TensorESF_SF_EERKSF_lbbbEUlllE_EE10hipError_tT0_T1_T2_jT3_P12ihipStream_tbPNSt15iterator_traitsISL_E10value_typeEPNSR_ISM_E10value_typeEPSN_NS1_7vsmem_tEENKUlT_SL_SM_SN_E_clIS8_S8_S9_S9_EESK_S10_SL_SM_SN_EUlS10_E1_NS1_11comp_targetILNS1_3genE0ELNS1_11target_archE4294967295ELNS1_3gpuE0ELNS1_3repE0EEENS1_36merge_oddeven_config_static_selectorELNS0_4arch9wavefront6targetE1EEEvSM_: ; @_ZN7rocprim17ROCPRIM_400000_NS6detail17trampoline_kernelINS0_14default_configENS1_38merge_sort_block_merge_config_selectorIlNS0_10empty_typeEEEZZNS1_27merge_sort_block_merge_implIS3_PlPS5_mZN2at6native12_GLOBAL__N_124unique_dim_cuda_templateIsEESt5tupleIJNSA_6TensorESF_SF_EERKSF_lbbbEUlllE_EE10hipError_tT0_T1_T2_jT3_P12ihipStream_tbPNSt15iterator_traitsISL_E10value_typeEPNSR_ISM_E10value_typeEPSN_NS1_7vsmem_tEENKUlT_SL_SM_SN_E_clIS8_S8_S9_S9_EESK_S10_SL_SM_SN_EUlS10_E1_NS1_11comp_targetILNS1_3genE0ELNS1_11target_archE4294967295ELNS1_3gpuE0ELNS1_3repE0EEENS1_36merge_oddeven_config_static_selectorELNS0_4arch9wavefront6targetE1EEEvSM_
; %bb.0:
	.section	.rodata,"a",@progbits
	.p2align	6, 0x0
	.amdhsa_kernel _ZN7rocprim17ROCPRIM_400000_NS6detail17trampoline_kernelINS0_14default_configENS1_38merge_sort_block_merge_config_selectorIlNS0_10empty_typeEEEZZNS1_27merge_sort_block_merge_implIS3_PlPS5_mZN2at6native12_GLOBAL__N_124unique_dim_cuda_templateIsEESt5tupleIJNSA_6TensorESF_SF_EERKSF_lbbbEUlllE_EE10hipError_tT0_T1_T2_jT3_P12ihipStream_tbPNSt15iterator_traitsISL_E10value_typeEPNSR_ISM_E10value_typeEPSN_NS1_7vsmem_tEENKUlT_SL_SM_SN_E_clIS8_S8_S9_S9_EESK_S10_SL_SM_SN_EUlS10_E1_NS1_11comp_targetILNS1_3genE0ELNS1_11target_archE4294967295ELNS1_3gpuE0ELNS1_3repE0EEENS1_36merge_oddeven_config_static_selectorELNS0_4arch9wavefront6targetE1EEEvSM_
		.amdhsa_group_segment_fixed_size 0
		.amdhsa_private_segment_fixed_size 0
		.amdhsa_kernarg_size 64
		.amdhsa_user_sgpr_count 2
		.amdhsa_user_sgpr_dispatch_ptr 0
		.amdhsa_user_sgpr_queue_ptr 0
		.amdhsa_user_sgpr_kernarg_segment_ptr 1
		.amdhsa_user_sgpr_dispatch_id 0
		.amdhsa_user_sgpr_kernarg_preload_length 0
		.amdhsa_user_sgpr_kernarg_preload_offset 0
		.amdhsa_user_sgpr_private_segment_size 0
		.amdhsa_uses_dynamic_stack 0
		.amdhsa_enable_private_segment 0
		.amdhsa_system_sgpr_workgroup_id_x 1
		.amdhsa_system_sgpr_workgroup_id_y 0
		.amdhsa_system_sgpr_workgroup_id_z 0
		.amdhsa_system_sgpr_workgroup_info 0
		.amdhsa_system_vgpr_workitem_id 0
		.amdhsa_next_free_vgpr 1
		.amdhsa_next_free_sgpr 0
		.amdhsa_accum_offset 4
		.amdhsa_reserve_vcc 0
		.amdhsa_float_round_mode_32 0
		.amdhsa_float_round_mode_16_64 0
		.amdhsa_float_denorm_mode_32 3
		.amdhsa_float_denorm_mode_16_64 3
		.amdhsa_dx10_clamp 1
		.amdhsa_ieee_mode 1
		.amdhsa_fp16_overflow 0
		.amdhsa_tg_split 0
		.amdhsa_exception_fp_ieee_invalid_op 0
		.amdhsa_exception_fp_denorm_src 0
		.amdhsa_exception_fp_ieee_div_zero 0
		.amdhsa_exception_fp_ieee_overflow 0
		.amdhsa_exception_fp_ieee_underflow 0
		.amdhsa_exception_fp_ieee_inexact 0
		.amdhsa_exception_int_div_zero 0
	.end_amdhsa_kernel
	.section	.text._ZN7rocprim17ROCPRIM_400000_NS6detail17trampoline_kernelINS0_14default_configENS1_38merge_sort_block_merge_config_selectorIlNS0_10empty_typeEEEZZNS1_27merge_sort_block_merge_implIS3_PlPS5_mZN2at6native12_GLOBAL__N_124unique_dim_cuda_templateIsEESt5tupleIJNSA_6TensorESF_SF_EERKSF_lbbbEUlllE_EE10hipError_tT0_T1_T2_jT3_P12ihipStream_tbPNSt15iterator_traitsISL_E10value_typeEPNSR_ISM_E10value_typeEPSN_NS1_7vsmem_tEENKUlT_SL_SM_SN_E_clIS8_S8_S9_S9_EESK_S10_SL_SM_SN_EUlS10_E1_NS1_11comp_targetILNS1_3genE0ELNS1_11target_archE4294967295ELNS1_3gpuE0ELNS1_3repE0EEENS1_36merge_oddeven_config_static_selectorELNS0_4arch9wavefront6targetE1EEEvSM_,"axG",@progbits,_ZN7rocprim17ROCPRIM_400000_NS6detail17trampoline_kernelINS0_14default_configENS1_38merge_sort_block_merge_config_selectorIlNS0_10empty_typeEEEZZNS1_27merge_sort_block_merge_implIS3_PlPS5_mZN2at6native12_GLOBAL__N_124unique_dim_cuda_templateIsEESt5tupleIJNSA_6TensorESF_SF_EERKSF_lbbbEUlllE_EE10hipError_tT0_T1_T2_jT3_P12ihipStream_tbPNSt15iterator_traitsISL_E10value_typeEPNSR_ISM_E10value_typeEPSN_NS1_7vsmem_tEENKUlT_SL_SM_SN_E_clIS8_S8_S9_S9_EESK_S10_SL_SM_SN_EUlS10_E1_NS1_11comp_targetILNS1_3genE0ELNS1_11target_archE4294967295ELNS1_3gpuE0ELNS1_3repE0EEENS1_36merge_oddeven_config_static_selectorELNS0_4arch9wavefront6targetE1EEEvSM_,comdat
.Lfunc_end657:
	.size	_ZN7rocprim17ROCPRIM_400000_NS6detail17trampoline_kernelINS0_14default_configENS1_38merge_sort_block_merge_config_selectorIlNS0_10empty_typeEEEZZNS1_27merge_sort_block_merge_implIS3_PlPS5_mZN2at6native12_GLOBAL__N_124unique_dim_cuda_templateIsEESt5tupleIJNSA_6TensorESF_SF_EERKSF_lbbbEUlllE_EE10hipError_tT0_T1_T2_jT3_P12ihipStream_tbPNSt15iterator_traitsISL_E10value_typeEPNSR_ISM_E10value_typeEPSN_NS1_7vsmem_tEENKUlT_SL_SM_SN_E_clIS8_S8_S9_S9_EESK_S10_SL_SM_SN_EUlS10_E1_NS1_11comp_targetILNS1_3genE0ELNS1_11target_archE4294967295ELNS1_3gpuE0ELNS1_3repE0EEENS1_36merge_oddeven_config_static_selectorELNS0_4arch9wavefront6targetE1EEEvSM_, .Lfunc_end657-_ZN7rocprim17ROCPRIM_400000_NS6detail17trampoline_kernelINS0_14default_configENS1_38merge_sort_block_merge_config_selectorIlNS0_10empty_typeEEEZZNS1_27merge_sort_block_merge_implIS3_PlPS5_mZN2at6native12_GLOBAL__N_124unique_dim_cuda_templateIsEESt5tupleIJNSA_6TensorESF_SF_EERKSF_lbbbEUlllE_EE10hipError_tT0_T1_T2_jT3_P12ihipStream_tbPNSt15iterator_traitsISL_E10value_typeEPNSR_ISM_E10value_typeEPSN_NS1_7vsmem_tEENKUlT_SL_SM_SN_E_clIS8_S8_S9_S9_EESK_S10_SL_SM_SN_EUlS10_E1_NS1_11comp_targetILNS1_3genE0ELNS1_11target_archE4294967295ELNS1_3gpuE0ELNS1_3repE0EEENS1_36merge_oddeven_config_static_selectorELNS0_4arch9wavefront6targetE1EEEvSM_
                                        ; -- End function
	.section	.AMDGPU.csdata,"",@progbits
; Kernel info:
; codeLenInByte = 0
; NumSgprs: 6
; NumVgprs: 0
; NumAgprs: 0
; TotalNumVgprs: 0
; ScratchSize: 0
; MemoryBound: 0
; FloatMode: 240
; IeeeMode: 1
; LDSByteSize: 0 bytes/workgroup (compile time only)
; SGPRBlocks: 0
; VGPRBlocks: 0
; NumSGPRsForWavesPerEU: 6
; NumVGPRsForWavesPerEU: 1
; AccumOffset: 4
; Occupancy: 8
; WaveLimiterHint : 0
; COMPUTE_PGM_RSRC2:SCRATCH_EN: 0
; COMPUTE_PGM_RSRC2:USER_SGPR: 2
; COMPUTE_PGM_RSRC2:TRAP_HANDLER: 0
; COMPUTE_PGM_RSRC2:TGID_X_EN: 1
; COMPUTE_PGM_RSRC2:TGID_Y_EN: 0
; COMPUTE_PGM_RSRC2:TGID_Z_EN: 0
; COMPUTE_PGM_RSRC2:TIDIG_COMP_CNT: 0
; COMPUTE_PGM_RSRC3_GFX90A:ACCUM_OFFSET: 0
; COMPUTE_PGM_RSRC3_GFX90A:TG_SPLIT: 0
	.section	.text._ZN7rocprim17ROCPRIM_400000_NS6detail17trampoline_kernelINS0_14default_configENS1_38merge_sort_block_merge_config_selectorIlNS0_10empty_typeEEEZZNS1_27merge_sort_block_merge_implIS3_PlPS5_mZN2at6native12_GLOBAL__N_124unique_dim_cuda_templateIsEESt5tupleIJNSA_6TensorESF_SF_EERKSF_lbbbEUlllE_EE10hipError_tT0_T1_T2_jT3_P12ihipStream_tbPNSt15iterator_traitsISL_E10value_typeEPNSR_ISM_E10value_typeEPSN_NS1_7vsmem_tEENKUlT_SL_SM_SN_E_clIS8_S8_S9_S9_EESK_S10_SL_SM_SN_EUlS10_E1_NS1_11comp_targetILNS1_3genE10ELNS1_11target_archE1201ELNS1_3gpuE5ELNS1_3repE0EEENS1_36merge_oddeven_config_static_selectorELNS0_4arch9wavefront6targetE1EEEvSM_,"axG",@progbits,_ZN7rocprim17ROCPRIM_400000_NS6detail17trampoline_kernelINS0_14default_configENS1_38merge_sort_block_merge_config_selectorIlNS0_10empty_typeEEEZZNS1_27merge_sort_block_merge_implIS3_PlPS5_mZN2at6native12_GLOBAL__N_124unique_dim_cuda_templateIsEESt5tupleIJNSA_6TensorESF_SF_EERKSF_lbbbEUlllE_EE10hipError_tT0_T1_T2_jT3_P12ihipStream_tbPNSt15iterator_traitsISL_E10value_typeEPNSR_ISM_E10value_typeEPSN_NS1_7vsmem_tEENKUlT_SL_SM_SN_E_clIS8_S8_S9_S9_EESK_S10_SL_SM_SN_EUlS10_E1_NS1_11comp_targetILNS1_3genE10ELNS1_11target_archE1201ELNS1_3gpuE5ELNS1_3repE0EEENS1_36merge_oddeven_config_static_selectorELNS0_4arch9wavefront6targetE1EEEvSM_,comdat
	.globl	_ZN7rocprim17ROCPRIM_400000_NS6detail17trampoline_kernelINS0_14default_configENS1_38merge_sort_block_merge_config_selectorIlNS0_10empty_typeEEEZZNS1_27merge_sort_block_merge_implIS3_PlPS5_mZN2at6native12_GLOBAL__N_124unique_dim_cuda_templateIsEESt5tupleIJNSA_6TensorESF_SF_EERKSF_lbbbEUlllE_EE10hipError_tT0_T1_T2_jT3_P12ihipStream_tbPNSt15iterator_traitsISL_E10value_typeEPNSR_ISM_E10value_typeEPSN_NS1_7vsmem_tEENKUlT_SL_SM_SN_E_clIS8_S8_S9_S9_EESK_S10_SL_SM_SN_EUlS10_E1_NS1_11comp_targetILNS1_3genE10ELNS1_11target_archE1201ELNS1_3gpuE5ELNS1_3repE0EEENS1_36merge_oddeven_config_static_selectorELNS0_4arch9wavefront6targetE1EEEvSM_ ; -- Begin function _ZN7rocprim17ROCPRIM_400000_NS6detail17trampoline_kernelINS0_14default_configENS1_38merge_sort_block_merge_config_selectorIlNS0_10empty_typeEEEZZNS1_27merge_sort_block_merge_implIS3_PlPS5_mZN2at6native12_GLOBAL__N_124unique_dim_cuda_templateIsEESt5tupleIJNSA_6TensorESF_SF_EERKSF_lbbbEUlllE_EE10hipError_tT0_T1_T2_jT3_P12ihipStream_tbPNSt15iterator_traitsISL_E10value_typeEPNSR_ISM_E10value_typeEPSN_NS1_7vsmem_tEENKUlT_SL_SM_SN_E_clIS8_S8_S9_S9_EESK_S10_SL_SM_SN_EUlS10_E1_NS1_11comp_targetILNS1_3genE10ELNS1_11target_archE1201ELNS1_3gpuE5ELNS1_3repE0EEENS1_36merge_oddeven_config_static_selectorELNS0_4arch9wavefront6targetE1EEEvSM_
	.p2align	8
	.type	_ZN7rocprim17ROCPRIM_400000_NS6detail17trampoline_kernelINS0_14default_configENS1_38merge_sort_block_merge_config_selectorIlNS0_10empty_typeEEEZZNS1_27merge_sort_block_merge_implIS3_PlPS5_mZN2at6native12_GLOBAL__N_124unique_dim_cuda_templateIsEESt5tupleIJNSA_6TensorESF_SF_EERKSF_lbbbEUlllE_EE10hipError_tT0_T1_T2_jT3_P12ihipStream_tbPNSt15iterator_traitsISL_E10value_typeEPNSR_ISM_E10value_typeEPSN_NS1_7vsmem_tEENKUlT_SL_SM_SN_E_clIS8_S8_S9_S9_EESK_S10_SL_SM_SN_EUlS10_E1_NS1_11comp_targetILNS1_3genE10ELNS1_11target_archE1201ELNS1_3gpuE5ELNS1_3repE0EEENS1_36merge_oddeven_config_static_selectorELNS0_4arch9wavefront6targetE1EEEvSM_,@function
_ZN7rocprim17ROCPRIM_400000_NS6detail17trampoline_kernelINS0_14default_configENS1_38merge_sort_block_merge_config_selectorIlNS0_10empty_typeEEEZZNS1_27merge_sort_block_merge_implIS3_PlPS5_mZN2at6native12_GLOBAL__N_124unique_dim_cuda_templateIsEESt5tupleIJNSA_6TensorESF_SF_EERKSF_lbbbEUlllE_EE10hipError_tT0_T1_T2_jT3_P12ihipStream_tbPNSt15iterator_traitsISL_E10value_typeEPNSR_ISM_E10value_typeEPSN_NS1_7vsmem_tEENKUlT_SL_SM_SN_E_clIS8_S8_S9_S9_EESK_S10_SL_SM_SN_EUlS10_E1_NS1_11comp_targetILNS1_3genE10ELNS1_11target_archE1201ELNS1_3gpuE5ELNS1_3repE0EEENS1_36merge_oddeven_config_static_selectorELNS0_4arch9wavefront6targetE1EEEvSM_: ; @_ZN7rocprim17ROCPRIM_400000_NS6detail17trampoline_kernelINS0_14default_configENS1_38merge_sort_block_merge_config_selectorIlNS0_10empty_typeEEEZZNS1_27merge_sort_block_merge_implIS3_PlPS5_mZN2at6native12_GLOBAL__N_124unique_dim_cuda_templateIsEESt5tupleIJNSA_6TensorESF_SF_EERKSF_lbbbEUlllE_EE10hipError_tT0_T1_T2_jT3_P12ihipStream_tbPNSt15iterator_traitsISL_E10value_typeEPNSR_ISM_E10value_typeEPSN_NS1_7vsmem_tEENKUlT_SL_SM_SN_E_clIS8_S8_S9_S9_EESK_S10_SL_SM_SN_EUlS10_E1_NS1_11comp_targetILNS1_3genE10ELNS1_11target_archE1201ELNS1_3gpuE5ELNS1_3repE0EEENS1_36merge_oddeven_config_static_selectorELNS0_4arch9wavefront6targetE1EEEvSM_
; %bb.0:
	.section	.rodata,"a",@progbits
	.p2align	6, 0x0
	.amdhsa_kernel _ZN7rocprim17ROCPRIM_400000_NS6detail17trampoline_kernelINS0_14default_configENS1_38merge_sort_block_merge_config_selectorIlNS0_10empty_typeEEEZZNS1_27merge_sort_block_merge_implIS3_PlPS5_mZN2at6native12_GLOBAL__N_124unique_dim_cuda_templateIsEESt5tupleIJNSA_6TensorESF_SF_EERKSF_lbbbEUlllE_EE10hipError_tT0_T1_T2_jT3_P12ihipStream_tbPNSt15iterator_traitsISL_E10value_typeEPNSR_ISM_E10value_typeEPSN_NS1_7vsmem_tEENKUlT_SL_SM_SN_E_clIS8_S8_S9_S9_EESK_S10_SL_SM_SN_EUlS10_E1_NS1_11comp_targetILNS1_3genE10ELNS1_11target_archE1201ELNS1_3gpuE5ELNS1_3repE0EEENS1_36merge_oddeven_config_static_selectorELNS0_4arch9wavefront6targetE1EEEvSM_
		.amdhsa_group_segment_fixed_size 0
		.amdhsa_private_segment_fixed_size 0
		.amdhsa_kernarg_size 64
		.amdhsa_user_sgpr_count 2
		.amdhsa_user_sgpr_dispatch_ptr 0
		.amdhsa_user_sgpr_queue_ptr 0
		.amdhsa_user_sgpr_kernarg_segment_ptr 1
		.amdhsa_user_sgpr_dispatch_id 0
		.amdhsa_user_sgpr_kernarg_preload_length 0
		.amdhsa_user_sgpr_kernarg_preload_offset 0
		.amdhsa_user_sgpr_private_segment_size 0
		.amdhsa_uses_dynamic_stack 0
		.amdhsa_enable_private_segment 0
		.amdhsa_system_sgpr_workgroup_id_x 1
		.amdhsa_system_sgpr_workgroup_id_y 0
		.amdhsa_system_sgpr_workgroup_id_z 0
		.amdhsa_system_sgpr_workgroup_info 0
		.amdhsa_system_vgpr_workitem_id 0
		.amdhsa_next_free_vgpr 1
		.amdhsa_next_free_sgpr 0
		.amdhsa_accum_offset 4
		.amdhsa_reserve_vcc 0
		.amdhsa_float_round_mode_32 0
		.amdhsa_float_round_mode_16_64 0
		.amdhsa_float_denorm_mode_32 3
		.amdhsa_float_denorm_mode_16_64 3
		.amdhsa_dx10_clamp 1
		.amdhsa_ieee_mode 1
		.amdhsa_fp16_overflow 0
		.amdhsa_tg_split 0
		.amdhsa_exception_fp_ieee_invalid_op 0
		.amdhsa_exception_fp_denorm_src 0
		.amdhsa_exception_fp_ieee_div_zero 0
		.amdhsa_exception_fp_ieee_overflow 0
		.amdhsa_exception_fp_ieee_underflow 0
		.amdhsa_exception_fp_ieee_inexact 0
		.amdhsa_exception_int_div_zero 0
	.end_amdhsa_kernel
	.section	.text._ZN7rocprim17ROCPRIM_400000_NS6detail17trampoline_kernelINS0_14default_configENS1_38merge_sort_block_merge_config_selectorIlNS0_10empty_typeEEEZZNS1_27merge_sort_block_merge_implIS3_PlPS5_mZN2at6native12_GLOBAL__N_124unique_dim_cuda_templateIsEESt5tupleIJNSA_6TensorESF_SF_EERKSF_lbbbEUlllE_EE10hipError_tT0_T1_T2_jT3_P12ihipStream_tbPNSt15iterator_traitsISL_E10value_typeEPNSR_ISM_E10value_typeEPSN_NS1_7vsmem_tEENKUlT_SL_SM_SN_E_clIS8_S8_S9_S9_EESK_S10_SL_SM_SN_EUlS10_E1_NS1_11comp_targetILNS1_3genE10ELNS1_11target_archE1201ELNS1_3gpuE5ELNS1_3repE0EEENS1_36merge_oddeven_config_static_selectorELNS0_4arch9wavefront6targetE1EEEvSM_,"axG",@progbits,_ZN7rocprim17ROCPRIM_400000_NS6detail17trampoline_kernelINS0_14default_configENS1_38merge_sort_block_merge_config_selectorIlNS0_10empty_typeEEEZZNS1_27merge_sort_block_merge_implIS3_PlPS5_mZN2at6native12_GLOBAL__N_124unique_dim_cuda_templateIsEESt5tupleIJNSA_6TensorESF_SF_EERKSF_lbbbEUlllE_EE10hipError_tT0_T1_T2_jT3_P12ihipStream_tbPNSt15iterator_traitsISL_E10value_typeEPNSR_ISM_E10value_typeEPSN_NS1_7vsmem_tEENKUlT_SL_SM_SN_E_clIS8_S8_S9_S9_EESK_S10_SL_SM_SN_EUlS10_E1_NS1_11comp_targetILNS1_3genE10ELNS1_11target_archE1201ELNS1_3gpuE5ELNS1_3repE0EEENS1_36merge_oddeven_config_static_selectorELNS0_4arch9wavefront6targetE1EEEvSM_,comdat
.Lfunc_end658:
	.size	_ZN7rocprim17ROCPRIM_400000_NS6detail17trampoline_kernelINS0_14default_configENS1_38merge_sort_block_merge_config_selectorIlNS0_10empty_typeEEEZZNS1_27merge_sort_block_merge_implIS3_PlPS5_mZN2at6native12_GLOBAL__N_124unique_dim_cuda_templateIsEESt5tupleIJNSA_6TensorESF_SF_EERKSF_lbbbEUlllE_EE10hipError_tT0_T1_T2_jT3_P12ihipStream_tbPNSt15iterator_traitsISL_E10value_typeEPNSR_ISM_E10value_typeEPSN_NS1_7vsmem_tEENKUlT_SL_SM_SN_E_clIS8_S8_S9_S9_EESK_S10_SL_SM_SN_EUlS10_E1_NS1_11comp_targetILNS1_3genE10ELNS1_11target_archE1201ELNS1_3gpuE5ELNS1_3repE0EEENS1_36merge_oddeven_config_static_selectorELNS0_4arch9wavefront6targetE1EEEvSM_, .Lfunc_end658-_ZN7rocprim17ROCPRIM_400000_NS6detail17trampoline_kernelINS0_14default_configENS1_38merge_sort_block_merge_config_selectorIlNS0_10empty_typeEEEZZNS1_27merge_sort_block_merge_implIS3_PlPS5_mZN2at6native12_GLOBAL__N_124unique_dim_cuda_templateIsEESt5tupleIJNSA_6TensorESF_SF_EERKSF_lbbbEUlllE_EE10hipError_tT0_T1_T2_jT3_P12ihipStream_tbPNSt15iterator_traitsISL_E10value_typeEPNSR_ISM_E10value_typeEPSN_NS1_7vsmem_tEENKUlT_SL_SM_SN_E_clIS8_S8_S9_S9_EESK_S10_SL_SM_SN_EUlS10_E1_NS1_11comp_targetILNS1_3genE10ELNS1_11target_archE1201ELNS1_3gpuE5ELNS1_3repE0EEENS1_36merge_oddeven_config_static_selectorELNS0_4arch9wavefront6targetE1EEEvSM_
                                        ; -- End function
	.section	.AMDGPU.csdata,"",@progbits
; Kernel info:
; codeLenInByte = 0
; NumSgprs: 6
; NumVgprs: 0
; NumAgprs: 0
; TotalNumVgprs: 0
; ScratchSize: 0
; MemoryBound: 0
; FloatMode: 240
; IeeeMode: 1
; LDSByteSize: 0 bytes/workgroup (compile time only)
; SGPRBlocks: 0
; VGPRBlocks: 0
; NumSGPRsForWavesPerEU: 6
; NumVGPRsForWavesPerEU: 1
; AccumOffset: 4
; Occupancy: 8
; WaveLimiterHint : 0
; COMPUTE_PGM_RSRC2:SCRATCH_EN: 0
; COMPUTE_PGM_RSRC2:USER_SGPR: 2
; COMPUTE_PGM_RSRC2:TRAP_HANDLER: 0
; COMPUTE_PGM_RSRC2:TGID_X_EN: 1
; COMPUTE_PGM_RSRC2:TGID_Y_EN: 0
; COMPUTE_PGM_RSRC2:TGID_Z_EN: 0
; COMPUTE_PGM_RSRC2:TIDIG_COMP_CNT: 0
; COMPUTE_PGM_RSRC3_GFX90A:ACCUM_OFFSET: 0
; COMPUTE_PGM_RSRC3_GFX90A:TG_SPLIT: 0
	.section	.text._ZN7rocprim17ROCPRIM_400000_NS6detail17trampoline_kernelINS0_14default_configENS1_38merge_sort_block_merge_config_selectorIlNS0_10empty_typeEEEZZNS1_27merge_sort_block_merge_implIS3_PlPS5_mZN2at6native12_GLOBAL__N_124unique_dim_cuda_templateIsEESt5tupleIJNSA_6TensorESF_SF_EERKSF_lbbbEUlllE_EE10hipError_tT0_T1_T2_jT3_P12ihipStream_tbPNSt15iterator_traitsISL_E10value_typeEPNSR_ISM_E10value_typeEPSN_NS1_7vsmem_tEENKUlT_SL_SM_SN_E_clIS8_S8_S9_S9_EESK_S10_SL_SM_SN_EUlS10_E1_NS1_11comp_targetILNS1_3genE5ELNS1_11target_archE942ELNS1_3gpuE9ELNS1_3repE0EEENS1_36merge_oddeven_config_static_selectorELNS0_4arch9wavefront6targetE1EEEvSM_,"axG",@progbits,_ZN7rocprim17ROCPRIM_400000_NS6detail17trampoline_kernelINS0_14default_configENS1_38merge_sort_block_merge_config_selectorIlNS0_10empty_typeEEEZZNS1_27merge_sort_block_merge_implIS3_PlPS5_mZN2at6native12_GLOBAL__N_124unique_dim_cuda_templateIsEESt5tupleIJNSA_6TensorESF_SF_EERKSF_lbbbEUlllE_EE10hipError_tT0_T1_T2_jT3_P12ihipStream_tbPNSt15iterator_traitsISL_E10value_typeEPNSR_ISM_E10value_typeEPSN_NS1_7vsmem_tEENKUlT_SL_SM_SN_E_clIS8_S8_S9_S9_EESK_S10_SL_SM_SN_EUlS10_E1_NS1_11comp_targetILNS1_3genE5ELNS1_11target_archE942ELNS1_3gpuE9ELNS1_3repE0EEENS1_36merge_oddeven_config_static_selectorELNS0_4arch9wavefront6targetE1EEEvSM_,comdat
	.globl	_ZN7rocprim17ROCPRIM_400000_NS6detail17trampoline_kernelINS0_14default_configENS1_38merge_sort_block_merge_config_selectorIlNS0_10empty_typeEEEZZNS1_27merge_sort_block_merge_implIS3_PlPS5_mZN2at6native12_GLOBAL__N_124unique_dim_cuda_templateIsEESt5tupleIJNSA_6TensorESF_SF_EERKSF_lbbbEUlllE_EE10hipError_tT0_T1_T2_jT3_P12ihipStream_tbPNSt15iterator_traitsISL_E10value_typeEPNSR_ISM_E10value_typeEPSN_NS1_7vsmem_tEENKUlT_SL_SM_SN_E_clIS8_S8_S9_S9_EESK_S10_SL_SM_SN_EUlS10_E1_NS1_11comp_targetILNS1_3genE5ELNS1_11target_archE942ELNS1_3gpuE9ELNS1_3repE0EEENS1_36merge_oddeven_config_static_selectorELNS0_4arch9wavefront6targetE1EEEvSM_ ; -- Begin function _ZN7rocprim17ROCPRIM_400000_NS6detail17trampoline_kernelINS0_14default_configENS1_38merge_sort_block_merge_config_selectorIlNS0_10empty_typeEEEZZNS1_27merge_sort_block_merge_implIS3_PlPS5_mZN2at6native12_GLOBAL__N_124unique_dim_cuda_templateIsEESt5tupleIJNSA_6TensorESF_SF_EERKSF_lbbbEUlllE_EE10hipError_tT0_T1_T2_jT3_P12ihipStream_tbPNSt15iterator_traitsISL_E10value_typeEPNSR_ISM_E10value_typeEPSN_NS1_7vsmem_tEENKUlT_SL_SM_SN_E_clIS8_S8_S9_S9_EESK_S10_SL_SM_SN_EUlS10_E1_NS1_11comp_targetILNS1_3genE5ELNS1_11target_archE942ELNS1_3gpuE9ELNS1_3repE0EEENS1_36merge_oddeven_config_static_selectorELNS0_4arch9wavefront6targetE1EEEvSM_
	.p2align	8
	.type	_ZN7rocprim17ROCPRIM_400000_NS6detail17trampoline_kernelINS0_14default_configENS1_38merge_sort_block_merge_config_selectorIlNS0_10empty_typeEEEZZNS1_27merge_sort_block_merge_implIS3_PlPS5_mZN2at6native12_GLOBAL__N_124unique_dim_cuda_templateIsEESt5tupleIJNSA_6TensorESF_SF_EERKSF_lbbbEUlllE_EE10hipError_tT0_T1_T2_jT3_P12ihipStream_tbPNSt15iterator_traitsISL_E10value_typeEPNSR_ISM_E10value_typeEPSN_NS1_7vsmem_tEENKUlT_SL_SM_SN_E_clIS8_S8_S9_S9_EESK_S10_SL_SM_SN_EUlS10_E1_NS1_11comp_targetILNS1_3genE5ELNS1_11target_archE942ELNS1_3gpuE9ELNS1_3repE0EEENS1_36merge_oddeven_config_static_selectorELNS0_4arch9wavefront6targetE1EEEvSM_,@function
_ZN7rocprim17ROCPRIM_400000_NS6detail17trampoline_kernelINS0_14default_configENS1_38merge_sort_block_merge_config_selectorIlNS0_10empty_typeEEEZZNS1_27merge_sort_block_merge_implIS3_PlPS5_mZN2at6native12_GLOBAL__N_124unique_dim_cuda_templateIsEESt5tupleIJNSA_6TensorESF_SF_EERKSF_lbbbEUlllE_EE10hipError_tT0_T1_T2_jT3_P12ihipStream_tbPNSt15iterator_traitsISL_E10value_typeEPNSR_ISM_E10value_typeEPSN_NS1_7vsmem_tEENKUlT_SL_SM_SN_E_clIS8_S8_S9_S9_EESK_S10_SL_SM_SN_EUlS10_E1_NS1_11comp_targetILNS1_3genE5ELNS1_11target_archE942ELNS1_3gpuE9ELNS1_3repE0EEENS1_36merge_oddeven_config_static_selectorELNS0_4arch9wavefront6targetE1EEEvSM_: ; @_ZN7rocprim17ROCPRIM_400000_NS6detail17trampoline_kernelINS0_14default_configENS1_38merge_sort_block_merge_config_selectorIlNS0_10empty_typeEEEZZNS1_27merge_sort_block_merge_implIS3_PlPS5_mZN2at6native12_GLOBAL__N_124unique_dim_cuda_templateIsEESt5tupleIJNSA_6TensorESF_SF_EERKSF_lbbbEUlllE_EE10hipError_tT0_T1_T2_jT3_P12ihipStream_tbPNSt15iterator_traitsISL_E10value_typeEPNSR_ISM_E10value_typeEPSN_NS1_7vsmem_tEENKUlT_SL_SM_SN_E_clIS8_S8_S9_S9_EESK_S10_SL_SM_SN_EUlS10_E1_NS1_11comp_targetILNS1_3genE5ELNS1_11target_archE942ELNS1_3gpuE9ELNS1_3repE0EEENS1_36merge_oddeven_config_static_selectorELNS0_4arch9wavefront6targetE1EEEvSM_
; %bb.0:
	s_load_dword s22, s[0:1], 0x20
	s_waitcnt lgkmcnt(0)
	s_lshr_b32 s3, s22, 8
	s_cmp_lg_u32 s2, s3
	s_cselect_b64 s[12:13], -1, 0
	s_cmp_eq_u32 s2, s3
	s_cselect_b64 s[6:7], -1, 0
	s_lshl_b32 s20, s2, 8
	s_sub_i32 s3, s22, s20
	v_cmp_gt_u32_e64 s[4:5], s3, v0
	s_or_b64 s[8:9], s[12:13], s[4:5]
	s_and_saveexec_b64 s[10:11], s[8:9]
	s_cbranch_execz .LBB659_54
; %bb.1:
	s_load_dwordx4 s[8:11], s[0:1], 0x0
	s_load_dword s23, s[0:1], 0x28
	s_mov_b32 s21, 0
	s_lshl_b64 s[14:15], s[20:21], 3
	v_lshlrev_b32_e32 v1, 3, v0
	s_waitcnt lgkmcnt(0)
	s_add_u32 s14, s8, s14
	s_addc_u32 s15, s9, s15
	global_load_dwordx2 v[2:3], v1, s[14:15]
	s_lshr_b32 s3, s23, 8
	s_sub_i32 s14, 0, s3
	s_and_b32 s2, s2, s14
	s_and_b32 s3, s2, s3
	s_cmp_lg_u32 s3, 0
	s_cselect_b64 s[16:17], -1, 0
	s_lshl_b32 s21, s2, 8
	s_sub_i32 s2, 0, s23
	s_cmp_eq_u32 s3, 0
	s_cselect_b32 s33, s23, s2
	s_add_i32 s33, s33, s21
	s_cmp_lt_u32 s33, s22
	s_cbranch_scc1 .LBB659_3
; %bb.2:
	v_add_u32_e32 v4, s20, v0
	v_cmp_gt_u32_e32 vcc, s22, v4
	s_or_b64 s[12:13], vcc, s[12:13]
	s_and_b64 s[18:19], s[12:13], exec
	s_cbranch_execz .LBB659_4
	s_branch .LBB659_52
.LBB659_3:
	s_mov_b64 s[18:19], 0
                                        ; implicit-def: $vgpr4
.LBB659_4:
	s_load_dwordx4 s[12:15], s[0:1], 0x30
	s_min_u32 s44, s33, s22
	s_add_i32 s0, s44, s23
	s_min_u32 s45, s0, s22
	s_min_u32 s0, s21, s44
	v_add_u32_e32 v0, s20, v0
	s_add_i32 s21, s21, s44
	v_subrev_u32_e32 v0, s21, v0
	v_add_u32_e32 v14, s0, v0
	s_and_b64 vcc, exec, s[6:7]
	s_cbranch_vccz .LBB659_26
; %bb.5:
                                        ; implicit-def: $vgpr4
	s_and_saveexec_b64 s[20:21], s[4:5]
	s_cbranch_execz .LBB659_29
; %bb.6:
	s_cmp_ge_u32 s33, s45
	v_mov_b32_e32 v15, s44
	s_cbranch_scc1 .LBB659_28
; %bb.7:
	s_waitcnt vmcnt(0) lgkmcnt(0)
	v_mul_lo_u32 v0, v3, s12
	v_mul_lo_u32 v1, v2, s13
	v_mad_u64_u32 v[4:5], s[0:1], v2, s12, 0
	v_cndmask_b32_e64 v6, 0, 1, s[16:17]
	v_cmp_gt_i64_e64 s[2:3], s[12:13], 0
	v_add3_u32 v5, v5, v1, v0
	v_cmp_ne_u32_e64 s[0:1], 1, v6
	v_cndmask_b32_e64 v6, 0, 1, s[2:3]
	s_mov_b64 s[22:23], 0
	v_mov_b64_e32 v[0:1], s[14:15]
	v_lshl_add_u64 v[4:5], v[4:5], 1, s[14:15]
	s_lshl_b64 s[24:25], s[12:13], 1
	v_mov_b32_e32 v16, s45
	v_mov_b32_e32 v15, s44
	;; [unrolled: 1-line block ×3, first 2 shown]
	v_cmp_ne_u32_e64 s[2:3], 1, v6
	s_branch .LBB659_10
.LBB659_8:                              ;   in Loop: Header=BB659_10 Depth=1
	s_or_b64 exec, exec, s[28:29]
.LBB659_9:                              ;   in Loop: Header=BB659_10 Depth=1
	s_waitcnt vmcnt(0)
	v_add_u32_e32 v8, 1, v6
	v_cndmask_b32_e64 v16, v6, v16, s[26:27]
	v_cndmask_b32_e64 v15, v15, v8, s[26:27]
	v_cmp_ge_u32_e32 vcc, v15, v16
	s_or_b64 s[22:23], vcc, s[22:23]
	s_andn2_b64 exec, exec, s[22:23]
	s_cbranch_execz .LBB659_27
.LBB659_10:                             ; =>This Loop Header: Depth=1
                                        ;     Child Loop BB659_14 Depth 2
                                        ;     Child Loop BB659_23 Depth 2
	v_add_u32_e32 v6, v15, v16
	v_lshrrev_b32_e32 v6, 1, v6
	v_lshl_add_u64 v[8:9], v[6:7], 3, s[8:9]
	global_load_dwordx2 v[8:9], v[8:9], off
	s_and_b64 vcc, exec, s[0:1]
	s_mov_b64 s[4:5], -1
                                        ; implicit-def: $sgpr26_sgpr27
	s_cbranch_vccnz .LBB659_19
; %bb.11:                               ;   in Loop: Header=BB659_10 Depth=1
	s_and_b64 vcc, exec, s[2:3]
	s_cbranch_vccnz .LBB659_17
; %bb.12:                               ;   in Loop: Header=BB659_10 Depth=1
	s_waitcnt vmcnt(0)
	v_mad_u64_u32 v[10:11], s[4:5], s24, v8, v[0:1]
	v_mul_lo_u32 v12, s24, v9
	v_mul_lo_u32 v13, s25, v8
	v_add3_u32 v11, v13, v11, v12
	s_mov_b64 s[28:29], 0
	s_mov_b64 s[36:37], s[12:13]
	v_mov_b64_e32 v[12:13], v[4:5]
                                        ; implicit-def: $sgpr26_sgpr27
                                        ; implicit-def: $sgpr30_sgpr31
                                        ; implicit-def: $sgpr34_sgpr35
                                        ; implicit-def: $sgpr4_sgpr5
                                        ; implicit-def: $sgpr38_sgpr39
	s_branch .LBB659_14
.LBB659_13:                             ;   in Loop: Header=BB659_14 Depth=2
	s_or_b64 exec, exec, s[40:41]
	s_and_b64 s[6:7], exec, s[30:31]
	s_or_b64 s[28:29], s[6:7], s[28:29]
	s_andn2_b64 s[6:7], s[38:39], exec
	s_and_b64 s[38:39], s[34:35], exec
	s_or_b64 s[38:39], s[6:7], s[38:39]
	s_andn2_b64 s[6:7], s[26:27], exec
	s_and_b64 s[26:27], s[4:5], exec
	s_or_b64 s[26:27], s[6:7], s[26:27]
	s_andn2_b64 exec, exec, s[28:29]
	s_cbranch_execz .LBB659_16
.LBB659_14:                             ;   Parent Loop BB659_10 Depth=1
                                        ; =>  This Inner Loop Header: Depth=2
	global_load_ushort v17, v[12:13], off
	global_load_ushort v18, v[10:11], off
	s_andn2_b64 s[40:41], s[4:5], exec
	s_andn2_b64 s[34:35], s[34:35], exec
	s_or_b64 s[30:31], s[30:31], exec
	s_waitcnt vmcnt(0)
	v_cmp_le_i16_e64 s[4:5], v17, v18
	v_cmp_lt_i16_e32 vcc, v17, v18
	s_and_b64 s[4:5], s[4:5], s[38:39]
	s_or_b64 s[42:43], vcc, s[4:5]
	s_and_b64 s[4:5], s[42:43], exec
	v_cmp_eq_u16_e64 s[6:7], v17, v18
	s_or_b64 s[4:5], s[40:41], s[4:5]
	s_and_saveexec_b64 s[40:41], s[6:7]
	s_cbranch_execz .LBB659_13
; %bb.15:                               ;   in Loop: Header=BB659_14 Depth=2
	s_add_u32 s36, s36, -1
	s_addc_u32 s37, s37, -1
	s_cmp_eq_u64 s[36:37], 0
	s_cselect_b64 s[6:7], -1, 0
	s_andn2_b64 s[34:35], s[34:35], exec
	s_and_b64 s[38:39], s[42:43], exec
	s_andn2_b64 s[30:31], s[30:31], exec
	s_and_b64 s[6:7], s[6:7], exec
	v_lshl_add_u64 v[12:13], v[12:13], 0, 2
	v_lshl_add_u64 v[10:11], v[10:11], 0, 2
	s_andn2_b64 s[4:5], s[4:5], exec
	s_or_b64 s[34:35], s[34:35], s[38:39]
	s_or_b64 s[30:31], s[30:31], s[6:7]
                                        ; implicit-def: $sgpr38_sgpr39
	s_branch .LBB659_13
.LBB659_16:                             ;   in Loop: Header=BB659_10 Depth=1
	s_or_b64 exec, exec, s[28:29]
	s_branch .LBB659_18
.LBB659_17:                             ;   in Loop: Header=BB659_10 Depth=1
	s_mov_b64 s[26:27], 0
.LBB659_18:                             ;   in Loop: Header=BB659_10 Depth=1
	s_xor_b64 s[26:27], s[26:27], -1
	s_mov_b64 s[4:5], 0
.LBB659_19:                             ;   in Loop: Header=BB659_10 Depth=1
	s_and_b64 vcc, exec, s[4:5]
	s_cbranch_vccz .LBB659_9
; %bb.20:                               ;   in Loop: Header=BB659_10 Depth=1
	s_and_b64 vcc, exec, s[2:3]
	s_cbranch_vccnz .LBB659_25
; %bb.21:                               ;   in Loop: Header=BB659_10 Depth=1
	s_waitcnt vmcnt(0)
	v_mad_u64_u32 v[10:11], s[4:5], s24, v8, v[0:1]
	v_mul_lo_u32 v9, s24, v9
	v_mul_lo_u32 v8, s25, v8
	v_add3_u32 v11, v8, v11, v9
	s_mov_b64 s[28:29], 0
	s_mov_b64 s[36:37], s[12:13]
	v_mov_b64_e32 v[8:9], v[4:5]
                                        ; implicit-def: $sgpr26_sgpr27
                                        ; implicit-def: $sgpr30_sgpr31
                                        ; implicit-def: $sgpr34_sgpr35
                                        ; implicit-def: $sgpr4_sgpr5
                                        ; implicit-def: $sgpr38_sgpr39
	s_branch .LBB659_23
.LBB659_22:                             ;   in Loop: Header=BB659_23 Depth=2
	s_or_b64 exec, exec, s[40:41]
	s_and_b64 s[6:7], exec, s[30:31]
	s_or_b64 s[28:29], s[6:7], s[28:29]
	s_andn2_b64 s[6:7], s[38:39], exec
	s_and_b64 s[38:39], s[34:35], exec
	s_or_b64 s[38:39], s[6:7], s[38:39]
	s_andn2_b64 s[6:7], s[26:27], exec
	s_and_b64 s[26:27], s[4:5], exec
	s_or_b64 s[26:27], s[6:7], s[26:27]
	s_andn2_b64 exec, exec, s[28:29]
	s_cbranch_execz .LBB659_8
.LBB659_23:                             ;   Parent Loop BB659_10 Depth=1
                                        ; =>  This Inner Loop Header: Depth=2
	global_load_ushort v12, v[10:11], off
	global_load_ushort v13, v[8:9], off
	s_andn2_b64 s[40:41], s[4:5], exec
	s_andn2_b64 s[34:35], s[34:35], exec
	s_or_b64 s[30:31], s[30:31], exec
	s_waitcnt vmcnt(0)
	v_cmp_le_i16_e64 s[4:5], v12, v13
	v_cmp_lt_i16_e32 vcc, v12, v13
	s_and_b64 s[4:5], s[4:5], s[38:39]
	s_or_b64 s[42:43], vcc, s[4:5]
	s_and_b64 s[4:5], s[42:43], exec
	v_cmp_eq_u16_e64 s[6:7], v12, v13
	s_or_b64 s[4:5], s[40:41], s[4:5]
	s_and_saveexec_b64 s[40:41], s[6:7]
	s_cbranch_execz .LBB659_22
; %bb.24:                               ;   in Loop: Header=BB659_23 Depth=2
	s_add_u32 s36, s36, -1
	s_addc_u32 s37, s37, -1
	s_cmp_eq_u64 s[36:37], 0
	s_cselect_b64 s[6:7], -1, 0
	s_andn2_b64 s[34:35], s[34:35], exec
	s_and_b64 s[38:39], s[42:43], exec
	s_andn2_b64 s[30:31], s[30:31], exec
	s_and_b64 s[6:7], s[6:7], exec
	v_lshl_add_u64 v[10:11], v[10:11], 0, 2
	v_lshl_add_u64 v[8:9], v[8:9], 0, 2
	s_andn2_b64 s[4:5], s[4:5], exec
	s_or_b64 s[34:35], s[34:35], s[38:39]
	s_or_b64 s[30:31], s[30:31], s[6:7]
                                        ; implicit-def: $sgpr38_sgpr39
	s_branch .LBB659_22
.LBB659_25:                             ;   in Loop: Header=BB659_10 Depth=1
	s_mov_b64 s[26:27], 0
	s_branch .LBB659_9
.LBB659_26:
                                        ; implicit-def: $vgpr4
	s_cbranch_execnz .LBB659_30
	s_branch .LBB659_52
.LBB659_27:
	s_or_b64 exec, exec, s[22:23]
.LBB659_28:
	v_add_u32_e32 v4, v15, v14
	s_or_b64 s[18:19], s[18:19], exec
.LBB659_29:
	s_or_b64 exec, exec, s[20:21]
	s_branch .LBB659_52
.LBB659_30:
	s_cmp_ge_u32 s33, s45
	v_mov_b32_e32 v15, s44
	s_cbranch_scc1 .LBB659_51
; %bb.31:
	s_waitcnt vmcnt(0) lgkmcnt(0)
	v_mul_lo_u32 v0, v3, s12
	v_mul_lo_u32 v1, v2, s13
	v_mad_u64_u32 v[4:5], s[0:1], v2, s12, 0
	v_cndmask_b32_e64 v6, 0, 1, s[16:17]
	v_cmp_gt_i64_e64 s[2:3], s[12:13], 0
	v_add3_u32 v5, v5, v1, v0
	v_cmp_ne_u32_e64 s[0:1], 1, v6
	v_cndmask_b32_e64 v6, 0, 1, s[2:3]
	s_mov_b64 s[18:19], 0
	v_mov_b64_e32 v[0:1], s[14:15]
	v_lshl_add_u64 v[4:5], v[4:5], 1, s[14:15]
	s_lshl_b64 s[14:15], s[12:13], 1
	v_mov_b32_e32 v16, s45
	v_mov_b32_e32 v15, s44
	;; [unrolled: 1-line block ×3, first 2 shown]
	v_cmp_ne_u32_e64 s[2:3], 1, v6
	s_branch .LBB659_34
.LBB659_32:                             ;   in Loop: Header=BB659_34 Depth=1
	s_or_b64 exec, exec, s[20:21]
.LBB659_33:                             ;   in Loop: Header=BB659_34 Depth=1
	s_waitcnt vmcnt(0)
	v_add_u32_e32 v8, 1, v6
	v_cndmask_b32_e64 v16, v6, v16, s[16:17]
	v_cndmask_b32_e64 v15, v15, v8, s[16:17]
	v_cmp_ge_u32_e32 vcc, v15, v16
	s_or_b64 s[18:19], vcc, s[18:19]
	s_andn2_b64 exec, exec, s[18:19]
	s_cbranch_execz .LBB659_50
.LBB659_34:                             ; =>This Loop Header: Depth=1
                                        ;     Child Loop BB659_38 Depth 2
                                        ;     Child Loop BB659_47 Depth 2
	v_add_u32_e32 v6, v15, v16
	v_lshrrev_b32_e32 v6, 1, v6
	v_lshl_add_u64 v[8:9], v[6:7], 3, s[8:9]
	global_load_dwordx2 v[8:9], v[8:9], off
	s_and_b64 vcc, exec, s[0:1]
	s_mov_b64 s[4:5], -1
                                        ; implicit-def: $sgpr16_sgpr17
	s_cbranch_vccnz .LBB659_43
; %bb.35:                               ;   in Loop: Header=BB659_34 Depth=1
	s_and_b64 vcc, exec, s[2:3]
	s_cbranch_vccnz .LBB659_41
; %bb.36:                               ;   in Loop: Header=BB659_34 Depth=1
	s_waitcnt vmcnt(0)
	v_mad_u64_u32 v[10:11], s[4:5], s14, v8, v[0:1]
	v_mul_lo_u32 v12, s14, v9
	v_mul_lo_u32 v13, s15, v8
	v_add3_u32 v11, v13, v11, v12
	s_mov_b64 s[20:21], 0
	s_mov_b64 s[26:27], s[12:13]
	v_mov_b64_e32 v[12:13], v[4:5]
                                        ; implicit-def: $sgpr16_sgpr17
                                        ; implicit-def: $sgpr22_sgpr23
                                        ; implicit-def: $sgpr24_sgpr25
                                        ; implicit-def: $sgpr4_sgpr5
                                        ; implicit-def: $sgpr28_sgpr29
	s_branch .LBB659_38
.LBB659_37:                             ;   in Loop: Header=BB659_38 Depth=2
	s_or_b64 exec, exec, s[30:31]
	s_and_b64 s[6:7], exec, s[22:23]
	s_or_b64 s[20:21], s[6:7], s[20:21]
	s_andn2_b64 s[6:7], s[28:29], exec
	s_and_b64 s[28:29], s[24:25], exec
	s_or_b64 s[28:29], s[6:7], s[28:29]
	s_andn2_b64 s[6:7], s[16:17], exec
	s_and_b64 s[16:17], s[4:5], exec
	s_or_b64 s[16:17], s[6:7], s[16:17]
	s_andn2_b64 exec, exec, s[20:21]
	s_cbranch_execz .LBB659_40
.LBB659_38:                             ;   Parent Loop BB659_34 Depth=1
                                        ; =>  This Inner Loop Header: Depth=2
	global_load_ushort v17, v[12:13], off
	global_load_ushort v18, v[10:11], off
	s_andn2_b64 s[30:31], s[4:5], exec
	s_andn2_b64 s[24:25], s[24:25], exec
	s_or_b64 s[22:23], s[22:23], exec
	s_waitcnt vmcnt(0)
	v_cmp_le_i16_e64 s[4:5], v17, v18
	v_cmp_lt_i16_e32 vcc, v17, v18
	s_and_b64 s[4:5], s[4:5], s[28:29]
	s_or_b64 s[34:35], vcc, s[4:5]
	s_and_b64 s[4:5], s[34:35], exec
	v_cmp_eq_u16_e64 s[6:7], v17, v18
	s_or_b64 s[4:5], s[30:31], s[4:5]
	s_and_saveexec_b64 s[30:31], s[6:7]
	s_cbranch_execz .LBB659_37
; %bb.39:                               ;   in Loop: Header=BB659_38 Depth=2
	s_add_u32 s26, s26, -1
	s_addc_u32 s27, s27, -1
	s_cmp_eq_u64 s[26:27], 0
	s_cselect_b64 s[6:7], -1, 0
	s_andn2_b64 s[24:25], s[24:25], exec
	s_and_b64 s[28:29], s[34:35], exec
	s_andn2_b64 s[22:23], s[22:23], exec
	s_and_b64 s[6:7], s[6:7], exec
	v_lshl_add_u64 v[12:13], v[12:13], 0, 2
	v_lshl_add_u64 v[10:11], v[10:11], 0, 2
	s_andn2_b64 s[4:5], s[4:5], exec
	s_or_b64 s[24:25], s[24:25], s[28:29]
	s_or_b64 s[22:23], s[22:23], s[6:7]
                                        ; implicit-def: $sgpr28_sgpr29
	s_branch .LBB659_37
.LBB659_40:                             ;   in Loop: Header=BB659_34 Depth=1
	s_or_b64 exec, exec, s[20:21]
	s_branch .LBB659_42
.LBB659_41:                             ;   in Loop: Header=BB659_34 Depth=1
	s_mov_b64 s[16:17], 0
.LBB659_42:                             ;   in Loop: Header=BB659_34 Depth=1
	s_xor_b64 s[16:17], s[16:17], -1
	s_mov_b64 s[4:5], 0
.LBB659_43:                             ;   in Loop: Header=BB659_34 Depth=1
	s_and_b64 vcc, exec, s[4:5]
	s_cbranch_vccz .LBB659_33
; %bb.44:                               ;   in Loop: Header=BB659_34 Depth=1
	s_and_b64 vcc, exec, s[2:3]
	s_cbranch_vccnz .LBB659_49
; %bb.45:                               ;   in Loop: Header=BB659_34 Depth=1
	s_waitcnt vmcnt(0)
	v_mad_u64_u32 v[10:11], s[4:5], s14, v8, v[0:1]
	v_mul_lo_u32 v9, s14, v9
	v_mul_lo_u32 v8, s15, v8
	v_add3_u32 v11, v8, v11, v9
	s_mov_b64 s[20:21], 0
	s_mov_b64 s[26:27], s[12:13]
	v_mov_b64_e32 v[8:9], v[4:5]
                                        ; implicit-def: $sgpr16_sgpr17
                                        ; implicit-def: $sgpr22_sgpr23
                                        ; implicit-def: $sgpr24_sgpr25
                                        ; implicit-def: $sgpr4_sgpr5
                                        ; implicit-def: $sgpr28_sgpr29
	s_branch .LBB659_47
.LBB659_46:                             ;   in Loop: Header=BB659_47 Depth=2
	s_or_b64 exec, exec, s[30:31]
	s_and_b64 s[6:7], exec, s[22:23]
	s_or_b64 s[20:21], s[6:7], s[20:21]
	s_andn2_b64 s[6:7], s[28:29], exec
	s_and_b64 s[28:29], s[24:25], exec
	s_or_b64 s[28:29], s[6:7], s[28:29]
	s_andn2_b64 s[6:7], s[16:17], exec
	s_and_b64 s[16:17], s[4:5], exec
	s_or_b64 s[16:17], s[6:7], s[16:17]
	s_andn2_b64 exec, exec, s[20:21]
	s_cbranch_execz .LBB659_32
.LBB659_47:                             ;   Parent Loop BB659_34 Depth=1
                                        ; =>  This Inner Loop Header: Depth=2
	global_load_ushort v12, v[10:11], off
	global_load_ushort v13, v[8:9], off
	s_andn2_b64 s[30:31], s[4:5], exec
	s_andn2_b64 s[24:25], s[24:25], exec
	s_or_b64 s[22:23], s[22:23], exec
	s_waitcnt vmcnt(0)
	v_cmp_le_i16_e64 s[4:5], v12, v13
	v_cmp_lt_i16_e32 vcc, v12, v13
	s_and_b64 s[4:5], s[4:5], s[28:29]
	s_or_b64 s[34:35], vcc, s[4:5]
	s_and_b64 s[4:5], s[34:35], exec
	v_cmp_eq_u16_e64 s[6:7], v12, v13
	s_or_b64 s[4:5], s[30:31], s[4:5]
	s_and_saveexec_b64 s[30:31], s[6:7]
	s_cbranch_execz .LBB659_46
; %bb.48:                               ;   in Loop: Header=BB659_47 Depth=2
	s_add_u32 s26, s26, -1
	s_addc_u32 s27, s27, -1
	s_cmp_eq_u64 s[26:27], 0
	s_cselect_b64 s[6:7], -1, 0
	s_andn2_b64 s[24:25], s[24:25], exec
	s_and_b64 s[28:29], s[34:35], exec
	s_andn2_b64 s[22:23], s[22:23], exec
	s_and_b64 s[6:7], s[6:7], exec
	v_lshl_add_u64 v[10:11], v[10:11], 0, 2
	v_lshl_add_u64 v[8:9], v[8:9], 0, 2
	s_andn2_b64 s[4:5], s[4:5], exec
	s_or_b64 s[24:25], s[24:25], s[28:29]
	s_or_b64 s[22:23], s[22:23], s[6:7]
                                        ; implicit-def: $sgpr28_sgpr29
	s_branch .LBB659_46
.LBB659_49:                             ;   in Loop: Header=BB659_34 Depth=1
	s_mov_b64 s[16:17], 0
	s_branch .LBB659_33
.LBB659_50:
	s_or_b64 exec, exec, s[18:19]
.LBB659_51:
	v_add_u32_e32 v4, v15, v14
	s_mov_b64 s[18:19], -1
.LBB659_52:
	s_and_b64 exec, exec, s[18:19]
	s_cbranch_execz .LBB659_54
; %bb.53:
	v_mov_b32_e32 v0, s10
	v_mov_b32_e32 v1, s11
	;; [unrolled: 1-line block ×3, first 2 shown]
	v_lshl_add_u64 v[0:1], v[4:5], 3, v[0:1]
	s_waitcnt vmcnt(0)
	global_store_dwordx2 v[0:1], v[2:3], off
.LBB659_54:
	s_endpgm
	.section	.rodata,"a",@progbits
	.p2align	6, 0x0
	.amdhsa_kernel _ZN7rocprim17ROCPRIM_400000_NS6detail17trampoline_kernelINS0_14default_configENS1_38merge_sort_block_merge_config_selectorIlNS0_10empty_typeEEEZZNS1_27merge_sort_block_merge_implIS3_PlPS5_mZN2at6native12_GLOBAL__N_124unique_dim_cuda_templateIsEESt5tupleIJNSA_6TensorESF_SF_EERKSF_lbbbEUlllE_EE10hipError_tT0_T1_T2_jT3_P12ihipStream_tbPNSt15iterator_traitsISL_E10value_typeEPNSR_ISM_E10value_typeEPSN_NS1_7vsmem_tEENKUlT_SL_SM_SN_E_clIS8_S8_S9_S9_EESK_S10_SL_SM_SN_EUlS10_E1_NS1_11comp_targetILNS1_3genE5ELNS1_11target_archE942ELNS1_3gpuE9ELNS1_3repE0EEENS1_36merge_oddeven_config_static_selectorELNS0_4arch9wavefront6targetE1EEEvSM_
		.amdhsa_group_segment_fixed_size 0
		.amdhsa_private_segment_fixed_size 0
		.amdhsa_kernarg_size 64
		.amdhsa_user_sgpr_count 2
		.amdhsa_user_sgpr_dispatch_ptr 0
		.amdhsa_user_sgpr_queue_ptr 0
		.amdhsa_user_sgpr_kernarg_segment_ptr 1
		.amdhsa_user_sgpr_dispatch_id 0
		.amdhsa_user_sgpr_kernarg_preload_length 0
		.amdhsa_user_sgpr_kernarg_preload_offset 0
		.amdhsa_user_sgpr_private_segment_size 0
		.amdhsa_uses_dynamic_stack 0
		.amdhsa_enable_private_segment 0
		.amdhsa_system_sgpr_workgroup_id_x 1
		.amdhsa_system_sgpr_workgroup_id_y 0
		.amdhsa_system_sgpr_workgroup_id_z 0
		.amdhsa_system_sgpr_workgroup_info 0
		.amdhsa_system_vgpr_workitem_id 0
		.amdhsa_next_free_vgpr 19
		.amdhsa_next_free_sgpr 46
		.amdhsa_accum_offset 20
		.amdhsa_reserve_vcc 1
		.amdhsa_float_round_mode_32 0
		.amdhsa_float_round_mode_16_64 0
		.amdhsa_float_denorm_mode_32 3
		.amdhsa_float_denorm_mode_16_64 3
		.amdhsa_dx10_clamp 1
		.amdhsa_ieee_mode 1
		.amdhsa_fp16_overflow 0
		.amdhsa_tg_split 0
		.amdhsa_exception_fp_ieee_invalid_op 0
		.amdhsa_exception_fp_denorm_src 0
		.amdhsa_exception_fp_ieee_div_zero 0
		.amdhsa_exception_fp_ieee_overflow 0
		.amdhsa_exception_fp_ieee_underflow 0
		.amdhsa_exception_fp_ieee_inexact 0
		.amdhsa_exception_int_div_zero 0
	.end_amdhsa_kernel
	.section	.text._ZN7rocprim17ROCPRIM_400000_NS6detail17trampoline_kernelINS0_14default_configENS1_38merge_sort_block_merge_config_selectorIlNS0_10empty_typeEEEZZNS1_27merge_sort_block_merge_implIS3_PlPS5_mZN2at6native12_GLOBAL__N_124unique_dim_cuda_templateIsEESt5tupleIJNSA_6TensorESF_SF_EERKSF_lbbbEUlllE_EE10hipError_tT0_T1_T2_jT3_P12ihipStream_tbPNSt15iterator_traitsISL_E10value_typeEPNSR_ISM_E10value_typeEPSN_NS1_7vsmem_tEENKUlT_SL_SM_SN_E_clIS8_S8_S9_S9_EESK_S10_SL_SM_SN_EUlS10_E1_NS1_11comp_targetILNS1_3genE5ELNS1_11target_archE942ELNS1_3gpuE9ELNS1_3repE0EEENS1_36merge_oddeven_config_static_selectorELNS0_4arch9wavefront6targetE1EEEvSM_,"axG",@progbits,_ZN7rocprim17ROCPRIM_400000_NS6detail17trampoline_kernelINS0_14default_configENS1_38merge_sort_block_merge_config_selectorIlNS0_10empty_typeEEEZZNS1_27merge_sort_block_merge_implIS3_PlPS5_mZN2at6native12_GLOBAL__N_124unique_dim_cuda_templateIsEESt5tupleIJNSA_6TensorESF_SF_EERKSF_lbbbEUlllE_EE10hipError_tT0_T1_T2_jT3_P12ihipStream_tbPNSt15iterator_traitsISL_E10value_typeEPNSR_ISM_E10value_typeEPSN_NS1_7vsmem_tEENKUlT_SL_SM_SN_E_clIS8_S8_S9_S9_EESK_S10_SL_SM_SN_EUlS10_E1_NS1_11comp_targetILNS1_3genE5ELNS1_11target_archE942ELNS1_3gpuE9ELNS1_3repE0EEENS1_36merge_oddeven_config_static_selectorELNS0_4arch9wavefront6targetE1EEEvSM_,comdat
.Lfunc_end659:
	.size	_ZN7rocprim17ROCPRIM_400000_NS6detail17trampoline_kernelINS0_14default_configENS1_38merge_sort_block_merge_config_selectorIlNS0_10empty_typeEEEZZNS1_27merge_sort_block_merge_implIS3_PlPS5_mZN2at6native12_GLOBAL__N_124unique_dim_cuda_templateIsEESt5tupleIJNSA_6TensorESF_SF_EERKSF_lbbbEUlllE_EE10hipError_tT0_T1_T2_jT3_P12ihipStream_tbPNSt15iterator_traitsISL_E10value_typeEPNSR_ISM_E10value_typeEPSN_NS1_7vsmem_tEENKUlT_SL_SM_SN_E_clIS8_S8_S9_S9_EESK_S10_SL_SM_SN_EUlS10_E1_NS1_11comp_targetILNS1_3genE5ELNS1_11target_archE942ELNS1_3gpuE9ELNS1_3repE0EEENS1_36merge_oddeven_config_static_selectorELNS0_4arch9wavefront6targetE1EEEvSM_, .Lfunc_end659-_ZN7rocprim17ROCPRIM_400000_NS6detail17trampoline_kernelINS0_14default_configENS1_38merge_sort_block_merge_config_selectorIlNS0_10empty_typeEEEZZNS1_27merge_sort_block_merge_implIS3_PlPS5_mZN2at6native12_GLOBAL__N_124unique_dim_cuda_templateIsEESt5tupleIJNSA_6TensorESF_SF_EERKSF_lbbbEUlllE_EE10hipError_tT0_T1_T2_jT3_P12ihipStream_tbPNSt15iterator_traitsISL_E10value_typeEPNSR_ISM_E10value_typeEPSN_NS1_7vsmem_tEENKUlT_SL_SM_SN_E_clIS8_S8_S9_S9_EESK_S10_SL_SM_SN_EUlS10_E1_NS1_11comp_targetILNS1_3genE5ELNS1_11target_archE942ELNS1_3gpuE9ELNS1_3repE0EEENS1_36merge_oddeven_config_static_selectorELNS0_4arch9wavefront6targetE1EEEvSM_
                                        ; -- End function
	.section	.AMDGPU.csdata,"",@progbits
; Kernel info:
; codeLenInByte = 1784
; NumSgprs: 52
; NumVgprs: 19
; NumAgprs: 0
; TotalNumVgprs: 19
; ScratchSize: 0
; MemoryBound: 0
; FloatMode: 240
; IeeeMode: 1
; LDSByteSize: 0 bytes/workgroup (compile time only)
; SGPRBlocks: 6
; VGPRBlocks: 2
; NumSGPRsForWavesPerEU: 52
; NumVGPRsForWavesPerEU: 19
; AccumOffset: 20
; Occupancy: 8
; WaveLimiterHint : 0
; COMPUTE_PGM_RSRC2:SCRATCH_EN: 0
; COMPUTE_PGM_RSRC2:USER_SGPR: 2
; COMPUTE_PGM_RSRC2:TRAP_HANDLER: 0
; COMPUTE_PGM_RSRC2:TGID_X_EN: 1
; COMPUTE_PGM_RSRC2:TGID_Y_EN: 0
; COMPUTE_PGM_RSRC2:TGID_Z_EN: 0
; COMPUTE_PGM_RSRC2:TIDIG_COMP_CNT: 0
; COMPUTE_PGM_RSRC3_GFX90A:ACCUM_OFFSET: 4
; COMPUTE_PGM_RSRC3_GFX90A:TG_SPLIT: 0
	.section	.text._ZN7rocprim17ROCPRIM_400000_NS6detail17trampoline_kernelINS0_14default_configENS1_38merge_sort_block_merge_config_selectorIlNS0_10empty_typeEEEZZNS1_27merge_sort_block_merge_implIS3_PlPS5_mZN2at6native12_GLOBAL__N_124unique_dim_cuda_templateIsEESt5tupleIJNSA_6TensorESF_SF_EERKSF_lbbbEUlllE_EE10hipError_tT0_T1_T2_jT3_P12ihipStream_tbPNSt15iterator_traitsISL_E10value_typeEPNSR_ISM_E10value_typeEPSN_NS1_7vsmem_tEENKUlT_SL_SM_SN_E_clIS8_S8_S9_S9_EESK_S10_SL_SM_SN_EUlS10_E1_NS1_11comp_targetILNS1_3genE4ELNS1_11target_archE910ELNS1_3gpuE8ELNS1_3repE0EEENS1_36merge_oddeven_config_static_selectorELNS0_4arch9wavefront6targetE1EEEvSM_,"axG",@progbits,_ZN7rocprim17ROCPRIM_400000_NS6detail17trampoline_kernelINS0_14default_configENS1_38merge_sort_block_merge_config_selectorIlNS0_10empty_typeEEEZZNS1_27merge_sort_block_merge_implIS3_PlPS5_mZN2at6native12_GLOBAL__N_124unique_dim_cuda_templateIsEESt5tupleIJNSA_6TensorESF_SF_EERKSF_lbbbEUlllE_EE10hipError_tT0_T1_T2_jT3_P12ihipStream_tbPNSt15iterator_traitsISL_E10value_typeEPNSR_ISM_E10value_typeEPSN_NS1_7vsmem_tEENKUlT_SL_SM_SN_E_clIS8_S8_S9_S9_EESK_S10_SL_SM_SN_EUlS10_E1_NS1_11comp_targetILNS1_3genE4ELNS1_11target_archE910ELNS1_3gpuE8ELNS1_3repE0EEENS1_36merge_oddeven_config_static_selectorELNS0_4arch9wavefront6targetE1EEEvSM_,comdat
	.globl	_ZN7rocprim17ROCPRIM_400000_NS6detail17trampoline_kernelINS0_14default_configENS1_38merge_sort_block_merge_config_selectorIlNS0_10empty_typeEEEZZNS1_27merge_sort_block_merge_implIS3_PlPS5_mZN2at6native12_GLOBAL__N_124unique_dim_cuda_templateIsEESt5tupleIJNSA_6TensorESF_SF_EERKSF_lbbbEUlllE_EE10hipError_tT0_T1_T2_jT3_P12ihipStream_tbPNSt15iterator_traitsISL_E10value_typeEPNSR_ISM_E10value_typeEPSN_NS1_7vsmem_tEENKUlT_SL_SM_SN_E_clIS8_S8_S9_S9_EESK_S10_SL_SM_SN_EUlS10_E1_NS1_11comp_targetILNS1_3genE4ELNS1_11target_archE910ELNS1_3gpuE8ELNS1_3repE0EEENS1_36merge_oddeven_config_static_selectorELNS0_4arch9wavefront6targetE1EEEvSM_ ; -- Begin function _ZN7rocprim17ROCPRIM_400000_NS6detail17trampoline_kernelINS0_14default_configENS1_38merge_sort_block_merge_config_selectorIlNS0_10empty_typeEEEZZNS1_27merge_sort_block_merge_implIS3_PlPS5_mZN2at6native12_GLOBAL__N_124unique_dim_cuda_templateIsEESt5tupleIJNSA_6TensorESF_SF_EERKSF_lbbbEUlllE_EE10hipError_tT0_T1_T2_jT3_P12ihipStream_tbPNSt15iterator_traitsISL_E10value_typeEPNSR_ISM_E10value_typeEPSN_NS1_7vsmem_tEENKUlT_SL_SM_SN_E_clIS8_S8_S9_S9_EESK_S10_SL_SM_SN_EUlS10_E1_NS1_11comp_targetILNS1_3genE4ELNS1_11target_archE910ELNS1_3gpuE8ELNS1_3repE0EEENS1_36merge_oddeven_config_static_selectorELNS0_4arch9wavefront6targetE1EEEvSM_
	.p2align	8
	.type	_ZN7rocprim17ROCPRIM_400000_NS6detail17trampoline_kernelINS0_14default_configENS1_38merge_sort_block_merge_config_selectorIlNS0_10empty_typeEEEZZNS1_27merge_sort_block_merge_implIS3_PlPS5_mZN2at6native12_GLOBAL__N_124unique_dim_cuda_templateIsEESt5tupleIJNSA_6TensorESF_SF_EERKSF_lbbbEUlllE_EE10hipError_tT0_T1_T2_jT3_P12ihipStream_tbPNSt15iterator_traitsISL_E10value_typeEPNSR_ISM_E10value_typeEPSN_NS1_7vsmem_tEENKUlT_SL_SM_SN_E_clIS8_S8_S9_S9_EESK_S10_SL_SM_SN_EUlS10_E1_NS1_11comp_targetILNS1_3genE4ELNS1_11target_archE910ELNS1_3gpuE8ELNS1_3repE0EEENS1_36merge_oddeven_config_static_selectorELNS0_4arch9wavefront6targetE1EEEvSM_,@function
_ZN7rocprim17ROCPRIM_400000_NS6detail17trampoline_kernelINS0_14default_configENS1_38merge_sort_block_merge_config_selectorIlNS0_10empty_typeEEEZZNS1_27merge_sort_block_merge_implIS3_PlPS5_mZN2at6native12_GLOBAL__N_124unique_dim_cuda_templateIsEESt5tupleIJNSA_6TensorESF_SF_EERKSF_lbbbEUlllE_EE10hipError_tT0_T1_T2_jT3_P12ihipStream_tbPNSt15iterator_traitsISL_E10value_typeEPNSR_ISM_E10value_typeEPSN_NS1_7vsmem_tEENKUlT_SL_SM_SN_E_clIS8_S8_S9_S9_EESK_S10_SL_SM_SN_EUlS10_E1_NS1_11comp_targetILNS1_3genE4ELNS1_11target_archE910ELNS1_3gpuE8ELNS1_3repE0EEENS1_36merge_oddeven_config_static_selectorELNS0_4arch9wavefront6targetE1EEEvSM_: ; @_ZN7rocprim17ROCPRIM_400000_NS6detail17trampoline_kernelINS0_14default_configENS1_38merge_sort_block_merge_config_selectorIlNS0_10empty_typeEEEZZNS1_27merge_sort_block_merge_implIS3_PlPS5_mZN2at6native12_GLOBAL__N_124unique_dim_cuda_templateIsEESt5tupleIJNSA_6TensorESF_SF_EERKSF_lbbbEUlllE_EE10hipError_tT0_T1_T2_jT3_P12ihipStream_tbPNSt15iterator_traitsISL_E10value_typeEPNSR_ISM_E10value_typeEPSN_NS1_7vsmem_tEENKUlT_SL_SM_SN_E_clIS8_S8_S9_S9_EESK_S10_SL_SM_SN_EUlS10_E1_NS1_11comp_targetILNS1_3genE4ELNS1_11target_archE910ELNS1_3gpuE8ELNS1_3repE0EEENS1_36merge_oddeven_config_static_selectorELNS0_4arch9wavefront6targetE1EEEvSM_
; %bb.0:
	.section	.rodata,"a",@progbits
	.p2align	6, 0x0
	.amdhsa_kernel _ZN7rocprim17ROCPRIM_400000_NS6detail17trampoline_kernelINS0_14default_configENS1_38merge_sort_block_merge_config_selectorIlNS0_10empty_typeEEEZZNS1_27merge_sort_block_merge_implIS3_PlPS5_mZN2at6native12_GLOBAL__N_124unique_dim_cuda_templateIsEESt5tupleIJNSA_6TensorESF_SF_EERKSF_lbbbEUlllE_EE10hipError_tT0_T1_T2_jT3_P12ihipStream_tbPNSt15iterator_traitsISL_E10value_typeEPNSR_ISM_E10value_typeEPSN_NS1_7vsmem_tEENKUlT_SL_SM_SN_E_clIS8_S8_S9_S9_EESK_S10_SL_SM_SN_EUlS10_E1_NS1_11comp_targetILNS1_3genE4ELNS1_11target_archE910ELNS1_3gpuE8ELNS1_3repE0EEENS1_36merge_oddeven_config_static_selectorELNS0_4arch9wavefront6targetE1EEEvSM_
		.amdhsa_group_segment_fixed_size 0
		.amdhsa_private_segment_fixed_size 0
		.amdhsa_kernarg_size 64
		.amdhsa_user_sgpr_count 2
		.amdhsa_user_sgpr_dispatch_ptr 0
		.amdhsa_user_sgpr_queue_ptr 0
		.amdhsa_user_sgpr_kernarg_segment_ptr 1
		.amdhsa_user_sgpr_dispatch_id 0
		.amdhsa_user_sgpr_kernarg_preload_length 0
		.amdhsa_user_sgpr_kernarg_preload_offset 0
		.amdhsa_user_sgpr_private_segment_size 0
		.amdhsa_uses_dynamic_stack 0
		.amdhsa_enable_private_segment 0
		.amdhsa_system_sgpr_workgroup_id_x 1
		.amdhsa_system_sgpr_workgroup_id_y 0
		.amdhsa_system_sgpr_workgroup_id_z 0
		.amdhsa_system_sgpr_workgroup_info 0
		.amdhsa_system_vgpr_workitem_id 0
		.amdhsa_next_free_vgpr 1
		.amdhsa_next_free_sgpr 0
		.amdhsa_accum_offset 4
		.amdhsa_reserve_vcc 0
		.amdhsa_float_round_mode_32 0
		.amdhsa_float_round_mode_16_64 0
		.amdhsa_float_denorm_mode_32 3
		.amdhsa_float_denorm_mode_16_64 3
		.amdhsa_dx10_clamp 1
		.amdhsa_ieee_mode 1
		.amdhsa_fp16_overflow 0
		.amdhsa_tg_split 0
		.amdhsa_exception_fp_ieee_invalid_op 0
		.amdhsa_exception_fp_denorm_src 0
		.amdhsa_exception_fp_ieee_div_zero 0
		.amdhsa_exception_fp_ieee_overflow 0
		.amdhsa_exception_fp_ieee_underflow 0
		.amdhsa_exception_fp_ieee_inexact 0
		.amdhsa_exception_int_div_zero 0
	.end_amdhsa_kernel
	.section	.text._ZN7rocprim17ROCPRIM_400000_NS6detail17trampoline_kernelINS0_14default_configENS1_38merge_sort_block_merge_config_selectorIlNS0_10empty_typeEEEZZNS1_27merge_sort_block_merge_implIS3_PlPS5_mZN2at6native12_GLOBAL__N_124unique_dim_cuda_templateIsEESt5tupleIJNSA_6TensorESF_SF_EERKSF_lbbbEUlllE_EE10hipError_tT0_T1_T2_jT3_P12ihipStream_tbPNSt15iterator_traitsISL_E10value_typeEPNSR_ISM_E10value_typeEPSN_NS1_7vsmem_tEENKUlT_SL_SM_SN_E_clIS8_S8_S9_S9_EESK_S10_SL_SM_SN_EUlS10_E1_NS1_11comp_targetILNS1_3genE4ELNS1_11target_archE910ELNS1_3gpuE8ELNS1_3repE0EEENS1_36merge_oddeven_config_static_selectorELNS0_4arch9wavefront6targetE1EEEvSM_,"axG",@progbits,_ZN7rocprim17ROCPRIM_400000_NS6detail17trampoline_kernelINS0_14default_configENS1_38merge_sort_block_merge_config_selectorIlNS0_10empty_typeEEEZZNS1_27merge_sort_block_merge_implIS3_PlPS5_mZN2at6native12_GLOBAL__N_124unique_dim_cuda_templateIsEESt5tupleIJNSA_6TensorESF_SF_EERKSF_lbbbEUlllE_EE10hipError_tT0_T1_T2_jT3_P12ihipStream_tbPNSt15iterator_traitsISL_E10value_typeEPNSR_ISM_E10value_typeEPSN_NS1_7vsmem_tEENKUlT_SL_SM_SN_E_clIS8_S8_S9_S9_EESK_S10_SL_SM_SN_EUlS10_E1_NS1_11comp_targetILNS1_3genE4ELNS1_11target_archE910ELNS1_3gpuE8ELNS1_3repE0EEENS1_36merge_oddeven_config_static_selectorELNS0_4arch9wavefront6targetE1EEEvSM_,comdat
.Lfunc_end660:
	.size	_ZN7rocprim17ROCPRIM_400000_NS6detail17trampoline_kernelINS0_14default_configENS1_38merge_sort_block_merge_config_selectorIlNS0_10empty_typeEEEZZNS1_27merge_sort_block_merge_implIS3_PlPS5_mZN2at6native12_GLOBAL__N_124unique_dim_cuda_templateIsEESt5tupleIJNSA_6TensorESF_SF_EERKSF_lbbbEUlllE_EE10hipError_tT0_T1_T2_jT3_P12ihipStream_tbPNSt15iterator_traitsISL_E10value_typeEPNSR_ISM_E10value_typeEPSN_NS1_7vsmem_tEENKUlT_SL_SM_SN_E_clIS8_S8_S9_S9_EESK_S10_SL_SM_SN_EUlS10_E1_NS1_11comp_targetILNS1_3genE4ELNS1_11target_archE910ELNS1_3gpuE8ELNS1_3repE0EEENS1_36merge_oddeven_config_static_selectorELNS0_4arch9wavefront6targetE1EEEvSM_, .Lfunc_end660-_ZN7rocprim17ROCPRIM_400000_NS6detail17trampoline_kernelINS0_14default_configENS1_38merge_sort_block_merge_config_selectorIlNS0_10empty_typeEEEZZNS1_27merge_sort_block_merge_implIS3_PlPS5_mZN2at6native12_GLOBAL__N_124unique_dim_cuda_templateIsEESt5tupleIJNSA_6TensorESF_SF_EERKSF_lbbbEUlllE_EE10hipError_tT0_T1_T2_jT3_P12ihipStream_tbPNSt15iterator_traitsISL_E10value_typeEPNSR_ISM_E10value_typeEPSN_NS1_7vsmem_tEENKUlT_SL_SM_SN_E_clIS8_S8_S9_S9_EESK_S10_SL_SM_SN_EUlS10_E1_NS1_11comp_targetILNS1_3genE4ELNS1_11target_archE910ELNS1_3gpuE8ELNS1_3repE0EEENS1_36merge_oddeven_config_static_selectorELNS0_4arch9wavefront6targetE1EEEvSM_
                                        ; -- End function
	.section	.AMDGPU.csdata,"",@progbits
; Kernel info:
; codeLenInByte = 0
; NumSgprs: 6
; NumVgprs: 0
; NumAgprs: 0
; TotalNumVgprs: 0
; ScratchSize: 0
; MemoryBound: 0
; FloatMode: 240
; IeeeMode: 1
; LDSByteSize: 0 bytes/workgroup (compile time only)
; SGPRBlocks: 0
; VGPRBlocks: 0
; NumSGPRsForWavesPerEU: 6
; NumVGPRsForWavesPerEU: 1
; AccumOffset: 4
; Occupancy: 8
; WaveLimiterHint : 0
; COMPUTE_PGM_RSRC2:SCRATCH_EN: 0
; COMPUTE_PGM_RSRC2:USER_SGPR: 2
; COMPUTE_PGM_RSRC2:TRAP_HANDLER: 0
; COMPUTE_PGM_RSRC2:TGID_X_EN: 1
; COMPUTE_PGM_RSRC2:TGID_Y_EN: 0
; COMPUTE_PGM_RSRC2:TGID_Z_EN: 0
; COMPUTE_PGM_RSRC2:TIDIG_COMP_CNT: 0
; COMPUTE_PGM_RSRC3_GFX90A:ACCUM_OFFSET: 0
; COMPUTE_PGM_RSRC3_GFX90A:TG_SPLIT: 0
	.section	.text._ZN7rocprim17ROCPRIM_400000_NS6detail17trampoline_kernelINS0_14default_configENS1_38merge_sort_block_merge_config_selectorIlNS0_10empty_typeEEEZZNS1_27merge_sort_block_merge_implIS3_PlPS5_mZN2at6native12_GLOBAL__N_124unique_dim_cuda_templateIsEESt5tupleIJNSA_6TensorESF_SF_EERKSF_lbbbEUlllE_EE10hipError_tT0_T1_T2_jT3_P12ihipStream_tbPNSt15iterator_traitsISL_E10value_typeEPNSR_ISM_E10value_typeEPSN_NS1_7vsmem_tEENKUlT_SL_SM_SN_E_clIS8_S8_S9_S9_EESK_S10_SL_SM_SN_EUlS10_E1_NS1_11comp_targetILNS1_3genE3ELNS1_11target_archE908ELNS1_3gpuE7ELNS1_3repE0EEENS1_36merge_oddeven_config_static_selectorELNS0_4arch9wavefront6targetE1EEEvSM_,"axG",@progbits,_ZN7rocprim17ROCPRIM_400000_NS6detail17trampoline_kernelINS0_14default_configENS1_38merge_sort_block_merge_config_selectorIlNS0_10empty_typeEEEZZNS1_27merge_sort_block_merge_implIS3_PlPS5_mZN2at6native12_GLOBAL__N_124unique_dim_cuda_templateIsEESt5tupleIJNSA_6TensorESF_SF_EERKSF_lbbbEUlllE_EE10hipError_tT0_T1_T2_jT3_P12ihipStream_tbPNSt15iterator_traitsISL_E10value_typeEPNSR_ISM_E10value_typeEPSN_NS1_7vsmem_tEENKUlT_SL_SM_SN_E_clIS8_S8_S9_S9_EESK_S10_SL_SM_SN_EUlS10_E1_NS1_11comp_targetILNS1_3genE3ELNS1_11target_archE908ELNS1_3gpuE7ELNS1_3repE0EEENS1_36merge_oddeven_config_static_selectorELNS0_4arch9wavefront6targetE1EEEvSM_,comdat
	.globl	_ZN7rocprim17ROCPRIM_400000_NS6detail17trampoline_kernelINS0_14default_configENS1_38merge_sort_block_merge_config_selectorIlNS0_10empty_typeEEEZZNS1_27merge_sort_block_merge_implIS3_PlPS5_mZN2at6native12_GLOBAL__N_124unique_dim_cuda_templateIsEESt5tupleIJNSA_6TensorESF_SF_EERKSF_lbbbEUlllE_EE10hipError_tT0_T1_T2_jT3_P12ihipStream_tbPNSt15iterator_traitsISL_E10value_typeEPNSR_ISM_E10value_typeEPSN_NS1_7vsmem_tEENKUlT_SL_SM_SN_E_clIS8_S8_S9_S9_EESK_S10_SL_SM_SN_EUlS10_E1_NS1_11comp_targetILNS1_3genE3ELNS1_11target_archE908ELNS1_3gpuE7ELNS1_3repE0EEENS1_36merge_oddeven_config_static_selectorELNS0_4arch9wavefront6targetE1EEEvSM_ ; -- Begin function _ZN7rocprim17ROCPRIM_400000_NS6detail17trampoline_kernelINS0_14default_configENS1_38merge_sort_block_merge_config_selectorIlNS0_10empty_typeEEEZZNS1_27merge_sort_block_merge_implIS3_PlPS5_mZN2at6native12_GLOBAL__N_124unique_dim_cuda_templateIsEESt5tupleIJNSA_6TensorESF_SF_EERKSF_lbbbEUlllE_EE10hipError_tT0_T1_T2_jT3_P12ihipStream_tbPNSt15iterator_traitsISL_E10value_typeEPNSR_ISM_E10value_typeEPSN_NS1_7vsmem_tEENKUlT_SL_SM_SN_E_clIS8_S8_S9_S9_EESK_S10_SL_SM_SN_EUlS10_E1_NS1_11comp_targetILNS1_3genE3ELNS1_11target_archE908ELNS1_3gpuE7ELNS1_3repE0EEENS1_36merge_oddeven_config_static_selectorELNS0_4arch9wavefront6targetE1EEEvSM_
	.p2align	8
	.type	_ZN7rocprim17ROCPRIM_400000_NS6detail17trampoline_kernelINS0_14default_configENS1_38merge_sort_block_merge_config_selectorIlNS0_10empty_typeEEEZZNS1_27merge_sort_block_merge_implIS3_PlPS5_mZN2at6native12_GLOBAL__N_124unique_dim_cuda_templateIsEESt5tupleIJNSA_6TensorESF_SF_EERKSF_lbbbEUlllE_EE10hipError_tT0_T1_T2_jT3_P12ihipStream_tbPNSt15iterator_traitsISL_E10value_typeEPNSR_ISM_E10value_typeEPSN_NS1_7vsmem_tEENKUlT_SL_SM_SN_E_clIS8_S8_S9_S9_EESK_S10_SL_SM_SN_EUlS10_E1_NS1_11comp_targetILNS1_3genE3ELNS1_11target_archE908ELNS1_3gpuE7ELNS1_3repE0EEENS1_36merge_oddeven_config_static_selectorELNS0_4arch9wavefront6targetE1EEEvSM_,@function
_ZN7rocprim17ROCPRIM_400000_NS6detail17trampoline_kernelINS0_14default_configENS1_38merge_sort_block_merge_config_selectorIlNS0_10empty_typeEEEZZNS1_27merge_sort_block_merge_implIS3_PlPS5_mZN2at6native12_GLOBAL__N_124unique_dim_cuda_templateIsEESt5tupleIJNSA_6TensorESF_SF_EERKSF_lbbbEUlllE_EE10hipError_tT0_T1_T2_jT3_P12ihipStream_tbPNSt15iterator_traitsISL_E10value_typeEPNSR_ISM_E10value_typeEPSN_NS1_7vsmem_tEENKUlT_SL_SM_SN_E_clIS8_S8_S9_S9_EESK_S10_SL_SM_SN_EUlS10_E1_NS1_11comp_targetILNS1_3genE3ELNS1_11target_archE908ELNS1_3gpuE7ELNS1_3repE0EEENS1_36merge_oddeven_config_static_selectorELNS0_4arch9wavefront6targetE1EEEvSM_: ; @_ZN7rocprim17ROCPRIM_400000_NS6detail17trampoline_kernelINS0_14default_configENS1_38merge_sort_block_merge_config_selectorIlNS0_10empty_typeEEEZZNS1_27merge_sort_block_merge_implIS3_PlPS5_mZN2at6native12_GLOBAL__N_124unique_dim_cuda_templateIsEESt5tupleIJNSA_6TensorESF_SF_EERKSF_lbbbEUlllE_EE10hipError_tT0_T1_T2_jT3_P12ihipStream_tbPNSt15iterator_traitsISL_E10value_typeEPNSR_ISM_E10value_typeEPSN_NS1_7vsmem_tEENKUlT_SL_SM_SN_E_clIS8_S8_S9_S9_EESK_S10_SL_SM_SN_EUlS10_E1_NS1_11comp_targetILNS1_3genE3ELNS1_11target_archE908ELNS1_3gpuE7ELNS1_3repE0EEENS1_36merge_oddeven_config_static_selectorELNS0_4arch9wavefront6targetE1EEEvSM_
; %bb.0:
	.section	.rodata,"a",@progbits
	.p2align	6, 0x0
	.amdhsa_kernel _ZN7rocprim17ROCPRIM_400000_NS6detail17trampoline_kernelINS0_14default_configENS1_38merge_sort_block_merge_config_selectorIlNS0_10empty_typeEEEZZNS1_27merge_sort_block_merge_implIS3_PlPS5_mZN2at6native12_GLOBAL__N_124unique_dim_cuda_templateIsEESt5tupleIJNSA_6TensorESF_SF_EERKSF_lbbbEUlllE_EE10hipError_tT0_T1_T2_jT3_P12ihipStream_tbPNSt15iterator_traitsISL_E10value_typeEPNSR_ISM_E10value_typeEPSN_NS1_7vsmem_tEENKUlT_SL_SM_SN_E_clIS8_S8_S9_S9_EESK_S10_SL_SM_SN_EUlS10_E1_NS1_11comp_targetILNS1_3genE3ELNS1_11target_archE908ELNS1_3gpuE7ELNS1_3repE0EEENS1_36merge_oddeven_config_static_selectorELNS0_4arch9wavefront6targetE1EEEvSM_
		.amdhsa_group_segment_fixed_size 0
		.amdhsa_private_segment_fixed_size 0
		.amdhsa_kernarg_size 64
		.amdhsa_user_sgpr_count 2
		.amdhsa_user_sgpr_dispatch_ptr 0
		.amdhsa_user_sgpr_queue_ptr 0
		.amdhsa_user_sgpr_kernarg_segment_ptr 1
		.amdhsa_user_sgpr_dispatch_id 0
		.amdhsa_user_sgpr_kernarg_preload_length 0
		.amdhsa_user_sgpr_kernarg_preload_offset 0
		.amdhsa_user_sgpr_private_segment_size 0
		.amdhsa_uses_dynamic_stack 0
		.amdhsa_enable_private_segment 0
		.amdhsa_system_sgpr_workgroup_id_x 1
		.amdhsa_system_sgpr_workgroup_id_y 0
		.amdhsa_system_sgpr_workgroup_id_z 0
		.amdhsa_system_sgpr_workgroup_info 0
		.amdhsa_system_vgpr_workitem_id 0
		.amdhsa_next_free_vgpr 1
		.amdhsa_next_free_sgpr 0
		.amdhsa_accum_offset 4
		.amdhsa_reserve_vcc 0
		.amdhsa_float_round_mode_32 0
		.amdhsa_float_round_mode_16_64 0
		.amdhsa_float_denorm_mode_32 3
		.amdhsa_float_denorm_mode_16_64 3
		.amdhsa_dx10_clamp 1
		.amdhsa_ieee_mode 1
		.amdhsa_fp16_overflow 0
		.amdhsa_tg_split 0
		.amdhsa_exception_fp_ieee_invalid_op 0
		.amdhsa_exception_fp_denorm_src 0
		.amdhsa_exception_fp_ieee_div_zero 0
		.amdhsa_exception_fp_ieee_overflow 0
		.amdhsa_exception_fp_ieee_underflow 0
		.amdhsa_exception_fp_ieee_inexact 0
		.amdhsa_exception_int_div_zero 0
	.end_amdhsa_kernel
	.section	.text._ZN7rocprim17ROCPRIM_400000_NS6detail17trampoline_kernelINS0_14default_configENS1_38merge_sort_block_merge_config_selectorIlNS0_10empty_typeEEEZZNS1_27merge_sort_block_merge_implIS3_PlPS5_mZN2at6native12_GLOBAL__N_124unique_dim_cuda_templateIsEESt5tupleIJNSA_6TensorESF_SF_EERKSF_lbbbEUlllE_EE10hipError_tT0_T1_T2_jT3_P12ihipStream_tbPNSt15iterator_traitsISL_E10value_typeEPNSR_ISM_E10value_typeEPSN_NS1_7vsmem_tEENKUlT_SL_SM_SN_E_clIS8_S8_S9_S9_EESK_S10_SL_SM_SN_EUlS10_E1_NS1_11comp_targetILNS1_3genE3ELNS1_11target_archE908ELNS1_3gpuE7ELNS1_3repE0EEENS1_36merge_oddeven_config_static_selectorELNS0_4arch9wavefront6targetE1EEEvSM_,"axG",@progbits,_ZN7rocprim17ROCPRIM_400000_NS6detail17trampoline_kernelINS0_14default_configENS1_38merge_sort_block_merge_config_selectorIlNS0_10empty_typeEEEZZNS1_27merge_sort_block_merge_implIS3_PlPS5_mZN2at6native12_GLOBAL__N_124unique_dim_cuda_templateIsEESt5tupleIJNSA_6TensorESF_SF_EERKSF_lbbbEUlllE_EE10hipError_tT0_T1_T2_jT3_P12ihipStream_tbPNSt15iterator_traitsISL_E10value_typeEPNSR_ISM_E10value_typeEPSN_NS1_7vsmem_tEENKUlT_SL_SM_SN_E_clIS8_S8_S9_S9_EESK_S10_SL_SM_SN_EUlS10_E1_NS1_11comp_targetILNS1_3genE3ELNS1_11target_archE908ELNS1_3gpuE7ELNS1_3repE0EEENS1_36merge_oddeven_config_static_selectorELNS0_4arch9wavefront6targetE1EEEvSM_,comdat
.Lfunc_end661:
	.size	_ZN7rocprim17ROCPRIM_400000_NS6detail17trampoline_kernelINS0_14default_configENS1_38merge_sort_block_merge_config_selectorIlNS0_10empty_typeEEEZZNS1_27merge_sort_block_merge_implIS3_PlPS5_mZN2at6native12_GLOBAL__N_124unique_dim_cuda_templateIsEESt5tupleIJNSA_6TensorESF_SF_EERKSF_lbbbEUlllE_EE10hipError_tT0_T1_T2_jT3_P12ihipStream_tbPNSt15iterator_traitsISL_E10value_typeEPNSR_ISM_E10value_typeEPSN_NS1_7vsmem_tEENKUlT_SL_SM_SN_E_clIS8_S8_S9_S9_EESK_S10_SL_SM_SN_EUlS10_E1_NS1_11comp_targetILNS1_3genE3ELNS1_11target_archE908ELNS1_3gpuE7ELNS1_3repE0EEENS1_36merge_oddeven_config_static_selectorELNS0_4arch9wavefront6targetE1EEEvSM_, .Lfunc_end661-_ZN7rocprim17ROCPRIM_400000_NS6detail17trampoline_kernelINS0_14default_configENS1_38merge_sort_block_merge_config_selectorIlNS0_10empty_typeEEEZZNS1_27merge_sort_block_merge_implIS3_PlPS5_mZN2at6native12_GLOBAL__N_124unique_dim_cuda_templateIsEESt5tupleIJNSA_6TensorESF_SF_EERKSF_lbbbEUlllE_EE10hipError_tT0_T1_T2_jT3_P12ihipStream_tbPNSt15iterator_traitsISL_E10value_typeEPNSR_ISM_E10value_typeEPSN_NS1_7vsmem_tEENKUlT_SL_SM_SN_E_clIS8_S8_S9_S9_EESK_S10_SL_SM_SN_EUlS10_E1_NS1_11comp_targetILNS1_3genE3ELNS1_11target_archE908ELNS1_3gpuE7ELNS1_3repE0EEENS1_36merge_oddeven_config_static_selectorELNS0_4arch9wavefront6targetE1EEEvSM_
                                        ; -- End function
	.section	.AMDGPU.csdata,"",@progbits
; Kernel info:
; codeLenInByte = 0
; NumSgprs: 6
; NumVgprs: 0
; NumAgprs: 0
; TotalNumVgprs: 0
; ScratchSize: 0
; MemoryBound: 0
; FloatMode: 240
; IeeeMode: 1
; LDSByteSize: 0 bytes/workgroup (compile time only)
; SGPRBlocks: 0
; VGPRBlocks: 0
; NumSGPRsForWavesPerEU: 6
; NumVGPRsForWavesPerEU: 1
; AccumOffset: 4
; Occupancy: 8
; WaveLimiterHint : 0
; COMPUTE_PGM_RSRC2:SCRATCH_EN: 0
; COMPUTE_PGM_RSRC2:USER_SGPR: 2
; COMPUTE_PGM_RSRC2:TRAP_HANDLER: 0
; COMPUTE_PGM_RSRC2:TGID_X_EN: 1
; COMPUTE_PGM_RSRC2:TGID_Y_EN: 0
; COMPUTE_PGM_RSRC2:TGID_Z_EN: 0
; COMPUTE_PGM_RSRC2:TIDIG_COMP_CNT: 0
; COMPUTE_PGM_RSRC3_GFX90A:ACCUM_OFFSET: 0
; COMPUTE_PGM_RSRC3_GFX90A:TG_SPLIT: 0
	.section	.text._ZN7rocprim17ROCPRIM_400000_NS6detail17trampoline_kernelINS0_14default_configENS1_38merge_sort_block_merge_config_selectorIlNS0_10empty_typeEEEZZNS1_27merge_sort_block_merge_implIS3_PlPS5_mZN2at6native12_GLOBAL__N_124unique_dim_cuda_templateIsEESt5tupleIJNSA_6TensorESF_SF_EERKSF_lbbbEUlllE_EE10hipError_tT0_T1_T2_jT3_P12ihipStream_tbPNSt15iterator_traitsISL_E10value_typeEPNSR_ISM_E10value_typeEPSN_NS1_7vsmem_tEENKUlT_SL_SM_SN_E_clIS8_S8_S9_S9_EESK_S10_SL_SM_SN_EUlS10_E1_NS1_11comp_targetILNS1_3genE2ELNS1_11target_archE906ELNS1_3gpuE6ELNS1_3repE0EEENS1_36merge_oddeven_config_static_selectorELNS0_4arch9wavefront6targetE1EEEvSM_,"axG",@progbits,_ZN7rocprim17ROCPRIM_400000_NS6detail17trampoline_kernelINS0_14default_configENS1_38merge_sort_block_merge_config_selectorIlNS0_10empty_typeEEEZZNS1_27merge_sort_block_merge_implIS3_PlPS5_mZN2at6native12_GLOBAL__N_124unique_dim_cuda_templateIsEESt5tupleIJNSA_6TensorESF_SF_EERKSF_lbbbEUlllE_EE10hipError_tT0_T1_T2_jT3_P12ihipStream_tbPNSt15iterator_traitsISL_E10value_typeEPNSR_ISM_E10value_typeEPSN_NS1_7vsmem_tEENKUlT_SL_SM_SN_E_clIS8_S8_S9_S9_EESK_S10_SL_SM_SN_EUlS10_E1_NS1_11comp_targetILNS1_3genE2ELNS1_11target_archE906ELNS1_3gpuE6ELNS1_3repE0EEENS1_36merge_oddeven_config_static_selectorELNS0_4arch9wavefront6targetE1EEEvSM_,comdat
	.globl	_ZN7rocprim17ROCPRIM_400000_NS6detail17trampoline_kernelINS0_14default_configENS1_38merge_sort_block_merge_config_selectorIlNS0_10empty_typeEEEZZNS1_27merge_sort_block_merge_implIS3_PlPS5_mZN2at6native12_GLOBAL__N_124unique_dim_cuda_templateIsEESt5tupleIJNSA_6TensorESF_SF_EERKSF_lbbbEUlllE_EE10hipError_tT0_T1_T2_jT3_P12ihipStream_tbPNSt15iterator_traitsISL_E10value_typeEPNSR_ISM_E10value_typeEPSN_NS1_7vsmem_tEENKUlT_SL_SM_SN_E_clIS8_S8_S9_S9_EESK_S10_SL_SM_SN_EUlS10_E1_NS1_11comp_targetILNS1_3genE2ELNS1_11target_archE906ELNS1_3gpuE6ELNS1_3repE0EEENS1_36merge_oddeven_config_static_selectorELNS0_4arch9wavefront6targetE1EEEvSM_ ; -- Begin function _ZN7rocprim17ROCPRIM_400000_NS6detail17trampoline_kernelINS0_14default_configENS1_38merge_sort_block_merge_config_selectorIlNS0_10empty_typeEEEZZNS1_27merge_sort_block_merge_implIS3_PlPS5_mZN2at6native12_GLOBAL__N_124unique_dim_cuda_templateIsEESt5tupleIJNSA_6TensorESF_SF_EERKSF_lbbbEUlllE_EE10hipError_tT0_T1_T2_jT3_P12ihipStream_tbPNSt15iterator_traitsISL_E10value_typeEPNSR_ISM_E10value_typeEPSN_NS1_7vsmem_tEENKUlT_SL_SM_SN_E_clIS8_S8_S9_S9_EESK_S10_SL_SM_SN_EUlS10_E1_NS1_11comp_targetILNS1_3genE2ELNS1_11target_archE906ELNS1_3gpuE6ELNS1_3repE0EEENS1_36merge_oddeven_config_static_selectorELNS0_4arch9wavefront6targetE1EEEvSM_
	.p2align	8
	.type	_ZN7rocprim17ROCPRIM_400000_NS6detail17trampoline_kernelINS0_14default_configENS1_38merge_sort_block_merge_config_selectorIlNS0_10empty_typeEEEZZNS1_27merge_sort_block_merge_implIS3_PlPS5_mZN2at6native12_GLOBAL__N_124unique_dim_cuda_templateIsEESt5tupleIJNSA_6TensorESF_SF_EERKSF_lbbbEUlllE_EE10hipError_tT0_T1_T2_jT3_P12ihipStream_tbPNSt15iterator_traitsISL_E10value_typeEPNSR_ISM_E10value_typeEPSN_NS1_7vsmem_tEENKUlT_SL_SM_SN_E_clIS8_S8_S9_S9_EESK_S10_SL_SM_SN_EUlS10_E1_NS1_11comp_targetILNS1_3genE2ELNS1_11target_archE906ELNS1_3gpuE6ELNS1_3repE0EEENS1_36merge_oddeven_config_static_selectorELNS0_4arch9wavefront6targetE1EEEvSM_,@function
_ZN7rocprim17ROCPRIM_400000_NS6detail17trampoline_kernelINS0_14default_configENS1_38merge_sort_block_merge_config_selectorIlNS0_10empty_typeEEEZZNS1_27merge_sort_block_merge_implIS3_PlPS5_mZN2at6native12_GLOBAL__N_124unique_dim_cuda_templateIsEESt5tupleIJNSA_6TensorESF_SF_EERKSF_lbbbEUlllE_EE10hipError_tT0_T1_T2_jT3_P12ihipStream_tbPNSt15iterator_traitsISL_E10value_typeEPNSR_ISM_E10value_typeEPSN_NS1_7vsmem_tEENKUlT_SL_SM_SN_E_clIS8_S8_S9_S9_EESK_S10_SL_SM_SN_EUlS10_E1_NS1_11comp_targetILNS1_3genE2ELNS1_11target_archE906ELNS1_3gpuE6ELNS1_3repE0EEENS1_36merge_oddeven_config_static_selectorELNS0_4arch9wavefront6targetE1EEEvSM_: ; @_ZN7rocprim17ROCPRIM_400000_NS6detail17trampoline_kernelINS0_14default_configENS1_38merge_sort_block_merge_config_selectorIlNS0_10empty_typeEEEZZNS1_27merge_sort_block_merge_implIS3_PlPS5_mZN2at6native12_GLOBAL__N_124unique_dim_cuda_templateIsEESt5tupleIJNSA_6TensorESF_SF_EERKSF_lbbbEUlllE_EE10hipError_tT0_T1_T2_jT3_P12ihipStream_tbPNSt15iterator_traitsISL_E10value_typeEPNSR_ISM_E10value_typeEPSN_NS1_7vsmem_tEENKUlT_SL_SM_SN_E_clIS8_S8_S9_S9_EESK_S10_SL_SM_SN_EUlS10_E1_NS1_11comp_targetILNS1_3genE2ELNS1_11target_archE906ELNS1_3gpuE6ELNS1_3repE0EEENS1_36merge_oddeven_config_static_selectorELNS0_4arch9wavefront6targetE1EEEvSM_
; %bb.0:
	.section	.rodata,"a",@progbits
	.p2align	6, 0x0
	.amdhsa_kernel _ZN7rocprim17ROCPRIM_400000_NS6detail17trampoline_kernelINS0_14default_configENS1_38merge_sort_block_merge_config_selectorIlNS0_10empty_typeEEEZZNS1_27merge_sort_block_merge_implIS3_PlPS5_mZN2at6native12_GLOBAL__N_124unique_dim_cuda_templateIsEESt5tupleIJNSA_6TensorESF_SF_EERKSF_lbbbEUlllE_EE10hipError_tT0_T1_T2_jT3_P12ihipStream_tbPNSt15iterator_traitsISL_E10value_typeEPNSR_ISM_E10value_typeEPSN_NS1_7vsmem_tEENKUlT_SL_SM_SN_E_clIS8_S8_S9_S9_EESK_S10_SL_SM_SN_EUlS10_E1_NS1_11comp_targetILNS1_3genE2ELNS1_11target_archE906ELNS1_3gpuE6ELNS1_3repE0EEENS1_36merge_oddeven_config_static_selectorELNS0_4arch9wavefront6targetE1EEEvSM_
		.amdhsa_group_segment_fixed_size 0
		.amdhsa_private_segment_fixed_size 0
		.amdhsa_kernarg_size 64
		.amdhsa_user_sgpr_count 2
		.amdhsa_user_sgpr_dispatch_ptr 0
		.amdhsa_user_sgpr_queue_ptr 0
		.amdhsa_user_sgpr_kernarg_segment_ptr 1
		.amdhsa_user_sgpr_dispatch_id 0
		.amdhsa_user_sgpr_kernarg_preload_length 0
		.amdhsa_user_sgpr_kernarg_preload_offset 0
		.amdhsa_user_sgpr_private_segment_size 0
		.amdhsa_uses_dynamic_stack 0
		.amdhsa_enable_private_segment 0
		.amdhsa_system_sgpr_workgroup_id_x 1
		.amdhsa_system_sgpr_workgroup_id_y 0
		.amdhsa_system_sgpr_workgroup_id_z 0
		.amdhsa_system_sgpr_workgroup_info 0
		.amdhsa_system_vgpr_workitem_id 0
		.amdhsa_next_free_vgpr 1
		.amdhsa_next_free_sgpr 0
		.amdhsa_accum_offset 4
		.amdhsa_reserve_vcc 0
		.amdhsa_float_round_mode_32 0
		.amdhsa_float_round_mode_16_64 0
		.amdhsa_float_denorm_mode_32 3
		.amdhsa_float_denorm_mode_16_64 3
		.amdhsa_dx10_clamp 1
		.amdhsa_ieee_mode 1
		.amdhsa_fp16_overflow 0
		.amdhsa_tg_split 0
		.amdhsa_exception_fp_ieee_invalid_op 0
		.amdhsa_exception_fp_denorm_src 0
		.amdhsa_exception_fp_ieee_div_zero 0
		.amdhsa_exception_fp_ieee_overflow 0
		.amdhsa_exception_fp_ieee_underflow 0
		.amdhsa_exception_fp_ieee_inexact 0
		.amdhsa_exception_int_div_zero 0
	.end_amdhsa_kernel
	.section	.text._ZN7rocprim17ROCPRIM_400000_NS6detail17trampoline_kernelINS0_14default_configENS1_38merge_sort_block_merge_config_selectorIlNS0_10empty_typeEEEZZNS1_27merge_sort_block_merge_implIS3_PlPS5_mZN2at6native12_GLOBAL__N_124unique_dim_cuda_templateIsEESt5tupleIJNSA_6TensorESF_SF_EERKSF_lbbbEUlllE_EE10hipError_tT0_T1_T2_jT3_P12ihipStream_tbPNSt15iterator_traitsISL_E10value_typeEPNSR_ISM_E10value_typeEPSN_NS1_7vsmem_tEENKUlT_SL_SM_SN_E_clIS8_S8_S9_S9_EESK_S10_SL_SM_SN_EUlS10_E1_NS1_11comp_targetILNS1_3genE2ELNS1_11target_archE906ELNS1_3gpuE6ELNS1_3repE0EEENS1_36merge_oddeven_config_static_selectorELNS0_4arch9wavefront6targetE1EEEvSM_,"axG",@progbits,_ZN7rocprim17ROCPRIM_400000_NS6detail17trampoline_kernelINS0_14default_configENS1_38merge_sort_block_merge_config_selectorIlNS0_10empty_typeEEEZZNS1_27merge_sort_block_merge_implIS3_PlPS5_mZN2at6native12_GLOBAL__N_124unique_dim_cuda_templateIsEESt5tupleIJNSA_6TensorESF_SF_EERKSF_lbbbEUlllE_EE10hipError_tT0_T1_T2_jT3_P12ihipStream_tbPNSt15iterator_traitsISL_E10value_typeEPNSR_ISM_E10value_typeEPSN_NS1_7vsmem_tEENKUlT_SL_SM_SN_E_clIS8_S8_S9_S9_EESK_S10_SL_SM_SN_EUlS10_E1_NS1_11comp_targetILNS1_3genE2ELNS1_11target_archE906ELNS1_3gpuE6ELNS1_3repE0EEENS1_36merge_oddeven_config_static_selectorELNS0_4arch9wavefront6targetE1EEEvSM_,comdat
.Lfunc_end662:
	.size	_ZN7rocprim17ROCPRIM_400000_NS6detail17trampoline_kernelINS0_14default_configENS1_38merge_sort_block_merge_config_selectorIlNS0_10empty_typeEEEZZNS1_27merge_sort_block_merge_implIS3_PlPS5_mZN2at6native12_GLOBAL__N_124unique_dim_cuda_templateIsEESt5tupleIJNSA_6TensorESF_SF_EERKSF_lbbbEUlllE_EE10hipError_tT0_T1_T2_jT3_P12ihipStream_tbPNSt15iterator_traitsISL_E10value_typeEPNSR_ISM_E10value_typeEPSN_NS1_7vsmem_tEENKUlT_SL_SM_SN_E_clIS8_S8_S9_S9_EESK_S10_SL_SM_SN_EUlS10_E1_NS1_11comp_targetILNS1_3genE2ELNS1_11target_archE906ELNS1_3gpuE6ELNS1_3repE0EEENS1_36merge_oddeven_config_static_selectorELNS0_4arch9wavefront6targetE1EEEvSM_, .Lfunc_end662-_ZN7rocprim17ROCPRIM_400000_NS6detail17trampoline_kernelINS0_14default_configENS1_38merge_sort_block_merge_config_selectorIlNS0_10empty_typeEEEZZNS1_27merge_sort_block_merge_implIS3_PlPS5_mZN2at6native12_GLOBAL__N_124unique_dim_cuda_templateIsEESt5tupleIJNSA_6TensorESF_SF_EERKSF_lbbbEUlllE_EE10hipError_tT0_T1_T2_jT3_P12ihipStream_tbPNSt15iterator_traitsISL_E10value_typeEPNSR_ISM_E10value_typeEPSN_NS1_7vsmem_tEENKUlT_SL_SM_SN_E_clIS8_S8_S9_S9_EESK_S10_SL_SM_SN_EUlS10_E1_NS1_11comp_targetILNS1_3genE2ELNS1_11target_archE906ELNS1_3gpuE6ELNS1_3repE0EEENS1_36merge_oddeven_config_static_selectorELNS0_4arch9wavefront6targetE1EEEvSM_
                                        ; -- End function
	.section	.AMDGPU.csdata,"",@progbits
; Kernel info:
; codeLenInByte = 0
; NumSgprs: 6
; NumVgprs: 0
; NumAgprs: 0
; TotalNumVgprs: 0
; ScratchSize: 0
; MemoryBound: 0
; FloatMode: 240
; IeeeMode: 1
; LDSByteSize: 0 bytes/workgroup (compile time only)
; SGPRBlocks: 0
; VGPRBlocks: 0
; NumSGPRsForWavesPerEU: 6
; NumVGPRsForWavesPerEU: 1
; AccumOffset: 4
; Occupancy: 8
; WaveLimiterHint : 0
; COMPUTE_PGM_RSRC2:SCRATCH_EN: 0
; COMPUTE_PGM_RSRC2:USER_SGPR: 2
; COMPUTE_PGM_RSRC2:TRAP_HANDLER: 0
; COMPUTE_PGM_RSRC2:TGID_X_EN: 1
; COMPUTE_PGM_RSRC2:TGID_Y_EN: 0
; COMPUTE_PGM_RSRC2:TGID_Z_EN: 0
; COMPUTE_PGM_RSRC2:TIDIG_COMP_CNT: 0
; COMPUTE_PGM_RSRC3_GFX90A:ACCUM_OFFSET: 0
; COMPUTE_PGM_RSRC3_GFX90A:TG_SPLIT: 0
	.section	.text._ZN7rocprim17ROCPRIM_400000_NS6detail17trampoline_kernelINS0_14default_configENS1_38merge_sort_block_merge_config_selectorIlNS0_10empty_typeEEEZZNS1_27merge_sort_block_merge_implIS3_PlPS5_mZN2at6native12_GLOBAL__N_124unique_dim_cuda_templateIsEESt5tupleIJNSA_6TensorESF_SF_EERKSF_lbbbEUlllE_EE10hipError_tT0_T1_T2_jT3_P12ihipStream_tbPNSt15iterator_traitsISL_E10value_typeEPNSR_ISM_E10value_typeEPSN_NS1_7vsmem_tEENKUlT_SL_SM_SN_E_clIS8_S8_S9_S9_EESK_S10_SL_SM_SN_EUlS10_E1_NS1_11comp_targetILNS1_3genE9ELNS1_11target_archE1100ELNS1_3gpuE3ELNS1_3repE0EEENS1_36merge_oddeven_config_static_selectorELNS0_4arch9wavefront6targetE1EEEvSM_,"axG",@progbits,_ZN7rocprim17ROCPRIM_400000_NS6detail17trampoline_kernelINS0_14default_configENS1_38merge_sort_block_merge_config_selectorIlNS0_10empty_typeEEEZZNS1_27merge_sort_block_merge_implIS3_PlPS5_mZN2at6native12_GLOBAL__N_124unique_dim_cuda_templateIsEESt5tupleIJNSA_6TensorESF_SF_EERKSF_lbbbEUlllE_EE10hipError_tT0_T1_T2_jT3_P12ihipStream_tbPNSt15iterator_traitsISL_E10value_typeEPNSR_ISM_E10value_typeEPSN_NS1_7vsmem_tEENKUlT_SL_SM_SN_E_clIS8_S8_S9_S9_EESK_S10_SL_SM_SN_EUlS10_E1_NS1_11comp_targetILNS1_3genE9ELNS1_11target_archE1100ELNS1_3gpuE3ELNS1_3repE0EEENS1_36merge_oddeven_config_static_selectorELNS0_4arch9wavefront6targetE1EEEvSM_,comdat
	.globl	_ZN7rocprim17ROCPRIM_400000_NS6detail17trampoline_kernelINS0_14default_configENS1_38merge_sort_block_merge_config_selectorIlNS0_10empty_typeEEEZZNS1_27merge_sort_block_merge_implIS3_PlPS5_mZN2at6native12_GLOBAL__N_124unique_dim_cuda_templateIsEESt5tupleIJNSA_6TensorESF_SF_EERKSF_lbbbEUlllE_EE10hipError_tT0_T1_T2_jT3_P12ihipStream_tbPNSt15iterator_traitsISL_E10value_typeEPNSR_ISM_E10value_typeEPSN_NS1_7vsmem_tEENKUlT_SL_SM_SN_E_clIS8_S8_S9_S9_EESK_S10_SL_SM_SN_EUlS10_E1_NS1_11comp_targetILNS1_3genE9ELNS1_11target_archE1100ELNS1_3gpuE3ELNS1_3repE0EEENS1_36merge_oddeven_config_static_selectorELNS0_4arch9wavefront6targetE1EEEvSM_ ; -- Begin function _ZN7rocprim17ROCPRIM_400000_NS6detail17trampoline_kernelINS0_14default_configENS1_38merge_sort_block_merge_config_selectorIlNS0_10empty_typeEEEZZNS1_27merge_sort_block_merge_implIS3_PlPS5_mZN2at6native12_GLOBAL__N_124unique_dim_cuda_templateIsEESt5tupleIJNSA_6TensorESF_SF_EERKSF_lbbbEUlllE_EE10hipError_tT0_T1_T2_jT3_P12ihipStream_tbPNSt15iterator_traitsISL_E10value_typeEPNSR_ISM_E10value_typeEPSN_NS1_7vsmem_tEENKUlT_SL_SM_SN_E_clIS8_S8_S9_S9_EESK_S10_SL_SM_SN_EUlS10_E1_NS1_11comp_targetILNS1_3genE9ELNS1_11target_archE1100ELNS1_3gpuE3ELNS1_3repE0EEENS1_36merge_oddeven_config_static_selectorELNS0_4arch9wavefront6targetE1EEEvSM_
	.p2align	8
	.type	_ZN7rocprim17ROCPRIM_400000_NS6detail17trampoline_kernelINS0_14default_configENS1_38merge_sort_block_merge_config_selectorIlNS0_10empty_typeEEEZZNS1_27merge_sort_block_merge_implIS3_PlPS5_mZN2at6native12_GLOBAL__N_124unique_dim_cuda_templateIsEESt5tupleIJNSA_6TensorESF_SF_EERKSF_lbbbEUlllE_EE10hipError_tT0_T1_T2_jT3_P12ihipStream_tbPNSt15iterator_traitsISL_E10value_typeEPNSR_ISM_E10value_typeEPSN_NS1_7vsmem_tEENKUlT_SL_SM_SN_E_clIS8_S8_S9_S9_EESK_S10_SL_SM_SN_EUlS10_E1_NS1_11comp_targetILNS1_3genE9ELNS1_11target_archE1100ELNS1_3gpuE3ELNS1_3repE0EEENS1_36merge_oddeven_config_static_selectorELNS0_4arch9wavefront6targetE1EEEvSM_,@function
_ZN7rocprim17ROCPRIM_400000_NS6detail17trampoline_kernelINS0_14default_configENS1_38merge_sort_block_merge_config_selectorIlNS0_10empty_typeEEEZZNS1_27merge_sort_block_merge_implIS3_PlPS5_mZN2at6native12_GLOBAL__N_124unique_dim_cuda_templateIsEESt5tupleIJNSA_6TensorESF_SF_EERKSF_lbbbEUlllE_EE10hipError_tT0_T1_T2_jT3_P12ihipStream_tbPNSt15iterator_traitsISL_E10value_typeEPNSR_ISM_E10value_typeEPSN_NS1_7vsmem_tEENKUlT_SL_SM_SN_E_clIS8_S8_S9_S9_EESK_S10_SL_SM_SN_EUlS10_E1_NS1_11comp_targetILNS1_3genE9ELNS1_11target_archE1100ELNS1_3gpuE3ELNS1_3repE0EEENS1_36merge_oddeven_config_static_selectorELNS0_4arch9wavefront6targetE1EEEvSM_: ; @_ZN7rocprim17ROCPRIM_400000_NS6detail17trampoline_kernelINS0_14default_configENS1_38merge_sort_block_merge_config_selectorIlNS0_10empty_typeEEEZZNS1_27merge_sort_block_merge_implIS3_PlPS5_mZN2at6native12_GLOBAL__N_124unique_dim_cuda_templateIsEESt5tupleIJNSA_6TensorESF_SF_EERKSF_lbbbEUlllE_EE10hipError_tT0_T1_T2_jT3_P12ihipStream_tbPNSt15iterator_traitsISL_E10value_typeEPNSR_ISM_E10value_typeEPSN_NS1_7vsmem_tEENKUlT_SL_SM_SN_E_clIS8_S8_S9_S9_EESK_S10_SL_SM_SN_EUlS10_E1_NS1_11comp_targetILNS1_3genE9ELNS1_11target_archE1100ELNS1_3gpuE3ELNS1_3repE0EEENS1_36merge_oddeven_config_static_selectorELNS0_4arch9wavefront6targetE1EEEvSM_
; %bb.0:
	.section	.rodata,"a",@progbits
	.p2align	6, 0x0
	.amdhsa_kernel _ZN7rocprim17ROCPRIM_400000_NS6detail17trampoline_kernelINS0_14default_configENS1_38merge_sort_block_merge_config_selectorIlNS0_10empty_typeEEEZZNS1_27merge_sort_block_merge_implIS3_PlPS5_mZN2at6native12_GLOBAL__N_124unique_dim_cuda_templateIsEESt5tupleIJNSA_6TensorESF_SF_EERKSF_lbbbEUlllE_EE10hipError_tT0_T1_T2_jT3_P12ihipStream_tbPNSt15iterator_traitsISL_E10value_typeEPNSR_ISM_E10value_typeEPSN_NS1_7vsmem_tEENKUlT_SL_SM_SN_E_clIS8_S8_S9_S9_EESK_S10_SL_SM_SN_EUlS10_E1_NS1_11comp_targetILNS1_3genE9ELNS1_11target_archE1100ELNS1_3gpuE3ELNS1_3repE0EEENS1_36merge_oddeven_config_static_selectorELNS0_4arch9wavefront6targetE1EEEvSM_
		.amdhsa_group_segment_fixed_size 0
		.amdhsa_private_segment_fixed_size 0
		.amdhsa_kernarg_size 64
		.amdhsa_user_sgpr_count 2
		.amdhsa_user_sgpr_dispatch_ptr 0
		.amdhsa_user_sgpr_queue_ptr 0
		.amdhsa_user_sgpr_kernarg_segment_ptr 1
		.amdhsa_user_sgpr_dispatch_id 0
		.amdhsa_user_sgpr_kernarg_preload_length 0
		.amdhsa_user_sgpr_kernarg_preload_offset 0
		.amdhsa_user_sgpr_private_segment_size 0
		.amdhsa_uses_dynamic_stack 0
		.amdhsa_enable_private_segment 0
		.amdhsa_system_sgpr_workgroup_id_x 1
		.amdhsa_system_sgpr_workgroup_id_y 0
		.amdhsa_system_sgpr_workgroup_id_z 0
		.amdhsa_system_sgpr_workgroup_info 0
		.amdhsa_system_vgpr_workitem_id 0
		.amdhsa_next_free_vgpr 1
		.amdhsa_next_free_sgpr 0
		.amdhsa_accum_offset 4
		.amdhsa_reserve_vcc 0
		.amdhsa_float_round_mode_32 0
		.amdhsa_float_round_mode_16_64 0
		.amdhsa_float_denorm_mode_32 3
		.amdhsa_float_denorm_mode_16_64 3
		.amdhsa_dx10_clamp 1
		.amdhsa_ieee_mode 1
		.amdhsa_fp16_overflow 0
		.amdhsa_tg_split 0
		.amdhsa_exception_fp_ieee_invalid_op 0
		.amdhsa_exception_fp_denorm_src 0
		.amdhsa_exception_fp_ieee_div_zero 0
		.amdhsa_exception_fp_ieee_overflow 0
		.amdhsa_exception_fp_ieee_underflow 0
		.amdhsa_exception_fp_ieee_inexact 0
		.amdhsa_exception_int_div_zero 0
	.end_amdhsa_kernel
	.section	.text._ZN7rocprim17ROCPRIM_400000_NS6detail17trampoline_kernelINS0_14default_configENS1_38merge_sort_block_merge_config_selectorIlNS0_10empty_typeEEEZZNS1_27merge_sort_block_merge_implIS3_PlPS5_mZN2at6native12_GLOBAL__N_124unique_dim_cuda_templateIsEESt5tupleIJNSA_6TensorESF_SF_EERKSF_lbbbEUlllE_EE10hipError_tT0_T1_T2_jT3_P12ihipStream_tbPNSt15iterator_traitsISL_E10value_typeEPNSR_ISM_E10value_typeEPSN_NS1_7vsmem_tEENKUlT_SL_SM_SN_E_clIS8_S8_S9_S9_EESK_S10_SL_SM_SN_EUlS10_E1_NS1_11comp_targetILNS1_3genE9ELNS1_11target_archE1100ELNS1_3gpuE3ELNS1_3repE0EEENS1_36merge_oddeven_config_static_selectorELNS0_4arch9wavefront6targetE1EEEvSM_,"axG",@progbits,_ZN7rocprim17ROCPRIM_400000_NS6detail17trampoline_kernelINS0_14default_configENS1_38merge_sort_block_merge_config_selectorIlNS0_10empty_typeEEEZZNS1_27merge_sort_block_merge_implIS3_PlPS5_mZN2at6native12_GLOBAL__N_124unique_dim_cuda_templateIsEESt5tupleIJNSA_6TensorESF_SF_EERKSF_lbbbEUlllE_EE10hipError_tT0_T1_T2_jT3_P12ihipStream_tbPNSt15iterator_traitsISL_E10value_typeEPNSR_ISM_E10value_typeEPSN_NS1_7vsmem_tEENKUlT_SL_SM_SN_E_clIS8_S8_S9_S9_EESK_S10_SL_SM_SN_EUlS10_E1_NS1_11comp_targetILNS1_3genE9ELNS1_11target_archE1100ELNS1_3gpuE3ELNS1_3repE0EEENS1_36merge_oddeven_config_static_selectorELNS0_4arch9wavefront6targetE1EEEvSM_,comdat
.Lfunc_end663:
	.size	_ZN7rocprim17ROCPRIM_400000_NS6detail17trampoline_kernelINS0_14default_configENS1_38merge_sort_block_merge_config_selectorIlNS0_10empty_typeEEEZZNS1_27merge_sort_block_merge_implIS3_PlPS5_mZN2at6native12_GLOBAL__N_124unique_dim_cuda_templateIsEESt5tupleIJNSA_6TensorESF_SF_EERKSF_lbbbEUlllE_EE10hipError_tT0_T1_T2_jT3_P12ihipStream_tbPNSt15iterator_traitsISL_E10value_typeEPNSR_ISM_E10value_typeEPSN_NS1_7vsmem_tEENKUlT_SL_SM_SN_E_clIS8_S8_S9_S9_EESK_S10_SL_SM_SN_EUlS10_E1_NS1_11comp_targetILNS1_3genE9ELNS1_11target_archE1100ELNS1_3gpuE3ELNS1_3repE0EEENS1_36merge_oddeven_config_static_selectorELNS0_4arch9wavefront6targetE1EEEvSM_, .Lfunc_end663-_ZN7rocprim17ROCPRIM_400000_NS6detail17trampoline_kernelINS0_14default_configENS1_38merge_sort_block_merge_config_selectorIlNS0_10empty_typeEEEZZNS1_27merge_sort_block_merge_implIS3_PlPS5_mZN2at6native12_GLOBAL__N_124unique_dim_cuda_templateIsEESt5tupleIJNSA_6TensorESF_SF_EERKSF_lbbbEUlllE_EE10hipError_tT0_T1_T2_jT3_P12ihipStream_tbPNSt15iterator_traitsISL_E10value_typeEPNSR_ISM_E10value_typeEPSN_NS1_7vsmem_tEENKUlT_SL_SM_SN_E_clIS8_S8_S9_S9_EESK_S10_SL_SM_SN_EUlS10_E1_NS1_11comp_targetILNS1_3genE9ELNS1_11target_archE1100ELNS1_3gpuE3ELNS1_3repE0EEENS1_36merge_oddeven_config_static_selectorELNS0_4arch9wavefront6targetE1EEEvSM_
                                        ; -- End function
	.section	.AMDGPU.csdata,"",@progbits
; Kernel info:
; codeLenInByte = 0
; NumSgprs: 6
; NumVgprs: 0
; NumAgprs: 0
; TotalNumVgprs: 0
; ScratchSize: 0
; MemoryBound: 0
; FloatMode: 240
; IeeeMode: 1
; LDSByteSize: 0 bytes/workgroup (compile time only)
; SGPRBlocks: 0
; VGPRBlocks: 0
; NumSGPRsForWavesPerEU: 6
; NumVGPRsForWavesPerEU: 1
; AccumOffset: 4
; Occupancy: 8
; WaveLimiterHint : 0
; COMPUTE_PGM_RSRC2:SCRATCH_EN: 0
; COMPUTE_PGM_RSRC2:USER_SGPR: 2
; COMPUTE_PGM_RSRC2:TRAP_HANDLER: 0
; COMPUTE_PGM_RSRC2:TGID_X_EN: 1
; COMPUTE_PGM_RSRC2:TGID_Y_EN: 0
; COMPUTE_PGM_RSRC2:TGID_Z_EN: 0
; COMPUTE_PGM_RSRC2:TIDIG_COMP_CNT: 0
; COMPUTE_PGM_RSRC3_GFX90A:ACCUM_OFFSET: 0
; COMPUTE_PGM_RSRC3_GFX90A:TG_SPLIT: 0
	.section	.text._ZN7rocprim17ROCPRIM_400000_NS6detail17trampoline_kernelINS0_14default_configENS1_38merge_sort_block_merge_config_selectorIlNS0_10empty_typeEEEZZNS1_27merge_sort_block_merge_implIS3_PlPS5_mZN2at6native12_GLOBAL__N_124unique_dim_cuda_templateIsEESt5tupleIJNSA_6TensorESF_SF_EERKSF_lbbbEUlllE_EE10hipError_tT0_T1_T2_jT3_P12ihipStream_tbPNSt15iterator_traitsISL_E10value_typeEPNSR_ISM_E10value_typeEPSN_NS1_7vsmem_tEENKUlT_SL_SM_SN_E_clIS8_S8_S9_S9_EESK_S10_SL_SM_SN_EUlS10_E1_NS1_11comp_targetILNS1_3genE8ELNS1_11target_archE1030ELNS1_3gpuE2ELNS1_3repE0EEENS1_36merge_oddeven_config_static_selectorELNS0_4arch9wavefront6targetE1EEEvSM_,"axG",@progbits,_ZN7rocprim17ROCPRIM_400000_NS6detail17trampoline_kernelINS0_14default_configENS1_38merge_sort_block_merge_config_selectorIlNS0_10empty_typeEEEZZNS1_27merge_sort_block_merge_implIS3_PlPS5_mZN2at6native12_GLOBAL__N_124unique_dim_cuda_templateIsEESt5tupleIJNSA_6TensorESF_SF_EERKSF_lbbbEUlllE_EE10hipError_tT0_T1_T2_jT3_P12ihipStream_tbPNSt15iterator_traitsISL_E10value_typeEPNSR_ISM_E10value_typeEPSN_NS1_7vsmem_tEENKUlT_SL_SM_SN_E_clIS8_S8_S9_S9_EESK_S10_SL_SM_SN_EUlS10_E1_NS1_11comp_targetILNS1_3genE8ELNS1_11target_archE1030ELNS1_3gpuE2ELNS1_3repE0EEENS1_36merge_oddeven_config_static_selectorELNS0_4arch9wavefront6targetE1EEEvSM_,comdat
	.globl	_ZN7rocprim17ROCPRIM_400000_NS6detail17trampoline_kernelINS0_14default_configENS1_38merge_sort_block_merge_config_selectorIlNS0_10empty_typeEEEZZNS1_27merge_sort_block_merge_implIS3_PlPS5_mZN2at6native12_GLOBAL__N_124unique_dim_cuda_templateIsEESt5tupleIJNSA_6TensorESF_SF_EERKSF_lbbbEUlllE_EE10hipError_tT0_T1_T2_jT3_P12ihipStream_tbPNSt15iterator_traitsISL_E10value_typeEPNSR_ISM_E10value_typeEPSN_NS1_7vsmem_tEENKUlT_SL_SM_SN_E_clIS8_S8_S9_S9_EESK_S10_SL_SM_SN_EUlS10_E1_NS1_11comp_targetILNS1_3genE8ELNS1_11target_archE1030ELNS1_3gpuE2ELNS1_3repE0EEENS1_36merge_oddeven_config_static_selectorELNS0_4arch9wavefront6targetE1EEEvSM_ ; -- Begin function _ZN7rocprim17ROCPRIM_400000_NS6detail17trampoline_kernelINS0_14default_configENS1_38merge_sort_block_merge_config_selectorIlNS0_10empty_typeEEEZZNS1_27merge_sort_block_merge_implIS3_PlPS5_mZN2at6native12_GLOBAL__N_124unique_dim_cuda_templateIsEESt5tupleIJNSA_6TensorESF_SF_EERKSF_lbbbEUlllE_EE10hipError_tT0_T1_T2_jT3_P12ihipStream_tbPNSt15iterator_traitsISL_E10value_typeEPNSR_ISM_E10value_typeEPSN_NS1_7vsmem_tEENKUlT_SL_SM_SN_E_clIS8_S8_S9_S9_EESK_S10_SL_SM_SN_EUlS10_E1_NS1_11comp_targetILNS1_3genE8ELNS1_11target_archE1030ELNS1_3gpuE2ELNS1_3repE0EEENS1_36merge_oddeven_config_static_selectorELNS0_4arch9wavefront6targetE1EEEvSM_
	.p2align	8
	.type	_ZN7rocprim17ROCPRIM_400000_NS6detail17trampoline_kernelINS0_14default_configENS1_38merge_sort_block_merge_config_selectorIlNS0_10empty_typeEEEZZNS1_27merge_sort_block_merge_implIS3_PlPS5_mZN2at6native12_GLOBAL__N_124unique_dim_cuda_templateIsEESt5tupleIJNSA_6TensorESF_SF_EERKSF_lbbbEUlllE_EE10hipError_tT0_T1_T2_jT3_P12ihipStream_tbPNSt15iterator_traitsISL_E10value_typeEPNSR_ISM_E10value_typeEPSN_NS1_7vsmem_tEENKUlT_SL_SM_SN_E_clIS8_S8_S9_S9_EESK_S10_SL_SM_SN_EUlS10_E1_NS1_11comp_targetILNS1_3genE8ELNS1_11target_archE1030ELNS1_3gpuE2ELNS1_3repE0EEENS1_36merge_oddeven_config_static_selectorELNS0_4arch9wavefront6targetE1EEEvSM_,@function
_ZN7rocprim17ROCPRIM_400000_NS6detail17trampoline_kernelINS0_14default_configENS1_38merge_sort_block_merge_config_selectorIlNS0_10empty_typeEEEZZNS1_27merge_sort_block_merge_implIS3_PlPS5_mZN2at6native12_GLOBAL__N_124unique_dim_cuda_templateIsEESt5tupleIJNSA_6TensorESF_SF_EERKSF_lbbbEUlllE_EE10hipError_tT0_T1_T2_jT3_P12ihipStream_tbPNSt15iterator_traitsISL_E10value_typeEPNSR_ISM_E10value_typeEPSN_NS1_7vsmem_tEENKUlT_SL_SM_SN_E_clIS8_S8_S9_S9_EESK_S10_SL_SM_SN_EUlS10_E1_NS1_11comp_targetILNS1_3genE8ELNS1_11target_archE1030ELNS1_3gpuE2ELNS1_3repE0EEENS1_36merge_oddeven_config_static_selectorELNS0_4arch9wavefront6targetE1EEEvSM_: ; @_ZN7rocprim17ROCPRIM_400000_NS6detail17trampoline_kernelINS0_14default_configENS1_38merge_sort_block_merge_config_selectorIlNS0_10empty_typeEEEZZNS1_27merge_sort_block_merge_implIS3_PlPS5_mZN2at6native12_GLOBAL__N_124unique_dim_cuda_templateIsEESt5tupleIJNSA_6TensorESF_SF_EERKSF_lbbbEUlllE_EE10hipError_tT0_T1_T2_jT3_P12ihipStream_tbPNSt15iterator_traitsISL_E10value_typeEPNSR_ISM_E10value_typeEPSN_NS1_7vsmem_tEENKUlT_SL_SM_SN_E_clIS8_S8_S9_S9_EESK_S10_SL_SM_SN_EUlS10_E1_NS1_11comp_targetILNS1_3genE8ELNS1_11target_archE1030ELNS1_3gpuE2ELNS1_3repE0EEENS1_36merge_oddeven_config_static_selectorELNS0_4arch9wavefront6targetE1EEEvSM_
; %bb.0:
	.section	.rodata,"a",@progbits
	.p2align	6, 0x0
	.amdhsa_kernel _ZN7rocprim17ROCPRIM_400000_NS6detail17trampoline_kernelINS0_14default_configENS1_38merge_sort_block_merge_config_selectorIlNS0_10empty_typeEEEZZNS1_27merge_sort_block_merge_implIS3_PlPS5_mZN2at6native12_GLOBAL__N_124unique_dim_cuda_templateIsEESt5tupleIJNSA_6TensorESF_SF_EERKSF_lbbbEUlllE_EE10hipError_tT0_T1_T2_jT3_P12ihipStream_tbPNSt15iterator_traitsISL_E10value_typeEPNSR_ISM_E10value_typeEPSN_NS1_7vsmem_tEENKUlT_SL_SM_SN_E_clIS8_S8_S9_S9_EESK_S10_SL_SM_SN_EUlS10_E1_NS1_11comp_targetILNS1_3genE8ELNS1_11target_archE1030ELNS1_3gpuE2ELNS1_3repE0EEENS1_36merge_oddeven_config_static_selectorELNS0_4arch9wavefront6targetE1EEEvSM_
		.amdhsa_group_segment_fixed_size 0
		.amdhsa_private_segment_fixed_size 0
		.amdhsa_kernarg_size 64
		.amdhsa_user_sgpr_count 2
		.amdhsa_user_sgpr_dispatch_ptr 0
		.amdhsa_user_sgpr_queue_ptr 0
		.amdhsa_user_sgpr_kernarg_segment_ptr 1
		.amdhsa_user_sgpr_dispatch_id 0
		.amdhsa_user_sgpr_kernarg_preload_length 0
		.amdhsa_user_sgpr_kernarg_preload_offset 0
		.amdhsa_user_sgpr_private_segment_size 0
		.amdhsa_uses_dynamic_stack 0
		.amdhsa_enable_private_segment 0
		.amdhsa_system_sgpr_workgroup_id_x 1
		.amdhsa_system_sgpr_workgroup_id_y 0
		.amdhsa_system_sgpr_workgroup_id_z 0
		.amdhsa_system_sgpr_workgroup_info 0
		.amdhsa_system_vgpr_workitem_id 0
		.amdhsa_next_free_vgpr 1
		.amdhsa_next_free_sgpr 0
		.amdhsa_accum_offset 4
		.amdhsa_reserve_vcc 0
		.amdhsa_float_round_mode_32 0
		.amdhsa_float_round_mode_16_64 0
		.amdhsa_float_denorm_mode_32 3
		.amdhsa_float_denorm_mode_16_64 3
		.amdhsa_dx10_clamp 1
		.amdhsa_ieee_mode 1
		.amdhsa_fp16_overflow 0
		.amdhsa_tg_split 0
		.amdhsa_exception_fp_ieee_invalid_op 0
		.amdhsa_exception_fp_denorm_src 0
		.amdhsa_exception_fp_ieee_div_zero 0
		.amdhsa_exception_fp_ieee_overflow 0
		.amdhsa_exception_fp_ieee_underflow 0
		.amdhsa_exception_fp_ieee_inexact 0
		.amdhsa_exception_int_div_zero 0
	.end_amdhsa_kernel
	.section	.text._ZN7rocprim17ROCPRIM_400000_NS6detail17trampoline_kernelINS0_14default_configENS1_38merge_sort_block_merge_config_selectorIlNS0_10empty_typeEEEZZNS1_27merge_sort_block_merge_implIS3_PlPS5_mZN2at6native12_GLOBAL__N_124unique_dim_cuda_templateIsEESt5tupleIJNSA_6TensorESF_SF_EERKSF_lbbbEUlllE_EE10hipError_tT0_T1_T2_jT3_P12ihipStream_tbPNSt15iterator_traitsISL_E10value_typeEPNSR_ISM_E10value_typeEPSN_NS1_7vsmem_tEENKUlT_SL_SM_SN_E_clIS8_S8_S9_S9_EESK_S10_SL_SM_SN_EUlS10_E1_NS1_11comp_targetILNS1_3genE8ELNS1_11target_archE1030ELNS1_3gpuE2ELNS1_3repE0EEENS1_36merge_oddeven_config_static_selectorELNS0_4arch9wavefront6targetE1EEEvSM_,"axG",@progbits,_ZN7rocprim17ROCPRIM_400000_NS6detail17trampoline_kernelINS0_14default_configENS1_38merge_sort_block_merge_config_selectorIlNS0_10empty_typeEEEZZNS1_27merge_sort_block_merge_implIS3_PlPS5_mZN2at6native12_GLOBAL__N_124unique_dim_cuda_templateIsEESt5tupleIJNSA_6TensorESF_SF_EERKSF_lbbbEUlllE_EE10hipError_tT0_T1_T2_jT3_P12ihipStream_tbPNSt15iterator_traitsISL_E10value_typeEPNSR_ISM_E10value_typeEPSN_NS1_7vsmem_tEENKUlT_SL_SM_SN_E_clIS8_S8_S9_S9_EESK_S10_SL_SM_SN_EUlS10_E1_NS1_11comp_targetILNS1_3genE8ELNS1_11target_archE1030ELNS1_3gpuE2ELNS1_3repE0EEENS1_36merge_oddeven_config_static_selectorELNS0_4arch9wavefront6targetE1EEEvSM_,comdat
.Lfunc_end664:
	.size	_ZN7rocprim17ROCPRIM_400000_NS6detail17trampoline_kernelINS0_14default_configENS1_38merge_sort_block_merge_config_selectorIlNS0_10empty_typeEEEZZNS1_27merge_sort_block_merge_implIS3_PlPS5_mZN2at6native12_GLOBAL__N_124unique_dim_cuda_templateIsEESt5tupleIJNSA_6TensorESF_SF_EERKSF_lbbbEUlllE_EE10hipError_tT0_T1_T2_jT3_P12ihipStream_tbPNSt15iterator_traitsISL_E10value_typeEPNSR_ISM_E10value_typeEPSN_NS1_7vsmem_tEENKUlT_SL_SM_SN_E_clIS8_S8_S9_S9_EESK_S10_SL_SM_SN_EUlS10_E1_NS1_11comp_targetILNS1_3genE8ELNS1_11target_archE1030ELNS1_3gpuE2ELNS1_3repE0EEENS1_36merge_oddeven_config_static_selectorELNS0_4arch9wavefront6targetE1EEEvSM_, .Lfunc_end664-_ZN7rocprim17ROCPRIM_400000_NS6detail17trampoline_kernelINS0_14default_configENS1_38merge_sort_block_merge_config_selectorIlNS0_10empty_typeEEEZZNS1_27merge_sort_block_merge_implIS3_PlPS5_mZN2at6native12_GLOBAL__N_124unique_dim_cuda_templateIsEESt5tupleIJNSA_6TensorESF_SF_EERKSF_lbbbEUlllE_EE10hipError_tT0_T1_T2_jT3_P12ihipStream_tbPNSt15iterator_traitsISL_E10value_typeEPNSR_ISM_E10value_typeEPSN_NS1_7vsmem_tEENKUlT_SL_SM_SN_E_clIS8_S8_S9_S9_EESK_S10_SL_SM_SN_EUlS10_E1_NS1_11comp_targetILNS1_3genE8ELNS1_11target_archE1030ELNS1_3gpuE2ELNS1_3repE0EEENS1_36merge_oddeven_config_static_selectorELNS0_4arch9wavefront6targetE1EEEvSM_
                                        ; -- End function
	.section	.AMDGPU.csdata,"",@progbits
; Kernel info:
; codeLenInByte = 0
; NumSgprs: 6
; NumVgprs: 0
; NumAgprs: 0
; TotalNumVgprs: 0
; ScratchSize: 0
; MemoryBound: 0
; FloatMode: 240
; IeeeMode: 1
; LDSByteSize: 0 bytes/workgroup (compile time only)
; SGPRBlocks: 0
; VGPRBlocks: 0
; NumSGPRsForWavesPerEU: 6
; NumVGPRsForWavesPerEU: 1
; AccumOffset: 4
; Occupancy: 8
; WaveLimiterHint : 0
; COMPUTE_PGM_RSRC2:SCRATCH_EN: 0
; COMPUTE_PGM_RSRC2:USER_SGPR: 2
; COMPUTE_PGM_RSRC2:TRAP_HANDLER: 0
; COMPUTE_PGM_RSRC2:TGID_X_EN: 1
; COMPUTE_PGM_RSRC2:TGID_Y_EN: 0
; COMPUTE_PGM_RSRC2:TGID_Z_EN: 0
; COMPUTE_PGM_RSRC2:TIDIG_COMP_CNT: 0
; COMPUTE_PGM_RSRC3_GFX90A:ACCUM_OFFSET: 0
; COMPUTE_PGM_RSRC3_GFX90A:TG_SPLIT: 0
	.section	.text._ZN7rocprim17ROCPRIM_400000_NS6detail17trampoline_kernelINS0_14default_configENS1_35adjacent_difference_config_selectorILb0ElEEZNS1_24adjacent_difference_implIS3_Lb0ELb0EPlS7_ZN2at6native12_GLOBAL__N_124unique_dim_cuda_templateIsEESt5tupleIJNS8_6TensorESD_SD_EERKSD_lbbbEUlllE1_EE10hipError_tPvRmT2_T3_mT4_P12ihipStream_tbEUlT_E_NS1_11comp_targetILNS1_3genE0ELNS1_11target_archE4294967295ELNS1_3gpuE0ELNS1_3repE0EEENS1_30default_config_static_selectorELNS0_4arch9wavefront6targetE1EEEvT1_,"axG",@progbits,_ZN7rocprim17ROCPRIM_400000_NS6detail17trampoline_kernelINS0_14default_configENS1_35adjacent_difference_config_selectorILb0ElEEZNS1_24adjacent_difference_implIS3_Lb0ELb0EPlS7_ZN2at6native12_GLOBAL__N_124unique_dim_cuda_templateIsEESt5tupleIJNS8_6TensorESD_SD_EERKSD_lbbbEUlllE1_EE10hipError_tPvRmT2_T3_mT4_P12ihipStream_tbEUlT_E_NS1_11comp_targetILNS1_3genE0ELNS1_11target_archE4294967295ELNS1_3gpuE0ELNS1_3repE0EEENS1_30default_config_static_selectorELNS0_4arch9wavefront6targetE1EEEvT1_,comdat
	.globl	_ZN7rocprim17ROCPRIM_400000_NS6detail17trampoline_kernelINS0_14default_configENS1_35adjacent_difference_config_selectorILb0ElEEZNS1_24adjacent_difference_implIS3_Lb0ELb0EPlS7_ZN2at6native12_GLOBAL__N_124unique_dim_cuda_templateIsEESt5tupleIJNS8_6TensorESD_SD_EERKSD_lbbbEUlllE1_EE10hipError_tPvRmT2_T3_mT4_P12ihipStream_tbEUlT_E_NS1_11comp_targetILNS1_3genE0ELNS1_11target_archE4294967295ELNS1_3gpuE0ELNS1_3repE0EEENS1_30default_config_static_selectorELNS0_4arch9wavefront6targetE1EEEvT1_ ; -- Begin function _ZN7rocprim17ROCPRIM_400000_NS6detail17trampoline_kernelINS0_14default_configENS1_35adjacent_difference_config_selectorILb0ElEEZNS1_24adjacent_difference_implIS3_Lb0ELb0EPlS7_ZN2at6native12_GLOBAL__N_124unique_dim_cuda_templateIsEESt5tupleIJNS8_6TensorESD_SD_EERKSD_lbbbEUlllE1_EE10hipError_tPvRmT2_T3_mT4_P12ihipStream_tbEUlT_E_NS1_11comp_targetILNS1_3genE0ELNS1_11target_archE4294967295ELNS1_3gpuE0ELNS1_3repE0EEENS1_30default_config_static_selectorELNS0_4arch9wavefront6targetE1EEEvT1_
	.p2align	8
	.type	_ZN7rocprim17ROCPRIM_400000_NS6detail17trampoline_kernelINS0_14default_configENS1_35adjacent_difference_config_selectorILb0ElEEZNS1_24adjacent_difference_implIS3_Lb0ELb0EPlS7_ZN2at6native12_GLOBAL__N_124unique_dim_cuda_templateIsEESt5tupleIJNS8_6TensorESD_SD_EERKSD_lbbbEUlllE1_EE10hipError_tPvRmT2_T3_mT4_P12ihipStream_tbEUlT_E_NS1_11comp_targetILNS1_3genE0ELNS1_11target_archE4294967295ELNS1_3gpuE0ELNS1_3repE0EEENS1_30default_config_static_selectorELNS0_4arch9wavefront6targetE1EEEvT1_,@function
_ZN7rocprim17ROCPRIM_400000_NS6detail17trampoline_kernelINS0_14default_configENS1_35adjacent_difference_config_selectorILb0ElEEZNS1_24adjacent_difference_implIS3_Lb0ELb0EPlS7_ZN2at6native12_GLOBAL__N_124unique_dim_cuda_templateIsEESt5tupleIJNS8_6TensorESD_SD_EERKSD_lbbbEUlllE1_EE10hipError_tPvRmT2_T3_mT4_P12ihipStream_tbEUlT_E_NS1_11comp_targetILNS1_3genE0ELNS1_11target_archE4294967295ELNS1_3gpuE0ELNS1_3repE0EEENS1_30default_config_static_selectorELNS0_4arch9wavefront6targetE1EEEvT1_: ; @_ZN7rocprim17ROCPRIM_400000_NS6detail17trampoline_kernelINS0_14default_configENS1_35adjacent_difference_config_selectorILb0ElEEZNS1_24adjacent_difference_implIS3_Lb0ELb0EPlS7_ZN2at6native12_GLOBAL__N_124unique_dim_cuda_templateIsEESt5tupleIJNS8_6TensorESD_SD_EERKSD_lbbbEUlllE1_EE10hipError_tPvRmT2_T3_mT4_P12ihipStream_tbEUlT_E_NS1_11comp_targetILNS1_3genE0ELNS1_11target_archE4294967295ELNS1_3gpuE0ELNS1_3repE0EEENS1_30default_config_static_selectorELNS0_4arch9wavefront6targetE1EEEvT1_
; %bb.0:
	.section	.rodata,"a",@progbits
	.p2align	6, 0x0
	.amdhsa_kernel _ZN7rocprim17ROCPRIM_400000_NS6detail17trampoline_kernelINS0_14default_configENS1_35adjacent_difference_config_selectorILb0ElEEZNS1_24adjacent_difference_implIS3_Lb0ELb0EPlS7_ZN2at6native12_GLOBAL__N_124unique_dim_cuda_templateIsEESt5tupleIJNS8_6TensorESD_SD_EERKSD_lbbbEUlllE1_EE10hipError_tPvRmT2_T3_mT4_P12ihipStream_tbEUlT_E_NS1_11comp_targetILNS1_3genE0ELNS1_11target_archE4294967295ELNS1_3gpuE0ELNS1_3repE0EEENS1_30default_config_static_selectorELNS0_4arch9wavefront6targetE1EEEvT1_
		.amdhsa_group_segment_fixed_size 0
		.amdhsa_private_segment_fixed_size 0
		.amdhsa_kernarg_size 64
		.amdhsa_user_sgpr_count 2
		.amdhsa_user_sgpr_dispatch_ptr 0
		.amdhsa_user_sgpr_queue_ptr 0
		.amdhsa_user_sgpr_kernarg_segment_ptr 1
		.amdhsa_user_sgpr_dispatch_id 0
		.amdhsa_user_sgpr_kernarg_preload_length 0
		.amdhsa_user_sgpr_kernarg_preload_offset 0
		.amdhsa_user_sgpr_private_segment_size 0
		.amdhsa_uses_dynamic_stack 0
		.amdhsa_enable_private_segment 0
		.amdhsa_system_sgpr_workgroup_id_x 1
		.amdhsa_system_sgpr_workgroup_id_y 0
		.amdhsa_system_sgpr_workgroup_id_z 0
		.amdhsa_system_sgpr_workgroup_info 0
		.amdhsa_system_vgpr_workitem_id 0
		.amdhsa_next_free_vgpr 1
		.amdhsa_next_free_sgpr 0
		.amdhsa_accum_offset 4
		.amdhsa_reserve_vcc 0
		.amdhsa_float_round_mode_32 0
		.amdhsa_float_round_mode_16_64 0
		.amdhsa_float_denorm_mode_32 3
		.amdhsa_float_denorm_mode_16_64 3
		.amdhsa_dx10_clamp 1
		.amdhsa_ieee_mode 1
		.amdhsa_fp16_overflow 0
		.amdhsa_tg_split 0
		.amdhsa_exception_fp_ieee_invalid_op 0
		.amdhsa_exception_fp_denorm_src 0
		.amdhsa_exception_fp_ieee_div_zero 0
		.amdhsa_exception_fp_ieee_overflow 0
		.amdhsa_exception_fp_ieee_underflow 0
		.amdhsa_exception_fp_ieee_inexact 0
		.amdhsa_exception_int_div_zero 0
	.end_amdhsa_kernel
	.section	.text._ZN7rocprim17ROCPRIM_400000_NS6detail17trampoline_kernelINS0_14default_configENS1_35adjacent_difference_config_selectorILb0ElEEZNS1_24adjacent_difference_implIS3_Lb0ELb0EPlS7_ZN2at6native12_GLOBAL__N_124unique_dim_cuda_templateIsEESt5tupleIJNS8_6TensorESD_SD_EERKSD_lbbbEUlllE1_EE10hipError_tPvRmT2_T3_mT4_P12ihipStream_tbEUlT_E_NS1_11comp_targetILNS1_3genE0ELNS1_11target_archE4294967295ELNS1_3gpuE0ELNS1_3repE0EEENS1_30default_config_static_selectorELNS0_4arch9wavefront6targetE1EEEvT1_,"axG",@progbits,_ZN7rocprim17ROCPRIM_400000_NS6detail17trampoline_kernelINS0_14default_configENS1_35adjacent_difference_config_selectorILb0ElEEZNS1_24adjacent_difference_implIS3_Lb0ELb0EPlS7_ZN2at6native12_GLOBAL__N_124unique_dim_cuda_templateIsEESt5tupleIJNS8_6TensorESD_SD_EERKSD_lbbbEUlllE1_EE10hipError_tPvRmT2_T3_mT4_P12ihipStream_tbEUlT_E_NS1_11comp_targetILNS1_3genE0ELNS1_11target_archE4294967295ELNS1_3gpuE0ELNS1_3repE0EEENS1_30default_config_static_selectorELNS0_4arch9wavefront6targetE1EEEvT1_,comdat
.Lfunc_end665:
	.size	_ZN7rocprim17ROCPRIM_400000_NS6detail17trampoline_kernelINS0_14default_configENS1_35adjacent_difference_config_selectorILb0ElEEZNS1_24adjacent_difference_implIS3_Lb0ELb0EPlS7_ZN2at6native12_GLOBAL__N_124unique_dim_cuda_templateIsEESt5tupleIJNS8_6TensorESD_SD_EERKSD_lbbbEUlllE1_EE10hipError_tPvRmT2_T3_mT4_P12ihipStream_tbEUlT_E_NS1_11comp_targetILNS1_3genE0ELNS1_11target_archE4294967295ELNS1_3gpuE0ELNS1_3repE0EEENS1_30default_config_static_selectorELNS0_4arch9wavefront6targetE1EEEvT1_, .Lfunc_end665-_ZN7rocprim17ROCPRIM_400000_NS6detail17trampoline_kernelINS0_14default_configENS1_35adjacent_difference_config_selectorILb0ElEEZNS1_24adjacent_difference_implIS3_Lb0ELb0EPlS7_ZN2at6native12_GLOBAL__N_124unique_dim_cuda_templateIsEESt5tupleIJNS8_6TensorESD_SD_EERKSD_lbbbEUlllE1_EE10hipError_tPvRmT2_T3_mT4_P12ihipStream_tbEUlT_E_NS1_11comp_targetILNS1_3genE0ELNS1_11target_archE4294967295ELNS1_3gpuE0ELNS1_3repE0EEENS1_30default_config_static_selectorELNS0_4arch9wavefront6targetE1EEEvT1_
                                        ; -- End function
	.section	.AMDGPU.csdata,"",@progbits
; Kernel info:
; codeLenInByte = 0
; NumSgprs: 6
; NumVgprs: 0
; NumAgprs: 0
; TotalNumVgprs: 0
; ScratchSize: 0
; MemoryBound: 0
; FloatMode: 240
; IeeeMode: 1
; LDSByteSize: 0 bytes/workgroup (compile time only)
; SGPRBlocks: 0
; VGPRBlocks: 0
; NumSGPRsForWavesPerEU: 6
; NumVGPRsForWavesPerEU: 1
; AccumOffset: 4
; Occupancy: 8
; WaveLimiterHint : 0
; COMPUTE_PGM_RSRC2:SCRATCH_EN: 0
; COMPUTE_PGM_RSRC2:USER_SGPR: 2
; COMPUTE_PGM_RSRC2:TRAP_HANDLER: 0
; COMPUTE_PGM_RSRC2:TGID_X_EN: 1
; COMPUTE_PGM_RSRC2:TGID_Y_EN: 0
; COMPUTE_PGM_RSRC2:TGID_Z_EN: 0
; COMPUTE_PGM_RSRC2:TIDIG_COMP_CNT: 0
; COMPUTE_PGM_RSRC3_GFX90A:ACCUM_OFFSET: 0
; COMPUTE_PGM_RSRC3_GFX90A:TG_SPLIT: 0
	.section	.text._ZN7rocprim17ROCPRIM_400000_NS6detail17trampoline_kernelINS0_14default_configENS1_35adjacent_difference_config_selectorILb0ElEEZNS1_24adjacent_difference_implIS3_Lb0ELb0EPlS7_ZN2at6native12_GLOBAL__N_124unique_dim_cuda_templateIsEESt5tupleIJNS8_6TensorESD_SD_EERKSD_lbbbEUlllE1_EE10hipError_tPvRmT2_T3_mT4_P12ihipStream_tbEUlT_E_NS1_11comp_targetILNS1_3genE10ELNS1_11target_archE1201ELNS1_3gpuE5ELNS1_3repE0EEENS1_30default_config_static_selectorELNS0_4arch9wavefront6targetE1EEEvT1_,"axG",@progbits,_ZN7rocprim17ROCPRIM_400000_NS6detail17trampoline_kernelINS0_14default_configENS1_35adjacent_difference_config_selectorILb0ElEEZNS1_24adjacent_difference_implIS3_Lb0ELb0EPlS7_ZN2at6native12_GLOBAL__N_124unique_dim_cuda_templateIsEESt5tupleIJNS8_6TensorESD_SD_EERKSD_lbbbEUlllE1_EE10hipError_tPvRmT2_T3_mT4_P12ihipStream_tbEUlT_E_NS1_11comp_targetILNS1_3genE10ELNS1_11target_archE1201ELNS1_3gpuE5ELNS1_3repE0EEENS1_30default_config_static_selectorELNS0_4arch9wavefront6targetE1EEEvT1_,comdat
	.globl	_ZN7rocprim17ROCPRIM_400000_NS6detail17trampoline_kernelINS0_14default_configENS1_35adjacent_difference_config_selectorILb0ElEEZNS1_24adjacent_difference_implIS3_Lb0ELb0EPlS7_ZN2at6native12_GLOBAL__N_124unique_dim_cuda_templateIsEESt5tupleIJNS8_6TensorESD_SD_EERKSD_lbbbEUlllE1_EE10hipError_tPvRmT2_T3_mT4_P12ihipStream_tbEUlT_E_NS1_11comp_targetILNS1_3genE10ELNS1_11target_archE1201ELNS1_3gpuE5ELNS1_3repE0EEENS1_30default_config_static_selectorELNS0_4arch9wavefront6targetE1EEEvT1_ ; -- Begin function _ZN7rocprim17ROCPRIM_400000_NS6detail17trampoline_kernelINS0_14default_configENS1_35adjacent_difference_config_selectorILb0ElEEZNS1_24adjacent_difference_implIS3_Lb0ELb0EPlS7_ZN2at6native12_GLOBAL__N_124unique_dim_cuda_templateIsEESt5tupleIJNS8_6TensorESD_SD_EERKSD_lbbbEUlllE1_EE10hipError_tPvRmT2_T3_mT4_P12ihipStream_tbEUlT_E_NS1_11comp_targetILNS1_3genE10ELNS1_11target_archE1201ELNS1_3gpuE5ELNS1_3repE0EEENS1_30default_config_static_selectorELNS0_4arch9wavefront6targetE1EEEvT1_
	.p2align	8
	.type	_ZN7rocprim17ROCPRIM_400000_NS6detail17trampoline_kernelINS0_14default_configENS1_35adjacent_difference_config_selectorILb0ElEEZNS1_24adjacent_difference_implIS3_Lb0ELb0EPlS7_ZN2at6native12_GLOBAL__N_124unique_dim_cuda_templateIsEESt5tupleIJNS8_6TensorESD_SD_EERKSD_lbbbEUlllE1_EE10hipError_tPvRmT2_T3_mT4_P12ihipStream_tbEUlT_E_NS1_11comp_targetILNS1_3genE10ELNS1_11target_archE1201ELNS1_3gpuE5ELNS1_3repE0EEENS1_30default_config_static_selectorELNS0_4arch9wavefront6targetE1EEEvT1_,@function
_ZN7rocprim17ROCPRIM_400000_NS6detail17trampoline_kernelINS0_14default_configENS1_35adjacent_difference_config_selectorILb0ElEEZNS1_24adjacent_difference_implIS3_Lb0ELb0EPlS7_ZN2at6native12_GLOBAL__N_124unique_dim_cuda_templateIsEESt5tupleIJNS8_6TensorESD_SD_EERKSD_lbbbEUlllE1_EE10hipError_tPvRmT2_T3_mT4_P12ihipStream_tbEUlT_E_NS1_11comp_targetILNS1_3genE10ELNS1_11target_archE1201ELNS1_3gpuE5ELNS1_3repE0EEENS1_30default_config_static_selectorELNS0_4arch9wavefront6targetE1EEEvT1_: ; @_ZN7rocprim17ROCPRIM_400000_NS6detail17trampoline_kernelINS0_14default_configENS1_35adjacent_difference_config_selectorILb0ElEEZNS1_24adjacent_difference_implIS3_Lb0ELb0EPlS7_ZN2at6native12_GLOBAL__N_124unique_dim_cuda_templateIsEESt5tupleIJNS8_6TensorESD_SD_EERKSD_lbbbEUlllE1_EE10hipError_tPvRmT2_T3_mT4_P12ihipStream_tbEUlT_E_NS1_11comp_targetILNS1_3genE10ELNS1_11target_archE1201ELNS1_3gpuE5ELNS1_3repE0EEENS1_30default_config_static_selectorELNS0_4arch9wavefront6targetE1EEEvT1_
; %bb.0:
	.section	.rodata,"a",@progbits
	.p2align	6, 0x0
	.amdhsa_kernel _ZN7rocprim17ROCPRIM_400000_NS6detail17trampoline_kernelINS0_14default_configENS1_35adjacent_difference_config_selectorILb0ElEEZNS1_24adjacent_difference_implIS3_Lb0ELb0EPlS7_ZN2at6native12_GLOBAL__N_124unique_dim_cuda_templateIsEESt5tupleIJNS8_6TensorESD_SD_EERKSD_lbbbEUlllE1_EE10hipError_tPvRmT2_T3_mT4_P12ihipStream_tbEUlT_E_NS1_11comp_targetILNS1_3genE10ELNS1_11target_archE1201ELNS1_3gpuE5ELNS1_3repE0EEENS1_30default_config_static_selectorELNS0_4arch9wavefront6targetE1EEEvT1_
		.amdhsa_group_segment_fixed_size 0
		.amdhsa_private_segment_fixed_size 0
		.amdhsa_kernarg_size 64
		.amdhsa_user_sgpr_count 2
		.amdhsa_user_sgpr_dispatch_ptr 0
		.amdhsa_user_sgpr_queue_ptr 0
		.amdhsa_user_sgpr_kernarg_segment_ptr 1
		.amdhsa_user_sgpr_dispatch_id 0
		.amdhsa_user_sgpr_kernarg_preload_length 0
		.amdhsa_user_sgpr_kernarg_preload_offset 0
		.amdhsa_user_sgpr_private_segment_size 0
		.amdhsa_uses_dynamic_stack 0
		.amdhsa_enable_private_segment 0
		.amdhsa_system_sgpr_workgroup_id_x 1
		.amdhsa_system_sgpr_workgroup_id_y 0
		.amdhsa_system_sgpr_workgroup_id_z 0
		.amdhsa_system_sgpr_workgroup_info 0
		.amdhsa_system_vgpr_workitem_id 0
		.amdhsa_next_free_vgpr 1
		.amdhsa_next_free_sgpr 0
		.amdhsa_accum_offset 4
		.amdhsa_reserve_vcc 0
		.amdhsa_float_round_mode_32 0
		.amdhsa_float_round_mode_16_64 0
		.amdhsa_float_denorm_mode_32 3
		.amdhsa_float_denorm_mode_16_64 3
		.amdhsa_dx10_clamp 1
		.amdhsa_ieee_mode 1
		.amdhsa_fp16_overflow 0
		.amdhsa_tg_split 0
		.amdhsa_exception_fp_ieee_invalid_op 0
		.amdhsa_exception_fp_denorm_src 0
		.amdhsa_exception_fp_ieee_div_zero 0
		.amdhsa_exception_fp_ieee_overflow 0
		.amdhsa_exception_fp_ieee_underflow 0
		.amdhsa_exception_fp_ieee_inexact 0
		.amdhsa_exception_int_div_zero 0
	.end_amdhsa_kernel
	.section	.text._ZN7rocprim17ROCPRIM_400000_NS6detail17trampoline_kernelINS0_14default_configENS1_35adjacent_difference_config_selectorILb0ElEEZNS1_24adjacent_difference_implIS3_Lb0ELb0EPlS7_ZN2at6native12_GLOBAL__N_124unique_dim_cuda_templateIsEESt5tupleIJNS8_6TensorESD_SD_EERKSD_lbbbEUlllE1_EE10hipError_tPvRmT2_T3_mT4_P12ihipStream_tbEUlT_E_NS1_11comp_targetILNS1_3genE10ELNS1_11target_archE1201ELNS1_3gpuE5ELNS1_3repE0EEENS1_30default_config_static_selectorELNS0_4arch9wavefront6targetE1EEEvT1_,"axG",@progbits,_ZN7rocprim17ROCPRIM_400000_NS6detail17trampoline_kernelINS0_14default_configENS1_35adjacent_difference_config_selectorILb0ElEEZNS1_24adjacent_difference_implIS3_Lb0ELb0EPlS7_ZN2at6native12_GLOBAL__N_124unique_dim_cuda_templateIsEESt5tupleIJNS8_6TensorESD_SD_EERKSD_lbbbEUlllE1_EE10hipError_tPvRmT2_T3_mT4_P12ihipStream_tbEUlT_E_NS1_11comp_targetILNS1_3genE10ELNS1_11target_archE1201ELNS1_3gpuE5ELNS1_3repE0EEENS1_30default_config_static_selectorELNS0_4arch9wavefront6targetE1EEEvT1_,comdat
.Lfunc_end666:
	.size	_ZN7rocprim17ROCPRIM_400000_NS6detail17trampoline_kernelINS0_14default_configENS1_35adjacent_difference_config_selectorILb0ElEEZNS1_24adjacent_difference_implIS3_Lb0ELb0EPlS7_ZN2at6native12_GLOBAL__N_124unique_dim_cuda_templateIsEESt5tupleIJNS8_6TensorESD_SD_EERKSD_lbbbEUlllE1_EE10hipError_tPvRmT2_T3_mT4_P12ihipStream_tbEUlT_E_NS1_11comp_targetILNS1_3genE10ELNS1_11target_archE1201ELNS1_3gpuE5ELNS1_3repE0EEENS1_30default_config_static_selectorELNS0_4arch9wavefront6targetE1EEEvT1_, .Lfunc_end666-_ZN7rocprim17ROCPRIM_400000_NS6detail17trampoline_kernelINS0_14default_configENS1_35adjacent_difference_config_selectorILb0ElEEZNS1_24adjacent_difference_implIS3_Lb0ELb0EPlS7_ZN2at6native12_GLOBAL__N_124unique_dim_cuda_templateIsEESt5tupleIJNS8_6TensorESD_SD_EERKSD_lbbbEUlllE1_EE10hipError_tPvRmT2_T3_mT4_P12ihipStream_tbEUlT_E_NS1_11comp_targetILNS1_3genE10ELNS1_11target_archE1201ELNS1_3gpuE5ELNS1_3repE0EEENS1_30default_config_static_selectorELNS0_4arch9wavefront6targetE1EEEvT1_
                                        ; -- End function
	.section	.AMDGPU.csdata,"",@progbits
; Kernel info:
; codeLenInByte = 0
; NumSgprs: 6
; NumVgprs: 0
; NumAgprs: 0
; TotalNumVgprs: 0
; ScratchSize: 0
; MemoryBound: 0
; FloatMode: 240
; IeeeMode: 1
; LDSByteSize: 0 bytes/workgroup (compile time only)
; SGPRBlocks: 0
; VGPRBlocks: 0
; NumSGPRsForWavesPerEU: 6
; NumVGPRsForWavesPerEU: 1
; AccumOffset: 4
; Occupancy: 8
; WaveLimiterHint : 0
; COMPUTE_PGM_RSRC2:SCRATCH_EN: 0
; COMPUTE_PGM_RSRC2:USER_SGPR: 2
; COMPUTE_PGM_RSRC2:TRAP_HANDLER: 0
; COMPUTE_PGM_RSRC2:TGID_X_EN: 1
; COMPUTE_PGM_RSRC2:TGID_Y_EN: 0
; COMPUTE_PGM_RSRC2:TGID_Z_EN: 0
; COMPUTE_PGM_RSRC2:TIDIG_COMP_CNT: 0
; COMPUTE_PGM_RSRC3_GFX90A:ACCUM_OFFSET: 0
; COMPUTE_PGM_RSRC3_GFX90A:TG_SPLIT: 0
	.section	.text._ZN7rocprim17ROCPRIM_400000_NS6detail17trampoline_kernelINS0_14default_configENS1_35adjacent_difference_config_selectorILb0ElEEZNS1_24adjacent_difference_implIS3_Lb0ELb0EPlS7_ZN2at6native12_GLOBAL__N_124unique_dim_cuda_templateIsEESt5tupleIJNS8_6TensorESD_SD_EERKSD_lbbbEUlllE1_EE10hipError_tPvRmT2_T3_mT4_P12ihipStream_tbEUlT_E_NS1_11comp_targetILNS1_3genE5ELNS1_11target_archE942ELNS1_3gpuE9ELNS1_3repE0EEENS1_30default_config_static_selectorELNS0_4arch9wavefront6targetE1EEEvT1_,"axG",@progbits,_ZN7rocprim17ROCPRIM_400000_NS6detail17trampoline_kernelINS0_14default_configENS1_35adjacent_difference_config_selectorILb0ElEEZNS1_24adjacent_difference_implIS3_Lb0ELb0EPlS7_ZN2at6native12_GLOBAL__N_124unique_dim_cuda_templateIsEESt5tupleIJNS8_6TensorESD_SD_EERKSD_lbbbEUlllE1_EE10hipError_tPvRmT2_T3_mT4_P12ihipStream_tbEUlT_E_NS1_11comp_targetILNS1_3genE5ELNS1_11target_archE942ELNS1_3gpuE9ELNS1_3repE0EEENS1_30default_config_static_selectorELNS0_4arch9wavefront6targetE1EEEvT1_,comdat
	.globl	_ZN7rocprim17ROCPRIM_400000_NS6detail17trampoline_kernelINS0_14default_configENS1_35adjacent_difference_config_selectorILb0ElEEZNS1_24adjacent_difference_implIS3_Lb0ELb0EPlS7_ZN2at6native12_GLOBAL__N_124unique_dim_cuda_templateIsEESt5tupleIJNS8_6TensorESD_SD_EERKSD_lbbbEUlllE1_EE10hipError_tPvRmT2_T3_mT4_P12ihipStream_tbEUlT_E_NS1_11comp_targetILNS1_3genE5ELNS1_11target_archE942ELNS1_3gpuE9ELNS1_3repE0EEENS1_30default_config_static_selectorELNS0_4arch9wavefront6targetE1EEEvT1_ ; -- Begin function _ZN7rocprim17ROCPRIM_400000_NS6detail17trampoline_kernelINS0_14default_configENS1_35adjacent_difference_config_selectorILb0ElEEZNS1_24adjacent_difference_implIS3_Lb0ELb0EPlS7_ZN2at6native12_GLOBAL__N_124unique_dim_cuda_templateIsEESt5tupleIJNS8_6TensorESD_SD_EERKSD_lbbbEUlllE1_EE10hipError_tPvRmT2_T3_mT4_P12ihipStream_tbEUlT_E_NS1_11comp_targetILNS1_3genE5ELNS1_11target_archE942ELNS1_3gpuE9ELNS1_3repE0EEENS1_30default_config_static_selectorELNS0_4arch9wavefront6targetE1EEEvT1_
	.p2align	8
	.type	_ZN7rocprim17ROCPRIM_400000_NS6detail17trampoline_kernelINS0_14default_configENS1_35adjacent_difference_config_selectorILb0ElEEZNS1_24adjacent_difference_implIS3_Lb0ELb0EPlS7_ZN2at6native12_GLOBAL__N_124unique_dim_cuda_templateIsEESt5tupleIJNS8_6TensorESD_SD_EERKSD_lbbbEUlllE1_EE10hipError_tPvRmT2_T3_mT4_P12ihipStream_tbEUlT_E_NS1_11comp_targetILNS1_3genE5ELNS1_11target_archE942ELNS1_3gpuE9ELNS1_3repE0EEENS1_30default_config_static_selectorELNS0_4arch9wavefront6targetE1EEEvT1_,@function
_ZN7rocprim17ROCPRIM_400000_NS6detail17trampoline_kernelINS0_14default_configENS1_35adjacent_difference_config_selectorILb0ElEEZNS1_24adjacent_difference_implIS3_Lb0ELb0EPlS7_ZN2at6native12_GLOBAL__N_124unique_dim_cuda_templateIsEESt5tupleIJNS8_6TensorESD_SD_EERKSD_lbbbEUlllE1_EE10hipError_tPvRmT2_T3_mT4_P12ihipStream_tbEUlT_E_NS1_11comp_targetILNS1_3genE5ELNS1_11target_archE942ELNS1_3gpuE9ELNS1_3repE0EEENS1_30default_config_static_selectorELNS0_4arch9wavefront6targetE1EEEvT1_: ; @_ZN7rocprim17ROCPRIM_400000_NS6detail17trampoline_kernelINS0_14default_configENS1_35adjacent_difference_config_selectorILb0ElEEZNS1_24adjacent_difference_implIS3_Lb0ELb0EPlS7_ZN2at6native12_GLOBAL__N_124unique_dim_cuda_templateIsEESt5tupleIJNS8_6TensorESD_SD_EERKSD_lbbbEUlllE1_EE10hipError_tPvRmT2_T3_mT4_P12ihipStream_tbEUlT_E_NS1_11comp_targetILNS1_3genE5ELNS1_11target_archE942ELNS1_3gpuE9ELNS1_3repE0EEENS1_30default_config_static_selectorELNS0_4arch9wavefront6targetE1EEEvT1_
; %bb.0:
	s_load_dwordx8 s[4:11], s[0:1], 0x0
	s_load_dwordx4 s[12:15], s[0:1], 0x20
	s_load_dwordx2 s[18:19], s[0:1], 0x38
	s_mov_b32 s1, 0xcec4e8e0
	v_bfrev_b32_e32 v1, 1
	s_waitcnt lgkmcnt(0)
	s_lshl_b64 s[16:17], s[6:7], 3
	s_add_u32 s24, s4, s16
	s_addc_u32 s25, s5, s17
	s_add_u32 s1, 0x150, s1
	s_addc_u32 s3, 0, 0
	v_add_co_u32_e32 v1, vcc, s1, v1
	s_cmp_lg_u64 vcc, 0
	v_readfirstlane_b32 s4, v1
	s_addc_u32 s1, s3, 0x4ec4eb
	s_mul_hi_u32 s5, s4, 0xfffffcc0
	s_mul_i32 s3, s1, 0xfffffcc0
	s_sub_i32 s5, s5, s4
	s_add_i32 s5, s5, s3
	s_mul_i32 s21, s4, 0xfffffcc0
	s_mul_hi_u32 s3, s4, s5
	s_mul_i32 s20, s4, s5
	s_mul_hi_u32 s4, s4, s21
	s_add_u32 s4, s4, s20
	s_addc_u32 s3, 0, s3
	s_mul_hi_u32 s22, s1, s21
	s_mul_i32 s21, s1, s21
	s_add_u32 s4, s4, s21
	s_mul_hi_u32 s20, s1, s5
	s_addc_u32 s3, s3, s22
	s_addc_u32 s4, s20, 0
	s_mul_i32 s5, s1, s5
	s_add_u32 s3, s3, s5
	s_addc_u32 s4, 0, s4
	v_add_co_u32_e32 v1, vcc, s3, v1
	s_cmp_lg_u64 vcc, 0
	s_addc_u32 s1, s1, s4
	v_readfirstlane_b32 s5, v1
	s_mul_i32 s4, s10, s1
	s_mul_hi_u32 s20, s10, s5
	s_mul_hi_u32 s3, s10, s1
	s_add_u32 s4, s20, s4
	s_addc_u32 s3, 0, s3
	s_mul_hi_u32 s21, s11, s5
	s_mul_i32 s5, s11, s5
	s_add_u32 s4, s4, s5
	s_mul_hi_u32 s20, s11, s1
	s_addc_u32 s3, s3, s21
	s_addc_u32 s4, s20, 0
	s_mul_i32 s1, s11, s1
	s_add_u32 s1, s3, s1
	s_addc_u32 s3, 0, s4
	s_add_u32 s4, s1, 1
	s_addc_u32 s5, s3, 0
	s_add_u32 s20, s1, 2
	s_mul_i32 s22, s3, 0x340
	s_mul_hi_u32 s23, s1, 0x340
	s_addc_u32 s21, s3, 0
	s_add_i32 s23, s23, s22
	s_mul_i32 s22, s1, 0x340
	v_mov_b32_e32 v1, s22
	v_sub_co_u32_e32 v1, vcc, s10, v1
	s_movk_i32 s0, 0x340
	s_cmp_lg_u64 vcc, 0
	s_subb_u32 s22, s11, s23
	v_subrev_co_u32_e32 v2, vcc, s0, v1
	s_cmp_lg_u64 vcc, 0
	s_subb_u32 s0, s22, 0
	v_readfirstlane_b32 s23, v2
	s_cmpk_gt_u32 s23, 0x33f
	s_cselect_b32 s23, -1, 0
	s_cmp_eq_u32 s0, 0
	s_cselect_b32 s0, s23, -1
	s_cmp_lg_u32 s0, 0
	s_cselect_b32 s0, s20, s4
	s_cselect_b32 s4, s21, s5
	v_readfirstlane_b32 s5, v1
	s_cmpk_gt_u32 s5, 0x33f
	s_cselect_b32 s5, -1, 0
	s_cmp_eq_u32 s22, 0
	s_cselect_b32 s5, s5, -1
	s_cmp_lg_u32 s5, 0
	s_cselect_b32 s3, s4, s3
	s_cselect_b32 s4, s0, s1
	s_mul_i32 s0, s3, 0x340
	s_mul_hi_u32 s1, s4, 0x340
	s_add_i32 s1, s1, s0
	s_mul_i32 s0, s4, 0x340
	s_sub_u32 s0, s10, s0
	s_subb_u32 s1, s11, s1
	s_cmp_lg_u64 s[0:1], 0
	s_cselect_b64 s[0:1], -1, 0
	v_cndmask_b32_e64 v1, 0, 1, s[0:1]
	s_mul_i32 s6, s2, 0x340
	v_readfirstlane_b32 s0, v1
	s_add_u32 s4, s4, s0
	s_addc_u32 s5, s3, 0
	s_add_u32 s22, s18, s2
	s_addc_u32 s23, s19, 0
	s_add_u32 s2, s4, -1
	s_addc_u32 s3, s5, -1
	v_mov_b64_e32 v[2:3], s[2:3]
	v_cmp_ge_u64_e64 s[0:1], s[22:23], v[2:3]
	s_mov_b32 s7, 0
	s_mov_b64 s[18:19], -1
	s_and_b64 vcc, exec, s[0:1]
	s_mul_i32 s11, s2, 0xfffffcc0
	s_cbranch_vccz .LBB667_28
; %bb.1:
	s_add_i32 s26, s11, s10
	s_lshl_b64 s[18:19], s[6:7], 3
	s_add_u32 s18, s24, s18
	s_addc_u32 s19, s25, s19
	v_cmp_gt_u32_e32 vcc, s26, v0
                                        ; implicit-def: $vgpr2_vgpr3_vgpr4_vgpr5_vgpr6_vgpr7_vgpr8_vgpr9_vgpr10_vgpr11_vgpr12_vgpr13_vgpr14_vgpr15_vgpr16_vgpr17_vgpr18_vgpr19_vgpr20_vgpr21_vgpr22_vgpr23_vgpr24_vgpr25_vgpr26_vgpr27_vgpr28_vgpr29_vgpr30_vgpr31_vgpr32_vgpr33
	s_and_saveexec_b64 s[20:21], vcc
	s_cbranch_execz .LBB667_3
; %bb.2:
	v_lshlrev_b32_e32 v1, 3, v0
	global_load_dwordx2 v[2:3], v1, s[18:19]
.LBB667_3:
	s_or_b64 exec, exec, s[20:21]
	v_or_b32_e32 v1, 64, v0
	v_cmp_gt_u32_e32 vcc, s26, v1
	s_and_saveexec_b64 s[20:21], vcc
	s_cbranch_execz .LBB667_5
; %bb.4:
	v_lshlrev_b32_e32 v1, 3, v0
	global_load_dwordx2 v[4:5], v1, s[18:19] offset:512
.LBB667_5:
	s_or_b64 exec, exec, s[20:21]
	v_or_b32_e32 v1, 0x80, v0
	v_cmp_gt_u32_e32 vcc, s26, v1
	s_and_saveexec_b64 s[20:21], vcc
	s_cbranch_execz .LBB667_7
; %bb.6:
	v_lshlrev_b32_e32 v1, 3, v0
	global_load_dwordx2 v[6:7], v1, s[18:19] offset:1024
.LBB667_7:
	;; [unrolled: 9-line block ×7, first 2 shown]
	s_or_b64 exec, exec, s[20:21]
	v_or_b32_e32 v1, 0x200, v0
	v_cmp_gt_u32_e32 vcc, s26, v1
	s_and_saveexec_b64 s[20:21], vcc
	s_cbranch_execz .LBB667_19
; %bb.18:
	v_lshlrev_b32_e32 v1, 3, v1
	global_load_dwordx2 v[18:19], v1, s[18:19]
.LBB667_19:
	s_or_b64 exec, exec, s[20:21]
	v_or_b32_e32 v1, 0x240, v0
	v_cmp_gt_u32_e32 vcc, s26, v1
	s_and_saveexec_b64 s[20:21], vcc
	s_cbranch_execz .LBB667_21
; %bb.20:
	v_lshlrev_b32_e32 v1, 3, v1
	global_load_dwordx2 v[20:21], v1, s[18:19]
.LBB667_21:
	;; [unrolled: 9-line block ×5, first 2 shown]
	s_or_b64 exec, exec, s[20:21]
	v_lshlrev_b32_e32 v1, 3, v0
	s_mov_b64 s[18:19], 0
	s_waitcnt vmcnt(0)
	ds_write2st64_b64 v1, v[2:3], v[4:5] offset1:1
	ds_write2st64_b64 v1, v[6:7], v[8:9] offset0:2 offset1:3
	ds_write2st64_b64 v1, v[10:11], v[12:13] offset0:4 offset1:5
	;; [unrolled: 1-line block ×5, first 2 shown]
	ds_write_b64 v1, v[26:27] offset:6144
	s_waitcnt lgkmcnt(0)
	; wave barrier
.LBB667_28:
	s_and_b64 vcc, exec, s[18:19]
	v_lshlrev_b32_e32 v48, 3, v0
	s_cbranch_vccz .LBB667_30
; %bb.29:
	s_lshl_b64 s[18:19], s[6:7], 3
	s_add_u32 s18, s24, s18
	s_addc_u32 s19, s25, s19
	v_mov_b32_e32 v49, 0
	v_lshl_add_u64 v[2:3], s[18:19], 0, v[48:49]
	s_movk_i32 s7, 0x1000
	v_add_co_u32_e32 v2, vcc, s7, v2
	global_load_dwordx2 v[4:5], v48, s[18:19]
	global_load_dwordx2 v[6:7], v48, s[18:19] offset:512
	global_load_dwordx2 v[8:9], v48, s[18:19] offset:1024
	;; [unrolled: 1-line block ×7, first 2 shown]
	v_addc_co_u32_e32 v3, vcc, 0, v3, vcc
	global_load_dwordx2 v[20:21], v[2:3], off
	global_load_dwordx2 v[22:23], v[2:3], off offset:512
	global_load_dwordx2 v[24:25], v[2:3], off offset:1024
	;; [unrolled: 1-line block ×4, first 2 shown]
	s_waitcnt vmcnt(11)
	ds_write2st64_b64 v48, v[4:5], v[6:7] offset1:1
	s_waitcnt vmcnt(9)
	ds_write2st64_b64 v48, v[8:9], v[10:11] offset0:2 offset1:3
	s_waitcnt vmcnt(7)
	ds_write2st64_b64 v48, v[12:13], v[14:15] offset0:4 offset1:5
	;; [unrolled: 2-line block ×5, first 2 shown]
	s_waitcnt vmcnt(0)
	ds_write_b64 v48, v[28:29] offset:6144
	s_waitcnt lgkmcnt(0)
	; wave barrier
.LBB667_30:
	v_mul_u32_u24_e32 v1, 13, v0
	v_lshlrev_b32_e32 v1, 3, v1
	s_waitcnt lgkmcnt(0)
	ds_read2_b64 v[2:5], v1 offset1:1
	ds_read2_b64 v[6:9], v1 offset0:2 offset1:3
	ds_read2_b64 v[10:13], v1 offset0:4 offset1:5
	;; [unrolled: 1-line block ×5, first 2 shown]
	ds_read_b64 v[44:45], v1 offset:96
	s_cmp_eq_u64 s[22:23], 0
	s_mov_b64 s[18:19], 0
	s_waitcnt lgkmcnt(0)
	; wave barrier
	s_waitcnt lgkmcnt(0)
	s_cbranch_scc1 .LBB667_39
; %bb.31:
	s_mov_b32 s7, 0
	s_lshl_b64 s[20:21], s[6:7], 3
	s_add_u32 s7, s24, s20
	s_addc_u32 s21, s25, s21
	s_add_u32 s20, s7, -8
	s_addc_u32 s21, s21, -1
	s_load_dwordx2 s[20:21], s[20:21], 0x0
	s_cmp_lg_u64 s[22:23], s[2:3]
	s_cbranch_scc0 .LBB667_40
; %bb.32:
	v_mul_lo_u32 v1, v25, s12
	v_mul_lo_u32 v28, v24, s13
	v_mad_u64_u32 v[26:27], s[24:25], v24, s12, 0
	v_mov_b64_e32 v[46:47], 0
	v_cmp_lt_i64_e64 s[2:3], s[12:13], 1
	v_add3_u32 v27, v27, v28, v1
	v_cmp_gt_i64_e64 s[18:19], s[12:13], 0
	s_and_b64 vcc, exec, s[2:3]
	v_lshl_add_u64 v[26:27], v[26:27], 1, s[14:15]
	v_mov_b64_e32 v[50:51], v[46:47]
	ds_write_b64 v48, v[44:45]
	s_cbranch_vccnz .LBB667_44
; %bb.33:
	v_mul_lo_u32 v1, v45, s12
	v_mul_lo_u32 v30, v44, s13
	v_mad_u64_u32 v[28:29], s[2:3], v44, s12, 0
	v_add3_u32 v29, v29, v30, v1
	v_lshl_add_u64 v[30:31], v[28:29], 1, s[14:15]
	global_load_ushort v1, v[30:31], off
	global_load_ushort v28, v[26:27], off
	v_mov_b64_e32 v[50:51], 1
	s_waitcnt vmcnt(0)
	v_cmp_eq_u16_e32 vcc, v1, v28
	s_and_saveexec_b64 s[2:3], vcc
	s_cbranch_execz .LBB667_43
; %bb.34:
	s_add_u32 s24, s12, -1
	v_lshl_add_u64 v[28:29], v[26:27], 0, 2
	v_lshl_add_u64 v[30:31], v[30:31], 0, 2
	s_addc_u32 s25, s13, -1
	s_mov_b64 s[26:27], 0
	s_mov_b64 s[30:31], 0
                                        ; implicit-def: $sgpr28_sgpr29
	s_branch .LBB667_37
.LBB667_35:                             ;   in Loop: Header=BB667_37 Depth=1
	global_load_ushort v1, v[30:31], off
	global_load_ushort v32, v[28:29], off
	s_add_u32 s30, s30, 1
	s_addc_u32 s31, s31, 0
	s_andn2_b64 s[28:29], s[28:29], exec
	v_lshl_add_u64 v[28:29], v[28:29], 0, 2
	v_lshl_add_u64 v[30:31], v[30:31], 0, 2
	s_waitcnt vmcnt(0)
	v_cmp_ne_u16_e32 vcc, v1, v32
	s_and_b64 s[34:35], vcc, exec
	s_or_b64 s[28:29], s[28:29], s[34:35]
.LBB667_36:                             ;   in Loop: Header=BB667_37 Depth=1
	s_and_b64 s[34:35], exec, s[28:29]
	s_or_b64 s[26:27], s[34:35], s[26:27]
	v_mov_b64_e32 v[32:33], s[30:31]
	s_andn2_b64 exec, exec, s[26:27]
	s_cbranch_execz .LBB667_42
.LBB667_37:                             ; =>This Inner Loop Header: Depth=1
	s_or_b64 s[28:29], s[28:29], exec
	s_cmp_eq_u64 s[24:25], s[30:31]
	s_cbranch_scc0 .LBB667_35
; %bb.38:                               ;   in Loop: Header=BB667_37 Depth=1
                                        ; implicit-def: $vgpr28_vgpr29
                                        ; implicit-def: $vgpr30_vgpr31
	s_mov_b64 s[30:31], s[12:13]
	s_branch .LBB667_36
.LBB667_39:
                                        ; implicit-def: $vgpr26_vgpr27_vgpr28_vgpr29
                                        ; implicit-def: $sgpr24_sgpr25
                                        ; implicit-def: $vgpr50_vgpr51
                                        ; implicit-def: $vgpr52_vgpr53
                                        ; implicit-def: $vgpr46_vgpr47
                                        ; implicit-def: $vgpr70_vgpr71
                                        ; implicit-def: $vgpr68_vgpr69
                                        ; implicit-def: $vgpr66_vgpr67
                                        ; implicit-def: $vgpr64_vgpr65
                                        ; implicit-def: $vgpr62_vgpr63
                                        ; implicit-def: $vgpr60_vgpr61
                                        ; implicit-def: $vgpr58_vgpr59
                                        ; implicit-def: $vgpr56_vgpr57
                                        ; implicit-def: $vgpr54_vgpr55
                                        ; implicit-def: $vgpr72_vgpr73
                                        ; implicit-def: $vgpr82_vgpr83
                                        ; implicit-def: $vgpr74_vgpr75
                                        ; implicit-def: $vgpr76_vgpr77
                                        ; implicit-def: $vgpr78_vgpr79
                                        ; implicit-def: $vgpr80_vgpr81
                                        ; implicit-def: $vgpr28_vgpr29_vgpr30_vgpr31
                                        ; implicit-def: $vgpr32_vgpr33_vgpr34_vgpr35
                                        ; implicit-def: $vgpr36_vgpr37_vgpr38_vgpr39
                                        ; implicit-def: $vgpr40_vgpr41_vgpr42_vgpr43
	s_cbranch_execnz .LBB667_303
	s_branch .LBB667_572
.LBB667_40:
                                        ; implicit-def: $sgpr24_sgpr25
                                        ; implicit-def: $vgpr50_vgpr51
                                        ; implicit-def: $vgpr52_vgpr53
                                        ; implicit-def: $vgpr46_vgpr47
                                        ; implicit-def: $vgpr70_vgpr71
                                        ; implicit-def: $vgpr68_vgpr69
                                        ; implicit-def: $vgpr66_vgpr67
                                        ; implicit-def: $vgpr64_vgpr65
                                        ; implicit-def: $vgpr62_vgpr63
                                        ; implicit-def: $vgpr60_vgpr61
                                        ; implicit-def: $vgpr58_vgpr59
                                        ; implicit-def: $vgpr56_vgpr57
                                        ; implicit-def: $vgpr54_vgpr55
	s_cbranch_execnz .LBB667_156
.LBB667_41:
                                        ; implicit-def: $vgpr26_vgpr27_vgpr28_vgpr29
                                        ; implicit-def: $vgpr72_vgpr73
                                        ; implicit-def: $vgpr82_vgpr83
                                        ; implicit-def: $vgpr74_vgpr75
                                        ; implicit-def: $vgpr76_vgpr77
                                        ; implicit-def: $vgpr78_vgpr79
                                        ; implicit-def: $vgpr80_vgpr81
                                        ; implicit-def: $vgpr32_vgpr33_vgpr34_vgpr35
                                        ; implicit-def: $vgpr36_vgpr37_vgpr38_vgpr39
                                        ; implicit-def: $vgpr40_vgpr41_vgpr42_vgpr43
                                        ; implicit-def: $vgpr28_vgpr29_vgpr30_vgpr31
	s_branch .LBB667_572
.LBB667_42:
	s_or_b64 exec, exec, s[26:27]
	v_cmp_gt_i64_e32 vcc, s[12:13], v[32:33]
	s_mov_b32 s7, 0
	v_mov_b32_e32 v51, s7
	v_cndmask_b32_e64 v50, 0, 1, vcc
.LBB667_43:
	s_or_b64 exec, exec, s[2:3]
.LBB667_44:
	v_mul_lo_u32 v1, v23, s12
	v_mul_lo_u32 v30, v22, s13
	v_mad_u64_u32 v[28:29], s[2:3], v22, s12, 0
	v_add3_u32 v29, v29, v30, v1
	v_cndmask_b32_e64 v1, 0, 1, s[18:19]
	v_cmp_ne_u32_e64 s[2:3], 1, v1
	s_andn2_b64 vcc, exec, s[18:19]
	v_lshl_add_u64 v[28:29], v[28:29], 1, s[14:15]
	v_mov_b64_e32 v[52:53], v[46:47]
	s_cbranch_vccnz .LBB667_53
; %bb.45:
	global_load_ushort v1, v[26:27], off
	global_load_ushort v30, v[28:29], off
	v_mov_b64_e32 v[52:53], 1
	s_waitcnt vmcnt(0)
	v_cmp_eq_u16_e32 vcc, v1, v30
	s_and_saveexec_b64 s[18:19], vcc
	s_cbranch_execz .LBB667_52
; %bb.46:
	s_add_u32 s24, s12, -1
	v_lshl_add_u64 v[30:31], v[28:29], 0, 2
	v_lshl_add_u64 v[26:27], v[26:27], 0, 2
	s_addc_u32 s25, s13, -1
	s_mov_b64 s[26:27], 0
	s_mov_b64 s[30:31], 0
                                        ; implicit-def: $sgpr28_sgpr29
	s_branch .LBB667_49
.LBB667_47:                             ;   in Loop: Header=BB667_49 Depth=1
	global_load_ushort v1, v[26:27], off
	global_load_ushort v32, v[30:31], off
	s_add_u32 s30, s30, 1
	s_addc_u32 s31, s31, 0
	s_andn2_b64 s[28:29], s[28:29], exec
	v_lshl_add_u64 v[30:31], v[30:31], 0, 2
	v_lshl_add_u64 v[26:27], v[26:27], 0, 2
	s_waitcnt vmcnt(0)
	v_cmp_ne_u16_e32 vcc, v1, v32
	s_and_b64 s[34:35], vcc, exec
	s_or_b64 s[28:29], s[28:29], s[34:35]
.LBB667_48:                             ;   in Loop: Header=BB667_49 Depth=1
	s_and_b64 s[34:35], exec, s[28:29]
	s_or_b64 s[26:27], s[34:35], s[26:27]
	v_mov_b64_e32 v[32:33], s[30:31]
	s_andn2_b64 exec, exec, s[26:27]
	s_cbranch_execz .LBB667_51
.LBB667_49:                             ; =>This Inner Loop Header: Depth=1
	s_or_b64 s[28:29], s[28:29], exec
	s_cmp_eq_u64 s[24:25], s[30:31]
	s_cbranch_scc0 .LBB667_47
; %bb.50:                               ;   in Loop: Header=BB667_49 Depth=1
                                        ; implicit-def: $vgpr30_vgpr31
                                        ; implicit-def: $vgpr26_vgpr27
	s_mov_b64 s[30:31], s[12:13]
	s_branch .LBB667_48
.LBB667_51:
	s_or_b64 exec, exec, s[26:27]
	v_cmp_gt_i64_e32 vcc, s[12:13], v[32:33]
	s_mov_b32 s7, 0
	v_mov_b32_e32 v53, s7
	v_cndmask_b32_e64 v52, 0, 1, vcc
.LBB667_52:
	s_or_b64 exec, exec, s[18:19]
.LBB667_53:
	v_mul_lo_u32 v1, v21, s12
	v_mul_lo_u32 v30, v20, s13
	v_mad_u64_u32 v[26:27], s[18:19], v20, s12, 0
	v_add3_u32 v27, v27, v30, v1
	s_and_b64 vcc, exec, s[2:3]
	v_lshl_add_u64 v[26:27], v[26:27], 1, s[14:15]
	s_cbranch_vccnz .LBB667_62
; %bb.54:
	global_load_ushort v1, v[28:29], off
	global_load_ushort v30, v[26:27], off
	v_mov_b64_e32 v[46:47], 1
	s_waitcnt vmcnt(0)
	v_cmp_eq_u16_e32 vcc, v1, v30
	s_and_saveexec_b64 s[18:19], vcc
	s_cbranch_execz .LBB667_61
; %bb.55:
	s_add_u32 s24, s12, -1
	v_lshl_add_u64 v[30:31], v[26:27], 0, 2
	v_lshl_add_u64 v[28:29], v[28:29], 0, 2
	s_addc_u32 s25, s13, -1
	s_mov_b64 s[26:27], 0
	s_mov_b64 s[30:31], 0
                                        ; implicit-def: $sgpr28_sgpr29
	s_branch .LBB667_58
.LBB667_56:                             ;   in Loop: Header=BB667_58 Depth=1
	global_load_ushort v1, v[28:29], off
	global_load_ushort v32, v[30:31], off
	s_add_u32 s30, s30, 1
	s_addc_u32 s31, s31, 0
	s_andn2_b64 s[28:29], s[28:29], exec
	v_lshl_add_u64 v[30:31], v[30:31], 0, 2
	v_lshl_add_u64 v[28:29], v[28:29], 0, 2
	s_waitcnt vmcnt(0)
	v_cmp_ne_u16_e32 vcc, v1, v32
	s_and_b64 s[34:35], vcc, exec
	s_or_b64 s[28:29], s[28:29], s[34:35]
.LBB667_57:                             ;   in Loop: Header=BB667_58 Depth=1
	s_and_b64 s[34:35], exec, s[28:29]
	s_or_b64 s[26:27], s[34:35], s[26:27]
	v_mov_b64_e32 v[32:33], s[30:31]
	s_andn2_b64 exec, exec, s[26:27]
	s_cbranch_execz .LBB667_60
.LBB667_58:                             ; =>This Inner Loop Header: Depth=1
	s_or_b64 s[28:29], s[28:29], exec
	s_cmp_eq_u64 s[24:25], s[30:31]
	s_cbranch_scc0 .LBB667_56
; %bb.59:                               ;   in Loop: Header=BB667_58 Depth=1
                                        ; implicit-def: $vgpr30_vgpr31
                                        ; implicit-def: $vgpr28_vgpr29
	s_mov_b64 s[30:31], s[12:13]
	s_branch .LBB667_57
.LBB667_60:
	s_or_b64 exec, exec, s[26:27]
	v_cmp_gt_i64_e32 vcc, s[12:13], v[32:33]
	s_mov_b32 s7, 0
	v_mov_b32_e32 v47, s7
	v_cndmask_b32_e64 v46, 0, 1, vcc
.LBB667_61:
	s_or_b64 exec, exec, s[18:19]
.LBB667_62:
	v_mul_lo_u32 v1, v19, s12
	v_mul_lo_u32 v30, v18, s13
	v_mad_u64_u32 v[28:29], s[18:19], v18, s12, 0
	v_add3_u32 v29, v29, v30, v1
	v_mov_b64_e32 v[56:57], 0
	s_and_b64 vcc, exec, s[2:3]
	v_lshl_add_u64 v[28:29], v[28:29], 1, s[14:15]
	v_mov_b64_e32 v[54:55], v[56:57]
	s_cbranch_vccnz .LBB667_71
; %bb.63:
	global_load_ushort v1, v[26:27], off
	global_load_ushort v30, v[28:29], off
	v_mov_b64_e32 v[54:55], 1
	s_waitcnt vmcnt(0)
	v_cmp_eq_u16_e32 vcc, v1, v30
	s_and_saveexec_b64 s[18:19], vcc
	s_cbranch_execz .LBB667_70
; %bb.64:
	s_add_u32 s24, s12, -1
	v_lshl_add_u64 v[30:31], v[28:29], 0, 2
	v_lshl_add_u64 v[26:27], v[26:27], 0, 2
	s_addc_u32 s25, s13, -1
	s_mov_b64 s[26:27], 0
	s_mov_b64 s[30:31], 0
                                        ; implicit-def: $sgpr28_sgpr29
	s_branch .LBB667_67
.LBB667_65:                             ;   in Loop: Header=BB667_67 Depth=1
	global_load_ushort v1, v[26:27], off
	global_load_ushort v32, v[30:31], off
	s_add_u32 s30, s30, 1
	s_addc_u32 s31, s31, 0
	s_andn2_b64 s[28:29], s[28:29], exec
	v_lshl_add_u64 v[30:31], v[30:31], 0, 2
	v_lshl_add_u64 v[26:27], v[26:27], 0, 2
	s_waitcnt vmcnt(0)
	v_cmp_ne_u16_e32 vcc, v1, v32
	s_and_b64 s[34:35], vcc, exec
	s_or_b64 s[28:29], s[28:29], s[34:35]
.LBB667_66:                             ;   in Loop: Header=BB667_67 Depth=1
	s_and_b64 s[34:35], exec, s[28:29]
	s_or_b64 s[26:27], s[34:35], s[26:27]
	v_mov_b64_e32 v[32:33], s[30:31]
	s_andn2_b64 exec, exec, s[26:27]
	s_cbranch_execz .LBB667_69
.LBB667_67:                             ; =>This Inner Loop Header: Depth=1
	s_or_b64 s[28:29], s[28:29], exec
	s_cmp_eq_u64 s[24:25], s[30:31]
	s_cbranch_scc0 .LBB667_65
; %bb.68:                               ;   in Loop: Header=BB667_67 Depth=1
                                        ; implicit-def: $vgpr30_vgpr31
                                        ; implicit-def: $vgpr26_vgpr27
	s_mov_b64 s[30:31], s[12:13]
	s_branch .LBB667_66
.LBB667_69:
	s_or_b64 exec, exec, s[26:27]
	v_cmp_gt_i64_e32 vcc, s[12:13], v[32:33]
	s_mov_b32 s7, 0
	v_mov_b32_e32 v55, s7
	v_cndmask_b32_e64 v54, 0, 1, vcc
.LBB667_70:
	s_or_b64 exec, exec, s[18:19]
.LBB667_71:
	v_mul_lo_u32 v1, v17, s12
	v_mul_lo_u32 v30, v16, s13
	v_mad_u64_u32 v[26:27], s[18:19], v16, s12, 0
	v_add3_u32 v27, v27, v30, v1
	s_and_b64 vcc, exec, s[2:3]
	v_lshl_add_u64 v[26:27], v[26:27], 1, s[14:15]
	s_cbranch_vccnz .LBB667_80
; %bb.72:
	global_load_ushort v1, v[28:29], off
	global_load_ushort v30, v[26:27], off
	v_mov_b64_e32 v[56:57], 1
	s_waitcnt vmcnt(0)
	v_cmp_eq_u16_e32 vcc, v1, v30
	s_and_saveexec_b64 s[18:19], vcc
	s_cbranch_execz .LBB667_79
; %bb.73:
	s_add_u32 s24, s12, -1
	v_lshl_add_u64 v[30:31], v[26:27], 0, 2
	v_lshl_add_u64 v[28:29], v[28:29], 0, 2
	s_addc_u32 s25, s13, -1
	s_mov_b64 s[26:27], 0
	s_mov_b64 s[30:31], 0
                                        ; implicit-def: $sgpr28_sgpr29
	s_branch .LBB667_76
.LBB667_74:                             ;   in Loop: Header=BB667_76 Depth=1
	global_load_ushort v1, v[28:29], off
	global_load_ushort v32, v[30:31], off
	s_add_u32 s30, s30, 1
	s_addc_u32 s31, s31, 0
	s_andn2_b64 s[28:29], s[28:29], exec
	v_lshl_add_u64 v[30:31], v[30:31], 0, 2
	v_lshl_add_u64 v[28:29], v[28:29], 0, 2
	s_waitcnt vmcnt(0)
	v_cmp_ne_u16_e32 vcc, v1, v32
	s_and_b64 s[34:35], vcc, exec
	s_or_b64 s[28:29], s[28:29], s[34:35]
.LBB667_75:                             ;   in Loop: Header=BB667_76 Depth=1
	s_and_b64 s[34:35], exec, s[28:29]
	s_or_b64 s[26:27], s[34:35], s[26:27]
	v_mov_b64_e32 v[32:33], s[30:31]
	s_andn2_b64 exec, exec, s[26:27]
	s_cbranch_execz .LBB667_78
.LBB667_76:                             ; =>This Inner Loop Header: Depth=1
	s_or_b64 s[28:29], s[28:29], exec
	s_cmp_eq_u64 s[24:25], s[30:31]
	s_cbranch_scc0 .LBB667_74
; %bb.77:                               ;   in Loop: Header=BB667_76 Depth=1
                                        ; implicit-def: $vgpr30_vgpr31
                                        ; implicit-def: $vgpr28_vgpr29
	s_mov_b64 s[30:31], s[12:13]
	s_branch .LBB667_75
.LBB667_78:
	s_or_b64 exec, exec, s[26:27]
	v_cmp_gt_i64_e32 vcc, s[12:13], v[32:33]
	s_mov_b32 s7, 0
	v_mov_b32_e32 v57, s7
	v_cndmask_b32_e64 v56, 0, 1, vcc
.LBB667_79:
	s_or_b64 exec, exec, s[18:19]
.LBB667_80:
	v_mul_lo_u32 v1, v15, s12
	v_mul_lo_u32 v30, v14, s13
	v_mad_u64_u32 v[28:29], s[18:19], v14, s12, 0
	v_add3_u32 v29, v29, v30, v1
	v_mov_b64_e32 v[60:61], 0
	s_and_b64 vcc, exec, s[2:3]
	v_lshl_add_u64 v[28:29], v[28:29], 1, s[14:15]
	v_mov_b64_e32 v[58:59], v[60:61]
	s_cbranch_vccnz .LBB667_89
; %bb.81:
	global_load_ushort v1, v[26:27], off
	global_load_ushort v30, v[28:29], off
	v_mov_b64_e32 v[58:59], 1
	s_waitcnt vmcnt(0)
	v_cmp_eq_u16_e32 vcc, v1, v30
	s_and_saveexec_b64 s[18:19], vcc
	s_cbranch_execz .LBB667_88
; %bb.82:
	s_add_u32 s24, s12, -1
	v_lshl_add_u64 v[30:31], v[28:29], 0, 2
	v_lshl_add_u64 v[26:27], v[26:27], 0, 2
	s_addc_u32 s25, s13, -1
	s_mov_b64 s[26:27], 0
	s_mov_b64 s[30:31], 0
                                        ; implicit-def: $sgpr28_sgpr29
	s_branch .LBB667_85
.LBB667_83:                             ;   in Loop: Header=BB667_85 Depth=1
	global_load_ushort v1, v[26:27], off
	global_load_ushort v32, v[30:31], off
	s_add_u32 s30, s30, 1
	s_addc_u32 s31, s31, 0
	s_andn2_b64 s[28:29], s[28:29], exec
	v_lshl_add_u64 v[30:31], v[30:31], 0, 2
	v_lshl_add_u64 v[26:27], v[26:27], 0, 2
	s_waitcnt vmcnt(0)
	v_cmp_ne_u16_e32 vcc, v1, v32
	s_and_b64 s[34:35], vcc, exec
	s_or_b64 s[28:29], s[28:29], s[34:35]
.LBB667_84:                             ;   in Loop: Header=BB667_85 Depth=1
	s_and_b64 s[34:35], exec, s[28:29]
	s_or_b64 s[26:27], s[34:35], s[26:27]
	v_mov_b64_e32 v[32:33], s[30:31]
	s_andn2_b64 exec, exec, s[26:27]
	s_cbranch_execz .LBB667_87
.LBB667_85:                             ; =>This Inner Loop Header: Depth=1
	s_or_b64 s[28:29], s[28:29], exec
	s_cmp_eq_u64 s[24:25], s[30:31]
	s_cbranch_scc0 .LBB667_83
; %bb.86:                               ;   in Loop: Header=BB667_85 Depth=1
                                        ; implicit-def: $vgpr30_vgpr31
                                        ; implicit-def: $vgpr26_vgpr27
	s_mov_b64 s[30:31], s[12:13]
	s_branch .LBB667_84
.LBB667_87:
	s_or_b64 exec, exec, s[26:27]
	v_cmp_gt_i64_e32 vcc, s[12:13], v[32:33]
	s_mov_b32 s7, 0
	v_mov_b32_e32 v59, s7
	v_cndmask_b32_e64 v58, 0, 1, vcc
.LBB667_88:
	s_or_b64 exec, exec, s[18:19]
.LBB667_89:
	v_mul_lo_u32 v1, v13, s12
	v_mul_lo_u32 v30, v12, s13
	v_mad_u64_u32 v[26:27], s[18:19], v12, s12, 0
	v_add3_u32 v27, v27, v30, v1
	s_and_b64 vcc, exec, s[2:3]
	v_lshl_add_u64 v[26:27], v[26:27], 1, s[14:15]
	s_cbranch_vccnz .LBB667_98
; %bb.90:
	global_load_ushort v1, v[28:29], off
	global_load_ushort v30, v[26:27], off
	v_mov_b64_e32 v[60:61], 1
	s_waitcnt vmcnt(0)
	v_cmp_eq_u16_e32 vcc, v1, v30
	s_and_saveexec_b64 s[18:19], vcc
	s_cbranch_execz .LBB667_97
; %bb.91:
	s_add_u32 s24, s12, -1
	v_lshl_add_u64 v[30:31], v[26:27], 0, 2
	v_lshl_add_u64 v[28:29], v[28:29], 0, 2
	s_addc_u32 s25, s13, -1
	s_mov_b64 s[26:27], 0
	s_mov_b64 s[30:31], 0
                                        ; implicit-def: $sgpr28_sgpr29
	s_branch .LBB667_94
.LBB667_92:                             ;   in Loop: Header=BB667_94 Depth=1
	global_load_ushort v1, v[28:29], off
	global_load_ushort v32, v[30:31], off
	s_add_u32 s30, s30, 1
	s_addc_u32 s31, s31, 0
	s_andn2_b64 s[28:29], s[28:29], exec
	v_lshl_add_u64 v[30:31], v[30:31], 0, 2
	v_lshl_add_u64 v[28:29], v[28:29], 0, 2
	s_waitcnt vmcnt(0)
	v_cmp_ne_u16_e32 vcc, v1, v32
	s_and_b64 s[34:35], vcc, exec
	s_or_b64 s[28:29], s[28:29], s[34:35]
.LBB667_93:                             ;   in Loop: Header=BB667_94 Depth=1
	s_and_b64 s[34:35], exec, s[28:29]
	s_or_b64 s[26:27], s[34:35], s[26:27]
	v_mov_b64_e32 v[32:33], s[30:31]
	s_andn2_b64 exec, exec, s[26:27]
	s_cbranch_execz .LBB667_96
.LBB667_94:                             ; =>This Inner Loop Header: Depth=1
	s_or_b64 s[28:29], s[28:29], exec
	s_cmp_eq_u64 s[24:25], s[30:31]
	s_cbranch_scc0 .LBB667_92
; %bb.95:                               ;   in Loop: Header=BB667_94 Depth=1
                                        ; implicit-def: $vgpr30_vgpr31
                                        ; implicit-def: $vgpr28_vgpr29
	s_mov_b64 s[30:31], s[12:13]
	s_branch .LBB667_93
.LBB667_96:
	s_or_b64 exec, exec, s[26:27]
	v_cmp_gt_i64_e32 vcc, s[12:13], v[32:33]
	s_mov_b32 s7, 0
	v_mov_b32_e32 v61, s7
	v_cndmask_b32_e64 v60, 0, 1, vcc
.LBB667_97:
	s_or_b64 exec, exec, s[18:19]
.LBB667_98:
	v_mul_lo_u32 v1, v11, s12
	v_mul_lo_u32 v30, v10, s13
	v_mad_u64_u32 v[28:29], s[18:19], v10, s12, 0
	v_add3_u32 v29, v29, v30, v1
	v_mov_b64_e32 v[64:65], 0
	s_and_b64 vcc, exec, s[2:3]
	v_lshl_add_u64 v[28:29], v[28:29], 1, s[14:15]
	v_mov_b64_e32 v[62:63], v[64:65]
	s_cbranch_vccnz .LBB667_107
; %bb.99:
	global_load_ushort v1, v[26:27], off
	global_load_ushort v30, v[28:29], off
	v_mov_b64_e32 v[62:63], 1
	s_waitcnt vmcnt(0)
	v_cmp_eq_u16_e32 vcc, v1, v30
	s_and_saveexec_b64 s[18:19], vcc
	s_cbranch_execz .LBB667_106
; %bb.100:
	s_add_u32 s24, s12, -1
	v_lshl_add_u64 v[30:31], v[28:29], 0, 2
	v_lshl_add_u64 v[26:27], v[26:27], 0, 2
	s_addc_u32 s25, s13, -1
	s_mov_b64 s[26:27], 0
	s_mov_b64 s[30:31], 0
                                        ; implicit-def: $sgpr28_sgpr29
	s_branch .LBB667_103
.LBB667_101:                            ;   in Loop: Header=BB667_103 Depth=1
	global_load_ushort v1, v[26:27], off
	global_load_ushort v32, v[30:31], off
	s_add_u32 s30, s30, 1
	s_addc_u32 s31, s31, 0
	s_andn2_b64 s[28:29], s[28:29], exec
	v_lshl_add_u64 v[30:31], v[30:31], 0, 2
	v_lshl_add_u64 v[26:27], v[26:27], 0, 2
	s_waitcnt vmcnt(0)
	v_cmp_ne_u16_e32 vcc, v1, v32
	s_and_b64 s[34:35], vcc, exec
	s_or_b64 s[28:29], s[28:29], s[34:35]
.LBB667_102:                            ;   in Loop: Header=BB667_103 Depth=1
	s_and_b64 s[34:35], exec, s[28:29]
	s_or_b64 s[26:27], s[34:35], s[26:27]
	v_mov_b64_e32 v[32:33], s[30:31]
	s_andn2_b64 exec, exec, s[26:27]
	s_cbranch_execz .LBB667_105
.LBB667_103:                            ; =>This Inner Loop Header: Depth=1
	s_or_b64 s[28:29], s[28:29], exec
	s_cmp_eq_u64 s[24:25], s[30:31]
	s_cbranch_scc0 .LBB667_101
; %bb.104:                              ;   in Loop: Header=BB667_103 Depth=1
                                        ; implicit-def: $vgpr30_vgpr31
                                        ; implicit-def: $vgpr26_vgpr27
	s_mov_b64 s[30:31], s[12:13]
	s_branch .LBB667_102
.LBB667_105:
	s_or_b64 exec, exec, s[26:27]
	v_cmp_gt_i64_e32 vcc, s[12:13], v[32:33]
	s_mov_b32 s7, 0
	v_mov_b32_e32 v63, s7
	v_cndmask_b32_e64 v62, 0, 1, vcc
.LBB667_106:
	s_or_b64 exec, exec, s[18:19]
.LBB667_107:
	v_mul_lo_u32 v1, v9, s12
	v_mul_lo_u32 v30, v8, s13
	v_mad_u64_u32 v[26:27], s[18:19], v8, s12, 0
	v_add3_u32 v27, v27, v30, v1
	s_and_b64 vcc, exec, s[2:3]
	v_lshl_add_u64 v[26:27], v[26:27], 1, s[14:15]
	s_cbranch_vccnz .LBB667_116
; %bb.108:
	global_load_ushort v1, v[28:29], off
	global_load_ushort v30, v[26:27], off
	v_mov_b64_e32 v[64:65], 1
	s_waitcnt vmcnt(0)
	v_cmp_eq_u16_e32 vcc, v1, v30
	s_and_saveexec_b64 s[18:19], vcc
	s_cbranch_execz .LBB667_115
; %bb.109:
	s_add_u32 s24, s12, -1
	v_lshl_add_u64 v[30:31], v[26:27], 0, 2
	v_lshl_add_u64 v[28:29], v[28:29], 0, 2
	s_addc_u32 s25, s13, -1
	s_mov_b64 s[26:27], 0
	s_mov_b64 s[30:31], 0
                                        ; implicit-def: $sgpr28_sgpr29
	s_branch .LBB667_112
.LBB667_110:                            ;   in Loop: Header=BB667_112 Depth=1
	global_load_ushort v1, v[28:29], off
	global_load_ushort v32, v[30:31], off
	s_add_u32 s30, s30, 1
	s_addc_u32 s31, s31, 0
	s_andn2_b64 s[28:29], s[28:29], exec
	v_lshl_add_u64 v[30:31], v[30:31], 0, 2
	v_lshl_add_u64 v[28:29], v[28:29], 0, 2
	s_waitcnt vmcnt(0)
	v_cmp_ne_u16_e32 vcc, v1, v32
	s_and_b64 s[34:35], vcc, exec
	s_or_b64 s[28:29], s[28:29], s[34:35]
.LBB667_111:                            ;   in Loop: Header=BB667_112 Depth=1
	s_and_b64 s[34:35], exec, s[28:29]
	s_or_b64 s[26:27], s[34:35], s[26:27]
	v_mov_b64_e32 v[32:33], s[30:31]
	s_andn2_b64 exec, exec, s[26:27]
	s_cbranch_execz .LBB667_114
.LBB667_112:                            ; =>This Inner Loop Header: Depth=1
	s_or_b64 s[28:29], s[28:29], exec
	s_cmp_eq_u64 s[24:25], s[30:31]
	s_cbranch_scc0 .LBB667_110
; %bb.113:                              ;   in Loop: Header=BB667_112 Depth=1
                                        ; implicit-def: $vgpr30_vgpr31
                                        ; implicit-def: $vgpr28_vgpr29
	s_mov_b64 s[30:31], s[12:13]
	s_branch .LBB667_111
.LBB667_114:
	s_or_b64 exec, exec, s[26:27]
	v_cmp_gt_i64_e32 vcc, s[12:13], v[32:33]
	s_mov_b32 s7, 0
	v_mov_b32_e32 v65, s7
	v_cndmask_b32_e64 v64, 0, 1, vcc
.LBB667_115:
	s_or_b64 exec, exec, s[18:19]
.LBB667_116:
	v_mul_lo_u32 v1, v7, s12
	v_mul_lo_u32 v30, v6, s13
	v_mad_u64_u32 v[28:29], s[18:19], v6, s12, 0
	v_add3_u32 v29, v29, v30, v1
	v_mov_b64_e32 v[68:69], 0
	s_and_b64 vcc, exec, s[2:3]
	v_lshl_add_u64 v[28:29], v[28:29], 1, s[14:15]
	v_mov_b64_e32 v[66:67], v[68:69]
	s_cbranch_vccnz .LBB667_125
; %bb.117:
	global_load_ushort v1, v[26:27], off
	global_load_ushort v30, v[28:29], off
	v_mov_b64_e32 v[66:67], 1
	s_waitcnt vmcnt(0)
	v_cmp_eq_u16_e32 vcc, v1, v30
	s_and_saveexec_b64 s[18:19], vcc
	s_cbranch_execz .LBB667_124
; %bb.118:
	s_add_u32 s24, s12, -1
	v_lshl_add_u64 v[30:31], v[28:29], 0, 2
	v_lshl_add_u64 v[26:27], v[26:27], 0, 2
	s_addc_u32 s25, s13, -1
	s_mov_b64 s[26:27], 0
	s_mov_b64 s[30:31], 0
                                        ; implicit-def: $sgpr28_sgpr29
	s_branch .LBB667_121
.LBB667_119:                            ;   in Loop: Header=BB667_121 Depth=1
	global_load_ushort v1, v[26:27], off
	global_load_ushort v32, v[30:31], off
	s_add_u32 s30, s30, 1
	s_addc_u32 s31, s31, 0
	s_andn2_b64 s[28:29], s[28:29], exec
	v_lshl_add_u64 v[30:31], v[30:31], 0, 2
	v_lshl_add_u64 v[26:27], v[26:27], 0, 2
	s_waitcnt vmcnt(0)
	v_cmp_ne_u16_e32 vcc, v1, v32
	s_and_b64 s[34:35], vcc, exec
	s_or_b64 s[28:29], s[28:29], s[34:35]
.LBB667_120:                            ;   in Loop: Header=BB667_121 Depth=1
	s_and_b64 s[34:35], exec, s[28:29]
	s_or_b64 s[26:27], s[34:35], s[26:27]
	v_mov_b64_e32 v[32:33], s[30:31]
	s_andn2_b64 exec, exec, s[26:27]
	s_cbranch_execz .LBB667_123
.LBB667_121:                            ; =>This Inner Loop Header: Depth=1
	s_or_b64 s[28:29], s[28:29], exec
	s_cmp_eq_u64 s[24:25], s[30:31]
	s_cbranch_scc0 .LBB667_119
; %bb.122:                              ;   in Loop: Header=BB667_121 Depth=1
                                        ; implicit-def: $vgpr30_vgpr31
                                        ; implicit-def: $vgpr26_vgpr27
	s_mov_b64 s[30:31], s[12:13]
	s_branch .LBB667_120
.LBB667_123:
	s_or_b64 exec, exec, s[26:27]
	v_cmp_gt_i64_e32 vcc, s[12:13], v[32:33]
	s_mov_b32 s7, 0
	v_mov_b32_e32 v67, s7
	v_cndmask_b32_e64 v66, 0, 1, vcc
.LBB667_124:
	s_or_b64 exec, exec, s[18:19]
.LBB667_125:
	v_mul_lo_u32 v1, v5, s12
	v_mul_lo_u32 v30, v4, s13
	v_mad_u64_u32 v[26:27], s[18:19], v4, s12, 0
	v_add3_u32 v27, v27, v30, v1
	s_and_b64 vcc, exec, s[2:3]
	v_lshl_add_u64 v[26:27], v[26:27], 1, s[14:15]
	s_cbranch_vccnz .LBB667_134
; %bb.126:
	global_load_ushort v1, v[28:29], off
	global_load_ushort v30, v[26:27], off
	v_mov_b64_e32 v[68:69], 1
	s_waitcnt vmcnt(0)
	v_cmp_eq_u16_e32 vcc, v1, v30
	s_and_saveexec_b64 s[18:19], vcc
	s_cbranch_execz .LBB667_133
; %bb.127:
	s_add_u32 s24, s12, -1
	v_lshl_add_u64 v[30:31], v[26:27], 0, 2
	v_lshl_add_u64 v[28:29], v[28:29], 0, 2
	s_addc_u32 s25, s13, -1
	s_mov_b64 s[26:27], 0
	s_mov_b64 s[30:31], 0
                                        ; implicit-def: $sgpr28_sgpr29
	s_branch .LBB667_130
.LBB667_128:                            ;   in Loop: Header=BB667_130 Depth=1
	global_load_ushort v1, v[28:29], off
	global_load_ushort v32, v[30:31], off
	s_add_u32 s30, s30, 1
	s_addc_u32 s31, s31, 0
	s_andn2_b64 s[28:29], s[28:29], exec
	v_lshl_add_u64 v[30:31], v[30:31], 0, 2
	v_lshl_add_u64 v[28:29], v[28:29], 0, 2
	s_waitcnt vmcnt(0)
	v_cmp_ne_u16_e32 vcc, v1, v32
	s_and_b64 s[34:35], vcc, exec
	s_or_b64 s[28:29], s[28:29], s[34:35]
.LBB667_129:                            ;   in Loop: Header=BB667_130 Depth=1
	s_and_b64 s[34:35], exec, s[28:29]
	s_or_b64 s[26:27], s[34:35], s[26:27]
	v_mov_b64_e32 v[32:33], s[30:31]
	s_andn2_b64 exec, exec, s[26:27]
	s_cbranch_execz .LBB667_132
.LBB667_130:                            ; =>This Inner Loop Header: Depth=1
	s_or_b64 s[28:29], s[28:29], exec
	s_cmp_eq_u64 s[24:25], s[30:31]
	s_cbranch_scc0 .LBB667_128
; %bb.131:                              ;   in Loop: Header=BB667_130 Depth=1
                                        ; implicit-def: $vgpr30_vgpr31
                                        ; implicit-def: $vgpr28_vgpr29
	s_mov_b64 s[30:31], s[12:13]
	s_branch .LBB667_129
.LBB667_132:
	s_or_b64 exec, exec, s[26:27]
	v_cmp_gt_i64_e32 vcc, s[12:13], v[32:33]
	s_mov_b32 s7, 0
	v_mov_b32_e32 v69, s7
	v_cndmask_b32_e64 v68, 0, 1, vcc
.LBB667_133:
	s_or_b64 exec, exec, s[18:19]
.LBB667_134:
	s_and_b64 vcc, exec, s[2:3]
	s_cbranch_vccnz .LBB667_141
; %bb.135:
	v_mul_lo_u32 v1, v3, s12
	v_mul_lo_u32 v30, v2, s13
	v_mad_u64_u32 v[28:29], s[18:19], v2, s12, 0
	v_add3_u32 v29, v29, v30, v1
	v_lshl_add_u64 v[28:29], v[28:29], 1, s[14:15]
	global_load_ushort v1, v[26:27], off
	global_load_ushort v30, v[28:29], off
	v_mov_b64_e32 v[70:71], 1
	s_waitcnt vmcnt(0)
	v_cmp_eq_u16_e32 vcc, v1, v30
	s_and_saveexec_b64 s[18:19], vcc
	s_cbranch_execz .LBB667_143
; %bb.136:
	s_add_u32 s24, s12, -1
	v_lshl_add_u64 v[28:29], v[28:29], 0, 2
	v_lshl_add_u64 v[26:27], v[26:27], 0, 2
	s_addc_u32 s25, s13, -1
	s_mov_b64 s[26:27], 0
	s_mov_b64 s[30:31], 0
                                        ; implicit-def: $sgpr28_sgpr29
	s_branch .LBB667_139
.LBB667_137:                            ;   in Loop: Header=BB667_139 Depth=1
	global_load_ushort v1, v[26:27], off
	global_load_ushort v30, v[28:29], off
	s_add_u32 s30, s30, 1
	s_addc_u32 s31, s31, 0
	s_andn2_b64 s[28:29], s[28:29], exec
	v_lshl_add_u64 v[28:29], v[28:29], 0, 2
	v_lshl_add_u64 v[26:27], v[26:27], 0, 2
	s_waitcnt vmcnt(0)
	v_cmp_ne_u16_e32 vcc, v1, v30
	s_and_b64 s[34:35], vcc, exec
	s_or_b64 s[28:29], s[28:29], s[34:35]
.LBB667_138:                            ;   in Loop: Header=BB667_139 Depth=1
	s_and_b64 s[34:35], exec, s[28:29]
	s_or_b64 s[26:27], s[34:35], s[26:27]
	v_mov_b64_e32 v[30:31], s[30:31]
	s_andn2_b64 exec, exec, s[26:27]
	s_cbranch_execz .LBB667_142
.LBB667_139:                            ; =>This Inner Loop Header: Depth=1
	s_or_b64 s[28:29], s[28:29], exec
	s_cmp_eq_u64 s[24:25], s[30:31]
	s_cbranch_scc0 .LBB667_137
; %bb.140:                              ;   in Loop: Header=BB667_139 Depth=1
                                        ; implicit-def: $vgpr28_vgpr29
                                        ; implicit-def: $vgpr26_vgpr27
	s_mov_b64 s[30:31], s[12:13]
	s_branch .LBB667_138
.LBB667_141:
	v_mov_b64_e32 v[70:71], 0
	s_branch .LBB667_144
.LBB667_142:
	s_or_b64 exec, exec, s[26:27]
	v_cmp_gt_i64_e32 vcc, s[12:13], v[30:31]
	s_mov_b32 s7, 0
	v_mov_b32_e32 v71, s7
	v_cndmask_b32_e64 v70, 0, 1, vcc
.LBB667_143:
	s_or_b64 exec, exec, s[18:19]
.LBB667_144:
	v_cmp_ne_u32_e32 vcc, 0, v0
	s_waitcnt lgkmcnt(0)
	v_mov_b64_e32 v[26:27], s[20:21]
	s_waitcnt lgkmcnt(0)
	; wave barrier
	s_and_saveexec_b64 s[18:19], vcc
	s_cbranch_execz .LBB667_146
; %bb.145:
	v_add_u32_e32 v1, -8, v48
	ds_read_b64 v[26:27], v1
.LBB667_146:
	s_or_b64 exec, exec, s[18:19]
	s_mov_b64 s[26:27], 0
	s_and_b64 vcc, exec, s[2:3]
	s_mov_b64 s[24:25], 0
	s_cbranch_vccnz .LBB667_155
; %bb.147:
	v_mul_lo_u32 v1, v3, s12
	v_mul_lo_u32 v30, v2, s13
	v_mad_u64_u32 v[28:29], s[2:3], v2, s12, 0
	v_add3_u32 v29, v29, v30, v1
	s_waitcnt lgkmcnt(0)
	v_mul_lo_u32 v1, v27, s12
	v_mul_lo_u32 v30, v26, s13
	v_mad_u64_u32 v[26:27], s[2:3], v26, s12, 0
	v_add3_u32 v27, v27, v30, v1
	v_lshl_add_u64 v[28:29], v[28:29], 1, s[14:15]
	v_lshl_add_u64 v[26:27], v[26:27], 1, s[14:15]
	global_load_ushort v1, v[28:29], off
	global_load_ushort v30, v[26:27], off
	s_mov_b64 s[24:25], -1
	s_waitcnt vmcnt(0)
	v_cmp_eq_u16_e32 vcc, v1, v30
	s_and_saveexec_b64 s[2:3], vcc
	s_cbranch_execz .LBB667_154
; %bb.148:
	s_add_u32 s18, s12, -1
	v_lshl_add_u64 v[26:27], v[26:27], 0, 2
	v_lshl_add_u64 v[28:29], v[28:29], 0, 2
	s_addc_u32 s19, s13, -1
	s_mov_b64 s[24:25], 0
	s_mov_b64 s[30:31], 0
                                        ; implicit-def: $sgpr28_sgpr29
	s_branch .LBB667_151
.LBB667_149:                            ;   in Loop: Header=BB667_151 Depth=1
	global_load_ushort v1, v[28:29], off
	global_load_ushort v30, v[26:27], off
	s_add_u32 s30, s30, 1
	s_addc_u32 s31, s31, 0
	s_andn2_b64 s[28:29], s[28:29], exec
	v_lshl_add_u64 v[26:27], v[26:27], 0, 2
	v_lshl_add_u64 v[28:29], v[28:29], 0, 2
	s_waitcnt vmcnt(0)
	v_cmp_ne_u16_e32 vcc, v1, v30
	s_and_b64 s[34:35], vcc, exec
	s_or_b64 s[28:29], s[28:29], s[34:35]
.LBB667_150:                            ;   in Loop: Header=BB667_151 Depth=1
	s_and_b64 s[34:35], exec, s[28:29]
	s_or_b64 s[24:25], s[34:35], s[24:25]
	v_mov_b64_e32 v[30:31], s[30:31]
	s_andn2_b64 exec, exec, s[24:25]
	s_cbranch_execz .LBB667_153
.LBB667_151:                            ; =>This Inner Loop Header: Depth=1
	s_or_b64 s[28:29], s[28:29], exec
	s_cmp_eq_u64 s[18:19], s[30:31]
	s_cbranch_scc0 .LBB667_149
; %bb.152:                              ;   in Loop: Header=BB667_151 Depth=1
                                        ; implicit-def: $vgpr26_vgpr27
                                        ; implicit-def: $vgpr28_vgpr29
	s_mov_b64 s[30:31], s[12:13]
	s_branch .LBB667_150
.LBB667_153:
	s_or_b64 exec, exec, s[24:25]
	v_cmp_gt_i64_e32 vcc, s[12:13], v[30:31]
	s_orn2_b64 s[24:25], vcc, exec
.LBB667_154:
	s_or_b64 exec, exec, s[2:3]
.LBB667_155:
	s_mov_b64 s[18:19], -1
	s_and_b64 vcc, exec, s[26:27]
	s_cbranch_vccz .LBB667_41
.LBB667_156:
	s_mul_i32 s7, s22, 0xfffffcc0
	s_add_i32 s7, s7, s10
	s_waitcnt lgkmcnt(0)
	v_mad_u32_u24 v26, v0, 13, 12
	v_cmp_gt_i64_e64 s[2:3], s[12:13], 0
	v_cmp_gt_u32_e32 vcc, s7, v26
	v_mul_u32_u24_e32 v1, 13, v0
	v_cndmask_b32_e64 v26, 0, 1, s[2:3]
	v_cmp_ne_u32_e64 s[2:3], 1, v26
	v_mov_b64_e32 v[50:51], v[44:45]
	ds_write_b64 v48, v[44:45]
	s_and_saveexec_b64 s[22:23], vcc
	s_cbranch_execz .LBB667_167
; %bb.157:
	s_and_b64 vcc, exec, s[2:3]
	s_cbranch_vccnz .LBB667_164
; %bb.158:
	v_mul_lo_u32 v28, v45, s12
	v_mul_lo_u32 v29, v44, s13
	v_mad_u64_u32 v[26:27], s[24:25], v44, s12, 0
	v_add3_u32 v27, v27, v29, v28
	v_mul_lo_u32 v28, v25, s12
	v_mul_lo_u32 v29, v24, s13
	v_mad_u64_u32 v[30:31], s[24:25], v24, s12, 0
	v_add3_u32 v31, v31, v29, v28
	v_lshl_add_u64 v[28:29], v[26:27], 1, s[14:15]
	v_lshl_add_u64 v[26:27], v[30:31], 1, s[14:15]
	global_load_ushort v30, v[28:29], off
	global_load_ushort v31, v[26:27], off
	v_mov_b64_e32 v[50:51], 1
	s_waitcnt vmcnt(0)
	v_cmp_eq_u16_e32 vcc, v30, v31
	s_and_saveexec_b64 s[24:25], vcc
	s_cbranch_execz .LBB667_166
; %bb.159:
	s_add_u32 s26, s12, -1
	v_lshl_add_u64 v[26:27], v[26:27], 0, 2
	v_lshl_add_u64 v[28:29], v[28:29], 0, 2
	s_addc_u32 s27, s13, -1
	s_mov_b64 s[28:29], 0
	s_mov_b64 s[34:35], 0
                                        ; implicit-def: $sgpr30_sgpr31
	s_branch .LBB667_162
.LBB667_160:                            ;   in Loop: Header=BB667_162 Depth=1
	global_load_ushort v30, v[28:29], off
	global_load_ushort v31, v[26:27], off
	s_add_u32 s34, s34, 1
	s_addc_u32 s35, s35, 0
	s_andn2_b64 s[30:31], s[30:31], exec
	v_lshl_add_u64 v[26:27], v[26:27], 0, 2
	v_lshl_add_u64 v[28:29], v[28:29], 0, 2
	s_waitcnt vmcnt(0)
	v_cmp_ne_u16_e32 vcc, v30, v31
	s_and_b64 s[36:37], vcc, exec
	s_or_b64 s[30:31], s[30:31], s[36:37]
.LBB667_161:                            ;   in Loop: Header=BB667_162 Depth=1
	s_and_b64 s[36:37], exec, s[30:31]
	s_or_b64 s[28:29], s[36:37], s[28:29]
	v_mov_b64_e32 v[30:31], s[34:35]
	s_andn2_b64 exec, exec, s[28:29]
	s_cbranch_execz .LBB667_165
.LBB667_162:                            ; =>This Inner Loop Header: Depth=1
	s_or_b64 s[30:31], s[30:31], exec
	s_cmp_eq_u64 s[26:27], s[34:35]
	s_cbranch_scc0 .LBB667_160
; %bb.163:                              ;   in Loop: Header=BB667_162 Depth=1
                                        ; implicit-def: $vgpr26_vgpr27
                                        ; implicit-def: $vgpr28_vgpr29
	s_mov_b64 s[34:35], s[12:13]
	s_branch .LBB667_161
.LBB667_164:
	v_mov_b64_e32 v[50:51], 0
	s_branch .LBB667_167
.LBB667_165:
	s_or_b64 exec, exec, s[28:29]
	v_cmp_gt_i64_e32 vcc, s[12:13], v[30:31]
	s_mov_b32 s26, 0
	v_mov_b32_e32 v51, s26
	v_cndmask_b32_e64 v50, 0, 1, vcc
.LBB667_166:
	s_or_b64 exec, exec, s[24:25]
.LBB667_167:
	s_or_b64 exec, exec, s[22:23]
	v_add_u32_e32 v26, 11, v1
	v_cmp_gt_u32_e32 vcc, s7, v26
	v_mov_b64_e32 v[52:53], v[24:25]
	s_and_saveexec_b64 s[22:23], vcc
	s_cbranch_execz .LBB667_178
; %bb.168:
	s_and_b64 vcc, exec, s[2:3]
	s_cbranch_vccnz .LBB667_175
; %bb.169:
	v_mul_lo_u32 v28, v25, s12
	v_mul_lo_u32 v29, v24, s13
	v_mad_u64_u32 v[26:27], s[24:25], v24, s12, 0
	v_add3_u32 v27, v27, v29, v28
	v_mul_lo_u32 v28, v23, s12
	v_mul_lo_u32 v29, v22, s13
	v_mad_u64_u32 v[30:31], s[24:25], v22, s12, 0
	v_add3_u32 v31, v31, v29, v28
	v_lshl_add_u64 v[28:29], v[26:27], 1, s[14:15]
	v_lshl_add_u64 v[26:27], v[30:31], 1, s[14:15]
	global_load_ushort v30, v[28:29], off
	global_load_ushort v31, v[26:27], off
	v_mov_b64_e32 v[52:53], 1
	s_waitcnt vmcnt(0)
	v_cmp_eq_u16_e32 vcc, v30, v31
	s_and_saveexec_b64 s[24:25], vcc
	s_cbranch_execz .LBB667_177
; %bb.170:
	s_add_u32 s26, s12, -1
	v_lshl_add_u64 v[26:27], v[26:27], 0, 2
	v_lshl_add_u64 v[28:29], v[28:29], 0, 2
	s_addc_u32 s27, s13, -1
	s_mov_b64 s[28:29], 0
	s_mov_b64 s[34:35], 0
                                        ; implicit-def: $sgpr30_sgpr31
	s_branch .LBB667_173
.LBB667_171:                            ;   in Loop: Header=BB667_173 Depth=1
	global_load_ushort v30, v[28:29], off
	global_load_ushort v31, v[26:27], off
	s_add_u32 s34, s34, 1
	s_addc_u32 s35, s35, 0
	s_andn2_b64 s[30:31], s[30:31], exec
	v_lshl_add_u64 v[26:27], v[26:27], 0, 2
	v_lshl_add_u64 v[28:29], v[28:29], 0, 2
	s_waitcnt vmcnt(0)
	v_cmp_ne_u16_e32 vcc, v30, v31
	s_and_b64 s[36:37], vcc, exec
	s_or_b64 s[30:31], s[30:31], s[36:37]
.LBB667_172:                            ;   in Loop: Header=BB667_173 Depth=1
	s_and_b64 s[36:37], exec, s[30:31]
	s_or_b64 s[28:29], s[36:37], s[28:29]
	v_mov_b64_e32 v[30:31], s[34:35]
	s_andn2_b64 exec, exec, s[28:29]
	s_cbranch_execz .LBB667_176
.LBB667_173:                            ; =>This Inner Loop Header: Depth=1
	s_or_b64 s[30:31], s[30:31], exec
	s_cmp_eq_u64 s[26:27], s[34:35]
	s_cbranch_scc0 .LBB667_171
; %bb.174:                              ;   in Loop: Header=BB667_173 Depth=1
                                        ; implicit-def: $vgpr26_vgpr27
                                        ; implicit-def: $vgpr28_vgpr29
	s_mov_b64 s[34:35], s[12:13]
	s_branch .LBB667_172
.LBB667_175:
	v_mov_b64_e32 v[52:53], 0
	s_branch .LBB667_178
.LBB667_176:
	s_or_b64 exec, exec, s[28:29]
	v_cmp_gt_i64_e32 vcc, s[12:13], v[30:31]
	s_mov_b32 s26, 0
	v_mov_b32_e32 v53, s26
	v_cndmask_b32_e64 v52, 0, 1, vcc
.LBB667_177:
	s_or_b64 exec, exec, s[24:25]
.LBB667_178:
	s_or_b64 exec, exec, s[22:23]
	v_add_u32_e32 v26, 10, v1
	v_cmp_gt_u32_e32 vcc, s7, v26
	v_mov_b64_e32 v[46:47], v[22:23]
	s_and_saveexec_b64 s[22:23], vcc
	s_cbranch_execz .LBB667_189
; %bb.179:
	s_and_b64 vcc, exec, s[2:3]
	s_cbranch_vccnz .LBB667_186
; %bb.180:
	v_mul_lo_u32 v28, v23, s12
	v_mul_lo_u32 v29, v22, s13
	v_mad_u64_u32 v[26:27], s[24:25], v22, s12, 0
	v_add3_u32 v27, v27, v29, v28
	v_mul_lo_u32 v28, v21, s12
	v_mul_lo_u32 v29, v20, s13
	v_mad_u64_u32 v[30:31], s[24:25], v20, s12, 0
	v_add3_u32 v31, v31, v29, v28
	v_lshl_add_u64 v[28:29], v[26:27], 1, s[14:15]
	v_lshl_add_u64 v[26:27], v[30:31], 1, s[14:15]
	global_load_ushort v30, v[28:29], off
	global_load_ushort v31, v[26:27], off
	v_mov_b64_e32 v[46:47], 1
	s_waitcnt vmcnt(0)
	v_cmp_eq_u16_e32 vcc, v30, v31
	s_and_saveexec_b64 s[24:25], vcc
	s_cbranch_execz .LBB667_188
; %bb.181:
	s_add_u32 s26, s12, -1
	v_lshl_add_u64 v[26:27], v[26:27], 0, 2
	v_lshl_add_u64 v[28:29], v[28:29], 0, 2
	s_addc_u32 s27, s13, -1
	s_mov_b64 s[28:29], 0
	s_mov_b64 s[34:35], 0
                                        ; implicit-def: $sgpr30_sgpr31
	s_branch .LBB667_184
.LBB667_182:                            ;   in Loop: Header=BB667_184 Depth=1
	global_load_ushort v30, v[28:29], off
	global_load_ushort v31, v[26:27], off
	s_add_u32 s34, s34, 1
	s_addc_u32 s35, s35, 0
	s_andn2_b64 s[30:31], s[30:31], exec
	v_lshl_add_u64 v[26:27], v[26:27], 0, 2
	v_lshl_add_u64 v[28:29], v[28:29], 0, 2
	s_waitcnt vmcnt(0)
	v_cmp_ne_u16_e32 vcc, v30, v31
	s_and_b64 s[36:37], vcc, exec
	s_or_b64 s[30:31], s[30:31], s[36:37]
.LBB667_183:                            ;   in Loop: Header=BB667_184 Depth=1
	s_and_b64 s[36:37], exec, s[30:31]
	s_or_b64 s[28:29], s[36:37], s[28:29]
	v_mov_b64_e32 v[30:31], s[34:35]
	s_andn2_b64 exec, exec, s[28:29]
	s_cbranch_execz .LBB667_187
.LBB667_184:                            ; =>This Inner Loop Header: Depth=1
	s_or_b64 s[30:31], s[30:31], exec
	s_cmp_eq_u64 s[26:27], s[34:35]
	s_cbranch_scc0 .LBB667_182
; %bb.185:                              ;   in Loop: Header=BB667_184 Depth=1
                                        ; implicit-def: $vgpr26_vgpr27
                                        ; implicit-def: $vgpr28_vgpr29
	s_mov_b64 s[34:35], s[12:13]
	s_branch .LBB667_183
.LBB667_186:
	v_mov_b64_e32 v[46:47], 0
	s_branch .LBB667_189
.LBB667_187:
	s_or_b64 exec, exec, s[28:29]
	v_cmp_gt_i64_e32 vcc, s[12:13], v[30:31]
	s_mov_b32 s26, 0
	v_mov_b32_e32 v47, s26
	v_cndmask_b32_e64 v46, 0, 1, vcc
.LBB667_188:
	s_or_b64 exec, exec, s[24:25]
.LBB667_189:
	s_or_b64 exec, exec, s[22:23]
	v_add_u32_e32 v26, 9, v1
	v_cmp_gt_u32_e32 vcc, s7, v26
	v_mov_b64_e32 v[54:55], v[20:21]
	s_and_saveexec_b64 s[22:23], vcc
	s_cbranch_execz .LBB667_200
; %bb.190:
	s_and_b64 vcc, exec, s[2:3]
	s_cbranch_vccnz .LBB667_197
; %bb.191:
	v_mul_lo_u32 v28, v21, s12
	v_mul_lo_u32 v29, v20, s13
	v_mad_u64_u32 v[26:27], s[24:25], v20, s12, 0
	v_add3_u32 v27, v27, v29, v28
	v_mul_lo_u32 v28, v19, s12
	v_mul_lo_u32 v29, v18, s13
	v_mad_u64_u32 v[30:31], s[24:25], v18, s12, 0
	v_add3_u32 v31, v31, v29, v28
	v_lshl_add_u64 v[28:29], v[26:27], 1, s[14:15]
	v_lshl_add_u64 v[26:27], v[30:31], 1, s[14:15]
	global_load_ushort v30, v[28:29], off
	global_load_ushort v31, v[26:27], off
	v_mov_b64_e32 v[54:55], 1
	s_waitcnt vmcnt(0)
	v_cmp_eq_u16_e32 vcc, v30, v31
	s_and_saveexec_b64 s[24:25], vcc
	s_cbranch_execz .LBB667_199
; %bb.192:
	s_add_u32 s26, s12, -1
	v_lshl_add_u64 v[26:27], v[26:27], 0, 2
	v_lshl_add_u64 v[28:29], v[28:29], 0, 2
	s_addc_u32 s27, s13, -1
	s_mov_b64 s[28:29], 0
	s_mov_b64 s[34:35], 0
                                        ; implicit-def: $sgpr30_sgpr31
	s_branch .LBB667_195
.LBB667_193:                            ;   in Loop: Header=BB667_195 Depth=1
	global_load_ushort v30, v[28:29], off
	global_load_ushort v31, v[26:27], off
	s_add_u32 s34, s34, 1
	s_addc_u32 s35, s35, 0
	s_andn2_b64 s[30:31], s[30:31], exec
	v_lshl_add_u64 v[26:27], v[26:27], 0, 2
	v_lshl_add_u64 v[28:29], v[28:29], 0, 2
	s_waitcnt vmcnt(0)
	v_cmp_ne_u16_e32 vcc, v30, v31
	s_and_b64 s[36:37], vcc, exec
	s_or_b64 s[30:31], s[30:31], s[36:37]
.LBB667_194:                            ;   in Loop: Header=BB667_195 Depth=1
	s_and_b64 s[36:37], exec, s[30:31]
	s_or_b64 s[28:29], s[36:37], s[28:29]
	v_mov_b64_e32 v[30:31], s[34:35]
	s_andn2_b64 exec, exec, s[28:29]
	s_cbranch_execz .LBB667_198
.LBB667_195:                            ; =>This Inner Loop Header: Depth=1
	s_or_b64 s[30:31], s[30:31], exec
	s_cmp_eq_u64 s[26:27], s[34:35]
	s_cbranch_scc0 .LBB667_193
; %bb.196:                              ;   in Loop: Header=BB667_195 Depth=1
                                        ; implicit-def: $vgpr26_vgpr27
                                        ; implicit-def: $vgpr28_vgpr29
	s_mov_b64 s[34:35], s[12:13]
	s_branch .LBB667_194
.LBB667_197:
	v_mov_b64_e32 v[54:55], 0
	s_branch .LBB667_200
.LBB667_198:
	s_or_b64 exec, exec, s[28:29]
	v_cmp_gt_i64_e32 vcc, s[12:13], v[30:31]
	s_mov_b32 s26, 0
	v_mov_b32_e32 v55, s26
	v_cndmask_b32_e64 v54, 0, 1, vcc
.LBB667_199:
	s_or_b64 exec, exec, s[24:25]
.LBB667_200:
	s_or_b64 exec, exec, s[22:23]
	v_add_u32_e32 v26, 8, v1
	v_cmp_gt_u32_e32 vcc, s7, v26
	v_mov_b64_e32 v[56:57], v[18:19]
	s_and_saveexec_b64 s[22:23], vcc
	s_cbranch_execz .LBB667_211
; %bb.201:
	s_and_b64 vcc, exec, s[2:3]
	s_cbranch_vccnz .LBB667_208
; %bb.202:
	v_mul_lo_u32 v28, v19, s12
	v_mul_lo_u32 v29, v18, s13
	v_mad_u64_u32 v[26:27], s[24:25], v18, s12, 0
	v_add3_u32 v27, v27, v29, v28
	v_mul_lo_u32 v28, v17, s12
	v_mul_lo_u32 v29, v16, s13
	v_mad_u64_u32 v[30:31], s[24:25], v16, s12, 0
	v_add3_u32 v31, v31, v29, v28
	v_lshl_add_u64 v[28:29], v[26:27], 1, s[14:15]
	v_lshl_add_u64 v[26:27], v[30:31], 1, s[14:15]
	global_load_ushort v30, v[28:29], off
	global_load_ushort v31, v[26:27], off
	v_mov_b64_e32 v[56:57], 1
	s_waitcnt vmcnt(0)
	v_cmp_eq_u16_e32 vcc, v30, v31
	s_and_saveexec_b64 s[24:25], vcc
	s_cbranch_execz .LBB667_210
; %bb.203:
	s_add_u32 s26, s12, -1
	v_lshl_add_u64 v[26:27], v[26:27], 0, 2
	v_lshl_add_u64 v[28:29], v[28:29], 0, 2
	s_addc_u32 s27, s13, -1
	s_mov_b64 s[28:29], 0
	s_mov_b64 s[34:35], 0
                                        ; implicit-def: $sgpr30_sgpr31
	s_branch .LBB667_206
.LBB667_204:                            ;   in Loop: Header=BB667_206 Depth=1
	global_load_ushort v30, v[28:29], off
	global_load_ushort v31, v[26:27], off
	s_add_u32 s34, s34, 1
	s_addc_u32 s35, s35, 0
	s_andn2_b64 s[30:31], s[30:31], exec
	v_lshl_add_u64 v[26:27], v[26:27], 0, 2
	v_lshl_add_u64 v[28:29], v[28:29], 0, 2
	s_waitcnt vmcnt(0)
	v_cmp_ne_u16_e32 vcc, v30, v31
	s_and_b64 s[36:37], vcc, exec
	s_or_b64 s[30:31], s[30:31], s[36:37]
.LBB667_205:                            ;   in Loop: Header=BB667_206 Depth=1
	s_and_b64 s[36:37], exec, s[30:31]
	s_or_b64 s[28:29], s[36:37], s[28:29]
	v_mov_b64_e32 v[30:31], s[34:35]
	s_andn2_b64 exec, exec, s[28:29]
	s_cbranch_execz .LBB667_209
.LBB667_206:                            ; =>This Inner Loop Header: Depth=1
	s_or_b64 s[30:31], s[30:31], exec
	s_cmp_eq_u64 s[26:27], s[34:35]
	s_cbranch_scc0 .LBB667_204
; %bb.207:                              ;   in Loop: Header=BB667_206 Depth=1
                                        ; implicit-def: $vgpr26_vgpr27
                                        ; implicit-def: $vgpr28_vgpr29
	s_mov_b64 s[34:35], s[12:13]
	s_branch .LBB667_205
.LBB667_208:
	v_mov_b64_e32 v[56:57], 0
	s_branch .LBB667_211
.LBB667_209:
	s_or_b64 exec, exec, s[28:29]
	v_cmp_gt_i64_e32 vcc, s[12:13], v[30:31]
	s_mov_b32 s26, 0
	v_mov_b32_e32 v57, s26
	v_cndmask_b32_e64 v56, 0, 1, vcc
.LBB667_210:
	s_or_b64 exec, exec, s[24:25]
.LBB667_211:
	s_or_b64 exec, exec, s[22:23]
	v_add_u32_e32 v26, 7, v1
	v_cmp_gt_u32_e32 vcc, s7, v26
	v_mov_b64_e32 v[58:59], v[16:17]
	s_and_saveexec_b64 s[22:23], vcc
	s_cbranch_execz .LBB667_222
; %bb.212:
	s_and_b64 vcc, exec, s[2:3]
	s_cbranch_vccnz .LBB667_219
; %bb.213:
	v_mul_lo_u32 v28, v17, s12
	v_mul_lo_u32 v29, v16, s13
	v_mad_u64_u32 v[26:27], s[24:25], v16, s12, 0
	v_add3_u32 v27, v27, v29, v28
	v_mul_lo_u32 v28, v15, s12
	v_mul_lo_u32 v29, v14, s13
	v_mad_u64_u32 v[30:31], s[24:25], v14, s12, 0
	v_add3_u32 v31, v31, v29, v28
	v_lshl_add_u64 v[28:29], v[26:27], 1, s[14:15]
	v_lshl_add_u64 v[26:27], v[30:31], 1, s[14:15]
	global_load_ushort v30, v[28:29], off
	global_load_ushort v31, v[26:27], off
	v_mov_b64_e32 v[58:59], 1
	s_waitcnt vmcnt(0)
	v_cmp_eq_u16_e32 vcc, v30, v31
	s_and_saveexec_b64 s[24:25], vcc
	s_cbranch_execz .LBB667_221
; %bb.214:
	s_add_u32 s26, s12, -1
	v_lshl_add_u64 v[26:27], v[26:27], 0, 2
	v_lshl_add_u64 v[28:29], v[28:29], 0, 2
	s_addc_u32 s27, s13, -1
	s_mov_b64 s[28:29], 0
	s_mov_b64 s[34:35], 0
                                        ; implicit-def: $sgpr30_sgpr31
	s_branch .LBB667_217
.LBB667_215:                            ;   in Loop: Header=BB667_217 Depth=1
	global_load_ushort v30, v[28:29], off
	global_load_ushort v31, v[26:27], off
	s_add_u32 s34, s34, 1
	s_addc_u32 s35, s35, 0
	s_andn2_b64 s[30:31], s[30:31], exec
	v_lshl_add_u64 v[26:27], v[26:27], 0, 2
	v_lshl_add_u64 v[28:29], v[28:29], 0, 2
	s_waitcnt vmcnt(0)
	v_cmp_ne_u16_e32 vcc, v30, v31
	s_and_b64 s[36:37], vcc, exec
	s_or_b64 s[30:31], s[30:31], s[36:37]
.LBB667_216:                            ;   in Loop: Header=BB667_217 Depth=1
	s_and_b64 s[36:37], exec, s[30:31]
	s_or_b64 s[28:29], s[36:37], s[28:29]
	v_mov_b64_e32 v[30:31], s[34:35]
	s_andn2_b64 exec, exec, s[28:29]
	s_cbranch_execz .LBB667_220
.LBB667_217:                            ; =>This Inner Loop Header: Depth=1
	s_or_b64 s[30:31], s[30:31], exec
	s_cmp_eq_u64 s[26:27], s[34:35]
	s_cbranch_scc0 .LBB667_215
; %bb.218:                              ;   in Loop: Header=BB667_217 Depth=1
                                        ; implicit-def: $vgpr26_vgpr27
                                        ; implicit-def: $vgpr28_vgpr29
	s_mov_b64 s[34:35], s[12:13]
	s_branch .LBB667_216
.LBB667_219:
	v_mov_b64_e32 v[58:59], 0
	s_branch .LBB667_222
.LBB667_220:
	s_or_b64 exec, exec, s[28:29]
	v_cmp_gt_i64_e32 vcc, s[12:13], v[30:31]
	s_mov_b32 s26, 0
	v_mov_b32_e32 v59, s26
	v_cndmask_b32_e64 v58, 0, 1, vcc
.LBB667_221:
	s_or_b64 exec, exec, s[24:25]
.LBB667_222:
	s_or_b64 exec, exec, s[22:23]
	v_add_u32_e32 v26, 6, v1
	v_cmp_gt_u32_e32 vcc, s7, v26
	v_mov_b64_e32 v[60:61], v[14:15]
	s_and_saveexec_b64 s[22:23], vcc
	s_cbranch_execz .LBB667_233
; %bb.223:
	s_and_b64 vcc, exec, s[2:3]
	s_cbranch_vccnz .LBB667_230
; %bb.224:
	v_mul_lo_u32 v28, v15, s12
	v_mul_lo_u32 v29, v14, s13
	v_mad_u64_u32 v[26:27], s[24:25], v14, s12, 0
	v_add3_u32 v27, v27, v29, v28
	v_mul_lo_u32 v28, v13, s12
	v_mul_lo_u32 v29, v12, s13
	v_mad_u64_u32 v[30:31], s[24:25], v12, s12, 0
	v_add3_u32 v31, v31, v29, v28
	v_lshl_add_u64 v[28:29], v[26:27], 1, s[14:15]
	v_lshl_add_u64 v[26:27], v[30:31], 1, s[14:15]
	global_load_ushort v30, v[28:29], off
	global_load_ushort v31, v[26:27], off
	v_mov_b64_e32 v[60:61], 1
	s_waitcnt vmcnt(0)
	v_cmp_eq_u16_e32 vcc, v30, v31
	s_and_saveexec_b64 s[24:25], vcc
	s_cbranch_execz .LBB667_232
; %bb.225:
	s_add_u32 s26, s12, -1
	v_lshl_add_u64 v[26:27], v[26:27], 0, 2
	v_lshl_add_u64 v[28:29], v[28:29], 0, 2
	s_addc_u32 s27, s13, -1
	s_mov_b64 s[28:29], 0
	s_mov_b64 s[34:35], 0
                                        ; implicit-def: $sgpr30_sgpr31
	s_branch .LBB667_228
.LBB667_226:                            ;   in Loop: Header=BB667_228 Depth=1
	global_load_ushort v30, v[28:29], off
	global_load_ushort v31, v[26:27], off
	s_add_u32 s34, s34, 1
	s_addc_u32 s35, s35, 0
	s_andn2_b64 s[30:31], s[30:31], exec
	v_lshl_add_u64 v[26:27], v[26:27], 0, 2
	v_lshl_add_u64 v[28:29], v[28:29], 0, 2
	s_waitcnt vmcnt(0)
	v_cmp_ne_u16_e32 vcc, v30, v31
	s_and_b64 s[36:37], vcc, exec
	s_or_b64 s[30:31], s[30:31], s[36:37]
.LBB667_227:                            ;   in Loop: Header=BB667_228 Depth=1
	s_and_b64 s[36:37], exec, s[30:31]
	s_or_b64 s[28:29], s[36:37], s[28:29]
	v_mov_b64_e32 v[30:31], s[34:35]
	s_andn2_b64 exec, exec, s[28:29]
	s_cbranch_execz .LBB667_231
.LBB667_228:                            ; =>This Inner Loop Header: Depth=1
	s_or_b64 s[30:31], s[30:31], exec
	s_cmp_eq_u64 s[26:27], s[34:35]
	s_cbranch_scc0 .LBB667_226
; %bb.229:                              ;   in Loop: Header=BB667_228 Depth=1
                                        ; implicit-def: $vgpr26_vgpr27
                                        ; implicit-def: $vgpr28_vgpr29
	s_mov_b64 s[34:35], s[12:13]
	s_branch .LBB667_227
.LBB667_230:
	v_mov_b64_e32 v[60:61], 0
	s_branch .LBB667_233
.LBB667_231:
	s_or_b64 exec, exec, s[28:29]
	v_cmp_gt_i64_e32 vcc, s[12:13], v[30:31]
	s_mov_b32 s26, 0
	v_mov_b32_e32 v61, s26
	v_cndmask_b32_e64 v60, 0, 1, vcc
.LBB667_232:
	s_or_b64 exec, exec, s[24:25]
.LBB667_233:
	s_or_b64 exec, exec, s[22:23]
	v_add_u32_e32 v26, 5, v1
	v_cmp_gt_u32_e32 vcc, s7, v26
	v_mov_b64_e32 v[62:63], v[12:13]
	s_and_saveexec_b64 s[22:23], vcc
	s_cbranch_execz .LBB667_244
; %bb.234:
	s_and_b64 vcc, exec, s[2:3]
	s_cbranch_vccnz .LBB667_241
; %bb.235:
	v_mul_lo_u32 v28, v13, s12
	v_mul_lo_u32 v29, v12, s13
	v_mad_u64_u32 v[26:27], s[24:25], v12, s12, 0
	v_add3_u32 v27, v27, v29, v28
	v_mul_lo_u32 v28, v11, s12
	v_mul_lo_u32 v29, v10, s13
	v_mad_u64_u32 v[30:31], s[24:25], v10, s12, 0
	v_add3_u32 v31, v31, v29, v28
	v_lshl_add_u64 v[28:29], v[26:27], 1, s[14:15]
	v_lshl_add_u64 v[26:27], v[30:31], 1, s[14:15]
	global_load_ushort v30, v[28:29], off
	global_load_ushort v31, v[26:27], off
	v_mov_b64_e32 v[62:63], 1
	s_waitcnt vmcnt(0)
	v_cmp_eq_u16_e32 vcc, v30, v31
	s_and_saveexec_b64 s[24:25], vcc
	s_cbranch_execz .LBB667_243
; %bb.236:
	s_add_u32 s26, s12, -1
	v_lshl_add_u64 v[26:27], v[26:27], 0, 2
	v_lshl_add_u64 v[28:29], v[28:29], 0, 2
	s_addc_u32 s27, s13, -1
	s_mov_b64 s[28:29], 0
	s_mov_b64 s[34:35], 0
                                        ; implicit-def: $sgpr30_sgpr31
	s_branch .LBB667_239
.LBB667_237:                            ;   in Loop: Header=BB667_239 Depth=1
	global_load_ushort v30, v[28:29], off
	global_load_ushort v31, v[26:27], off
	s_add_u32 s34, s34, 1
	s_addc_u32 s35, s35, 0
	s_andn2_b64 s[30:31], s[30:31], exec
	v_lshl_add_u64 v[26:27], v[26:27], 0, 2
	v_lshl_add_u64 v[28:29], v[28:29], 0, 2
	s_waitcnt vmcnt(0)
	v_cmp_ne_u16_e32 vcc, v30, v31
	s_and_b64 s[36:37], vcc, exec
	s_or_b64 s[30:31], s[30:31], s[36:37]
.LBB667_238:                            ;   in Loop: Header=BB667_239 Depth=1
	s_and_b64 s[36:37], exec, s[30:31]
	s_or_b64 s[28:29], s[36:37], s[28:29]
	v_mov_b64_e32 v[30:31], s[34:35]
	s_andn2_b64 exec, exec, s[28:29]
	s_cbranch_execz .LBB667_242
.LBB667_239:                            ; =>This Inner Loop Header: Depth=1
	s_or_b64 s[30:31], s[30:31], exec
	s_cmp_eq_u64 s[26:27], s[34:35]
	s_cbranch_scc0 .LBB667_237
; %bb.240:                              ;   in Loop: Header=BB667_239 Depth=1
                                        ; implicit-def: $vgpr26_vgpr27
                                        ; implicit-def: $vgpr28_vgpr29
	s_mov_b64 s[34:35], s[12:13]
	s_branch .LBB667_238
.LBB667_241:
	v_mov_b64_e32 v[62:63], 0
	s_branch .LBB667_244
.LBB667_242:
	s_or_b64 exec, exec, s[28:29]
	v_cmp_gt_i64_e32 vcc, s[12:13], v[30:31]
	s_mov_b32 s26, 0
	v_mov_b32_e32 v63, s26
	v_cndmask_b32_e64 v62, 0, 1, vcc
.LBB667_243:
	s_or_b64 exec, exec, s[24:25]
.LBB667_244:
	s_or_b64 exec, exec, s[22:23]
	v_add_u32_e32 v26, 4, v1
	v_cmp_gt_u32_e32 vcc, s7, v26
	v_mov_b64_e32 v[64:65], v[10:11]
	s_and_saveexec_b64 s[22:23], vcc
	s_cbranch_execz .LBB667_255
; %bb.245:
	s_and_b64 vcc, exec, s[2:3]
	s_cbranch_vccnz .LBB667_252
; %bb.246:
	v_mul_lo_u32 v28, v11, s12
	v_mul_lo_u32 v29, v10, s13
	v_mad_u64_u32 v[26:27], s[24:25], v10, s12, 0
	v_add3_u32 v27, v27, v29, v28
	v_mul_lo_u32 v28, v9, s12
	v_mul_lo_u32 v29, v8, s13
	v_mad_u64_u32 v[30:31], s[24:25], v8, s12, 0
	v_add3_u32 v31, v31, v29, v28
	v_lshl_add_u64 v[28:29], v[26:27], 1, s[14:15]
	v_lshl_add_u64 v[26:27], v[30:31], 1, s[14:15]
	global_load_ushort v30, v[28:29], off
	global_load_ushort v31, v[26:27], off
	v_mov_b64_e32 v[64:65], 1
	s_waitcnt vmcnt(0)
	v_cmp_eq_u16_e32 vcc, v30, v31
	s_and_saveexec_b64 s[24:25], vcc
	s_cbranch_execz .LBB667_254
; %bb.247:
	s_add_u32 s26, s12, -1
	v_lshl_add_u64 v[26:27], v[26:27], 0, 2
	v_lshl_add_u64 v[28:29], v[28:29], 0, 2
	s_addc_u32 s27, s13, -1
	s_mov_b64 s[28:29], 0
	s_mov_b64 s[34:35], 0
                                        ; implicit-def: $sgpr30_sgpr31
	s_branch .LBB667_250
.LBB667_248:                            ;   in Loop: Header=BB667_250 Depth=1
	global_load_ushort v30, v[28:29], off
	global_load_ushort v31, v[26:27], off
	s_add_u32 s34, s34, 1
	s_addc_u32 s35, s35, 0
	s_andn2_b64 s[30:31], s[30:31], exec
	v_lshl_add_u64 v[26:27], v[26:27], 0, 2
	v_lshl_add_u64 v[28:29], v[28:29], 0, 2
	s_waitcnt vmcnt(0)
	v_cmp_ne_u16_e32 vcc, v30, v31
	s_and_b64 s[36:37], vcc, exec
	s_or_b64 s[30:31], s[30:31], s[36:37]
.LBB667_249:                            ;   in Loop: Header=BB667_250 Depth=1
	s_and_b64 s[36:37], exec, s[30:31]
	s_or_b64 s[28:29], s[36:37], s[28:29]
	v_mov_b64_e32 v[30:31], s[34:35]
	s_andn2_b64 exec, exec, s[28:29]
	s_cbranch_execz .LBB667_253
.LBB667_250:                            ; =>This Inner Loop Header: Depth=1
	s_or_b64 s[30:31], s[30:31], exec
	s_cmp_eq_u64 s[26:27], s[34:35]
	s_cbranch_scc0 .LBB667_248
; %bb.251:                              ;   in Loop: Header=BB667_250 Depth=1
                                        ; implicit-def: $vgpr26_vgpr27
                                        ; implicit-def: $vgpr28_vgpr29
	s_mov_b64 s[34:35], s[12:13]
	s_branch .LBB667_249
.LBB667_252:
	v_mov_b64_e32 v[64:65], 0
	s_branch .LBB667_255
.LBB667_253:
	s_or_b64 exec, exec, s[28:29]
	v_cmp_gt_i64_e32 vcc, s[12:13], v[30:31]
	s_mov_b32 s26, 0
	v_mov_b32_e32 v65, s26
	v_cndmask_b32_e64 v64, 0, 1, vcc
.LBB667_254:
	s_or_b64 exec, exec, s[24:25]
.LBB667_255:
	s_or_b64 exec, exec, s[22:23]
	v_add_u32_e32 v26, 3, v1
	v_cmp_gt_u32_e32 vcc, s7, v26
	v_mov_b64_e32 v[66:67], v[8:9]
	s_and_saveexec_b64 s[22:23], vcc
	s_cbranch_execz .LBB667_266
; %bb.256:
	s_and_b64 vcc, exec, s[2:3]
	s_cbranch_vccnz .LBB667_263
; %bb.257:
	v_mul_lo_u32 v28, v9, s12
	v_mul_lo_u32 v29, v8, s13
	v_mad_u64_u32 v[26:27], s[24:25], v8, s12, 0
	v_add3_u32 v27, v27, v29, v28
	v_mul_lo_u32 v28, v7, s12
	v_mul_lo_u32 v29, v6, s13
	v_mad_u64_u32 v[30:31], s[24:25], v6, s12, 0
	v_add3_u32 v31, v31, v29, v28
	v_lshl_add_u64 v[28:29], v[26:27], 1, s[14:15]
	v_lshl_add_u64 v[26:27], v[30:31], 1, s[14:15]
	global_load_ushort v30, v[28:29], off
	global_load_ushort v31, v[26:27], off
	v_mov_b64_e32 v[66:67], 1
	s_waitcnt vmcnt(0)
	v_cmp_eq_u16_e32 vcc, v30, v31
	s_and_saveexec_b64 s[24:25], vcc
	s_cbranch_execz .LBB667_265
; %bb.258:
	s_add_u32 s26, s12, -1
	v_lshl_add_u64 v[26:27], v[26:27], 0, 2
	v_lshl_add_u64 v[28:29], v[28:29], 0, 2
	s_addc_u32 s27, s13, -1
	s_mov_b64 s[28:29], 0
	s_mov_b64 s[34:35], 0
                                        ; implicit-def: $sgpr30_sgpr31
	s_branch .LBB667_261
.LBB667_259:                            ;   in Loop: Header=BB667_261 Depth=1
	global_load_ushort v30, v[28:29], off
	global_load_ushort v31, v[26:27], off
	s_add_u32 s34, s34, 1
	s_addc_u32 s35, s35, 0
	s_andn2_b64 s[30:31], s[30:31], exec
	v_lshl_add_u64 v[26:27], v[26:27], 0, 2
	v_lshl_add_u64 v[28:29], v[28:29], 0, 2
	s_waitcnt vmcnt(0)
	v_cmp_ne_u16_e32 vcc, v30, v31
	s_and_b64 s[36:37], vcc, exec
	s_or_b64 s[30:31], s[30:31], s[36:37]
.LBB667_260:                            ;   in Loop: Header=BB667_261 Depth=1
	s_and_b64 s[36:37], exec, s[30:31]
	s_or_b64 s[28:29], s[36:37], s[28:29]
	v_mov_b64_e32 v[30:31], s[34:35]
	s_andn2_b64 exec, exec, s[28:29]
	s_cbranch_execz .LBB667_264
.LBB667_261:                            ; =>This Inner Loop Header: Depth=1
	s_or_b64 s[30:31], s[30:31], exec
	s_cmp_eq_u64 s[26:27], s[34:35]
	s_cbranch_scc0 .LBB667_259
; %bb.262:                              ;   in Loop: Header=BB667_261 Depth=1
                                        ; implicit-def: $vgpr26_vgpr27
                                        ; implicit-def: $vgpr28_vgpr29
	s_mov_b64 s[34:35], s[12:13]
	s_branch .LBB667_260
.LBB667_263:
	v_mov_b64_e32 v[66:67], 0
	s_branch .LBB667_266
.LBB667_264:
	s_or_b64 exec, exec, s[28:29]
	v_cmp_gt_i64_e32 vcc, s[12:13], v[30:31]
	s_mov_b32 s26, 0
	v_mov_b32_e32 v67, s26
	v_cndmask_b32_e64 v66, 0, 1, vcc
.LBB667_265:
	s_or_b64 exec, exec, s[24:25]
.LBB667_266:
	s_or_b64 exec, exec, s[22:23]
	v_add_u32_e32 v26, 2, v1
	v_cmp_gt_u32_e32 vcc, s7, v26
	v_mov_b64_e32 v[68:69], v[6:7]
	s_and_saveexec_b64 s[22:23], vcc
	s_cbranch_execz .LBB667_277
; %bb.267:
	s_and_b64 vcc, exec, s[2:3]
	s_cbranch_vccnz .LBB667_274
; %bb.268:
	v_mul_lo_u32 v28, v7, s12
	v_mul_lo_u32 v29, v6, s13
	v_mad_u64_u32 v[26:27], s[24:25], v6, s12, 0
	v_add3_u32 v27, v27, v29, v28
	v_mul_lo_u32 v28, v5, s12
	v_mul_lo_u32 v29, v4, s13
	v_mad_u64_u32 v[30:31], s[24:25], v4, s12, 0
	v_add3_u32 v31, v31, v29, v28
	v_lshl_add_u64 v[28:29], v[26:27], 1, s[14:15]
	v_lshl_add_u64 v[26:27], v[30:31], 1, s[14:15]
	global_load_ushort v30, v[28:29], off
	global_load_ushort v31, v[26:27], off
	v_mov_b64_e32 v[68:69], 1
	s_waitcnt vmcnt(0)
	v_cmp_eq_u16_e32 vcc, v30, v31
	s_and_saveexec_b64 s[24:25], vcc
	s_cbranch_execz .LBB667_276
; %bb.269:
	s_add_u32 s26, s12, -1
	v_lshl_add_u64 v[26:27], v[26:27], 0, 2
	v_lshl_add_u64 v[28:29], v[28:29], 0, 2
	s_addc_u32 s27, s13, -1
	s_mov_b64 s[28:29], 0
	s_mov_b64 s[34:35], 0
                                        ; implicit-def: $sgpr30_sgpr31
	s_branch .LBB667_272
.LBB667_270:                            ;   in Loop: Header=BB667_272 Depth=1
	global_load_ushort v30, v[28:29], off
	global_load_ushort v31, v[26:27], off
	s_add_u32 s34, s34, 1
	s_addc_u32 s35, s35, 0
	s_andn2_b64 s[30:31], s[30:31], exec
	v_lshl_add_u64 v[26:27], v[26:27], 0, 2
	v_lshl_add_u64 v[28:29], v[28:29], 0, 2
	s_waitcnt vmcnt(0)
	v_cmp_ne_u16_e32 vcc, v30, v31
	s_and_b64 s[36:37], vcc, exec
	s_or_b64 s[30:31], s[30:31], s[36:37]
.LBB667_271:                            ;   in Loop: Header=BB667_272 Depth=1
	s_and_b64 s[36:37], exec, s[30:31]
	s_or_b64 s[28:29], s[36:37], s[28:29]
	v_mov_b64_e32 v[30:31], s[34:35]
	s_andn2_b64 exec, exec, s[28:29]
	s_cbranch_execz .LBB667_275
.LBB667_272:                            ; =>This Inner Loop Header: Depth=1
	s_or_b64 s[30:31], s[30:31], exec
	s_cmp_eq_u64 s[26:27], s[34:35]
	s_cbranch_scc0 .LBB667_270
; %bb.273:                              ;   in Loop: Header=BB667_272 Depth=1
                                        ; implicit-def: $vgpr26_vgpr27
                                        ; implicit-def: $vgpr28_vgpr29
	s_mov_b64 s[34:35], s[12:13]
	s_branch .LBB667_271
.LBB667_274:
	v_mov_b64_e32 v[68:69], 0
	s_branch .LBB667_277
.LBB667_275:
	s_or_b64 exec, exec, s[28:29]
	v_cmp_gt_i64_e32 vcc, s[12:13], v[30:31]
	s_mov_b32 s26, 0
	v_mov_b32_e32 v69, s26
	v_cndmask_b32_e64 v68, 0, 1, vcc
.LBB667_276:
	s_or_b64 exec, exec, s[24:25]
.LBB667_277:
	s_or_b64 exec, exec, s[22:23]
	v_add_u32_e32 v26, 1, v1
	v_cmp_gt_u32_e32 vcc, s7, v26
	v_mov_b64_e32 v[70:71], v[4:5]
	s_and_saveexec_b64 s[22:23], vcc
	s_cbranch_execz .LBB667_288
; %bb.278:
	s_and_b64 vcc, exec, s[2:3]
	s_cbranch_vccnz .LBB667_285
; %bb.279:
	v_mul_lo_u32 v28, v5, s12
	v_mul_lo_u32 v29, v4, s13
	v_mad_u64_u32 v[26:27], s[24:25], v4, s12, 0
	v_add3_u32 v27, v27, v29, v28
	v_mul_lo_u32 v28, v3, s12
	v_mul_lo_u32 v29, v2, s13
	v_mad_u64_u32 v[30:31], s[24:25], v2, s12, 0
	v_add3_u32 v31, v31, v29, v28
	v_lshl_add_u64 v[28:29], v[26:27], 1, s[14:15]
	v_lshl_add_u64 v[26:27], v[30:31], 1, s[14:15]
	global_load_ushort v30, v[28:29], off
	global_load_ushort v31, v[26:27], off
	v_mov_b64_e32 v[70:71], 1
	s_waitcnt vmcnt(0)
	v_cmp_eq_u16_e32 vcc, v30, v31
	s_and_saveexec_b64 s[24:25], vcc
	s_cbranch_execz .LBB667_287
; %bb.280:
	s_add_u32 s26, s12, -1
	v_lshl_add_u64 v[26:27], v[26:27], 0, 2
	v_lshl_add_u64 v[28:29], v[28:29], 0, 2
	s_addc_u32 s27, s13, -1
	s_mov_b64 s[28:29], 0
	s_mov_b64 s[34:35], 0
                                        ; implicit-def: $sgpr30_sgpr31
	s_branch .LBB667_283
.LBB667_281:                            ;   in Loop: Header=BB667_283 Depth=1
	global_load_ushort v30, v[28:29], off
	global_load_ushort v31, v[26:27], off
	s_add_u32 s34, s34, 1
	s_addc_u32 s35, s35, 0
	s_andn2_b64 s[30:31], s[30:31], exec
	v_lshl_add_u64 v[26:27], v[26:27], 0, 2
	v_lshl_add_u64 v[28:29], v[28:29], 0, 2
	s_waitcnt vmcnt(0)
	v_cmp_ne_u16_e32 vcc, v30, v31
	s_and_b64 s[36:37], vcc, exec
	s_or_b64 s[30:31], s[30:31], s[36:37]
.LBB667_282:                            ;   in Loop: Header=BB667_283 Depth=1
	s_and_b64 s[36:37], exec, s[30:31]
	s_or_b64 s[28:29], s[36:37], s[28:29]
	v_mov_b64_e32 v[30:31], s[34:35]
	s_andn2_b64 exec, exec, s[28:29]
	s_cbranch_execz .LBB667_286
.LBB667_283:                            ; =>This Inner Loop Header: Depth=1
	s_or_b64 s[30:31], s[30:31], exec
	s_cmp_eq_u64 s[26:27], s[34:35]
	s_cbranch_scc0 .LBB667_281
; %bb.284:                              ;   in Loop: Header=BB667_283 Depth=1
                                        ; implicit-def: $vgpr26_vgpr27
                                        ; implicit-def: $vgpr28_vgpr29
	s_mov_b64 s[34:35], s[12:13]
	s_branch .LBB667_282
.LBB667_285:
	v_mov_b64_e32 v[70:71], 0
	s_branch .LBB667_288
.LBB667_286:
	s_or_b64 exec, exec, s[28:29]
	v_cmp_gt_i64_e32 vcc, s[12:13], v[30:31]
	s_mov_b32 s26, 0
	v_mov_b32_e32 v71, s26
	v_cndmask_b32_e64 v70, 0, 1, vcc
.LBB667_287:
	s_or_b64 exec, exec, s[24:25]
.LBB667_288:
	s_or_b64 exec, exec, s[22:23]
	v_cmp_ne_u32_e32 vcc, 0, v0
	v_mov_b64_e32 v[26:27], s[20:21]
	s_waitcnt lgkmcnt(0)
	; wave barrier
	s_waitcnt lgkmcnt(0)
	s_and_saveexec_b64 s[20:21], vcc
	s_cbranch_execz .LBB667_290
; %bb.289:
	v_add_u32_e32 v26, -8, v48
	ds_read_b64 v[26:27], v26
.LBB667_290:
	s_or_b64 exec, exec, s[20:21]
	v_cmp_gt_u32_e32 vcc, s7, v1
                                        ; implicit-def: $sgpr24_sgpr25
	s_and_saveexec_b64 s[20:21], vcc
	s_cbranch_execz .LBB667_302
; %bb.291:
	s_and_b64 vcc, exec, s[2:3]
	s_cbranch_vccnz .LBB667_298
; %bb.292:
	v_mul_lo_u32 v1, v3, s12
	v_mul_lo_u32 v30, v2, s13
	v_mad_u64_u32 v[28:29], s[2:3], v2, s12, 0
	v_add3_u32 v29, v29, v30, v1
	s_waitcnt lgkmcnt(0)
	v_mul_lo_u32 v1, v27, s12
	v_mul_lo_u32 v30, v26, s13
	v_mad_u64_u32 v[26:27], s[2:3], v26, s12, 0
	v_add3_u32 v27, v27, v30, v1
	v_lshl_add_u64 v[28:29], v[28:29], 1, s[14:15]
	v_lshl_add_u64 v[26:27], v[26:27], 1, s[14:15]
	global_load_ushort v1, v[28:29], off
	global_load_ushort v30, v[26:27], off
	s_mov_b64 s[22:23], -1
	s_waitcnt vmcnt(0)
	v_cmp_eq_u16_e32 vcc, v1, v30
	s_and_saveexec_b64 s[2:3], vcc
	s_cbranch_execz .LBB667_300
; %bb.293:
	s_add_u32 s22, s12, -1
	v_lshl_add_u64 v[26:27], v[26:27], 0, 2
	v_lshl_add_u64 v[28:29], v[28:29], 0, 2
	s_addc_u32 s23, s13, -1
	s_mov_b64 s[24:25], 0
	s_mov_b64 s[28:29], 0
                                        ; implicit-def: $sgpr26_sgpr27
	s_branch .LBB667_296
.LBB667_294:                            ;   in Loop: Header=BB667_296 Depth=1
	global_load_ushort v1, v[28:29], off
	global_load_ushort v30, v[26:27], off
	s_add_u32 s28, s28, 1
	s_addc_u32 s29, s29, 0
	s_andn2_b64 s[26:27], s[26:27], exec
	v_lshl_add_u64 v[26:27], v[26:27], 0, 2
	v_lshl_add_u64 v[28:29], v[28:29], 0, 2
	s_waitcnt vmcnt(0)
	v_cmp_ne_u16_e32 vcc, v1, v30
	s_and_b64 s[30:31], vcc, exec
	s_or_b64 s[26:27], s[26:27], s[30:31]
.LBB667_295:                            ;   in Loop: Header=BB667_296 Depth=1
	s_and_b64 s[30:31], exec, s[26:27]
	s_or_b64 s[24:25], s[30:31], s[24:25]
	v_mov_b64_e32 v[30:31], s[28:29]
	s_andn2_b64 exec, exec, s[24:25]
	s_cbranch_execz .LBB667_299
.LBB667_296:                            ; =>This Inner Loop Header: Depth=1
	s_or_b64 s[26:27], s[26:27], exec
	s_cmp_eq_u64 s[22:23], s[28:29]
	s_cbranch_scc0 .LBB667_294
; %bb.297:                              ;   in Loop: Header=BB667_296 Depth=1
                                        ; implicit-def: $vgpr26_vgpr27
                                        ; implicit-def: $vgpr28_vgpr29
	s_mov_b64 s[28:29], s[12:13]
	s_branch .LBB667_295
.LBB667_298:
	s_mov_b64 s[22:23], 0
	s_branch .LBB667_301
.LBB667_299:
	s_or_b64 exec, exec, s[24:25]
	v_cmp_gt_i64_e32 vcc, s[12:13], v[30:31]
	s_orn2_b64 s[22:23], vcc, exec
.LBB667_300:
	s_or_b64 exec, exec, s[2:3]
.LBB667_301:
	s_and_b64 s[24:25], s[22:23], exec
	s_or_b64 s[18:19], s[18:19], exec
.LBB667_302:
	s_or_b64 exec, exec, s[20:21]
	v_mov_b64_e32 v[72:73], v[52:53]
	s_waitcnt lgkmcnt(0)
	v_mov_b64_e32 v[26:27], v[46:47]
	v_mov_b64_e32 v[82:83], v[70:71]
	;; [unrolled: 1-line block ×10, first 2 shown]
	s_branch .LBB667_572
.LBB667_303:
	s_cmp_lg_u64 s[4:5], 1
	s_cbranch_scc0 .LBB667_311
; %bb.304:
	v_mul_lo_u32 v1, v25, s12
	v_mul_lo_u32 v28, v24, s13
	s_waitcnt lgkmcnt(0)
	v_mad_u64_u32 v[26:27], s[20:21], v24, s12, 0
	v_mov_b64_e32 v[46:47], 0
	v_cmp_lt_i64_e64 s[2:3], s[12:13], 1
	v_add3_u32 v27, v27, v28, v1
	v_cmp_gt_i64_e64 s[4:5], s[12:13], 0
	s_and_b64 vcc, exec, s[2:3]
	v_lshl_add_u64 v[26:27], v[26:27], 1, s[14:15]
	v_mov_b64_e32 v[50:51], v[46:47]
	ds_write_b64 v48, v[44:45]
	s_cbranch_vccnz .LBB667_314
; %bb.305:
	v_mul_lo_u32 v1, v45, s12
	v_mul_lo_u32 v30, v44, s13
	v_mad_u64_u32 v[28:29], s[2:3], v44, s12, 0
	v_add3_u32 v29, v29, v30, v1
	v_lshl_add_u64 v[30:31], v[28:29], 1, s[14:15]
	global_load_ushort v1, v[30:31], off
	global_load_ushort v28, v[26:27], off
	v_mov_b64_e32 v[50:51], 1
	s_waitcnt vmcnt(0)
	v_cmp_eq_u16_e32 vcc, v1, v28
	s_and_saveexec_b64 s[2:3], vcc
	s_cbranch_execz .LBB667_313
; %bb.306:
	s_add_u32 s20, s12, -1
	v_lshl_add_u64 v[28:29], v[26:27], 0, 2
	v_lshl_add_u64 v[30:31], v[30:31], 0, 2
	s_addc_u32 s21, s13, -1
	s_mov_b64 s[22:23], 0
	s_mov_b64 s[26:27], 0
                                        ; implicit-def: $sgpr24_sgpr25
	s_branch .LBB667_309
.LBB667_307:                            ;   in Loop: Header=BB667_309 Depth=1
	global_load_ushort v1, v[30:31], off
	global_load_ushort v32, v[28:29], off
	s_add_u32 s26, s26, 1
	s_addc_u32 s27, s27, 0
	s_andn2_b64 s[24:25], s[24:25], exec
	v_lshl_add_u64 v[28:29], v[28:29], 0, 2
	v_lshl_add_u64 v[30:31], v[30:31], 0, 2
	s_waitcnt vmcnt(0)
	v_cmp_ne_u16_e32 vcc, v1, v32
	s_and_b64 s[28:29], vcc, exec
	s_or_b64 s[24:25], s[24:25], s[28:29]
.LBB667_308:                            ;   in Loop: Header=BB667_309 Depth=1
	s_and_b64 s[28:29], exec, s[24:25]
	s_or_b64 s[22:23], s[28:29], s[22:23]
	v_mov_b64_e32 v[32:33], s[26:27]
	s_andn2_b64 exec, exec, s[22:23]
	s_cbranch_execz .LBB667_312
.LBB667_309:                            ; =>This Inner Loop Header: Depth=1
	s_or_b64 s[24:25], s[24:25], exec
	s_cmp_eq_u64 s[20:21], s[26:27]
	s_cbranch_scc0 .LBB667_307
; %bb.310:                              ;   in Loop: Header=BB667_309 Depth=1
                                        ; implicit-def: $vgpr28_vgpr29
                                        ; implicit-def: $vgpr30_vgpr31
	s_mov_b64 s[26:27], s[12:13]
	s_branch .LBB667_308
.LBB667_311:
                                        ; implicit-def: $vgpr26_vgpr27_vgpr28_vgpr29
                                        ; implicit-def: $sgpr24_sgpr25
                                        ; implicit-def: $vgpr50_vgpr51
                                        ; implicit-def: $vgpr52_vgpr53
                                        ; implicit-def: $vgpr46_vgpr47
                                        ; implicit-def: $vgpr70_vgpr71
                                        ; implicit-def: $vgpr68_vgpr69
                                        ; implicit-def: $vgpr66_vgpr67
                                        ; implicit-def: $vgpr64_vgpr65
                                        ; implicit-def: $vgpr62_vgpr63
                                        ; implicit-def: $vgpr60_vgpr61
                                        ; implicit-def: $vgpr58_vgpr59
                                        ; implicit-def: $vgpr56_vgpr57
                                        ; implicit-def: $vgpr54_vgpr55
                                        ; implicit-def: $vgpr72_vgpr73
                                        ; implicit-def: $vgpr82_vgpr83
                                        ; implicit-def: $vgpr74_vgpr75
                                        ; implicit-def: $vgpr76_vgpr77
                                        ; implicit-def: $vgpr78_vgpr79
                                        ; implicit-def: $vgpr80_vgpr81
                                        ; implicit-def: $vgpr28_vgpr29_vgpr30_vgpr31
                                        ; implicit-def: $vgpr32_vgpr33_vgpr34_vgpr35
                                        ; implicit-def: $vgpr36_vgpr37_vgpr38_vgpr39
                                        ; implicit-def: $vgpr40_vgpr41_vgpr42_vgpr43
	s_cbranch_execnz .LBB667_427
	s_branch .LBB667_572
.LBB667_312:
	s_or_b64 exec, exec, s[22:23]
	v_cmp_gt_i64_e32 vcc, s[12:13], v[32:33]
	s_mov_b32 s7, 0
	v_mov_b32_e32 v51, s7
	v_cndmask_b32_e64 v50, 0, 1, vcc
.LBB667_313:
	s_or_b64 exec, exec, s[2:3]
.LBB667_314:
	v_mul_lo_u32 v1, v23, s12
	v_mul_lo_u32 v30, v22, s13
	v_mad_u64_u32 v[28:29], s[2:3], v22, s12, 0
	v_add3_u32 v29, v29, v30, v1
	v_cndmask_b32_e64 v1, 0, 1, s[4:5]
	v_cmp_ne_u32_e64 s[2:3], 1, v1
	s_andn2_b64 vcc, exec, s[4:5]
	v_lshl_add_u64 v[28:29], v[28:29], 1, s[14:15]
	v_mov_b64_e32 v[52:53], v[46:47]
	s_cbranch_vccnz .LBB667_323
; %bb.315:
	global_load_ushort v1, v[26:27], off
	global_load_ushort v30, v[28:29], off
	v_mov_b64_e32 v[52:53], 1
	s_waitcnt vmcnt(0)
	v_cmp_eq_u16_e32 vcc, v1, v30
	s_and_saveexec_b64 s[4:5], vcc
	s_cbranch_execz .LBB667_322
; %bb.316:
	s_add_u32 s20, s12, -1
	v_lshl_add_u64 v[30:31], v[28:29], 0, 2
	v_lshl_add_u64 v[26:27], v[26:27], 0, 2
	s_addc_u32 s21, s13, -1
	s_mov_b64 s[22:23], 0
	s_mov_b64 s[26:27], 0
                                        ; implicit-def: $sgpr24_sgpr25
	s_branch .LBB667_319
.LBB667_317:                            ;   in Loop: Header=BB667_319 Depth=1
	global_load_ushort v1, v[26:27], off
	global_load_ushort v32, v[30:31], off
	s_add_u32 s26, s26, 1
	s_addc_u32 s27, s27, 0
	s_andn2_b64 s[24:25], s[24:25], exec
	v_lshl_add_u64 v[30:31], v[30:31], 0, 2
	v_lshl_add_u64 v[26:27], v[26:27], 0, 2
	s_waitcnt vmcnt(0)
	v_cmp_ne_u16_e32 vcc, v1, v32
	s_and_b64 s[28:29], vcc, exec
	s_or_b64 s[24:25], s[24:25], s[28:29]
.LBB667_318:                            ;   in Loop: Header=BB667_319 Depth=1
	s_and_b64 s[28:29], exec, s[24:25]
	s_or_b64 s[22:23], s[28:29], s[22:23]
	v_mov_b64_e32 v[32:33], s[26:27]
	s_andn2_b64 exec, exec, s[22:23]
	s_cbranch_execz .LBB667_321
.LBB667_319:                            ; =>This Inner Loop Header: Depth=1
	s_or_b64 s[24:25], s[24:25], exec
	s_cmp_eq_u64 s[20:21], s[26:27]
	s_cbranch_scc0 .LBB667_317
; %bb.320:                              ;   in Loop: Header=BB667_319 Depth=1
                                        ; implicit-def: $vgpr30_vgpr31
                                        ; implicit-def: $vgpr26_vgpr27
	s_mov_b64 s[26:27], s[12:13]
	s_branch .LBB667_318
.LBB667_321:
	s_or_b64 exec, exec, s[22:23]
	v_cmp_gt_i64_e32 vcc, s[12:13], v[32:33]
	s_mov_b32 s7, 0
	v_mov_b32_e32 v53, s7
	v_cndmask_b32_e64 v52, 0, 1, vcc
.LBB667_322:
	s_or_b64 exec, exec, s[4:5]
.LBB667_323:
	v_mul_lo_u32 v1, v21, s12
	v_mul_lo_u32 v30, v20, s13
	v_mad_u64_u32 v[26:27], s[4:5], v20, s12, 0
	v_add3_u32 v27, v27, v30, v1
	s_and_b64 vcc, exec, s[2:3]
	v_lshl_add_u64 v[26:27], v[26:27], 1, s[14:15]
	s_cbranch_vccnz .LBB667_332
; %bb.324:
	global_load_ushort v1, v[28:29], off
	global_load_ushort v30, v[26:27], off
	v_mov_b64_e32 v[46:47], 1
	s_waitcnt vmcnt(0)
	v_cmp_eq_u16_e32 vcc, v1, v30
	s_and_saveexec_b64 s[4:5], vcc
	s_cbranch_execz .LBB667_331
; %bb.325:
	s_add_u32 s20, s12, -1
	v_lshl_add_u64 v[30:31], v[26:27], 0, 2
	v_lshl_add_u64 v[28:29], v[28:29], 0, 2
	s_addc_u32 s21, s13, -1
	s_mov_b64 s[22:23], 0
	s_mov_b64 s[26:27], 0
                                        ; implicit-def: $sgpr24_sgpr25
	s_branch .LBB667_328
.LBB667_326:                            ;   in Loop: Header=BB667_328 Depth=1
	global_load_ushort v1, v[28:29], off
	global_load_ushort v32, v[30:31], off
	s_add_u32 s26, s26, 1
	s_addc_u32 s27, s27, 0
	s_andn2_b64 s[24:25], s[24:25], exec
	v_lshl_add_u64 v[30:31], v[30:31], 0, 2
	v_lshl_add_u64 v[28:29], v[28:29], 0, 2
	s_waitcnt vmcnt(0)
	v_cmp_ne_u16_e32 vcc, v1, v32
	s_and_b64 s[28:29], vcc, exec
	s_or_b64 s[24:25], s[24:25], s[28:29]
.LBB667_327:                            ;   in Loop: Header=BB667_328 Depth=1
	s_and_b64 s[28:29], exec, s[24:25]
	s_or_b64 s[22:23], s[28:29], s[22:23]
	v_mov_b64_e32 v[32:33], s[26:27]
	s_andn2_b64 exec, exec, s[22:23]
	s_cbranch_execz .LBB667_330
.LBB667_328:                            ; =>This Inner Loop Header: Depth=1
	s_or_b64 s[24:25], s[24:25], exec
	s_cmp_eq_u64 s[20:21], s[26:27]
	s_cbranch_scc0 .LBB667_326
; %bb.329:                              ;   in Loop: Header=BB667_328 Depth=1
                                        ; implicit-def: $vgpr30_vgpr31
                                        ; implicit-def: $vgpr28_vgpr29
	s_mov_b64 s[26:27], s[12:13]
	s_branch .LBB667_327
.LBB667_330:
	s_or_b64 exec, exec, s[22:23]
	v_cmp_gt_i64_e32 vcc, s[12:13], v[32:33]
	s_mov_b32 s7, 0
	v_mov_b32_e32 v47, s7
	v_cndmask_b32_e64 v46, 0, 1, vcc
.LBB667_331:
	s_or_b64 exec, exec, s[4:5]
.LBB667_332:
	v_mul_lo_u32 v1, v19, s12
	v_mul_lo_u32 v30, v18, s13
	v_mad_u64_u32 v[28:29], s[4:5], v18, s12, 0
	v_add3_u32 v29, v29, v30, v1
	v_mov_b64_e32 v[56:57], 0
	s_and_b64 vcc, exec, s[2:3]
	v_lshl_add_u64 v[28:29], v[28:29], 1, s[14:15]
	v_mov_b64_e32 v[54:55], v[56:57]
	s_cbranch_vccnz .LBB667_341
; %bb.333:
	global_load_ushort v1, v[26:27], off
	global_load_ushort v30, v[28:29], off
	v_mov_b64_e32 v[54:55], 1
	s_waitcnt vmcnt(0)
	v_cmp_eq_u16_e32 vcc, v1, v30
	s_and_saveexec_b64 s[4:5], vcc
	s_cbranch_execz .LBB667_340
; %bb.334:
	s_add_u32 s20, s12, -1
	v_lshl_add_u64 v[30:31], v[28:29], 0, 2
	v_lshl_add_u64 v[26:27], v[26:27], 0, 2
	s_addc_u32 s21, s13, -1
	s_mov_b64 s[22:23], 0
	s_mov_b64 s[26:27], 0
                                        ; implicit-def: $sgpr24_sgpr25
	s_branch .LBB667_337
.LBB667_335:                            ;   in Loop: Header=BB667_337 Depth=1
	global_load_ushort v1, v[26:27], off
	global_load_ushort v32, v[30:31], off
	s_add_u32 s26, s26, 1
	s_addc_u32 s27, s27, 0
	s_andn2_b64 s[24:25], s[24:25], exec
	v_lshl_add_u64 v[30:31], v[30:31], 0, 2
	v_lshl_add_u64 v[26:27], v[26:27], 0, 2
	s_waitcnt vmcnt(0)
	v_cmp_ne_u16_e32 vcc, v1, v32
	s_and_b64 s[28:29], vcc, exec
	s_or_b64 s[24:25], s[24:25], s[28:29]
.LBB667_336:                            ;   in Loop: Header=BB667_337 Depth=1
	s_and_b64 s[28:29], exec, s[24:25]
	s_or_b64 s[22:23], s[28:29], s[22:23]
	v_mov_b64_e32 v[32:33], s[26:27]
	s_andn2_b64 exec, exec, s[22:23]
	s_cbranch_execz .LBB667_339
.LBB667_337:                            ; =>This Inner Loop Header: Depth=1
	s_or_b64 s[24:25], s[24:25], exec
	s_cmp_eq_u64 s[20:21], s[26:27]
	s_cbranch_scc0 .LBB667_335
; %bb.338:                              ;   in Loop: Header=BB667_337 Depth=1
                                        ; implicit-def: $vgpr30_vgpr31
                                        ; implicit-def: $vgpr26_vgpr27
	s_mov_b64 s[26:27], s[12:13]
	s_branch .LBB667_336
.LBB667_339:
	s_or_b64 exec, exec, s[22:23]
	v_cmp_gt_i64_e32 vcc, s[12:13], v[32:33]
	s_mov_b32 s7, 0
	v_mov_b32_e32 v55, s7
	v_cndmask_b32_e64 v54, 0, 1, vcc
.LBB667_340:
	s_or_b64 exec, exec, s[4:5]
.LBB667_341:
	v_mul_lo_u32 v1, v17, s12
	v_mul_lo_u32 v30, v16, s13
	v_mad_u64_u32 v[26:27], s[4:5], v16, s12, 0
	v_add3_u32 v27, v27, v30, v1
	s_and_b64 vcc, exec, s[2:3]
	v_lshl_add_u64 v[26:27], v[26:27], 1, s[14:15]
	s_cbranch_vccnz .LBB667_350
; %bb.342:
	global_load_ushort v1, v[28:29], off
	global_load_ushort v30, v[26:27], off
	v_mov_b64_e32 v[56:57], 1
	s_waitcnt vmcnt(0)
	v_cmp_eq_u16_e32 vcc, v1, v30
	s_and_saveexec_b64 s[4:5], vcc
	s_cbranch_execz .LBB667_349
; %bb.343:
	s_add_u32 s20, s12, -1
	v_lshl_add_u64 v[30:31], v[26:27], 0, 2
	v_lshl_add_u64 v[28:29], v[28:29], 0, 2
	s_addc_u32 s21, s13, -1
	s_mov_b64 s[22:23], 0
	s_mov_b64 s[26:27], 0
                                        ; implicit-def: $sgpr24_sgpr25
	s_branch .LBB667_346
.LBB667_344:                            ;   in Loop: Header=BB667_346 Depth=1
	global_load_ushort v1, v[28:29], off
	global_load_ushort v32, v[30:31], off
	s_add_u32 s26, s26, 1
	s_addc_u32 s27, s27, 0
	s_andn2_b64 s[24:25], s[24:25], exec
	v_lshl_add_u64 v[30:31], v[30:31], 0, 2
	v_lshl_add_u64 v[28:29], v[28:29], 0, 2
	s_waitcnt vmcnt(0)
	v_cmp_ne_u16_e32 vcc, v1, v32
	s_and_b64 s[28:29], vcc, exec
	s_or_b64 s[24:25], s[24:25], s[28:29]
.LBB667_345:                            ;   in Loop: Header=BB667_346 Depth=1
	s_and_b64 s[28:29], exec, s[24:25]
	s_or_b64 s[22:23], s[28:29], s[22:23]
	v_mov_b64_e32 v[32:33], s[26:27]
	s_andn2_b64 exec, exec, s[22:23]
	s_cbranch_execz .LBB667_348
.LBB667_346:                            ; =>This Inner Loop Header: Depth=1
	s_or_b64 s[24:25], s[24:25], exec
	s_cmp_eq_u64 s[20:21], s[26:27]
	s_cbranch_scc0 .LBB667_344
; %bb.347:                              ;   in Loop: Header=BB667_346 Depth=1
                                        ; implicit-def: $vgpr30_vgpr31
                                        ; implicit-def: $vgpr28_vgpr29
	s_mov_b64 s[26:27], s[12:13]
	s_branch .LBB667_345
.LBB667_348:
	s_or_b64 exec, exec, s[22:23]
	v_cmp_gt_i64_e32 vcc, s[12:13], v[32:33]
	s_mov_b32 s7, 0
	v_mov_b32_e32 v57, s7
	v_cndmask_b32_e64 v56, 0, 1, vcc
.LBB667_349:
	s_or_b64 exec, exec, s[4:5]
.LBB667_350:
	v_mul_lo_u32 v1, v15, s12
	v_mul_lo_u32 v30, v14, s13
	v_mad_u64_u32 v[28:29], s[4:5], v14, s12, 0
	v_add3_u32 v29, v29, v30, v1
	v_mov_b64_e32 v[60:61], 0
	s_and_b64 vcc, exec, s[2:3]
	v_lshl_add_u64 v[28:29], v[28:29], 1, s[14:15]
	v_mov_b64_e32 v[58:59], v[60:61]
	s_cbranch_vccnz .LBB667_359
; %bb.351:
	global_load_ushort v1, v[26:27], off
	global_load_ushort v30, v[28:29], off
	v_mov_b64_e32 v[58:59], 1
	s_waitcnt vmcnt(0)
	v_cmp_eq_u16_e32 vcc, v1, v30
	s_and_saveexec_b64 s[4:5], vcc
	s_cbranch_execz .LBB667_358
; %bb.352:
	s_add_u32 s20, s12, -1
	v_lshl_add_u64 v[30:31], v[28:29], 0, 2
	v_lshl_add_u64 v[26:27], v[26:27], 0, 2
	s_addc_u32 s21, s13, -1
	s_mov_b64 s[22:23], 0
	s_mov_b64 s[26:27], 0
                                        ; implicit-def: $sgpr24_sgpr25
	s_branch .LBB667_355
.LBB667_353:                            ;   in Loop: Header=BB667_355 Depth=1
	global_load_ushort v1, v[26:27], off
	global_load_ushort v32, v[30:31], off
	s_add_u32 s26, s26, 1
	s_addc_u32 s27, s27, 0
	s_andn2_b64 s[24:25], s[24:25], exec
	v_lshl_add_u64 v[30:31], v[30:31], 0, 2
	v_lshl_add_u64 v[26:27], v[26:27], 0, 2
	s_waitcnt vmcnt(0)
	v_cmp_ne_u16_e32 vcc, v1, v32
	s_and_b64 s[28:29], vcc, exec
	s_or_b64 s[24:25], s[24:25], s[28:29]
.LBB667_354:                            ;   in Loop: Header=BB667_355 Depth=1
	s_and_b64 s[28:29], exec, s[24:25]
	s_or_b64 s[22:23], s[28:29], s[22:23]
	v_mov_b64_e32 v[32:33], s[26:27]
	s_andn2_b64 exec, exec, s[22:23]
	s_cbranch_execz .LBB667_357
.LBB667_355:                            ; =>This Inner Loop Header: Depth=1
	s_or_b64 s[24:25], s[24:25], exec
	s_cmp_eq_u64 s[20:21], s[26:27]
	s_cbranch_scc0 .LBB667_353
; %bb.356:                              ;   in Loop: Header=BB667_355 Depth=1
                                        ; implicit-def: $vgpr30_vgpr31
                                        ; implicit-def: $vgpr26_vgpr27
	s_mov_b64 s[26:27], s[12:13]
	s_branch .LBB667_354
.LBB667_357:
	s_or_b64 exec, exec, s[22:23]
	v_cmp_gt_i64_e32 vcc, s[12:13], v[32:33]
	s_mov_b32 s7, 0
	v_mov_b32_e32 v59, s7
	v_cndmask_b32_e64 v58, 0, 1, vcc
.LBB667_358:
	s_or_b64 exec, exec, s[4:5]
.LBB667_359:
	v_mul_lo_u32 v1, v13, s12
	v_mul_lo_u32 v30, v12, s13
	v_mad_u64_u32 v[26:27], s[4:5], v12, s12, 0
	v_add3_u32 v27, v27, v30, v1
	s_and_b64 vcc, exec, s[2:3]
	v_lshl_add_u64 v[26:27], v[26:27], 1, s[14:15]
	s_cbranch_vccnz .LBB667_368
; %bb.360:
	global_load_ushort v1, v[28:29], off
	global_load_ushort v30, v[26:27], off
	v_mov_b64_e32 v[60:61], 1
	s_waitcnt vmcnt(0)
	v_cmp_eq_u16_e32 vcc, v1, v30
	s_and_saveexec_b64 s[4:5], vcc
	s_cbranch_execz .LBB667_367
; %bb.361:
	s_add_u32 s20, s12, -1
	v_lshl_add_u64 v[30:31], v[26:27], 0, 2
	v_lshl_add_u64 v[28:29], v[28:29], 0, 2
	s_addc_u32 s21, s13, -1
	s_mov_b64 s[22:23], 0
	s_mov_b64 s[26:27], 0
                                        ; implicit-def: $sgpr24_sgpr25
	s_branch .LBB667_364
.LBB667_362:                            ;   in Loop: Header=BB667_364 Depth=1
	global_load_ushort v1, v[28:29], off
	global_load_ushort v32, v[30:31], off
	s_add_u32 s26, s26, 1
	s_addc_u32 s27, s27, 0
	s_andn2_b64 s[24:25], s[24:25], exec
	v_lshl_add_u64 v[30:31], v[30:31], 0, 2
	v_lshl_add_u64 v[28:29], v[28:29], 0, 2
	s_waitcnt vmcnt(0)
	v_cmp_ne_u16_e32 vcc, v1, v32
	s_and_b64 s[28:29], vcc, exec
	s_or_b64 s[24:25], s[24:25], s[28:29]
.LBB667_363:                            ;   in Loop: Header=BB667_364 Depth=1
	s_and_b64 s[28:29], exec, s[24:25]
	s_or_b64 s[22:23], s[28:29], s[22:23]
	v_mov_b64_e32 v[32:33], s[26:27]
	s_andn2_b64 exec, exec, s[22:23]
	s_cbranch_execz .LBB667_366
.LBB667_364:                            ; =>This Inner Loop Header: Depth=1
	s_or_b64 s[24:25], s[24:25], exec
	s_cmp_eq_u64 s[20:21], s[26:27]
	s_cbranch_scc0 .LBB667_362
; %bb.365:                              ;   in Loop: Header=BB667_364 Depth=1
                                        ; implicit-def: $vgpr30_vgpr31
                                        ; implicit-def: $vgpr28_vgpr29
	s_mov_b64 s[26:27], s[12:13]
	s_branch .LBB667_363
.LBB667_366:
	s_or_b64 exec, exec, s[22:23]
	v_cmp_gt_i64_e32 vcc, s[12:13], v[32:33]
	s_mov_b32 s7, 0
	v_mov_b32_e32 v61, s7
	v_cndmask_b32_e64 v60, 0, 1, vcc
.LBB667_367:
	s_or_b64 exec, exec, s[4:5]
.LBB667_368:
	v_mul_lo_u32 v1, v11, s12
	v_mul_lo_u32 v30, v10, s13
	v_mad_u64_u32 v[28:29], s[4:5], v10, s12, 0
	v_add3_u32 v29, v29, v30, v1
	v_mov_b64_e32 v[64:65], 0
	s_and_b64 vcc, exec, s[2:3]
	v_lshl_add_u64 v[28:29], v[28:29], 1, s[14:15]
	v_mov_b64_e32 v[62:63], v[64:65]
	s_cbranch_vccnz .LBB667_377
; %bb.369:
	global_load_ushort v1, v[26:27], off
	global_load_ushort v30, v[28:29], off
	v_mov_b64_e32 v[62:63], 1
	s_waitcnt vmcnt(0)
	v_cmp_eq_u16_e32 vcc, v1, v30
	s_and_saveexec_b64 s[4:5], vcc
	s_cbranch_execz .LBB667_376
; %bb.370:
	s_add_u32 s20, s12, -1
	v_lshl_add_u64 v[30:31], v[28:29], 0, 2
	v_lshl_add_u64 v[26:27], v[26:27], 0, 2
	s_addc_u32 s21, s13, -1
	s_mov_b64 s[22:23], 0
	s_mov_b64 s[26:27], 0
                                        ; implicit-def: $sgpr24_sgpr25
	s_branch .LBB667_373
.LBB667_371:                            ;   in Loop: Header=BB667_373 Depth=1
	global_load_ushort v1, v[26:27], off
	global_load_ushort v32, v[30:31], off
	s_add_u32 s26, s26, 1
	s_addc_u32 s27, s27, 0
	s_andn2_b64 s[24:25], s[24:25], exec
	v_lshl_add_u64 v[30:31], v[30:31], 0, 2
	v_lshl_add_u64 v[26:27], v[26:27], 0, 2
	s_waitcnt vmcnt(0)
	v_cmp_ne_u16_e32 vcc, v1, v32
	s_and_b64 s[28:29], vcc, exec
	s_or_b64 s[24:25], s[24:25], s[28:29]
.LBB667_372:                            ;   in Loop: Header=BB667_373 Depth=1
	s_and_b64 s[28:29], exec, s[24:25]
	s_or_b64 s[22:23], s[28:29], s[22:23]
	v_mov_b64_e32 v[32:33], s[26:27]
	s_andn2_b64 exec, exec, s[22:23]
	s_cbranch_execz .LBB667_375
.LBB667_373:                            ; =>This Inner Loop Header: Depth=1
	s_or_b64 s[24:25], s[24:25], exec
	s_cmp_eq_u64 s[20:21], s[26:27]
	s_cbranch_scc0 .LBB667_371
; %bb.374:                              ;   in Loop: Header=BB667_373 Depth=1
                                        ; implicit-def: $vgpr30_vgpr31
                                        ; implicit-def: $vgpr26_vgpr27
	s_mov_b64 s[26:27], s[12:13]
	s_branch .LBB667_372
.LBB667_375:
	s_or_b64 exec, exec, s[22:23]
	v_cmp_gt_i64_e32 vcc, s[12:13], v[32:33]
	s_mov_b32 s7, 0
	v_mov_b32_e32 v63, s7
	v_cndmask_b32_e64 v62, 0, 1, vcc
.LBB667_376:
	s_or_b64 exec, exec, s[4:5]
.LBB667_377:
	v_mul_lo_u32 v1, v9, s12
	v_mul_lo_u32 v30, v8, s13
	v_mad_u64_u32 v[26:27], s[4:5], v8, s12, 0
	v_add3_u32 v27, v27, v30, v1
	s_and_b64 vcc, exec, s[2:3]
	v_lshl_add_u64 v[26:27], v[26:27], 1, s[14:15]
	s_cbranch_vccnz .LBB667_386
; %bb.378:
	global_load_ushort v1, v[28:29], off
	global_load_ushort v30, v[26:27], off
	v_mov_b64_e32 v[64:65], 1
	s_waitcnt vmcnt(0)
	v_cmp_eq_u16_e32 vcc, v1, v30
	s_and_saveexec_b64 s[4:5], vcc
	s_cbranch_execz .LBB667_385
; %bb.379:
	s_add_u32 s20, s12, -1
	v_lshl_add_u64 v[30:31], v[26:27], 0, 2
	v_lshl_add_u64 v[28:29], v[28:29], 0, 2
	s_addc_u32 s21, s13, -1
	s_mov_b64 s[22:23], 0
	s_mov_b64 s[26:27], 0
                                        ; implicit-def: $sgpr24_sgpr25
	s_branch .LBB667_382
.LBB667_380:                            ;   in Loop: Header=BB667_382 Depth=1
	global_load_ushort v1, v[28:29], off
	global_load_ushort v32, v[30:31], off
	s_add_u32 s26, s26, 1
	s_addc_u32 s27, s27, 0
	s_andn2_b64 s[24:25], s[24:25], exec
	v_lshl_add_u64 v[30:31], v[30:31], 0, 2
	v_lshl_add_u64 v[28:29], v[28:29], 0, 2
	s_waitcnt vmcnt(0)
	v_cmp_ne_u16_e32 vcc, v1, v32
	s_and_b64 s[28:29], vcc, exec
	s_or_b64 s[24:25], s[24:25], s[28:29]
.LBB667_381:                            ;   in Loop: Header=BB667_382 Depth=1
	s_and_b64 s[28:29], exec, s[24:25]
	s_or_b64 s[22:23], s[28:29], s[22:23]
	v_mov_b64_e32 v[32:33], s[26:27]
	s_andn2_b64 exec, exec, s[22:23]
	s_cbranch_execz .LBB667_384
.LBB667_382:                            ; =>This Inner Loop Header: Depth=1
	s_or_b64 s[24:25], s[24:25], exec
	s_cmp_eq_u64 s[20:21], s[26:27]
	s_cbranch_scc0 .LBB667_380
; %bb.383:                              ;   in Loop: Header=BB667_382 Depth=1
                                        ; implicit-def: $vgpr30_vgpr31
                                        ; implicit-def: $vgpr28_vgpr29
	s_mov_b64 s[26:27], s[12:13]
	s_branch .LBB667_381
.LBB667_384:
	s_or_b64 exec, exec, s[22:23]
	v_cmp_gt_i64_e32 vcc, s[12:13], v[32:33]
	s_mov_b32 s7, 0
	v_mov_b32_e32 v65, s7
	v_cndmask_b32_e64 v64, 0, 1, vcc
.LBB667_385:
	s_or_b64 exec, exec, s[4:5]
.LBB667_386:
	v_mul_lo_u32 v1, v7, s12
	v_mul_lo_u32 v30, v6, s13
	v_mad_u64_u32 v[28:29], s[4:5], v6, s12, 0
	v_add3_u32 v29, v29, v30, v1
	v_mov_b64_e32 v[68:69], 0
	s_and_b64 vcc, exec, s[2:3]
	v_lshl_add_u64 v[28:29], v[28:29], 1, s[14:15]
	v_mov_b64_e32 v[66:67], v[68:69]
	s_cbranch_vccnz .LBB667_395
; %bb.387:
	global_load_ushort v1, v[26:27], off
	global_load_ushort v30, v[28:29], off
	v_mov_b64_e32 v[66:67], 1
	s_waitcnt vmcnt(0)
	v_cmp_eq_u16_e32 vcc, v1, v30
	s_and_saveexec_b64 s[4:5], vcc
	s_cbranch_execz .LBB667_394
; %bb.388:
	s_add_u32 s20, s12, -1
	v_lshl_add_u64 v[30:31], v[28:29], 0, 2
	v_lshl_add_u64 v[26:27], v[26:27], 0, 2
	s_addc_u32 s21, s13, -1
	s_mov_b64 s[22:23], 0
	s_mov_b64 s[26:27], 0
                                        ; implicit-def: $sgpr24_sgpr25
	s_branch .LBB667_391
.LBB667_389:                            ;   in Loop: Header=BB667_391 Depth=1
	global_load_ushort v1, v[26:27], off
	global_load_ushort v32, v[30:31], off
	s_add_u32 s26, s26, 1
	s_addc_u32 s27, s27, 0
	s_andn2_b64 s[24:25], s[24:25], exec
	v_lshl_add_u64 v[30:31], v[30:31], 0, 2
	v_lshl_add_u64 v[26:27], v[26:27], 0, 2
	s_waitcnt vmcnt(0)
	v_cmp_ne_u16_e32 vcc, v1, v32
	s_and_b64 s[28:29], vcc, exec
	s_or_b64 s[24:25], s[24:25], s[28:29]
.LBB667_390:                            ;   in Loop: Header=BB667_391 Depth=1
	s_and_b64 s[28:29], exec, s[24:25]
	s_or_b64 s[22:23], s[28:29], s[22:23]
	v_mov_b64_e32 v[32:33], s[26:27]
	s_andn2_b64 exec, exec, s[22:23]
	s_cbranch_execz .LBB667_393
.LBB667_391:                            ; =>This Inner Loop Header: Depth=1
	s_or_b64 s[24:25], s[24:25], exec
	s_cmp_eq_u64 s[20:21], s[26:27]
	s_cbranch_scc0 .LBB667_389
; %bb.392:                              ;   in Loop: Header=BB667_391 Depth=1
                                        ; implicit-def: $vgpr30_vgpr31
                                        ; implicit-def: $vgpr26_vgpr27
	s_mov_b64 s[26:27], s[12:13]
	s_branch .LBB667_390
.LBB667_393:
	s_or_b64 exec, exec, s[22:23]
	v_cmp_gt_i64_e32 vcc, s[12:13], v[32:33]
	s_mov_b32 s7, 0
	v_mov_b32_e32 v67, s7
	v_cndmask_b32_e64 v66, 0, 1, vcc
.LBB667_394:
	s_or_b64 exec, exec, s[4:5]
.LBB667_395:
	v_mul_lo_u32 v1, v5, s12
	v_mul_lo_u32 v30, v4, s13
	v_mad_u64_u32 v[26:27], s[4:5], v4, s12, 0
	v_add3_u32 v27, v27, v30, v1
	s_and_b64 vcc, exec, s[2:3]
	v_lshl_add_u64 v[26:27], v[26:27], 1, s[14:15]
	s_cbranch_vccnz .LBB667_404
; %bb.396:
	global_load_ushort v1, v[28:29], off
	global_load_ushort v30, v[26:27], off
	v_mov_b64_e32 v[68:69], 1
	s_waitcnt vmcnt(0)
	v_cmp_eq_u16_e32 vcc, v1, v30
	s_and_saveexec_b64 s[4:5], vcc
	s_cbranch_execz .LBB667_403
; %bb.397:
	s_add_u32 s20, s12, -1
	v_lshl_add_u64 v[30:31], v[26:27], 0, 2
	v_lshl_add_u64 v[28:29], v[28:29], 0, 2
	s_addc_u32 s21, s13, -1
	s_mov_b64 s[22:23], 0
	s_mov_b64 s[26:27], 0
                                        ; implicit-def: $sgpr24_sgpr25
	s_branch .LBB667_400
.LBB667_398:                            ;   in Loop: Header=BB667_400 Depth=1
	global_load_ushort v1, v[28:29], off
	global_load_ushort v32, v[30:31], off
	s_add_u32 s26, s26, 1
	s_addc_u32 s27, s27, 0
	s_andn2_b64 s[24:25], s[24:25], exec
	v_lshl_add_u64 v[30:31], v[30:31], 0, 2
	v_lshl_add_u64 v[28:29], v[28:29], 0, 2
	s_waitcnt vmcnt(0)
	v_cmp_ne_u16_e32 vcc, v1, v32
	s_and_b64 s[28:29], vcc, exec
	s_or_b64 s[24:25], s[24:25], s[28:29]
.LBB667_399:                            ;   in Loop: Header=BB667_400 Depth=1
	s_and_b64 s[28:29], exec, s[24:25]
	s_or_b64 s[22:23], s[28:29], s[22:23]
	v_mov_b64_e32 v[32:33], s[26:27]
	s_andn2_b64 exec, exec, s[22:23]
	s_cbranch_execz .LBB667_402
.LBB667_400:                            ; =>This Inner Loop Header: Depth=1
	s_or_b64 s[24:25], s[24:25], exec
	s_cmp_eq_u64 s[20:21], s[26:27]
	s_cbranch_scc0 .LBB667_398
; %bb.401:                              ;   in Loop: Header=BB667_400 Depth=1
                                        ; implicit-def: $vgpr30_vgpr31
                                        ; implicit-def: $vgpr28_vgpr29
	s_mov_b64 s[26:27], s[12:13]
	s_branch .LBB667_399
.LBB667_402:
	s_or_b64 exec, exec, s[22:23]
	v_cmp_gt_i64_e32 vcc, s[12:13], v[32:33]
	s_mov_b32 s7, 0
	v_mov_b32_e32 v69, s7
	v_cndmask_b32_e64 v68, 0, 1, vcc
.LBB667_403:
	s_or_b64 exec, exec, s[4:5]
.LBB667_404:
	s_and_b64 vcc, exec, s[2:3]
	s_cbranch_vccnz .LBB667_411
; %bb.405:
	v_mul_lo_u32 v1, v3, s12
	v_mul_lo_u32 v30, v2, s13
	v_mad_u64_u32 v[28:29], s[4:5], v2, s12, 0
	v_add3_u32 v29, v29, v30, v1
	v_lshl_add_u64 v[28:29], v[28:29], 1, s[14:15]
	global_load_ushort v1, v[26:27], off
	global_load_ushort v30, v[28:29], off
	v_mov_b64_e32 v[70:71], 1
	s_waitcnt vmcnt(0)
	v_cmp_eq_u16_e32 vcc, v1, v30
	s_and_saveexec_b64 s[4:5], vcc
	s_cbranch_execz .LBB667_413
; %bb.406:
	s_add_u32 s20, s12, -1
	v_lshl_add_u64 v[28:29], v[28:29], 0, 2
	v_lshl_add_u64 v[26:27], v[26:27], 0, 2
	s_addc_u32 s21, s13, -1
	s_mov_b64 s[22:23], 0
	s_mov_b64 s[26:27], 0
                                        ; implicit-def: $sgpr24_sgpr25
	s_branch .LBB667_409
.LBB667_407:                            ;   in Loop: Header=BB667_409 Depth=1
	global_load_ushort v1, v[26:27], off
	global_load_ushort v30, v[28:29], off
	s_add_u32 s26, s26, 1
	s_addc_u32 s27, s27, 0
	s_andn2_b64 s[24:25], s[24:25], exec
	v_lshl_add_u64 v[28:29], v[28:29], 0, 2
	v_lshl_add_u64 v[26:27], v[26:27], 0, 2
	s_waitcnt vmcnt(0)
	v_cmp_ne_u16_e32 vcc, v1, v30
	s_and_b64 s[28:29], vcc, exec
	s_or_b64 s[24:25], s[24:25], s[28:29]
.LBB667_408:                            ;   in Loop: Header=BB667_409 Depth=1
	s_and_b64 s[28:29], exec, s[24:25]
	s_or_b64 s[22:23], s[28:29], s[22:23]
	v_mov_b64_e32 v[30:31], s[26:27]
	s_andn2_b64 exec, exec, s[22:23]
	s_cbranch_execz .LBB667_412
.LBB667_409:                            ; =>This Inner Loop Header: Depth=1
	s_or_b64 s[24:25], s[24:25], exec
	s_cmp_eq_u64 s[20:21], s[26:27]
	s_cbranch_scc0 .LBB667_407
; %bb.410:                              ;   in Loop: Header=BB667_409 Depth=1
                                        ; implicit-def: $vgpr28_vgpr29
                                        ; implicit-def: $vgpr26_vgpr27
	s_mov_b64 s[26:27], s[12:13]
	s_branch .LBB667_408
.LBB667_411:
	v_mov_b64_e32 v[70:71], 0
	s_branch .LBB667_414
.LBB667_412:
	s_or_b64 exec, exec, s[22:23]
	v_cmp_gt_i64_e32 vcc, s[12:13], v[30:31]
	s_mov_b32 s7, 0
	v_mov_b32_e32 v71, s7
	v_cndmask_b32_e64 v70, 0, 1, vcc
.LBB667_413:
	s_or_b64 exec, exec, s[4:5]
.LBB667_414:
	v_cmp_ne_u32_e32 vcc, 0, v0
	s_waitcnt lgkmcnt(0)
	; wave barrier
	s_waitcnt lgkmcnt(0)
                                        ; implicit-def: $sgpr24_sgpr25
	s_and_saveexec_b64 s[4:5], vcc
	s_cbranch_execz .LBB667_426
; %bb.415:
	s_and_b64 vcc, exec, s[2:3]
	s_cbranch_vccnz .LBB667_422
; %bb.416:
	v_add_u32_e32 v26, -8, v48
	ds_read_b64 v[26:27], v26
	v_mul_lo_u32 v1, v3, s12
	v_mul_lo_u32 v30, v2, s13
	v_mad_u64_u32 v[28:29], s[2:3], v2, s12, 0
	v_add3_u32 v29, v29, v30, v1
	s_waitcnt lgkmcnt(0)
	v_mul_lo_u32 v1, v27, s12
	v_mul_lo_u32 v30, v26, s13
	v_mad_u64_u32 v[26:27], s[2:3], v26, s12, 0
	v_add3_u32 v27, v27, v30, v1
	v_lshl_add_u64 v[28:29], v[28:29], 1, s[14:15]
	v_lshl_add_u64 v[26:27], v[26:27], 1, s[14:15]
	global_load_ushort v1, v[28:29], off
	global_load_ushort v30, v[26:27], off
	s_mov_b64 s[20:21], -1
	s_waitcnt vmcnt(0)
	v_cmp_eq_u16_e32 vcc, v1, v30
	s_and_saveexec_b64 s[2:3], vcc
	s_cbranch_execz .LBB667_424
; %bb.417:
	s_add_u32 s20, s12, -1
	v_lshl_add_u64 v[26:27], v[26:27], 0, 2
	v_lshl_add_u64 v[28:29], v[28:29], 0, 2
	s_addc_u32 s21, s13, -1
	s_mov_b64 s[22:23], 0
	s_mov_b64 s[26:27], 0
                                        ; implicit-def: $sgpr24_sgpr25
	s_branch .LBB667_420
.LBB667_418:                            ;   in Loop: Header=BB667_420 Depth=1
	global_load_ushort v1, v[28:29], off
	global_load_ushort v30, v[26:27], off
	s_add_u32 s26, s26, 1
	s_addc_u32 s27, s27, 0
	s_andn2_b64 s[24:25], s[24:25], exec
	v_lshl_add_u64 v[26:27], v[26:27], 0, 2
	v_lshl_add_u64 v[28:29], v[28:29], 0, 2
	s_waitcnt vmcnt(0)
	v_cmp_ne_u16_e32 vcc, v1, v30
	s_and_b64 s[28:29], vcc, exec
	s_or_b64 s[24:25], s[24:25], s[28:29]
.LBB667_419:                            ;   in Loop: Header=BB667_420 Depth=1
	s_and_b64 s[28:29], exec, s[24:25]
	s_or_b64 s[22:23], s[28:29], s[22:23]
	v_mov_b64_e32 v[30:31], s[26:27]
	s_andn2_b64 exec, exec, s[22:23]
	s_cbranch_execz .LBB667_423
.LBB667_420:                            ; =>This Inner Loop Header: Depth=1
	s_or_b64 s[24:25], s[24:25], exec
	s_cmp_eq_u64 s[20:21], s[26:27]
	s_cbranch_scc0 .LBB667_418
; %bb.421:                              ;   in Loop: Header=BB667_420 Depth=1
                                        ; implicit-def: $vgpr26_vgpr27
                                        ; implicit-def: $vgpr28_vgpr29
	s_mov_b64 s[26:27], s[12:13]
	s_branch .LBB667_419
.LBB667_422:
	s_mov_b64 s[20:21], 0
	s_branch .LBB667_425
.LBB667_423:
	s_or_b64 exec, exec, s[22:23]
	v_cmp_gt_i64_e32 vcc, s[12:13], v[30:31]
	s_orn2_b64 s[20:21], vcc, exec
.LBB667_424:
	s_or_b64 exec, exec, s[2:3]
.LBB667_425:
	s_and_b64 s[24:25], s[20:21], exec
	s_or_b64 s[18:19], s[18:19], exec
.LBB667_426:
	s_or_b64 exec, exec, s[4:5]
	v_mov_b64_e32 v[72:73], v[52:53]
	v_mov_b64_e32 v[26:27], v[46:47]
	;; [unrolled: 1-line block ×11, first 2 shown]
	s_branch .LBB667_572
.LBB667_427:
	s_waitcnt lgkmcnt(0)
	v_mad_u32_u24 v26, v0, 13, 12
	v_cmp_gt_i64_e64 s[2:3], s[12:13], 0
	v_cmp_gt_u32_e32 vcc, s10, v26
	v_mul_u32_u24_e32 v1, 13, v0
	v_cndmask_b32_e64 v26, 0, 1, s[2:3]
	v_cmp_ne_u32_e64 s[2:3], 1, v26
	ds_write_b64 v48, v[44:45]
	s_and_saveexec_b64 s[4:5], vcc
	s_cbranch_execz .LBB667_438
; %bb.428:
	s_and_b64 vcc, exec, s[2:3]
	s_cbranch_vccnz .LBB667_435
; %bb.429:
	v_mul_lo_u32 v28, v45, s12
	v_mul_lo_u32 v29, v44, s13
	v_mad_u64_u32 v[26:27], s[20:21], v44, s12, 0
	v_add3_u32 v27, v27, v29, v28
	v_mul_lo_u32 v28, v25, s12
	v_mul_lo_u32 v29, v24, s13
	v_mad_u64_u32 v[30:31], s[20:21], v24, s12, 0
	v_add3_u32 v31, v31, v29, v28
	v_lshl_add_u64 v[28:29], v[26:27], 1, s[14:15]
	v_lshl_add_u64 v[26:27], v[30:31], 1, s[14:15]
	global_load_ushort v30, v[28:29], off
	global_load_ushort v31, v[26:27], off
	v_mov_b64_e32 v[44:45], 1
	s_waitcnt vmcnt(0)
	v_cmp_eq_u16_e32 vcc, v30, v31
	s_and_saveexec_b64 s[20:21], vcc
	s_cbranch_execz .LBB667_437
; %bb.430:
	s_add_u32 s22, s12, -1
	v_lshl_add_u64 v[26:27], v[26:27], 0, 2
	v_lshl_add_u64 v[28:29], v[28:29], 0, 2
	s_addc_u32 s23, s13, -1
	s_mov_b64 s[24:25], 0
	s_mov_b64 s[28:29], 0
                                        ; implicit-def: $sgpr26_sgpr27
	s_branch .LBB667_433
.LBB667_431:                            ;   in Loop: Header=BB667_433 Depth=1
	global_load_ushort v30, v[28:29], off
	global_load_ushort v31, v[26:27], off
	s_add_u32 s28, s28, 1
	s_addc_u32 s29, s29, 0
	s_andn2_b64 s[26:27], s[26:27], exec
	v_lshl_add_u64 v[26:27], v[26:27], 0, 2
	v_lshl_add_u64 v[28:29], v[28:29], 0, 2
	s_waitcnt vmcnt(0)
	v_cmp_ne_u16_e32 vcc, v30, v31
	s_and_b64 s[30:31], vcc, exec
	s_or_b64 s[26:27], s[26:27], s[30:31]
.LBB667_432:                            ;   in Loop: Header=BB667_433 Depth=1
	s_and_b64 s[30:31], exec, s[26:27]
	s_or_b64 s[24:25], s[30:31], s[24:25]
	v_mov_b64_e32 v[30:31], s[28:29]
	s_andn2_b64 exec, exec, s[24:25]
	s_cbranch_execz .LBB667_436
.LBB667_433:                            ; =>This Inner Loop Header: Depth=1
	s_or_b64 s[26:27], s[26:27], exec
	s_cmp_eq_u64 s[22:23], s[28:29]
	s_cbranch_scc0 .LBB667_431
; %bb.434:                              ;   in Loop: Header=BB667_433 Depth=1
                                        ; implicit-def: $vgpr26_vgpr27
                                        ; implicit-def: $vgpr28_vgpr29
	s_mov_b64 s[28:29], s[12:13]
	s_branch .LBB667_432
.LBB667_435:
	v_mov_b64_e32 v[44:45], 0
	s_branch .LBB667_438
.LBB667_436:
	s_or_b64 exec, exec, s[24:25]
	v_cmp_gt_i64_e32 vcc, s[12:13], v[30:31]
	s_mov_b32 s7, 0
	v_mov_b32_e32 v45, s7
	v_cndmask_b32_e64 v44, 0, 1, vcc
.LBB667_437:
	s_or_b64 exec, exec, s[20:21]
.LBB667_438:
	s_or_b64 exec, exec, s[4:5]
	v_add_u32_e32 v26, 11, v1
	v_cmp_gt_u32_e32 vcc, s10, v26
	s_and_saveexec_b64 s[4:5], vcc
	s_cbranch_execz .LBB667_449
; %bb.439:
	s_and_b64 vcc, exec, s[2:3]
	s_cbranch_vccnz .LBB667_446
; %bb.440:
	v_mul_lo_u32 v26, v25, s12
	v_mul_lo_u32 v27, v24, s13
	v_mad_u64_u32 v[24:25], s[20:21], v24, s12, 0
	v_add3_u32 v25, v25, v27, v26
	v_mul_lo_u32 v26, v23, s12
	v_mul_lo_u32 v27, v22, s13
	v_mad_u64_u32 v[28:29], s[20:21], v22, s12, 0
	v_add3_u32 v29, v29, v27, v26
	v_lshl_add_u64 v[26:27], v[24:25], 1, s[14:15]
	v_lshl_add_u64 v[28:29], v[28:29], 1, s[14:15]
	global_load_ushort v24, v[26:27], off
	global_load_ushort v25, v[28:29], off
	s_waitcnt vmcnt(0)
	v_cmp_eq_u16_e32 vcc, v24, v25
	v_mov_b64_e32 v[24:25], 1
	s_and_saveexec_b64 s[20:21], vcc
	s_cbranch_execz .LBB667_448
; %bb.441:
	s_add_u32 s22, s12, -1
	v_lshl_add_u64 v[24:25], v[28:29], 0, 2
	v_lshl_add_u64 v[26:27], v[26:27], 0, 2
	s_addc_u32 s23, s13, -1
	s_mov_b64 s[24:25], 0
	s_mov_b64 s[28:29], 0
                                        ; implicit-def: $sgpr26_sgpr27
	s_branch .LBB667_444
.LBB667_442:                            ;   in Loop: Header=BB667_444 Depth=1
	global_load_ushort v28, v[26:27], off
	global_load_ushort v29, v[24:25], off
	s_add_u32 s28, s28, 1
	s_addc_u32 s29, s29, 0
	s_andn2_b64 s[26:27], s[26:27], exec
	v_lshl_add_u64 v[24:25], v[24:25], 0, 2
	v_lshl_add_u64 v[26:27], v[26:27], 0, 2
	s_waitcnt vmcnt(0)
	v_cmp_ne_u16_e32 vcc, v28, v29
	s_and_b64 s[30:31], vcc, exec
	s_or_b64 s[26:27], s[26:27], s[30:31]
.LBB667_443:                            ;   in Loop: Header=BB667_444 Depth=1
	s_and_b64 s[30:31], exec, s[26:27]
	s_or_b64 s[24:25], s[30:31], s[24:25]
	v_mov_b64_e32 v[28:29], s[28:29]
	s_andn2_b64 exec, exec, s[24:25]
	s_cbranch_execz .LBB667_447
.LBB667_444:                            ; =>This Inner Loop Header: Depth=1
	s_or_b64 s[26:27], s[26:27], exec
	s_cmp_eq_u64 s[22:23], s[28:29]
	s_cbranch_scc0 .LBB667_442
; %bb.445:                              ;   in Loop: Header=BB667_444 Depth=1
                                        ; implicit-def: $vgpr24_vgpr25
                                        ; implicit-def: $vgpr26_vgpr27
	s_mov_b64 s[28:29], s[12:13]
	s_branch .LBB667_443
.LBB667_446:
	v_mov_b64_e32 v[24:25], 0
	s_branch .LBB667_449
.LBB667_447:
	s_or_b64 exec, exec, s[24:25]
	v_cmp_gt_i64_e32 vcc, s[12:13], v[28:29]
	s_mov_b32 s7, 0
	v_mov_b32_e32 v25, s7
	v_cndmask_b32_e64 v24, 0, 1, vcc
.LBB667_448:
	s_or_b64 exec, exec, s[20:21]
.LBB667_449:
	s_or_b64 exec, exec, s[4:5]
	v_add_u32_e32 v26, 10, v1
	v_cmp_gt_u32_e32 vcc, s10, v26
	s_and_saveexec_b64 s[4:5], vcc
	s_cbranch_execz .LBB667_460
; %bb.450:
	s_and_b64 vcc, exec, s[2:3]
	s_cbranch_vccnz .LBB667_457
; %bb.451:
	v_mul_lo_u32 v26, v23, s12
	v_mul_lo_u32 v27, v22, s13
	v_mad_u64_u32 v[22:23], s[20:21], v22, s12, 0
	v_add3_u32 v23, v23, v27, v26
	v_mul_lo_u32 v26, v21, s12
	v_mul_lo_u32 v27, v20, s13
	v_mad_u64_u32 v[28:29], s[20:21], v20, s12, 0
	v_add3_u32 v29, v29, v27, v26
	v_lshl_add_u64 v[26:27], v[22:23], 1, s[14:15]
	v_lshl_add_u64 v[28:29], v[28:29], 1, s[14:15]
	global_load_ushort v22, v[26:27], off
	global_load_ushort v23, v[28:29], off
	s_waitcnt vmcnt(0)
	v_cmp_eq_u16_e32 vcc, v22, v23
	v_mov_b64_e32 v[22:23], 1
	s_and_saveexec_b64 s[20:21], vcc
	s_cbranch_execz .LBB667_459
; %bb.452:
	s_add_u32 s22, s12, -1
	v_lshl_add_u64 v[22:23], v[28:29], 0, 2
	v_lshl_add_u64 v[26:27], v[26:27], 0, 2
	s_addc_u32 s23, s13, -1
	s_mov_b64 s[24:25], 0
	s_mov_b64 s[28:29], 0
                                        ; implicit-def: $sgpr26_sgpr27
	s_branch .LBB667_455
.LBB667_453:                            ;   in Loop: Header=BB667_455 Depth=1
	global_load_ushort v28, v[26:27], off
	global_load_ushort v29, v[22:23], off
	s_add_u32 s28, s28, 1
	s_addc_u32 s29, s29, 0
	s_andn2_b64 s[26:27], s[26:27], exec
	v_lshl_add_u64 v[22:23], v[22:23], 0, 2
	v_lshl_add_u64 v[26:27], v[26:27], 0, 2
	s_waitcnt vmcnt(0)
	v_cmp_ne_u16_e32 vcc, v28, v29
	s_and_b64 s[30:31], vcc, exec
	s_or_b64 s[26:27], s[26:27], s[30:31]
.LBB667_454:                            ;   in Loop: Header=BB667_455 Depth=1
	s_and_b64 s[30:31], exec, s[26:27]
	s_or_b64 s[24:25], s[30:31], s[24:25]
	v_mov_b64_e32 v[28:29], s[28:29]
	s_andn2_b64 exec, exec, s[24:25]
	s_cbranch_execz .LBB667_458
.LBB667_455:                            ; =>This Inner Loop Header: Depth=1
	s_or_b64 s[26:27], s[26:27], exec
	s_cmp_eq_u64 s[22:23], s[28:29]
	s_cbranch_scc0 .LBB667_453
; %bb.456:                              ;   in Loop: Header=BB667_455 Depth=1
                                        ; implicit-def: $vgpr22_vgpr23
                                        ; implicit-def: $vgpr26_vgpr27
	s_mov_b64 s[28:29], s[12:13]
	s_branch .LBB667_454
.LBB667_457:
	v_mov_b64_e32 v[22:23], 0
	s_branch .LBB667_460
.LBB667_458:
	s_or_b64 exec, exec, s[24:25]
	v_cmp_gt_i64_e32 vcc, s[12:13], v[28:29]
	s_mov_b32 s7, 0
	v_mov_b32_e32 v23, s7
	v_cndmask_b32_e64 v22, 0, 1, vcc
.LBB667_459:
	s_or_b64 exec, exec, s[20:21]
.LBB667_460:
	s_or_b64 exec, exec, s[4:5]
	v_add_u32_e32 v26, 9, v1
	v_cmp_gt_u32_e32 vcc, s10, v26
	s_and_saveexec_b64 s[4:5], vcc
	s_cbranch_execz .LBB667_471
; %bb.461:
	s_and_b64 vcc, exec, s[2:3]
	s_cbranch_vccnz .LBB667_468
; %bb.462:
	v_mul_lo_u32 v26, v21, s12
	v_mul_lo_u32 v27, v20, s13
	v_mad_u64_u32 v[20:21], s[20:21], v20, s12, 0
	v_add3_u32 v21, v21, v27, v26
	v_mul_lo_u32 v26, v19, s12
	v_mul_lo_u32 v27, v18, s13
	v_mad_u64_u32 v[28:29], s[20:21], v18, s12, 0
	v_add3_u32 v29, v29, v27, v26
	v_lshl_add_u64 v[26:27], v[20:21], 1, s[14:15]
	v_lshl_add_u64 v[28:29], v[28:29], 1, s[14:15]
	global_load_ushort v20, v[26:27], off
	global_load_ushort v21, v[28:29], off
	s_waitcnt vmcnt(0)
	v_cmp_eq_u16_e32 vcc, v20, v21
	v_mov_b64_e32 v[20:21], 1
	s_and_saveexec_b64 s[20:21], vcc
	s_cbranch_execz .LBB667_470
; %bb.463:
	s_add_u32 s22, s12, -1
	v_lshl_add_u64 v[20:21], v[28:29], 0, 2
	v_lshl_add_u64 v[26:27], v[26:27], 0, 2
	s_addc_u32 s23, s13, -1
	s_mov_b64 s[24:25], 0
	s_mov_b64 s[28:29], 0
                                        ; implicit-def: $sgpr26_sgpr27
	s_branch .LBB667_466
.LBB667_464:                            ;   in Loop: Header=BB667_466 Depth=1
	global_load_ushort v28, v[26:27], off
	global_load_ushort v29, v[20:21], off
	s_add_u32 s28, s28, 1
	s_addc_u32 s29, s29, 0
	s_andn2_b64 s[26:27], s[26:27], exec
	v_lshl_add_u64 v[20:21], v[20:21], 0, 2
	v_lshl_add_u64 v[26:27], v[26:27], 0, 2
	s_waitcnt vmcnt(0)
	v_cmp_ne_u16_e32 vcc, v28, v29
	s_and_b64 s[30:31], vcc, exec
	s_or_b64 s[26:27], s[26:27], s[30:31]
.LBB667_465:                            ;   in Loop: Header=BB667_466 Depth=1
	s_and_b64 s[30:31], exec, s[26:27]
	s_or_b64 s[24:25], s[30:31], s[24:25]
	v_mov_b64_e32 v[28:29], s[28:29]
	s_andn2_b64 exec, exec, s[24:25]
	s_cbranch_execz .LBB667_469
.LBB667_466:                            ; =>This Inner Loop Header: Depth=1
	s_or_b64 s[26:27], s[26:27], exec
	s_cmp_eq_u64 s[22:23], s[28:29]
	s_cbranch_scc0 .LBB667_464
; %bb.467:                              ;   in Loop: Header=BB667_466 Depth=1
                                        ; implicit-def: $vgpr20_vgpr21
                                        ; implicit-def: $vgpr26_vgpr27
	s_mov_b64 s[28:29], s[12:13]
	s_branch .LBB667_465
.LBB667_468:
	v_mov_b64_e32 v[20:21], 0
	s_branch .LBB667_471
.LBB667_469:
	s_or_b64 exec, exec, s[24:25]
	v_cmp_gt_i64_e32 vcc, s[12:13], v[28:29]
	s_mov_b32 s7, 0
	v_mov_b32_e32 v21, s7
	v_cndmask_b32_e64 v20, 0, 1, vcc
.LBB667_470:
	s_or_b64 exec, exec, s[20:21]
.LBB667_471:
	s_or_b64 exec, exec, s[4:5]
	v_add_u32_e32 v26, 8, v1
	v_cmp_gt_u32_e32 vcc, s10, v26
	s_and_saveexec_b64 s[4:5], vcc
	s_cbranch_execz .LBB667_482
; %bb.472:
	s_and_b64 vcc, exec, s[2:3]
	s_cbranch_vccnz .LBB667_479
; %bb.473:
	v_mul_lo_u32 v26, v19, s12
	v_mul_lo_u32 v27, v18, s13
	v_mad_u64_u32 v[18:19], s[20:21], v18, s12, 0
	v_add3_u32 v19, v19, v27, v26
	v_mul_lo_u32 v26, v17, s12
	v_mul_lo_u32 v27, v16, s13
	v_mad_u64_u32 v[28:29], s[20:21], v16, s12, 0
	v_add3_u32 v29, v29, v27, v26
	v_lshl_add_u64 v[26:27], v[18:19], 1, s[14:15]
	v_lshl_add_u64 v[28:29], v[28:29], 1, s[14:15]
	global_load_ushort v18, v[26:27], off
	global_load_ushort v19, v[28:29], off
	s_waitcnt vmcnt(0)
	v_cmp_eq_u16_e32 vcc, v18, v19
	v_mov_b64_e32 v[18:19], 1
	s_and_saveexec_b64 s[20:21], vcc
	s_cbranch_execz .LBB667_481
; %bb.474:
	s_add_u32 s22, s12, -1
	v_lshl_add_u64 v[18:19], v[28:29], 0, 2
	v_lshl_add_u64 v[26:27], v[26:27], 0, 2
	s_addc_u32 s23, s13, -1
	s_mov_b64 s[24:25], 0
	s_mov_b64 s[28:29], 0
                                        ; implicit-def: $sgpr26_sgpr27
	s_branch .LBB667_477
.LBB667_475:                            ;   in Loop: Header=BB667_477 Depth=1
	global_load_ushort v28, v[26:27], off
	global_load_ushort v29, v[18:19], off
	s_add_u32 s28, s28, 1
	s_addc_u32 s29, s29, 0
	s_andn2_b64 s[26:27], s[26:27], exec
	v_lshl_add_u64 v[18:19], v[18:19], 0, 2
	v_lshl_add_u64 v[26:27], v[26:27], 0, 2
	s_waitcnt vmcnt(0)
	v_cmp_ne_u16_e32 vcc, v28, v29
	s_and_b64 s[30:31], vcc, exec
	s_or_b64 s[26:27], s[26:27], s[30:31]
.LBB667_476:                            ;   in Loop: Header=BB667_477 Depth=1
	s_and_b64 s[30:31], exec, s[26:27]
	s_or_b64 s[24:25], s[30:31], s[24:25]
	v_mov_b64_e32 v[28:29], s[28:29]
	s_andn2_b64 exec, exec, s[24:25]
	s_cbranch_execz .LBB667_480
.LBB667_477:                            ; =>This Inner Loop Header: Depth=1
	s_or_b64 s[26:27], s[26:27], exec
	s_cmp_eq_u64 s[22:23], s[28:29]
	s_cbranch_scc0 .LBB667_475
; %bb.478:                              ;   in Loop: Header=BB667_477 Depth=1
                                        ; implicit-def: $vgpr18_vgpr19
                                        ; implicit-def: $vgpr26_vgpr27
	s_mov_b64 s[28:29], s[12:13]
	s_branch .LBB667_476
.LBB667_479:
	v_mov_b64_e32 v[18:19], 0
	s_branch .LBB667_482
.LBB667_480:
	s_or_b64 exec, exec, s[24:25]
	v_cmp_gt_i64_e32 vcc, s[12:13], v[28:29]
	s_mov_b32 s7, 0
	v_mov_b32_e32 v19, s7
	v_cndmask_b32_e64 v18, 0, 1, vcc
.LBB667_481:
	s_or_b64 exec, exec, s[20:21]
.LBB667_482:
	s_or_b64 exec, exec, s[4:5]
	v_add_u32_e32 v26, 7, v1
	v_cmp_gt_u32_e32 vcc, s10, v26
	s_and_saveexec_b64 s[4:5], vcc
	s_cbranch_execz .LBB667_493
; %bb.483:
	s_and_b64 vcc, exec, s[2:3]
	s_cbranch_vccnz .LBB667_490
; %bb.484:
	v_mul_lo_u32 v26, v17, s12
	v_mul_lo_u32 v27, v16, s13
	v_mad_u64_u32 v[16:17], s[20:21], v16, s12, 0
	v_add3_u32 v17, v17, v27, v26
	v_mul_lo_u32 v26, v15, s12
	v_mul_lo_u32 v27, v14, s13
	v_mad_u64_u32 v[28:29], s[20:21], v14, s12, 0
	v_add3_u32 v29, v29, v27, v26
	v_lshl_add_u64 v[26:27], v[16:17], 1, s[14:15]
	v_lshl_add_u64 v[28:29], v[28:29], 1, s[14:15]
	global_load_ushort v16, v[26:27], off
	global_load_ushort v17, v[28:29], off
	s_waitcnt vmcnt(0)
	v_cmp_eq_u16_e32 vcc, v16, v17
	v_mov_b64_e32 v[16:17], 1
	s_and_saveexec_b64 s[20:21], vcc
	s_cbranch_execz .LBB667_492
; %bb.485:
	s_add_u32 s22, s12, -1
	v_lshl_add_u64 v[16:17], v[28:29], 0, 2
	v_lshl_add_u64 v[26:27], v[26:27], 0, 2
	s_addc_u32 s23, s13, -1
	s_mov_b64 s[24:25], 0
	s_mov_b64 s[28:29], 0
                                        ; implicit-def: $sgpr26_sgpr27
	s_branch .LBB667_488
.LBB667_486:                            ;   in Loop: Header=BB667_488 Depth=1
	global_load_ushort v28, v[26:27], off
	global_load_ushort v29, v[16:17], off
	s_add_u32 s28, s28, 1
	s_addc_u32 s29, s29, 0
	s_andn2_b64 s[26:27], s[26:27], exec
	v_lshl_add_u64 v[16:17], v[16:17], 0, 2
	v_lshl_add_u64 v[26:27], v[26:27], 0, 2
	s_waitcnt vmcnt(0)
	v_cmp_ne_u16_e32 vcc, v28, v29
	s_and_b64 s[30:31], vcc, exec
	s_or_b64 s[26:27], s[26:27], s[30:31]
.LBB667_487:                            ;   in Loop: Header=BB667_488 Depth=1
	s_and_b64 s[30:31], exec, s[26:27]
	s_or_b64 s[24:25], s[30:31], s[24:25]
	v_mov_b64_e32 v[28:29], s[28:29]
	s_andn2_b64 exec, exec, s[24:25]
	s_cbranch_execz .LBB667_491
.LBB667_488:                            ; =>This Inner Loop Header: Depth=1
	s_or_b64 s[26:27], s[26:27], exec
	s_cmp_eq_u64 s[22:23], s[28:29]
	s_cbranch_scc0 .LBB667_486
; %bb.489:                              ;   in Loop: Header=BB667_488 Depth=1
                                        ; implicit-def: $vgpr16_vgpr17
                                        ; implicit-def: $vgpr26_vgpr27
	s_mov_b64 s[28:29], s[12:13]
	s_branch .LBB667_487
.LBB667_490:
	v_mov_b64_e32 v[16:17], 0
	s_branch .LBB667_493
.LBB667_491:
	s_or_b64 exec, exec, s[24:25]
	v_cmp_gt_i64_e32 vcc, s[12:13], v[28:29]
	s_mov_b32 s7, 0
	v_mov_b32_e32 v17, s7
	v_cndmask_b32_e64 v16, 0, 1, vcc
.LBB667_492:
	s_or_b64 exec, exec, s[20:21]
.LBB667_493:
	s_or_b64 exec, exec, s[4:5]
	v_add_u32_e32 v26, 6, v1
	v_cmp_gt_u32_e32 vcc, s10, v26
	s_and_saveexec_b64 s[4:5], vcc
	s_cbranch_execz .LBB667_504
; %bb.494:
	s_and_b64 vcc, exec, s[2:3]
	s_cbranch_vccnz .LBB667_501
; %bb.495:
	v_mul_lo_u32 v26, v15, s12
	v_mul_lo_u32 v27, v14, s13
	v_mad_u64_u32 v[14:15], s[20:21], v14, s12, 0
	v_add3_u32 v15, v15, v27, v26
	v_mul_lo_u32 v26, v13, s12
	v_mul_lo_u32 v27, v12, s13
	v_mad_u64_u32 v[28:29], s[20:21], v12, s12, 0
	v_add3_u32 v29, v29, v27, v26
	v_lshl_add_u64 v[26:27], v[14:15], 1, s[14:15]
	v_lshl_add_u64 v[28:29], v[28:29], 1, s[14:15]
	global_load_ushort v14, v[26:27], off
	global_load_ushort v15, v[28:29], off
	s_waitcnt vmcnt(0)
	v_cmp_eq_u16_e32 vcc, v14, v15
	v_mov_b64_e32 v[14:15], 1
	s_and_saveexec_b64 s[20:21], vcc
	s_cbranch_execz .LBB667_503
; %bb.496:
	s_add_u32 s22, s12, -1
	v_lshl_add_u64 v[14:15], v[28:29], 0, 2
	v_lshl_add_u64 v[26:27], v[26:27], 0, 2
	s_addc_u32 s23, s13, -1
	s_mov_b64 s[24:25], 0
	s_mov_b64 s[28:29], 0
                                        ; implicit-def: $sgpr26_sgpr27
	s_branch .LBB667_499
.LBB667_497:                            ;   in Loop: Header=BB667_499 Depth=1
	global_load_ushort v28, v[26:27], off
	global_load_ushort v29, v[14:15], off
	s_add_u32 s28, s28, 1
	s_addc_u32 s29, s29, 0
	s_andn2_b64 s[26:27], s[26:27], exec
	v_lshl_add_u64 v[14:15], v[14:15], 0, 2
	v_lshl_add_u64 v[26:27], v[26:27], 0, 2
	s_waitcnt vmcnt(0)
	v_cmp_ne_u16_e32 vcc, v28, v29
	s_and_b64 s[30:31], vcc, exec
	s_or_b64 s[26:27], s[26:27], s[30:31]
.LBB667_498:                            ;   in Loop: Header=BB667_499 Depth=1
	s_and_b64 s[30:31], exec, s[26:27]
	s_or_b64 s[24:25], s[30:31], s[24:25]
	v_mov_b64_e32 v[28:29], s[28:29]
	s_andn2_b64 exec, exec, s[24:25]
	s_cbranch_execz .LBB667_502
.LBB667_499:                            ; =>This Inner Loop Header: Depth=1
	s_or_b64 s[26:27], s[26:27], exec
	s_cmp_eq_u64 s[22:23], s[28:29]
	s_cbranch_scc0 .LBB667_497
; %bb.500:                              ;   in Loop: Header=BB667_499 Depth=1
                                        ; implicit-def: $vgpr14_vgpr15
                                        ; implicit-def: $vgpr26_vgpr27
	s_mov_b64 s[28:29], s[12:13]
	s_branch .LBB667_498
.LBB667_501:
	v_mov_b64_e32 v[14:15], 0
	s_branch .LBB667_504
.LBB667_502:
	s_or_b64 exec, exec, s[24:25]
	v_cmp_gt_i64_e32 vcc, s[12:13], v[28:29]
	s_mov_b32 s7, 0
	v_mov_b32_e32 v15, s7
	v_cndmask_b32_e64 v14, 0, 1, vcc
.LBB667_503:
	s_or_b64 exec, exec, s[20:21]
.LBB667_504:
	s_or_b64 exec, exec, s[4:5]
	v_add_u32_e32 v26, 5, v1
	v_cmp_gt_u32_e32 vcc, s10, v26
	s_and_saveexec_b64 s[4:5], vcc
	s_cbranch_execz .LBB667_515
; %bb.505:
	s_and_b64 vcc, exec, s[2:3]
	s_cbranch_vccnz .LBB667_512
; %bb.506:
	v_mul_lo_u32 v26, v13, s12
	v_mul_lo_u32 v27, v12, s13
	v_mad_u64_u32 v[12:13], s[20:21], v12, s12, 0
	v_add3_u32 v13, v13, v27, v26
	v_mul_lo_u32 v26, v11, s12
	v_mul_lo_u32 v27, v10, s13
	v_mad_u64_u32 v[28:29], s[20:21], v10, s12, 0
	v_add3_u32 v29, v29, v27, v26
	v_lshl_add_u64 v[26:27], v[12:13], 1, s[14:15]
	v_lshl_add_u64 v[28:29], v[28:29], 1, s[14:15]
	global_load_ushort v12, v[26:27], off
	global_load_ushort v13, v[28:29], off
	s_waitcnt vmcnt(0)
	v_cmp_eq_u16_e32 vcc, v12, v13
	v_mov_b64_e32 v[12:13], 1
	s_and_saveexec_b64 s[20:21], vcc
	s_cbranch_execz .LBB667_514
; %bb.507:
	s_add_u32 s22, s12, -1
	v_lshl_add_u64 v[12:13], v[28:29], 0, 2
	v_lshl_add_u64 v[26:27], v[26:27], 0, 2
	s_addc_u32 s23, s13, -1
	s_mov_b64 s[24:25], 0
	s_mov_b64 s[28:29], 0
                                        ; implicit-def: $sgpr26_sgpr27
	s_branch .LBB667_510
.LBB667_508:                            ;   in Loop: Header=BB667_510 Depth=1
	global_load_ushort v28, v[26:27], off
	global_load_ushort v29, v[12:13], off
	s_add_u32 s28, s28, 1
	s_addc_u32 s29, s29, 0
	s_andn2_b64 s[26:27], s[26:27], exec
	v_lshl_add_u64 v[12:13], v[12:13], 0, 2
	v_lshl_add_u64 v[26:27], v[26:27], 0, 2
	s_waitcnt vmcnt(0)
	v_cmp_ne_u16_e32 vcc, v28, v29
	s_and_b64 s[30:31], vcc, exec
	s_or_b64 s[26:27], s[26:27], s[30:31]
.LBB667_509:                            ;   in Loop: Header=BB667_510 Depth=1
	s_and_b64 s[30:31], exec, s[26:27]
	s_or_b64 s[24:25], s[30:31], s[24:25]
	v_mov_b64_e32 v[28:29], s[28:29]
	s_andn2_b64 exec, exec, s[24:25]
	s_cbranch_execz .LBB667_513
.LBB667_510:                            ; =>This Inner Loop Header: Depth=1
	s_or_b64 s[26:27], s[26:27], exec
	s_cmp_eq_u64 s[22:23], s[28:29]
	s_cbranch_scc0 .LBB667_508
; %bb.511:                              ;   in Loop: Header=BB667_510 Depth=1
                                        ; implicit-def: $vgpr12_vgpr13
                                        ; implicit-def: $vgpr26_vgpr27
	s_mov_b64 s[28:29], s[12:13]
	s_branch .LBB667_509
.LBB667_512:
	v_mov_b64_e32 v[12:13], 0
	s_branch .LBB667_515
.LBB667_513:
	s_or_b64 exec, exec, s[24:25]
	v_cmp_gt_i64_e32 vcc, s[12:13], v[28:29]
	s_mov_b32 s7, 0
	v_mov_b32_e32 v13, s7
	v_cndmask_b32_e64 v12, 0, 1, vcc
.LBB667_514:
	s_or_b64 exec, exec, s[20:21]
.LBB667_515:
	s_or_b64 exec, exec, s[4:5]
	v_add_u32_e32 v26, 4, v1
	v_cmp_gt_u32_e32 vcc, s10, v26
	s_and_saveexec_b64 s[4:5], vcc
	s_cbranch_execz .LBB667_526
; %bb.516:
	s_and_b64 vcc, exec, s[2:3]
	s_cbranch_vccnz .LBB667_523
; %bb.517:
	v_mul_lo_u32 v26, v11, s12
	v_mul_lo_u32 v27, v10, s13
	v_mad_u64_u32 v[10:11], s[20:21], v10, s12, 0
	v_add3_u32 v11, v11, v27, v26
	v_mul_lo_u32 v26, v9, s12
	v_mul_lo_u32 v27, v8, s13
	v_mad_u64_u32 v[28:29], s[20:21], v8, s12, 0
	v_add3_u32 v29, v29, v27, v26
	v_lshl_add_u64 v[26:27], v[10:11], 1, s[14:15]
	v_lshl_add_u64 v[28:29], v[28:29], 1, s[14:15]
	global_load_ushort v10, v[26:27], off
	global_load_ushort v11, v[28:29], off
	s_waitcnt vmcnt(0)
	v_cmp_eq_u16_e32 vcc, v10, v11
	v_mov_b64_e32 v[10:11], 1
	s_and_saveexec_b64 s[20:21], vcc
	s_cbranch_execz .LBB667_525
; %bb.518:
	s_add_u32 s22, s12, -1
	v_lshl_add_u64 v[10:11], v[28:29], 0, 2
	v_lshl_add_u64 v[26:27], v[26:27], 0, 2
	s_addc_u32 s23, s13, -1
	s_mov_b64 s[24:25], 0
	s_mov_b64 s[28:29], 0
                                        ; implicit-def: $sgpr26_sgpr27
	s_branch .LBB667_521
.LBB667_519:                            ;   in Loop: Header=BB667_521 Depth=1
	global_load_ushort v28, v[26:27], off
	global_load_ushort v29, v[10:11], off
	s_add_u32 s28, s28, 1
	s_addc_u32 s29, s29, 0
	s_andn2_b64 s[26:27], s[26:27], exec
	v_lshl_add_u64 v[10:11], v[10:11], 0, 2
	v_lshl_add_u64 v[26:27], v[26:27], 0, 2
	s_waitcnt vmcnt(0)
	v_cmp_ne_u16_e32 vcc, v28, v29
	s_and_b64 s[30:31], vcc, exec
	s_or_b64 s[26:27], s[26:27], s[30:31]
.LBB667_520:                            ;   in Loop: Header=BB667_521 Depth=1
	s_and_b64 s[30:31], exec, s[26:27]
	s_or_b64 s[24:25], s[30:31], s[24:25]
	v_mov_b64_e32 v[28:29], s[28:29]
	s_andn2_b64 exec, exec, s[24:25]
	s_cbranch_execz .LBB667_524
.LBB667_521:                            ; =>This Inner Loop Header: Depth=1
	s_or_b64 s[26:27], s[26:27], exec
	s_cmp_eq_u64 s[22:23], s[28:29]
	s_cbranch_scc0 .LBB667_519
; %bb.522:                              ;   in Loop: Header=BB667_521 Depth=1
                                        ; implicit-def: $vgpr10_vgpr11
                                        ; implicit-def: $vgpr26_vgpr27
	s_mov_b64 s[28:29], s[12:13]
	s_branch .LBB667_520
.LBB667_523:
	v_mov_b64_e32 v[10:11], 0
	s_branch .LBB667_526
.LBB667_524:
	s_or_b64 exec, exec, s[24:25]
	v_cmp_gt_i64_e32 vcc, s[12:13], v[28:29]
	s_mov_b32 s7, 0
	v_mov_b32_e32 v11, s7
	v_cndmask_b32_e64 v10, 0, 1, vcc
.LBB667_525:
	s_or_b64 exec, exec, s[20:21]
.LBB667_526:
	s_or_b64 exec, exec, s[4:5]
	v_add_u32_e32 v26, 3, v1
	v_cmp_gt_u32_e32 vcc, s10, v26
	s_and_saveexec_b64 s[4:5], vcc
	s_cbranch_execz .LBB667_537
; %bb.527:
	s_and_b64 vcc, exec, s[2:3]
	s_cbranch_vccnz .LBB667_534
; %bb.528:
	v_mul_lo_u32 v26, v9, s12
	v_mul_lo_u32 v27, v8, s13
	v_mad_u64_u32 v[8:9], s[20:21], v8, s12, 0
	v_add3_u32 v9, v9, v27, v26
	v_mul_lo_u32 v26, v7, s12
	v_mul_lo_u32 v27, v6, s13
	v_mad_u64_u32 v[28:29], s[20:21], v6, s12, 0
	v_add3_u32 v29, v29, v27, v26
	v_lshl_add_u64 v[26:27], v[8:9], 1, s[14:15]
	v_lshl_add_u64 v[28:29], v[28:29], 1, s[14:15]
	global_load_ushort v8, v[26:27], off
	global_load_ushort v9, v[28:29], off
	s_waitcnt vmcnt(0)
	v_cmp_eq_u16_e32 vcc, v8, v9
	v_mov_b64_e32 v[8:9], 1
	s_and_saveexec_b64 s[20:21], vcc
	s_cbranch_execz .LBB667_536
; %bb.529:
	s_add_u32 s22, s12, -1
	v_lshl_add_u64 v[8:9], v[28:29], 0, 2
	v_lshl_add_u64 v[26:27], v[26:27], 0, 2
	s_addc_u32 s23, s13, -1
	s_mov_b64 s[24:25], 0
	s_mov_b64 s[28:29], 0
                                        ; implicit-def: $sgpr26_sgpr27
	s_branch .LBB667_532
.LBB667_530:                            ;   in Loop: Header=BB667_532 Depth=1
	global_load_ushort v28, v[26:27], off
	global_load_ushort v29, v[8:9], off
	s_add_u32 s28, s28, 1
	s_addc_u32 s29, s29, 0
	s_andn2_b64 s[26:27], s[26:27], exec
	v_lshl_add_u64 v[8:9], v[8:9], 0, 2
	v_lshl_add_u64 v[26:27], v[26:27], 0, 2
	s_waitcnt vmcnt(0)
	v_cmp_ne_u16_e32 vcc, v28, v29
	s_and_b64 s[30:31], vcc, exec
	s_or_b64 s[26:27], s[26:27], s[30:31]
.LBB667_531:                            ;   in Loop: Header=BB667_532 Depth=1
	s_and_b64 s[30:31], exec, s[26:27]
	s_or_b64 s[24:25], s[30:31], s[24:25]
	v_mov_b64_e32 v[28:29], s[28:29]
	s_andn2_b64 exec, exec, s[24:25]
	s_cbranch_execz .LBB667_535
.LBB667_532:                            ; =>This Inner Loop Header: Depth=1
	s_or_b64 s[26:27], s[26:27], exec
	s_cmp_eq_u64 s[22:23], s[28:29]
	s_cbranch_scc0 .LBB667_530
; %bb.533:                              ;   in Loop: Header=BB667_532 Depth=1
                                        ; implicit-def: $vgpr8_vgpr9
                                        ; implicit-def: $vgpr26_vgpr27
	s_mov_b64 s[28:29], s[12:13]
	s_branch .LBB667_531
.LBB667_534:
	v_mov_b64_e32 v[8:9], 0
	s_branch .LBB667_537
.LBB667_535:
	s_or_b64 exec, exec, s[24:25]
	v_cmp_gt_i64_e32 vcc, s[12:13], v[28:29]
	s_mov_b32 s7, 0
	v_mov_b32_e32 v9, s7
	v_cndmask_b32_e64 v8, 0, 1, vcc
.LBB667_536:
	s_or_b64 exec, exec, s[20:21]
.LBB667_537:
	s_or_b64 exec, exec, s[4:5]
	v_add_u32_e32 v26, 2, v1
	v_cmp_gt_u32_e32 vcc, s10, v26
	s_and_saveexec_b64 s[4:5], vcc
	s_cbranch_execz .LBB667_548
; %bb.538:
	s_and_b64 vcc, exec, s[2:3]
	s_cbranch_vccnz .LBB667_545
; %bb.539:
	v_mul_lo_u32 v26, v7, s12
	v_mul_lo_u32 v27, v6, s13
	v_mad_u64_u32 v[6:7], s[20:21], v6, s12, 0
	v_add3_u32 v7, v7, v27, v26
	v_mul_lo_u32 v26, v5, s12
	v_mul_lo_u32 v27, v4, s13
	v_mad_u64_u32 v[28:29], s[20:21], v4, s12, 0
	v_add3_u32 v29, v29, v27, v26
	v_lshl_add_u64 v[26:27], v[6:7], 1, s[14:15]
	v_lshl_add_u64 v[28:29], v[28:29], 1, s[14:15]
	global_load_ushort v6, v[26:27], off
	global_load_ushort v7, v[28:29], off
	s_waitcnt vmcnt(0)
	v_cmp_eq_u16_e32 vcc, v6, v7
	v_mov_b64_e32 v[6:7], 1
	s_and_saveexec_b64 s[20:21], vcc
	s_cbranch_execz .LBB667_547
; %bb.540:
	s_add_u32 s22, s12, -1
	v_lshl_add_u64 v[6:7], v[28:29], 0, 2
	v_lshl_add_u64 v[26:27], v[26:27], 0, 2
	s_addc_u32 s23, s13, -1
	s_mov_b64 s[24:25], 0
	s_mov_b64 s[28:29], 0
                                        ; implicit-def: $sgpr26_sgpr27
	s_branch .LBB667_543
.LBB667_541:                            ;   in Loop: Header=BB667_543 Depth=1
	global_load_ushort v28, v[26:27], off
	global_load_ushort v29, v[6:7], off
	s_add_u32 s28, s28, 1
	s_addc_u32 s29, s29, 0
	s_andn2_b64 s[26:27], s[26:27], exec
	v_lshl_add_u64 v[6:7], v[6:7], 0, 2
	v_lshl_add_u64 v[26:27], v[26:27], 0, 2
	s_waitcnt vmcnt(0)
	v_cmp_ne_u16_e32 vcc, v28, v29
	s_and_b64 s[30:31], vcc, exec
	s_or_b64 s[26:27], s[26:27], s[30:31]
.LBB667_542:                            ;   in Loop: Header=BB667_543 Depth=1
	s_and_b64 s[30:31], exec, s[26:27]
	s_or_b64 s[24:25], s[30:31], s[24:25]
	v_mov_b64_e32 v[28:29], s[28:29]
	s_andn2_b64 exec, exec, s[24:25]
	s_cbranch_execz .LBB667_546
.LBB667_543:                            ; =>This Inner Loop Header: Depth=1
	s_or_b64 s[26:27], s[26:27], exec
	s_cmp_eq_u64 s[22:23], s[28:29]
	s_cbranch_scc0 .LBB667_541
; %bb.544:                              ;   in Loop: Header=BB667_543 Depth=1
                                        ; implicit-def: $vgpr6_vgpr7
                                        ; implicit-def: $vgpr26_vgpr27
	s_mov_b64 s[28:29], s[12:13]
	s_branch .LBB667_542
.LBB667_545:
	v_mov_b64_e32 v[6:7], 0
	s_branch .LBB667_548
.LBB667_546:
	s_or_b64 exec, exec, s[24:25]
	v_cmp_gt_i64_e32 vcc, s[12:13], v[28:29]
	s_mov_b32 s7, 0
	v_mov_b32_e32 v7, s7
	v_cndmask_b32_e64 v6, 0, 1, vcc
.LBB667_547:
	s_or_b64 exec, exec, s[20:21]
.LBB667_548:
	s_or_b64 exec, exec, s[4:5]
	v_add_u32_e32 v26, 1, v1
	v_cmp_gt_u32_e32 vcc, s10, v26
	s_and_saveexec_b64 s[4:5], vcc
	s_cbranch_execz .LBB667_559
; %bb.549:
	s_and_b64 vcc, exec, s[2:3]
	s_cbranch_vccnz .LBB667_556
; %bb.550:
	v_mul_lo_u32 v26, v5, s12
	v_mul_lo_u32 v27, v4, s13
	v_mad_u64_u32 v[4:5], s[20:21], v4, s12, 0
	v_add3_u32 v5, v5, v27, v26
	v_mul_lo_u32 v26, v3, s12
	v_mul_lo_u32 v27, v2, s13
	v_mad_u64_u32 v[28:29], s[20:21], v2, s12, 0
	v_add3_u32 v29, v29, v27, v26
	v_lshl_add_u64 v[26:27], v[4:5], 1, s[14:15]
	v_lshl_add_u64 v[28:29], v[28:29], 1, s[14:15]
	global_load_ushort v4, v[26:27], off
	global_load_ushort v5, v[28:29], off
	s_waitcnt vmcnt(0)
	v_cmp_eq_u16_e32 vcc, v4, v5
	v_mov_b64_e32 v[4:5], 1
	s_and_saveexec_b64 s[20:21], vcc
	s_cbranch_execz .LBB667_558
; %bb.551:
	s_add_u32 s22, s12, -1
	v_lshl_add_u64 v[4:5], v[28:29], 0, 2
	v_lshl_add_u64 v[26:27], v[26:27], 0, 2
	s_addc_u32 s23, s13, -1
	s_mov_b64 s[24:25], 0
	s_mov_b64 s[28:29], 0
                                        ; implicit-def: $sgpr26_sgpr27
	s_branch .LBB667_554
.LBB667_552:                            ;   in Loop: Header=BB667_554 Depth=1
	global_load_ushort v28, v[26:27], off
	global_load_ushort v29, v[4:5], off
	s_add_u32 s28, s28, 1
	s_addc_u32 s29, s29, 0
	s_andn2_b64 s[26:27], s[26:27], exec
	v_lshl_add_u64 v[4:5], v[4:5], 0, 2
	v_lshl_add_u64 v[26:27], v[26:27], 0, 2
	s_waitcnt vmcnt(0)
	v_cmp_ne_u16_e32 vcc, v28, v29
	s_and_b64 s[30:31], vcc, exec
	s_or_b64 s[26:27], s[26:27], s[30:31]
.LBB667_553:                            ;   in Loop: Header=BB667_554 Depth=1
	s_and_b64 s[30:31], exec, s[26:27]
	s_or_b64 s[24:25], s[30:31], s[24:25]
	v_mov_b64_e32 v[28:29], s[28:29]
	s_andn2_b64 exec, exec, s[24:25]
	s_cbranch_execz .LBB667_557
.LBB667_554:                            ; =>This Inner Loop Header: Depth=1
	s_or_b64 s[26:27], s[26:27], exec
	s_cmp_eq_u64 s[22:23], s[28:29]
	s_cbranch_scc0 .LBB667_552
; %bb.555:                              ;   in Loop: Header=BB667_554 Depth=1
                                        ; implicit-def: $vgpr4_vgpr5
                                        ; implicit-def: $vgpr26_vgpr27
	s_mov_b64 s[28:29], s[12:13]
	s_branch .LBB667_553
.LBB667_556:
	v_mov_b64_e32 v[4:5], 0
	s_branch .LBB667_559
.LBB667_557:
	s_or_b64 exec, exec, s[24:25]
	v_cmp_gt_i64_e32 vcc, s[12:13], v[28:29]
	s_mov_b32 s7, 0
	v_mov_b32_e32 v5, s7
	v_cndmask_b32_e64 v4, 0, 1, vcc
.LBB667_558:
	s_or_b64 exec, exec, s[20:21]
.LBB667_559:
	s_or_b64 exec, exec, s[4:5]
	v_cmp_ne_u32_e32 vcc, 0, v0
	v_cmp_gt_u32_e64 s[4:5], s10, v1
	s_and_b64 s[20:21], vcc, s[4:5]
	s_waitcnt lgkmcnt(0)
	; wave barrier
	s_waitcnt lgkmcnt(0)
                                        ; implicit-def: $sgpr24_sgpr25
	s_and_saveexec_b64 s[4:5], s[20:21]
	s_cbranch_execz .LBB667_571
; %bb.560:
	s_and_b64 vcc, exec, s[2:3]
	s_cbranch_vccnz .LBB667_567
; %bb.561:
	v_mul_lo_u32 v1, v3, s12
	v_add_u32_e32 v3, -8, v48
	ds_read_b64 v[26:27], v3
	v_mul_lo_u32 v28, v2, s13
	v_mad_u64_u32 v[2:3], s[2:3], v2, s12, 0
	v_add3_u32 v3, v3, v28, v1
	s_waitcnt lgkmcnt(0)
	v_mul_lo_u32 v1, v27, s12
	v_mul_lo_u32 v27, v26, s13
	v_mad_u64_u32 v[28:29], s[2:3], v26, s12, 0
	v_add3_u32 v29, v29, v27, v1
	v_lshl_add_u64 v[26:27], v[2:3], 1, s[14:15]
	v_lshl_add_u64 v[2:3], v[28:29], 1, s[14:15]
	global_load_ushort v1, v[26:27], off
	global_load_ushort v28, v[2:3], off
	s_mov_b64 s[14:15], -1
	s_waitcnt vmcnt(0)
	v_cmp_eq_u16_e32 vcc, v1, v28
	s_and_saveexec_b64 s[2:3], vcc
	s_cbranch_execz .LBB667_569
; %bb.562:
	s_add_u32 s14, s12, -1
	v_lshl_add_u64 v[2:3], v[2:3], 0, 2
	v_lshl_add_u64 v[26:27], v[26:27], 0, 2
	s_addc_u32 s15, s13, -1
	s_mov_b64 s[20:21], 0
	s_mov_b64 s[24:25], 0
                                        ; implicit-def: $sgpr22_sgpr23
	s_branch .LBB667_565
.LBB667_563:                            ;   in Loop: Header=BB667_565 Depth=1
	global_load_ushort v1, v[26:27], off
	global_load_ushort v28, v[2:3], off
	s_add_u32 s24, s24, 1
	s_addc_u32 s25, s25, 0
	s_andn2_b64 s[22:23], s[22:23], exec
	v_lshl_add_u64 v[2:3], v[2:3], 0, 2
	v_lshl_add_u64 v[26:27], v[26:27], 0, 2
	s_waitcnt vmcnt(0)
	v_cmp_ne_u16_e32 vcc, v1, v28
	s_and_b64 s[26:27], vcc, exec
	s_or_b64 s[22:23], s[22:23], s[26:27]
.LBB667_564:                            ;   in Loop: Header=BB667_565 Depth=1
	s_and_b64 s[26:27], exec, s[22:23]
	s_or_b64 s[20:21], s[26:27], s[20:21]
	v_mov_b64_e32 v[28:29], s[24:25]
	s_andn2_b64 exec, exec, s[20:21]
	s_cbranch_execz .LBB667_568
.LBB667_565:                            ; =>This Inner Loop Header: Depth=1
	s_or_b64 s[22:23], s[22:23], exec
	s_cmp_eq_u64 s[14:15], s[24:25]
	s_cbranch_scc0 .LBB667_563
; %bb.566:                              ;   in Loop: Header=BB667_565 Depth=1
                                        ; implicit-def: $vgpr2_vgpr3
                                        ; implicit-def: $vgpr26_vgpr27
	s_mov_b64 s[24:25], s[12:13]
	s_branch .LBB667_564
.LBB667_567:
	s_mov_b64 s[14:15], 0
	s_branch .LBB667_570
.LBB667_568:
	s_or_b64 exec, exec, s[20:21]
	v_cmp_gt_i64_e32 vcc, s[12:13], v[28:29]
	s_orn2_b64 s[14:15], vcc, exec
.LBB667_569:
	s_or_b64 exec, exec, s[2:3]
.LBB667_570:
	s_and_b64 s[24:25], s[14:15], exec
	s_or_b64 s[18:19], s[18:19], exec
.LBB667_571:
	s_or_b64 exec, exec, s[4:5]
	v_mov_b64_e32 v[50:51], v[44:45]
	v_mov_b64_e32 v[52:53], v[24:25]
	;; [unrolled: 1-line block ×23, first 2 shown]
.LBB667_572:
	s_and_saveexec_b64 s[2:3], s[18:19]
	s_cbranch_execz .LBB667_574
; %bb.573:
	s_mov_b32 s4, 0
	v_cndmask_b32_e64 v2, 0, 1, s[24:25]
	v_mov_b32_e32 v3, s4
	v_mov_b64_e32 v[30:31], v[54:55]
	v_mov_b64_e32 v[80:81], v[56:57]
	;; [unrolled: 1-line block ×9, first 2 shown]
	s_waitcnt lgkmcnt(0)
	v_mov_b64_e32 v[26:27], v[46:47]
	v_mov_b64_e32 v[72:73], v[52:53]
.LBB667_574:
	s_or_b64 exec, exec, s[2:3]
	s_add_u32 s4, s8, s16
	s_addc_u32 s5, s9, s17
	s_and_b64 vcc, exec, s[0:1]
	s_waitcnt lgkmcnt(0)
	; wave barrier
	s_waitcnt lgkmcnt(0)
	s_cbranch_vccz .LBB667_600
; %bb.575:
	s_movk_i32 s2, 0x68
	v_mul_u32_u24_e32 v1, 0x68, v0
	v_mov_b32_e32 v4, v82
	v_mov_b32_e32 v5, v83
	v_mul_i32_i24_e32 v28, 0xffffffa0, v0
	ds_write2_b64 v1, v[2:3], v[4:5] offset1:1
	ds_write2_b64 v1, v[74:75], v[42:43] offset0:2 offset1:3
	ds_write2_b64 v1, v[76:77], v[38:39] offset0:4 offset1:5
	;; [unrolled: 1-line block ×5, first 2 shown]
	ds_write_b64 v1, v[50:51] offset:96
	v_mad_u32_u24 v4, v0, s2, v28
	s_waitcnt lgkmcnt(0)
	; wave barrier
	s_waitcnt lgkmcnt(0)
	ds_read2st64_b64 v[44:47], v4 offset0:1 offset1:2
	ds_read2st64_b64 v[20:23], v4 offset0:3 offset1:4
	;; [unrolled: 1-line block ×6, first 2 shown]
	s_mov_b32 s7, 0
	s_add_i32 s11, s11, s10
	s_lshl_b64 s[0:1], s[6:7], 3
	s_add_u32 s0, s4, s0
	s_addc_u32 s1, s5, s1
	v_mov_b32_e32 v49, 0
	v_lshl_add_u64 v[24:25], s[0:1], 0, v[48:49]
	v_cmp_gt_u32_e32 vcc, s11, v0
	s_and_saveexec_b64 s[0:1], vcc
	s_cbranch_execz .LBB667_577
; %bb.576:
	v_add_u32_e32 v1, v1, v28
	ds_read_b64 v[28:29], v1
	s_waitcnt lgkmcnt(0)
	global_store_dwordx2 v[24:25], v[28:29], off
.LBB667_577:
	s_or_b64 exec, exec, s[0:1]
	v_or_b32_e32 v1, 64, v0
	v_cmp_gt_u32_e32 vcc, s11, v1
	s_and_saveexec_b64 s[0:1], vcc
	s_cbranch_execz .LBB667_579
; %bb.578:
	s_waitcnt lgkmcnt(5)
	global_store_dwordx2 v[24:25], v[44:45], off offset:512
.LBB667_579:
	s_or_b64 exec, exec, s[0:1]
	v_or_b32_e32 v1, 0x80, v0
	v_cmp_gt_u32_e32 vcc, s11, v1
	s_and_saveexec_b64 s[0:1], vcc
	s_cbranch_execz .LBB667_581
; %bb.580:
	s_waitcnt lgkmcnt(5)
	global_store_dwordx2 v[24:25], v[46:47], off offset:1024
.LBB667_581:
	;; [unrolled: 9-line block ×7, first 2 shown]
	s_or_b64 exec, exec, s[0:1]
	v_or_b32_e32 v1, 0x200, v0
	v_cmp_gt_u32_e32 vcc, s11, v1
	s_and_saveexec_b64 s[0:1], vcc
	s_cbranch_execz .LBB667_593
; %bb.592:
	s_waitcnt lgkmcnt(2)
	v_add_co_u32_e32 v12, vcc, 0x1000, v24
	s_nop 1
	v_addc_co_u32_e32 v13, vcc, 0, v25, vcc
	global_store_dwordx2 v[12:13], v[14:15], off
.LBB667_593:
	s_or_b64 exec, exec, s[0:1]
	v_or_b32_e32 v1, 0x240, v0
	v_cmp_gt_u32_e32 vcc, s11, v1
	s_and_saveexec_b64 s[0:1], vcc
	s_cbranch_execz .LBB667_595
; %bb.594:
	s_waitcnt lgkmcnt(2)
	v_add_co_u32_e32 v12, vcc, 0x1000, v24
	s_nop 1
	v_addc_co_u32_e32 v13, vcc, 0, v25, vcc
	s_waitcnt lgkmcnt(1)
	global_store_dwordx2 v[12:13], v[8:9], off offset:512
.LBB667_595:
	s_or_b64 exec, exec, s[0:1]
	v_or_b32_e32 v1, 0x280, v0
	v_cmp_gt_u32_e32 vcc, s11, v1
	s_and_saveexec_b64 s[0:1], vcc
	s_cbranch_execz .LBB667_597
; %bb.596:
	s_waitcnt lgkmcnt(1)
	v_add_co_u32_e32 v8, vcc, 0x1000, v24
	s_nop 1
	v_addc_co_u32_e32 v9, vcc, 0, v25, vcc
	global_store_dwordx2 v[8:9], v[10:11], off offset:1024
.LBB667_597:
	s_or_b64 exec, exec, s[0:1]
	v_or_b32_e32 v1, 0x2c0, v0
	v_cmp_gt_u32_e32 vcc, s11, v1
	s_and_saveexec_b64 s[0:1], vcc
	s_cbranch_execz .LBB667_599
; %bb.598:
	s_waitcnt lgkmcnt(1)
	v_add_co_u32_e32 v8, vcc, 0x1000, v24
	s_nop 1
	v_addc_co_u32_e32 v9, vcc, 0, v25, vcc
	s_waitcnt lgkmcnt(0)
	global_store_dwordx2 v[8:9], v[4:5], off offset:1536
.LBB667_599:
	s_or_b64 exec, exec, s[0:1]
	v_or_b32_e32 v1, 0x300, v0
	v_cmp_gt_u32_e64 s[0:1], s11, v1
	s_branch .LBB667_602
.LBB667_600:
	s_mov_b64 s[0:1], 0
                                        ; implicit-def: $vgpr6_vgpr7
                                        ; implicit-def: $vgpr24_vgpr25
	s_cbranch_execz .LBB667_602
; %bb.601:
	s_mov_b32 s7, 0
	s_lshl_b64 s[2:3], s[6:7], 3
	v_mul_u32_u24_e32 v1, 0x68, v0
	s_add_u32 s2, s4, s2
	s_movk_i32 s4, 0x68
	ds_write2_b64 v1, v[2:3], v[82:83] offset1:1
	ds_write2_b64 v1, v[74:75], v[42:43] offset0:2 offset1:3
	ds_write2_b64 v1, v[76:77], v[38:39] offset0:4 offset1:5
	ds_write2_b64 v1, v[78:79], v[34:35] offset0:6 offset1:7
	ds_write2_b64 v1, v[80:81], v[30:31] offset0:8 offset1:9
	ds_write2_b64 v1, v[26:27], v[72:73] offset0:10 offset1:11
	ds_write_b64 v1, v[50:51] offset:96
	v_mul_i32_i24_e32 v1, 0xffffffa0, v0
	s_waitcnt lgkmcnt(7)
	v_mad_u32_u24 v4, v0, s4, v1
	s_addc_u32 s3, s5, s3
	s_waitcnt lgkmcnt(0)
	; wave barrier
	s_waitcnt lgkmcnt(0)
	ds_read2st64_b64 v[0:3], v4 offset1:1
	ds_read2st64_b64 v[8:11], v4 offset0:2 offset1:3
	ds_read2st64_b64 v[12:15], v4 offset0:4 offset1:5
	;; [unrolled: 1-line block ×5, first 2 shown]
	ds_read_b64 v[6:7], v4 offset:6144
	v_mov_b32_e32 v49, 0
	v_lshl_add_u64 v[24:25], s[2:3], 0, v[48:49]
	s_waitcnt lgkmcnt(6)
	global_store_dwordx2 v48, v[0:1], s[2:3]
	global_store_dwordx2 v48, v[2:3], s[2:3] offset:512
	s_waitcnt lgkmcnt(5)
	global_store_dwordx2 v48, v[8:9], s[2:3] offset:1024
	global_store_dwordx2 v48, v[10:11], s[2:3] offset:1536
	s_waitcnt lgkmcnt(4)
	global_store_dwordx2 v48, v[12:13], s[2:3] offset:2048
	;; [unrolled: 3-line block ×3, first 2 shown]
	global_store_dwordx2 v48, v[18:19], s[2:3] offset:3584
	v_add_co_u32_e32 v0, vcc, 0x1000, v24
	s_or_b64 s[0:1], s[0:1], exec
	s_nop 0
	v_addc_co_u32_e32 v1, vcc, 0, v25, vcc
	s_waitcnt lgkmcnt(2)
	global_store_dwordx2 v[0:1], v[20:21], off
	global_store_dwordx2 v[0:1], v[22:23], off offset:512
	s_waitcnt lgkmcnt(1)
	global_store_dwordx2 v[0:1], v[26:27], off offset:1024
	global_store_dwordx2 v[0:1], v[28:29], off offset:1536
.LBB667_602:
	s_and_saveexec_b64 s[2:3], s[0:1]
	s_cbranch_execnz .LBB667_604
; %bb.603:
	s_endpgm
.LBB667_604:
	v_add_co_u32_e32 v0, vcc, 0x1000, v24
	s_nop 1
	v_addc_co_u32_e32 v1, vcc, 0, v25, vcc
	s_waitcnt lgkmcnt(0)
	global_store_dwordx2 v[0:1], v[6:7], off offset:2048
	s_endpgm
	.section	.rodata,"a",@progbits
	.p2align	6, 0x0
	.amdhsa_kernel _ZN7rocprim17ROCPRIM_400000_NS6detail17trampoline_kernelINS0_14default_configENS1_35adjacent_difference_config_selectorILb0ElEEZNS1_24adjacent_difference_implIS3_Lb0ELb0EPlS7_ZN2at6native12_GLOBAL__N_124unique_dim_cuda_templateIsEESt5tupleIJNS8_6TensorESD_SD_EERKSD_lbbbEUlllE1_EE10hipError_tPvRmT2_T3_mT4_P12ihipStream_tbEUlT_E_NS1_11comp_targetILNS1_3genE5ELNS1_11target_archE942ELNS1_3gpuE9ELNS1_3repE0EEENS1_30default_config_static_selectorELNS0_4arch9wavefront6targetE1EEEvT1_
		.amdhsa_group_segment_fixed_size 6656
		.amdhsa_private_segment_fixed_size 0
		.amdhsa_kernarg_size 64
		.amdhsa_user_sgpr_count 2
		.amdhsa_user_sgpr_dispatch_ptr 0
		.amdhsa_user_sgpr_queue_ptr 0
		.amdhsa_user_sgpr_kernarg_segment_ptr 1
		.amdhsa_user_sgpr_dispatch_id 0
		.amdhsa_user_sgpr_kernarg_preload_length 0
		.amdhsa_user_sgpr_kernarg_preload_offset 0
		.amdhsa_user_sgpr_private_segment_size 0
		.amdhsa_uses_dynamic_stack 0
		.amdhsa_enable_private_segment 0
		.amdhsa_system_sgpr_workgroup_id_x 1
		.amdhsa_system_sgpr_workgroup_id_y 0
		.amdhsa_system_sgpr_workgroup_id_z 0
		.amdhsa_system_sgpr_workgroup_info 0
		.amdhsa_system_vgpr_workitem_id 0
		.amdhsa_next_free_vgpr 84
		.amdhsa_next_free_sgpr 38
		.amdhsa_accum_offset 84
		.amdhsa_reserve_vcc 1
		.amdhsa_float_round_mode_32 0
		.amdhsa_float_round_mode_16_64 0
		.amdhsa_float_denorm_mode_32 3
		.amdhsa_float_denorm_mode_16_64 3
		.amdhsa_dx10_clamp 1
		.amdhsa_ieee_mode 1
		.amdhsa_fp16_overflow 0
		.amdhsa_tg_split 0
		.amdhsa_exception_fp_ieee_invalid_op 0
		.amdhsa_exception_fp_denorm_src 0
		.amdhsa_exception_fp_ieee_div_zero 0
		.amdhsa_exception_fp_ieee_overflow 0
		.amdhsa_exception_fp_ieee_underflow 0
		.amdhsa_exception_fp_ieee_inexact 0
		.amdhsa_exception_int_div_zero 0
	.end_amdhsa_kernel
	.section	.text._ZN7rocprim17ROCPRIM_400000_NS6detail17trampoline_kernelINS0_14default_configENS1_35adjacent_difference_config_selectorILb0ElEEZNS1_24adjacent_difference_implIS3_Lb0ELb0EPlS7_ZN2at6native12_GLOBAL__N_124unique_dim_cuda_templateIsEESt5tupleIJNS8_6TensorESD_SD_EERKSD_lbbbEUlllE1_EE10hipError_tPvRmT2_T3_mT4_P12ihipStream_tbEUlT_E_NS1_11comp_targetILNS1_3genE5ELNS1_11target_archE942ELNS1_3gpuE9ELNS1_3repE0EEENS1_30default_config_static_selectorELNS0_4arch9wavefront6targetE1EEEvT1_,"axG",@progbits,_ZN7rocprim17ROCPRIM_400000_NS6detail17trampoline_kernelINS0_14default_configENS1_35adjacent_difference_config_selectorILb0ElEEZNS1_24adjacent_difference_implIS3_Lb0ELb0EPlS7_ZN2at6native12_GLOBAL__N_124unique_dim_cuda_templateIsEESt5tupleIJNS8_6TensorESD_SD_EERKSD_lbbbEUlllE1_EE10hipError_tPvRmT2_T3_mT4_P12ihipStream_tbEUlT_E_NS1_11comp_targetILNS1_3genE5ELNS1_11target_archE942ELNS1_3gpuE9ELNS1_3repE0EEENS1_30default_config_static_selectorELNS0_4arch9wavefront6targetE1EEEvT1_,comdat
.Lfunc_end667:
	.size	_ZN7rocprim17ROCPRIM_400000_NS6detail17trampoline_kernelINS0_14default_configENS1_35adjacent_difference_config_selectorILb0ElEEZNS1_24adjacent_difference_implIS3_Lb0ELb0EPlS7_ZN2at6native12_GLOBAL__N_124unique_dim_cuda_templateIsEESt5tupleIJNS8_6TensorESD_SD_EERKSD_lbbbEUlllE1_EE10hipError_tPvRmT2_T3_mT4_P12ihipStream_tbEUlT_E_NS1_11comp_targetILNS1_3genE5ELNS1_11target_archE942ELNS1_3gpuE9ELNS1_3repE0EEENS1_30default_config_static_selectorELNS0_4arch9wavefront6targetE1EEEvT1_, .Lfunc_end667-_ZN7rocprim17ROCPRIM_400000_NS6detail17trampoline_kernelINS0_14default_configENS1_35adjacent_difference_config_selectorILb0ElEEZNS1_24adjacent_difference_implIS3_Lb0ELb0EPlS7_ZN2at6native12_GLOBAL__N_124unique_dim_cuda_templateIsEESt5tupleIJNS8_6TensorESD_SD_EERKSD_lbbbEUlllE1_EE10hipError_tPvRmT2_T3_mT4_P12ihipStream_tbEUlT_E_NS1_11comp_targetILNS1_3genE5ELNS1_11target_archE942ELNS1_3gpuE9ELNS1_3repE0EEENS1_30default_config_static_selectorELNS0_4arch9wavefront6targetE1EEEvT1_
                                        ; -- End function
	.section	.AMDGPU.csdata,"",@progbits
; Kernel info:
; codeLenInByte = 18140
; NumSgprs: 44
; NumVgprs: 84
; NumAgprs: 0
; TotalNumVgprs: 84
; ScratchSize: 0
; MemoryBound: 0
; FloatMode: 240
; IeeeMode: 1
; LDSByteSize: 6656 bytes/workgroup (compile time only)
; SGPRBlocks: 5
; VGPRBlocks: 10
; NumSGPRsForWavesPerEU: 44
; NumVGPRsForWavesPerEU: 84
; AccumOffset: 84
; Occupancy: 3
; WaveLimiterHint : 1
; COMPUTE_PGM_RSRC2:SCRATCH_EN: 0
; COMPUTE_PGM_RSRC2:USER_SGPR: 2
; COMPUTE_PGM_RSRC2:TRAP_HANDLER: 0
; COMPUTE_PGM_RSRC2:TGID_X_EN: 1
; COMPUTE_PGM_RSRC2:TGID_Y_EN: 0
; COMPUTE_PGM_RSRC2:TGID_Z_EN: 0
; COMPUTE_PGM_RSRC2:TIDIG_COMP_CNT: 0
; COMPUTE_PGM_RSRC3_GFX90A:ACCUM_OFFSET: 20
; COMPUTE_PGM_RSRC3_GFX90A:TG_SPLIT: 0
	.section	.text._ZN7rocprim17ROCPRIM_400000_NS6detail17trampoline_kernelINS0_14default_configENS1_35adjacent_difference_config_selectorILb0ElEEZNS1_24adjacent_difference_implIS3_Lb0ELb0EPlS7_ZN2at6native12_GLOBAL__N_124unique_dim_cuda_templateIsEESt5tupleIJNS8_6TensorESD_SD_EERKSD_lbbbEUlllE1_EE10hipError_tPvRmT2_T3_mT4_P12ihipStream_tbEUlT_E_NS1_11comp_targetILNS1_3genE4ELNS1_11target_archE910ELNS1_3gpuE8ELNS1_3repE0EEENS1_30default_config_static_selectorELNS0_4arch9wavefront6targetE1EEEvT1_,"axG",@progbits,_ZN7rocprim17ROCPRIM_400000_NS6detail17trampoline_kernelINS0_14default_configENS1_35adjacent_difference_config_selectorILb0ElEEZNS1_24adjacent_difference_implIS3_Lb0ELb0EPlS7_ZN2at6native12_GLOBAL__N_124unique_dim_cuda_templateIsEESt5tupleIJNS8_6TensorESD_SD_EERKSD_lbbbEUlllE1_EE10hipError_tPvRmT2_T3_mT4_P12ihipStream_tbEUlT_E_NS1_11comp_targetILNS1_3genE4ELNS1_11target_archE910ELNS1_3gpuE8ELNS1_3repE0EEENS1_30default_config_static_selectorELNS0_4arch9wavefront6targetE1EEEvT1_,comdat
	.globl	_ZN7rocprim17ROCPRIM_400000_NS6detail17trampoline_kernelINS0_14default_configENS1_35adjacent_difference_config_selectorILb0ElEEZNS1_24adjacent_difference_implIS3_Lb0ELb0EPlS7_ZN2at6native12_GLOBAL__N_124unique_dim_cuda_templateIsEESt5tupleIJNS8_6TensorESD_SD_EERKSD_lbbbEUlllE1_EE10hipError_tPvRmT2_T3_mT4_P12ihipStream_tbEUlT_E_NS1_11comp_targetILNS1_3genE4ELNS1_11target_archE910ELNS1_3gpuE8ELNS1_3repE0EEENS1_30default_config_static_selectorELNS0_4arch9wavefront6targetE1EEEvT1_ ; -- Begin function _ZN7rocprim17ROCPRIM_400000_NS6detail17trampoline_kernelINS0_14default_configENS1_35adjacent_difference_config_selectorILb0ElEEZNS1_24adjacent_difference_implIS3_Lb0ELb0EPlS7_ZN2at6native12_GLOBAL__N_124unique_dim_cuda_templateIsEESt5tupleIJNS8_6TensorESD_SD_EERKSD_lbbbEUlllE1_EE10hipError_tPvRmT2_T3_mT4_P12ihipStream_tbEUlT_E_NS1_11comp_targetILNS1_3genE4ELNS1_11target_archE910ELNS1_3gpuE8ELNS1_3repE0EEENS1_30default_config_static_selectorELNS0_4arch9wavefront6targetE1EEEvT1_
	.p2align	8
	.type	_ZN7rocprim17ROCPRIM_400000_NS6detail17trampoline_kernelINS0_14default_configENS1_35adjacent_difference_config_selectorILb0ElEEZNS1_24adjacent_difference_implIS3_Lb0ELb0EPlS7_ZN2at6native12_GLOBAL__N_124unique_dim_cuda_templateIsEESt5tupleIJNS8_6TensorESD_SD_EERKSD_lbbbEUlllE1_EE10hipError_tPvRmT2_T3_mT4_P12ihipStream_tbEUlT_E_NS1_11comp_targetILNS1_3genE4ELNS1_11target_archE910ELNS1_3gpuE8ELNS1_3repE0EEENS1_30default_config_static_selectorELNS0_4arch9wavefront6targetE1EEEvT1_,@function
_ZN7rocprim17ROCPRIM_400000_NS6detail17trampoline_kernelINS0_14default_configENS1_35adjacent_difference_config_selectorILb0ElEEZNS1_24adjacent_difference_implIS3_Lb0ELb0EPlS7_ZN2at6native12_GLOBAL__N_124unique_dim_cuda_templateIsEESt5tupleIJNS8_6TensorESD_SD_EERKSD_lbbbEUlllE1_EE10hipError_tPvRmT2_T3_mT4_P12ihipStream_tbEUlT_E_NS1_11comp_targetILNS1_3genE4ELNS1_11target_archE910ELNS1_3gpuE8ELNS1_3repE0EEENS1_30default_config_static_selectorELNS0_4arch9wavefront6targetE1EEEvT1_: ; @_ZN7rocprim17ROCPRIM_400000_NS6detail17trampoline_kernelINS0_14default_configENS1_35adjacent_difference_config_selectorILb0ElEEZNS1_24adjacent_difference_implIS3_Lb0ELb0EPlS7_ZN2at6native12_GLOBAL__N_124unique_dim_cuda_templateIsEESt5tupleIJNS8_6TensorESD_SD_EERKSD_lbbbEUlllE1_EE10hipError_tPvRmT2_T3_mT4_P12ihipStream_tbEUlT_E_NS1_11comp_targetILNS1_3genE4ELNS1_11target_archE910ELNS1_3gpuE8ELNS1_3repE0EEENS1_30default_config_static_selectorELNS0_4arch9wavefront6targetE1EEEvT1_
; %bb.0:
	.section	.rodata,"a",@progbits
	.p2align	6, 0x0
	.amdhsa_kernel _ZN7rocprim17ROCPRIM_400000_NS6detail17trampoline_kernelINS0_14default_configENS1_35adjacent_difference_config_selectorILb0ElEEZNS1_24adjacent_difference_implIS3_Lb0ELb0EPlS7_ZN2at6native12_GLOBAL__N_124unique_dim_cuda_templateIsEESt5tupleIJNS8_6TensorESD_SD_EERKSD_lbbbEUlllE1_EE10hipError_tPvRmT2_T3_mT4_P12ihipStream_tbEUlT_E_NS1_11comp_targetILNS1_3genE4ELNS1_11target_archE910ELNS1_3gpuE8ELNS1_3repE0EEENS1_30default_config_static_selectorELNS0_4arch9wavefront6targetE1EEEvT1_
		.amdhsa_group_segment_fixed_size 0
		.amdhsa_private_segment_fixed_size 0
		.amdhsa_kernarg_size 64
		.amdhsa_user_sgpr_count 2
		.amdhsa_user_sgpr_dispatch_ptr 0
		.amdhsa_user_sgpr_queue_ptr 0
		.amdhsa_user_sgpr_kernarg_segment_ptr 1
		.amdhsa_user_sgpr_dispatch_id 0
		.amdhsa_user_sgpr_kernarg_preload_length 0
		.amdhsa_user_sgpr_kernarg_preload_offset 0
		.amdhsa_user_sgpr_private_segment_size 0
		.amdhsa_uses_dynamic_stack 0
		.amdhsa_enable_private_segment 0
		.amdhsa_system_sgpr_workgroup_id_x 1
		.amdhsa_system_sgpr_workgroup_id_y 0
		.amdhsa_system_sgpr_workgroup_id_z 0
		.amdhsa_system_sgpr_workgroup_info 0
		.amdhsa_system_vgpr_workitem_id 0
		.amdhsa_next_free_vgpr 1
		.amdhsa_next_free_sgpr 0
		.amdhsa_accum_offset 4
		.amdhsa_reserve_vcc 0
		.amdhsa_float_round_mode_32 0
		.amdhsa_float_round_mode_16_64 0
		.amdhsa_float_denorm_mode_32 3
		.amdhsa_float_denorm_mode_16_64 3
		.amdhsa_dx10_clamp 1
		.amdhsa_ieee_mode 1
		.amdhsa_fp16_overflow 0
		.amdhsa_tg_split 0
		.amdhsa_exception_fp_ieee_invalid_op 0
		.amdhsa_exception_fp_denorm_src 0
		.amdhsa_exception_fp_ieee_div_zero 0
		.amdhsa_exception_fp_ieee_overflow 0
		.amdhsa_exception_fp_ieee_underflow 0
		.amdhsa_exception_fp_ieee_inexact 0
		.amdhsa_exception_int_div_zero 0
	.end_amdhsa_kernel
	.section	.text._ZN7rocprim17ROCPRIM_400000_NS6detail17trampoline_kernelINS0_14default_configENS1_35adjacent_difference_config_selectorILb0ElEEZNS1_24adjacent_difference_implIS3_Lb0ELb0EPlS7_ZN2at6native12_GLOBAL__N_124unique_dim_cuda_templateIsEESt5tupleIJNS8_6TensorESD_SD_EERKSD_lbbbEUlllE1_EE10hipError_tPvRmT2_T3_mT4_P12ihipStream_tbEUlT_E_NS1_11comp_targetILNS1_3genE4ELNS1_11target_archE910ELNS1_3gpuE8ELNS1_3repE0EEENS1_30default_config_static_selectorELNS0_4arch9wavefront6targetE1EEEvT1_,"axG",@progbits,_ZN7rocprim17ROCPRIM_400000_NS6detail17trampoline_kernelINS0_14default_configENS1_35adjacent_difference_config_selectorILb0ElEEZNS1_24adjacent_difference_implIS3_Lb0ELb0EPlS7_ZN2at6native12_GLOBAL__N_124unique_dim_cuda_templateIsEESt5tupleIJNS8_6TensorESD_SD_EERKSD_lbbbEUlllE1_EE10hipError_tPvRmT2_T3_mT4_P12ihipStream_tbEUlT_E_NS1_11comp_targetILNS1_3genE4ELNS1_11target_archE910ELNS1_3gpuE8ELNS1_3repE0EEENS1_30default_config_static_selectorELNS0_4arch9wavefront6targetE1EEEvT1_,comdat
.Lfunc_end668:
	.size	_ZN7rocprim17ROCPRIM_400000_NS6detail17trampoline_kernelINS0_14default_configENS1_35adjacent_difference_config_selectorILb0ElEEZNS1_24adjacent_difference_implIS3_Lb0ELb0EPlS7_ZN2at6native12_GLOBAL__N_124unique_dim_cuda_templateIsEESt5tupleIJNS8_6TensorESD_SD_EERKSD_lbbbEUlllE1_EE10hipError_tPvRmT2_T3_mT4_P12ihipStream_tbEUlT_E_NS1_11comp_targetILNS1_3genE4ELNS1_11target_archE910ELNS1_3gpuE8ELNS1_3repE0EEENS1_30default_config_static_selectorELNS0_4arch9wavefront6targetE1EEEvT1_, .Lfunc_end668-_ZN7rocprim17ROCPRIM_400000_NS6detail17trampoline_kernelINS0_14default_configENS1_35adjacent_difference_config_selectorILb0ElEEZNS1_24adjacent_difference_implIS3_Lb0ELb0EPlS7_ZN2at6native12_GLOBAL__N_124unique_dim_cuda_templateIsEESt5tupleIJNS8_6TensorESD_SD_EERKSD_lbbbEUlllE1_EE10hipError_tPvRmT2_T3_mT4_P12ihipStream_tbEUlT_E_NS1_11comp_targetILNS1_3genE4ELNS1_11target_archE910ELNS1_3gpuE8ELNS1_3repE0EEENS1_30default_config_static_selectorELNS0_4arch9wavefront6targetE1EEEvT1_
                                        ; -- End function
	.section	.AMDGPU.csdata,"",@progbits
; Kernel info:
; codeLenInByte = 0
; NumSgprs: 6
; NumVgprs: 0
; NumAgprs: 0
; TotalNumVgprs: 0
; ScratchSize: 0
; MemoryBound: 0
; FloatMode: 240
; IeeeMode: 1
; LDSByteSize: 0 bytes/workgroup (compile time only)
; SGPRBlocks: 0
; VGPRBlocks: 0
; NumSGPRsForWavesPerEU: 6
; NumVGPRsForWavesPerEU: 1
; AccumOffset: 4
; Occupancy: 8
; WaveLimiterHint : 0
; COMPUTE_PGM_RSRC2:SCRATCH_EN: 0
; COMPUTE_PGM_RSRC2:USER_SGPR: 2
; COMPUTE_PGM_RSRC2:TRAP_HANDLER: 0
; COMPUTE_PGM_RSRC2:TGID_X_EN: 1
; COMPUTE_PGM_RSRC2:TGID_Y_EN: 0
; COMPUTE_PGM_RSRC2:TGID_Z_EN: 0
; COMPUTE_PGM_RSRC2:TIDIG_COMP_CNT: 0
; COMPUTE_PGM_RSRC3_GFX90A:ACCUM_OFFSET: 0
; COMPUTE_PGM_RSRC3_GFX90A:TG_SPLIT: 0
	.section	.text._ZN7rocprim17ROCPRIM_400000_NS6detail17trampoline_kernelINS0_14default_configENS1_35adjacent_difference_config_selectorILb0ElEEZNS1_24adjacent_difference_implIS3_Lb0ELb0EPlS7_ZN2at6native12_GLOBAL__N_124unique_dim_cuda_templateIsEESt5tupleIJNS8_6TensorESD_SD_EERKSD_lbbbEUlllE1_EE10hipError_tPvRmT2_T3_mT4_P12ihipStream_tbEUlT_E_NS1_11comp_targetILNS1_3genE3ELNS1_11target_archE908ELNS1_3gpuE7ELNS1_3repE0EEENS1_30default_config_static_selectorELNS0_4arch9wavefront6targetE1EEEvT1_,"axG",@progbits,_ZN7rocprim17ROCPRIM_400000_NS6detail17trampoline_kernelINS0_14default_configENS1_35adjacent_difference_config_selectorILb0ElEEZNS1_24adjacent_difference_implIS3_Lb0ELb0EPlS7_ZN2at6native12_GLOBAL__N_124unique_dim_cuda_templateIsEESt5tupleIJNS8_6TensorESD_SD_EERKSD_lbbbEUlllE1_EE10hipError_tPvRmT2_T3_mT4_P12ihipStream_tbEUlT_E_NS1_11comp_targetILNS1_3genE3ELNS1_11target_archE908ELNS1_3gpuE7ELNS1_3repE0EEENS1_30default_config_static_selectorELNS0_4arch9wavefront6targetE1EEEvT1_,comdat
	.globl	_ZN7rocprim17ROCPRIM_400000_NS6detail17trampoline_kernelINS0_14default_configENS1_35adjacent_difference_config_selectorILb0ElEEZNS1_24adjacent_difference_implIS3_Lb0ELb0EPlS7_ZN2at6native12_GLOBAL__N_124unique_dim_cuda_templateIsEESt5tupleIJNS8_6TensorESD_SD_EERKSD_lbbbEUlllE1_EE10hipError_tPvRmT2_T3_mT4_P12ihipStream_tbEUlT_E_NS1_11comp_targetILNS1_3genE3ELNS1_11target_archE908ELNS1_3gpuE7ELNS1_3repE0EEENS1_30default_config_static_selectorELNS0_4arch9wavefront6targetE1EEEvT1_ ; -- Begin function _ZN7rocprim17ROCPRIM_400000_NS6detail17trampoline_kernelINS0_14default_configENS1_35adjacent_difference_config_selectorILb0ElEEZNS1_24adjacent_difference_implIS3_Lb0ELb0EPlS7_ZN2at6native12_GLOBAL__N_124unique_dim_cuda_templateIsEESt5tupleIJNS8_6TensorESD_SD_EERKSD_lbbbEUlllE1_EE10hipError_tPvRmT2_T3_mT4_P12ihipStream_tbEUlT_E_NS1_11comp_targetILNS1_3genE3ELNS1_11target_archE908ELNS1_3gpuE7ELNS1_3repE0EEENS1_30default_config_static_selectorELNS0_4arch9wavefront6targetE1EEEvT1_
	.p2align	8
	.type	_ZN7rocprim17ROCPRIM_400000_NS6detail17trampoline_kernelINS0_14default_configENS1_35adjacent_difference_config_selectorILb0ElEEZNS1_24adjacent_difference_implIS3_Lb0ELb0EPlS7_ZN2at6native12_GLOBAL__N_124unique_dim_cuda_templateIsEESt5tupleIJNS8_6TensorESD_SD_EERKSD_lbbbEUlllE1_EE10hipError_tPvRmT2_T3_mT4_P12ihipStream_tbEUlT_E_NS1_11comp_targetILNS1_3genE3ELNS1_11target_archE908ELNS1_3gpuE7ELNS1_3repE0EEENS1_30default_config_static_selectorELNS0_4arch9wavefront6targetE1EEEvT1_,@function
_ZN7rocprim17ROCPRIM_400000_NS6detail17trampoline_kernelINS0_14default_configENS1_35adjacent_difference_config_selectorILb0ElEEZNS1_24adjacent_difference_implIS3_Lb0ELb0EPlS7_ZN2at6native12_GLOBAL__N_124unique_dim_cuda_templateIsEESt5tupleIJNS8_6TensorESD_SD_EERKSD_lbbbEUlllE1_EE10hipError_tPvRmT2_T3_mT4_P12ihipStream_tbEUlT_E_NS1_11comp_targetILNS1_3genE3ELNS1_11target_archE908ELNS1_3gpuE7ELNS1_3repE0EEENS1_30default_config_static_selectorELNS0_4arch9wavefront6targetE1EEEvT1_: ; @_ZN7rocprim17ROCPRIM_400000_NS6detail17trampoline_kernelINS0_14default_configENS1_35adjacent_difference_config_selectorILb0ElEEZNS1_24adjacent_difference_implIS3_Lb0ELb0EPlS7_ZN2at6native12_GLOBAL__N_124unique_dim_cuda_templateIsEESt5tupleIJNS8_6TensorESD_SD_EERKSD_lbbbEUlllE1_EE10hipError_tPvRmT2_T3_mT4_P12ihipStream_tbEUlT_E_NS1_11comp_targetILNS1_3genE3ELNS1_11target_archE908ELNS1_3gpuE7ELNS1_3repE0EEENS1_30default_config_static_selectorELNS0_4arch9wavefront6targetE1EEEvT1_
; %bb.0:
	.section	.rodata,"a",@progbits
	.p2align	6, 0x0
	.amdhsa_kernel _ZN7rocprim17ROCPRIM_400000_NS6detail17trampoline_kernelINS0_14default_configENS1_35adjacent_difference_config_selectorILb0ElEEZNS1_24adjacent_difference_implIS3_Lb0ELb0EPlS7_ZN2at6native12_GLOBAL__N_124unique_dim_cuda_templateIsEESt5tupleIJNS8_6TensorESD_SD_EERKSD_lbbbEUlllE1_EE10hipError_tPvRmT2_T3_mT4_P12ihipStream_tbEUlT_E_NS1_11comp_targetILNS1_3genE3ELNS1_11target_archE908ELNS1_3gpuE7ELNS1_3repE0EEENS1_30default_config_static_selectorELNS0_4arch9wavefront6targetE1EEEvT1_
		.amdhsa_group_segment_fixed_size 0
		.amdhsa_private_segment_fixed_size 0
		.amdhsa_kernarg_size 64
		.amdhsa_user_sgpr_count 2
		.amdhsa_user_sgpr_dispatch_ptr 0
		.amdhsa_user_sgpr_queue_ptr 0
		.amdhsa_user_sgpr_kernarg_segment_ptr 1
		.amdhsa_user_sgpr_dispatch_id 0
		.amdhsa_user_sgpr_kernarg_preload_length 0
		.amdhsa_user_sgpr_kernarg_preload_offset 0
		.amdhsa_user_sgpr_private_segment_size 0
		.amdhsa_uses_dynamic_stack 0
		.amdhsa_enable_private_segment 0
		.amdhsa_system_sgpr_workgroup_id_x 1
		.amdhsa_system_sgpr_workgroup_id_y 0
		.amdhsa_system_sgpr_workgroup_id_z 0
		.amdhsa_system_sgpr_workgroup_info 0
		.amdhsa_system_vgpr_workitem_id 0
		.amdhsa_next_free_vgpr 1
		.amdhsa_next_free_sgpr 0
		.amdhsa_accum_offset 4
		.amdhsa_reserve_vcc 0
		.amdhsa_float_round_mode_32 0
		.amdhsa_float_round_mode_16_64 0
		.amdhsa_float_denorm_mode_32 3
		.amdhsa_float_denorm_mode_16_64 3
		.amdhsa_dx10_clamp 1
		.amdhsa_ieee_mode 1
		.amdhsa_fp16_overflow 0
		.amdhsa_tg_split 0
		.amdhsa_exception_fp_ieee_invalid_op 0
		.amdhsa_exception_fp_denorm_src 0
		.amdhsa_exception_fp_ieee_div_zero 0
		.amdhsa_exception_fp_ieee_overflow 0
		.amdhsa_exception_fp_ieee_underflow 0
		.amdhsa_exception_fp_ieee_inexact 0
		.amdhsa_exception_int_div_zero 0
	.end_amdhsa_kernel
	.section	.text._ZN7rocprim17ROCPRIM_400000_NS6detail17trampoline_kernelINS0_14default_configENS1_35adjacent_difference_config_selectorILb0ElEEZNS1_24adjacent_difference_implIS3_Lb0ELb0EPlS7_ZN2at6native12_GLOBAL__N_124unique_dim_cuda_templateIsEESt5tupleIJNS8_6TensorESD_SD_EERKSD_lbbbEUlllE1_EE10hipError_tPvRmT2_T3_mT4_P12ihipStream_tbEUlT_E_NS1_11comp_targetILNS1_3genE3ELNS1_11target_archE908ELNS1_3gpuE7ELNS1_3repE0EEENS1_30default_config_static_selectorELNS0_4arch9wavefront6targetE1EEEvT1_,"axG",@progbits,_ZN7rocprim17ROCPRIM_400000_NS6detail17trampoline_kernelINS0_14default_configENS1_35adjacent_difference_config_selectorILb0ElEEZNS1_24adjacent_difference_implIS3_Lb0ELb0EPlS7_ZN2at6native12_GLOBAL__N_124unique_dim_cuda_templateIsEESt5tupleIJNS8_6TensorESD_SD_EERKSD_lbbbEUlllE1_EE10hipError_tPvRmT2_T3_mT4_P12ihipStream_tbEUlT_E_NS1_11comp_targetILNS1_3genE3ELNS1_11target_archE908ELNS1_3gpuE7ELNS1_3repE0EEENS1_30default_config_static_selectorELNS0_4arch9wavefront6targetE1EEEvT1_,comdat
.Lfunc_end669:
	.size	_ZN7rocprim17ROCPRIM_400000_NS6detail17trampoline_kernelINS0_14default_configENS1_35adjacent_difference_config_selectorILb0ElEEZNS1_24adjacent_difference_implIS3_Lb0ELb0EPlS7_ZN2at6native12_GLOBAL__N_124unique_dim_cuda_templateIsEESt5tupleIJNS8_6TensorESD_SD_EERKSD_lbbbEUlllE1_EE10hipError_tPvRmT2_T3_mT4_P12ihipStream_tbEUlT_E_NS1_11comp_targetILNS1_3genE3ELNS1_11target_archE908ELNS1_3gpuE7ELNS1_3repE0EEENS1_30default_config_static_selectorELNS0_4arch9wavefront6targetE1EEEvT1_, .Lfunc_end669-_ZN7rocprim17ROCPRIM_400000_NS6detail17trampoline_kernelINS0_14default_configENS1_35adjacent_difference_config_selectorILb0ElEEZNS1_24adjacent_difference_implIS3_Lb0ELb0EPlS7_ZN2at6native12_GLOBAL__N_124unique_dim_cuda_templateIsEESt5tupleIJNS8_6TensorESD_SD_EERKSD_lbbbEUlllE1_EE10hipError_tPvRmT2_T3_mT4_P12ihipStream_tbEUlT_E_NS1_11comp_targetILNS1_3genE3ELNS1_11target_archE908ELNS1_3gpuE7ELNS1_3repE0EEENS1_30default_config_static_selectorELNS0_4arch9wavefront6targetE1EEEvT1_
                                        ; -- End function
	.section	.AMDGPU.csdata,"",@progbits
; Kernel info:
; codeLenInByte = 0
; NumSgprs: 6
; NumVgprs: 0
; NumAgprs: 0
; TotalNumVgprs: 0
; ScratchSize: 0
; MemoryBound: 0
; FloatMode: 240
; IeeeMode: 1
; LDSByteSize: 0 bytes/workgroup (compile time only)
; SGPRBlocks: 0
; VGPRBlocks: 0
; NumSGPRsForWavesPerEU: 6
; NumVGPRsForWavesPerEU: 1
; AccumOffset: 4
; Occupancy: 8
; WaveLimiterHint : 0
; COMPUTE_PGM_RSRC2:SCRATCH_EN: 0
; COMPUTE_PGM_RSRC2:USER_SGPR: 2
; COMPUTE_PGM_RSRC2:TRAP_HANDLER: 0
; COMPUTE_PGM_RSRC2:TGID_X_EN: 1
; COMPUTE_PGM_RSRC2:TGID_Y_EN: 0
; COMPUTE_PGM_RSRC2:TGID_Z_EN: 0
; COMPUTE_PGM_RSRC2:TIDIG_COMP_CNT: 0
; COMPUTE_PGM_RSRC3_GFX90A:ACCUM_OFFSET: 0
; COMPUTE_PGM_RSRC3_GFX90A:TG_SPLIT: 0
	.section	.text._ZN7rocprim17ROCPRIM_400000_NS6detail17trampoline_kernelINS0_14default_configENS1_35adjacent_difference_config_selectorILb0ElEEZNS1_24adjacent_difference_implIS3_Lb0ELb0EPlS7_ZN2at6native12_GLOBAL__N_124unique_dim_cuda_templateIsEESt5tupleIJNS8_6TensorESD_SD_EERKSD_lbbbEUlllE1_EE10hipError_tPvRmT2_T3_mT4_P12ihipStream_tbEUlT_E_NS1_11comp_targetILNS1_3genE2ELNS1_11target_archE906ELNS1_3gpuE6ELNS1_3repE0EEENS1_30default_config_static_selectorELNS0_4arch9wavefront6targetE1EEEvT1_,"axG",@progbits,_ZN7rocprim17ROCPRIM_400000_NS6detail17trampoline_kernelINS0_14default_configENS1_35adjacent_difference_config_selectorILb0ElEEZNS1_24adjacent_difference_implIS3_Lb0ELb0EPlS7_ZN2at6native12_GLOBAL__N_124unique_dim_cuda_templateIsEESt5tupleIJNS8_6TensorESD_SD_EERKSD_lbbbEUlllE1_EE10hipError_tPvRmT2_T3_mT4_P12ihipStream_tbEUlT_E_NS1_11comp_targetILNS1_3genE2ELNS1_11target_archE906ELNS1_3gpuE6ELNS1_3repE0EEENS1_30default_config_static_selectorELNS0_4arch9wavefront6targetE1EEEvT1_,comdat
	.globl	_ZN7rocprim17ROCPRIM_400000_NS6detail17trampoline_kernelINS0_14default_configENS1_35adjacent_difference_config_selectorILb0ElEEZNS1_24adjacent_difference_implIS3_Lb0ELb0EPlS7_ZN2at6native12_GLOBAL__N_124unique_dim_cuda_templateIsEESt5tupleIJNS8_6TensorESD_SD_EERKSD_lbbbEUlllE1_EE10hipError_tPvRmT2_T3_mT4_P12ihipStream_tbEUlT_E_NS1_11comp_targetILNS1_3genE2ELNS1_11target_archE906ELNS1_3gpuE6ELNS1_3repE0EEENS1_30default_config_static_selectorELNS0_4arch9wavefront6targetE1EEEvT1_ ; -- Begin function _ZN7rocprim17ROCPRIM_400000_NS6detail17trampoline_kernelINS0_14default_configENS1_35adjacent_difference_config_selectorILb0ElEEZNS1_24adjacent_difference_implIS3_Lb0ELb0EPlS7_ZN2at6native12_GLOBAL__N_124unique_dim_cuda_templateIsEESt5tupleIJNS8_6TensorESD_SD_EERKSD_lbbbEUlllE1_EE10hipError_tPvRmT2_T3_mT4_P12ihipStream_tbEUlT_E_NS1_11comp_targetILNS1_3genE2ELNS1_11target_archE906ELNS1_3gpuE6ELNS1_3repE0EEENS1_30default_config_static_selectorELNS0_4arch9wavefront6targetE1EEEvT1_
	.p2align	8
	.type	_ZN7rocprim17ROCPRIM_400000_NS6detail17trampoline_kernelINS0_14default_configENS1_35adjacent_difference_config_selectorILb0ElEEZNS1_24adjacent_difference_implIS3_Lb0ELb0EPlS7_ZN2at6native12_GLOBAL__N_124unique_dim_cuda_templateIsEESt5tupleIJNS8_6TensorESD_SD_EERKSD_lbbbEUlllE1_EE10hipError_tPvRmT2_T3_mT4_P12ihipStream_tbEUlT_E_NS1_11comp_targetILNS1_3genE2ELNS1_11target_archE906ELNS1_3gpuE6ELNS1_3repE0EEENS1_30default_config_static_selectorELNS0_4arch9wavefront6targetE1EEEvT1_,@function
_ZN7rocprim17ROCPRIM_400000_NS6detail17trampoline_kernelINS0_14default_configENS1_35adjacent_difference_config_selectorILb0ElEEZNS1_24adjacent_difference_implIS3_Lb0ELb0EPlS7_ZN2at6native12_GLOBAL__N_124unique_dim_cuda_templateIsEESt5tupleIJNS8_6TensorESD_SD_EERKSD_lbbbEUlllE1_EE10hipError_tPvRmT2_T3_mT4_P12ihipStream_tbEUlT_E_NS1_11comp_targetILNS1_3genE2ELNS1_11target_archE906ELNS1_3gpuE6ELNS1_3repE0EEENS1_30default_config_static_selectorELNS0_4arch9wavefront6targetE1EEEvT1_: ; @_ZN7rocprim17ROCPRIM_400000_NS6detail17trampoline_kernelINS0_14default_configENS1_35adjacent_difference_config_selectorILb0ElEEZNS1_24adjacent_difference_implIS3_Lb0ELb0EPlS7_ZN2at6native12_GLOBAL__N_124unique_dim_cuda_templateIsEESt5tupleIJNS8_6TensorESD_SD_EERKSD_lbbbEUlllE1_EE10hipError_tPvRmT2_T3_mT4_P12ihipStream_tbEUlT_E_NS1_11comp_targetILNS1_3genE2ELNS1_11target_archE906ELNS1_3gpuE6ELNS1_3repE0EEENS1_30default_config_static_selectorELNS0_4arch9wavefront6targetE1EEEvT1_
; %bb.0:
	.section	.rodata,"a",@progbits
	.p2align	6, 0x0
	.amdhsa_kernel _ZN7rocprim17ROCPRIM_400000_NS6detail17trampoline_kernelINS0_14default_configENS1_35adjacent_difference_config_selectorILb0ElEEZNS1_24adjacent_difference_implIS3_Lb0ELb0EPlS7_ZN2at6native12_GLOBAL__N_124unique_dim_cuda_templateIsEESt5tupleIJNS8_6TensorESD_SD_EERKSD_lbbbEUlllE1_EE10hipError_tPvRmT2_T3_mT4_P12ihipStream_tbEUlT_E_NS1_11comp_targetILNS1_3genE2ELNS1_11target_archE906ELNS1_3gpuE6ELNS1_3repE0EEENS1_30default_config_static_selectorELNS0_4arch9wavefront6targetE1EEEvT1_
		.amdhsa_group_segment_fixed_size 0
		.amdhsa_private_segment_fixed_size 0
		.amdhsa_kernarg_size 64
		.amdhsa_user_sgpr_count 2
		.amdhsa_user_sgpr_dispatch_ptr 0
		.amdhsa_user_sgpr_queue_ptr 0
		.amdhsa_user_sgpr_kernarg_segment_ptr 1
		.amdhsa_user_sgpr_dispatch_id 0
		.amdhsa_user_sgpr_kernarg_preload_length 0
		.amdhsa_user_sgpr_kernarg_preload_offset 0
		.amdhsa_user_sgpr_private_segment_size 0
		.amdhsa_uses_dynamic_stack 0
		.amdhsa_enable_private_segment 0
		.amdhsa_system_sgpr_workgroup_id_x 1
		.amdhsa_system_sgpr_workgroup_id_y 0
		.amdhsa_system_sgpr_workgroup_id_z 0
		.amdhsa_system_sgpr_workgroup_info 0
		.amdhsa_system_vgpr_workitem_id 0
		.amdhsa_next_free_vgpr 1
		.amdhsa_next_free_sgpr 0
		.amdhsa_accum_offset 4
		.amdhsa_reserve_vcc 0
		.amdhsa_float_round_mode_32 0
		.amdhsa_float_round_mode_16_64 0
		.amdhsa_float_denorm_mode_32 3
		.amdhsa_float_denorm_mode_16_64 3
		.amdhsa_dx10_clamp 1
		.amdhsa_ieee_mode 1
		.amdhsa_fp16_overflow 0
		.amdhsa_tg_split 0
		.amdhsa_exception_fp_ieee_invalid_op 0
		.amdhsa_exception_fp_denorm_src 0
		.amdhsa_exception_fp_ieee_div_zero 0
		.amdhsa_exception_fp_ieee_overflow 0
		.amdhsa_exception_fp_ieee_underflow 0
		.amdhsa_exception_fp_ieee_inexact 0
		.amdhsa_exception_int_div_zero 0
	.end_amdhsa_kernel
	.section	.text._ZN7rocprim17ROCPRIM_400000_NS6detail17trampoline_kernelINS0_14default_configENS1_35adjacent_difference_config_selectorILb0ElEEZNS1_24adjacent_difference_implIS3_Lb0ELb0EPlS7_ZN2at6native12_GLOBAL__N_124unique_dim_cuda_templateIsEESt5tupleIJNS8_6TensorESD_SD_EERKSD_lbbbEUlllE1_EE10hipError_tPvRmT2_T3_mT4_P12ihipStream_tbEUlT_E_NS1_11comp_targetILNS1_3genE2ELNS1_11target_archE906ELNS1_3gpuE6ELNS1_3repE0EEENS1_30default_config_static_selectorELNS0_4arch9wavefront6targetE1EEEvT1_,"axG",@progbits,_ZN7rocprim17ROCPRIM_400000_NS6detail17trampoline_kernelINS0_14default_configENS1_35adjacent_difference_config_selectorILb0ElEEZNS1_24adjacent_difference_implIS3_Lb0ELb0EPlS7_ZN2at6native12_GLOBAL__N_124unique_dim_cuda_templateIsEESt5tupleIJNS8_6TensorESD_SD_EERKSD_lbbbEUlllE1_EE10hipError_tPvRmT2_T3_mT4_P12ihipStream_tbEUlT_E_NS1_11comp_targetILNS1_3genE2ELNS1_11target_archE906ELNS1_3gpuE6ELNS1_3repE0EEENS1_30default_config_static_selectorELNS0_4arch9wavefront6targetE1EEEvT1_,comdat
.Lfunc_end670:
	.size	_ZN7rocprim17ROCPRIM_400000_NS6detail17trampoline_kernelINS0_14default_configENS1_35adjacent_difference_config_selectorILb0ElEEZNS1_24adjacent_difference_implIS3_Lb0ELb0EPlS7_ZN2at6native12_GLOBAL__N_124unique_dim_cuda_templateIsEESt5tupleIJNS8_6TensorESD_SD_EERKSD_lbbbEUlllE1_EE10hipError_tPvRmT2_T3_mT4_P12ihipStream_tbEUlT_E_NS1_11comp_targetILNS1_3genE2ELNS1_11target_archE906ELNS1_3gpuE6ELNS1_3repE0EEENS1_30default_config_static_selectorELNS0_4arch9wavefront6targetE1EEEvT1_, .Lfunc_end670-_ZN7rocprim17ROCPRIM_400000_NS6detail17trampoline_kernelINS0_14default_configENS1_35adjacent_difference_config_selectorILb0ElEEZNS1_24adjacent_difference_implIS3_Lb0ELb0EPlS7_ZN2at6native12_GLOBAL__N_124unique_dim_cuda_templateIsEESt5tupleIJNS8_6TensorESD_SD_EERKSD_lbbbEUlllE1_EE10hipError_tPvRmT2_T3_mT4_P12ihipStream_tbEUlT_E_NS1_11comp_targetILNS1_3genE2ELNS1_11target_archE906ELNS1_3gpuE6ELNS1_3repE0EEENS1_30default_config_static_selectorELNS0_4arch9wavefront6targetE1EEEvT1_
                                        ; -- End function
	.section	.AMDGPU.csdata,"",@progbits
; Kernel info:
; codeLenInByte = 0
; NumSgprs: 6
; NumVgprs: 0
; NumAgprs: 0
; TotalNumVgprs: 0
; ScratchSize: 0
; MemoryBound: 0
; FloatMode: 240
; IeeeMode: 1
; LDSByteSize: 0 bytes/workgroup (compile time only)
; SGPRBlocks: 0
; VGPRBlocks: 0
; NumSGPRsForWavesPerEU: 6
; NumVGPRsForWavesPerEU: 1
; AccumOffset: 4
; Occupancy: 8
; WaveLimiterHint : 0
; COMPUTE_PGM_RSRC2:SCRATCH_EN: 0
; COMPUTE_PGM_RSRC2:USER_SGPR: 2
; COMPUTE_PGM_RSRC2:TRAP_HANDLER: 0
; COMPUTE_PGM_RSRC2:TGID_X_EN: 1
; COMPUTE_PGM_RSRC2:TGID_Y_EN: 0
; COMPUTE_PGM_RSRC2:TGID_Z_EN: 0
; COMPUTE_PGM_RSRC2:TIDIG_COMP_CNT: 0
; COMPUTE_PGM_RSRC3_GFX90A:ACCUM_OFFSET: 0
; COMPUTE_PGM_RSRC3_GFX90A:TG_SPLIT: 0
	.section	.text._ZN7rocprim17ROCPRIM_400000_NS6detail17trampoline_kernelINS0_14default_configENS1_35adjacent_difference_config_selectorILb0ElEEZNS1_24adjacent_difference_implIS3_Lb0ELb0EPlS7_ZN2at6native12_GLOBAL__N_124unique_dim_cuda_templateIsEESt5tupleIJNS8_6TensorESD_SD_EERKSD_lbbbEUlllE1_EE10hipError_tPvRmT2_T3_mT4_P12ihipStream_tbEUlT_E_NS1_11comp_targetILNS1_3genE9ELNS1_11target_archE1100ELNS1_3gpuE3ELNS1_3repE0EEENS1_30default_config_static_selectorELNS0_4arch9wavefront6targetE1EEEvT1_,"axG",@progbits,_ZN7rocprim17ROCPRIM_400000_NS6detail17trampoline_kernelINS0_14default_configENS1_35adjacent_difference_config_selectorILb0ElEEZNS1_24adjacent_difference_implIS3_Lb0ELb0EPlS7_ZN2at6native12_GLOBAL__N_124unique_dim_cuda_templateIsEESt5tupleIJNS8_6TensorESD_SD_EERKSD_lbbbEUlllE1_EE10hipError_tPvRmT2_T3_mT4_P12ihipStream_tbEUlT_E_NS1_11comp_targetILNS1_3genE9ELNS1_11target_archE1100ELNS1_3gpuE3ELNS1_3repE0EEENS1_30default_config_static_selectorELNS0_4arch9wavefront6targetE1EEEvT1_,comdat
	.globl	_ZN7rocprim17ROCPRIM_400000_NS6detail17trampoline_kernelINS0_14default_configENS1_35adjacent_difference_config_selectorILb0ElEEZNS1_24adjacent_difference_implIS3_Lb0ELb0EPlS7_ZN2at6native12_GLOBAL__N_124unique_dim_cuda_templateIsEESt5tupleIJNS8_6TensorESD_SD_EERKSD_lbbbEUlllE1_EE10hipError_tPvRmT2_T3_mT4_P12ihipStream_tbEUlT_E_NS1_11comp_targetILNS1_3genE9ELNS1_11target_archE1100ELNS1_3gpuE3ELNS1_3repE0EEENS1_30default_config_static_selectorELNS0_4arch9wavefront6targetE1EEEvT1_ ; -- Begin function _ZN7rocprim17ROCPRIM_400000_NS6detail17trampoline_kernelINS0_14default_configENS1_35adjacent_difference_config_selectorILb0ElEEZNS1_24adjacent_difference_implIS3_Lb0ELb0EPlS7_ZN2at6native12_GLOBAL__N_124unique_dim_cuda_templateIsEESt5tupleIJNS8_6TensorESD_SD_EERKSD_lbbbEUlllE1_EE10hipError_tPvRmT2_T3_mT4_P12ihipStream_tbEUlT_E_NS1_11comp_targetILNS1_3genE9ELNS1_11target_archE1100ELNS1_3gpuE3ELNS1_3repE0EEENS1_30default_config_static_selectorELNS0_4arch9wavefront6targetE1EEEvT1_
	.p2align	8
	.type	_ZN7rocprim17ROCPRIM_400000_NS6detail17trampoline_kernelINS0_14default_configENS1_35adjacent_difference_config_selectorILb0ElEEZNS1_24adjacent_difference_implIS3_Lb0ELb0EPlS7_ZN2at6native12_GLOBAL__N_124unique_dim_cuda_templateIsEESt5tupleIJNS8_6TensorESD_SD_EERKSD_lbbbEUlllE1_EE10hipError_tPvRmT2_T3_mT4_P12ihipStream_tbEUlT_E_NS1_11comp_targetILNS1_3genE9ELNS1_11target_archE1100ELNS1_3gpuE3ELNS1_3repE0EEENS1_30default_config_static_selectorELNS0_4arch9wavefront6targetE1EEEvT1_,@function
_ZN7rocprim17ROCPRIM_400000_NS6detail17trampoline_kernelINS0_14default_configENS1_35adjacent_difference_config_selectorILb0ElEEZNS1_24adjacent_difference_implIS3_Lb0ELb0EPlS7_ZN2at6native12_GLOBAL__N_124unique_dim_cuda_templateIsEESt5tupleIJNS8_6TensorESD_SD_EERKSD_lbbbEUlllE1_EE10hipError_tPvRmT2_T3_mT4_P12ihipStream_tbEUlT_E_NS1_11comp_targetILNS1_3genE9ELNS1_11target_archE1100ELNS1_3gpuE3ELNS1_3repE0EEENS1_30default_config_static_selectorELNS0_4arch9wavefront6targetE1EEEvT1_: ; @_ZN7rocprim17ROCPRIM_400000_NS6detail17trampoline_kernelINS0_14default_configENS1_35adjacent_difference_config_selectorILb0ElEEZNS1_24adjacent_difference_implIS3_Lb0ELb0EPlS7_ZN2at6native12_GLOBAL__N_124unique_dim_cuda_templateIsEESt5tupleIJNS8_6TensorESD_SD_EERKSD_lbbbEUlllE1_EE10hipError_tPvRmT2_T3_mT4_P12ihipStream_tbEUlT_E_NS1_11comp_targetILNS1_3genE9ELNS1_11target_archE1100ELNS1_3gpuE3ELNS1_3repE0EEENS1_30default_config_static_selectorELNS0_4arch9wavefront6targetE1EEEvT1_
; %bb.0:
	.section	.rodata,"a",@progbits
	.p2align	6, 0x0
	.amdhsa_kernel _ZN7rocprim17ROCPRIM_400000_NS6detail17trampoline_kernelINS0_14default_configENS1_35adjacent_difference_config_selectorILb0ElEEZNS1_24adjacent_difference_implIS3_Lb0ELb0EPlS7_ZN2at6native12_GLOBAL__N_124unique_dim_cuda_templateIsEESt5tupleIJNS8_6TensorESD_SD_EERKSD_lbbbEUlllE1_EE10hipError_tPvRmT2_T3_mT4_P12ihipStream_tbEUlT_E_NS1_11comp_targetILNS1_3genE9ELNS1_11target_archE1100ELNS1_3gpuE3ELNS1_3repE0EEENS1_30default_config_static_selectorELNS0_4arch9wavefront6targetE1EEEvT1_
		.amdhsa_group_segment_fixed_size 0
		.amdhsa_private_segment_fixed_size 0
		.amdhsa_kernarg_size 64
		.amdhsa_user_sgpr_count 2
		.amdhsa_user_sgpr_dispatch_ptr 0
		.amdhsa_user_sgpr_queue_ptr 0
		.amdhsa_user_sgpr_kernarg_segment_ptr 1
		.amdhsa_user_sgpr_dispatch_id 0
		.amdhsa_user_sgpr_kernarg_preload_length 0
		.amdhsa_user_sgpr_kernarg_preload_offset 0
		.amdhsa_user_sgpr_private_segment_size 0
		.amdhsa_uses_dynamic_stack 0
		.amdhsa_enable_private_segment 0
		.amdhsa_system_sgpr_workgroup_id_x 1
		.amdhsa_system_sgpr_workgroup_id_y 0
		.amdhsa_system_sgpr_workgroup_id_z 0
		.amdhsa_system_sgpr_workgroup_info 0
		.amdhsa_system_vgpr_workitem_id 0
		.amdhsa_next_free_vgpr 1
		.amdhsa_next_free_sgpr 0
		.amdhsa_accum_offset 4
		.amdhsa_reserve_vcc 0
		.amdhsa_float_round_mode_32 0
		.amdhsa_float_round_mode_16_64 0
		.amdhsa_float_denorm_mode_32 3
		.amdhsa_float_denorm_mode_16_64 3
		.amdhsa_dx10_clamp 1
		.amdhsa_ieee_mode 1
		.amdhsa_fp16_overflow 0
		.amdhsa_tg_split 0
		.amdhsa_exception_fp_ieee_invalid_op 0
		.amdhsa_exception_fp_denorm_src 0
		.amdhsa_exception_fp_ieee_div_zero 0
		.amdhsa_exception_fp_ieee_overflow 0
		.amdhsa_exception_fp_ieee_underflow 0
		.amdhsa_exception_fp_ieee_inexact 0
		.amdhsa_exception_int_div_zero 0
	.end_amdhsa_kernel
	.section	.text._ZN7rocprim17ROCPRIM_400000_NS6detail17trampoline_kernelINS0_14default_configENS1_35adjacent_difference_config_selectorILb0ElEEZNS1_24adjacent_difference_implIS3_Lb0ELb0EPlS7_ZN2at6native12_GLOBAL__N_124unique_dim_cuda_templateIsEESt5tupleIJNS8_6TensorESD_SD_EERKSD_lbbbEUlllE1_EE10hipError_tPvRmT2_T3_mT4_P12ihipStream_tbEUlT_E_NS1_11comp_targetILNS1_3genE9ELNS1_11target_archE1100ELNS1_3gpuE3ELNS1_3repE0EEENS1_30default_config_static_selectorELNS0_4arch9wavefront6targetE1EEEvT1_,"axG",@progbits,_ZN7rocprim17ROCPRIM_400000_NS6detail17trampoline_kernelINS0_14default_configENS1_35adjacent_difference_config_selectorILb0ElEEZNS1_24adjacent_difference_implIS3_Lb0ELb0EPlS7_ZN2at6native12_GLOBAL__N_124unique_dim_cuda_templateIsEESt5tupleIJNS8_6TensorESD_SD_EERKSD_lbbbEUlllE1_EE10hipError_tPvRmT2_T3_mT4_P12ihipStream_tbEUlT_E_NS1_11comp_targetILNS1_3genE9ELNS1_11target_archE1100ELNS1_3gpuE3ELNS1_3repE0EEENS1_30default_config_static_selectorELNS0_4arch9wavefront6targetE1EEEvT1_,comdat
.Lfunc_end671:
	.size	_ZN7rocprim17ROCPRIM_400000_NS6detail17trampoline_kernelINS0_14default_configENS1_35adjacent_difference_config_selectorILb0ElEEZNS1_24adjacent_difference_implIS3_Lb0ELb0EPlS7_ZN2at6native12_GLOBAL__N_124unique_dim_cuda_templateIsEESt5tupleIJNS8_6TensorESD_SD_EERKSD_lbbbEUlllE1_EE10hipError_tPvRmT2_T3_mT4_P12ihipStream_tbEUlT_E_NS1_11comp_targetILNS1_3genE9ELNS1_11target_archE1100ELNS1_3gpuE3ELNS1_3repE0EEENS1_30default_config_static_selectorELNS0_4arch9wavefront6targetE1EEEvT1_, .Lfunc_end671-_ZN7rocprim17ROCPRIM_400000_NS6detail17trampoline_kernelINS0_14default_configENS1_35adjacent_difference_config_selectorILb0ElEEZNS1_24adjacent_difference_implIS3_Lb0ELb0EPlS7_ZN2at6native12_GLOBAL__N_124unique_dim_cuda_templateIsEESt5tupleIJNS8_6TensorESD_SD_EERKSD_lbbbEUlllE1_EE10hipError_tPvRmT2_T3_mT4_P12ihipStream_tbEUlT_E_NS1_11comp_targetILNS1_3genE9ELNS1_11target_archE1100ELNS1_3gpuE3ELNS1_3repE0EEENS1_30default_config_static_selectorELNS0_4arch9wavefront6targetE1EEEvT1_
                                        ; -- End function
	.section	.AMDGPU.csdata,"",@progbits
; Kernel info:
; codeLenInByte = 0
; NumSgprs: 6
; NumVgprs: 0
; NumAgprs: 0
; TotalNumVgprs: 0
; ScratchSize: 0
; MemoryBound: 0
; FloatMode: 240
; IeeeMode: 1
; LDSByteSize: 0 bytes/workgroup (compile time only)
; SGPRBlocks: 0
; VGPRBlocks: 0
; NumSGPRsForWavesPerEU: 6
; NumVGPRsForWavesPerEU: 1
; AccumOffset: 4
; Occupancy: 8
; WaveLimiterHint : 0
; COMPUTE_PGM_RSRC2:SCRATCH_EN: 0
; COMPUTE_PGM_RSRC2:USER_SGPR: 2
; COMPUTE_PGM_RSRC2:TRAP_HANDLER: 0
; COMPUTE_PGM_RSRC2:TGID_X_EN: 1
; COMPUTE_PGM_RSRC2:TGID_Y_EN: 0
; COMPUTE_PGM_RSRC2:TGID_Z_EN: 0
; COMPUTE_PGM_RSRC2:TIDIG_COMP_CNT: 0
; COMPUTE_PGM_RSRC3_GFX90A:ACCUM_OFFSET: 0
; COMPUTE_PGM_RSRC3_GFX90A:TG_SPLIT: 0
	.section	.text._ZN7rocprim17ROCPRIM_400000_NS6detail17trampoline_kernelINS0_14default_configENS1_35adjacent_difference_config_selectorILb0ElEEZNS1_24adjacent_difference_implIS3_Lb0ELb0EPlS7_ZN2at6native12_GLOBAL__N_124unique_dim_cuda_templateIsEESt5tupleIJNS8_6TensorESD_SD_EERKSD_lbbbEUlllE1_EE10hipError_tPvRmT2_T3_mT4_P12ihipStream_tbEUlT_E_NS1_11comp_targetILNS1_3genE8ELNS1_11target_archE1030ELNS1_3gpuE2ELNS1_3repE0EEENS1_30default_config_static_selectorELNS0_4arch9wavefront6targetE1EEEvT1_,"axG",@progbits,_ZN7rocprim17ROCPRIM_400000_NS6detail17trampoline_kernelINS0_14default_configENS1_35adjacent_difference_config_selectorILb0ElEEZNS1_24adjacent_difference_implIS3_Lb0ELb0EPlS7_ZN2at6native12_GLOBAL__N_124unique_dim_cuda_templateIsEESt5tupleIJNS8_6TensorESD_SD_EERKSD_lbbbEUlllE1_EE10hipError_tPvRmT2_T3_mT4_P12ihipStream_tbEUlT_E_NS1_11comp_targetILNS1_3genE8ELNS1_11target_archE1030ELNS1_3gpuE2ELNS1_3repE0EEENS1_30default_config_static_selectorELNS0_4arch9wavefront6targetE1EEEvT1_,comdat
	.globl	_ZN7rocprim17ROCPRIM_400000_NS6detail17trampoline_kernelINS0_14default_configENS1_35adjacent_difference_config_selectorILb0ElEEZNS1_24adjacent_difference_implIS3_Lb0ELb0EPlS7_ZN2at6native12_GLOBAL__N_124unique_dim_cuda_templateIsEESt5tupleIJNS8_6TensorESD_SD_EERKSD_lbbbEUlllE1_EE10hipError_tPvRmT2_T3_mT4_P12ihipStream_tbEUlT_E_NS1_11comp_targetILNS1_3genE8ELNS1_11target_archE1030ELNS1_3gpuE2ELNS1_3repE0EEENS1_30default_config_static_selectorELNS0_4arch9wavefront6targetE1EEEvT1_ ; -- Begin function _ZN7rocprim17ROCPRIM_400000_NS6detail17trampoline_kernelINS0_14default_configENS1_35adjacent_difference_config_selectorILb0ElEEZNS1_24adjacent_difference_implIS3_Lb0ELb0EPlS7_ZN2at6native12_GLOBAL__N_124unique_dim_cuda_templateIsEESt5tupleIJNS8_6TensorESD_SD_EERKSD_lbbbEUlllE1_EE10hipError_tPvRmT2_T3_mT4_P12ihipStream_tbEUlT_E_NS1_11comp_targetILNS1_3genE8ELNS1_11target_archE1030ELNS1_3gpuE2ELNS1_3repE0EEENS1_30default_config_static_selectorELNS0_4arch9wavefront6targetE1EEEvT1_
	.p2align	8
	.type	_ZN7rocprim17ROCPRIM_400000_NS6detail17trampoline_kernelINS0_14default_configENS1_35adjacent_difference_config_selectorILb0ElEEZNS1_24adjacent_difference_implIS3_Lb0ELb0EPlS7_ZN2at6native12_GLOBAL__N_124unique_dim_cuda_templateIsEESt5tupleIJNS8_6TensorESD_SD_EERKSD_lbbbEUlllE1_EE10hipError_tPvRmT2_T3_mT4_P12ihipStream_tbEUlT_E_NS1_11comp_targetILNS1_3genE8ELNS1_11target_archE1030ELNS1_3gpuE2ELNS1_3repE0EEENS1_30default_config_static_selectorELNS0_4arch9wavefront6targetE1EEEvT1_,@function
_ZN7rocprim17ROCPRIM_400000_NS6detail17trampoline_kernelINS0_14default_configENS1_35adjacent_difference_config_selectorILb0ElEEZNS1_24adjacent_difference_implIS3_Lb0ELb0EPlS7_ZN2at6native12_GLOBAL__N_124unique_dim_cuda_templateIsEESt5tupleIJNS8_6TensorESD_SD_EERKSD_lbbbEUlllE1_EE10hipError_tPvRmT2_T3_mT4_P12ihipStream_tbEUlT_E_NS1_11comp_targetILNS1_3genE8ELNS1_11target_archE1030ELNS1_3gpuE2ELNS1_3repE0EEENS1_30default_config_static_selectorELNS0_4arch9wavefront6targetE1EEEvT1_: ; @_ZN7rocprim17ROCPRIM_400000_NS6detail17trampoline_kernelINS0_14default_configENS1_35adjacent_difference_config_selectorILb0ElEEZNS1_24adjacent_difference_implIS3_Lb0ELb0EPlS7_ZN2at6native12_GLOBAL__N_124unique_dim_cuda_templateIsEESt5tupleIJNS8_6TensorESD_SD_EERKSD_lbbbEUlllE1_EE10hipError_tPvRmT2_T3_mT4_P12ihipStream_tbEUlT_E_NS1_11comp_targetILNS1_3genE8ELNS1_11target_archE1030ELNS1_3gpuE2ELNS1_3repE0EEENS1_30default_config_static_selectorELNS0_4arch9wavefront6targetE1EEEvT1_
; %bb.0:
	.section	.rodata,"a",@progbits
	.p2align	6, 0x0
	.amdhsa_kernel _ZN7rocprim17ROCPRIM_400000_NS6detail17trampoline_kernelINS0_14default_configENS1_35adjacent_difference_config_selectorILb0ElEEZNS1_24adjacent_difference_implIS3_Lb0ELb0EPlS7_ZN2at6native12_GLOBAL__N_124unique_dim_cuda_templateIsEESt5tupleIJNS8_6TensorESD_SD_EERKSD_lbbbEUlllE1_EE10hipError_tPvRmT2_T3_mT4_P12ihipStream_tbEUlT_E_NS1_11comp_targetILNS1_3genE8ELNS1_11target_archE1030ELNS1_3gpuE2ELNS1_3repE0EEENS1_30default_config_static_selectorELNS0_4arch9wavefront6targetE1EEEvT1_
		.amdhsa_group_segment_fixed_size 0
		.amdhsa_private_segment_fixed_size 0
		.amdhsa_kernarg_size 64
		.amdhsa_user_sgpr_count 2
		.amdhsa_user_sgpr_dispatch_ptr 0
		.amdhsa_user_sgpr_queue_ptr 0
		.amdhsa_user_sgpr_kernarg_segment_ptr 1
		.amdhsa_user_sgpr_dispatch_id 0
		.amdhsa_user_sgpr_kernarg_preload_length 0
		.amdhsa_user_sgpr_kernarg_preload_offset 0
		.amdhsa_user_sgpr_private_segment_size 0
		.amdhsa_uses_dynamic_stack 0
		.amdhsa_enable_private_segment 0
		.amdhsa_system_sgpr_workgroup_id_x 1
		.amdhsa_system_sgpr_workgroup_id_y 0
		.amdhsa_system_sgpr_workgroup_id_z 0
		.amdhsa_system_sgpr_workgroup_info 0
		.amdhsa_system_vgpr_workitem_id 0
		.amdhsa_next_free_vgpr 1
		.amdhsa_next_free_sgpr 0
		.amdhsa_accum_offset 4
		.amdhsa_reserve_vcc 0
		.amdhsa_float_round_mode_32 0
		.amdhsa_float_round_mode_16_64 0
		.amdhsa_float_denorm_mode_32 3
		.amdhsa_float_denorm_mode_16_64 3
		.amdhsa_dx10_clamp 1
		.amdhsa_ieee_mode 1
		.amdhsa_fp16_overflow 0
		.amdhsa_tg_split 0
		.amdhsa_exception_fp_ieee_invalid_op 0
		.amdhsa_exception_fp_denorm_src 0
		.amdhsa_exception_fp_ieee_div_zero 0
		.amdhsa_exception_fp_ieee_overflow 0
		.amdhsa_exception_fp_ieee_underflow 0
		.amdhsa_exception_fp_ieee_inexact 0
		.amdhsa_exception_int_div_zero 0
	.end_amdhsa_kernel
	.section	.text._ZN7rocprim17ROCPRIM_400000_NS6detail17trampoline_kernelINS0_14default_configENS1_35adjacent_difference_config_selectorILb0ElEEZNS1_24adjacent_difference_implIS3_Lb0ELb0EPlS7_ZN2at6native12_GLOBAL__N_124unique_dim_cuda_templateIsEESt5tupleIJNS8_6TensorESD_SD_EERKSD_lbbbEUlllE1_EE10hipError_tPvRmT2_T3_mT4_P12ihipStream_tbEUlT_E_NS1_11comp_targetILNS1_3genE8ELNS1_11target_archE1030ELNS1_3gpuE2ELNS1_3repE0EEENS1_30default_config_static_selectorELNS0_4arch9wavefront6targetE1EEEvT1_,"axG",@progbits,_ZN7rocprim17ROCPRIM_400000_NS6detail17trampoline_kernelINS0_14default_configENS1_35adjacent_difference_config_selectorILb0ElEEZNS1_24adjacent_difference_implIS3_Lb0ELb0EPlS7_ZN2at6native12_GLOBAL__N_124unique_dim_cuda_templateIsEESt5tupleIJNS8_6TensorESD_SD_EERKSD_lbbbEUlllE1_EE10hipError_tPvRmT2_T3_mT4_P12ihipStream_tbEUlT_E_NS1_11comp_targetILNS1_3genE8ELNS1_11target_archE1030ELNS1_3gpuE2ELNS1_3repE0EEENS1_30default_config_static_selectorELNS0_4arch9wavefront6targetE1EEEvT1_,comdat
.Lfunc_end672:
	.size	_ZN7rocprim17ROCPRIM_400000_NS6detail17trampoline_kernelINS0_14default_configENS1_35adjacent_difference_config_selectorILb0ElEEZNS1_24adjacent_difference_implIS3_Lb0ELb0EPlS7_ZN2at6native12_GLOBAL__N_124unique_dim_cuda_templateIsEESt5tupleIJNS8_6TensorESD_SD_EERKSD_lbbbEUlllE1_EE10hipError_tPvRmT2_T3_mT4_P12ihipStream_tbEUlT_E_NS1_11comp_targetILNS1_3genE8ELNS1_11target_archE1030ELNS1_3gpuE2ELNS1_3repE0EEENS1_30default_config_static_selectorELNS0_4arch9wavefront6targetE1EEEvT1_, .Lfunc_end672-_ZN7rocprim17ROCPRIM_400000_NS6detail17trampoline_kernelINS0_14default_configENS1_35adjacent_difference_config_selectorILb0ElEEZNS1_24adjacent_difference_implIS3_Lb0ELb0EPlS7_ZN2at6native12_GLOBAL__N_124unique_dim_cuda_templateIsEESt5tupleIJNS8_6TensorESD_SD_EERKSD_lbbbEUlllE1_EE10hipError_tPvRmT2_T3_mT4_P12ihipStream_tbEUlT_E_NS1_11comp_targetILNS1_3genE8ELNS1_11target_archE1030ELNS1_3gpuE2ELNS1_3repE0EEENS1_30default_config_static_selectorELNS0_4arch9wavefront6targetE1EEEvT1_
                                        ; -- End function
	.section	.AMDGPU.csdata,"",@progbits
; Kernel info:
; codeLenInByte = 0
; NumSgprs: 6
; NumVgprs: 0
; NumAgprs: 0
; TotalNumVgprs: 0
; ScratchSize: 0
; MemoryBound: 0
; FloatMode: 240
; IeeeMode: 1
; LDSByteSize: 0 bytes/workgroup (compile time only)
; SGPRBlocks: 0
; VGPRBlocks: 0
; NumSGPRsForWavesPerEU: 6
; NumVGPRsForWavesPerEU: 1
; AccumOffset: 4
; Occupancy: 8
; WaveLimiterHint : 0
; COMPUTE_PGM_RSRC2:SCRATCH_EN: 0
; COMPUTE_PGM_RSRC2:USER_SGPR: 2
; COMPUTE_PGM_RSRC2:TRAP_HANDLER: 0
; COMPUTE_PGM_RSRC2:TGID_X_EN: 1
; COMPUTE_PGM_RSRC2:TGID_Y_EN: 0
; COMPUTE_PGM_RSRC2:TGID_Z_EN: 0
; COMPUTE_PGM_RSRC2:TIDIG_COMP_CNT: 0
; COMPUTE_PGM_RSRC3_GFX90A:ACCUM_OFFSET: 0
; COMPUTE_PGM_RSRC3_GFX90A:TG_SPLIT: 0
	.section	.text._ZN7rocprim17ROCPRIM_400000_NS6detail17trampoline_kernelINS0_14default_configENS1_25transform_config_selectorIlLb0EEEZNS1_14transform_implILb0ES3_S5_NS0_18transform_iteratorINS0_17counting_iteratorImlEEZNS1_24adjacent_difference_implIS3_Lb1ELb0EPlSB_ZN2at6native12_GLOBAL__N_124unique_dim_cuda_templateIsEESt5tupleIJNSC_6TensorESH_SH_EERKSH_lbbbEUlllE1_EE10hipError_tPvRmT2_T3_mT4_P12ihipStream_tbEUlmE_lEESB_NS0_8identityIvEEEESM_SP_SQ_mSR_ST_bEUlT_E_NS1_11comp_targetILNS1_3genE0ELNS1_11target_archE4294967295ELNS1_3gpuE0ELNS1_3repE0EEENS1_30default_config_static_selectorELNS0_4arch9wavefront6targetE1EEEvT1_,"axG",@progbits,_ZN7rocprim17ROCPRIM_400000_NS6detail17trampoline_kernelINS0_14default_configENS1_25transform_config_selectorIlLb0EEEZNS1_14transform_implILb0ES3_S5_NS0_18transform_iteratorINS0_17counting_iteratorImlEEZNS1_24adjacent_difference_implIS3_Lb1ELb0EPlSB_ZN2at6native12_GLOBAL__N_124unique_dim_cuda_templateIsEESt5tupleIJNSC_6TensorESH_SH_EERKSH_lbbbEUlllE1_EE10hipError_tPvRmT2_T3_mT4_P12ihipStream_tbEUlmE_lEESB_NS0_8identityIvEEEESM_SP_SQ_mSR_ST_bEUlT_E_NS1_11comp_targetILNS1_3genE0ELNS1_11target_archE4294967295ELNS1_3gpuE0ELNS1_3repE0EEENS1_30default_config_static_selectorELNS0_4arch9wavefront6targetE1EEEvT1_,comdat
	.globl	_ZN7rocprim17ROCPRIM_400000_NS6detail17trampoline_kernelINS0_14default_configENS1_25transform_config_selectorIlLb0EEEZNS1_14transform_implILb0ES3_S5_NS0_18transform_iteratorINS0_17counting_iteratorImlEEZNS1_24adjacent_difference_implIS3_Lb1ELb0EPlSB_ZN2at6native12_GLOBAL__N_124unique_dim_cuda_templateIsEESt5tupleIJNSC_6TensorESH_SH_EERKSH_lbbbEUlllE1_EE10hipError_tPvRmT2_T3_mT4_P12ihipStream_tbEUlmE_lEESB_NS0_8identityIvEEEESM_SP_SQ_mSR_ST_bEUlT_E_NS1_11comp_targetILNS1_3genE0ELNS1_11target_archE4294967295ELNS1_3gpuE0ELNS1_3repE0EEENS1_30default_config_static_selectorELNS0_4arch9wavefront6targetE1EEEvT1_ ; -- Begin function _ZN7rocprim17ROCPRIM_400000_NS6detail17trampoline_kernelINS0_14default_configENS1_25transform_config_selectorIlLb0EEEZNS1_14transform_implILb0ES3_S5_NS0_18transform_iteratorINS0_17counting_iteratorImlEEZNS1_24adjacent_difference_implIS3_Lb1ELb0EPlSB_ZN2at6native12_GLOBAL__N_124unique_dim_cuda_templateIsEESt5tupleIJNSC_6TensorESH_SH_EERKSH_lbbbEUlllE1_EE10hipError_tPvRmT2_T3_mT4_P12ihipStream_tbEUlmE_lEESB_NS0_8identityIvEEEESM_SP_SQ_mSR_ST_bEUlT_E_NS1_11comp_targetILNS1_3genE0ELNS1_11target_archE4294967295ELNS1_3gpuE0ELNS1_3repE0EEENS1_30default_config_static_selectorELNS0_4arch9wavefront6targetE1EEEvT1_
	.p2align	8
	.type	_ZN7rocprim17ROCPRIM_400000_NS6detail17trampoline_kernelINS0_14default_configENS1_25transform_config_selectorIlLb0EEEZNS1_14transform_implILb0ES3_S5_NS0_18transform_iteratorINS0_17counting_iteratorImlEEZNS1_24adjacent_difference_implIS3_Lb1ELb0EPlSB_ZN2at6native12_GLOBAL__N_124unique_dim_cuda_templateIsEESt5tupleIJNSC_6TensorESH_SH_EERKSH_lbbbEUlllE1_EE10hipError_tPvRmT2_T3_mT4_P12ihipStream_tbEUlmE_lEESB_NS0_8identityIvEEEESM_SP_SQ_mSR_ST_bEUlT_E_NS1_11comp_targetILNS1_3genE0ELNS1_11target_archE4294967295ELNS1_3gpuE0ELNS1_3repE0EEENS1_30default_config_static_selectorELNS0_4arch9wavefront6targetE1EEEvT1_,@function
_ZN7rocprim17ROCPRIM_400000_NS6detail17trampoline_kernelINS0_14default_configENS1_25transform_config_selectorIlLb0EEEZNS1_14transform_implILb0ES3_S5_NS0_18transform_iteratorINS0_17counting_iteratorImlEEZNS1_24adjacent_difference_implIS3_Lb1ELb0EPlSB_ZN2at6native12_GLOBAL__N_124unique_dim_cuda_templateIsEESt5tupleIJNSC_6TensorESH_SH_EERKSH_lbbbEUlllE1_EE10hipError_tPvRmT2_T3_mT4_P12ihipStream_tbEUlmE_lEESB_NS0_8identityIvEEEESM_SP_SQ_mSR_ST_bEUlT_E_NS1_11comp_targetILNS1_3genE0ELNS1_11target_archE4294967295ELNS1_3gpuE0ELNS1_3repE0EEENS1_30default_config_static_selectorELNS0_4arch9wavefront6targetE1EEEvT1_: ; @_ZN7rocprim17ROCPRIM_400000_NS6detail17trampoline_kernelINS0_14default_configENS1_25transform_config_selectorIlLb0EEEZNS1_14transform_implILb0ES3_S5_NS0_18transform_iteratorINS0_17counting_iteratorImlEEZNS1_24adjacent_difference_implIS3_Lb1ELb0EPlSB_ZN2at6native12_GLOBAL__N_124unique_dim_cuda_templateIsEESt5tupleIJNSC_6TensorESH_SH_EERKSH_lbbbEUlllE1_EE10hipError_tPvRmT2_T3_mT4_P12ihipStream_tbEUlmE_lEESB_NS0_8identityIvEEEESM_SP_SQ_mSR_ST_bEUlT_E_NS1_11comp_targetILNS1_3genE0ELNS1_11target_archE4294967295ELNS1_3gpuE0ELNS1_3repE0EEENS1_30default_config_static_selectorELNS0_4arch9wavefront6targetE1EEEvT1_
; %bb.0:
	.section	.rodata,"a",@progbits
	.p2align	6, 0x0
	.amdhsa_kernel _ZN7rocprim17ROCPRIM_400000_NS6detail17trampoline_kernelINS0_14default_configENS1_25transform_config_selectorIlLb0EEEZNS1_14transform_implILb0ES3_S5_NS0_18transform_iteratorINS0_17counting_iteratorImlEEZNS1_24adjacent_difference_implIS3_Lb1ELb0EPlSB_ZN2at6native12_GLOBAL__N_124unique_dim_cuda_templateIsEESt5tupleIJNSC_6TensorESH_SH_EERKSH_lbbbEUlllE1_EE10hipError_tPvRmT2_T3_mT4_P12ihipStream_tbEUlmE_lEESB_NS0_8identityIvEEEESM_SP_SQ_mSR_ST_bEUlT_E_NS1_11comp_targetILNS1_3genE0ELNS1_11target_archE4294967295ELNS1_3gpuE0ELNS1_3repE0EEENS1_30default_config_static_selectorELNS0_4arch9wavefront6targetE1EEEvT1_
		.amdhsa_group_segment_fixed_size 0
		.amdhsa_private_segment_fixed_size 0
		.amdhsa_kernarg_size 56
		.amdhsa_user_sgpr_count 2
		.amdhsa_user_sgpr_dispatch_ptr 0
		.amdhsa_user_sgpr_queue_ptr 0
		.amdhsa_user_sgpr_kernarg_segment_ptr 1
		.amdhsa_user_sgpr_dispatch_id 0
		.amdhsa_user_sgpr_kernarg_preload_length 0
		.amdhsa_user_sgpr_kernarg_preload_offset 0
		.amdhsa_user_sgpr_private_segment_size 0
		.amdhsa_uses_dynamic_stack 0
		.amdhsa_enable_private_segment 0
		.amdhsa_system_sgpr_workgroup_id_x 1
		.amdhsa_system_sgpr_workgroup_id_y 0
		.amdhsa_system_sgpr_workgroup_id_z 0
		.amdhsa_system_sgpr_workgroup_info 0
		.amdhsa_system_vgpr_workitem_id 0
		.amdhsa_next_free_vgpr 1
		.amdhsa_next_free_sgpr 0
		.amdhsa_accum_offset 4
		.amdhsa_reserve_vcc 0
		.amdhsa_float_round_mode_32 0
		.amdhsa_float_round_mode_16_64 0
		.amdhsa_float_denorm_mode_32 3
		.amdhsa_float_denorm_mode_16_64 3
		.amdhsa_dx10_clamp 1
		.amdhsa_ieee_mode 1
		.amdhsa_fp16_overflow 0
		.amdhsa_tg_split 0
		.amdhsa_exception_fp_ieee_invalid_op 0
		.amdhsa_exception_fp_denorm_src 0
		.amdhsa_exception_fp_ieee_div_zero 0
		.amdhsa_exception_fp_ieee_overflow 0
		.amdhsa_exception_fp_ieee_underflow 0
		.amdhsa_exception_fp_ieee_inexact 0
		.amdhsa_exception_int_div_zero 0
	.end_amdhsa_kernel
	.section	.text._ZN7rocprim17ROCPRIM_400000_NS6detail17trampoline_kernelINS0_14default_configENS1_25transform_config_selectorIlLb0EEEZNS1_14transform_implILb0ES3_S5_NS0_18transform_iteratorINS0_17counting_iteratorImlEEZNS1_24adjacent_difference_implIS3_Lb1ELb0EPlSB_ZN2at6native12_GLOBAL__N_124unique_dim_cuda_templateIsEESt5tupleIJNSC_6TensorESH_SH_EERKSH_lbbbEUlllE1_EE10hipError_tPvRmT2_T3_mT4_P12ihipStream_tbEUlmE_lEESB_NS0_8identityIvEEEESM_SP_SQ_mSR_ST_bEUlT_E_NS1_11comp_targetILNS1_3genE0ELNS1_11target_archE4294967295ELNS1_3gpuE0ELNS1_3repE0EEENS1_30default_config_static_selectorELNS0_4arch9wavefront6targetE1EEEvT1_,"axG",@progbits,_ZN7rocprim17ROCPRIM_400000_NS6detail17trampoline_kernelINS0_14default_configENS1_25transform_config_selectorIlLb0EEEZNS1_14transform_implILb0ES3_S5_NS0_18transform_iteratorINS0_17counting_iteratorImlEEZNS1_24adjacent_difference_implIS3_Lb1ELb0EPlSB_ZN2at6native12_GLOBAL__N_124unique_dim_cuda_templateIsEESt5tupleIJNSC_6TensorESH_SH_EERKSH_lbbbEUlllE1_EE10hipError_tPvRmT2_T3_mT4_P12ihipStream_tbEUlmE_lEESB_NS0_8identityIvEEEESM_SP_SQ_mSR_ST_bEUlT_E_NS1_11comp_targetILNS1_3genE0ELNS1_11target_archE4294967295ELNS1_3gpuE0ELNS1_3repE0EEENS1_30default_config_static_selectorELNS0_4arch9wavefront6targetE1EEEvT1_,comdat
.Lfunc_end673:
	.size	_ZN7rocprim17ROCPRIM_400000_NS6detail17trampoline_kernelINS0_14default_configENS1_25transform_config_selectorIlLb0EEEZNS1_14transform_implILb0ES3_S5_NS0_18transform_iteratorINS0_17counting_iteratorImlEEZNS1_24adjacent_difference_implIS3_Lb1ELb0EPlSB_ZN2at6native12_GLOBAL__N_124unique_dim_cuda_templateIsEESt5tupleIJNSC_6TensorESH_SH_EERKSH_lbbbEUlllE1_EE10hipError_tPvRmT2_T3_mT4_P12ihipStream_tbEUlmE_lEESB_NS0_8identityIvEEEESM_SP_SQ_mSR_ST_bEUlT_E_NS1_11comp_targetILNS1_3genE0ELNS1_11target_archE4294967295ELNS1_3gpuE0ELNS1_3repE0EEENS1_30default_config_static_selectorELNS0_4arch9wavefront6targetE1EEEvT1_, .Lfunc_end673-_ZN7rocprim17ROCPRIM_400000_NS6detail17trampoline_kernelINS0_14default_configENS1_25transform_config_selectorIlLb0EEEZNS1_14transform_implILb0ES3_S5_NS0_18transform_iteratorINS0_17counting_iteratorImlEEZNS1_24adjacent_difference_implIS3_Lb1ELb0EPlSB_ZN2at6native12_GLOBAL__N_124unique_dim_cuda_templateIsEESt5tupleIJNSC_6TensorESH_SH_EERKSH_lbbbEUlllE1_EE10hipError_tPvRmT2_T3_mT4_P12ihipStream_tbEUlmE_lEESB_NS0_8identityIvEEEESM_SP_SQ_mSR_ST_bEUlT_E_NS1_11comp_targetILNS1_3genE0ELNS1_11target_archE4294967295ELNS1_3gpuE0ELNS1_3repE0EEENS1_30default_config_static_selectorELNS0_4arch9wavefront6targetE1EEEvT1_
                                        ; -- End function
	.section	.AMDGPU.csdata,"",@progbits
; Kernel info:
; codeLenInByte = 0
; NumSgprs: 6
; NumVgprs: 0
; NumAgprs: 0
; TotalNumVgprs: 0
; ScratchSize: 0
; MemoryBound: 0
; FloatMode: 240
; IeeeMode: 1
; LDSByteSize: 0 bytes/workgroup (compile time only)
; SGPRBlocks: 0
; VGPRBlocks: 0
; NumSGPRsForWavesPerEU: 6
; NumVGPRsForWavesPerEU: 1
; AccumOffset: 4
; Occupancy: 8
; WaveLimiterHint : 0
; COMPUTE_PGM_RSRC2:SCRATCH_EN: 0
; COMPUTE_PGM_RSRC2:USER_SGPR: 2
; COMPUTE_PGM_RSRC2:TRAP_HANDLER: 0
; COMPUTE_PGM_RSRC2:TGID_X_EN: 1
; COMPUTE_PGM_RSRC2:TGID_Y_EN: 0
; COMPUTE_PGM_RSRC2:TGID_Z_EN: 0
; COMPUTE_PGM_RSRC2:TIDIG_COMP_CNT: 0
; COMPUTE_PGM_RSRC3_GFX90A:ACCUM_OFFSET: 0
; COMPUTE_PGM_RSRC3_GFX90A:TG_SPLIT: 0
	.section	.text._ZN7rocprim17ROCPRIM_400000_NS6detail17trampoline_kernelINS0_14default_configENS1_25transform_config_selectorIlLb0EEEZNS1_14transform_implILb0ES3_S5_NS0_18transform_iteratorINS0_17counting_iteratorImlEEZNS1_24adjacent_difference_implIS3_Lb1ELb0EPlSB_ZN2at6native12_GLOBAL__N_124unique_dim_cuda_templateIsEESt5tupleIJNSC_6TensorESH_SH_EERKSH_lbbbEUlllE1_EE10hipError_tPvRmT2_T3_mT4_P12ihipStream_tbEUlmE_lEESB_NS0_8identityIvEEEESM_SP_SQ_mSR_ST_bEUlT_E_NS1_11comp_targetILNS1_3genE5ELNS1_11target_archE942ELNS1_3gpuE9ELNS1_3repE0EEENS1_30default_config_static_selectorELNS0_4arch9wavefront6targetE1EEEvT1_,"axG",@progbits,_ZN7rocprim17ROCPRIM_400000_NS6detail17trampoline_kernelINS0_14default_configENS1_25transform_config_selectorIlLb0EEEZNS1_14transform_implILb0ES3_S5_NS0_18transform_iteratorINS0_17counting_iteratorImlEEZNS1_24adjacent_difference_implIS3_Lb1ELb0EPlSB_ZN2at6native12_GLOBAL__N_124unique_dim_cuda_templateIsEESt5tupleIJNSC_6TensorESH_SH_EERKSH_lbbbEUlllE1_EE10hipError_tPvRmT2_T3_mT4_P12ihipStream_tbEUlmE_lEESB_NS0_8identityIvEEEESM_SP_SQ_mSR_ST_bEUlT_E_NS1_11comp_targetILNS1_3genE5ELNS1_11target_archE942ELNS1_3gpuE9ELNS1_3repE0EEENS1_30default_config_static_selectorELNS0_4arch9wavefront6targetE1EEEvT1_,comdat
	.globl	_ZN7rocprim17ROCPRIM_400000_NS6detail17trampoline_kernelINS0_14default_configENS1_25transform_config_selectorIlLb0EEEZNS1_14transform_implILb0ES3_S5_NS0_18transform_iteratorINS0_17counting_iteratorImlEEZNS1_24adjacent_difference_implIS3_Lb1ELb0EPlSB_ZN2at6native12_GLOBAL__N_124unique_dim_cuda_templateIsEESt5tupleIJNSC_6TensorESH_SH_EERKSH_lbbbEUlllE1_EE10hipError_tPvRmT2_T3_mT4_P12ihipStream_tbEUlmE_lEESB_NS0_8identityIvEEEESM_SP_SQ_mSR_ST_bEUlT_E_NS1_11comp_targetILNS1_3genE5ELNS1_11target_archE942ELNS1_3gpuE9ELNS1_3repE0EEENS1_30default_config_static_selectorELNS0_4arch9wavefront6targetE1EEEvT1_ ; -- Begin function _ZN7rocprim17ROCPRIM_400000_NS6detail17trampoline_kernelINS0_14default_configENS1_25transform_config_selectorIlLb0EEEZNS1_14transform_implILb0ES3_S5_NS0_18transform_iteratorINS0_17counting_iteratorImlEEZNS1_24adjacent_difference_implIS3_Lb1ELb0EPlSB_ZN2at6native12_GLOBAL__N_124unique_dim_cuda_templateIsEESt5tupleIJNSC_6TensorESH_SH_EERKSH_lbbbEUlllE1_EE10hipError_tPvRmT2_T3_mT4_P12ihipStream_tbEUlmE_lEESB_NS0_8identityIvEEEESM_SP_SQ_mSR_ST_bEUlT_E_NS1_11comp_targetILNS1_3genE5ELNS1_11target_archE942ELNS1_3gpuE9ELNS1_3repE0EEENS1_30default_config_static_selectorELNS0_4arch9wavefront6targetE1EEEvT1_
	.p2align	8
	.type	_ZN7rocprim17ROCPRIM_400000_NS6detail17trampoline_kernelINS0_14default_configENS1_25transform_config_selectorIlLb0EEEZNS1_14transform_implILb0ES3_S5_NS0_18transform_iteratorINS0_17counting_iteratorImlEEZNS1_24adjacent_difference_implIS3_Lb1ELb0EPlSB_ZN2at6native12_GLOBAL__N_124unique_dim_cuda_templateIsEESt5tupleIJNSC_6TensorESH_SH_EERKSH_lbbbEUlllE1_EE10hipError_tPvRmT2_T3_mT4_P12ihipStream_tbEUlmE_lEESB_NS0_8identityIvEEEESM_SP_SQ_mSR_ST_bEUlT_E_NS1_11comp_targetILNS1_3genE5ELNS1_11target_archE942ELNS1_3gpuE9ELNS1_3repE0EEENS1_30default_config_static_selectorELNS0_4arch9wavefront6targetE1EEEvT1_,@function
_ZN7rocprim17ROCPRIM_400000_NS6detail17trampoline_kernelINS0_14default_configENS1_25transform_config_selectorIlLb0EEEZNS1_14transform_implILb0ES3_S5_NS0_18transform_iteratorINS0_17counting_iteratorImlEEZNS1_24adjacent_difference_implIS3_Lb1ELb0EPlSB_ZN2at6native12_GLOBAL__N_124unique_dim_cuda_templateIsEESt5tupleIJNSC_6TensorESH_SH_EERKSH_lbbbEUlllE1_EE10hipError_tPvRmT2_T3_mT4_P12ihipStream_tbEUlmE_lEESB_NS0_8identityIvEEEESM_SP_SQ_mSR_ST_bEUlT_E_NS1_11comp_targetILNS1_3genE5ELNS1_11target_archE942ELNS1_3gpuE9ELNS1_3repE0EEENS1_30default_config_static_selectorELNS0_4arch9wavefront6targetE1EEEvT1_: ; @_ZN7rocprim17ROCPRIM_400000_NS6detail17trampoline_kernelINS0_14default_configENS1_25transform_config_selectorIlLb0EEEZNS1_14transform_implILb0ES3_S5_NS0_18transform_iteratorINS0_17counting_iteratorImlEEZNS1_24adjacent_difference_implIS3_Lb1ELb0EPlSB_ZN2at6native12_GLOBAL__N_124unique_dim_cuda_templateIsEESt5tupleIJNSC_6TensorESH_SH_EERKSH_lbbbEUlllE1_EE10hipError_tPvRmT2_T3_mT4_P12ihipStream_tbEUlmE_lEESB_NS0_8identityIvEEEESM_SP_SQ_mSR_ST_bEUlT_E_NS1_11comp_targetILNS1_3genE5ELNS1_11target_archE942ELNS1_3gpuE9ELNS1_3repE0EEENS1_30default_config_static_selectorELNS0_4arch9wavefront6targetE1EEEvT1_
; %bb.0:
	s_load_dwordx4 s[8:11], s[0:1], 0x18
	s_load_dwordx2 s[12:13], s[0:1], 0x28
	s_load_dwordx4 s[4:7], s[0:1], 0x0
	s_load_dword s14, s[0:1], 0x10
	s_load_dword s3, s[0:1], 0x38
	s_waitcnt lgkmcnt(0)
	s_lshl_b64 s[0:1], s[8:9], 3
	s_add_u32 s11, s12, s0
	s_addc_u32 s16, s13, s1
	s_lshl_b32 s12, s2, 10
	s_add_i32 s3, s3, -1
	s_add_u32 s0, s4, s12
	s_addc_u32 s1, s5, 0
	s_add_u32 s4, s0, s8
	s_addc_u32 s5, s1, s9
	s_mov_b32 s13, 0
	s_cmp_lg_u32 s2, s3
	v_lshlrev_b32_e32 v6, 3, v0
	s_cbranch_scc0 .LBB674_2
; %bb.1:
	v_mov_b32_e32 v1, 0
	v_lshl_add_u64 v[2:3], s[4:5], 0, v[0:1]
	v_mad_u64_u32 v[4:5], s[0:1], v2, s14, 0
	v_mov_b32_e32 v2, v5
	v_mad_u64_u32 v[2:3], s[0:1], v3, s14, v[2:3]
	s_mov_b32 s15, s13
	v_mov_b32_e32 v5, v2
	v_lshl_add_u64 v[2:3], v[4:5], 3, s[6:7]
	s_lshl_b64 s[0:1], s[14:15], 12
	global_load_dwordx2 v[10:11], v[2:3], off
	v_lshl_add_u64 v[2:3], v[2:3], 0, s[0:1]
	global_load_dwordx2 v[4:5], v[2:3], off
	s_lshl_b64 s[2:3], s[12:13], 3
	s_add_u32 s2, s11, s2
	v_mov_b32_e32 v7, v1
	s_addc_u32 s3, s16, s3
	v_lshl_add_u64 v[8:9], s[2:3], 0, v[6:7]
	s_waitcnt vmcnt(1)
	global_store_dwordx2 v6, v[10:11], s[2:3]
	s_mov_b64 s[2:3], -1
	s_cbranch_execz .LBB674_3
	s_branch .LBB674_12
.LBB674_2:
	s_mov_b64 s[2:3], 0
                                        ; implicit-def: $vgpr4_vgpr5
                                        ; implicit-def: $vgpr8_vgpr9
.LBB674_3:
	s_sub_i32 s8, s10, s12
	v_cmp_gt_u32_e32 vcc, s8, v0
                                        ; implicit-def: $vgpr2_vgpr3_vgpr4_vgpr5
	s_and_saveexec_b64 s[0:1], vcc
	s_cbranch_execz .LBB674_5
; %bb.4:
	v_mov_b32_e32 v1, 0
	v_lshl_add_u64 v[2:3], s[4:5], 0, v[0:1]
	s_waitcnt vmcnt(1)
	v_mad_u64_u32 v[4:5], s[18:19], v2, s14, 0
	v_mov_b32_e32 v2, v5
	v_mad_u64_u32 v[2:3], s[18:19], v3, s14, v[2:3]
	v_mov_b32_e32 v5, v2
	v_lshl_add_u64 v[2:3], v[4:5], 3, s[6:7]
	global_load_dwordx2 v[2:3], v[2:3], off
.LBB674_5:
	s_or_b64 exec, exec, s[0:1]
	v_or_b32_e32 v0, 0x200, v0
	v_cmp_gt_u32_e64 s[0:1], s8, v0
	s_and_saveexec_b64 s[8:9], s[0:1]
	s_cbranch_execz .LBB674_7
; %bb.6:
	v_mov_b32_e32 v1, 0
	v_lshl_add_u64 v[0:1], s[4:5], 0, v[0:1]
	s_waitcnt vmcnt(1)
	v_mad_u64_u32 v[4:5], s[4:5], v0, s14, 0
	v_mov_b32_e32 v0, v5
	v_mad_u64_u32 v[0:1], s[4:5], v1, s14, v[0:1]
	v_mov_b32_e32 v5, v0
	v_lshl_add_u64 v[0:1], v[4:5], 3, s[6:7]
	global_load_dwordx2 v[4:5], v[0:1], off
.LBB674_7:
	s_or_b64 exec, exec, s[8:9]
	s_lshl_b64 s[4:5], s[12:13], 3
	s_add_u32 s4, s11, s4
	s_addc_u32 s5, s16, s5
	v_mov_b32_e32 v7, 0
	v_lshl_add_u64 v[8:9], s[4:5], 0, v[6:7]
	s_and_saveexec_b64 s[4:5], vcc
	s_cbranch_execz .LBB674_9
; %bb.8:
	s_waitcnt vmcnt(0)
	global_store_dwordx2 v[8:9], v[2:3], off
.LBB674_9:
	s_or_b64 exec, exec, s[4:5]
	s_and_saveexec_b64 s[4:5], s[0:1]
; %bb.10:
	s_or_b64 s[2:3], s[2:3], exec
; %bb.11:
	s_or_b64 exec, exec, s[4:5]
.LBB674_12:
	s_and_saveexec_b64 s[0:1], s[2:3]
	s_cbranch_execnz .LBB674_14
; %bb.13:
	s_endpgm
.LBB674_14:
	v_add_co_u32_e32 v0, vcc, 0x1000, v8
	s_nop 1
	v_addc_co_u32_e32 v1, vcc, 0, v9, vcc
	s_waitcnt vmcnt(0)
	global_store_dwordx2 v[0:1], v[4:5], off
	s_endpgm
	.section	.rodata,"a",@progbits
	.p2align	6, 0x0
	.amdhsa_kernel _ZN7rocprim17ROCPRIM_400000_NS6detail17trampoline_kernelINS0_14default_configENS1_25transform_config_selectorIlLb0EEEZNS1_14transform_implILb0ES3_S5_NS0_18transform_iteratorINS0_17counting_iteratorImlEEZNS1_24adjacent_difference_implIS3_Lb1ELb0EPlSB_ZN2at6native12_GLOBAL__N_124unique_dim_cuda_templateIsEESt5tupleIJNSC_6TensorESH_SH_EERKSH_lbbbEUlllE1_EE10hipError_tPvRmT2_T3_mT4_P12ihipStream_tbEUlmE_lEESB_NS0_8identityIvEEEESM_SP_SQ_mSR_ST_bEUlT_E_NS1_11comp_targetILNS1_3genE5ELNS1_11target_archE942ELNS1_3gpuE9ELNS1_3repE0EEENS1_30default_config_static_selectorELNS0_4arch9wavefront6targetE1EEEvT1_
		.amdhsa_group_segment_fixed_size 0
		.amdhsa_private_segment_fixed_size 0
		.amdhsa_kernarg_size 312
		.amdhsa_user_sgpr_count 2
		.amdhsa_user_sgpr_dispatch_ptr 0
		.amdhsa_user_sgpr_queue_ptr 0
		.amdhsa_user_sgpr_kernarg_segment_ptr 1
		.amdhsa_user_sgpr_dispatch_id 0
		.amdhsa_user_sgpr_kernarg_preload_length 0
		.amdhsa_user_sgpr_kernarg_preload_offset 0
		.amdhsa_user_sgpr_private_segment_size 0
		.amdhsa_uses_dynamic_stack 0
		.amdhsa_enable_private_segment 0
		.amdhsa_system_sgpr_workgroup_id_x 1
		.amdhsa_system_sgpr_workgroup_id_y 0
		.amdhsa_system_sgpr_workgroup_id_z 0
		.amdhsa_system_sgpr_workgroup_info 0
		.amdhsa_system_vgpr_workitem_id 0
		.amdhsa_next_free_vgpr 12
		.amdhsa_next_free_sgpr 20
		.amdhsa_accum_offset 12
		.amdhsa_reserve_vcc 1
		.amdhsa_float_round_mode_32 0
		.amdhsa_float_round_mode_16_64 0
		.amdhsa_float_denorm_mode_32 3
		.amdhsa_float_denorm_mode_16_64 3
		.amdhsa_dx10_clamp 1
		.amdhsa_ieee_mode 1
		.amdhsa_fp16_overflow 0
		.amdhsa_tg_split 0
		.amdhsa_exception_fp_ieee_invalid_op 0
		.amdhsa_exception_fp_denorm_src 0
		.amdhsa_exception_fp_ieee_div_zero 0
		.amdhsa_exception_fp_ieee_overflow 0
		.amdhsa_exception_fp_ieee_underflow 0
		.amdhsa_exception_fp_ieee_inexact 0
		.amdhsa_exception_int_div_zero 0
	.end_amdhsa_kernel
	.section	.text._ZN7rocprim17ROCPRIM_400000_NS6detail17trampoline_kernelINS0_14default_configENS1_25transform_config_selectorIlLb0EEEZNS1_14transform_implILb0ES3_S5_NS0_18transform_iteratorINS0_17counting_iteratorImlEEZNS1_24adjacent_difference_implIS3_Lb1ELb0EPlSB_ZN2at6native12_GLOBAL__N_124unique_dim_cuda_templateIsEESt5tupleIJNSC_6TensorESH_SH_EERKSH_lbbbEUlllE1_EE10hipError_tPvRmT2_T3_mT4_P12ihipStream_tbEUlmE_lEESB_NS0_8identityIvEEEESM_SP_SQ_mSR_ST_bEUlT_E_NS1_11comp_targetILNS1_3genE5ELNS1_11target_archE942ELNS1_3gpuE9ELNS1_3repE0EEENS1_30default_config_static_selectorELNS0_4arch9wavefront6targetE1EEEvT1_,"axG",@progbits,_ZN7rocprim17ROCPRIM_400000_NS6detail17trampoline_kernelINS0_14default_configENS1_25transform_config_selectorIlLb0EEEZNS1_14transform_implILb0ES3_S5_NS0_18transform_iteratorINS0_17counting_iteratorImlEEZNS1_24adjacent_difference_implIS3_Lb1ELb0EPlSB_ZN2at6native12_GLOBAL__N_124unique_dim_cuda_templateIsEESt5tupleIJNSC_6TensorESH_SH_EERKSH_lbbbEUlllE1_EE10hipError_tPvRmT2_T3_mT4_P12ihipStream_tbEUlmE_lEESB_NS0_8identityIvEEEESM_SP_SQ_mSR_ST_bEUlT_E_NS1_11comp_targetILNS1_3genE5ELNS1_11target_archE942ELNS1_3gpuE9ELNS1_3repE0EEENS1_30default_config_static_selectorELNS0_4arch9wavefront6targetE1EEEvT1_,comdat
.Lfunc_end674:
	.size	_ZN7rocprim17ROCPRIM_400000_NS6detail17trampoline_kernelINS0_14default_configENS1_25transform_config_selectorIlLb0EEEZNS1_14transform_implILb0ES3_S5_NS0_18transform_iteratorINS0_17counting_iteratorImlEEZNS1_24adjacent_difference_implIS3_Lb1ELb0EPlSB_ZN2at6native12_GLOBAL__N_124unique_dim_cuda_templateIsEESt5tupleIJNSC_6TensorESH_SH_EERKSH_lbbbEUlllE1_EE10hipError_tPvRmT2_T3_mT4_P12ihipStream_tbEUlmE_lEESB_NS0_8identityIvEEEESM_SP_SQ_mSR_ST_bEUlT_E_NS1_11comp_targetILNS1_3genE5ELNS1_11target_archE942ELNS1_3gpuE9ELNS1_3repE0EEENS1_30default_config_static_selectorELNS0_4arch9wavefront6targetE1EEEvT1_, .Lfunc_end674-_ZN7rocprim17ROCPRIM_400000_NS6detail17trampoline_kernelINS0_14default_configENS1_25transform_config_selectorIlLb0EEEZNS1_14transform_implILb0ES3_S5_NS0_18transform_iteratorINS0_17counting_iteratorImlEEZNS1_24adjacent_difference_implIS3_Lb1ELb0EPlSB_ZN2at6native12_GLOBAL__N_124unique_dim_cuda_templateIsEESt5tupleIJNSC_6TensorESH_SH_EERKSH_lbbbEUlllE1_EE10hipError_tPvRmT2_T3_mT4_P12ihipStream_tbEUlmE_lEESB_NS0_8identityIvEEEESM_SP_SQ_mSR_ST_bEUlT_E_NS1_11comp_targetILNS1_3genE5ELNS1_11target_archE942ELNS1_3gpuE9ELNS1_3repE0EEENS1_30default_config_static_selectorELNS0_4arch9wavefront6targetE1EEEvT1_
                                        ; -- End function
	.section	.AMDGPU.csdata,"",@progbits
; Kernel info:
; codeLenInByte = 488
; NumSgprs: 26
; NumVgprs: 12
; NumAgprs: 0
; TotalNumVgprs: 12
; ScratchSize: 0
; MemoryBound: 0
; FloatMode: 240
; IeeeMode: 1
; LDSByteSize: 0 bytes/workgroup (compile time only)
; SGPRBlocks: 3
; VGPRBlocks: 1
; NumSGPRsForWavesPerEU: 26
; NumVGPRsForWavesPerEU: 12
; AccumOffset: 12
; Occupancy: 8
; WaveLimiterHint : 0
; COMPUTE_PGM_RSRC2:SCRATCH_EN: 0
; COMPUTE_PGM_RSRC2:USER_SGPR: 2
; COMPUTE_PGM_RSRC2:TRAP_HANDLER: 0
; COMPUTE_PGM_RSRC2:TGID_X_EN: 1
; COMPUTE_PGM_RSRC2:TGID_Y_EN: 0
; COMPUTE_PGM_RSRC2:TGID_Z_EN: 0
; COMPUTE_PGM_RSRC2:TIDIG_COMP_CNT: 0
; COMPUTE_PGM_RSRC3_GFX90A:ACCUM_OFFSET: 2
; COMPUTE_PGM_RSRC3_GFX90A:TG_SPLIT: 0
	.section	.text._ZN7rocprim17ROCPRIM_400000_NS6detail17trampoline_kernelINS0_14default_configENS1_25transform_config_selectorIlLb0EEEZNS1_14transform_implILb0ES3_S5_NS0_18transform_iteratorINS0_17counting_iteratorImlEEZNS1_24adjacent_difference_implIS3_Lb1ELb0EPlSB_ZN2at6native12_GLOBAL__N_124unique_dim_cuda_templateIsEESt5tupleIJNSC_6TensorESH_SH_EERKSH_lbbbEUlllE1_EE10hipError_tPvRmT2_T3_mT4_P12ihipStream_tbEUlmE_lEESB_NS0_8identityIvEEEESM_SP_SQ_mSR_ST_bEUlT_E_NS1_11comp_targetILNS1_3genE4ELNS1_11target_archE910ELNS1_3gpuE8ELNS1_3repE0EEENS1_30default_config_static_selectorELNS0_4arch9wavefront6targetE1EEEvT1_,"axG",@progbits,_ZN7rocprim17ROCPRIM_400000_NS6detail17trampoline_kernelINS0_14default_configENS1_25transform_config_selectorIlLb0EEEZNS1_14transform_implILb0ES3_S5_NS0_18transform_iteratorINS0_17counting_iteratorImlEEZNS1_24adjacent_difference_implIS3_Lb1ELb0EPlSB_ZN2at6native12_GLOBAL__N_124unique_dim_cuda_templateIsEESt5tupleIJNSC_6TensorESH_SH_EERKSH_lbbbEUlllE1_EE10hipError_tPvRmT2_T3_mT4_P12ihipStream_tbEUlmE_lEESB_NS0_8identityIvEEEESM_SP_SQ_mSR_ST_bEUlT_E_NS1_11comp_targetILNS1_3genE4ELNS1_11target_archE910ELNS1_3gpuE8ELNS1_3repE0EEENS1_30default_config_static_selectorELNS0_4arch9wavefront6targetE1EEEvT1_,comdat
	.globl	_ZN7rocprim17ROCPRIM_400000_NS6detail17trampoline_kernelINS0_14default_configENS1_25transform_config_selectorIlLb0EEEZNS1_14transform_implILb0ES3_S5_NS0_18transform_iteratorINS0_17counting_iteratorImlEEZNS1_24adjacent_difference_implIS3_Lb1ELb0EPlSB_ZN2at6native12_GLOBAL__N_124unique_dim_cuda_templateIsEESt5tupleIJNSC_6TensorESH_SH_EERKSH_lbbbEUlllE1_EE10hipError_tPvRmT2_T3_mT4_P12ihipStream_tbEUlmE_lEESB_NS0_8identityIvEEEESM_SP_SQ_mSR_ST_bEUlT_E_NS1_11comp_targetILNS1_3genE4ELNS1_11target_archE910ELNS1_3gpuE8ELNS1_3repE0EEENS1_30default_config_static_selectorELNS0_4arch9wavefront6targetE1EEEvT1_ ; -- Begin function _ZN7rocprim17ROCPRIM_400000_NS6detail17trampoline_kernelINS0_14default_configENS1_25transform_config_selectorIlLb0EEEZNS1_14transform_implILb0ES3_S5_NS0_18transform_iteratorINS0_17counting_iteratorImlEEZNS1_24adjacent_difference_implIS3_Lb1ELb0EPlSB_ZN2at6native12_GLOBAL__N_124unique_dim_cuda_templateIsEESt5tupleIJNSC_6TensorESH_SH_EERKSH_lbbbEUlllE1_EE10hipError_tPvRmT2_T3_mT4_P12ihipStream_tbEUlmE_lEESB_NS0_8identityIvEEEESM_SP_SQ_mSR_ST_bEUlT_E_NS1_11comp_targetILNS1_3genE4ELNS1_11target_archE910ELNS1_3gpuE8ELNS1_3repE0EEENS1_30default_config_static_selectorELNS0_4arch9wavefront6targetE1EEEvT1_
	.p2align	8
	.type	_ZN7rocprim17ROCPRIM_400000_NS6detail17trampoline_kernelINS0_14default_configENS1_25transform_config_selectorIlLb0EEEZNS1_14transform_implILb0ES3_S5_NS0_18transform_iteratorINS0_17counting_iteratorImlEEZNS1_24adjacent_difference_implIS3_Lb1ELb0EPlSB_ZN2at6native12_GLOBAL__N_124unique_dim_cuda_templateIsEESt5tupleIJNSC_6TensorESH_SH_EERKSH_lbbbEUlllE1_EE10hipError_tPvRmT2_T3_mT4_P12ihipStream_tbEUlmE_lEESB_NS0_8identityIvEEEESM_SP_SQ_mSR_ST_bEUlT_E_NS1_11comp_targetILNS1_3genE4ELNS1_11target_archE910ELNS1_3gpuE8ELNS1_3repE0EEENS1_30default_config_static_selectorELNS0_4arch9wavefront6targetE1EEEvT1_,@function
_ZN7rocprim17ROCPRIM_400000_NS6detail17trampoline_kernelINS0_14default_configENS1_25transform_config_selectorIlLb0EEEZNS1_14transform_implILb0ES3_S5_NS0_18transform_iteratorINS0_17counting_iteratorImlEEZNS1_24adjacent_difference_implIS3_Lb1ELb0EPlSB_ZN2at6native12_GLOBAL__N_124unique_dim_cuda_templateIsEESt5tupleIJNSC_6TensorESH_SH_EERKSH_lbbbEUlllE1_EE10hipError_tPvRmT2_T3_mT4_P12ihipStream_tbEUlmE_lEESB_NS0_8identityIvEEEESM_SP_SQ_mSR_ST_bEUlT_E_NS1_11comp_targetILNS1_3genE4ELNS1_11target_archE910ELNS1_3gpuE8ELNS1_3repE0EEENS1_30default_config_static_selectorELNS0_4arch9wavefront6targetE1EEEvT1_: ; @_ZN7rocprim17ROCPRIM_400000_NS6detail17trampoline_kernelINS0_14default_configENS1_25transform_config_selectorIlLb0EEEZNS1_14transform_implILb0ES3_S5_NS0_18transform_iteratorINS0_17counting_iteratorImlEEZNS1_24adjacent_difference_implIS3_Lb1ELb0EPlSB_ZN2at6native12_GLOBAL__N_124unique_dim_cuda_templateIsEESt5tupleIJNSC_6TensorESH_SH_EERKSH_lbbbEUlllE1_EE10hipError_tPvRmT2_T3_mT4_P12ihipStream_tbEUlmE_lEESB_NS0_8identityIvEEEESM_SP_SQ_mSR_ST_bEUlT_E_NS1_11comp_targetILNS1_3genE4ELNS1_11target_archE910ELNS1_3gpuE8ELNS1_3repE0EEENS1_30default_config_static_selectorELNS0_4arch9wavefront6targetE1EEEvT1_
; %bb.0:
	.section	.rodata,"a",@progbits
	.p2align	6, 0x0
	.amdhsa_kernel _ZN7rocprim17ROCPRIM_400000_NS6detail17trampoline_kernelINS0_14default_configENS1_25transform_config_selectorIlLb0EEEZNS1_14transform_implILb0ES3_S5_NS0_18transform_iteratorINS0_17counting_iteratorImlEEZNS1_24adjacent_difference_implIS3_Lb1ELb0EPlSB_ZN2at6native12_GLOBAL__N_124unique_dim_cuda_templateIsEESt5tupleIJNSC_6TensorESH_SH_EERKSH_lbbbEUlllE1_EE10hipError_tPvRmT2_T3_mT4_P12ihipStream_tbEUlmE_lEESB_NS0_8identityIvEEEESM_SP_SQ_mSR_ST_bEUlT_E_NS1_11comp_targetILNS1_3genE4ELNS1_11target_archE910ELNS1_3gpuE8ELNS1_3repE0EEENS1_30default_config_static_selectorELNS0_4arch9wavefront6targetE1EEEvT1_
		.amdhsa_group_segment_fixed_size 0
		.amdhsa_private_segment_fixed_size 0
		.amdhsa_kernarg_size 56
		.amdhsa_user_sgpr_count 2
		.amdhsa_user_sgpr_dispatch_ptr 0
		.amdhsa_user_sgpr_queue_ptr 0
		.amdhsa_user_sgpr_kernarg_segment_ptr 1
		.amdhsa_user_sgpr_dispatch_id 0
		.amdhsa_user_sgpr_kernarg_preload_length 0
		.amdhsa_user_sgpr_kernarg_preload_offset 0
		.amdhsa_user_sgpr_private_segment_size 0
		.amdhsa_uses_dynamic_stack 0
		.amdhsa_enable_private_segment 0
		.amdhsa_system_sgpr_workgroup_id_x 1
		.amdhsa_system_sgpr_workgroup_id_y 0
		.amdhsa_system_sgpr_workgroup_id_z 0
		.amdhsa_system_sgpr_workgroup_info 0
		.amdhsa_system_vgpr_workitem_id 0
		.amdhsa_next_free_vgpr 1
		.amdhsa_next_free_sgpr 0
		.amdhsa_accum_offset 4
		.amdhsa_reserve_vcc 0
		.amdhsa_float_round_mode_32 0
		.amdhsa_float_round_mode_16_64 0
		.amdhsa_float_denorm_mode_32 3
		.amdhsa_float_denorm_mode_16_64 3
		.amdhsa_dx10_clamp 1
		.amdhsa_ieee_mode 1
		.amdhsa_fp16_overflow 0
		.amdhsa_tg_split 0
		.amdhsa_exception_fp_ieee_invalid_op 0
		.amdhsa_exception_fp_denorm_src 0
		.amdhsa_exception_fp_ieee_div_zero 0
		.amdhsa_exception_fp_ieee_overflow 0
		.amdhsa_exception_fp_ieee_underflow 0
		.amdhsa_exception_fp_ieee_inexact 0
		.amdhsa_exception_int_div_zero 0
	.end_amdhsa_kernel
	.section	.text._ZN7rocprim17ROCPRIM_400000_NS6detail17trampoline_kernelINS0_14default_configENS1_25transform_config_selectorIlLb0EEEZNS1_14transform_implILb0ES3_S5_NS0_18transform_iteratorINS0_17counting_iteratorImlEEZNS1_24adjacent_difference_implIS3_Lb1ELb0EPlSB_ZN2at6native12_GLOBAL__N_124unique_dim_cuda_templateIsEESt5tupleIJNSC_6TensorESH_SH_EERKSH_lbbbEUlllE1_EE10hipError_tPvRmT2_T3_mT4_P12ihipStream_tbEUlmE_lEESB_NS0_8identityIvEEEESM_SP_SQ_mSR_ST_bEUlT_E_NS1_11comp_targetILNS1_3genE4ELNS1_11target_archE910ELNS1_3gpuE8ELNS1_3repE0EEENS1_30default_config_static_selectorELNS0_4arch9wavefront6targetE1EEEvT1_,"axG",@progbits,_ZN7rocprim17ROCPRIM_400000_NS6detail17trampoline_kernelINS0_14default_configENS1_25transform_config_selectorIlLb0EEEZNS1_14transform_implILb0ES3_S5_NS0_18transform_iteratorINS0_17counting_iteratorImlEEZNS1_24adjacent_difference_implIS3_Lb1ELb0EPlSB_ZN2at6native12_GLOBAL__N_124unique_dim_cuda_templateIsEESt5tupleIJNSC_6TensorESH_SH_EERKSH_lbbbEUlllE1_EE10hipError_tPvRmT2_T3_mT4_P12ihipStream_tbEUlmE_lEESB_NS0_8identityIvEEEESM_SP_SQ_mSR_ST_bEUlT_E_NS1_11comp_targetILNS1_3genE4ELNS1_11target_archE910ELNS1_3gpuE8ELNS1_3repE0EEENS1_30default_config_static_selectorELNS0_4arch9wavefront6targetE1EEEvT1_,comdat
.Lfunc_end675:
	.size	_ZN7rocprim17ROCPRIM_400000_NS6detail17trampoline_kernelINS0_14default_configENS1_25transform_config_selectorIlLb0EEEZNS1_14transform_implILb0ES3_S5_NS0_18transform_iteratorINS0_17counting_iteratorImlEEZNS1_24adjacent_difference_implIS3_Lb1ELb0EPlSB_ZN2at6native12_GLOBAL__N_124unique_dim_cuda_templateIsEESt5tupleIJNSC_6TensorESH_SH_EERKSH_lbbbEUlllE1_EE10hipError_tPvRmT2_T3_mT4_P12ihipStream_tbEUlmE_lEESB_NS0_8identityIvEEEESM_SP_SQ_mSR_ST_bEUlT_E_NS1_11comp_targetILNS1_3genE4ELNS1_11target_archE910ELNS1_3gpuE8ELNS1_3repE0EEENS1_30default_config_static_selectorELNS0_4arch9wavefront6targetE1EEEvT1_, .Lfunc_end675-_ZN7rocprim17ROCPRIM_400000_NS6detail17trampoline_kernelINS0_14default_configENS1_25transform_config_selectorIlLb0EEEZNS1_14transform_implILb0ES3_S5_NS0_18transform_iteratorINS0_17counting_iteratorImlEEZNS1_24adjacent_difference_implIS3_Lb1ELb0EPlSB_ZN2at6native12_GLOBAL__N_124unique_dim_cuda_templateIsEESt5tupleIJNSC_6TensorESH_SH_EERKSH_lbbbEUlllE1_EE10hipError_tPvRmT2_T3_mT4_P12ihipStream_tbEUlmE_lEESB_NS0_8identityIvEEEESM_SP_SQ_mSR_ST_bEUlT_E_NS1_11comp_targetILNS1_3genE4ELNS1_11target_archE910ELNS1_3gpuE8ELNS1_3repE0EEENS1_30default_config_static_selectorELNS0_4arch9wavefront6targetE1EEEvT1_
                                        ; -- End function
	.section	.AMDGPU.csdata,"",@progbits
; Kernel info:
; codeLenInByte = 0
; NumSgprs: 6
; NumVgprs: 0
; NumAgprs: 0
; TotalNumVgprs: 0
; ScratchSize: 0
; MemoryBound: 0
; FloatMode: 240
; IeeeMode: 1
; LDSByteSize: 0 bytes/workgroup (compile time only)
; SGPRBlocks: 0
; VGPRBlocks: 0
; NumSGPRsForWavesPerEU: 6
; NumVGPRsForWavesPerEU: 1
; AccumOffset: 4
; Occupancy: 8
; WaveLimiterHint : 0
; COMPUTE_PGM_RSRC2:SCRATCH_EN: 0
; COMPUTE_PGM_RSRC2:USER_SGPR: 2
; COMPUTE_PGM_RSRC2:TRAP_HANDLER: 0
; COMPUTE_PGM_RSRC2:TGID_X_EN: 1
; COMPUTE_PGM_RSRC2:TGID_Y_EN: 0
; COMPUTE_PGM_RSRC2:TGID_Z_EN: 0
; COMPUTE_PGM_RSRC2:TIDIG_COMP_CNT: 0
; COMPUTE_PGM_RSRC3_GFX90A:ACCUM_OFFSET: 0
; COMPUTE_PGM_RSRC3_GFX90A:TG_SPLIT: 0
	.section	.text._ZN7rocprim17ROCPRIM_400000_NS6detail17trampoline_kernelINS0_14default_configENS1_25transform_config_selectorIlLb0EEEZNS1_14transform_implILb0ES3_S5_NS0_18transform_iteratorINS0_17counting_iteratorImlEEZNS1_24adjacent_difference_implIS3_Lb1ELb0EPlSB_ZN2at6native12_GLOBAL__N_124unique_dim_cuda_templateIsEESt5tupleIJNSC_6TensorESH_SH_EERKSH_lbbbEUlllE1_EE10hipError_tPvRmT2_T3_mT4_P12ihipStream_tbEUlmE_lEESB_NS0_8identityIvEEEESM_SP_SQ_mSR_ST_bEUlT_E_NS1_11comp_targetILNS1_3genE3ELNS1_11target_archE908ELNS1_3gpuE7ELNS1_3repE0EEENS1_30default_config_static_selectorELNS0_4arch9wavefront6targetE1EEEvT1_,"axG",@progbits,_ZN7rocprim17ROCPRIM_400000_NS6detail17trampoline_kernelINS0_14default_configENS1_25transform_config_selectorIlLb0EEEZNS1_14transform_implILb0ES3_S5_NS0_18transform_iteratorINS0_17counting_iteratorImlEEZNS1_24adjacent_difference_implIS3_Lb1ELb0EPlSB_ZN2at6native12_GLOBAL__N_124unique_dim_cuda_templateIsEESt5tupleIJNSC_6TensorESH_SH_EERKSH_lbbbEUlllE1_EE10hipError_tPvRmT2_T3_mT4_P12ihipStream_tbEUlmE_lEESB_NS0_8identityIvEEEESM_SP_SQ_mSR_ST_bEUlT_E_NS1_11comp_targetILNS1_3genE3ELNS1_11target_archE908ELNS1_3gpuE7ELNS1_3repE0EEENS1_30default_config_static_selectorELNS0_4arch9wavefront6targetE1EEEvT1_,comdat
	.globl	_ZN7rocprim17ROCPRIM_400000_NS6detail17trampoline_kernelINS0_14default_configENS1_25transform_config_selectorIlLb0EEEZNS1_14transform_implILb0ES3_S5_NS0_18transform_iteratorINS0_17counting_iteratorImlEEZNS1_24adjacent_difference_implIS3_Lb1ELb0EPlSB_ZN2at6native12_GLOBAL__N_124unique_dim_cuda_templateIsEESt5tupleIJNSC_6TensorESH_SH_EERKSH_lbbbEUlllE1_EE10hipError_tPvRmT2_T3_mT4_P12ihipStream_tbEUlmE_lEESB_NS0_8identityIvEEEESM_SP_SQ_mSR_ST_bEUlT_E_NS1_11comp_targetILNS1_3genE3ELNS1_11target_archE908ELNS1_3gpuE7ELNS1_3repE0EEENS1_30default_config_static_selectorELNS0_4arch9wavefront6targetE1EEEvT1_ ; -- Begin function _ZN7rocprim17ROCPRIM_400000_NS6detail17trampoline_kernelINS0_14default_configENS1_25transform_config_selectorIlLb0EEEZNS1_14transform_implILb0ES3_S5_NS0_18transform_iteratorINS0_17counting_iteratorImlEEZNS1_24adjacent_difference_implIS3_Lb1ELb0EPlSB_ZN2at6native12_GLOBAL__N_124unique_dim_cuda_templateIsEESt5tupleIJNSC_6TensorESH_SH_EERKSH_lbbbEUlllE1_EE10hipError_tPvRmT2_T3_mT4_P12ihipStream_tbEUlmE_lEESB_NS0_8identityIvEEEESM_SP_SQ_mSR_ST_bEUlT_E_NS1_11comp_targetILNS1_3genE3ELNS1_11target_archE908ELNS1_3gpuE7ELNS1_3repE0EEENS1_30default_config_static_selectorELNS0_4arch9wavefront6targetE1EEEvT1_
	.p2align	8
	.type	_ZN7rocprim17ROCPRIM_400000_NS6detail17trampoline_kernelINS0_14default_configENS1_25transform_config_selectorIlLb0EEEZNS1_14transform_implILb0ES3_S5_NS0_18transform_iteratorINS0_17counting_iteratorImlEEZNS1_24adjacent_difference_implIS3_Lb1ELb0EPlSB_ZN2at6native12_GLOBAL__N_124unique_dim_cuda_templateIsEESt5tupleIJNSC_6TensorESH_SH_EERKSH_lbbbEUlllE1_EE10hipError_tPvRmT2_T3_mT4_P12ihipStream_tbEUlmE_lEESB_NS0_8identityIvEEEESM_SP_SQ_mSR_ST_bEUlT_E_NS1_11comp_targetILNS1_3genE3ELNS1_11target_archE908ELNS1_3gpuE7ELNS1_3repE0EEENS1_30default_config_static_selectorELNS0_4arch9wavefront6targetE1EEEvT1_,@function
_ZN7rocprim17ROCPRIM_400000_NS6detail17trampoline_kernelINS0_14default_configENS1_25transform_config_selectorIlLb0EEEZNS1_14transform_implILb0ES3_S5_NS0_18transform_iteratorINS0_17counting_iteratorImlEEZNS1_24adjacent_difference_implIS3_Lb1ELb0EPlSB_ZN2at6native12_GLOBAL__N_124unique_dim_cuda_templateIsEESt5tupleIJNSC_6TensorESH_SH_EERKSH_lbbbEUlllE1_EE10hipError_tPvRmT2_T3_mT4_P12ihipStream_tbEUlmE_lEESB_NS0_8identityIvEEEESM_SP_SQ_mSR_ST_bEUlT_E_NS1_11comp_targetILNS1_3genE3ELNS1_11target_archE908ELNS1_3gpuE7ELNS1_3repE0EEENS1_30default_config_static_selectorELNS0_4arch9wavefront6targetE1EEEvT1_: ; @_ZN7rocprim17ROCPRIM_400000_NS6detail17trampoline_kernelINS0_14default_configENS1_25transform_config_selectorIlLb0EEEZNS1_14transform_implILb0ES3_S5_NS0_18transform_iteratorINS0_17counting_iteratorImlEEZNS1_24adjacent_difference_implIS3_Lb1ELb0EPlSB_ZN2at6native12_GLOBAL__N_124unique_dim_cuda_templateIsEESt5tupleIJNSC_6TensorESH_SH_EERKSH_lbbbEUlllE1_EE10hipError_tPvRmT2_T3_mT4_P12ihipStream_tbEUlmE_lEESB_NS0_8identityIvEEEESM_SP_SQ_mSR_ST_bEUlT_E_NS1_11comp_targetILNS1_3genE3ELNS1_11target_archE908ELNS1_3gpuE7ELNS1_3repE0EEENS1_30default_config_static_selectorELNS0_4arch9wavefront6targetE1EEEvT1_
; %bb.0:
	.section	.rodata,"a",@progbits
	.p2align	6, 0x0
	.amdhsa_kernel _ZN7rocprim17ROCPRIM_400000_NS6detail17trampoline_kernelINS0_14default_configENS1_25transform_config_selectorIlLb0EEEZNS1_14transform_implILb0ES3_S5_NS0_18transform_iteratorINS0_17counting_iteratorImlEEZNS1_24adjacent_difference_implIS3_Lb1ELb0EPlSB_ZN2at6native12_GLOBAL__N_124unique_dim_cuda_templateIsEESt5tupleIJNSC_6TensorESH_SH_EERKSH_lbbbEUlllE1_EE10hipError_tPvRmT2_T3_mT4_P12ihipStream_tbEUlmE_lEESB_NS0_8identityIvEEEESM_SP_SQ_mSR_ST_bEUlT_E_NS1_11comp_targetILNS1_3genE3ELNS1_11target_archE908ELNS1_3gpuE7ELNS1_3repE0EEENS1_30default_config_static_selectorELNS0_4arch9wavefront6targetE1EEEvT1_
		.amdhsa_group_segment_fixed_size 0
		.amdhsa_private_segment_fixed_size 0
		.amdhsa_kernarg_size 56
		.amdhsa_user_sgpr_count 2
		.amdhsa_user_sgpr_dispatch_ptr 0
		.amdhsa_user_sgpr_queue_ptr 0
		.amdhsa_user_sgpr_kernarg_segment_ptr 1
		.amdhsa_user_sgpr_dispatch_id 0
		.amdhsa_user_sgpr_kernarg_preload_length 0
		.amdhsa_user_sgpr_kernarg_preload_offset 0
		.amdhsa_user_sgpr_private_segment_size 0
		.amdhsa_uses_dynamic_stack 0
		.amdhsa_enable_private_segment 0
		.amdhsa_system_sgpr_workgroup_id_x 1
		.amdhsa_system_sgpr_workgroup_id_y 0
		.amdhsa_system_sgpr_workgroup_id_z 0
		.amdhsa_system_sgpr_workgroup_info 0
		.amdhsa_system_vgpr_workitem_id 0
		.amdhsa_next_free_vgpr 1
		.amdhsa_next_free_sgpr 0
		.amdhsa_accum_offset 4
		.amdhsa_reserve_vcc 0
		.amdhsa_float_round_mode_32 0
		.amdhsa_float_round_mode_16_64 0
		.amdhsa_float_denorm_mode_32 3
		.amdhsa_float_denorm_mode_16_64 3
		.amdhsa_dx10_clamp 1
		.amdhsa_ieee_mode 1
		.amdhsa_fp16_overflow 0
		.amdhsa_tg_split 0
		.amdhsa_exception_fp_ieee_invalid_op 0
		.amdhsa_exception_fp_denorm_src 0
		.amdhsa_exception_fp_ieee_div_zero 0
		.amdhsa_exception_fp_ieee_overflow 0
		.amdhsa_exception_fp_ieee_underflow 0
		.amdhsa_exception_fp_ieee_inexact 0
		.amdhsa_exception_int_div_zero 0
	.end_amdhsa_kernel
	.section	.text._ZN7rocprim17ROCPRIM_400000_NS6detail17trampoline_kernelINS0_14default_configENS1_25transform_config_selectorIlLb0EEEZNS1_14transform_implILb0ES3_S5_NS0_18transform_iteratorINS0_17counting_iteratorImlEEZNS1_24adjacent_difference_implIS3_Lb1ELb0EPlSB_ZN2at6native12_GLOBAL__N_124unique_dim_cuda_templateIsEESt5tupleIJNSC_6TensorESH_SH_EERKSH_lbbbEUlllE1_EE10hipError_tPvRmT2_T3_mT4_P12ihipStream_tbEUlmE_lEESB_NS0_8identityIvEEEESM_SP_SQ_mSR_ST_bEUlT_E_NS1_11comp_targetILNS1_3genE3ELNS1_11target_archE908ELNS1_3gpuE7ELNS1_3repE0EEENS1_30default_config_static_selectorELNS0_4arch9wavefront6targetE1EEEvT1_,"axG",@progbits,_ZN7rocprim17ROCPRIM_400000_NS6detail17trampoline_kernelINS0_14default_configENS1_25transform_config_selectorIlLb0EEEZNS1_14transform_implILb0ES3_S5_NS0_18transform_iteratorINS0_17counting_iteratorImlEEZNS1_24adjacent_difference_implIS3_Lb1ELb0EPlSB_ZN2at6native12_GLOBAL__N_124unique_dim_cuda_templateIsEESt5tupleIJNSC_6TensorESH_SH_EERKSH_lbbbEUlllE1_EE10hipError_tPvRmT2_T3_mT4_P12ihipStream_tbEUlmE_lEESB_NS0_8identityIvEEEESM_SP_SQ_mSR_ST_bEUlT_E_NS1_11comp_targetILNS1_3genE3ELNS1_11target_archE908ELNS1_3gpuE7ELNS1_3repE0EEENS1_30default_config_static_selectorELNS0_4arch9wavefront6targetE1EEEvT1_,comdat
.Lfunc_end676:
	.size	_ZN7rocprim17ROCPRIM_400000_NS6detail17trampoline_kernelINS0_14default_configENS1_25transform_config_selectorIlLb0EEEZNS1_14transform_implILb0ES3_S5_NS0_18transform_iteratorINS0_17counting_iteratorImlEEZNS1_24adjacent_difference_implIS3_Lb1ELb0EPlSB_ZN2at6native12_GLOBAL__N_124unique_dim_cuda_templateIsEESt5tupleIJNSC_6TensorESH_SH_EERKSH_lbbbEUlllE1_EE10hipError_tPvRmT2_T3_mT4_P12ihipStream_tbEUlmE_lEESB_NS0_8identityIvEEEESM_SP_SQ_mSR_ST_bEUlT_E_NS1_11comp_targetILNS1_3genE3ELNS1_11target_archE908ELNS1_3gpuE7ELNS1_3repE0EEENS1_30default_config_static_selectorELNS0_4arch9wavefront6targetE1EEEvT1_, .Lfunc_end676-_ZN7rocprim17ROCPRIM_400000_NS6detail17trampoline_kernelINS0_14default_configENS1_25transform_config_selectorIlLb0EEEZNS1_14transform_implILb0ES3_S5_NS0_18transform_iteratorINS0_17counting_iteratorImlEEZNS1_24adjacent_difference_implIS3_Lb1ELb0EPlSB_ZN2at6native12_GLOBAL__N_124unique_dim_cuda_templateIsEESt5tupleIJNSC_6TensorESH_SH_EERKSH_lbbbEUlllE1_EE10hipError_tPvRmT2_T3_mT4_P12ihipStream_tbEUlmE_lEESB_NS0_8identityIvEEEESM_SP_SQ_mSR_ST_bEUlT_E_NS1_11comp_targetILNS1_3genE3ELNS1_11target_archE908ELNS1_3gpuE7ELNS1_3repE0EEENS1_30default_config_static_selectorELNS0_4arch9wavefront6targetE1EEEvT1_
                                        ; -- End function
	.section	.AMDGPU.csdata,"",@progbits
; Kernel info:
; codeLenInByte = 0
; NumSgprs: 6
; NumVgprs: 0
; NumAgprs: 0
; TotalNumVgprs: 0
; ScratchSize: 0
; MemoryBound: 0
; FloatMode: 240
; IeeeMode: 1
; LDSByteSize: 0 bytes/workgroup (compile time only)
; SGPRBlocks: 0
; VGPRBlocks: 0
; NumSGPRsForWavesPerEU: 6
; NumVGPRsForWavesPerEU: 1
; AccumOffset: 4
; Occupancy: 8
; WaveLimiterHint : 0
; COMPUTE_PGM_RSRC2:SCRATCH_EN: 0
; COMPUTE_PGM_RSRC2:USER_SGPR: 2
; COMPUTE_PGM_RSRC2:TRAP_HANDLER: 0
; COMPUTE_PGM_RSRC2:TGID_X_EN: 1
; COMPUTE_PGM_RSRC2:TGID_Y_EN: 0
; COMPUTE_PGM_RSRC2:TGID_Z_EN: 0
; COMPUTE_PGM_RSRC2:TIDIG_COMP_CNT: 0
; COMPUTE_PGM_RSRC3_GFX90A:ACCUM_OFFSET: 0
; COMPUTE_PGM_RSRC3_GFX90A:TG_SPLIT: 0
	.section	.text._ZN7rocprim17ROCPRIM_400000_NS6detail17trampoline_kernelINS0_14default_configENS1_25transform_config_selectorIlLb0EEEZNS1_14transform_implILb0ES3_S5_NS0_18transform_iteratorINS0_17counting_iteratorImlEEZNS1_24adjacent_difference_implIS3_Lb1ELb0EPlSB_ZN2at6native12_GLOBAL__N_124unique_dim_cuda_templateIsEESt5tupleIJNSC_6TensorESH_SH_EERKSH_lbbbEUlllE1_EE10hipError_tPvRmT2_T3_mT4_P12ihipStream_tbEUlmE_lEESB_NS0_8identityIvEEEESM_SP_SQ_mSR_ST_bEUlT_E_NS1_11comp_targetILNS1_3genE2ELNS1_11target_archE906ELNS1_3gpuE6ELNS1_3repE0EEENS1_30default_config_static_selectorELNS0_4arch9wavefront6targetE1EEEvT1_,"axG",@progbits,_ZN7rocprim17ROCPRIM_400000_NS6detail17trampoline_kernelINS0_14default_configENS1_25transform_config_selectorIlLb0EEEZNS1_14transform_implILb0ES3_S5_NS0_18transform_iteratorINS0_17counting_iteratorImlEEZNS1_24adjacent_difference_implIS3_Lb1ELb0EPlSB_ZN2at6native12_GLOBAL__N_124unique_dim_cuda_templateIsEESt5tupleIJNSC_6TensorESH_SH_EERKSH_lbbbEUlllE1_EE10hipError_tPvRmT2_T3_mT4_P12ihipStream_tbEUlmE_lEESB_NS0_8identityIvEEEESM_SP_SQ_mSR_ST_bEUlT_E_NS1_11comp_targetILNS1_3genE2ELNS1_11target_archE906ELNS1_3gpuE6ELNS1_3repE0EEENS1_30default_config_static_selectorELNS0_4arch9wavefront6targetE1EEEvT1_,comdat
	.globl	_ZN7rocprim17ROCPRIM_400000_NS6detail17trampoline_kernelINS0_14default_configENS1_25transform_config_selectorIlLb0EEEZNS1_14transform_implILb0ES3_S5_NS0_18transform_iteratorINS0_17counting_iteratorImlEEZNS1_24adjacent_difference_implIS3_Lb1ELb0EPlSB_ZN2at6native12_GLOBAL__N_124unique_dim_cuda_templateIsEESt5tupleIJNSC_6TensorESH_SH_EERKSH_lbbbEUlllE1_EE10hipError_tPvRmT2_T3_mT4_P12ihipStream_tbEUlmE_lEESB_NS0_8identityIvEEEESM_SP_SQ_mSR_ST_bEUlT_E_NS1_11comp_targetILNS1_3genE2ELNS1_11target_archE906ELNS1_3gpuE6ELNS1_3repE0EEENS1_30default_config_static_selectorELNS0_4arch9wavefront6targetE1EEEvT1_ ; -- Begin function _ZN7rocprim17ROCPRIM_400000_NS6detail17trampoline_kernelINS0_14default_configENS1_25transform_config_selectorIlLb0EEEZNS1_14transform_implILb0ES3_S5_NS0_18transform_iteratorINS0_17counting_iteratorImlEEZNS1_24adjacent_difference_implIS3_Lb1ELb0EPlSB_ZN2at6native12_GLOBAL__N_124unique_dim_cuda_templateIsEESt5tupleIJNSC_6TensorESH_SH_EERKSH_lbbbEUlllE1_EE10hipError_tPvRmT2_T3_mT4_P12ihipStream_tbEUlmE_lEESB_NS0_8identityIvEEEESM_SP_SQ_mSR_ST_bEUlT_E_NS1_11comp_targetILNS1_3genE2ELNS1_11target_archE906ELNS1_3gpuE6ELNS1_3repE0EEENS1_30default_config_static_selectorELNS0_4arch9wavefront6targetE1EEEvT1_
	.p2align	8
	.type	_ZN7rocprim17ROCPRIM_400000_NS6detail17trampoline_kernelINS0_14default_configENS1_25transform_config_selectorIlLb0EEEZNS1_14transform_implILb0ES3_S5_NS0_18transform_iteratorINS0_17counting_iteratorImlEEZNS1_24adjacent_difference_implIS3_Lb1ELb0EPlSB_ZN2at6native12_GLOBAL__N_124unique_dim_cuda_templateIsEESt5tupleIJNSC_6TensorESH_SH_EERKSH_lbbbEUlllE1_EE10hipError_tPvRmT2_T3_mT4_P12ihipStream_tbEUlmE_lEESB_NS0_8identityIvEEEESM_SP_SQ_mSR_ST_bEUlT_E_NS1_11comp_targetILNS1_3genE2ELNS1_11target_archE906ELNS1_3gpuE6ELNS1_3repE0EEENS1_30default_config_static_selectorELNS0_4arch9wavefront6targetE1EEEvT1_,@function
_ZN7rocprim17ROCPRIM_400000_NS6detail17trampoline_kernelINS0_14default_configENS1_25transform_config_selectorIlLb0EEEZNS1_14transform_implILb0ES3_S5_NS0_18transform_iteratorINS0_17counting_iteratorImlEEZNS1_24adjacent_difference_implIS3_Lb1ELb0EPlSB_ZN2at6native12_GLOBAL__N_124unique_dim_cuda_templateIsEESt5tupleIJNSC_6TensorESH_SH_EERKSH_lbbbEUlllE1_EE10hipError_tPvRmT2_T3_mT4_P12ihipStream_tbEUlmE_lEESB_NS0_8identityIvEEEESM_SP_SQ_mSR_ST_bEUlT_E_NS1_11comp_targetILNS1_3genE2ELNS1_11target_archE906ELNS1_3gpuE6ELNS1_3repE0EEENS1_30default_config_static_selectorELNS0_4arch9wavefront6targetE1EEEvT1_: ; @_ZN7rocprim17ROCPRIM_400000_NS6detail17trampoline_kernelINS0_14default_configENS1_25transform_config_selectorIlLb0EEEZNS1_14transform_implILb0ES3_S5_NS0_18transform_iteratorINS0_17counting_iteratorImlEEZNS1_24adjacent_difference_implIS3_Lb1ELb0EPlSB_ZN2at6native12_GLOBAL__N_124unique_dim_cuda_templateIsEESt5tupleIJNSC_6TensorESH_SH_EERKSH_lbbbEUlllE1_EE10hipError_tPvRmT2_T3_mT4_P12ihipStream_tbEUlmE_lEESB_NS0_8identityIvEEEESM_SP_SQ_mSR_ST_bEUlT_E_NS1_11comp_targetILNS1_3genE2ELNS1_11target_archE906ELNS1_3gpuE6ELNS1_3repE0EEENS1_30default_config_static_selectorELNS0_4arch9wavefront6targetE1EEEvT1_
; %bb.0:
	.section	.rodata,"a",@progbits
	.p2align	6, 0x0
	.amdhsa_kernel _ZN7rocprim17ROCPRIM_400000_NS6detail17trampoline_kernelINS0_14default_configENS1_25transform_config_selectorIlLb0EEEZNS1_14transform_implILb0ES3_S5_NS0_18transform_iteratorINS0_17counting_iteratorImlEEZNS1_24adjacent_difference_implIS3_Lb1ELb0EPlSB_ZN2at6native12_GLOBAL__N_124unique_dim_cuda_templateIsEESt5tupleIJNSC_6TensorESH_SH_EERKSH_lbbbEUlllE1_EE10hipError_tPvRmT2_T3_mT4_P12ihipStream_tbEUlmE_lEESB_NS0_8identityIvEEEESM_SP_SQ_mSR_ST_bEUlT_E_NS1_11comp_targetILNS1_3genE2ELNS1_11target_archE906ELNS1_3gpuE6ELNS1_3repE0EEENS1_30default_config_static_selectorELNS0_4arch9wavefront6targetE1EEEvT1_
		.amdhsa_group_segment_fixed_size 0
		.amdhsa_private_segment_fixed_size 0
		.amdhsa_kernarg_size 56
		.amdhsa_user_sgpr_count 2
		.amdhsa_user_sgpr_dispatch_ptr 0
		.amdhsa_user_sgpr_queue_ptr 0
		.amdhsa_user_sgpr_kernarg_segment_ptr 1
		.amdhsa_user_sgpr_dispatch_id 0
		.amdhsa_user_sgpr_kernarg_preload_length 0
		.amdhsa_user_sgpr_kernarg_preload_offset 0
		.amdhsa_user_sgpr_private_segment_size 0
		.amdhsa_uses_dynamic_stack 0
		.amdhsa_enable_private_segment 0
		.amdhsa_system_sgpr_workgroup_id_x 1
		.amdhsa_system_sgpr_workgroup_id_y 0
		.amdhsa_system_sgpr_workgroup_id_z 0
		.amdhsa_system_sgpr_workgroup_info 0
		.amdhsa_system_vgpr_workitem_id 0
		.amdhsa_next_free_vgpr 1
		.amdhsa_next_free_sgpr 0
		.amdhsa_accum_offset 4
		.amdhsa_reserve_vcc 0
		.amdhsa_float_round_mode_32 0
		.amdhsa_float_round_mode_16_64 0
		.amdhsa_float_denorm_mode_32 3
		.amdhsa_float_denorm_mode_16_64 3
		.amdhsa_dx10_clamp 1
		.amdhsa_ieee_mode 1
		.amdhsa_fp16_overflow 0
		.amdhsa_tg_split 0
		.amdhsa_exception_fp_ieee_invalid_op 0
		.amdhsa_exception_fp_denorm_src 0
		.amdhsa_exception_fp_ieee_div_zero 0
		.amdhsa_exception_fp_ieee_overflow 0
		.amdhsa_exception_fp_ieee_underflow 0
		.amdhsa_exception_fp_ieee_inexact 0
		.amdhsa_exception_int_div_zero 0
	.end_amdhsa_kernel
	.section	.text._ZN7rocprim17ROCPRIM_400000_NS6detail17trampoline_kernelINS0_14default_configENS1_25transform_config_selectorIlLb0EEEZNS1_14transform_implILb0ES3_S5_NS0_18transform_iteratorINS0_17counting_iteratorImlEEZNS1_24adjacent_difference_implIS3_Lb1ELb0EPlSB_ZN2at6native12_GLOBAL__N_124unique_dim_cuda_templateIsEESt5tupleIJNSC_6TensorESH_SH_EERKSH_lbbbEUlllE1_EE10hipError_tPvRmT2_T3_mT4_P12ihipStream_tbEUlmE_lEESB_NS0_8identityIvEEEESM_SP_SQ_mSR_ST_bEUlT_E_NS1_11comp_targetILNS1_3genE2ELNS1_11target_archE906ELNS1_3gpuE6ELNS1_3repE0EEENS1_30default_config_static_selectorELNS0_4arch9wavefront6targetE1EEEvT1_,"axG",@progbits,_ZN7rocprim17ROCPRIM_400000_NS6detail17trampoline_kernelINS0_14default_configENS1_25transform_config_selectorIlLb0EEEZNS1_14transform_implILb0ES3_S5_NS0_18transform_iteratorINS0_17counting_iteratorImlEEZNS1_24adjacent_difference_implIS3_Lb1ELb0EPlSB_ZN2at6native12_GLOBAL__N_124unique_dim_cuda_templateIsEESt5tupleIJNSC_6TensorESH_SH_EERKSH_lbbbEUlllE1_EE10hipError_tPvRmT2_T3_mT4_P12ihipStream_tbEUlmE_lEESB_NS0_8identityIvEEEESM_SP_SQ_mSR_ST_bEUlT_E_NS1_11comp_targetILNS1_3genE2ELNS1_11target_archE906ELNS1_3gpuE6ELNS1_3repE0EEENS1_30default_config_static_selectorELNS0_4arch9wavefront6targetE1EEEvT1_,comdat
.Lfunc_end677:
	.size	_ZN7rocprim17ROCPRIM_400000_NS6detail17trampoline_kernelINS0_14default_configENS1_25transform_config_selectorIlLb0EEEZNS1_14transform_implILb0ES3_S5_NS0_18transform_iteratorINS0_17counting_iteratorImlEEZNS1_24adjacent_difference_implIS3_Lb1ELb0EPlSB_ZN2at6native12_GLOBAL__N_124unique_dim_cuda_templateIsEESt5tupleIJNSC_6TensorESH_SH_EERKSH_lbbbEUlllE1_EE10hipError_tPvRmT2_T3_mT4_P12ihipStream_tbEUlmE_lEESB_NS0_8identityIvEEEESM_SP_SQ_mSR_ST_bEUlT_E_NS1_11comp_targetILNS1_3genE2ELNS1_11target_archE906ELNS1_3gpuE6ELNS1_3repE0EEENS1_30default_config_static_selectorELNS0_4arch9wavefront6targetE1EEEvT1_, .Lfunc_end677-_ZN7rocprim17ROCPRIM_400000_NS6detail17trampoline_kernelINS0_14default_configENS1_25transform_config_selectorIlLb0EEEZNS1_14transform_implILb0ES3_S5_NS0_18transform_iteratorINS0_17counting_iteratorImlEEZNS1_24adjacent_difference_implIS3_Lb1ELb0EPlSB_ZN2at6native12_GLOBAL__N_124unique_dim_cuda_templateIsEESt5tupleIJNSC_6TensorESH_SH_EERKSH_lbbbEUlllE1_EE10hipError_tPvRmT2_T3_mT4_P12ihipStream_tbEUlmE_lEESB_NS0_8identityIvEEEESM_SP_SQ_mSR_ST_bEUlT_E_NS1_11comp_targetILNS1_3genE2ELNS1_11target_archE906ELNS1_3gpuE6ELNS1_3repE0EEENS1_30default_config_static_selectorELNS0_4arch9wavefront6targetE1EEEvT1_
                                        ; -- End function
	.section	.AMDGPU.csdata,"",@progbits
; Kernel info:
; codeLenInByte = 0
; NumSgprs: 6
; NumVgprs: 0
; NumAgprs: 0
; TotalNumVgprs: 0
; ScratchSize: 0
; MemoryBound: 0
; FloatMode: 240
; IeeeMode: 1
; LDSByteSize: 0 bytes/workgroup (compile time only)
; SGPRBlocks: 0
; VGPRBlocks: 0
; NumSGPRsForWavesPerEU: 6
; NumVGPRsForWavesPerEU: 1
; AccumOffset: 4
; Occupancy: 8
; WaveLimiterHint : 0
; COMPUTE_PGM_RSRC2:SCRATCH_EN: 0
; COMPUTE_PGM_RSRC2:USER_SGPR: 2
; COMPUTE_PGM_RSRC2:TRAP_HANDLER: 0
; COMPUTE_PGM_RSRC2:TGID_X_EN: 1
; COMPUTE_PGM_RSRC2:TGID_Y_EN: 0
; COMPUTE_PGM_RSRC2:TGID_Z_EN: 0
; COMPUTE_PGM_RSRC2:TIDIG_COMP_CNT: 0
; COMPUTE_PGM_RSRC3_GFX90A:ACCUM_OFFSET: 0
; COMPUTE_PGM_RSRC3_GFX90A:TG_SPLIT: 0
	.section	.text._ZN7rocprim17ROCPRIM_400000_NS6detail17trampoline_kernelINS0_14default_configENS1_25transform_config_selectorIlLb0EEEZNS1_14transform_implILb0ES3_S5_NS0_18transform_iteratorINS0_17counting_iteratorImlEEZNS1_24adjacent_difference_implIS3_Lb1ELb0EPlSB_ZN2at6native12_GLOBAL__N_124unique_dim_cuda_templateIsEESt5tupleIJNSC_6TensorESH_SH_EERKSH_lbbbEUlllE1_EE10hipError_tPvRmT2_T3_mT4_P12ihipStream_tbEUlmE_lEESB_NS0_8identityIvEEEESM_SP_SQ_mSR_ST_bEUlT_E_NS1_11comp_targetILNS1_3genE10ELNS1_11target_archE1201ELNS1_3gpuE5ELNS1_3repE0EEENS1_30default_config_static_selectorELNS0_4arch9wavefront6targetE1EEEvT1_,"axG",@progbits,_ZN7rocprim17ROCPRIM_400000_NS6detail17trampoline_kernelINS0_14default_configENS1_25transform_config_selectorIlLb0EEEZNS1_14transform_implILb0ES3_S5_NS0_18transform_iteratorINS0_17counting_iteratorImlEEZNS1_24adjacent_difference_implIS3_Lb1ELb0EPlSB_ZN2at6native12_GLOBAL__N_124unique_dim_cuda_templateIsEESt5tupleIJNSC_6TensorESH_SH_EERKSH_lbbbEUlllE1_EE10hipError_tPvRmT2_T3_mT4_P12ihipStream_tbEUlmE_lEESB_NS0_8identityIvEEEESM_SP_SQ_mSR_ST_bEUlT_E_NS1_11comp_targetILNS1_3genE10ELNS1_11target_archE1201ELNS1_3gpuE5ELNS1_3repE0EEENS1_30default_config_static_selectorELNS0_4arch9wavefront6targetE1EEEvT1_,comdat
	.globl	_ZN7rocprim17ROCPRIM_400000_NS6detail17trampoline_kernelINS0_14default_configENS1_25transform_config_selectorIlLb0EEEZNS1_14transform_implILb0ES3_S5_NS0_18transform_iteratorINS0_17counting_iteratorImlEEZNS1_24adjacent_difference_implIS3_Lb1ELb0EPlSB_ZN2at6native12_GLOBAL__N_124unique_dim_cuda_templateIsEESt5tupleIJNSC_6TensorESH_SH_EERKSH_lbbbEUlllE1_EE10hipError_tPvRmT2_T3_mT4_P12ihipStream_tbEUlmE_lEESB_NS0_8identityIvEEEESM_SP_SQ_mSR_ST_bEUlT_E_NS1_11comp_targetILNS1_3genE10ELNS1_11target_archE1201ELNS1_3gpuE5ELNS1_3repE0EEENS1_30default_config_static_selectorELNS0_4arch9wavefront6targetE1EEEvT1_ ; -- Begin function _ZN7rocprim17ROCPRIM_400000_NS6detail17trampoline_kernelINS0_14default_configENS1_25transform_config_selectorIlLb0EEEZNS1_14transform_implILb0ES3_S5_NS0_18transform_iteratorINS0_17counting_iteratorImlEEZNS1_24adjacent_difference_implIS3_Lb1ELb0EPlSB_ZN2at6native12_GLOBAL__N_124unique_dim_cuda_templateIsEESt5tupleIJNSC_6TensorESH_SH_EERKSH_lbbbEUlllE1_EE10hipError_tPvRmT2_T3_mT4_P12ihipStream_tbEUlmE_lEESB_NS0_8identityIvEEEESM_SP_SQ_mSR_ST_bEUlT_E_NS1_11comp_targetILNS1_3genE10ELNS1_11target_archE1201ELNS1_3gpuE5ELNS1_3repE0EEENS1_30default_config_static_selectorELNS0_4arch9wavefront6targetE1EEEvT1_
	.p2align	8
	.type	_ZN7rocprim17ROCPRIM_400000_NS6detail17trampoline_kernelINS0_14default_configENS1_25transform_config_selectorIlLb0EEEZNS1_14transform_implILb0ES3_S5_NS0_18transform_iteratorINS0_17counting_iteratorImlEEZNS1_24adjacent_difference_implIS3_Lb1ELb0EPlSB_ZN2at6native12_GLOBAL__N_124unique_dim_cuda_templateIsEESt5tupleIJNSC_6TensorESH_SH_EERKSH_lbbbEUlllE1_EE10hipError_tPvRmT2_T3_mT4_P12ihipStream_tbEUlmE_lEESB_NS0_8identityIvEEEESM_SP_SQ_mSR_ST_bEUlT_E_NS1_11comp_targetILNS1_3genE10ELNS1_11target_archE1201ELNS1_3gpuE5ELNS1_3repE0EEENS1_30default_config_static_selectorELNS0_4arch9wavefront6targetE1EEEvT1_,@function
_ZN7rocprim17ROCPRIM_400000_NS6detail17trampoline_kernelINS0_14default_configENS1_25transform_config_selectorIlLb0EEEZNS1_14transform_implILb0ES3_S5_NS0_18transform_iteratorINS0_17counting_iteratorImlEEZNS1_24adjacent_difference_implIS3_Lb1ELb0EPlSB_ZN2at6native12_GLOBAL__N_124unique_dim_cuda_templateIsEESt5tupleIJNSC_6TensorESH_SH_EERKSH_lbbbEUlllE1_EE10hipError_tPvRmT2_T3_mT4_P12ihipStream_tbEUlmE_lEESB_NS0_8identityIvEEEESM_SP_SQ_mSR_ST_bEUlT_E_NS1_11comp_targetILNS1_3genE10ELNS1_11target_archE1201ELNS1_3gpuE5ELNS1_3repE0EEENS1_30default_config_static_selectorELNS0_4arch9wavefront6targetE1EEEvT1_: ; @_ZN7rocprim17ROCPRIM_400000_NS6detail17trampoline_kernelINS0_14default_configENS1_25transform_config_selectorIlLb0EEEZNS1_14transform_implILb0ES3_S5_NS0_18transform_iteratorINS0_17counting_iteratorImlEEZNS1_24adjacent_difference_implIS3_Lb1ELb0EPlSB_ZN2at6native12_GLOBAL__N_124unique_dim_cuda_templateIsEESt5tupleIJNSC_6TensorESH_SH_EERKSH_lbbbEUlllE1_EE10hipError_tPvRmT2_T3_mT4_P12ihipStream_tbEUlmE_lEESB_NS0_8identityIvEEEESM_SP_SQ_mSR_ST_bEUlT_E_NS1_11comp_targetILNS1_3genE10ELNS1_11target_archE1201ELNS1_3gpuE5ELNS1_3repE0EEENS1_30default_config_static_selectorELNS0_4arch9wavefront6targetE1EEEvT1_
; %bb.0:
	.section	.rodata,"a",@progbits
	.p2align	6, 0x0
	.amdhsa_kernel _ZN7rocprim17ROCPRIM_400000_NS6detail17trampoline_kernelINS0_14default_configENS1_25transform_config_selectorIlLb0EEEZNS1_14transform_implILb0ES3_S5_NS0_18transform_iteratorINS0_17counting_iteratorImlEEZNS1_24adjacent_difference_implIS3_Lb1ELb0EPlSB_ZN2at6native12_GLOBAL__N_124unique_dim_cuda_templateIsEESt5tupleIJNSC_6TensorESH_SH_EERKSH_lbbbEUlllE1_EE10hipError_tPvRmT2_T3_mT4_P12ihipStream_tbEUlmE_lEESB_NS0_8identityIvEEEESM_SP_SQ_mSR_ST_bEUlT_E_NS1_11comp_targetILNS1_3genE10ELNS1_11target_archE1201ELNS1_3gpuE5ELNS1_3repE0EEENS1_30default_config_static_selectorELNS0_4arch9wavefront6targetE1EEEvT1_
		.amdhsa_group_segment_fixed_size 0
		.amdhsa_private_segment_fixed_size 0
		.amdhsa_kernarg_size 56
		.amdhsa_user_sgpr_count 2
		.amdhsa_user_sgpr_dispatch_ptr 0
		.amdhsa_user_sgpr_queue_ptr 0
		.amdhsa_user_sgpr_kernarg_segment_ptr 1
		.amdhsa_user_sgpr_dispatch_id 0
		.amdhsa_user_sgpr_kernarg_preload_length 0
		.amdhsa_user_sgpr_kernarg_preload_offset 0
		.amdhsa_user_sgpr_private_segment_size 0
		.amdhsa_uses_dynamic_stack 0
		.amdhsa_enable_private_segment 0
		.amdhsa_system_sgpr_workgroup_id_x 1
		.amdhsa_system_sgpr_workgroup_id_y 0
		.amdhsa_system_sgpr_workgroup_id_z 0
		.amdhsa_system_sgpr_workgroup_info 0
		.amdhsa_system_vgpr_workitem_id 0
		.amdhsa_next_free_vgpr 1
		.amdhsa_next_free_sgpr 0
		.amdhsa_accum_offset 4
		.amdhsa_reserve_vcc 0
		.amdhsa_float_round_mode_32 0
		.amdhsa_float_round_mode_16_64 0
		.amdhsa_float_denorm_mode_32 3
		.amdhsa_float_denorm_mode_16_64 3
		.amdhsa_dx10_clamp 1
		.amdhsa_ieee_mode 1
		.amdhsa_fp16_overflow 0
		.amdhsa_tg_split 0
		.amdhsa_exception_fp_ieee_invalid_op 0
		.amdhsa_exception_fp_denorm_src 0
		.amdhsa_exception_fp_ieee_div_zero 0
		.amdhsa_exception_fp_ieee_overflow 0
		.amdhsa_exception_fp_ieee_underflow 0
		.amdhsa_exception_fp_ieee_inexact 0
		.amdhsa_exception_int_div_zero 0
	.end_amdhsa_kernel
	.section	.text._ZN7rocprim17ROCPRIM_400000_NS6detail17trampoline_kernelINS0_14default_configENS1_25transform_config_selectorIlLb0EEEZNS1_14transform_implILb0ES3_S5_NS0_18transform_iteratorINS0_17counting_iteratorImlEEZNS1_24adjacent_difference_implIS3_Lb1ELb0EPlSB_ZN2at6native12_GLOBAL__N_124unique_dim_cuda_templateIsEESt5tupleIJNSC_6TensorESH_SH_EERKSH_lbbbEUlllE1_EE10hipError_tPvRmT2_T3_mT4_P12ihipStream_tbEUlmE_lEESB_NS0_8identityIvEEEESM_SP_SQ_mSR_ST_bEUlT_E_NS1_11comp_targetILNS1_3genE10ELNS1_11target_archE1201ELNS1_3gpuE5ELNS1_3repE0EEENS1_30default_config_static_selectorELNS0_4arch9wavefront6targetE1EEEvT1_,"axG",@progbits,_ZN7rocprim17ROCPRIM_400000_NS6detail17trampoline_kernelINS0_14default_configENS1_25transform_config_selectorIlLb0EEEZNS1_14transform_implILb0ES3_S5_NS0_18transform_iteratorINS0_17counting_iteratorImlEEZNS1_24adjacent_difference_implIS3_Lb1ELb0EPlSB_ZN2at6native12_GLOBAL__N_124unique_dim_cuda_templateIsEESt5tupleIJNSC_6TensorESH_SH_EERKSH_lbbbEUlllE1_EE10hipError_tPvRmT2_T3_mT4_P12ihipStream_tbEUlmE_lEESB_NS0_8identityIvEEEESM_SP_SQ_mSR_ST_bEUlT_E_NS1_11comp_targetILNS1_3genE10ELNS1_11target_archE1201ELNS1_3gpuE5ELNS1_3repE0EEENS1_30default_config_static_selectorELNS0_4arch9wavefront6targetE1EEEvT1_,comdat
.Lfunc_end678:
	.size	_ZN7rocprim17ROCPRIM_400000_NS6detail17trampoline_kernelINS0_14default_configENS1_25transform_config_selectorIlLb0EEEZNS1_14transform_implILb0ES3_S5_NS0_18transform_iteratorINS0_17counting_iteratorImlEEZNS1_24adjacent_difference_implIS3_Lb1ELb0EPlSB_ZN2at6native12_GLOBAL__N_124unique_dim_cuda_templateIsEESt5tupleIJNSC_6TensorESH_SH_EERKSH_lbbbEUlllE1_EE10hipError_tPvRmT2_T3_mT4_P12ihipStream_tbEUlmE_lEESB_NS0_8identityIvEEEESM_SP_SQ_mSR_ST_bEUlT_E_NS1_11comp_targetILNS1_3genE10ELNS1_11target_archE1201ELNS1_3gpuE5ELNS1_3repE0EEENS1_30default_config_static_selectorELNS0_4arch9wavefront6targetE1EEEvT1_, .Lfunc_end678-_ZN7rocprim17ROCPRIM_400000_NS6detail17trampoline_kernelINS0_14default_configENS1_25transform_config_selectorIlLb0EEEZNS1_14transform_implILb0ES3_S5_NS0_18transform_iteratorINS0_17counting_iteratorImlEEZNS1_24adjacent_difference_implIS3_Lb1ELb0EPlSB_ZN2at6native12_GLOBAL__N_124unique_dim_cuda_templateIsEESt5tupleIJNSC_6TensorESH_SH_EERKSH_lbbbEUlllE1_EE10hipError_tPvRmT2_T3_mT4_P12ihipStream_tbEUlmE_lEESB_NS0_8identityIvEEEESM_SP_SQ_mSR_ST_bEUlT_E_NS1_11comp_targetILNS1_3genE10ELNS1_11target_archE1201ELNS1_3gpuE5ELNS1_3repE0EEENS1_30default_config_static_selectorELNS0_4arch9wavefront6targetE1EEEvT1_
                                        ; -- End function
	.section	.AMDGPU.csdata,"",@progbits
; Kernel info:
; codeLenInByte = 0
; NumSgprs: 6
; NumVgprs: 0
; NumAgprs: 0
; TotalNumVgprs: 0
; ScratchSize: 0
; MemoryBound: 0
; FloatMode: 240
; IeeeMode: 1
; LDSByteSize: 0 bytes/workgroup (compile time only)
; SGPRBlocks: 0
; VGPRBlocks: 0
; NumSGPRsForWavesPerEU: 6
; NumVGPRsForWavesPerEU: 1
; AccumOffset: 4
; Occupancy: 8
; WaveLimiterHint : 0
; COMPUTE_PGM_RSRC2:SCRATCH_EN: 0
; COMPUTE_PGM_RSRC2:USER_SGPR: 2
; COMPUTE_PGM_RSRC2:TRAP_HANDLER: 0
; COMPUTE_PGM_RSRC2:TGID_X_EN: 1
; COMPUTE_PGM_RSRC2:TGID_Y_EN: 0
; COMPUTE_PGM_RSRC2:TGID_Z_EN: 0
; COMPUTE_PGM_RSRC2:TIDIG_COMP_CNT: 0
; COMPUTE_PGM_RSRC3_GFX90A:ACCUM_OFFSET: 0
; COMPUTE_PGM_RSRC3_GFX90A:TG_SPLIT: 0
	.section	.text._ZN7rocprim17ROCPRIM_400000_NS6detail17trampoline_kernelINS0_14default_configENS1_25transform_config_selectorIlLb0EEEZNS1_14transform_implILb0ES3_S5_NS0_18transform_iteratorINS0_17counting_iteratorImlEEZNS1_24adjacent_difference_implIS3_Lb1ELb0EPlSB_ZN2at6native12_GLOBAL__N_124unique_dim_cuda_templateIsEESt5tupleIJNSC_6TensorESH_SH_EERKSH_lbbbEUlllE1_EE10hipError_tPvRmT2_T3_mT4_P12ihipStream_tbEUlmE_lEESB_NS0_8identityIvEEEESM_SP_SQ_mSR_ST_bEUlT_E_NS1_11comp_targetILNS1_3genE10ELNS1_11target_archE1200ELNS1_3gpuE4ELNS1_3repE0EEENS1_30default_config_static_selectorELNS0_4arch9wavefront6targetE1EEEvT1_,"axG",@progbits,_ZN7rocprim17ROCPRIM_400000_NS6detail17trampoline_kernelINS0_14default_configENS1_25transform_config_selectorIlLb0EEEZNS1_14transform_implILb0ES3_S5_NS0_18transform_iteratorINS0_17counting_iteratorImlEEZNS1_24adjacent_difference_implIS3_Lb1ELb0EPlSB_ZN2at6native12_GLOBAL__N_124unique_dim_cuda_templateIsEESt5tupleIJNSC_6TensorESH_SH_EERKSH_lbbbEUlllE1_EE10hipError_tPvRmT2_T3_mT4_P12ihipStream_tbEUlmE_lEESB_NS0_8identityIvEEEESM_SP_SQ_mSR_ST_bEUlT_E_NS1_11comp_targetILNS1_3genE10ELNS1_11target_archE1200ELNS1_3gpuE4ELNS1_3repE0EEENS1_30default_config_static_selectorELNS0_4arch9wavefront6targetE1EEEvT1_,comdat
	.globl	_ZN7rocprim17ROCPRIM_400000_NS6detail17trampoline_kernelINS0_14default_configENS1_25transform_config_selectorIlLb0EEEZNS1_14transform_implILb0ES3_S5_NS0_18transform_iteratorINS0_17counting_iteratorImlEEZNS1_24adjacent_difference_implIS3_Lb1ELb0EPlSB_ZN2at6native12_GLOBAL__N_124unique_dim_cuda_templateIsEESt5tupleIJNSC_6TensorESH_SH_EERKSH_lbbbEUlllE1_EE10hipError_tPvRmT2_T3_mT4_P12ihipStream_tbEUlmE_lEESB_NS0_8identityIvEEEESM_SP_SQ_mSR_ST_bEUlT_E_NS1_11comp_targetILNS1_3genE10ELNS1_11target_archE1200ELNS1_3gpuE4ELNS1_3repE0EEENS1_30default_config_static_selectorELNS0_4arch9wavefront6targetE1EEEvT1_ ; -- Begin function _ZN7rocprim17ROCPRIM_400000_NS6detail17trampoline_kernelINS0_14default_configENS1_25transform_config_selectorIlLb0EEEZNS1_14transform_implILb0ES3_S5_NS0_18transform_iteratorINS0_17counting_iteratorImlEEZNS1_24adjacent_difference_implIS3_Lb1ELb0EPlSB_ZN2at6native12_GLOBAL__N_124unique_dim_cuda_templateIsEESt5tupleIJNSC_6TensorESH_SH_EERKSH_lbbbEUlllE1_EE10hipError_tPvRmT2_T3_mT4_P12ihipStream_tbEUlmE_lEESB_NS0_8identityIvEEEESM_SP_SQ_mSR_ST_bEUlT_E_NS1_11comp_targetILNS1_3genE10ELNS1_11target_archE1200ELNS1_3gpuE4ELNS1_3repE0EEENS1_30default_config_static_selectorELNS0_4arch9wavefront6targetE1EEEvT1_
	.p2align	8
	.type	_ZN7rocprim17ROCPRIM_400000_NS6detail17trampoline_kernelINS0_14default_configENS1_25transform_config_selectorIlLb0EEEZNS1_14transform_implILb0ES3_S5_NS0_18transform_iteratorINS0_17counting_iteratorImlEEZNS1_24adjacent_difference_implIS3_Lb1ELb0EPlSB_ZN2at6native12_GLOBAL__N_124unique_dim_cuda_templateIsEESt5tupleIJNSC_6TensorESH_SH_EERKSH_lbbbEUlllE1_EE10hipError_tPvRmT2_T3_mT4_P12ihipStream_tbEUlmE_lEESB_NS0_8identityIvEEEESM_SP_SQ_mSR_ST_bEUlT_E_NS1_11comp_targetILNS1_3genE10ELNS1_11target_archE1200ELNS1_3gpuE4ELNS1_3repE0EEENS1_30default_config_static_selectorELNS0_4arch9wavefront6targetE1EEEvT1_,@function
_ZN7rocprim17ROCPRIM_400000_NS6detail17trampoline_kernelINS0_14default_configENS1_25transform_config_selectorIlLb0EEEZNS1_14transform_implILb0ES3_S5_NS0_18transform_iteratorINS0_17counting_iteratorImlEEZNS1_24adjacent_difference_implIS3_Lb1ELb0EPlSB_ZN2at6native12_GLOBAL__N_124unique_dim_cuda_templateIsEESt5tupleIJNSC_6TensorESH_SH_EERKSH_lbbbEUlllE1_EE10hipError_tPvRmT2_T3_mT4_P12ihipStream_tbEUlmE_lEESB_NS0_8identityIvEEEESM_SP_SQ_mSR_ST_bEUlT_E_NS1_11comp_targetILNS1_3genE10ELNS1_11target_archE1200ELNS1_3gpuE4ELNS1_3repE0EEENS1_30default_config_static_selectorELNS0_4arch9wavefront6targetE1EEEvT1_: ; @_ZN7rocprim17ROCPRIM_400000_NS6detail17trampoline_kernelINS0_14default_configENS1_25transform_config_selectorIlLb0EEEZNS1_14transform_implILb0ES3_S5_NS0_18transform_iteratorINS0_17counting_iteratorImlEEZNS1_24adjacent_difference_implIS3_Lb1ELb0EPlSB_ZN2at6native12_GLOBAL__N_124unique_dim_cuda_templateIsEESt5tupleIJNSC_6TensorESH_SH_EERKSH_lbbbEUlllE1_EE10hipError_tPvRmT2_T3_mT4_P12ihipStream_tbEUlmE_lEESB_NS0_8identityIvEEEESM_SP_SQ_mSR_ST_bEUlT_E_NS1_11comp_targetILNS1_3genE10ELNS1_11target_archE1200ELNS1_3gpuE4ELNS1_3repE0EEENS1_30default_config_static_selectorELNS0_4arch9wavefront6targetE1EEEvT1_
; %bb.0:
	.section	.rodata,"a",@progbits
	.p2align	6, 0x0
	.amdhsa_kernel _ZN7rocprim17ROCPRIM_400000_NS6detail17trampoline_kernelINS0_14default_configENS1_25transform_config_selectorIlLb0EEEZNS1_14transform_implILb0ES3_S5_NS0_18transform_iteratorINS0_17counting_iteratorImlEEZNS1_24adjacent_difference_implIS3_Lb1ELb0EPlSB_ZN2at6native12_GLOBAL__N_124unique_dim_cuda_templateIsEESt5tupleIJNSC_6TensorESH_SH_EERKSH_lbbbEUlllE1_EE10hipError_tPvRmT2_T3_mT4_P12ihipStream_tbEUlmE_lEESB_NS0_8identityIvEEEESM_SP_SQ_mSR_ST_bEUlT_E_NS1_11comp_targetILNS1_3genE10ELNS1_11target_archE1200ELNS1_3gpuE4ELNS1_3repE0EEENS1_30default_config_static_selectorELNS0_4arch9wavefront6targetE1EEEvT1_
		.amdhsa_group_segment_fixed_size 0
		.amdhsa_private_segment_fixed_size 0
		.amdhsa_kernarg_size 56
		.amdhsa_user_sgpr_count 2
		.amdhsa_user_sgpr_dispatch_ptr 0
		.amdhsa_user_sgpr_queue_ptr 0
		.amdhsa_user_sgpr_kernarg_segment_ptr 1
		.amdhsa_user_sgpr_dispatch_id 0
		.amdhsa_user_sgpr_kernarg_preload_length 0
		.amdhsa_user_sgpr_kernarg_preload_offset 0
		.amdhsa_user_sgpr_private_segment_size 0
		.amdhsa_uses_dynamic_stack 0
		.amdhsa_enable_private_segment 0
		.amdhsa_system_sgpr_workgroup_id_x 1
		.amdhsa_system_sgpr_workgroup_id_y 0
		.amdhsa_system_sgpr_workgroup_id_z 0
		.amdhsa_system_sgpr_workgroup_info 0
		.amdhsa_system_vgpr_workitem_id 0
		.amdhsa_next_free_vgpr 1
		.amdhsa_next_free_sgpr 0
		.amdhsa_accum_offset 4
		.amdhsa_reserve_vcc 0
		.amdhsa_float_round_mode_32 0
		.amdhsa_float_round_mode_16_64 0
		.amdhsa_float_denorm_mode_32 3
		.amdhsa_float_denorm_mode_16_64 3
		.amdhsa_dx10_clamp 1
		.amdhsa_ieee_mode 1
		.amdhsa_fp16_overflow 0
		.amdhsa_tg_split 0
		.amdhsa_exception_fp_ieee_invalid_op 0
		.amdhsa_exception_fp_denorm_src 0
		.amdhsa_exception_fp_ieee_div_zero 0
		.amdhsa_exception_fp_ieee_overflow 0
		.amdhsa_exception_fp_ieee_underflow 0
		.amdhsa_exception_fp_ieee_inexact 0
		.amdhsa_exception_int_div_zero 0
	.end_amdhsa_kernel
	.section	.text._ZN7rocprim17ROCPRIM_400000_NS6detail17trampoline_kernelINS0_14default_configENS1_25transform_config_selectorIlLb0EEEZNS1_14transform_implILb0ES3_S5_NS0_18transform_iteratorINS0_17counting_iteratorImlEEZNS1_24adjacent_difference_implIS3_Lb1ELb0EPlSB_ZN2at6native12_GLOBAL__N_124unique_dim_cuda_templateIsEESt5tupleIJNSC_6TensorESH_SH_EERKSH_lbbbEUlllE1_EE10hipError_tPvRmT2_T3_mT4_P12ihipStream_tbEUlmE_lEESB_NS0_8identityIvEEEESM_SP_SQ_mSR_ST_bEUlT_E_NS1_11comp_targetILNS1_3genE10ELNS1_11target_archE1200ELNS1_3gpuE4ELNS1_3repE0EEENS1_30default_config_static_selectorELNS0_4arch9wavefront6targetE1EEEvT1_,"axG",@progbits,_ZN7rocprim17ROCPRIM_400000_NS6detail17trampoline_kernelINS0_14default_configENS1_25transform_config_selectorIlLb0EEEZNS1_14transform_implILb0ES3_S5_NS0_18transform_iteratorINS0_17counting_iteratorImlEEZNS1_24adjacent_difference_implIS3_Lb1ELb0EPlSB_ZN2at6native12_GLOBAL__N_124unique_dim_cuda_templateIsEESt5tupleIJNSC_6TensorESH_SH_EERKSH_lbbbEUlllE1_EE10hipError_tPvRmT2_T3_mT4_P12ihipStream_tbEUlmE_lEESB_NS0_8identityIvEEEESM_SP_SQ_mSR_ST_bEUlT_E_NS1_11comp_targetILNS1_3genE10ELNS1_11target_archE1200ELNS1_3gpuE4ELNS1_3repE0EEENS1_30default_config_static_selectorELNS0_4arch9wavefront6targetE1EEEvT1_,comdat
.Lfunc_end679:
	.size	_ZN7rocprim17ROCPRIM_400000_NS6detail17trampoline_kernelINS0_14default_configENS1_25transform_config_selectorIlLb0EEEZNS1_14transform_implILb0ES3_S5_NS0_18transform_iteratorINS0_17counting_iteratorImlEEZNS1_24adjacent_difference_implIS3_Lb1ELb0EPlSB_ZN2at6native12_GLOBAL__N_124unique_dim_cuda_templateIsEESt5tupleIJNSC_6TensorESH_SH_EERKSH_lbbbEUlllE1_EE10hipError_tPvRmT2_T3_mT4_P12ihipStream_tbEUlmE_lEESB_NS0_8identityIvEEEESM_SP_SQ_mSR_ST_bEUlT_E_NS1_11comp_targetILNS1_3genE10ELNS1_11target_archE1200ELNS1_3gpuE4ELNS1_3repE0EEENS1_30default_config_static_selectorELNS0_4arch9wavefront6targetE1EEEvT1_, .Lfunc_end679-_ZN7rocprim17ROCPRIM_400000_NS6detail17trampoline_kernelINS0_14default_configENS1_25transform_config_selectorIlLb0EEEZNS1_14transform_implILb0ES3_S5_NS0_18transform_iteratorINS0_17counting_iteratorImlEEZNS1_24adjacent_difference_implIS3_Lb1ELb0EPlSB_ZN2at6native12_GLOBAL__N_124unique_dim_cuda_templateIsEESt5tupleIJNSC_6TensorESH_SH_EERKSH_lbbbEUlllE1_EE10hipError_tPvRmT2_T3_mT4_P12ihipStream_tbEUlmE_lEESB_NS0_8identityIvEEEESM_SP_SQ_mSR_ST_bEUlT_E_NS1_11comp_targetILNS1_3genE10ELNS1_11target_archE1200ELNS1_3gpuE4ELNS1_3repE0EEENS1_30default_config_static_selectorELNS0_4arch9wavefront6targetE1EEEvT1_
                                        ; -- End function
	.section	.AMDGPU.csdata,"",@progbits
; Kernel info:
; codeLenInByte = 0
; NumSgprs: 6
; NumVgprs: 0
; NumAgprs: 0
; TotalNumVgprs: 0
; ScratchSize: 0
; MemoryBound: 0
; FloatMode: 240
; IeeeMode: 1
; LDSByteSize: 0 bytes/workgroup (compile time only)
; SGPRBlocks: 0
; VGPRBlocks: 0
; NumSGPRsForWavesPerEU: 6
; NumVGPRsForWavesPerEU: 1
; AccumOffset: 4
; Occupancy: 8
; WaveLimiterHint : 0
; COMPUTE_PGM_RSRC2:SCRATCH_EN: 0
; COMPUTE_PGM_RSRC2:USER_SGPR: 2
; COMPUTE_PGM_RSRC2:TRAP_HANDLER: 0
; COMPUTE_PGM_RSRC2:TGID_X_EN: 1
; COMPUTE_PGM_RSRC2:TGID_Y_EN: 0
; COMPUTE_PGM_RSRC2:TGID_Z_EN: 0
; COMPUTE_PGM_RSRC2:TIDIG_COMP_CNT: 0
; COMPUTE_PGM_RSRC3_GFX90A:ACCUM_OFFSET: 0
; COMPUTE_PGM_RSRC3_GFX90A:TG_SPLIT: 0
	.section	.text._ZN7rocprim17ROCPRIM_400000_NS6detail17trampoline_kernelINS0_14default_configENS1_25transform_config_selectorIlLb0EEEZNS1_14transform_implILb0ES3_S5_NS0_18transform_iteratorINS0_17counting_iteratorImlEEZNS1_24adjacent_difference_implIS3_Lb1ELb0EPlSB_ZN2at6native12_GLOBAL__N_124unique_dim_cuda_templateIsEESt5tupleIJNSC_6TensorESH_SH_EERKSH_lbbbEUlllE1_EE10hipError_tPvRmT2_T3_mT4_P12ihipStream_tbEUlmE_lEESB_NS0_8identityIvEEEESM_SP_SQ_mSR_ST_bEUlT_E_NS1_11comp_targetILNS1_3genE9ELNS1_11target_archE1100ELNS1_3gpuE3ELNS1_3repE0EEENS1_30default_config_static_selectorELNS0_4arch9wavefront6targetE1EEEvT1_,"axG",@progbits,_ZN7rocprim17ROCPRIM_400000_NS6detail17trampoline_kernelINS0_14default_configENS1_25transform_config_selectorIlLb0EEEZNS1_14transform_implILb0ES3_S5_NS0_18transform_iteratorINS0_17counting_iteratorImlEEZNS1_24adjacent_difference_implIS3_Lb1ELb0EPlSB_ZN2at6native12_GLOBAL__N_124unique_dim_cuda_templateIsEESt5tupleIJNSC_6TensorESH_SH_EERKSH_lbbbEUlllE1_EE10hipError_tPvRmT2_T3_mT4_P12ihipStream_tbEUlmE_lEESB_NS0_8identityIvEEEESM_SP_SQ_mSR_ST_bEUlT_E_NS1_11comp_targetILNS1_3genE9ELNS1_11target_archE1100ELNS1_3gpuE3ELNS1_3repE0EEENS1_30default_config_static_selectorELNS0_4arch9wavefront6targetE1EEEvT1_,comdat
	.globl	_ZN7rocprim17ROCPRIM_400000_NS6detail17trampoline_kernelINS0_14default_configENS1_25transform_config_selectorIlLb0EEEZNS1_14transform_implILb0ES3_S5_NS0_18transform_iteratorINS0_17counting_iteratorImlEEZNS1_24adjacent_difference_implIS3_Lb1ELb0EPlSB_ZN2at6native12_GLOBAL__N_124unique_dim_cuda_templateIsEESt5tupleIJNSC_6TensorESH_SH_EERKSH_lbbbEUlllE1_EE10hipError_tPvRmT2_T3_mT4_P12ihipStream_tbEUlmE_lEESB_NS0_8identityIvEEEESM_SP_SQ_mSR_ST_bEUlT_E_NS1_11comp_targetILNS1_3genE9ELNS1_11target_archE1100ELNS1_3gpuE3ELNS1_3repE0EEENS1_30default_config_static_selectorELNS0_4arch9wavefront6targetE1EEEvT1_ ; -- Begin function _ZN7rocprim17ROCPRIM_400000_NS6detail17trampoline_kernelINS0_14default_configENS1_25transform_config_selectorIlLb0EEEZNS1_14transform_implILb0ES3_S5_NS0_18transform_iteratorINS0_17counting_iteratorImlEEZNS1_24adjacent_difference_implIS3_Lb1ELb0EPlSB_ZN2at6native12_GLOBAL__N_124unique_dim_cuda_templateIsEESt5tupleIJNSC_6TensorESH_SH_EERKSH_lbbbEUlllE1_EE10hipError_tPvRmT2_T3_mT4_P12ihipStream_tbEUlmE_lEESB_NS0_8identityIvEEEESM_SP_SQ_mSR_ST_bEUlT_E_NS1_11comp_targetILNS1_3genE9ELNS1_11target_archE1100ELNS1_3gpuE3ELNS1_3repE0EEENS1_30default_config_static_selectorELNS0_4arch9wavefront6targetE1EEEvT1_
	.p2align	8
	.type	_ZN7rocprim17ROCPRIM_400000_NS6detail17trampoline_kernelINS0_14default_configENS1_25transform_config_selectorIlLb0EEEZNS1_14transform_implILb0ES3_S5_NS0_18transform_iteratorINS0_17counting_iteratorImlEEZNS1_24adjacent_difference_implIS3_Lb1ELb0EPlSB_ZN2at6native12_GLOBAL__N_124unique_dim_cuda_templateIsEESt5tupleIJNSC_6TensorESH_SH_EERKSH_lbbbEUlllE1_EE10hipError_tPvRmT2_T3_mT4_P12ihipStream_tbEUlmE_lEESB_NS0_8identityIvEEEESM_SP_SQ_mSR_ST_bEUlT_E_NS1_11comp_targetILNS1_3genE9ELNS1_11target_archE1100ELNS1_3gpuE3ELNS1_3repE0EEENS1_30default_config_static_selectorELNS0_4arch9wavefront6targetE1EEEvT1_,@function
_ZN7rocprim17ROCPRIM_400000_NS6detail17trampoline_kernelINS0_14default_configENS1_25transform_config_selectorIlLb0EEEZNS1_14transform_implILb0ES3_S5_NS0_18transform_iteratorINS0_17counting_iteratorImlEEZNS1_24adjacent_difference_implIS3_Lb1ELb0EPlSB_ZN2at6native12_GLOBAL__N_124unique_dim_cuda_templateIsEESt5tupleIJNSC_6TensorESH_SH_EERKSH_lbbbEUlllE1_EE10hipError_tPvRmT2_T3_mT4_P12ihipStream_tbEUlmE_lEESB_NS0_8identityIvEEEESM_SP_SQ_mSR_ST_bEUlT_E_NS1_11comp_targetILNS1_3genE9ELNS1_11target_archE1100ELNS1_3gpuE3ELNS1_3repE0EEENS1_30default_config_static_selectorELNS0_4arch9wavefront6targetE1EEEvT1_: ; @_ZN7rocprim17ROCPRIM_400000_NS6detail17trampoline_kernelINS0_14default_configENS1_25transform_config_selectorIlLb0EEEZNS1_14transform_implILb0ES3_S5_NS0_18transform_iteratorINS0_17counting_iteratorImlEEZNS1_24adjacent_difference_implIS3_Lb1ELb0EPlSB_ZN2at6native12_GLOBAL__N_124unique_dim_cuda_templateIsEESt5tupleIJNSC_6TensorESH_SH_EERKSH_lbbbEUlllE1_EE10hipError_tPvRmT2_T3_mT4_P12ihipStream_tbEUlmE_lEESB_NS0_8identityIvEEEESM_SP_SQ_mSR_ST_bEUlT_E_NS1_11comp_targetILNS1_3genE9ELNS1_11target_archE1100ELNS1_3gpuE3ELNS1_3repE0EEENS1_30default_config_static_selectorELNS0_4arch9wavefront6targetE1EEEvT1_
; %bb.0:
	.section	.rodata,"a",@progbits
	.p2align	6, 0x0
	.amdhsa_kernel _ZN7rocprim17ROCPRIM_400000_NS6detail17trampoline_kernelINS0_14default_configENS1_25transform_config_selectorIlLb0EEEZNS1_14transform_implILb0ES3_S5_NS0_18transform_iteratorINS0_17counting_iteratorImlEEZNS1_24adjacent_difference_implIS3_Lb1ELb0EPlSB_ZN2at6native12_GLOBAL__N_124unique_dim_cuda_templateIsEESt5tupleIJNSC_6TensorESH_SH_EERKSH_lbbbEUlllE1_EE10hipError_tPvRmT2_T3_mT4_P12ihipStream_tbEUlmE_lEESB_NS0_8identityIvEEEESM_SP_SQ_mSR_ST_bEUlT_E_NS1_11comp_targetILNS1_3genE9ELNS1_11target_archE1100ELNS1_3gpuE3ELNS1_3repE0EEENS1_30default_config_static_selectorELNS0_4arch9wavefront6targetE1EEEvT1_
		.amdhsa_group_segment_fixed_size 0
		.amdhsa_private_segment_fixed_size 0
		.amdhsa_kernarg_size 56
		.amdhsa_user_sgpr_count 2
		.amdhsa_user_sgpr_dispatch_ptr 0
		.amdhsa_user_sgpr_queue_ptr 0
		.amdhsa_user_sgpr_kernarg_segment_ptr 1
		.amdhsa_user_sgpr_dispatch_id 0
		.amdhsa_user_sgpr_kernarg_preload_length 0
		.amdhsa_user_sgpr_kernarg_preload_offset 0
		.amdhsa_user_sgpr_private_segment_size 0
		.amdhsa_uses_dynamic_stack 0
		.amdhsa_enable_private_segment 0
		.amdhsa_system_sgpr_workgroup_id_x 1
		.amdhsa_system_sgpr_workgroup_id_y 0
		.amdhsa_system_sgpr_workgroup_id_z 0
		.amdhsa_system_sgpr_workgroup_info 0
		.amdhsa_system_vgpr_workitem_id 0
		.amdhsa_next_free_vgpr 1
		.amdhsa_next_free_sgpr 0
		.amdhsa_accum_offset 4
		.amdhsa_reserve_vcc 0
		.amdhsa_float_round_mode_32 0
		.amdhsa_float_round_mode_16_64 0
		.amdhsa_float_denorm_mode_32 3
		.amdhsa_float_denorm_mode_16_64 3
		.amdhsa_dx10_clamp 1
		.amdhsa_ieee_mode 1
		.amdhsa_fp16_overflow 0
		.amdhsa_tg_split 0
		.amdhsa_exception_fp_ieee_invalid_op 0
		.amdhsa_exception_fp_denorm_src 0
		.amdhsa_exception_fp_ieee_div_zero 0
		.amdhsa_exception_fp_ieee_overflow 0
		.amdhsa_exception_fp_ieee_underflow 0
		.amdhsa_exception_fp_ieee_inexact 0
		.amdhsa_exception_int_div_zero 0
	.end_amdhsa_kernel
	.section	.text._ZN7rocprim17ROCPRIM_400000_NS6detail17trampoline_kernelINS0_14default_configENS1_25transform_config_selectorIlLb0EEEZNS1_14transform_implILb0ES3_S5_NS0_18transform_iteratorINS0_17counting_iteratorImlEEZNS1_24adjacent_difference_implIS3_Lb1ELb0EPlSB_ZN2at6native12_GLOBAL__N_124unique_dim_cuda_templateIsEESt5tupleIJNSC_6TensorESH_SH_EERKSH_lbbbEUlllE1_EE10hipError_tPvRmT2_T3_mT4_P12ihipStream_tbEUlmE_lEESB_NS0_8identityIvEEEESM_SP_SQ_mSR_ST_bEUlT_E_NS1_11comp_targetILNS1_3genE9ELNS1_11target_archE1100ELNS1_3gpuE3ELNS1_3repE0EEENS1_30default_config_static_selectorELNS0_4arch9wavefront6targetE1EEEvT1_,"axG",@progbits,_ZN7rocprim17ROCPRIM_400000_NS6detail17trampoline_kernelINS0_14default_configENS1_25transform_config_selectorIlLb0EEEZNS1_14transform_implILb0ES3_S5_NS0_18transform_iteratorINS0_17counting_iteratorImlEEZNS1_24adjacent_difference_implIS3_Lb1ELb0EPlSB_ZN2at6native12_GLOBAL__N_124unique_dim_cuda_templateIsEESt5tupleIJNSC_6TensorESH_SH_EERKSH_lbbbEUlllE1_EE10hipError_tPvRmT2_T3_mT4_P12ihipStream_tbEUlmE_lEESB_NS0_8identityIvEEEESM_SP_SQ_mSR_ST_bEUlT_E_NS1_11comp_targetILNS1_3genE9ELNS1_11target_archE1100ELNS1_3gpuE3ELNS1_3repE0EEENS1_30default_config_static_selectorELNS0_4arch9wavefront6targetE1EEEvT1_,comdat
.Lfunc_end680:
	.size	_ZN7rocprim17ROCPRIM_400000_NS6detail17trampoline_kernelINS0_14default_configENS1_25transform_config_selectorIlLb0EEEZNS1_14transform_implILb0ES3_S5_NS0_18transform_iteratorINS0_17counting_iteratorImlEEZNS1_24adjacent_difference_implIS3_Lb1ELb0EPlSB_ZN2at6native12_GLOBAL__N_124unique_dim_cuda_templateIsEESt5tupleIJNSC_6TensorESH_SH_EERKSH_lbbbEUlllE1_EE10hipError_tPvRmT2_T3_mT4_P12ihipStream_tbEUlmE_lEESB_NS0_8identityIvEEEESM_SP_SQ_mSR_ST_bEUlT_E_NS1_11comp_targetILNS1_3genE9ELNS1_11target_archE1100ELNS1_3gpuE3ELNS1_3repE0EEENS1_30default_config_static_selectorELNS0_4arch9wavefront6targetE1EEEvT1_, .Lfunc_end680-_ZN7rocprim17ROCPRIM_400000_NS6detail17trampoline_kernelINS0_14default_configENS1_25transform_config_selectorIlLb0EEEZNS1_14transform_implILb0ES3_S5_NS0_18transform_iteratorINS0_17counting_iteratorImlEEZNS1_24adjacent_difference_implIS3_Lb1ELb0EPlSB_ZN2at6native12_GLOBAL__N_124unique_dim_cuda_templateIsEESt5tupleIJNSC_6TensorESH_SH_EERKSH_lbbbEUlllE1_EE10hipError_tPvRmT2_T3_mT4_P12ihipStream_tbEUlmE_lEESB_NS0_8identityIvEEEESM_SP_SQ_mSR_ST_bEUlT_E_NS1_11comp_targetILNS1_3genE9ELNS1_11target_archE1100ELNS1_3gpuE3ELNS1_3repE0EEENS1_30default_config_static_selectorELNS0_4arch9wavefront6targetE1EEEvT1_
                                        ; -- End function
	.section	.AMDGPU.csdata,"",@progbits
; Kernel info:
; codeLenInByte = 0
; NumSgprs: 6
; NumVgprs: 0
; NumAgprs: 0
; TotalNumVgprs: 0
; ScratchSize: 0
; MemoryBound: 0
; FloatMode: 240
; IeeeMode: 1
; LDSByteSize: 0 bytes/workgroup (compile time only)
; SGPRBlocks: 0
; VGPRBlocks: 0
; NumSGPRsForWavesPerEU: 6
; NumVGPRsForWavesPerEU: 1
; AccumOffset: 4
; Occupancy: 8
; WaveLimiterHint : 0
; COMPUTE_PGM_RSRC2:SCRATCH_EN: 0
; COMPUTE_PGM_RSRC2:USER_SGPR: 2
; COMPUTE_PGM_RSRC2:TRAP_HANDLER: 0
; COMPUTE_PGM_RSRC2:TGID_X_EN: 1
; COMPUTE_PGM_RSRC2:TGID_Y_EN: 0
; COMPUTE_PGM_RSRC2:TGID_Z_EN: 0
; COMPUTE_PGM_RSRC2:TIDIG_COMP_CNT: 0
; COMPUTE_PGM_RSRC3_GFX90A:ACCUM_OFFSET: 0
; COMPUTE_PGM_RSRC3_GFX90A:TG_SPLIT: 0
	.section	.text._ZN7rocprim17ROCPRIM_400000_NS6detail17trampoline_kernelINS0_14default_configENS1_25transform_config_selectorIlLb0EEEZNS1_14transform_implILb0ES3_S5_NS0_18transform_iteratorINS0_17counting_iteratorImlEEZNS1_24adjacent_difference_implIS3_Lb1ELb0EPlSB_ZN2at6native12_GLOBAL__N_124unique_dim_cuda_templateIsEESt5tupleIJNSC_6TensorESH_SH_EERKSH_lbbbEUlllE1_EE10hipError_tPvRmT2_T3_mT4_P12ihipStream_tbEUlmE_lEESB_NS0_8identityIvEEEESM_SP_SQ_mSR_ST_bEUlT_E_NS1_11comp_targetILNS1_3genE8ELNS1_11target_archE1030ELNS1_3gpuE2ELNS1_3repE0EEENS1_30default_config_static_selectorELNS0_4arch9wavefront6targetE1EEEvT1_,"axG",@progbits,_ZN7rocprim17ROCPRIM_400000_NS6detail17trampoline_kernelINS0_14default_configENS1_25transform_config_selectorIlLb0EEEZNS1_14transform_implILb0ES3_S5_NS0_18transform_iteratorINS0_17counting_iteratorImlEEZNS1_24adjacent_difference_implIS3_Lb1ELb0EPlSB_ZN2at6native12_GLOBAL__N_124unique_dim_cuda_templateIsEESt5tupleIJNSC_6TensorESH_SH_EERKSH_lbbbEUlllE1_EE10hipError_tPvRmT2_T3_mT4_P12ihipStream_tbEUlmE_lEESB_NS0_8identityIvEEEESM_SP_SQ_mSR_ST_bEUlT_E_NS1_11comp_targetILNS1_3genE8ELNS1_11target_archE1030ELNS1_3gpuE2ELNS1_3repE0EEENS1_30default_config_static_selectorELNS0_4arch9wavefront6targetE1EEEvT1_,comdat
	.globl	_ZN7rocprim17ROCPRIM_400000_NS6detail17trampoline_kernelINS0_14default_configENS1_25transform_config_selectorIlLb0EEEZNS1_14transform_implILb0ES3_S5_NS0_18transform_iteratorINS0_17counting_iteratorImlEEZNS1_24adjacent_difference_implIS3_Lb1ELb0EPlSB_ZN2at6native12_GLOBAL__N_124unique_dim_cuda_templateIsEESt5tupleIJNSC_6TensorESH_SH_EERKSH_lbbbEUlllE1_EE10hipError_tPvRmT2_T3_mT4_P12ihipStream_tbEUlmE_lEESB_NS0_8identityIvEEEESM_SP_SQ_mSR_ST_bEUlT_E_NS1_11comp_targetILNS1_3genE8ELNS1_11target_archE1030ELNS1_3gpuE2ELNS1_3repE0EEENS1_30default_config_static_selectorELNS0_4arch9wavefront6targetE1EEEvT1_ ; -- Begin function _ZN7rocprim17ROCPRIM_400000_NS6detail17trampoline_kernelINS0_14default_configENS1_25transform_config_selectorIlLb0EEEZNS1_14transform_implILb0ES3_S5_NS0_18transform_iteratorINS0_17counting_iteratorImlEEZNS1_24adjacent_difference_implIS3_Lb1ELb0EPlSB_ZN2at6native12_GLOBAL__N_124unique_dim_cuda_templateIsEESt5tupleIJNSC_6TensorESH_SH_EERKSH_lbbbEUlllE1_EE10hipError_tPvRmT2_T3_mT4_P12ihipStream_tbEUlmE_lEESB_NS0_8identityIvEEEESM_SP_SQ_mSR_ST_bEUlT_E_NS1_11comp_targetILNS1_3genE8ELNS1_11target_archE1030ELNS1_3gpuE2ELNS1_3repE0EEENS1_30default_config_static_selectorELNS0_4arch9wavefront6targetE1EEEvT1_
	.p2align	8
	.type	_ZN7rocprim17ROCPRIM_400000_NS6detail17trampoline_kernelINS0_14default_configENS1_25transform_config_selectorIlLb0EEEZNS1_14transform_implILb0ES3_S5_NS0_18transform_iteratorINS0_17counting_iteratorImlEEZNS1_24adjacent_difference_implIS3_Lb1ELb0EPlSB_ZN2at6native12_GLOBAL__N_124unique_dim_cuda_templateIsEESt5tupleIJNSC_6TensorESH_SH_EERKSH_lbbbEUlllE1_EE10hipError_tPvRmT2_T3_mT4_P12ihipStream_tbEUlmE_lEESB_NS0_8identityIvEEEESM_SP_SQ_mSR_ST_bEUlT_E_NS1_11comp_targetILNS1_3genE8ELNS1_11target_archE1030ELNS1_3gpuE2ELNS1_3repE0EEENS1_30default_config_static_selectorELNS0_4arch9wavefront6targetE1EEEvT1_,@function
_ZN7rocprim17ROCPRIM_400000_NS6detail17trampoline_kernelINS0_14default_configENS1_25transform_config_selectorIlLb0EEEZNS1_14transform_implILb0ES3_S5_NS0_18transform_iteratorINS0_17counting_iteratorImlEEZNS1_24adjacent_difference_implIS3_Lb1ELb0EPlSB_ZN2at6native12_GLOBAL__N_124unique_dim_cuda_templateIsEESt5tupleIJNSC_6TensorESH_SH_EERKSH_lbbbEUlllE1_EE10hipError_tPvRmT2_T3_mT4_P12ihipStream_tbEUlmE_lEESB_NS0_8identityIvEEEESM_SP_SQ_mSR_ST_bEUlT_E_NS1_11comp_targetILNS1_3genE8ELNS1_11target_archE1030ELNS1_3gpuE2ELNS1_3repE0EEENS1_30default_config_static_selectorELNS0_4arch9wavefront6targetE1EEEvT1_: ; @_ZN7rocprim17ROCPRIM_400000_NS6detail17trampoline_kernelINS0_14default_configENS1_25transform_config_selectorIlLb0EEEZNS1_14transform_implILb0ES3_S5_NS0_18transform_iteratorINS0_17counting_iteratorImlEEZNS1_24adjacent_difference_implIS3_Lb1ELb0EPlSB_ZN2at6native12_GLOBAL__N_124unique_dim_cuda_templateIsEESt5tupleIJNSC_6TensorESH_SH_EERKSH_lbbbEUlllE1_EE10hipError_tPvRmT2_T3_mT4_P12ihipStream_tbEUlmE_lEESB_NS0_8identityIvEEEESM_SP_SQ_mSR_ST_bEUlT_E_NS1_11comp_targetILNS1_3genE8ELNS1_11target_archE1030ELNS1_3gpuE2ELNS1_3repE0EEENS1_30default_config_static_selectorELNS0_4arch9wavefront6targetE1EEEvT1_
; %bb.0:
	.section	.rodata,"a",@progbits
	.p2align	6, 0x0
	.amdhsa_kernel _ZN7rocprim17ROCPRIM_400000_NS6detail17trampoline_kernelINS0_14default_configENS1_25transform_config_selectorIlLb0EEEZNS1_14transform_implILb0ES3_S5_NS0_18transform_iteratorINS0_17counting_iteratorImlEEZNS1_24adjacent_difference_implIS3_Lb1ELb0EPlSB_ZN2at6native12_GLOBAL__N_124unique_dim_cuda_templateIsEESt5tupleIJNSC_6TensorESH_SH_EERKSH_lbbbEUlllE1_EE10hipError_tPvRmT2_T3_mT4_P12ihipStream_tbEUlmE_lEESB_NS0_8identityIvEEEESM_SP_SQ_mSR_ST_bEUlT_E_NS1_11comp_targetILNS1_3genE8ELNS1_11target_archE1030ELNS1_3gpuE2ELNS1_3repE0EEENS1_30default_config_static_selectorELNS0_4arch9wavefront6targetE1EEEvT1_
		.amdhsa_group_segment_fixed_size 0
		.amdhsa_private_segment_fixed_size 0
		.amdhsa_kernarg_size 56
		.amdhsa_user_sgpr_count 2
		.amdhsa_user_sgpr_dispatch_ptr 0
		.amdhsa_user_sgpr_queue_ptr 0
		.amdhsa_user_sgpr_kernarg_segment_ptr 1
		.amdhsa_user_sgpr_dispatch_id 0
		.amdhsa_user_sgpr_kernarg_preload_length 0
		.amdhsa_user_sgpr_kernarg_preload_offset 0
		.amdhsa_user_sgpr_private_segment_size 0
		.amdhsa_uses_dynamic_stack 0
		.amdhsa_enable_private_segment 0
		.amdhsa_system_sgpr_workgroup_id_x 1
		.amdhsa_system_sgpr_workgroup_id_y 0
		.amdhsa_system_sgpr_workgroup_id_z 0
		.amdhsa_system_sgpr_workgroup_info 0
		.amdhsa_system_vgpr_workitem_id 0
		.amdhsa_next_free_vgpr 1
		.amdhsa_next_free_sgpr 0
		.amdhsa_accum_offset 4
		.amdhsa_reserve_vcc 0
		.amdhsa_float_round_mode_32 0
		.amdhsa_float_round_mode_16_64 0
		.amdhsa_float_denorm_mode_32 3
		.amdhsa_float_denorm_mode_16_64 3
		.amdhsa_dx10_clamp 1
		.amdhsa_ieee_mode 1
		.amdhsa_fp16_overflow 0
		.amdhsa_tg_split 0
		.amdhsa_exception_fp_ieee_invalid_op 0
		.amdhsa_exception_fp_denorm_src 0
		.amdhsa_exception_fp_ieee_div_zero 0
		.amdhsa_exception_fp_ieee_overflow 0
		.amdhsa_exception_fp_ieee_underflow 0
		.amdhsa_exception_fp_ieee_inexact 0
		.amdhsa_exception_int_div_zero 0
	.end_amdhsa_kernel
	.section	.text._ZN7rocprim17ROCPRIM_400000_NS6detail17trampoline_kernelINS0_14default_configENS1_25transform_config_selectorIlLb0EEEZNS1_14transform_implILb0ES3_S5_NS0_18transform_iteratorINS0_17counting_iteratorImlEEZNS1_24adjacent_difference_implIS3_Lb1ELb0EPlSB_ZN2at6native12_GLOBAL__N_124unique_dim_cuda_templateIsEESt5tupleIJNSC_6TensorESH_SH_EERKSH_lbbbEUlllE1_EE10hipError_tPvRmT2_T3_mT4_P12ihipStream_tbEUlmE_lEESB_NS0_8identityIvEEEESM_SP_SQ_mSR_ST_bEUlT_E_NS1_11comp_targetILNS1_3genE8ELNS1_11target_archE1030ELNS1_3gpuE2ELNS1_3repE0EEENS1_30default_config_static_selectorELNS0_4arch9wavefront6targetE1EEEvT1_,"axG",@progbits,_ZN7rocprim17ROCPRIM_400000_NS6detail17trampoline_kernelINS0_14default_configENS1_25transform_config_selectorIlLb0EEEZNS1_14transform_implILb0ES3_S5_NS0_18transform_iteratorINS0_17counting_iteratorImlEEZNS1_24adjacent_difference_implIS3_Lb1ELb0EPlSB_ZN2at6native12_GLOBAL__N_124unique_dim_cuda_templateIsEESt5tupleIJNSC_6TensorESH_SH_EERKSH_lbbbEUlllE1_EE10hipError_tPvRmT2_T3_mT4_P12ihipStream_tbEUlmE_lEESB_NS0_8identityIvEEEESM_SP_SQ_mSR_ST_bEUlT_E_NS1_11comp_targetILNS1_3genE8ELNS1_11target_archE1030ELNS1_3gpuE2ELNS1_3repE0EEENS1_30default_config_static_selectorELNS0_4arch9wavefront6targetE1EEEvT1_,comdat
.Lfunc_end681:
	.size	_ZN7rocprim17ROCPRIM_400000_NS6detail17trampoline_kernelINS0_14default_configENS1_25transform_config_selectorIlLb0EEEZNS1_14transform_implILb0ES3_S5_NS0_18transform_iteratorINS0_17counting_iteratorImlEEZNS1_24adjacent_difference_implIS3_Lb1ELb0EPlSB_ZN2at6native12_GLOBAL__N_124unique_dim_cuda_templateIsEESt5tupleIJNSC_6TensorESH_SH_EERKSH_lbbbEUlllE1_EE10hipError_tPvRmT2_T3_mT4_P12ihipStream_tbEUlmE_lEESB_NS0_8identityIvEEEESM_SP_SQ_mSR_ST_bEUlT_E_NS1_11comp_targetILNS1_3genE8ELNS1_11target_archE1030ELNS1_3gpuE2ELNS1_3repE0EEENS1_30default_config_static_selectorELNS0_4arch9wavefront6targetE1EEEvT1_, .Lfunc_end681-_ZN7rocprim17ROCPRIM_400000_NS6detail17trampoline_kernelINS0_14default_configENS1_25transform_config_selectorIlLb0EEEZNS1_14transform_implILb0ES3_S5_NS0_18transform_iteratorINS0_17counting_iteratorImlEEZNS1_24adjacent_difference_implIS3_Lb1ELb0EPlSB_ZN2at6native12_GLOBAL__N_124unique_dim_cuda_templateIsEESt5tupleIJNSC_6TensorESH_SH_EERKSH_lbbbEUlllE1_EE10hipError_tPvRmT2_T3_mT4_P12ihipStream_tbEUlmE_lEESB_NS0_8identityIvEEEESM_SP_SQ_mSR_ST_bEUlT_E_NS1_11comp_targetILNS1_3genE8ELNS1_11target_archE1030ELNS1_3gpuE2ELNS1_3repE0EEENS1_30default_config_static_selectorELNS0_4arch9wavefront6targetE1EEEvT1_
                                        ; -- End function
	.section	.AMDGPU.csdata,"",@progbits
; Kernel info:
; codeLenInByte = 0
; NumSgprs: 6
; NumVgprs: 0
; NumAgprs: 0
; TotalNumVgprs: 0
; ScratchSize: 0
; MemoryBound: 0
; FloatMode: 240
; IeeeMode: 1
; LDSByteSize: 0 bytes/workgroup (compile time only)
; SGPRBlocks: 0
; VGPRBlocks: 0
; NumSGPRsForWavesPerEU: 6
; NumVGPRsForWavesPerEU: 1
; AccumOffset: 4
; Occupancy: 8
; WaveLimiterHint : 0
; COMPUTE_PGM_RSRC2:SCRATCH_EN: 0
; COMPUTE_PGM_RSRC2:USER_SGPR: 2
; COMPUTE_PGM_RSRC2:TRAP_HANDLER: 0
; COMPUTE_PGM_RSRC2:TGID_X_EN: 1
; COMPUTE_PGM_RSRC2:TGID_Y_EN: 0
; COMPUTE_PGM_RSRC2:TGID_Z_EN: 0
; COMPUTE_PGM_RSRC2:TIDIG_COMP_CNT: 0
; COMPUTE_PGM_RSRC3_GFX90A:ACCUM_OFFSET: 0
; COMPUTE_PGM_RSRC3_GFX90A:TG_SPLIT: 0
	.section	.text._ZN7rocprim17ROCPRIM_400000_NS6detail17trampoline_kernelINS0_14default_configENS1_35adjacent_difference_config_selectorILb1ElEEZNS1_24adjacent_difference_implIS3_Lb1ELb0EPlS7_ZN2at6native12_GLOBAL__N_124unique_dim_cuda_templateIsEESt5tupleIJNS8_6TensorESD_SD_EERKSD_lbbbEUlllE1_EE10hipError_tPvRmT2_T3_mT4_P12ihipStream_tbEUlT_E_NS1_11comp_targetILNS1_3genE0ELNS1_11target_archE4294967295ELNS1_3gpuE0ELNS1_3repE0EEENS1_30default_config_static_selectorELNS0_4arch9wavefront6targetE1EEEvT1_,"axG",@progbits,_ZN7rocprim17ROCPRIM_400000_NS6detail17trampoline_kernelINS0_14default_configENS1_35adjacent_difference_config_selectorILb1ElEEZNS1_24adjacent_difference_implIS3_Lb1ELb0EPlS7_ZN2at6native12_GLOBAL__N_124unique_dim_cuda_templateIsEESt5tupleIJNS8_6TensorESD_SD_EERKSD_lbbbEUlllE1_EE10hipError_tPvRmT2_T3_mT4_P12ihipStream_tbEUlT_E_NS1_11comp_targetILNS1_3genE0ELNS1_11target_archE4294967295ELNS1_3gpuE0ELNS1_3repE0EEENS1_30default_config_static_selectorELNS0_4arch9wavefront6targetE1EEEvT1_,comdat
	.globl	_ZN7rocprim17ROCPRIM_400000_NS6detail17trampoline_kernelINS0_14default_configENS1_35adjacent_difference_config_selectorILb1ElEEZNS1_24adjacent_difference_implIS3_Lb1ELb0EPlS7_ZN2at6native12_GLOBAL__N_124unique_dim_cuda_templateIsEESt5tupleIJNS8_6TensorESD_SD_EERKSD_lbbbEUlllE1_EE10hipError_tPvRmT2_T3_mT4_P12ihipStream_tbEUlT_E_NS1_11comp_targetILNS1_3genE0ELNS1_11target_archE4294967295ELNS1_3gpuE0ELNS1_3repE0EEENS1_30default_config_static_selectorELNS0_4arch9wavefront6targetE1EEEvT1_ ; -- Begin function _ZN7rocprim17ROCPRIM_400000_NS6detail17trampoline_kernelINS0_14default_configENS1_35adjacent_difference_config_selectorILb1ElEEZNS1_24adjacent_difference_implIS3_Lb1ELb0EPlS7_ZN2at6native12_GLOBAL__N_124unique_dim_cuda_templateIsEESt5tupleIJNS8_6TensorESD_SD_EERKSD_lbbbEUlllE1_EE10hipError_tPvRmT2_T3_mT4_P12ihipStream_tbEUlT_E_NS1_11comp_targetILNS1_3genE0ELNS1_11target_archE4294967295ELNS1_3gpuE0ELNS1_3repE0EEENS1_30default_config_static_selectorELNS0_4arch9wavefront6targetE1EEEvT1_
	.p2align	8
	.type	_ZN7rocprim17ROCPRIM_400000_NS6detail17trampoline_kernelINS0_14default_configENS1_35adjacent_difference_config_selectorILb1ElEEZNS1_24adjacent_difference_implIS3_Lb1ELb0EPlS7_ZN2at6native12_GLOBAL__N_124unique_dim_cuda_templateIsEESt5tupleIJNS8_6TensorESD_SD_EERKSD_lbbbEUlllE1_EE10hipError_tPvRmT2_T3_mT4_P12ihipStream_tbEUlT_E_NS1_11comp_targetILNS1_3genE0ELNS1_11target_archE4294967295ELNS1_3gpuE0ELNS1_3repE0EEENS1_30default_config_static_selectorELNS0_4arch9wavefront6targetE1EEEvT1_,@function
_ZN7rocprim17ROCPRIM_400000_NS6detail17trampoline_kernelINS0_14default_configENS1_35adjacent_difference_config_selectorILb1ElEEZNS1_24adjacent_difference_implIS3_Lb1ELb0EPlS7_ZN2at6native12_GLOBAL__N_124unique_dim_cuda_templateIsEESt5tupleIJNS8_6TensorESD_SD_EERKSD_lbbbEUlllE1_EE10hipError_tPvRmT2_T3_mT4_P12ihipStream_tbEUlT_E_NS1_11comp_targetILNS1_3genE0ELNS1_11target_archE4294967295ELNS1_3gpuE0ELNS1_3repE0EEENS1_30default_config_static_selectorELNS0_4arch9wavefront6targetE1EEEvT1_: ; @_ZN7rocprim17ROCPRIM_400000_NS6detail17trampoline_kernelINS0_14default_configENS1_35adjacent_difference_config_selectorILb1ElEEZNS1_24adjacent_difference_implIS3_Lb1ELb0EPlS7_ZN2at6native12_GLOBAL__N_124unique_dim_cuda_templateIsEESt5tupleIJNS8_6TensorESD_SD_EERKSD_lbbbEUlllE1_EE10hipError_tPvRmT2_T3_mT4_P12ihipStream_tbEUlT_E_NS1_11comp_targetILNS1_3genE0ELNS1_11target_archE4294967295ELNS1_3gpuE0ELNS1_3repE0EEENS1_30default_config_static_selectorELNS0_4arch9wavefront6targetE1EEEvT1_
; %bb.0:
	.section	.rodata,"a",@progbits
	.p2align	6, 0x0
	.amdhsa_kernel _ZN7rocprim17ROCPRIM_400000_NS6detail17trampoline_kernelINS0_14default_configENS1_35adjacent_difference_config_selectorILb1ElEEZNS1_24adjacent_difference_implIS3_Lb1ELb0EPlS7_ZN2at6native12_GLOBAL__N_124unique_dim_cuda_templateIsEESt5tupleIJNS8_6TensorESD_SD_EERKSD_lbbbEUlllE1_EE10hipError_tPvRmT2_T3_mT4_P12ihipStream_tbEUlT_E_NS1_11comp_targetILNS1_3genE0ELNS1_11target_archE4294967295ELNS1_3gpuE0ELNS1_3repE0EEENS1_30default_config_static_selectorELNS0_4arch9wavefront6targetE1EEEvT1_
		.amdhsa_group_segment_fixed_size 0
		.amdhsa_private_segment_fixed_size 0
		.amdhsa_kernarg_size 64
		.amdhsa_user_sgpr_count 2
		.amdhsa_user_sgpr_dispatch_ptr 0
		.amdhsa_user_sgpr_queue_ptr 0
		.amdhsa_user_sgpr_kernarg_segment_ptr 1
		.amdhsa_user_sgpr_dispatch_id 0
		.amdhsa_user_sgpr_kernarg_preload_length 0
		.amdhsa_user_sgpr_kernarg_preload_offset 0
		.amdhsa_user_sgpr_private_segment_size 0
		.amdhsa_uses_dynamic_stack 0
		.amdhsa_enable_private_segment 0
		.amdhsa_system_sgpr_workgroup_id_x 1
		.amdhsa_system_sgpr_workgroup_id_y 0
		.amdhsa_system_sgpr_workgroup_id_z 0
		.amdhsa_system_sgpr_workgroup_info 0
		.amdhsa_system_vgpr_workitem_id 0
		.amdhsa_next_free_vgpr 1
		.amdhsa_next_free_sgpr 0
		.amdhsa_accum_offset 4
		.amdhsa_reserve_vcc 0
		.amdhsa_float_round_mode_32 0
		.amdhsa_float_round_mode_16_64 0
		.amdhsa_float_denorm_mode_32 3
		.amdhsa_float_denorm_mode_16_64 3
		.amdhsa_dx10_clamp 1
		.amdhsa_ieee_mode 1
		.amdhsa_fp16_overflow 0
		.amdhsa_tg_split 0
		.amdhsa_exception_fp_ieee_invalid_op 0
		.amdhsa_exception_fp_denorm_src 0
		.amdhsa_exception_fp_ieee_div_zero 0
		.amdhsa_exception_fp_ieee_overflow 0
		.amdhsa_exception_fp_ieee_underflow 0
		.amdhsa_exception_fp_ieee_inexact 0
		.amdhsa_exception_int_div_zero 0
	.end_amdhsa_kernel
	.section	.text._ZN7rocprim17ROCPRIM_400000_NS6detail17trampoline_kernelINS0_14default_configENS1_35adjacent_difference_config_selectorILb1ElEEZNS1_24adjacent_difference_implIS3_Lb1ELb0EPlS7_ZN2at6native12_GLOBAL__N_124unique_dim_cuda_templateIsEESt5tupleIJNS8_6TensorESD_SD_EERKSD_lbbbEUlllE1_EE10hipError_tPvRmT2_T3_mT4_P12ihipStream_tbEUlT_E_NS1_11comp_targetILNS1_3genE0ELNS1_11target_archE4294967295ELNS1_3gpuE0ELNS1_3repE0EEENS1_30default_config_static_selectorELNS0_4arch9wavefront6targetE1EEEvT1_,"axG",@progbits,_ZN7rocprim17ROCPRIM_400000_NS6detail17trampoline_kernelINS0_14default_configENS1_35adjacent_difference_config_selectorILb1ElEEZNS1_24adjacent_difference_implIS3_Lb1ELb0EPlS7_ZN2at6native12_GLOBAL__N_124unique_dim_cuda_templateIsEESt5tupleIJNS8_6TensorESD_SD_EERKSD_lbbbEUlllE1_EE10hipError_tPvRmT2_T3_mT4_P12ihipStream_tbEUlT_E_NS1_11comp_targetILNS1_3genE0ELNS1_11target_archE4294967295ELNS1_3gpuE0ELNS1_3repE0EEENS1_30default_config_static_selectorELNS0_4arch9wavefront6targetE1EEEvT1_,comdat
.Lfunc_end682:
	.size	_ZN7rocprim17ROCPRIM_400000_NS6detail17trampoline_kernelINS0_14default_configENS1_35adjacent_difference_config_selectorILb1ElEEZNS1_24adjacent_difference_implIS3_Lb1ELb0EPlS7_ZN2at6native12_GLOBAL__N_124unique_dim_cuda_templateIsEESt5tupleIJNS8_6TensorESD_SD_EERKSD_lbbbEUlllE1_EE10hipError_tPvRmT2_T3_mT4_P12ihipStream_tbEUlT_E_NS1_11comp_targetILNS1_3genE0ELNS1_11target_archE4294967295ELNS1_3gpuE0ELNS1_3repE0EEENS1_30default_config_static_selectorELNS0_4arch9wavefront6targetE1EEEvT1_, .Lfunc_end682-_ZN7rocprim17ROCPRIM_400000_NS6detail17trampoline_kernelINS0_14default_configENS1_35adjacent_difference_config_selectorILb1ElEEZNS1_24adjacent_difference_implIS3_Lb1ELb0EPlS7_ZN2at6native12_GLOBAL__N_124unique_dim_cuda_templateIsEESt5tupleIJNS8_6TensorESD_SD_EERKSD_lbbbEUlllE1_EE10hipError_tPvRmT2_T3_mT4_P12ihipStream_tbEUlT_E_NS1_11comp_targetILNS1_3genE0ELNS1_11target_archE4294967295ELNS1_3gpuE0ELNS1_3repE0EEENS1_30default_config_static_selectorELNS0_4arch9wavefront6targetE1EEEvT1_
                                        ; -- End function
	.section	.AMDGPU.csdata,"",@progbits
; Kernel info:
; codeLenInByte = 0
; NumSgprs: 6
; NumVgprs: 0
; NumAgprs: 0
; TotalNumVgprs: 0
; ScratchSize: 0
; MemoryBound: 0
; FloatMode: 240
; IeeeMode: 1
; LDSByteSize: 0 bytes/workgroup (compile time only)
; SGPRBlocks: 0
; VGPRBlocks: 0
; NumSGPRsForWavesPerEU: 6
; NumVGPRsForWavesPerEU: 1
; AccumOffset: 4
; Occupancy: 8
; WaveLimiterHint : 0
; COMPUTE_PGM_RSRC2:SCRATCH_EN: 0
; COMPUTE_PGM_RSRC2:USER_SGPR: 2
; COMPUTE_PGM_RSRC2:TRAP_HANDLER: 0
; COMPUTE_PGM_RSRC2:TGID_X_EN: 1
; COMPUTE_PGM_RSRC2:TGID_Y_EN: 0
; COMPUTE_PGM_RSRC2:TGID_Z_EN: 0
; COMPUTE_PGM_RSRC2:TIDIG_COMP_CNT: 0
; COMPUTE_PGM_RSRC3_GFX90A:ACCUM_OFFSET: 0
; COMPUTE_PGM_RSRC3_GFX90A:TG_SPLIT: 0
	.section	.text._ZN7rocprim17ROCPRIM_400000_NS6detail17trampoline_kernelINS0_14default_configENS1_35adjacent_difference_config_selectorILb1ElEEZNS1_24adjacent_difference_implIS3_Lb1ELb0EPlS7_ZN2at6native12_GLOBAL__N_124unique_dim_cuda_templateIsEESt5tupleIJNS8_6TensorESD_SD_EERKSD_lbbbEUlllE1_EE10hipError_tPvRmT2_T3_mT4_P12ihipStream_tbEUlT_E_NS1_11comp_targetILNS1_3genE10ELNS1_11target_archE1201ELNS1_3gpuE5ELNS1_3repE0EEENS1_30default_config_static_selectorELNS0_4arch9wavefront6targetE1EEEvT1_,"axG",@progbits,_ZN7rocprim17ROCPRIM_400000_NS6detail17trampoline_kernelINS0_14default_configENS1_35adjacent_difference_config_selectorILb1ElEEZNS1_24adjacent_difference_implIS3_Lb1ELb0EPlS7_ZN2at6native12_GLOBAL__N_124unique_dim_cuda_templateIsEESt5tupleIJNS8_6TensorESD_SD_EERKSD_lbbbEUlllE1_EE10hipError_tPvRmT2_T3_mT4_P12ihipStream_tbEUlT_E_NS1_11comp_targetILNS1_3genE10ELNS1_11target_archE1201ELNS1_3gpuE5ELNS1_3repE0EEENS1_30default_config_static_selectorELNS0_4arch9wavefront6targetE1EEEvT1_,comdat
	.globl	_ZN7rocprim17ROCPRIM_400000_NS6detail17trampoline_kernelINS0_14default_configENS1_35adjacent_difference_config_selectorILb1ElEEZNS1_24adjacent_difference_implIS3_Lb1ELb0EPlS7_ZN2at6native12_GLOBAL__N_124unique_dim_cuda_templateIsEESt5tupleIJNS8_6TensorESD_SD_EERKSD_lbbbEUlllE1_EE10hipError_tPvRmT2_T3_mT4_P12ihipStream_tbEUlT_E_NS1_11comp_targetILNS1_3genE10ELNS1_11target_archE1201ELNS1_3gpuE5ELNS1_3repE0EEENS1_30default_config_static_selectorELNS0_4arch9wavefront6targetE1EEEvT1_ ; -- Begin function _ZN7rocprim17ROCPRIM_400000_NS6detail17trampoline_kernelINS0_14default_configENS1_35adjacent_difference_config_selectorILb1ElEEZNS1_24adjacent_difference_implIS3_Lb1ELb0EPlS7_ZN2at6native12_GLOBAL__N_124unique_dim_cuda_templateIsEESt5tupleIJNS8_6TensorESD_SD_EERKSD_lbbbEUlllE1_EE10hipError_tPvRmT2_T3_mT4_P12ihipStream_tbEUlT_E_NS1_11comp_targetILNS1_3genE10ELNS1_11target_archE1201ELNS1_3gpuE5ELNS1_3repE0EEENS1_30default_config_static_selectorELNS0_4arch9wavefront6targetE1EEEvT1_
	.p2align	8
	.type	_ZN7rocprim17ROCPRIM_400000_NS6detail17trampoline_kernelINS0_14default_configENS1_35adjacent_difference_config_selectorILb1ElEEZNS1_24adjacent_difference_implIS3_Lb1ELb0EPlS7_ZN2at6native12_GLOBAL__N_124unique_dim_cuda_templateIsEESt5tupleIJNS8_6TensorESD_SD_EERKSD_lbbbEUlllE1_EE10hipError_tPvRmT2_T3_mT4_P12ihipStream_tbEUlT_E_NS1_11comp_targetILNS1_3genE10ELNS1_11target_archE1201ELNS1_3gpuE5ELNS1_3repE0EEENS1_30default_config_static_selectorELNS0_4arch9wavefront6targetE1EEEvT1_,@function
_ZN7rocprim17ROCPRIM_400000_NS6detail17trampoline_kernelINS0_14default_configENS1_35adjacent_difference_config_selectorILb1ElEEZNS1_24adjacent_difference_implIS3_Lb1ELb0EPlS7_ZN2at6native12_GLOBAL__N_124unique_dim_cuda_templateIsEESt5tupleIJNS8_6TensorESD_SD_EERKSD_lbbbEUlllE1_EE10hipError_tPvRmT2_T3_mT4_P12ihipStream_tbEUlT_E_NS1_11comp_targetILNS1_3genE10ELNS1_11target_archE1201ELNS1_3gpuE5ELNS1_3repE0EEENS1_30default_config_static_selectorELNS0_4arch9wavefront6targetE1EEEvT1_: ; @_ZN7rocprim17ROCPRIM_400000_NS6detail17trampoline_kernelINS0_14default_configENS1_35adjacent_difference_config_selectorILb1ElEEZNS1_24adjacent_difference_implIS3_Lb1ELb0EPlS7_ZN2at6native12_GLOBAL__N_124unique_dim_cuda_templateIsEESt5tupleIJNS8_6TensorESD_SD_EERKSD_lbbbEUlllE1_EE10hipError_tPvRmT2_T3_mT4_P12ihipStream_tbEUlT_E_NS1_11comp_targetILNS1_3genE10ELNS1_11target_archE1201ELNS1_3gpuE5ELNS1_3repE0EEENS1_30default_config_static_selectorELNS0_4arch9wavefront6targetE1EEEvT1_
; %bb.0:
	.section	.rodata,"a",@progbits
	.p2align	6, 0x0
	.amdhsa_kernel _ZN7rocprim17ROCPRIM_400000_NS6detail17trampoline_kernelINS0_14default_configENS1_35adjacent_difference_config_selectorILb1ElEEZNS1_24adjacent_difference_implIS3_Lb1ELb0EPlS7_ZN2at6native12_GLOBAL__N_124unique_dim_cuda_templateIsEESt5tupleIJNS8_6TensorESD_SD_EERKSD_lbbbEUlllE1_EE10hipError_tPvRmT2_T3_mT4_P12ihipStream_tbEUlT_E_NS1_11comp_targetILNS1_3genE10ELNS1_11target_archE1201ELNS1_3gpuE5ELNS1_3repE0EEENS1_30default_config_static_selectorELNS0_4arch9wavefront6targetE1EEEvT1_
		.amdhsa_group_segment_fixed_size 0
		.amdhsa_private_segment_fixed_size 0
		.amdhsa_kernarg_size 64
		.amdhsa_user_sgpr_count 2
		.amdhsa_user_sgpr_dispatch_ptr 0
		.amdhsa_user_sgpr_queue_ptr 0
		.amdhsa_user_sgpr_kernarg_segment_ptr 1
		.amdhsa_user_sgpr_dispatch_id 0
		.amdhsa_user_sgpr_kernarg_preload_length 0
		.amdhsa_user_sgpr_kernarg_preload_offset 0
		.amdhsa_user_sgpr_private_segment_size 0
		.amdhsa_uses_dynamic_stack 0
		.amdhsa_enable_private_segment 0
		.amdhsa_system_sgpr_workgroup_id_x 1
		.amdhsa_system_sgpr_workgroup_id_y 0
		.amdhsa_system_sgpr_workgroup_id_z 0
		.amdhsa_system_sgpr_workgroup_info 0
		.amdhsa_system_vgpr_workitem_id 0
		.amdhsa_next_free_vgpr 1
		.amdhsa_next_free_sgpr 0
		.amdhsa_accum_offset 4
		.amdhsa_reserve_vcc 0
		.amdhsa_float_round_mode_32 0
		.amdhsa_float_round_mode_16_64 0
		.amdhsa_float_denorm_mode_32 3
		.amdhsa_float_denorm_mode_16_64 3
		.amdhsa_dx10_clamp 1
		.amdhsa_ieee_mode 1
		.amdhsa_fp16_overflow 0
		.amdhsa_tg_split 0
		.amdhsa_exception_fp_ieee_invalid_op 0
		.amdhsa_exception_fp_denorm_src 0
		.amdhsa_exception_fp_ieee_div_zero 0
		.amdhsa_exception_fp_ieee_overflow 0
		.amdhsa_exception_fp_ieee_underflow 0
		.amdhsa_exception_fp_ieee_inexact 0
		.amdhsa_exception_int_div_zero 0
	.end_amdhsa_kernel
	.section	.text._ZN7rocprim17ROCPRIM_400000_NS6detail17trampoline_kernelINS0_14default_configENS1_35adjacent_difference_config_selectorILb1ElEEZNS1_24adjacent_difference_implIS3_Lb1ELb0EPlS7_ZN2at6native12_GLOBAL__N_124unique_dim_cuda_templateIsEESt5tupleIJNS8_6TensorESD_SD_EERKSD_lbbbEUlllE1_EE10hipError_tPvRmT2_T3_mT4_P12ihipStream_tbEUlT_E_NS1_11comp_targetILNS1_3genE10ELNS1_11target_archE1201ELNS1_3gpuE5ELNS1_3repE0EEENS1_30default_config_static_selectorELNS0_4arch9wavefront6targetE1EEEvT1_,"axG",@progbits,_ZN7rocprim17ROCPRIM_400000_NS6detail17trampoline_kernelINS0_14default_configENS1_35adjacent_difference_config_selectorILb1ElEEZNS1_24adjacent_difference_implIS3_Lb1ELb0EPlS7_ZN2at6native12_GLOBAL__N_124unique_dim_cuda_templateIsEESt5tupleIJNS8_6TensorESD_SD_EERKSD_lbbbEUlllE1_EE10hipError_tPvRmT2_T3_mT4_P12ihipStream_tbEUlT_E_NS1_11comp_targetILNS1_3genE10ELNS1_11target_archE1201ELNS1_3gpuE5ELNS1_3repE0EEENS1_30default_config_static_selectorELNS0_4arch9wavefront6targetE1EEEvT1_,comdat
.Lfunc_end683:
	.size	_ZN7rocprim17ROCPRIM_400000_NS6detail17trampoline_kernelINS0_14default_configENS1_35adjacent_difference_config_selectorILb1ElEEZNS1_24adjacent_difference_implIS3_Lb1ELb0EPlS7_ZN2at6native12_GLOBAL__N_124unique_dim_cuda_templateIsEESt5tupleIJNS8_6TensorESD_SD_EERKSD_lbbbEUlllE1_EE10hipError_tPvRmT2_T3_mT4_P12ihipStream_tbEUlT_E_NS1_11comp_targetILNS1_3genE10ELNS1_11target_archE1201ELNS1_3gpuE5ELNS1_3repE0EEENS1_30default_config_static_selectorELNS0_4arch9wavefront6targetE1EEEvT1_, .Lfunc_end683-_ZN7rocprim17ROCPRIM_400000_NS6detail17trampoline_kernelINS0_14default_configENS1_35adjacent_difference_config_selectorILb1ElEEZNS1_24adjacent_difference_implIS3_Lb1ELb0EPlS7_ZN2at6native12_GLOBAL__N_124unique_dim_cuda_templateIsEESt5tupleIJNS8_6TensorESD_SD_EERKSD_lbbbEUlllE1_EE10hipError_tPvRmT2_T3_mT4_P12ihipStream_tbEUlT_E_NS1_11comp_targetILNS1_3genE10ELNS1_11target_archE1201ELNS1_3gpuE5ELNS1_3repE0EEENS1_30default_config_static_selectorELNS0_4arch9wavefront6targetE1EEEvT1_
                                        ; -- End function
	.section	.AMDGPU.csdata,"",@progbits
; Kernel info:
; codeLenInByte = 0
; NumSgprs: 6
; NumVgprs: 0
; NumAgprs: 0
; TotalNumVgprs: 0
; ScratchSize: 0
; MemoryBound: 0
; FloatMode: 240
; IeeeMode: 1
; LDSByteSize: 0 bytes/workgroup (compile time only)
; SGPRBlocks: 0
; VGPRBlocks: 0
; NumSGPRsForWavesPerEU: 6
; NumVGPRsForWavesPerEU: 1
; AccumOffset: 4
; Occupancy: 8
; WaveLimiterHint : 0
; COMPUTE_PGM_RSRC2:SCRATCH_EN: 0
; COMPUTE_PGM_RSRC2:USER_SGPR: 2
; COMPUTE_PGM_RSRC2:TRAP_HANDLER: 0
; COMPUTE_PGM_RSRC2:TGID_X_EN: 1
; COMPUTE_PGM_RSRC2:TGID_Y_EN: 0
; COMPUTE_PGM_RSRC2:TGID_Z_EN: 0
; COMPUTE_PGM_RSRC2:TIDIG_COMP_CNT: 0
; COMPUTE_PGM_RSRC3_GFX90A:ACCUM_OFFSET: 0
; COMPUTE_PGM_RSRC3_GFX90A:TG_SPLIT: 0
	.section	.text._ZN7rocprim17ROCPRIM_400000_NS6detail17trampoline_kernelINS0_14default_configENS1_35adjacent_difference_config_selectorILb1ElEEZNS1_24adjacent_difference_implIS3_Lb1ELb0EPlS7_ZN2at6native12_GLOBAL__N_124unique_dim_cuda_templateIsEESt5tupleIJNS8_6TensorESD_SD_EERKSD_lbbbEUlllE1_EE10hipError_tPvRmT2_T3_mT4_P12ihipStream_tbEUlT_E_NS1_11comp_targetILNS1_3genE5ELNS1_11target_archE942ELNS1_3gpuE9ELNS1_3repE0EEENS1_30default_config_static_selectorELNS0_4arch9wavefront6targetE1EEEvT1_,"axG",@progbits,_ZN7rocprim17ROCPRIM_400000_NS6detail17trampoline_kernelINS0_14default_configENS1_35adjacent_difference_config_selectorILb1ElEEZNS1_24adjacent_difference_implIS3_Lb1ELb0EPlS7_ZN2at6native12_GLOBAL__N_124unique_dim_cuda_templateIsEESt5tupleIJNS8_6TensorESD_SD_EERKSD_lbbbEUlllE1_EE10hipError_tPvRmT2_T3_mT4_P12ihipStream_tbEUlT_E_NS1_11comp_targetILNS1_3genE5ELNS1_11target_archE942ELNS1_3gpuE9ELNS1_3repE0EEENS1_30default_config_static_selectorELNS0_4arch9wavefront6targetE1EEEvT1_,comdat
	.globl	_ZN7rocprim17ROCPRIM_400000_NS6detail17trampoline_kernelINS0_14default_configENS1_35adjacent_difference_config_selectorILb1ElEEZNS1_24adjacent_difference_implIS3_Lb1ELb0EPlS7_ZN2at6native12_GLOBAL__N_124unique_dim_cuda_templateIsEESt5tupleIJNS8_6TensorESD_SD_EERKSD_lbbbEUlllE1_EE10hipError_tPvRmT2_T3_mT4_P12ihipStream_tbEUlT_E_NS1_11comp_targetILNS1_3genE5ELNS1_11target_archE942ELNS1_3gpuE9ELNS1_3repE0EEENS1_30default_config_static_selectorELNS0_4arch9wavefront6targetE1EEEvT1_ ; -- Begin function _ZN7rocprim17ROCPRIM_400000_NS6detail17trampoline_kernelINS0_14default_configENS1_35adjacent_difference_config_selectorILb1ElEEZNS1_24adjacent_difference_implIS3_Lb1ELb0EPlS7_ZN2at6native12_GLOBAL__N_124unique_dim_cuda_templateIsEESt5tupleIJNS8_6TensorESD_SD_EERKSD_lbbbEUlllE1_EE10hipError_tPvRmT2_T3_mT4_P12ihipStream_tbEUlT_E_NS1_11comp_targetILNS1_3genE5ELNS1_11target_archE942ELNS1_3gpuE9ELNS1_3repE0EEENS1_30default_config_static_selectorELNS0_4arch9wavefront6targetE1EEEvT1_
	.p2align	8
	.type	_ZN7rocprim17ROCPRIM_400000_NS6detail17trampoline_kernelINS0_14default_configENS1_35adjacent_difference_config_selectorILb1ElEEZNS1_24adjacent_difference_implIS3_Lb1ELb0EPlS7_ZN2at6native12_GLOBAL__N_124unique_dim_cuda_templateIsEESt5tupleIJNS8_6TensorESD_SD_EERKSD_lbbbEUlllE1_EE10hipError_tPvRmT2_T3_mT4_P12ihipStream_tbEUlT_E_NS1_11comp_targetILNS1_3genE5ELNS1_11target_archE942ELNS1_3gpuE9ELNS1_3repE0EEENS1_30default_config_static_selectorELNS0_4arch9wavefront6targetE1EEEvT1_,@function
_ZN7rocprim17ROCPRIM_400000_NS6detail17trampoline_kernelINS0_14default_configENS1_35adjacent_difference_config_selectorILb1ElEEZNS1_24adjacent_difference_implIS3_Lb1ELb0EPlS7_ZN2at6native12_GLOBAL__N_124unique_dim_cuda_templateIsEESt5tupleIJNS8_6TensorESD_SD_EERKSD_lbbbEUlllE1_EE10hipError_tPvRmT2_T3_mT4_P12ihipStream_tbEUlT_E_NS1_11comp_targetILNS1_3genE5ELNS1_11target_archE942ELNS1_3gpuE9ELNS1_3repE0EEENS1_30default_config_static_selectorELNS0_4arch9wavefront6targetE1EEEvT1_: ; @_ZN7rocprim17ROCPRIM_400000_NS6detail17trampoline_kernelINS0_14default_configENS1_35adjacent_difference_config_selectorILb1ElEEZNS1_24adjacent_difference_implIS3_Lb1ELb0EPlS7_ZN2at6native12_GLOBAL__N_124unique_dim_cuda_templateIsEESt5tupleIJNS8_6TensorESD_SD_EERKSD_lbbbEUlllE1_EE10hipError_tPvRmT2_T3_mT4_P12ihipStream_tbEUlT_E_NS1_11comp_targetILNS1_3genE5ELNS1_11target_archE942ELNS1_3gpuE9ELNS1_3repE0EEENS1_30default_config_static_selectorELNS0_4arch9wavefront6targetE1EEEvT1_
; %bb.0:
	s_load_dwordx16 s[4:19], s[0:1], 0x0
	s_mov_b32 s1, 0x545d15a0
	v_bfrev_b32_e32 v1, 4
	s_movk_i32 s0, 0xb00
	s_mul_i32 s20, s2, 0xb00
	s_waitcnt lgkmcnt(0)
	s_lshl_b64 s[6:7], s[6:7], 3
	s_add_u32 s30, s4, s6
	s_addc_u32 s31, s5, s7
	s_add_u32 s1, 0x74, s1
	s_addc_u32 s4, 0, 0
	v_add_co_u32_e32 v1, vcc, s1, v1
	s_cmp_lg_u64 vcc, 0
	v_readfirstlane_b32 s5, v1
	s_addc_u32 s1, s4, 0x1745d1
	s_mul_hi_u32 s21, s5, 0xfffff500
	s_mul_i32 s4, s1, 0xfffff500
	s_sub_i32 s21, s21, s5
	s_add_i32 s21, s21, s4
	s_mul_i32 s23, s5, 0xfffff500
	s_mul_hi_u32 s4, s5, s21
	s_mul_i32 s22, s5, s21
	s_mul_hi_u32 s5, s5, s23
	s_add_u32 s5, s5, s22
	s_addc_u32 s4, 0, s4
	s_mul_hi_u32 s24, s1, s23
	s_mul_i32 s23, s1, s23
	s_add_u32 s5, s5, s23
	s_mul_hi_u32 s22, s1, s21
	s_addc_u32 s4, s4, s24
	s_addc_u32 s5, s22, 0
	s_mul_i32 s21, s1, s21
	s_add_u32 s4, s4, s21
	s_addc_u32 s5, 0, s5
	v_add_co_u32_e32 v1, vcc, s4, v1
	s_cmp_lg_u64 vcc, 0
	s_addc_u32 s1, s1, s5
	v_readfirstlane_b32 s21, v1
	s_mul_i32 s5, s10, s1
	s_mul_hi_u32 s22, s10, s21
	s_mul_hi_u32 s4, s10, s1
	s_add_u32 s5, s22, s5
	s_addc_u32 s4, 0, s4
	s_mul_hi_u32 s23, s11, s21
	s_mul_i32 s21, s11, s21
	s_add_u32 s5, s5, s21
	s_mul_hi_u32 s22, s11, s1
	s_addc_u32 s4, s4, s23
	s_addc_u32 s5, s22, 0
	s_mul_i32 s1, s11, s1
	s_add_u32 s1, s4, s1
	s_addc_u32 s4, 0, s5
	s_add_u32 s5, s1, 1
	s_addc_u32 s21, s4, 0
	s_add_u32 s22, s1, 2
	s_mul_i32 s24, s4, 0xb00
	s_mul_hi_u32 s25, s1, 0xb00
	s_addc_u32 s23, s4, 0
	s_add_i32 s25, s25, s24
	s_mul_i32 s24, s1, 0xb00
	v_mov_b32_e32 v1, s24
	v_sub_co_u32_e32 v1, vcc, s10, v1
	s_cmp_lg_u64 vcc, 0
	s_subb_u32 s24, s11, s25
	v_subrev_co_u32_e32 v2, vcc, s0, v1
	s_cmp_lg_u64 vcc, 0
	s_subb_u32 s0, s24, 0
	v_readfirstlane_b32 s25, v2
	s_cmpk_gt_u32 s25, 0xaff
	s_cselect_b32 s25, -1, 0
	s_cmp_eq_u32 s0, 0
	s_cselect_b32 s0, s25, -1
	s_cmp_lg_u32 s0, 0
	s_cselect_b32 s0, s22, s5
	s_cselect_b32 s5, s23, s21
	v_readfirstlane_b32 s21, v1
	s_cmpk_gt_u32 s21, 0xaff
	s_cselect_b32 s21, -1, 0
	s_cmp_eq_u32 s24, 0
	s_cselect_b32 s21, s21, -1
	s_cmp_lg_u32 s21, 0
	s_cselect_b32 s5, s5, s4
	s_cselect_b32 s4, s0, s1
	s_mul_i32 s0, s5, 0xb00
	s_mul_hi_u32 s1, s4, 0xb00
	s_add_i32 s1, s1, s0
	s_mul_i32 s0, s4, 0xb00
	s_sub_u32 s0, s10, s0
	s_subb_u32 s1, s11, s1
	s_cmp_lg_u64 s[0:1], 0
	s_cselect_b64 s[0:1], -1, 0
	v_cndmask_b32_e64 v1, 0, 1, s[0:1]
	s_mov_b32 s3, 0
	v_readfirstlane_b32 s0, v1
	s_add_u32 s4, s4, s0
	s_addc_u32 s5, s5, 0
	s_add_u32 s24, s18, s2
	s_addc_u32 s25, s19, 0
	s_add_u32 s26, s4, -1
	s_addc_u32 s27, s5, -1
	v_mov_b64_e32 v[2:3], s[26:27]
	v_cmp_ge_u64_e64 s[0:1], s[24:25], v[2:3]
	s_mov_b64 s[22:23], -1
	s_and_b64 vcc, exec, s[0:1]
	s_mul_i32 s11, s26, 0xfffff500
	s_cbranch_vccz .LBB684_24
; %bb.1:
	s_mov_b32 s21, s3
	s_add_i32 s33, s11, s10
	s_lshl_b64 s[22:23], s[20:21], 3
	s_add_u32 s22, s30, s22
	s_addc_u32 s23, s31, s23
	v_cmp_gt_u32_e32 vcc, s33, v0
                                        ; implicit-def: $vgpr2_vgpr3_vgpr4_vgpr5_vgpr6_vgpr7_vgpr8_vgpr9_vgpr10_vgpr11_vgpr12_vgpr13_vgpr14_vgpr15_vgpr16_vgpr17_vgpr18_vgpr19_vgpr20_vgpr21_vgpr22_vgpr23_vgpr24_vgpr25_vgpr26_vgpr27_vgpr28_vgpr29_vgpr30_vgpr31_vgpr32_vgpr33
	s_and_saveexec_b64 s[28:29], vcc
	s_cbranch_execz .LBB684_3
; %bb.2:
	v_lshlrev_b32_e32 v1, 3, v0
	global_load_dwordx2 v[2:3], v1, s[22:23]
.LBB684_3:
	s_or_b64 exec, exec, s[28:29]
	v_or_b32_e32 v1, 0x100, v0
	v_cmp_gt_u32_e32 vcc, s33, v1
	s_and_saveexec_b64 s[28:29], vcc
	s_cbranch_execz .LBB684_5
; %bb.4:
	v_lshlrev_b32_e32 v1, 3, v0
	global_load_dwordx2 v[4:5], v1, s[22:23] offset:2048
.LBB684_5:
	s_or_b64 exec, exec, s[28:29]
	v_or_b32_e32 v1, 0x200, v0
	v_cmp_gt_u32_e32 vcc, s33, v1
	s_and_saveexec_b64 s[28:29], vcc
	s_cbranch_execz .LBB684_7
; %bb.6:
	v_lshlrev_b32_e32 v1, 3, v1
	global_load_dwordx2 v[6:7], v1, s[22:23]
.LBB684_7:
	s_or_b64 exec, exec, s[28:29]
	v_or_b32_e32 v1, 0x300, v0
	v_cmp_gt_u32_e32 vcc, s33, v1
	s_and_saveexec_b64 s[28:29], vcc
	s_cbranch_execz .LBB684_9
; %bb.8:
	v_lshlrev_b32_e32 v1, 3, v1
	global_load_dwordx2 v[8:9], v1, s[22:23]
.LBB684_9:
	;; [unrolled: 9-line block ×9, first 2 shown]
	s_or_b64 exec, exec, s[28:29]
	v_lshlrev_b32_e32 v1, 3, v0
	s_mov_b64 s[22:23], 0
	s_waitcnt vmcnt(0)
	ds_write2st64_b64 v1, v[2:3], v[4:5] offset1:4
	ds_write2st64_b64 v1, v[6:7], v[8:9] offset0:8 offset1:12
	ds_write2st64_b64 v1, v[10:11], v[12:13] offset0:16 offset1:20
	ds_write2st64_b64 v1, v[14:15], v[16:17] offset0:24 offset1:28
	ds_write2st64_b64 v1, v[18:19], v[20:21] offset0:32 offset1:36
	ds_write_b64 v1, v[22:23] offset:20480
	s_waitcnt lgkmcnt(0)
	s_barrier
.LBB684_24:
	s_and_b64 vcc, exec, s[22:23]
	v_lshlrev_b32_e32 v40, 3, v0
	s_cbranch_vccz .LBB684_26
; %bb.25:
	s_mov_b32 s21, 0
	s_lshl_b64 s[22:23], s[20:21], 3
	s_add_u32 s22, s30, s22
	s_addc_u32 s23, s31, s23
	v_mov_b32_e32 v41, 0
	v_lshl_add_u64 v[2:3], s[22:23], 0, v[40:41]
	v_add_co_u32_e32 v8, vcc, 0x1000, v2
	global_load_dwordx2 v[4:5], v40, s[22:23]
	global_load_dwordx2 v[6:7], v40, s[22:23] offset:2048
	v_addc_co_u32_e32 v9, vcc, 0, v3, vcc
	v_add_co_u32_e32 v10, vcc, 0x2000, v2
	s_nop 1
	v_addc_co_u32_e32 v11, vcc, 0, v3, vcc
	global_load_dwordx2 v[12:13], v[8:9], off
	global_load_dwordx2 v[14:15], v[8:9], off offset:2048
	global_load_dwordx2 v[16:17], v[10:11], off
	global_load_dwordx2 v[18:19], v[10:11], off offset:2048
	v_add_co_u32_e32 v8, vcc, 0x3000, v2
	s_nop 1
	v_addc_co_u32_e32 v9, vcc, 0, v3, vcc
	v_add_co_u32_e32 v10, vcc, 0x4000, v2
	s_nop 1
	v_addc_co_u32_e32 v11, vcc, 0, v3, vcc
	global_load_dwordx2 v[20:21], v[8:9], off
	global_load_dwordx2 v[22:23], v[8:9], off offset:2048
	global_load_dwordx2 v[24:25], v[10:11], off
	global_load_dwordx2 v[26:27], v[10:11], off offset:2048
	v_add_co_u32_e32 v2, vcc, 0x5000, v2
	s_nop 1
	v_addc_co_u32_e32 v3, vcc, 0, v3, vcc
	global_load_dwordx2 v[2:3], v[2:3], off
	s_waitcnt vmcnt(9)
	ds_write2st64_b64 v40, v[4:5], v[6:7] offset1:4
	s_waitcnt vmcnt(7)
	ds_write2st64_b64 v40, v[12:13], v[14:15] offset0:8 offset1:12
	s_waitcnt vmcnt(5)
	ds_write2st64_b64 v40, v[16:17], v[18:19] offset0:16 offset1:20
	;; [unrolled: 2-line block ×4, first 2 shown]
	s_waitcnt vmcnt(0)
	ds_write_b64 v40, v[2:3] offset:20480
	s_waitcnt lgkmcnt(0)
	s_barrier
.LBB684_26:
	v_mul_u32_u24_e32 v1, 11, v0
	v_lshlrev_b32_e32 v1, 3, v1
	ds_read2_b64 v[2:5], v1 offset1:1
	ds_read2_b64 v[6:9], v1 offset0:2 offset1:3
	ds_read2_b64 v[10:13], v1 offset0:4 offset1:5
	;; [unrolled: 1-line block ×4, first 2 shown]
	ds_read_b64 v[36:37], v1 offset:80
	s_cmp_eq_u64 s[24:25], 0
	s_mov_b64 s[22:23], 0
	s_waitcnt lgkmcnt(0)
	s_barrier
	s_cbranch_scc1 .LBB684_35
; %bb.27:
	s_lshl_b64 s[18:19], s[18:19], 3
	s_add_u32 s16, s16, s18
	s_addc_u32 s17, s17, s19
	s_lshl_b64 s[2:3], s[2:3], 3
	s_add_u32 s2, s16, s2
	s_addc_u32 s3, s17, s3
	s_add_u32 s2, s2, -8
	s_addc_u32 s3, s3, -1
	s_load_dwordx2 s[16:17], s[2:3], 0x0
	s_cmp_lg_u64 s[24:25], s[26:27]
	s_cbranch_scc0 .LBB684_36
; %bb.28:
	v_mul_lo_u32 v1, v21, s12
	v_mul_lo_u32 v24, v20, s13
	v_mad_u64_u32 v[22:23], s[22:23], v20, s12, 0
	v_mov_b64_e32 v[38:39], 0
	v_cmp_lt_i64_e64 s[2:3], s[12:13], 1
	v_add3_u32 v23, v23, v24, v1
	v_cmp_gt_i64_e64 s[18:19], s[12:13], 0
	s_and_b64 vcc, exec, s[2:3]
	v_lshl_add_u64 v[22:23], v[22:23], 1, s[14:15]
	v_mov_b64_e32 v[42:43], v[38:39]
	ds_write_b64 v40, v[36:37]
	s_cbranch_vccnz .LBB684_40
; %bb.29:
	v_mul_lo_u32 v1, v37, s12
	v_mul_lo_u32 v26, v36, s13
	v_mad_u64_u32 v[24:25], s[2:3], v36, s12, 0
	v_add3_u32 v25, v25, v26, v1
	v_lshl_add_u64 v[26:27], v[24:25], 1, s[14:15]
	global_load_ushort v1, v[26:27], off
	global_load_ushort v24, v[22:23], off
	v_mov_b64_e32 v[42:43], 1
	s_waitcnt vmcnt(0)
	v_cmp_eq_u16_e32 vcc, v1, v24
	s_and_saveexec_b64 s[2:3], vcc
	s_cbranch_execz .LBB684_39
; %bb.30:
	s_add_u32 s22, s12, -1
	v_lshl_add_u64 v[24:25], v[22:23], 0, 2
	v_lshl_add_u64 v[26:27], v[26:27], 0, 2
	s_addc_u32 s23, s13, -1
	s_mov_b64 s[26:27], 0
	s_mov_b64 s[30:31], 0
                                        ; implicit-def: $sgpr28_sgpr29
	s_branch .LBB684_33
.LBB684_31:                             ;   in Loop: Header=BB684_33 Depth=1
	global_load_ushort v1, v[26:27], off
	global_load_ushort v28, v[24:25], off
	s_add_u32 s30, s30, 1
	s_addc_u32 s31, s31, 0
	s_andn2_b64 s[28:29], s[28:29], exec
	v_lshl_add_u64 v[24:25], v[24:25], 0, 2
	v_lshl_add_u64 v[26:27], v[26:27], 0, 2
	s_waitcnt vmcnt(0)
	v_cmp_ne_u16_e32 vcc, v1, v28
	s_and_b64 s[34:35], vcc, exec
	s_or_b64 s[28:29], s[28:29], s[34:35]
.LBB684_32:                             ;   in Loop: Header=BB684_33 Depth=1
	s_and_b64 s[34:35], exec, s[28:29]
	s_or_b64 s[26:27], s[34:35], s[26:27]
	v_mov_b64_e32 v[28:29], s[30:31]
	s_andn2_b64 exec, exec, s[26:27]
	s_cbranch_execz .LBB684_38
.LBB684_33:                             ; =>This Inner Loop Header: Depth=1
	s_or_b64 s[28:29], s[28:29], exec
	s_cmp_eq_u64 s[22:23], s[30:31]
	s_cbranch_scc0 .LBB684_31
; %bb.34:                               ;   in Loop: Header=BB684_33 Depth=1
                                        ; implicit-def: $vgpr24_vgpr25
                                        ; implicit-def: $vgpr26_vgpr27
	s_mov_b64 s[30:31], s[12:13]
	s_branch .LBB684_32
.LBB684_35:
                                        ; implicit-def: $vgpr22_vgpr23_vgpr24_vgpr25
                                        ; implicit-def: $sgpr18_sgpr19
                                        ; implicit-def: $vgpr42_vgpr43
                                        ; implicit-def: $vgpr44_vgpr45
                                        ; implicit-def: $vgpr38_vgpr39
                                        ; implicit-def: $vgpr58_vgpr59
                                        ; implicit-def: $vgpr56_vgpr57
                                        ; implicit-def: $vgpr54_vgpr55
                                        ; implicit-def: $vgpr52_vgpr53
                                        ; implicit-def: $vgpr50_vgpr51
                                        ; implicit-def: $vgpr48_vgpr49
                                        ; implicit-def: $vgpr46_vgpr47
                                        ; implicit-def: $vgpr60_vgpr61
                                        ; implicit-def: $vgpr68_vgpr69
                                        ; implicit-def: $vgpr62_vgpr63
                                        ; implicit-def: $vgpr64_vgpr65
                                        ; implicit-def: $vgpr66_vgpr67
                                        ; implicit-def: $vgpr24_vgpr25_vgpr26_vgpr27
                                        ; implicit-def: $vgpr28_vgpr29_vgpr30_vgpr31
                                        ; implicit-def: $vgpr32_vgpr33_vgpr34_vgpr35
	s_cbranch_execnz .LBB684_259
	s_branch .LBB684_488
.LBB684_36:
                                        ; implicit-def: $sgpr18_sgpr19
                                        ; implicit-def: $vgpr42_vgpr43
                                        ; implicit-def: $vgpr44_vgpr45
                                        ; implicit-def: $vgpr38_vgpr39
                                        ; implicit-def: $vgpr58_vgpr59
                                        ; implicit-def: $vgpr56_vgpr57
                                        ; implicit-def: $vgpr54_vgpr55
                                        ; implicit-def: $vgpr52_vgpr53
                                        ; implicit-def: $vgpr50_vgpr51
                                        ; implicit-def: $vgpr48_vgpr49
                                        ; implicit-def: $vgpr46_vgpr47
	s_cbranch_execnz .LBB684_134
.LBB684_37:
                                        ; implicit-def: $vgpr22_vgpr23_vgpr24_vgpr25
                                        ; implicit-def: $vgpr60_vgpr61
                                        ; implicit-def: $vgpr68_vgpr69
                                        ; implicit-def: $vgpr62_vgpr63
                                        ; implicit-def: $vgpr64_vgpr65
                                        ; implicit-def: $vgpr66_vgpr67
                                        ; implicit-def: $vgpr28_vgpr29_vgpr30_vgpr31
                                        ; implicit-def: $vgpr32_vgpr33_vgpr34_vgpr35
                                        ; implicit-def: $vgpr24_vgpr25_vgpr26_vgpr27
	s_branch .LBB684_488
.LBB684_38:
	s_or_b64 exec, exec, s[26:27]
	v_cmp_gt_i64_e32 vcc, s[12:13], v[28:29]
	s_mov_b32 s21, 0
	v_mov_b32_e32 v43, s21
	v_cndmask_b32_e64 v42, 0, 1, vcc
.LBB684_39:
	s_or_b64 exec, exec, s[2:3]
.LBB684_40:
	v_mul_lo_u32 v1, v19, s12
	v_mul_lo_u32 v26, v18, s13
	v_mad_u64_u32 v[24:25], s[2:3], v18, s12, 0
	v_add3_u32 v25, v25, v26, v1
	v_cndmask_b32_e64 v1, 0, 1, s[18:19]
	v_cmp_ne_u32_e64 s[2:3], 1, v1
	s_andn2_b64 vcc, exec, s[18:19]
	v_lshl_add_u64 v[24:25], v[24:25], 1, s[14:15]
	v_mov_b64_e32 v[44:45], v[38:39]
	s_cbranch_vccnz .LBB684_49
; %bb.41:
	global_load_ushort v1, v[22:23], off
	global_load_ushort v26, v[24:25], off
	v_mov_b64_e32 v[44:45], 1
	s_waitcnt vmcnt(0)
	v_cmp_eq_u16_e32 vcc, v1, v26
	s_and_saveexec_b64 s[18:19], vcc
	s_cbranch_execz .LBB684_48
; %bb.42:
	s_add_u32 s22, s12, -1
	v_lshl_add_u64 v[26:27], v[24:25], 0, 2
	v_lshl_add_u64 v[22:23], v[22:23], 0, 2
	s_addc_u32 s23, s13, -1
	s_mov_b64 s[26:27], 0
	s_mov_b64 s[30:31], 0
                                        ; implicit-def: $sgpr28_sgpr29
	s_branch .LBB684_45
.LBB684_43:                             ;   in Loop: Header=BB684_45 Depth=1
	global_load_ushort v1, v[22:23], off
	global_load_ushort v28, v[26:27], off
	s_add_u32 s30, s30, 1
	s_addc_u32 s31, s31, 0
	s_andn2_b64 s[28:29], s[28:29], exec
	v_lshl_add_u64 v[26:27], v[26:27], 0, 2
	v_lshl_add_u64 v[22:23], v[22:23], 0, 2
	s_waitcnt vmcnt(0)
	v_cmp_ne_u16_e32 vcc, v1, v28
	s_and_b64 s[34:35], vcc, exec
	s_or_b64 s[28:29], s[28:29], s[34:35]
.LBB684_44:                             ;   in Loop: Header=BB684_45 Depth=1
	s_and_b64 s[34:35], exec, s[28:29]
	s_or_b64 s[26:27], s[34:35], s[26:27]
	v_mov_b64_e32 v[28:29], s[30:31]
	s_andn2_b64 exec, exec, s[26:27]
	s_cbranch_execz .LBB684_47
.LBB684_45:                             ; =>This Inner Loop Header: Depth=1
	s_or_b64 s[28:29], s[28:29], exec
	s_cmp_eq_u64 s[22:23], s[30:31]
	s_cbranch_scc0 .LBB684_43
; %bb.46:                               ;   in Loop: Header=BB684_45 Depth=1
                                        ; implicit-def: $vgpr26_vgpr27
                                        ; implicit-def: $vgpr22_vgpr23
	s_mov_b64 s[30:31], s[12:13]
	s_branch .LBB684_44
.LBB684_47:
	s_or_b64 exec, exec, s[26:27]
	v_cmp_gt_i64_e32 vcc, s[12:13], v[28:29]
	s_mov_b32 s21, 0
	v_mov_b32_e32 v45, s21
	v_cndmask_b32_e64 v44, 0, 1, vcc
.LBB684_48:
	s_or_b64 exec, exec, s[18:19]
.LBB684_49:
	v_mul_lo_u32 v1, v17, s12
	v_mul_lo_u32 v26, v16, s13
	v_mad_u64_u32 v[22:23], s[18:19], v16, s12, 0
	v_add3_u32 v23, v23, v26, v1
	s_and_b64 vcc, exec, s[2:3]
	v_lshl_add_u64 v[22:23], v[22:23], 1, s[14:15]
	s_cbranch_vccnz .LBB684_58
; %bb.50:
	global_load_ushort v1, v[24:25], off
	global_load_ushort v26, v[22:23], off
	v_mov_b64_e32 v[38:39], 1
	s_waitcnt vmcnt(0)
	v_cmp_eq_u16_e32 vcc, v1, v26
	s_and_saveexec_b64 s[18:19], vcc
	s_cbranch_execz .LBB684_57
; %bb.51:
	s_add_u32 s22, s12, -1
	v_lshl_add_u64 v[26:27], v[22:23], 0, 2
	v_lshl_add_u64 v[24:25], v[24:25], 0, 2
	s_addc_u32 s23, s13, -1
	s_mov_b64 s[26:27], 0
	s_mov_b64 s[30:31], 0
                                        ; implicit-def: $sgpr28_sgpr29
	s_branch .LBB684_54
.LBB684_52:                             ;   in Loop: Header=BB684_54 Depth=1
	global_load_ushort v1, v[24:25], off
	global_load_ushort v28, v[26:27], off
	s_add_u32 s30, s30, 1
	s_addc_u32 s31, s31, 0
	s_andn2_b64 s[28:29], s[28:29], exec
	v_lshl_add_u64 v[26:27], v[26:27], 0, 2
	v_lshl_add_u64 v[24:25], v[24:25], 0, 2
	s_waitcnt vmcnt(0)
	v_cmp_ne_u16_e32 vcc, v1, v28
	s_and_b64 s[34:35], vcc, exec
	s_or_b64 s[28:29], s[28:29], s[34:35]
.LBB684_53:                             ;   in Loop: Header=BB684_54 Depth=1
	s_and_b64 s[34:35], exec, s[28:29]
	s_or_b64 s[26:27], s[34:35], s[26:27]
	v_mov_b64_e32 v[28:29], s[30:31]
	s_andn2_b64 exec, exec, s[26:27]
	s_cbranch_execz .LBB684_56
.LBB684_54:                             ; =>This Inner Loop Header: Depth=1
	s_or_b64 s[28:29], s[28:29], exec
	s_cmp_eq_u64 s[22:23], s[30:31]
	s_cbranch_scc0 .LBB684_52
; %bb.55:                               ;   in Loop: Header=BB684_54 Depth=1
                                        ; implicit-def: $vgpr26_vgpr27
                                        ; implicit-def: $vgpr24_vgpr25
	s_mov_b64 s[30:31], s[12:13]
	s_branch .LBB684_53
.LBB684_56:
	s_or_b64 exec, exec, s[26:27]
	v_cmp_gt_i64_e32 vcc, s[12:13], v[28:29]
	s_mov_b32 s21, 0
	v_mov_b32_e32 v39, s21
	v_cndmask_b32_e64 v38, 0, 1, vcc
.LBB684_57:
	s_or_b64 exec, exec, s[18:19]
.LBB684_58:
	v_mul_lo_u32 v1, v15, s12
	v_mul_lo_u32 v26, v14, s13
	v_mad_u64_u32 v[24:25], s[18:19], v14, s12, 0
	v_add3_u32 v25, v25, v26, v1
	v_mov_b64_e32 v[48:49], 0
	s_and_b64 vcc, exec, s[2:3]
	v_lshl_add_u64 v[24:25], v[24:25], 1, s[14:15]
	v_mov_b64_e32 v[46:47], v[48:49]
	s_cbranch_vccnz .LBB684_67
; %bb.59:
	global_load_ushort v1, v[22:23], off
	global_load_ushort v26, v[24:25], off
	v_mov_b64_e32 v[46:47], 1
	s_waitcnt vmcnt(0)
	v_cmp_eq_u16_e32 vcc, v1, v26
	s_and_saveexec_b64 s[18:19], vcc
	s_cbranch_execz .LBB684_66
; %bb.60:
	s_add_u32 s22, s12, -1
	v_lshl_add_u64 v[26:27], v[24:25], 0, 2
	v_lshl_add_u64 v[22:23], v[22:23], 0, 2
	s_addc_u32 s23, s13, -1
	s_mov_b64 s[26:27], 0
	s_mov_b64 s[30:31], 0
                                        ; implicit-def: $sgpr28_sgpr29
	s_branch .LBB684_63
.LBB684_61:                             ;   in Loop: Header=BB684_63 Depth=1
	global_load_ushort v1, v[22:23], off
	global_load_ushort v28, v[26:27], off
	s_add_u32 s30, s30, 1
	s_addc_u32 s31, s31, 0
	s_andn2_b64 s[28:29], s[28:29], exec
	v_lshl_add_u64 v[26:27], v[26:27], 0, 2
	v_lshl_add_u64 v[22:23], v[22:23], 0, 2
	s_waitcnt vmcnt(0)
	v_cmp_ne_u16_e32 vcc, v1, v28
	s_and_b64 s[34:35], vcc, exec
	s_or_b64 s[28:29], s[28:29], s[34:35]
.LBB684_62:                             ;   in Loop: Header=BB684_63 Depth=1
	s_and_b64 s[34:35], exec, s[28:29]
	s_or_b64 s[26:27], s[34:35], s[26:27]
	v_mov_b64_e32 v[28:29], s[30:31]
	s_andn2_b64 exec, exec, s[26:27]
	s_cbranch_execz .LBB684_65
.LBB684_63:                             ; =>This Inner Loop Header: Depth=1
	s_or_b64 s[28:29], s[28:29], exec
	s_cmp_eq_u64 s[22:23], s[30:31]
	s_cbranch_scc0 .LBB684_61
; %bb.64:                               ;   in Loop: Header=BB684_63 Depth=1
                                        ; implicit-def: $vgpr26_vgpr27
                                        ; implicit-def: $vgpr22_vgpr23
	s_mov_b64 s[30:31], s[12:13]
	s_branch .LBB684_62
.LBB684_65:
	s_or_b64 exec, exec, s[26:27]
	v_cmp_gt_i64_e32 vcc, s[12:13], v[28:29]
	s_mov_b32 s21, 0
	v_mov_b32_e32 v47, s21
	v_cndmask_b32_e64 v46, 0, 1, vcc
.LBB684_66:
	s_or_b64 exec, exec, s[18:19]
.LBB684_67:
	v_mul_lo_u32 v1, v13, s12
	v_mul_lo_u32 v26, v12, s13
	v_mad_u64_u32 v[22:23], s[18:19], v12, s12, 0
	v_add3_u32 v23, v23, v26, v1
	s_and_b64 vcc, exec, s[2:3]
	v_lshl_add_u64 v[22:23], v[22:23], 1, s[14:15]
	s_cbranch_vccnz .LBB684_76
; %bb.68:
	global_load_ushort v1, v[24:25], off
	global_load_ushort v26, v[22:23], off
	v_mov_b64_e32 v[48:49], 1
	s_waitcnt vmcnt(0)
	v_cmp_eq_u16_e32 vcc, v1, v26
	s_and_saveexec_b64 s[18:19], vcc
	s_cbranch_execz .LBB684_75
; %bb.69:
	s_add_u32 s22, s12, -1
	v_lshl_add_u64 v[26:27], v[22:23], 0, 2
	v_lshl_add_u64 v[24:25], v[24:25], 0, 2
	s_addc_u32 s23, s13, -1
	s_mov_b64 s[26:27], 0
	s_mov_b64 s[30:31], 0
                                        ; implicit-def: $sgpr28_sgpr29
	s_branch .LBB684_72
.LBB684_70:                             ;   in Loop: Header=BB684_72 Depth=1
	global_load_ushort v1, v[24:25], off
	global_load_ushort v28, v[26:27], off
	s_add_u32 s30, s30, 1
	s_addc_u32 s31, s31, 0
	s_andn2_b64 s[28:29], s[28:29], exec
	v_lshl_add_u64 v[26:27], v[26:27], 0, 2
	v_lshl_add_u64 v[24:25], v[24:25], 0, 2
	s_waitcnt vmcnt(0)
	v_cmp_ne_u16_e32 vcc, v1, v28
	s_and_b64 s[34:35], vcc, exec
	s_or_b64 s[28:29], s[28:29], s[34:35]
.LBB684_71:                             ;   in Loop: Header=BB684_72 Depth=1
	s_and_b64 s[34:35], exec, s[28:29]
	s_or_b64 s[26:27], s[34:35], s[26:27]
	v_mov_b64_e32 v[28:29], s[30:31]
	s_andn2_b64 exec, exec, s[26:27]
	s_cbranch_execz .LBB684_74
.LBB684_72:                             ; =>This Inner Loop Header: Depth=1
	s_or_b64 s[28:29], s[28:29], exec
	s_cmp_eq_u64 s[22:23], s[30:31]
	s_cbranch_scc0 .LBB684_70
; %bb.73:                               ;   in Loop: Header=BB684_72 Depth=1
                                        ; implicit-def: $vgpr26_vgpr27
                                        ; implicit-def: $vgpr24_vgpr25
	s_mov_b64 s[30:31], s[12:13]
	s_branch .LBB684_71
.LBB684_74:
	s_or_b64 exec, exec, s[26:27]
	v_cmp_gt_i64_e32 vcc, s[12:13], v[28:29]
	s_mov_b32 s21, 0
	v_mov_b32_e32 v49, s21
	v_cndmask_b32_e64 v48, 0, 1, vcc
.LBB684_75:
	s_or_b64 exec, exec, s[18:19]
.LBB684_76:
	v_mul_lo_u32 v1, v11, s12
	v_mul_lo_u32 v26, v10, s13
	v_mad_u64_u32 v[24:25], s[18:19], v10, s12, 0
	v_add3_u32 v25, v25, v26, v1
	v_mov_b64_e32 v[52:53], 0
	s_and_b64 vcc, exec, s[2:3]
	v_lshl_add_u64 v[24:25], v[24:25], 1, s[14:15]
	v_mov_b64_e32 v[50:51], v[52:53]
	s_cbranch_vccnz .LBB684_85
; %bb.77:
	global_load_ushort v1, v[22:23], off
	global_load_ushort v26, v[24:25], off
	v_mov_b64_e32 v[50:51], 1
	s_waitcnt vmcnt(0)
	v_cmp_eq_u16_e32 vcc, v1, v26
	s_and_saveexec_b64 s[18:19], vcc
	s_cbranch_execz .LBB684_84
; %bb.78:
	s_add_u32 s22, s12, -1
	v_lshl_add_u64 v[26:27], v[24:25], 0, 2
	v_lshl_add_u64 v[22:23], v[22:23], 0, 2
	s_addc_u32 s23, s13, -1
	s_mov_b64 s[26:27], 0
	s_mov_b64 s[30:31], 0
                                        ; implicit-def: $sgpr28_sgpr29
	s_branch .LBB684_81
.LBB684_79:                             ;   in Loop: Header=BB684_81 Depth=1
	global_load_ushort v1, v[22:23], off
	global_load_ushort v28, v[26:27], off
	s_add_u32 s30, s30, 1
	s_addc_u32 s31, s31, 0
	s_andn2_b64 s[28:29], s[28:29], exec
	v_lshl_add_u64 v[26:27], v[26:27], 0, 2
	v_lshl_add_u64 v[22:23], v[22:23], 0, 2
	s_waitcnt vmcnt(0)
	v_cmp_ne_u16_e32 vcc, v1, v28
	s_and_b64 s[34:35], vcc, exec
	s_or_b64 s[28:29], s[28:29], s[34:35]
.LBB684_80:                             ;   in Loop: Header=BB684_81 Depth=1
	s_and_b64 s[34:35], exec, s[28:29]
	s_or_b64 s[26:27], s[34:35], s[26:27]
	v_mov_b64_e32 v[28:29], s[30:31]
	s_andn2_b64 exec, exec, s[26:27]
	s_cbranch_execz .LBB684_83
.LBB684_81:                             ; =>This Inner Loop Header: Depth=1
	s_or_b64 s[28:29], s[28:29], exec
	s_cmp_eq_u64 s[22:23], s[30:31]
	s_cbranch_scc0 .LBB684_79
; %bb.82:                               ;   in Loop: Header=BB684_81 Depth=1
                                        ; implicit-def: $vgpr26_vgpr27
                                        ; implicit-def: $vgpr22_vgpr23
	s_mov_b64 s[30:31], s[12:13]
	s_branch .LBB684_80
.LBB684_83:
	s_or_b64 exec, exec, s[26:27]
	v_cmp_gt_i64_e32 vcc, s[12:13], v[28:29]
	s_mov_b32 s21, 0
	v_mov_b32_e32 v51, s21
	v_cndmask_b32_e64 v50, 0, 1, vcc
.LBB684_84:
	s_or_b64 exec, exec, s[18:19]
.LBB684_85:
	v_mul_lo_u32 v1, v9, s12
	v_mul_lo_u32 v26, v8, s13
	v_mad_u64_u32 v[22:23], s[18:19], v8, s12, 0
	v_add3_u32 v23, v23, v26, v1
	s_and_b64 vcc, exec, s[2:3]
	v_lshl_add_u64 v[22:23], v[22:23], 1, s[14:15]
	s_cbranch_vccnz .LBB684_94
; %bb.86:
	global_load_ushort v1, v[24:25], off
	global_load_ushort v26, v[22:23], off
	v_mov_b64_e32 v[52:53], 1
	s_waitcnt vmcnt(0)
	v_cmp_eq_u16_e32 vcc, v1, v26
	s_and_saveexec_b64 s[18:19], vcc
	s_cbranch_execz .LBB684_93
; %bb.87:
	s_add_u32 s22, s12, -1
	v_lshl_add_u64 v[26:27], v[22:23], 0, 2
	v_lshl_add_u64 v[24:25], v[24:25], 0, 2
	s_addc_u32 s23, s13, -1
	s_mov_b64 s[26:27], 0
	s_mov_b64 s[30:31], 0
                                        ; implicit-def: $sgpr28_sgpr29
	s_branch .LBB684_90
.LBB684_88:                             ;   in Loop: Header=BB684_90 Depth=1
	global_load_ushort v1, v[24:25], off
	global_load_ushort v28, v[26:27], off
	s_add_u32 s30, s30, 1
	s_addc_u32 s31, s31, 0
	s_andn2_b64 s[28:29], s[28:29], exec
	v_lshl_add_u64 v[26:27], v[26:27], 0, 2
	v_lshl_add_u64 v[24:25], v[24:25], 0, 2
	s_waitcnt vmcnt(0)
	v_cmp_ne_u16_e32 vcc, v1, v28
	s_and_b64 s[34:35], vcc, exec
	s_or_b64 s[28:29], s[28:29], s[34:35]
.LBB684_89:                             ;   in Loop: Header=BB684_90 Depth=1
	s_and_b64 s[34:35], exec, s[28:29]
	s_or_b64 s[26:27], s[34:35], s[26:27]
	v_mov_b64_e32 v[28:29], s[30:31]
	s_andn2_b64 exec, exec, s[26:27]
	s_cbranch_execz .LBB684_92
.LBB684_90:                             ; =>This Inner Loop Header: Depth=1
	s_or_b64 s[28:29], s[28:29], exec
	s_cmp_eq_u64 s[22:23], s[30:31]
	s_cbranch_scc0 .LBB684_88
; %bb.91:                               ;   in Loop: Header=BB684_90 Depth=1
                                        ; implicit-def: $vgpr26_vgpr27
                                        ; implicit-def: $vgpr24_vgpr25
	s_mov_b64 s[30:31], s[12:13]
	s_branch .LBB684_89
.LBB684_92:
	s_or_b64 exec, exec, s[26:27]
	v_cmp_gt_i64_e32 vcc, s[12:13], v[28:29]
	s_mov_b32 s21, 0
	v_mov_b32_e32 v53, s21
	v_cndmask_b32_e64 v52, 0, 1, vcc
.LBB684_93:
	s_or_b64 exec, exec, s[18:19]
.LBB684_94:
	v_mul_lo_u32 v1, v7, s12
	v_mul_lo_u32 v26, v6, s13
	v_mad_u64_u32 v[24:25], s[18:19], v6, s12, 0
	v_add3_u32 v25, v25, v26, v1
	v_mov_b64_e32 v[56:57], 0
	s_and_b64 vcc, exec, s[2:3]
	v_lshl_add_u64 v[24:25], v[24:25], 1, s[14:15]
	v_mov_b64_e32 v[54:55], v[56:57]
	s_cbranch_vccnz .LBB684_103
; %bb.95:
	global_load_ushort v1, v[22:23], off
	global_load_ushort v26, v[24:25], off
	v_mov_b64_e32 v[54:55], 1
	s_waitcnt vmcnt(0)
	v_cmp_eq_u16_e32 vcc, v1, v26
	s_and_saveexec_b64 s[18:19], vcc
	s_cbranch_execz .LBB684_102
; %bb.96:
	s_add_u32 s22, s12, -1
	v_lshl_add_u64 v[26:27], v[24:25], 0, 2
	v_lshl_add_u64 v[22:23], v[22:23], 0, 2
	s_addc_u32 s23, s13, -1
	s_mov_b64 s[26:27], 0
	s_mov_b64 s[30:31], 0
                                        ; implicit-def: $sgpr28_sgpr29
	s_branch .LBB684_99
.LBB684_97:                             ;   in Loop: Header=BB684_99 Depth=1
	global_load_ushort v1, v[22:23], off
	global_load_ushort v28, v[26:27], off
	s_add_u32 s30, s30, 1
	s_addc_u32 s31, s31, 0
	s_andn2_b64 s[28:29], s[28:29], exec
	v_lshl_add_u64 v[26:27], v[26:27], 0, 2
	v_lshl_add_u64 v[22:23], v[22:23], 0, 2
	s_waitcnt vmcnt(0)
	v_cmp_ne_u16_e32 vcc, v1, v28
	s_and_b64 s[34:35], vcc, exec
	s_or_b64 s[28:29], s[28:29], s[34:35]
.LBB684_98:                             ;   in Loop: Header=BB684_99 Depth=1
	s_and_b64 s[34:35], exec, s[28:29]
	s_or_b64 s[26:27], s[34:35], s[26:27]
	v_mov_b64_e32 v[28:29], s[30:31]
	s_andn2_b64 exec, exec, s[26:27]
	s_cbranch_execz .LBB684_101
.LBB684_99:                             ; =>This Inner Loop Header: Depth=1
	s_or_b64 s[28:29], s[28:29], exec
	s_cmp_eq_u64 s[22:23], s[30:31]
	s_cbranch_scc0 .LBB684_97
; %bb.100:                              ;   in Loop: Header=BB684_99 Depth=1
                                        ; implicit-def: $vgpr26_vgpr27
                                        ; implicit-def: $vgpr22_vgpr23
	s_mov_b64 s[30:31], s[12:13]
	s_branch .LBB684_98
.LBB684_101:
	s_or_b64 exec, exec, s[26:27]
	v_cmp_gt_i64_e32 vcc, s[12:13], v[28:29]
	s_mov_b32 s21, 0
	v_mov_b32_e32 v55, s21
	v_cndmask_b32_e64 v54, 0, 1, vcc
.LBB684_102:
	s_or_b64 exec, exec, s[18:19]
.LBB684_103:
	v_mul_lo_u32 v1, v5, s12
	v_mul_lo_u32 v26, v4, s13
	v_mad_u64_u32 v[22:23], s[18:19], v4, s12, 0
	v_add3_u32 v23, v23, v26, v1
	s_and_b64 vcc, exec, s[2:3]
	v_lshl_add_u64 v[22:23], v[22:23], 1, s[14:15]
	s_cbranch_vccnz .LBB684_112
; %bb.104:
	global_load_ushort v1, v[24:25], off
	global_load_ushort v26, v[22:23], off
	v_mov_b64_e32 v[56:57], 1
	s_waitcnt vmcnt(0)
	v_cmp_eq_u16_e32 vcc, v1, v26
	s_and_saveexec_b64 s[18:19], vcc
	s_cbranch_execz .LBB684_111
; %bb.105:
	s_add_u32 s22, s12, -1
	v_lshl_add_u64 v[26:27], v[22:23], 0, 2
	v_lshl_add_u64 v[24:25], v[24:25], 0, 2
	s_addc_u32 s23, s13, -1
	s_mov_b64 s[26:27], 0
	s_mov_b64 s[30:31], 0
                                        ; implicit-def: $sgpr28_sgpr29
	s_branch .LBB684_108
.LBB684_106:                            ;   in Loop: Header=BB684_108 Depth=1
	global_load_ushort v1, v[24:25], off
	global_load_ushort v28, v[26:27], off
	s_add_u32 s30, s30, 1
	s_addc_u32 s31, s31, 0
	s_andn2_b64 s[28:29], s[28:29], exec
	v_lshl_add_u64 v[26:27], v[26:27], 0, 2
	v_lshl_add_u64 v[24:25], v[24:25], 0, 2
	s_waitcnt vmcnt(0)
	v_cmp_ne_u16_e32 vcc, v1, v28
	s_and_b64 s[34:35], vcc, exec
	s_or_b64 s[28:29], s[28:29], s[34:35]
.LBB684_107:                            ;   in Loop: Header=BB684_108 Depth=1
	s_and_b64 s[34:35], exec, s[28:29]
	s_or_b64 s[26:27], s[34:35], s[26:27]
	v_mov_b64_e32 v[28:29], s[30:31]
	s_andn2_b64 exec, exec, s[26:27]
	s_cbranch_execz .LBB684_110
.LBB684_108:                            ; =>This Inner Loop Header: Depth=1
	s_or_b64 s[28:29], s[28:29], exec
	s_cmp_eq_u64 s[22:23], s[30:31]
	s_cbranch_scc0 .LBB684_106
; %bb.109:                              ;   in Loop: Header=BB684_108 Depth=1
                                        ; implicit-def: $vgpr26_vgpr27
                                        ; implicit-def: $vgpr24_vgpr25
	s_mov_b64 s[30:31], s[12:13]
	s_branch .LBB684_107
.LBB684_110:
	s_or_b64 exec, exec, s[26:27]
	v_cmp_gt_i64_e32 vcc, s[12:13], v[28:29]
	s_mov_b32 s21, 0
	v_mov_b32_e32 v57, s21
	v_cndmask_b32_e64 v56, 0, 1, vcc
.LBB684_111:
	s_or_b64 exec, exec, s[18:19]
.LBB684_112:
	s_and_b64 vcc, exec, s[2:3]
	s_cbranch_vccnz .LBB684_119
; %bb.113:
	v_mul_lo_u32 v1, v3, s12
	v_mul_lo_u32 v26, v2, s13
	v_mad_u64_u32 v[24:25], s[18:19], v2, s12, 0
	v_add3_u32 v25, v25, v26, v1
	v_lshl_add_u64 v[24:25], v[24:25], 1, s[14:15]
	global_load_ushort v1, v[22:23], off
	global_load_ushort v26, v[24:25], off
	v_mov_b64_e32 v[58:59], 1
	s_waitcnt vmcnt(0)
	v_cmp_eq_u16_e32 vcc, v1, v26
	s_and_saveexec_b64 s[18:19], vcc
	s_cbranch_execz .LBB684_121
; %bb.114:
	s_add_u32 s22, s12, -1
	v_lshl_add_u64 v[24:25], v[24:25], 0, 2
	v_lshl_add_u64 v[22:23], v[22:23], 0, 2
	s_addc_u32 s23, s13, -1
	s_mov_b64 s[26:27], 0
	s_mov_b64 s[30:31], 0
                                        ; implicit-def: $sgpr28_sgpr29
	s_branch .LBB684_117
.LBB684_115:                            ;   in Loop: Header=BB684_117 Depth=1
	global_load_ushort v1, v[22:23], off
	global_load_ushort v26, v[24:25], off
	s_add_u32 s30, s30, 1
	s_addc_u32 s31, s31, 0
	s_andn2_b64 s[28:29], s[28:29], exec
	v_lshl_add_u64 v[24:25], v[24:25], 0, 2
	v_lshl_add_u64 v[22:23], v[22:23], 0, 2
	s_waitcnt vmcnt(0)
	v_cmp_ne_u16_e32 vcc, v1, v26
	s_and_b64 s[34:35], vcc, exec
	s_or_b64 s[28:29], s[28:29], s[34:35]
.LBB684_116:                            ;   in Loop: Header=BB684_117 Depth=1
	s_and_b64 s[34:35], exec, s[28:29]
	s_or_b64 s[26:27], s[34:35], s[26:27]
	v_mov_b64_e32 v[26:27], s[30:31]
	s_andn2_b64 exec, exec, s[26:27]
	s_cbranch_execz .LBB684_120
.LBB684_117:                            ; =>This Inner Loop Header: Depth=1
	s_or_b64 s[28:29], s[28:29], exec
	s_cmp_eq_u64 s[22:23], s[30:31]
	s_cbranch_scc0 .LBB684_115
; %bb.118:                              ;   in Loop: Header=BB684_117 Depth=1
                                        ; implicit-def: $vgpr24_vgpr25
                                        ; implicit-def: $vgpr22_vgpr23
	s_mov_b64 s[30:31], s[12:13]
	s_branch .LBB684_116
.LBB684_119:
	v_mov_b64_e32 v[58:59], 0
	s_branch .LBB684_122
.LBB684_120:
	s_or_b64 exec, exec, s[26:27]
	v_cmp_gt_i64_e32 vcc, s[12:13], v[26:27]
	s_mov_b32 s21, 0
	v_mov_b32_e32 v59, s21
	v_cndmask_b32_e64 v58, 0, 1, vcc
.LBB684_121:
	s_or_b64 exec, exec, s[18:19]
.LBB684_122:
	v_cmp_ne_u32_e32 vcc, 0, v0
	s_waitcnt lgkmcnt(0)
	v_mov_b64_e32 v[22:23], s[16:17]
	s_barrier
	s_and_saveexec_b64 s[18:19], vcc
	s_cbranch_execz .LBB684_124
; %bb.123:
	v_add_u32_e32 v1, -8, v40
	ds_read_b64 v[22:23], v1
.LBB684_124:
	s_or_b64 exec, exec, s[18:19]
	s_mov_b64 s[26:27], 0
	s_and_b64 vcc, exec, s[2:3]
	s_mov_b64 s[18:19], 0
	s_cbranch_vccnz .LBB684_133
; %bb.125:
	v_mul_lo_u32 v1, v3, s12
	v_mul_lo_u32 v26, v2, s13
	v_mad_u64_u32 v[24:25], s[2:3], v2, s12, 0
	v_add3_u32 v25, v25, v26, v1
	s_waitcnt lgkmcnt(0)
	v_mul_lo_u32 v1, v23, s12
	v_mul_lo_u32 v26, v22, s13
	v_mad_u64_u32 v[22:23], s[2:3], v22, s12, 0
	v_add3_u32 v23, v23, v26, v1
	v_lshl_add_u64 v[24:25], v[24:25], 1, s[14:15]
	v_lshl_add_u64 v[22:23], v[22:23], 1, s[14:15]
	global_load_ushort v1, v[24:25], off
	global_load_ushort v26, v[22:23], off
	s_mov_b64 s[18:19], -1
	s_waitcnt vmcnt(0)
	v_cmp_eq_u16_e32 vcc, v1, v26
	s_and_saveexec_b64 s[2:3], vcc
	s_cbranch_execz .LBB684_132
; %bb.126:
	s_add_u32 s18, s12, -1
	v_lshl_add_u64 v[22:23], v[22:23], 0, 2
	v_lshl_add_u64 v[24:25], v[24:25], 0, 2
	s_addc_u32 s19, s13, -1
	s_mov_b64 s[22:23], 0
	s_mov_b64 s[30:31], 0
                                        ; implicit-def: $sgpr28_sgpr29
	s_branch .LBB684_129
.LBB684_127:                            ;   in Loop: Header=BB684_129 Depth=1
	global_load_ushort v1, v[24:25], off
	global_load_ushort v26, v[22:23], off
	s_add_u32 s30, s30, 1
	s_addc_u32 s31, s31, 0
	s_andn2_b64 s[28:29], s[28:29], exec
	v_lshl_add_u64 v[22:23], v[22:23], 0, 2
	v_lshl_add_u64 v[24:25], v[24:25], 0, 2
	s_waitcnt vmcnt(0)
	v_cmp_ne_u16_e32 vcc, v1, v26
	s_and_b64 s[34:35], vcc, exec
	s_or_b64 s[28:29], s[28:29], s[34:35]
.LBB684_128:                            ;   in Loop: Header=BB684_129 Depth=1
	s_and_b64 s[34:35], exec, s[28:29]
	s_or_b64 s[22:23], s[34:35], s[22:23]
	v_mov_b64_e32 v[26:27], s[30:31]
	s_andn2_b64 exec, exec, s[22:23]
	s_cbranch_execz .LBB684_131
.LBB684_129:                            ; =>This Inner Loop Header: Depth=1
	s_or_b64 s[28:29], s[28:29], exec
	s_cmp_eq_u64 s[18:19], s[30:31]
	s_cbranch_scc0 .LBB684_127
; %bb.130:                              ;   in Loop: Header=BB684_129 Depth=1
                                        ; implicit-def: $vgpr22_vgpr23
                                        ; implicit-def: $vgpr24_vgpr25
	s_mov_b64 s[30:31], s[12:13]
	s_branch .LBB684_128
.LBB684_131:
	s_or_b64 exec, exec, s[22:23]
	v_cmp_gt_i64_e32 vcc, s[12:13], v[26:27]
	s_orn2_b64 s[18:19], vcc, exec
.LBB684_132:
	s_or_b64 exec, exec, s[2:3]
.LBB684_133:
	s_mov_b64 s[22:23], -1
	s_and_b64 vcc, exec, s[26:27]
	s_cbranch_vccz .LBB684_37
.LBB684_134:
	s_mul_i32 s21, s24, 0xfffff500
	s_add_i32 s21, s21, s10
	s_waitcnt lgkmcnt(0)
	v_mad_u32_u24 v22, v0, 11, 10
	v_cmp_gt_i64_e64 s[2:3], s[12:13], 0
	v_cmp_gt_u32_e32 vcc, s21, v22
	v_mul_u32_u24_e32 v1, 11, v0
	v_cndmask_b32_e64 v22, 0, 1, s[2:3]
	v_cmp_ne_u32_e64 s[2:3], 1, v22
	v_mov_b64_e32 v[42:43], v[36:37]
	ds_write_b64 v40, v[36:37]
	s_and_saveexec_b64 s[18:19], vcc
	s_cbranch_execz .LBB684_145
; %bb.135:
	s_and_b64 vcc, exec, s[2:3]
	s_cbranch_vccnz .LBB684_142
; %bb.136:
	v_mul_lo_u32 v24, v37, s12
	v_mul_lo_u32 v25, v36, s13
	v_mad_u64_u32 v[22:23], s[24:25], v36, s12, 0
	v_add3_u32 v23, v23, v25, v24
	v_mul_lo_u32 v24, v21, s12
	v_mul_lo_u32 v25, v20, s13
	v_mad_u64_u32 v[26:27], s[24:25], v20, s12, 0
	v_add3_u32 v27, v27, v25, v24
	v_lshl_add_u64 v[24:25], v[22:23], 1, s[14:15]
	v_lshl_add_u64 v[22:23], v[26:27], 1, s[14:15]
	global_load_ushort v26, v[24:25], off
	global_load_ushort v27, v[22:23], off
	v_mov_b64_e32 v[42:43], 1
	s_waitcnt vmcnt(0)
	v_cmp_eq_u16_e32 vcc, v26, v27
	s_and_saveexec_b64 s[24:25], vcc
	s_cbranch_execz .LBB684_144
; %bb.137:
	s_add_u32 s26, s12, -1
	v_lshl_add_u64 v[22:23], v[22:23], 0, 2
	v_lshl_add_u64 v[24:25], v[24:25], 0, 2
	s_addc_u32 s27, s13, -1
	s_mov_b64 s[28:29], 0
	s_mov_b64 s[34:35], 0
                                        ; implicit-def: $sgpr30_sgpr31
	s_branch .LBB684_140
.LBB684_138:                            ;   in Loop: Header=BB684_140 Depth=1
	global_load_ushort v26, v[24:25], off
	global_load_ushort v27, v[22:23], off
	s_add_u32 s34, s34, 1
	s_addc_u32 s35, s35, 0
	s_andn2_b64 s[30:31], s[30:31], exec
	v_lshl_add_u64 v[22:23], v[22:23], 0, 2
	v_lshl_add_u64 v[24:25], v[24:25], 0, 2
	s_waitcnt vmcnt(0)
	v_cmp_ne_u16_e32 vcc, v26, v27
	s_and_b64 s[36:37], vcc, exec
	s_or_b64 s[30:31], s[30:31], s[36:37]
.LBB684_139:                            ;   in Loop: Header=BB684_140 Depth=1
	s_and_b64 s[36:37], exec, s[30:31]
	s_or_b64 s[28:29], s[36:37], s[28:29]
	v_mov_b64_e32 v[26:27], s[34:35]
	s_andn2_b64 exec, exec, s[28:29]
	s_cbranch_execz .LBB684_143
.LBB684_140:                            ; =>This Inner Loop Header: Depth=1
	s_or_b64 s[30:31], s[30:31], exec
	s_cmp_eq_u64 s[26:27], s[34:35]
	s_cbranch_scc0 .LBB684_138
; %bb.141:                              ;   in Loop: Header=BB684_140 Depth=1
                                        ; implicit-def: $vgpr22_vgpr23
                                        ; implicit-def: $vgpr24_vgpr25
	s_mov_b64 s[34:35], s[12:13]
	s_branch .LBB684_139
.LBB684_142:
	v_mov_b64_e32 v[42:43], 0
	s_branch .LBB684_145
.LBB684_143:
	s_or_b64 exec, exec, s[28:29]
	v_cmp_gt_i64_e32 vcc, s[12:13], v[26:27]
	s_mov_b32 s26, 0
	v_mov_b32_e32 v43, s26
	v_cndmask_b32_e64 v42, 0, 1, vcc
.LBB684_144:
	s_or_b64 exec, exec, s[24:25]
.LBB684_145:
	s_or_b64 exec, exec, s[18:19]
	v_add_u32_e32 v22, 9, v1
	v_cmp_gt_u32_e32 vcc, s21, v22
	v_mov_b64_e32 v[44:45], v[20:21]
	s_and_saveexec_b64 s[18:19], vcc
	s_cbranch_execz .LBB684_156
; %bb.146:
	s_and_b64 vcc, exec, s[2:3]
	s_cbranch_vccnz .LBB684_153
; %bb.147:
	v_mul_lo_u32 v24, v21, s12
	v_mul_lo_u32 v25, v20, s13
	v_mad_u64_u32 v[22:23], s[24:25], v20, s12, 0
	v_add3_u32 v23, v23, v25, v24
	v_mul_lo_u32 v24, v19, s12
	v_mul_lo_u32 v25, v18, s13
	v_mad_u64_u32 v[26:27], s[24:25], v18, s12, 0
	v_add3_u32 v27, v27, v25, v24
	v_lshl_add_u64 v[24:25], v[22:23], 1, s[14:15]
	v_lshl_add_u64 v[22:23], v[26:27], 1, s[14:15]
	global_load_ushort v26, v[24:25], off
	global_load_ushort v27, v[22:23], off
	v_mov_b64_e32 v[44:45], 1
	s_waitcnt vmcnt(0)
	v_cmp_eq_u16_e32 vcc, v26, v27
	s_and_saveexec_b64 s[24:25], vcc
	s_cbranch_execz .LBB684_155
; %bb.148:
	s_add_u32 s26, s12, -1
	v_lshl_add_u64 v[22:23], v[22:23], 0, 2
	v_lshl_add_u64 v[24:25], v[24:25], 0, 2
	s_addc_u32 s27, s13, -1
	s_mov_b64 s[28:29], 0
	s_mov_b64 s[34:35], 0
                                        ; implicit-def: $sgpr30_sgpr31
	s_branch .LBB684_151
.LBB684_149:                            ;   in Loop: Header=BB684_151 Depth=1
	global_load_ushort v26, v[24:25], off
	global_load_ushort v27, v[22:23], off
	s_add_u32 s34, s34, 1
	s_addc_u32 s35, s35, 0
	s_andn2_b64 s[30:31], s[30:31], exec
	v_lshl_add_u64 v[22:23], v[22:23], 0, 2
	v_lshl_add_u64 v[24:25], v[24:25], 0, 2
	s_waitcnt vmcnt(0)
	v_cmp_ne_u16_e32 vcc, v26, v27
	s_and_b64 s[36:37], vcc, exec
	s_or_b64 s[30:31], s[30:31], s[36:37]
.LBB684_150:                            ;   in Loop: Header=BB684_151 Depth=1
	s_and_b64 s[36:37], exec, s[30:31]
	s_or_b64 s[28:29], s[36:37], s[28:29]
	v_mov_b64_e32 v[26:27], s[34:35]
	s_andn2_b64 exec, exec, s[28:29]
	s_cbranch_execz .LBB684_154
.LBB684_151:                            ; =>This Inner Loop Header: Depth=1
	s_or_b64 s[30:31], s[30:31], exec
	s_cmp_eq_u64 s[26:27], s[34:35]
	s_cbranch_scc0 .LBB684_149
; %bb.152:                              ;   in Loop: Header=BB684_151 Depth=1
                                        ; implicit-def: $vgpr22_vgpr23
                                        ; implicit-def: $vgpr24_vgpr25
	s_mov_b64 s[34:35], s[12:13]
	s_branch .LBB684_150
.LBB684_153:
	v_mov_b64_e32 v[44:45], 0
	s_branch .LBB684_156
.LBB684_154:
	s_or_b64 exec, exec, s[28:29]
	v_cmp_gt_i64_e32 vcc, s[12:13], v[26:27]
	s_mov_b32 s26, 0
	v_mov_b32_e32 v45, s26
	v_cndmask_b32_e64 v44, 0, 1, vcc
.LBB684_155:
	s_or_b64 exec, exec, s[24:25]
.LBB684_156:
	s_or_b64 exec, exec, s[18:19]
	v_add_u32_e32 v22, 8, v1
	v_cmp_gt_u32_e32 vcc, s21, v22
	v_mov_b64_e32 v[38:39], v[18:19]
	s_and_saveexec_b64 s[18:19], vcc
	s_cbranch_execz .LBB684_167
; %bb.157:
	s_and_b64 vcc, exec, s[2:3]
	s_cbranch_vccnz .LBB684_164
; %bb.158:
	v_mul_lo_u32 v24, v19, s12
	v_mul_lo_u32 v25, v18, s13
	v_mad_u64_u32 v[22:23], s[24:25], v18, s12, 0
	v_add3_u32 v23, v23, v25, v24
	v_mul_lo_u32 v24, v17, s12
	v_mul_lo_u32 v25, v16, s13
	v_mad_u64_u32 v[26:27], s[24:25], v16, s12, 0
	v_add3_u32 v27, v27, v25, v24
	v_lshl_add_u64 v[24:25], v[22:23], 1, s[14:15]
	v_lshl_add_u64 v[22:23], v[26:27], 1, s[14:15]
	global_load_ushort v26, v[24:25], off
	global_load_ushort v27, v[22:23], off
	v_mov_b64_e32 v[38:39], 1
	s_waitcnt vmcnt(0)
	v_cmp_eq_u16_e32 vcc, v26, v27
	s_and_saveexec_b64 s[24:25], vcc
	s_cbranch_execz .LBB684_166
; %bb.159:
	s_add_u32 s26, s12, -1
	v_lshl_add_u64 v[22:23], v[22:23], 0, 2
	v_lshl_add_u64 v[24:25], v[24:25], 0, 2
	s_addc_u32 s27, s13, -1
	s_mov_b64 s[28:29], 0
	s_mov_b64 s[34:35], 0
                                        ; implicit-def: $sgpr30_sgpr31
	s_branch .LBB684_162
.LBB684_160:                            ;   in Loop: Header=BB684_162 Depth=1
	global_load_ushort v26, v[24:25], off
	global_load_ushort v27, v[22:23], off
	s_add_u32 s34, s34, 1
	s_addc_u32 s35, s35, 0
	s_andn2_b64 s[30:31], s[30:31], exec
	v_lshl_add_u64 v[22:23], v[22:23], 0, 2
	v_lshl_add_u64 v[24:25], v[24:25], 0, 2
	s_waitcnt vmcnt(0)
	v_cmp_ne_u16_e32 vcc, v26, v27
	s_and_b64 s[36:37], vcc, exec
	s_or_b64 s[30:31], s[30:31], s[36:37]
.LBB684_161:                            ;   in Loop: Header=BB684_162 Depth=1
	s_and_b64 s[36:37], exec, s[30:31]
	s_or_b64 s[28:29], s[36:37], s[28:29]
	v_mov_b64_e32 v[26:27], s[34:35]
	s_andn2_b64 exec, exec, s[28:29]
	s_cbranch_execz .LBB684_165
.LBB684_162:                            ; =>This Inner Loop Header: Depth=1
	s_or_b64 s[30:31], s[30:31], exec
	s_cmp_eq_u64 s[26:27], s[34:35]
	s_cbranch_scc0 .LBB684_160
; %bb.163:                              ;   in Loop: Header=BB684_162 Depth=1
                                        ; implicit-def: $vgpr22_vgpr23
                                        ; implicit-def: $vgpr24_vgpr25
	s_mov_b64 s[34:35], s[12:13]
	s_branch .LBB684_161
.LBB684_164:
	v_mov_b64_e32 v[38:39], 0
	s_branch .LBB684_167
.LBB684_165:
	s_or_b64 exec, exec, s[28:29]
	v_cmp_gt_i64_e32 vcc, s[12:13], v[26:27]
	s_mov_b32 s26, 0
	v_mov_b32_e32 v39, s26
	v_cndmask_b32_e64 v38, 0, 1, vcc
.LBB684_166:
	s_or_b64 exec, exec, s[24:25]
.LBB684_167:
	s_or_b64 exec, exec, s[18:19]
	v_add_u32_e32 v22, 7, v1
	v_cmp_gt_u32_e32 vcc, s21, v22
	v_mov_b64_e32 v[46:47], v[16:17]
	s_and_saveexec_b64 s[18:19], vcc
	s_cbranch_execz .LBB684_178
; %bb.168:
	s_and_b64 vcc, exec, s[2:3]
	s_cbranch_vccnz .LBB684_175
; %bb.169:
	v_mul_lo_u32 v24, v17, s12
	v_mul_lo_u32 v25, v16, s13
	v_mad_u64_u32 v[22:23], s[24:25], v16, s12, 0
	v_add3_u32 v23, v23, v25, v24
	v_mul_lo_u32 v24, v15, s12
	v_mul_lo_u32 v25, v14, s13
	v_mad_u64_u32 v[26:27], s[24:25], v14, s12, 0
	v_add3_u32 v27, v27, v25, v24
	v_lshl_add_u64 v[24:25], v[22:23], 1, s[14:15]
	v_lshl_add_u64 v[22:23], v[26:27], 1, s[14:15]
	global_load_ushort v26, v[24:25], off
	global_load_ushort v27, v[22:23], off
	v_mov_b64_e32 v[46:47], 1
	s_waitcnt vmcnt(0)
	v_cmp_eq_u16_e32 vcc, v26, v27
	s_and_saveexec_b64 s[24:25], vcc
	s_cbranch_execz .LBB684_177
; %bb.170:
	s_add_u32 s26, s12, -1
	v_lshl_add_u64 v[22:23], v[22:23], 0, 2
	v_lshl_add_u64 v[24:25], v[24:25], 0, 2
	s_addc_u32 s27, s13, -1
	s_mov_b64 s[28:29], 0
	s_mov_b64 s[34:35], 0
                                        ; implicit-def: $sgpr30_sgpr31
	s_branch .LBB684_173
.LBB684_171:                            ;   in Loop: Header=BB684_173 Depth=1
	global_load_ushort v26, v[24:25], off
	global_load_ushort v27, v[22:23], off
	s_add_u32 s34, s34, 1
	s_addc_u32 s35, s35, 0
	s_andn2_b64 s[30:31], s[30:31], exec
	v_lshl_add_u64 v[22:23], v[22:23], 0, 2
	v_lshl_add_u64 v[24:25], v[24:25], 0, 2
	s_waitcnt vmcnt(0)
	v_cmp_ne_u16_e32 vcc, v26, v27
	s_and_b64 s[36:37], vcc, exec
	s_or_b64 s[30:31], s[30:31], s[36:37]
.LBB684_172:                            ;   in Loop: Header=BB684_173 Depth=1
	s_and_b64 s[36:37], exec, s[30:31]
	s_or_b64 s[28:29], s[36:37], s[28:29]
	v_mov_b64_e32 v[26:27], s[34:35]
	s_andn2_b64 exec, exec, s[28:29]
	s_cbranch_execz .LBB684_176
.LBB684_173:                            ; =>This Inner Loop Header: Depth=1
	s_or_b64 s[30:31], s[30:31], exec
	s_cmp_eq_u64 s[26:27], s[34:35]
	s_cbranch_scc0 .LBB684_171
; %bb.174:                              ;   in Loop: Header=BB684_173 Depth=1
                                        ; implicit-def: $vgpr22_vgpr23
                                        ; implicit-def: $vgpr24_vgpr25
	s_mov_b64 s[34:35], s[12:13]
	s_branch .LBB684_172
.LBB684_175:
	v_mov_b64_e32 v[46:47], 0
	s_branch .LBB684_178
.LBB684_176:
	s_or_b64 exec, exec, s[28:29]
	v_cmp_gt_i64_e32 vcc, s[12:13], v[26:27]
	s_mov_b32 s26, 0
	v_mov_b32_e32 v47, s26
	v_cndmask_b32_e64 v46, 0, 1, vcc
.LBB684_177:
	s_or_b64 exec, exec, s[24:25]
.LBB684_178:
	s_or_b64 exec, exec, s[18:19]
	v_add_u32_e32 v22, 6, v1
	v_cmp_gt_u32_e32 vcc, s21, v22
	v_mov_b64_e32 v[48:49], v[14:15]
	s_and_saveexec_b64 s[18:19], vcc
	s_cbranch_execz .LBB684_189
; %bb.179:
	s_and_b64 vcc, exec, s[2:3]
	s_cbranch_vccnz .LBB684_186
; %bb.180:
	v_mul_lo_u32 v24, v15, s12
	v_mul_lo_u32 v25, v14, s13
	v_mad_u64_u32 v[22:23], s[24:25], v14, s12, 0
	v_add3_u32 v23, v23, v25, v24
	v_mul_lo_u32 v24, v13, s12
	v_mul_lo_u32 v25, v12, s13
	v_mad_u64_u32 v[26:27], s[24:25], v12, s12, 0
	v_add3_u32 v27, v27, v25, v24
	v_lshl_add_u64 v[24:25], v[22:23], 1, s[14:15]
	v_lshl_add_u64 v[22:23], v[26:27], 1, s[14:15]
	global_load_ushort v26, v[24:25], off
	global_load_ushort v27, v[22:23], off
	v_mov_b64_e32 v[48:49], 1
	s_waitcnt vmcnt(0)
	v_cmp_eq_u16_e32 vcc, v26, v27
	s_and_saveexec_b64 s[24:25], vcc
	s_cbranch_execz .LBB684_188
; %bb.181:
	s_add_u32 s26, s12, -1
	v_lshl_add_u64 v[22:23], v[22:23], 0, 2
	v_lshl_add_u64 v[24:25], v[24:25], 0, 2
	s_addc_u32 s27, s13, -1
	s_mov_b64 s[28:29], 0
	s_mov_b64 s[34:35], 0
                                        ; implicit-def: $sgpr30_sgpr31
	s_branch .LBB684_184
.LBB684_182:                            ;   in Loop: Header=BB684_184 Depth=1
	global_load_ushort v26, v[24:25], off
	global_load_ushort v27, v[22:23], off
	s_add_u32 s34, s34, 1
	s_addc_u32 s35, s35, 0
	s_andn2_b64 s[30:31], s[30:31], exec
	v_lshl_add_u64 v[22:23], v[22:23], 0, 2
	v_lshl_add_u64 v[24:25], v[24:25], 0, 2
	s_waitcnt vmcnt(0)
	v_cmp_ne_u16_e32 vcc, v26, v27
	s_and_b64 s[36:37], vcc, exec
	s_or_b64 s[30:31], s[30:31], s[36:37]
.LBB684_183:                            ;   in Loop: Header=BB684_184 Depth=1
	s_and_b64 s[36:37], exec, s[30:31]
	s_or_b64 s[28:29], s[36:37], s[28:29]
	v_mov_b64_e32 v[26:27], s[34:35]
	s_andn2_b64 exec, exec, s[28:29]
	s_cbranch_execz .LBB684_187
.LBB684_184:                            ; =>This Inner Loop Header: Depth=1
	s_or_b64 s[30:31], s[30:31], exec
	s_cmp_eq_u64 s[26:27], s[34:35]
	s_cbranch_scc0 .LBB684_182
; %bb.185:                              ;   in Loop: Header=BB684_184 Depth=1
                                        ; implicit-def: $vgpr22_vgpr23
                                        ; implicit-def: $vgpr24_vgpr25
	s_mov_b64 s[34:35], s[12:13]
	s_branch .LBB684_183
.LBB684_186:
	v_mov_b64_e32 v[48:49], 0
	s_branch .LBB684_189
.LBB684_187:
	s_or_b64 exec, exec, s[28:29]
	v_cmp_gt_i64_e32 vcc, s[12:13], v[26:27]
	s_mov_b32 s26, 0
	v_mov_b32_e32 v49, s26
	v_cndmask_b32_e64 v48, 0, 1, vcc
.LBB684_188:
	s_or_b64 exec, exec, s[24:25]
.LBB684_189:
	s_or_b64 exec, exec, s[18:19]
	v_add_u32_e32 v22, 5, v1
	v_cmp_gt_u32_e32 vcc, s21, v22
	v_mov_b64_e32 v[50:51], v[12:13]
	s_and_saveexec_b64 s[18:19], vcc
	s_cbranch_execz .LBB684_200
; %bb.190:
	s_and_b64 vcc, exec, s[2:3]
	s_cbranch_vccnz .LBB684_197
; %bb.191:
	v_mul_lo_u32 v24, v13, s12
	v_mul_lo_u32 v25, v12, s13
	v_mad_u64_u32 v[22:23], s[24:25], v12, s12, 0
	v_add3_u32 v23, v23, v25, v24
	v_mul_lo_u32 v24, v11, s12
	v_mul_lo_u32 v25, v10, s13
	v_mad_u64_u32 v[26:27], s[24:25], v10, s12, 0
	v_add3_u32 v27, v27, v25, v24
	v_lshl_add_u64 v[24:25], v[22:23], 1, s[14:15]
	v_lshl_add_u64 v[22:23], v[26:27], 1, s[14:15]
	global_load_ushort v26, v[24:25], off
	global_load_ushort v27, v[22:23], off
	v_mov_b64_e32 v[50:51], 1
	s_waitcnt vmcnt(0)
	v_cmp_eq_u16_e32 vcc, v26, v27
	s_and_saveexec_b64 s[24:25], vcc
	s_cbranch_execz .LBB684_199
; %bb.192:
	s_add_u32 s26, s12, -1
	v_lshl_add_u64 v[22:23], v[22:23], 0, 2
	v_lshl_add_u64 v[24:25], v[24:25], 0, 2
	s_addc_u32 s27, s13, -1
	s_mov_b64 s[28:29], 0
	s_mov_b64 s[34:35], 0
                                        ; implicit-def: $sgpr30_sgpr31
	s_branch .LBB684_195
.LBB684_193:                            ;   in Loop: Header=BB684_195 Depth=1
	global_load_ushort v26, v[24:25], off
	global_load_ushort v27, v[22:23], off
	s_add_u32 s34, s34, 1
	s_addc_u32 s35, s35, 0
	s_andn2_b64 s[30:31], s[30:31], exec
	v_lshl_add_u64 v[22:23], v[22:23], 0, 2
	v_lshl_add_u64 v[24:25], v[24:25], 0, 2
	s_waitcnt vmcnt(0)
	v_cmp_ne_u16_e32 vcc, v26, v27
	s_and_b64 s[36:37], vcc, exec
	s_or_b64 s[30:31], s[30:31], s[36:37]
.LBB684_194:                            ;   in Loop: Header=BB684_195 Depth=1
	s_and_b64 s[36:37], exec, s[30:31]
	s_or_b64 s[28:29], s[36:37], s[28:29]
	v_mov_b64_e32 v[26:27], s[34:35]
	s_andn2_b64 exec, exec, s[28:29]
	s_cbranch_execz .LBB684_198
.LBB684_195:                            ; =>This Inner Loop Header: Depth=1
	s_or_b64 s[30:31], s[30:31], exec
	s_cmp_eq_u64 s[26:27], s[34:35]
	s_cbranch_scc0 .LBB684_193
; %bb.196:                              ;   in Loop: Header=BB684_195 Depth=1
                                        ; implicit-def: $vgpr22_vgpr23
                                        ; implicit-def: $vgpr24_vgpr25
	s_mov_b64 s[34:35], s[12:13]
	s_branch .LBB684_194
.LBB684_197:
	v_mov_b64_e32 v[50:51], 0
	s_branch .LBB684_200
.LBB684_198:
	s_or_b64 exec, exec, s[28:29]
	v_cmp_gt_i64_e32 vcc, s[12:13], v[26:27]
	s_mov_b32 s26, 0
	v_mov_b32_e32 v51, s26
	v_cndmask_b32_e64 v50, 0, 1, vcc
.LBB684_199:
	s_or_b64 exec, exec, s[24:25]
.LBB684_200:
	s_or_b64 exec, exec, s[18:19]
	v_add_u32_e32 v22, 4, v1
	v_cmp_gt_u32_e32 vcc, s21, v22
	v_mov_b64_e32 v[52:53], v[10:11]
	s_and_saveexec_b64 s[18:19], vcc
	s_cbranch_execz .LBB684_211
; %bb.201:
	s_and_b64 vcc, exec, s[2:3]
	s_cbranch_vccnz .LBB684_208
; %bb.202:
	v_mul_lo_u32 v24, v11, s12
	v_mul_lo_u32 v25, v10, s13
	v_mad_u64_u32 v[22:23], s[24:25], v10, s12, 0
	v_add3_u32 v23, v23, v25, v24
	v_mul_lo_u32 v24, v9, s12
	v_mul_lo_u32 v25, v8, s13
	v_mad_u64_u32 v[26:27], s[24:25], v8, s12, 0
	v_add3_u32 v27, v27, v25, v24
	v_lshl_add_u64 v[24:25], v[22:23], 1, s[14:15]
	v_lshl_add_u64 v[22:23], v[26:27], 1, s[14:15]
	global_load_ushort v26, v[24:25], off
	global_load_ushort v27, v[22:23], off
	v_mov_b64_e32 v[52:53], 1
	s_waitcnt vmcnt(0)
	v_cmp_eq_u16_e32 vcc, v26, v27
	s_and_saveexec_b64 s[24:25], vcc
	s_cbranch_execz .LBB684_210
; %bb.203:
	s_add_u32 s26, s12, -1
	v_lshl_add_u64 v[22:23], v[22:23], 0, 2
	v_lshl_add_u64 v[24:25], v[24:25], 0, 2
	s_addc_u32 s27, s13, -1
	s_mov_b64 s[28:29], 0
	s_mov_b64 s[34:35], 0
                                        ; implicit-def: $sgpr30_sgpr31
	s_branch .LBB684_206
.LBB684_204:                            ;   in Loop: Header=BB684_206 Depth=1
	global_load_ushort v26, v[24:25], off
	global_load_ushort v27, v[22:23], off
	s_add_u32 s34, s34, 1
	s_addc_u32 s35, s35, 0
	s_andn2_b64 s[30:31], s[30:31], exec
	v_lshl_add_u64 v[22:23], v[22:23], 0, 2
	v_lshl_add_u64 v[24:25], v[24:25], 0, 2
	s_waitcnt vmcnt(0)
	v_cmp_ne_u16_e32 vcc, v26, v27
	s_and_b64 s[36:37], vcc, exec
	s_or_b64 s[30:31], s[30:31], s[36:37]
.LBB684_205:                            ;   in Loop: Header=BB684_206 Depth=1
	s_and_b64 s[36:37], exec, s[30:31]
	s_or_b64 s[28:29], s[36:37], s[28:29]
	v_mov_b64_e32 v[26:27], s[34:35]
	s_andn2_b64 exec, exec, s[28:29]
	s_cbranch_execz .LBB684_209
.LBB684_206:                            ; =>This Inner Loop Header: Depth=1
	s_or_b64 s[30:31], s[30:31], exec
	s_cmp_eq_u64 s[26:27], s[34:35]
	s_cbranch_scc0 .LBB684_204
; %bb.207:                              ;   in Loop: Header=BB684_206 Depth=1
                                        ; implicit-def: $vgpr22_vgpr23
                                        ; implicit-def: $vgpr24_vgpr25
	s_mov_b64 s[34:35], s[12:13]
	s_branch .LBB684_205
.LBB684_208:
	v_mov_b64_e32 v[52:53], 0
	s_branch .LBB684_211
.LBB684_209:
	s_or_b64 exec, exec, s[28:29]
	v_cmp_gt_i64_e32 vcc, s[12:13], v[26:27]
	s_mov_b32 s26, 0
	v_mov_b32_e32 v53, s26
	v_cndmask_b32_e64 v52, 0, 1, vcc
.LBB684_210:
	s_or_b64 exec, exec, s[24:25]
.LBB684_211:
	s_or_b64 exec, exec, s[18:19]
	v_add_u32_e32 v22, 3, v1
	v_cmp_gt_u32_e32 vcc, s21, v22
	v_mov_b64_e32 v[54:55], v[8:9]
	s_and_saveexec_b64 s[18:19], vcc
	s_cbranch_execz .LBB684_222
; %bb.212:
	s_and_b64 vcc, exec, s[2:3]
	s_cbranch_vccnz .LBB684_219
; %bb.213:
	v_mul_lo_u32 v24, v9, s12
	v_mul_lo_u32 v25, v8, s13
	v_mad_u64_u32 v[22:23], s[24:25], v8, s12, 0
	v_add3_u32 v23, v23, v25, v24
	v_mul_lo_u32 v24, v7, s12
	v_mul_lo_u32 v25, v6, s13
	v_mad_u64_u32 v[26:27], s[24:25], v6, s12, 0
	v_add3_u32 v27, v27, v25, v24
	v_lshl_add_u64 v[24:25], v[22:23], 1, s[14:15]
	v_lshl_add_u64 v[22:23], v[26:27], 1, s[14:15]
	global_load_ushort v26, v[24:25], off
	global_load_ushort v27, v[22:23], off
	v_mov_b64_e32 v[54:55], 1
	s_waitcnt vmcnt(0)
	v_cmp_eq_u16_e32 vcc, v26, v27
	s_and_saveexec_b64 s[24:25], vcc
	s_cbranch_execz .LBB684_221
; %bb.214:
	s_add_u32 s26, s12, -1
	v_lshl_add_u64 v[22:23], v[22:23], 0, 2
	v_lshl_add_u64 v[24:25], v[24:25], 0, 2
	s_addc_u32 s27, s13, -1
	s_mov_b64 s[28:29], 0
	s_mov_b64 s[34:35], 0
                                        ; implicit-def: $sgpr30_sgpr31
	s_branch .LBB684_217
.LBB684_215:                            ;   in Loop: Header=BB684_217 Depth=1
	global_load_ushort v26, v[24:25], off
	global_load_ushort v27, v[22:23], off
	s_add_u32 s34, s34, 1
	s_addc_u32 s35, s35, 0
	s_andn2_b64 s[30:31], s[30:31], exec
	v_lshl_add_u64 v[22:23], v[22:23], 0, 2
	v_lshl_add_u64 v[24:25], v[24:25], 0, 2
	s_waitcnt vmcnt(0)
	v_cmp_ne_u16_e32 vcc, v26, v27
	s_and_b64 s[36:37], vcc, exec
	s_or_b64 s[30:31], s[30:31], s[36:37]
.LBB684_216:                            ;   in Loop: Header=BB684_217 Depth=1
	s_and_b64 s[36:37], exec, s[30:31]
	s_or_b64 s[28:29], s[36:37], s[28:29]
	v_mov_b64_e32 v[26:27], s[34:35]
	s_andn2_b64 exec, exec, s[28:29]
	s_cbranch_execz .LBB684_220
.LBB684_217:                            ; =>This Inner Loop Header: Depth=1
	s_or_b64 s[30:31], s[30:31], exec
	s_cmp_eq_u64 s[26:27], s[34:35]
	s_cbranch_scc0 .LBB684_215
; %bb.218:                              ;   in Loop: Header=BB684_217 Depth=1
                                        ; implicit-def: $vgpr22_vgpr23
                                        ; implicit-def: $vgpr24_vgpr25
	s_mov_b64 s[34:35], s[12:13]
	s_branch .LBB684_216
.LBB684_219:
	v_mov_b64_e32 v[54:55], 0
	s_branch .LBB684_222
.LBB684_220:
	s_or_b64 exec, exec, s[28:29]
	v_cmp_gt_i64_e32 vcc, s[12:13], v[26:27]
	s_mov_b32 s26, 0
	v_mov_b32_e32 v55, s26
	v_cndmask_b32_e64 v54, 0, 1, vcc
.LBB684_221:
	s_or_b64 exec, exec, s[24:25]
.LBB684_222:
	s_or_b64 exec, exec, s[18:19]
	v_add_u32_e32 v22, 2, v1
	v_cmp_gt_u32_e32 vcc, s21, v22
	v_mov_b64_e32 v[56:57], v[6:7]
	s_and_saveexec_b64 s[18:19], vcc
	s_cbranch_execz .LBB684_233
; %bb.223:
	s_and_b64 vcc, exec, s[2:3]
	s_cbranch_vccnz .LBB684_230
; %bb.224:
	v_mul_lo_u32 v24, v7, s12
	v_mul_lo_u32 v25, v6, s13
	v_mad_u64_u32 v[22:23], s[24:25], v6, s12, 0
	v_add3_u32 v23, v23, v25, v24
	v_mul_lo_u32 v24, v5, s12
	v_mul_lo_u32 v25, v4, s13
	v_mad_u64_u32 v[26:27], s[24:25], v4, s12, 0
	v_add3_u32 v27, v27, v25, v24
	v_lshl_add_u64 v[24:25], v[22:23], 1, s[14:15]
	v_lshl_add_u64 v[22:23], v[26:27], 1, s[14:15]
	global_load_ushort v26, v[24:25], off
	global_load_ushort v27, v[22:23], off
	v_mov_b64_e32 v[56:57], 1
	s_waitcnt vmcnt(0)
	v_cmp_eq_u16_e32 vcc, v26, v27
	s_and_saveexec_b64 s[24:25], vcc
	s_cbranch_execz .LBB684_232
; %bb.225:
	s_add_u32 s26, s12, -1
	v_lshl_add_u64 v[22:23], v[22:23], 0, 2
	v_lshl_add_u64 v[24:25], v[24:25], 0, 2
	s_addc_u32 s27, s13, -1
	s_mov_b64 s[28:29], 0
	s_mov_b64 s[34:35], 0
                                        ; implicit-def: $sgpr30_sgpr31
	s_branch .LBB684_228
.LBB684_226:                            ;   in Loop: Header=BB684_228 Depth=1
	global_load_ushort v26, v[24:25], off
	global_load_ushort v27, v[22:23], off
	s_add_u32 s34, s34, 1
	s_addc_u32 s35, s35, 0
	s_andn2_b64 s[30:31], s[30:31], exec
	v_lshl_add_u64 v[22:23], v[22:23], 0, 2
	v_lshl_add_u64 v[24:25], v[24:25], 0, 2
	s_waitcnt vmcnt(0)
	v_cmp_ne_u16_e32 vcc, v26, v27
	s_and_b64 s[36:37], vcc, exec
	s_or_b64 s[30:31], s[30:31], s[36:37]
.LBB684_227:                            ;   in Loop: Header=BB684_228 Depth=1
	s_and_b64 s[36:37], exec, s[30:31]
	s_or_b64 s[28:29], s[36:37], s[28:29]
	v_mov_b64_e32 v[26:27], s[34:35]
	s_andn2_b64 exec, exec, s[28:29]
	s_cbranch_execz .LBB684_231
.LBB684_228:                            ; =>This Inner Loop Header: Depth=1
	s_or_b64 s[30:31], s[30:31], exec
	s_cmp_eq_u64 s[26:27], s[34:35]
	s_cbranch_scc0 .LBB684_226
; %bb.229:                              ;   in Loop: Header=BB684_228 Depth=1
                                        ; implicit-def: $vgpr22_vgpr23
                                        ; implicit-def: $vgpr24_vgpr25
	s_mov_b64 s[34:35], s[12:13]
	s_branch .LBB684_227
.LBB684_230:
	v_mov_b64_e32 v[56:57], 0
	s_branch .LBB684_233
.LBB684_231:
	s_or_b64 exec, exec, s[28:29]
	v_cmp_gt_i64_e32 vcc, s[12:13], v[26:27]
	s_mov_b32 s26, 0
	v_mov_b32_e32 v57, s26
	v_cndmask_b32_e64 v56, 0, 1, vcc
.LBB684_232:
	s_or_b64 exec, exec, s[24:25]
.LBB684_233:
	s_or_b64 exec, exec, s[18:19]
	v_add_u32_e32 v22, 1, v1
	v_cmp_gt_u32_e32 vcc, s21, v22
	v_mov_b64_e32 v[58:59], v[4:5]
	s_and_saveexec_b64 s[18:19], vcc
	s_cbranch_execz .LBB684_244
; %bb.234:
	s_and_b64 vcc, exec, s[2:3]
	s_cbranch_vccnz .LBB684_241
; %bb.235:
	v_mul_lo_u32 v24, v5, s12
	v_mul_lo_u32 v25, v4, s13
	v_mad_u64_u32 v[22:23], s[24:25], v4, s12, 0
	v_add3_u32 v23, v23, v25, v24
	v_mul_lo_u32 v24, v3, s12
	v_mul_lo_u32 v25, v2, s13
	v_mad_u64_u32 v[26:27], s[24:25], v2, s12, 0
	v_add3_u32 v27, v27, v25, v24
	v_lshl_add_u64 v[24:25], v[22:23], 1, s[14:15]
	v_lshl_add_u64 v[22:23], v[26:27], 1, s[14:15]
	global_load_ushort v26, v[24:25], off
	global_load_ushort v27, v[22:23], off
	v_mov_b64_e32 v[58:59], 1
	s_waitcnt vmcnt(0)
	v_cmp_eq_u16_e32 vcc, v26, v27
	s_and_saveexec_b64 s[24:25], vcc
	s_cbranch_execz .LBB684_243
; %bb.236:
	s_add_u32 s26, s12, -1
	v_lshl_add_u64 v[22:23], v[22:23], 0, 2
	v_lshl_add_u64 v[24:25], v[24:25], 0, 2
	s_addc_u32 s27, s13, -1
	s_mov_b64 s[28:29], 0
	s_mov_b64 s[34:35], 0
                                        ; implicit-def: $sgpr30_sgpr31
	s_branch .LBB684_239
.LBB684_237:                            ;   in Loop: Header=BB684_239 Depth=1
	global_load_ushort v26, v[24:25], off
	global_load_ushort v27, v[22:23], off
	s_add_u32 s34, s34, 1
	s_addc_u32 s35, s35, 0
	s_andn2_b64 s[30:31], s[30:31], exec
	v_lshl_add_u64 v[22:23], v[22:23], 0, 2
	v_lshl_add_u64 v[24:25], v[24:25], 0, 2
	s_waitcnt vmcnt(0)
	v_cmp_ne_u16_e32 vcc, v26, v27
	s_and_b64 s[36:37], vcc, exec
	s_or_b64 s[30:31], s[30:31], s[36:37]
.LBB684_238:                            ;   in Loop: Header=BB684_239 Depth=1
	s_and_b64 s[36:37], exec, s[30:31]
	s_or_b64 s[28:29], s[36:37], s[28:29]
	v_mov_b64_e32 v[26:27], s[34:35]
	s_andn2_b64 exec, exec, s[28:29]
	s_cbranch_execz .LBB684_242
.LBB684_239:                            ; =>This Inner Loop Header: Depth=1
	s_or_b64 s[30:31], s[30:31], exec
	s_cmp_eq_u64 s[26:27], s[34:35]
	s_cbranch_scc0 .LBB684_237
; %bb.240:                              ;   in Loop: Header=BB684_239 Depth=1
                                        ; implicit-def: $vgpr22_vgpr23
                                        ; implicit-def: $vgpr24_vgpr25
	s_mov_b64 s[34:35], s[12:13]
	s_branch .LBB684_238
.LBB684_241:
	v_mov_b64_e32 v[58:59], 0
	s_branch .LBB684_244
.LBB684_242:
	s_or_b64 exec, exec, s[28:29]
	v_cmp_gt_i64_e32 vcc, s[12:13], v[26:27]
	s_mov_b32 s26, 0
	v_mov_b32_e32 v59, s26
	v_cndmask_b32_e64 v58, 0, 1, vcc
.LBB684_243:
	s_or_b64 exec, exec, s[24:25]
.LBB684_244:
	s_or_b64 exec, exec, s[18:19]
	v_cmp_ne_u32_e32 vcc, 0, v0
	v_mov_b64_e32 v[22:23], s[16:17]
	s_waitcnt lgkmcnt(0)
	s_barrier
	s_and_saveexec_b64 s[16:17], vcc
	s_cbranch_execz .LBB684_246
; %bb.245:
	v_add_u32_e32 v22, -8, v40
	ds_read_b64 v[22:23], v22
.LBB684_246:
	s_or_b64 exec, exec, s[16:17]
	v_cmp_gt_u32_e32 vcc, s21, v1
                                        ; implicit-def: $sgpr18_sgpr19
	s_and_saveexec_b64 s[16:17], vcc
	s_cbranch_execz .LBB684_258
; %bb.247:
	s_and_b64 vcc, exec, s[2:3]
	s_cbranch_vccnz .LBB684_254
; %bb.248:
	v_mul_lo_u32 v1, v3, s12
	v_mul_lo_u32 v26, v2, s13
	v_mad_u64_u32 v[24:25], s[2:3], v2, s12, 0
	v_add3_u32 v25, v25, v26, v1
	s_waitcnt lgkmcnt(0)
	v_mul_lo_u32 v1, v23, s12
	v_mul_lo_u32 v26, v22, s13
	v_mad_u64_u32 v[22:23], s[2:3], v22, s12, 0
	v_add3_u32 v23, v23, v26, v1
	v_lshl_add_u64 v[24:25], v[24:25], 1, s[14:15]
	v_lshl_add_u64 v[22:23], v[22:23], 1, s[14:15]
	global_load_ushort v1, v[24:25], off
	global_load_ushort v26, v[22:23], off
	s_mov_b64 s[18:19], -1
	s_waitcnt vmcnt(0)
	v_cmp_eq_u16_e32 vcc, v1, v26
	s_and_saveexec_b64 s[2:3], vcc
	s_cbranch_execz .LBB684_256
; %bb.249:
	s_add_u32 s18, s12, -1
	v_lshl_add_u64 v[22:23], v[22:23], 0, 2
	v_lshl_add_u64 v[24:25], v[24:25], 0, 2
	s_addc_u32 s19, s13, -1
	s_mov_b64 s[24:25], 0
	s_mov_b64 s[28:29], 0
                                        ; implicit-def: $sgpr26_sgpr27
	s_branch .LBB684_252
.LBB684_250:                            ;   in Loop: Header=BB684_252 Depth=1
	global_load_ushort v1, v[24:25], off
	global_load_ushort v26, v[22:23], off
	s_add_u32 s28, s28, 1
	s_addc_u32 s29, s29, 0
	s_andn2_b64 s[26:27], s[26:27], exec
	v_lshl_add_u64 v[22:23], v[22:23], 0, 2
	v_lshl_add_u64 v[24:25], v[24:25], 0, 2
	s_waitcnt vmcnt(0)
	v_cmp_ne_u16_e32 vcc, v1, v26
	s_and_b64 s[30:31], vcc, exec
	s_or_b64 s[26:27], s[26:27], s[30:31]
.LBB684_251:                            ;   in Loop: Header=BB684_252 Depth=1
	s_and_b64 s[30:31], exec, s[26:27]
	s_or_b64 s[24:25], s[30:31], s[24:25]
	v_mov_b64_e32 v[26:27], s[28:29]
	s_andn2_b64 exec, exec, s[24:25]
	s_cbranch_execz .LBB684_255
.LBB684_252:                            ; =>This Inner Loop Header: Depth=1
	s_or_b64 s[26:27], s[26:27], exec
	s_cmp_eq_u64 s[18:19], s[28:29]
	s_cbranch_scc0 .LBB684_250
; %bb.253:                              ;   in Loop: Header=BB684_252 Depth=1
                                        ; implicit-def: $vgpr22_vgpr23
                                        ; implicit-def: $vgpr24_vgpr25
	s_mov_b64 s[28:29], s[12:13]
	s_branch .LBB684_251
.LBB684_254:
	s_mov_b64 s[18:19], 0
	s_branch .LBB684_257
.LBB684_255:
	s_or_b64 exec, exec, s[24:25]
	v_cmp_gt_i64_e32 vcc, s[12:13], v[26:27]
	s_orn2_b64 s[18:19], vcc, exec
.LBB684_256:
	s_or_b64 exec, exec, s[2:3]
.LBB684_257:
	s_and_b64 s[18:19], s[18:19], exec
	s_or_b64 s[22:23], s[22:23], exec
.LBB684_258:
	s_or_b64 exec, exec, s[16:17]
	v_mov_b64_e32 v[60:61], v[44:45]
	s_waitcnt lgkmcnt(0)
	v_mov_b64_e32 v[22:23], v[38:39]
	v_mov_b64_e32 v[68:69], v[58:59]
	;; [unrolled: 1-line block ×8, first 2 shown]
	s_branch .LBB684_488
.LBB684_259:
	s_cmp_lg_u64 s[4:5], 1
	s_cbranch_scc0 .LBB684_267
; %bb.260:
	v_mul_lo_u32 v1, v21, s12
	v_mul_lo_u32 v24, v20, s13
	s_waitcnt lgkmcnt(0)
	v_mad_u64_u32 v[22:23], s[16:17], v20, s12, 0
	v_mov_b64_e32 v[38:39], 0
	v_cmp_lt_i64_e64 s[2:3], s[12:13], 1
	v_add3_u32 v23, v23, v24, v1
	v_cmp_gt_i64_e64 s[4:5], s[12:13], 0
	s_and_b64 vcc, exec, s[2:3]
	v_lshl_add_u64 v[22:23], v[22:23], 1, s[14:15]
	v_mov_b64_e32 v[42:43], v[38:39]
	ds_write_b64 v40, v[36:37]
	s_cbranch_vccnz .LBB684_270
; %bb.261:
	v_mul_lo_u32 v1, v37, s12
	v_mul_lo_u32 v26, v36, s13
	v_mad_u64_u32 v[24:25], s[2:3], v36, s12, 0
	v_add3_u32 v25, v25, v26, v1
	v_lshl_add_u64 v[26:27], v[24:25], 1, s[14:15]
	global_load_ushort v1, v[26:27], off
	global_load_ushort v24, v[22:23], off
	v_mov_b64_e32 v[42:43], 1
	s_waitcnt vmcnt(0)
	v_cmp_eq_u16_e32 vcc, v1, v24
	s_and_saveexec_b64 s[2:3], vcc
	s_cbranch_execz .LBB684_269
; %bb.262:
	s_add_u32 s16, s12, -1
	v_lshl_add_u64 v[24:25], v[22:23], 0, 2
	v_lshl_add_u64 v[26:27], v[26:27], 0, 2
	s_addc_u32 s17, s13, -1
	s_mov_b64 s[18:19], 0
	s_mov_b64 s[26:27], 0
                                        ; implicit-def: $sgpr24_sgpr25
	s_branch .LBB684_265
.LBB684_263:                            ;   in Loop: Header=BB684_265 Depth=1
	global_load_ushort v1, v[26:27], off
	global_load_ushort v28, v[24:25], off
	s_add_u32 s26, s26, 1
	s_addc_u32 s27, s27, 0
	s_andn2_b64 s[24:25], s[24:25], exec
	v_lshl_add_u64 v[24:25], v[24:25], 0, 2
	v_lshl_add_u64 v[26:27], v[26:27], 0, 2
	s_waitcnt vmcnt(0)
	v_cmp_ne_u16_e32 vcc, v1, v28
	s_and_b64 s[28:29], vcc, exec
	s_or_b64 s[24:25], s[24:25], s[28:29]
.LBB684_264:                            ;   in Loop: Header=BB684_265 Depth=1
	s_and_b64 s[28:29], exec, s[24:25]
	s_or_b64 s[18:19], s[28:29], s[18:19]
	v_mov_b64_e32 v[28:29], s[26:27]
	s_andn2_b64 exec, exec, s[18:19]
	s_cbranch_execz .LBB684_268
.LBB684_265:                            ; =>This Inner Loop Header: Depth=1
	s_or_b64 s[24:25], s[24:25], exec
	s_cmp_eq_u64 s[16:17], s[26:27]
	s_cbranch_scc0 .LBB684_263
; %bb.266:                              ;   in Loop: Header=BB684_265 Depth=1
                                        ; implicit-def: $vgpr24_vgpr25
                                        ; implicit-def: $vgpr26_vgpr27
	s_mov_b64 s[26:27], s[12:13]
	s_branch .LBB684_264
.LBB684_267:
                                        ; implicit-def: $vgpr22_vgpr23_vgpr24_vgpr25
                                        ; implicit-def: $sgpr18_sgpr19
                                        ; implicit-def: $vgpr42_vgpr43
                                        ; implicit-def: $vgpr44_vgpr45
                                        ; implicit-def: $vgpr38_vgpr39
                                        ; implicit-def: $vgpr58_vgpr59
                                        ; implicit-def: $vgpr56_vgpr57
                                        ; implicit-def: $vgpr54_vgpr55
                                        ; implicit-def: $vgpr52_vgpr53
                                        ; implicit-def: $vgpr50_vgpr51
                                        ; implicit-def: $vgpr48_vgpr49
                                        ; implicit-def: $vgpr46_vgpr47
                                        ; implicit-def: $vgpr60_vgpr61
                                        ; implicit-def: $vgpr68_vgpr69
                                        ; implicit-def: $vgpr62_vgpr63
                                        ; implicit-def: $vgpr64_vgpr65
                                        ; implicit-def: $vgpr66_vgpr67
                                        ; implicit-def: $vgpr24_vgpr25_vgpr26_vgpr27
                                        ; implicit-def: $vgpr28_vgpr29_vgpr30_vgpr31
                                        ; implicit-def: $vgpr32_vgpr33_vgpr34_vgpr35
	s_cbranch_execnz .LBB684_365
	s_branch .LBB684_488
.LBB684_268:
	s_or_b64 exec, exec, s[18:19]
	v_cmp_gt_i64_e32 vcc, s[12:13], v[28:29]
	s_mov_b32 s16, 0
	v_mov_b32_e32 v43, s16
	v_cndmask_b32_e64 v42, 0, 1, vcc
.LBB684_269:
	s_or_b64 exec, exec, s[2:3]
.LBB684_270:
	v_mul_lo_u32 v1, v19, s12
	v_mul_lo_u32 v26, v18, s13
	v_mad_u64_u32 v[24:25], s[2:3], v18, s12, 0
	v_add3_u32 v25, v25, v26, v1
	v_cndmask_b32_e64 v1, 0, 1, s[4:5]
	v_cmp_ne_u32_e64 s[2:3], 1, v1
	s_andn2_b64 vcc, exec, s[4:5]
	v_lshl_add_u64 v[24:25], v[24:25], 1, s[14:15]
	v_mov_b64_e32 v[44:45], v[38:39]
	s_cbranch_vccnz .LBB684_279
; %bb.271:
	global_load_ushort v1, v[22:23], off
	global_load_ushort v26, v[24:25], off
	v_mov_b64_e32 v[44:45], 1
	s_waitcnt vmcnt(0)
	v_cmp_eq_u16_e32 vcc, v1, v26
	s_and_saveexec_b64 s[4:5], vcc
	s_cbranch_execz .LBB684_278
; %bb.272:
	s_add_u32 s16, s12, -1
	v_lshl_add_u64 v[26:27], v[24:25], 0, 2
	v_lshl_add_u64 v[22:23], v[22:23], 0, 2
	s_addc_u32 s17, s13, -1
	s_mov_b64 s[18:19], 0
	s_mov_b64 s[26:27], 0
                                        ; implicit-def: $sgpr24_sgpr25
	s_branch .LBB684_275
.LBB684_273:                            ;   in Loop: Header=BB684_275 Depth=1
	global_load_ushort v1, v[22:23], off
	global_load_ushort v28, v[26:27], off
	s_add_u32 s26, s26, 1
	s_addc_u32 s27, s27, 0
	s_andn2_b64 s[24:25], s[24:25], exec
	v_lshl_add_u64 v[26:27], v[26:27], 0, 2
	v_lshl_add_u64 v[22:23], v[22:23], 0, 2
	s_waitcnt vmcnt(0)
	v_cmp_ne_u16_e32 vcc, v1, v28
	s_and_b64 s[28:29], vcc, exec
	s_or_b64 s[24:25], s[24:25], s[28:29]
.LBB684_274:                            ;   in Loop: Header=BB684_275 Depth=1
	s_and_b64 s[28:29], exec, s[24:25]
	s_or_b64 s[18:19], s[28:29], s[18:19]
	v_mov_b64_e32 v[28:29], s[26:27]
	s_andn2_b64 exec, exec, s[18:19]
	s_cbranch_execz .LBB684_277
.LBB684_275:                            ; =>This Inner Loop Header: Depth=1
	s_or_b64 s[24:25], s[24:25], exec
	s_cmp_eq_u64 s[16:17], s[26:27]
	s_cbranch_scc0 .LBB684_273
; %bb.276:                              ;   in Loop: Header=BB684_275 Depth=1
                                        ; implicit-def: $vgpr26_vgpr27
                                        ; implicit-def: $vgpr22_vgpr23
	s_mov_b64 s[26:27], s[12:13]
	s_branch .LBB684_274
.LBB684_277:
	s_or_b64 exec, exec, s[18:19]
	v_cmp_gt_i64_e32 vcc, s[12:13], v[28:29]
	s_mov_b32 s16, 0
	v_mov_b32_e32 v45, s16
	v_cndmask_b32_e64 v44, 0, 1, vcc
.LBB684_278:
	s_or_b64 exec, exec, s[4:5]
.LBB684_279:
	v_mul_lo_u32 v1, v17, s12
	v_mul_lo_u32 v26, v16, s13
	v_mad_u64_u32 v[22:23], s[4:5], v16, s12, 0
	v_add3_u32 v23, v23, v26, v1
	s_and_b64 vcc, exec, s[2:3]
	v_lshl_add_u64 v[22:23], v[22:23], 1, s[14:15]
	s_cbranch_vccnz .LBB684_288
; %bb.280:
	global_load_ushort v1, v[24:25], off
	global_load_ushort v26, v[22:23], off
	v_mov_b64_e32 v[38:39], 1
	s_waitcnt vmcnt(0)
	v_cmp_eq_u16_e32 vcc, v1, v26
	s_and_saveexec_b64 s[4:5], vcc
	s_cbranch_execz .LBB684_287
; %bb.281:
	s_add_u32 s16, s12, -1
	v_lshl_add_u64 v[26:27], v[22:23], 0, 2
	v_lshl_add_u64 v[24:25], v[24:25], 0, 2
	s_addc_u32 s17, s13, -1
	s_mov_b64 s[18:19], 0
	s_mov_b64 s[26:27], 0
                                        ; implicit-def: $sgpr24_sgpr25
	s_branch .LBB684_284
.LBB684_282:                            ;   in Loop: Header=BB684_284 Depth=1
	global_load_ushort v1, v[24:25], off
	global_load_ushort v28, v[26:27], off
	s_add_u32 s26, s26, 1
	s_addc_u32 s27, s27, 0
	s_andn2_b64 s[24:25], s[24:25], exec
	v_lshl_add_u64 v[26:27], v[26:27], 0, 2
	v_lshl_add_u64 v[24:25], v[24:25], 0, 2
	s_waitcnt vmcnt(0)
	v_cmp_ne_u16_e32 vcc, v1, v28
	s_and_b64 s[28:29], vcc, exec
	s_or_b64 s[24:25], s[24:25], s[28:29]
.LBB684_283:                            ;   in Loop: Header=BB684_284 Depth=1
	s_and_b64 s[28:29], exec, s[24:25]
	s_or_b64 s[18:19], s[28:29], s[18:19]
	v_mov_b64_e32 v[28:29], s[26:27]
	s_andn2_b64 exec, exec, s[18:19]
	s_cbranch_execz .LBB684_286
.LBB684_284:                            ; =>This Inner Loop Header: Depth=1
	s_or_b64 s[24:25], s[24:25], exec
	s_cmp_eq_u64 s[16:17], s[26:27]
	s_cbranch_scc0 .LBB684_282
; %bb.285:                              ;   in Loop: Header=BB684_284 Depth=1
                                        ; implicit-def: $vgpr26_vgpr27
                                        ; implicit-def: $vgpr24_vgpr25
	s_mov_b64 s[26:27], s[12:13]
	s_branch .LBB684_283
.LBB684_286:
	s_or_b64 exec, exec, s[18:19]
	v_cmp_gt_i64_e32 vcc, s[12:13], v[28:29]
	s_mov_b32 s16, 0
	v_mov_b32_e32 v39, s16
	v_cndmask_b32_e64 v38, 0, 1, vcc
.LBB684_287:
	s_or_b64 exec, exec, s[4:5]
.LBB684_288:
	v_mul_lo_u32 v1, v15, s12
	v_mul_lo_u32 v26, v14, s13
	v_mad_u64_u32 v[24:25], s[4:5], v14, s12, 0
	v_add3_u32 v25, v25, v26, v1
	v_mov_b64_e32 v[48:49], 0
	s_and_b64 vcc, exec, s[2:3]
	v_lshl_add_u64 v[24:25], v[24:25], 1, s[14:15]
	v_mov_b64_e32 v[46:47], v[48:49]
	s_cbranch_vccnz .LBB684_297
; %bb.289:
	global_load_ushort v1, v[22:23], off
	global_load_ushort v26, v[24:25], off
	v_mov_b64_e32 v[46:47], 1
	s_waitcnt vmcnt(0)
	v_cmp_eq_u16_e32 vcc, v1, v26
	s_and_saveexec_b64 s[4:5], vcc
	s_cbranch_execz .LBB684_296
; %bb.290:
	s_add_u32 s16, s12, -1
	v_lshl_add_u64 v[26:27], v[24:25], 0, 2
	v_lshl_add_u64 v[22:23], v[22:23], 0, 2
	s_addc_u32 s17, s13, -1
	s_mov_b64 s[18:19], 0
	s_mov_b64 s[26:27], 0
                                        ; implicit-def: $sgpr24_sgpr25
	s_branch .LBB684_293
.LBB684_291:                            ;   in Loop: Header=BB684_293 Depth=1
	global_load_ushort v1, v[22:23], off
	global_load_ushort v28, v[26:27], off
	s_add_u32 s26, s26, 1
	s_addc_u32 s27, s27, 0
	s_andn2_b64 s[24:25], s[24:25], exec
	v_lshl_add_u64 v[26:27], v[26:27], 0, 2
	v_lshl_add_u64 v[22:23], v[22:23], 0, 2
	s_waitcnt vmcnt(0)
	v_cmp_ne_u16_e32 vcc, v1, v28
	s_and_b64 s[28:29], vcc, exec
	s_or_b64 s[24:25], s[24:25], s[28:29]
.LBB684_292:                            ;   in Loop: Header=BB684_293 Depth=1
	s_and_b64 s[28:29], exec, s[24:25]
	s_or_b64 s[18:19], s[28:29], s[18:19]
	v_mov_b64_e32 v[28:29], s[26:27]
	s_andn2_b64 exec, exec, s[18:19]
	s_cbranch_execz .LBB684_295
.LBB684_293:                            ; =>This Inner Loop Header: Depth=1
	s_or_b64 s[24:25], s[24:25], exec
	s_cmp_eq_u64 s[16:17], s[26:27]
	s_cbranch_scc0 .LBB684_291
; %bb.294:                              ;   in Loop: Header=BB684_293 Depth=1
                                        ; implicit-def: $vgpr26_vgpr27
                                        ; implicit-def: $vgpr22_vgpr23
	s_mov_b64 s[26:27], s[12:13]
	s_branch .LBB684_292
.LBB684_295:
	s_or_b64 exec, exec, s[18:19]
	v_cmp_gt_i64_e32 vcc, s[12:13], v[28:29]
	s_mov_b32 s16, 0
	v_mov_b32_e32 v47, s16
	v_cndmask_b32_e64 v46, 0, 1, vcc
.LBB684_296:
	s_or_b64 exec, exec, s[4:5]
.LBB684_297:
	v_mul_lo_u32 v1, v13, s12
	v_mul_lo_u32 v26, v12, s13
	v_mad_u64_u32 v[22:23], s[4:5], v12, s12, 0
	v_add3_u32 v23, v23, v26, v1
	s_and_b64 vcc, exec, s[2:3]
	v_lshl_add_u64 v[22:23], v[22:23], 1, s[14:15]
	s_cbranch_vccnz .LBB684_306
; %bb.298:
	global_load_ushort v1, v[24:25], off
	global_load_ushort v26, v[22:23], off
	v_mov_b64_e32 v[48:49], 1
	s_waitcnt vmcnt(0)
	v_cmp_eq_u16_e32 vcc, v1, v26
	s_and_saveexec_b64 s[4:5], vcc
	s_cbranch_execz .LBB684_305
; %bb.299:
	s_add_u32 s16, s12, -1
	v_lshl_add_u64 v[26:27], v[22:23], 0, 2
	v_lshl_add_u64 v[24:25], v[24:25], 0, 2
	s_addc_u32 s17, s13, -1
	s_mov_b64 s[18:19], 0
	s_mov_b64 s[26:27], 0
                                        ; implicit-def: $sgpr24_sgpr25
	s_branch .LBB684_302
.LBB684_300:                            ;   in Loop: Header=BB684_302 Depth=1
	global_load_ushort v1, v[24:25], off
	global_load_ushort v28, v[26:27], off
	s_add_u32 s26, s26, 1
	s_addc_u32 s27, s27, 0
	s_andn2_b64 s[24:25], s[24:25], exec
	v_lshl_add_u64 v[26:27], v[26:27], 0, 2
	v_lshl_add_u64 v[24:25], v[24:25], 0, 2
	s_waitcnt vmcnt(0)
	v_cmp_ne_u16_e32 vcc, v1, v28
	s_and_b64 s[28:29], vcc, exec
	s_or_b64 s[24:25], s[24:25], s[28:29]
.LBB684_301:                            ;   in Loop: Header=BB684_302 Depth=1
	s_and_b64 s[28:29], exec, s[24:25]
	s_or_b64 s[18:19], s[28:29], s[18:19]
	v_mov_b64_e32 v[28:29], s[26:27]
	s_andn2_b64 exec, exec, s[18:19]
	s_cbranch_execz .LBB684_304
.LBB684_302:                            ; =>This Inner Loop Header: Depth=1
	s_or_b64 s[24:25], s[24:25], exec
	s_cmp_eq_u64 s[16:17], s[26:27]
	s_cbranch_scc0 .LBB684_300
; %bb.303:                              ;   in Loop: Header=BB684_302 Depth=1
                                        ; implicit-def: $vgpr26_vgpr27
                                        ; implicit-def: $vgpr24_vgpr25
	s_mov_b64 s[26:27], s[12:13]
	s_branch .LBB684_301
.LBB684_304:
	s_or_b64 exec, exec, s[18:19]
	v_cmp_gt_i64_e32 vcc, s[12:13], v[28:29]
	s_mov_b32 s16, 0
	v_mov_b32_e32 v49, s16
	v_cndmask_b32_e64 v48, 0, 1, vcc
.LBB684_305:
	s_or_b64 exec, exec, s[4:5]
.LBB684_306:
	v_mul_lo_u32 v1, v11, s12
	v_mul_lo_u32 v26, v10, s13
	v_mad_u64_u32 v[24:25], s[4:5], v10, s12, 0
	v_add3_u32 v25, v25, v26, v1
	v_mov_b64_e32 v[52:53], 0
	s_and_b64 vcc, exec, s[2:3]
	v_lshl_add_u64 v[24:25], v[24:25], 1, s[14:15]
	v_mov_b64_e32 v[50:51], v[52:53]
	s_cbranch_vccnz .LBB684_315
; %bb.307:
	global_load_ushort v1, v[22:23], off
	global_load_ushort v26, v[24:25], off
	v_mov_b64_e32 v[50:51], 1
	s_waitcnt vmcnt(0)
	v_cmp_eq_u16_e32 vcc, v1, v26
	s_and_saveexec_b64 s[4:5], vcc
	s_cbranch_execz .LBB684_314
; %bb.308:
	s_add_u32 s16, s12, -1
	v_lshl_add_u64 v[26:27], v[24:25], 0, 2
	v_lshl_add_u64 v[22:23], v[22:23], 0, 2
	s_addc_u32 s17, s13, -1
	s_mov_b64 s[18:19], 0
	s_mov_b64 s[26:27], 0
                                        ; implicit-def: $sgpr24_sgpr25
	s_branch .LBB684_311
.LBB684_309:                            ;   in Loop: Header=BB684_311 Depth=1
	global_load_ushort v1, v[22:23], off
	global_load_ushort v28, v[26:27], off
	s_add_u32 s26, s26, 1
	s_addc_u32 s27, s27, 0
	s_andn2_b64 s[24:25], s[24:25], exec
	v_lshl_add_u64 v[26:27], v[26:27], 0, 2
	v_lshl_add_u64 v[22:23], v[22:23], 0, 2
	s_waitcnt vmcnt(0)
	v_cmp_ne_u16_e32 vcc, v1, v28
	s_and_b64 s[28:29], vcc, exec
	s_or_b64 s[24:25], s[24:25], s[28:29]
.LBB684_310:                            ;   in Loop: Header=BB684_311 Depth=1
	s_and_b64 s[28:29], exec, s[24:25]
	s_or_b64 s[18:19], s[28:29], s[18:19]
	v_mov_b64_e32 v[28:29], s[26:27]
	s_andn2_b64 exec, exec, s[18:19]
	s_cbranch_execz .LBB684_313
.LBB684_311:                            ; =>This Inner Loop Header: Depth=1
	s_or_b64 s[24:25], s[24:25], exec
	s_cmp_eq_u64 s[16:17], s[26:27]
	s_cbranch_scc0 .LBB684_309
; %bb.312:                              ;   in Loop: Header=BB684_311 Depth=1
                                        ; implicit-def: $vgpr26_vgpr27
                                        ; implicit-def: $vgpr22_vgpr23
	s_mov_b64 s[26:27], s[12:13]
	s_branch .LBB684_310
.LBB684_313:
	s_or_b64 exec, exec, s[18:19]
	v_cmp_gt_i64_e32 vcc, s[12:13], v[28:29]
	s_mov_b32 s16, 0
	v_mov_b32_e32 v51, s16
	v_cndmask_b32_e64 v50, 0, 1, vcc
.LBB684_314:
	s_or_b64 exec, exec, s[4:5]
.LBB684_315:
	v_mul_lo_u32 v1, v9, s12
	v_mul_lo_u32 v26, v8, s13
	v_mad_u64_u32 v[22:23], s[4:5], v8, s12, 0
	v_add3_u32 v23, v23, v26, v1
	s_and_b64 vcc, exec, s[2:3]
	v_lshl_add_u64 v[22:23], v[22:23], 1, s[14:15]
	s_cbranch_vccnz .LBB684_324
; %bb.316:
	global_load_ushort v1, v[24:25], off
	global_load_ushort v26, v[22:23], off
	v_mov_b64_e32 v[52:53], 1
	s_waitcnt vmcnt(0)
	v_cmp_eq_u16_e32 vcc, v1, v26
	s_and_saveexec_b64 s[4:5], vcc
	s_cbranch_execz .LBB684_323
; %bb.317:
	s_add_u32 s16, s12, -1
	v_lshl_add_u64 v[26:27], v[22:23], 0, 2
	v_lshl_add_u64 v[24:25], v[24:25], 0, 2
	s_addc_u32 s17, s13, -1
	s_mov_b64 s[18:19], 0
	s_mov_b64 s[26:27], 0
                                        ; implicit-def: $sgpr24_sgpr25
	s_branch .LBB684_320
.LBB684_318:                            ;   in Loop: Header=BB684_320 Depth=1
	global_load_ushort v1, v[24:25], off
	global_load_ushort v28, v[26:27], off
	s_add_u32 s26, s26, 1
	s_addc_u32 s27, s27, 0
	s_andn2_b64 s[24:25], s[24:25], exec
	v_lshl_add_u64 v[26:27], v[26:27], 0, 2
	v_lshl_add_u64 v[24:25], v[24:25], 0, 2
	s_waitcnt vmcnt(0)
	v_cmp_ne_u16_e32 vcc, v1, v28
	s_and_b64 s[28:29], vcc, exec
	s_or_b64 s[24:25], s[24:25], s[28:29]
.LBB684_319:                            ;   in Loop: Header=BB684_320 Depth=1
	s_and_b64 s[28:29], exec, s[24:25]
	s_or_b64 s[18:19], s[28:29], s[18:19]
	v_mov_b64_e32 v[28:29], s[26:27]
	s_andn2_b64 exec, exec, s[18:19]
	s_cbranch_execz .LBB684_322
.LBB684_320:                            ; =>This Inner Loop Header: Depth=1
	s_or_b64 s[24:25], s[24:25], exec
	s_cmp_eq_u64 s[16:17], s[26:27]
	s_cbranch_scc0 .LBB684_318
; %bb.321:                              ;   in Loop: Header=BB684_320 Depth=1
                                        ; implicit-def: $vgpr26_vgpr27
                                        ; implicit-def: $vgpr24_vgpr25
	s_mov_b64 s[26:27], s[12:13]
	s_branch .LBB684_319
.LBB684_322:
	s_or_b64 exec, exec, s[18:19]
	v_cmp_gt_i64_e32 vcc, s[12:13], v[28:29]
	s_mov_b32 s16, 0
	v_mov_b32_e32 v53, s16
	v_cndmask_b32_e64 v52, 0, 1, vcc
.LBB684_323:
	s_or_b64 exec, exec, s[4:5]
.LBB684_324:
	v_mul_lo_u32 v1, v7, s12
	v_mul_lo_u32 v26, v6, s13
	v_mad_u64_u32 v[24:25], s[4:5], v6, s12, 0
	v_add3_u32 v25, v25, v26, v1
	v_mov_b64_e32 v[56:57], 0
	s_and_b64 vcc, exec, s[2:3]
	v_lshl_add_u64 v[24:25], v[24:25], 1, s[14:15]
	v_mov_b64_e32 v[54:55], v[56:57]
	s_cbranch_vccnz .LBB684_333
; %bb.325:
	global_load_ushort v1, v[22:23], off
	global_load_ushort v26, v[24:25], off
	v_mov_b64_e32 v[54:55], 1
	s_waitcnt vmcnt(0)
	v_cmp_eq_u16_e32 vcc, v1, v26
	s_and_saveexec_b64 s[4:5], vcc
	s_cbranch_execz .LBB684_332
; %bb.326:
	s_add_u32 s16, s12, -1
	v_lshl_add_u64 v[26:27], v[24:25], 0, 2
	v_lshl_add_u64 v[22:23], v[22:23], 0, 2
	s_addc_u32 s17, s13, -1
	s_mov_b64 s[18:19], 0
	s_mov_b64 s[26:27], 0
                                        ; implicit-def: $sgpr24_sgpr25
	s_branch .LBB684_329
.LBB684_327:                            ;   in Loop: Header=BB684_329 Depth=1
	global_load_ushort v1, v[22:23], off
	global_load_ushort v28, v[26:27], off
	s_add_u32 s26, s26, 1
	s_addc_u32 s27, s27, 0
	s_andn2_b64 s[24:25], s[24:25], exec
	v_lshl_add_u64 v[26:27], v[26:27], 0, 2
	v_lshl_add_u64 v[22:23], v[22:23], 0, 2
	s_waitcnt vmcnt(0)
	v_cmp_ne_u16_e32 vcc, v1, v28
	s_and_b64 s[28:29], vcc, exec
	s_or_b64 s[24:25], s[24:25], s[28:29]
.LBB684_328:                            ;   in Loop: Header=BB684_329 Depth=1
	s_and_b64 s[28:29], exec, s[24:25]
	s_or_b64 s[18:19], s[28:29], s[18:19]
	v_mov_b64_e32 v[28:29], s[26:27]
	s_andn2_b64 exec, exec, s[18:19]
	s_cbranch_execz .LBB684_331
.LBB684_329:                            ; =>This Inner Loop Header: Depth=1
	s_or_b64 s[24:25], s[24:25], exec
	s_cmp_eq_u64 s[16:17], s[26:27]
	s_cbranch_scc0 .LBB684_327
; %bb.330:                              ;   in Loop: Header=BB684_329 Depth=1
                                        ; implicit-def: $vgpr26_vgpr27
                                        ; implicit-def: $vgpr22_vgpr23
	s_mov_b64 s[26:27], s[12:13]
	s_branch .LBB684_328
.LBB684_331:
	s_or_b64 exec, exec, s[18:19]
	v_cmp_gt_i64_e32 vcc, s[12:13], v[28:29]
	s_mov_b32 s16, 0
	v_mov_b32_e32 v55, s16
	v_cndmask_b32_e64 v54, 0, 1, vcc
.LBB684_332:
	s_or_b64 exec, exec, s[4:5]
.LBB684_333:
	v_mul_lo_u32 v1, v5, s12
	v_mul_lo_u32 v26, v4, s13
	v_mad_u64_u32 v[22:23], s[4:5], v4, s12, 0
	v_add3_u32 v23, v23, v26, v1
	s_and_b64 vcc, exec, s[2:3]
	v_lshl_add_u64 v[22:23], v[22:23], 1, s[14:15]
	s_cbranch_vccnz .LBB684_342
; %bb.334:
	global_load_ushort v1, v[24:25], off
	global_load_ushort v26, v[22:23], off
	v_mov_b64_e32 v[56:57], 1
	s_waitcnt vmcnt(0)
	v_cmp_eq_u16_e32 vcc, v1, v26
	s_and_saveexec_b64 s[4:5], vcc
	s_cbranch_execz .LBB684_341
; %bb.335:
	s_add_u32 s16, s12, -1
	v_lshl_add_u64 v[26:27], v[22:23], 0, 2
	v_lshl_add_u64 v[24:25], v[24:25], 0, 2
	s_addc_u32 s17, s13, -1
	s_mov_b64 s[18:19], 0
	s_mov_b64 s[26:27], 0
                                        ; implicit-def: $sgpr24_sgpr25
	s_branch .LBB684_338
.LBB684_336:                            ;   in Loop: Header=BB684_338 Depth=1
	global_load_ushort v1, v[24:25], off
	global_load_ushort v28, v[26:27], off
	s_add_u32 s26, s26, 1
	s_addc_u32 s27, s27, 0
	s_andn2_b64 s[24:25], s[24:25], exec
	v_lshl_add_u64 v[26:27], v[26:27], 0, 2
	v_lshl_add_u64 v[24:25], v[24:25], 0, 2
	s_waitcnt vmcnt(0)
	v_cmp_ne_u16_e32 vcc, v1, v28
	s_and_b64 s[28:29], vcc, exec
	s_or_b64 s[24:25], s[24:25], s[28:29]
.LBB684_337:                            ;   in Loop: Header=BB684_338 Depth=1
	s_and_b64 s[28:29], exec, s[24:25]
	s_or_b64 s[18:19], s[28:29], s[18:19]
	v_mov_b64_e32 v[28:29], s[26:27]
	s_andn2_b64 exec, exec, s[18:19]
	s_cbranch_execz .LBB684_340
.LBB684_338:                            ; =>This Inner Loop Header: Depth=1
	s_or_b64 s[24:25], s[24:25], exec
	s_cmp_eq_u64 s[16:17], s[26:27]
	s_cbranch_scc0 .LBB684_336
; %bb.339:                              ;   in Loop: Header=BB684_338 Depth=1
                                        ; implicit-def: $vgpr26_vgpr27
                                        ; implicit-def: $vgpr24_vgpr25
	s_mov_b64 s[26:27], s[12:13]
	s_branch .LBB684_337
.LBB684_340:
	s_or_b64 exec, exec, s[18:19]
	v_cmp_gt_i64_e32 vcc, s[12:13], v[28:29]
	s_mov_b32 s16, 0
	v_mov_b32_e32 v57, s16
	v_cndmask_b32_e64 v56, 0, 1, vcc
.LBB684_341:
	s_or_b64 exec, exec, s[4:5]
.LBB684_342:
	s_and_b64 vcc, exec, s[2:3]
	s_cbranch_vccnz .LBB684_349
; %bb.343:
	v_mul_lo_u32 v1, v3, s12
	v_mul_lo_u32 v26, v2, s13
	v_mad_u64_u32 v[24:25], s[4:5], v2, s12, 0
	v_add3_u32 v25, v25, v26, v1
	v_lshl_add_u64 v[24:25], v[24:25], 1, s[14:15]
	global_load_ushort v1, v[22:23], off
	global_load_ushort v26, v[24:25], off
	v_mov_b64_e32 v[58:59], 1
	s_waitcnt vmcnt(0)
	v_cmp_eq_u16_e32 vcc, v1, v26
	s_and_saveexec_b64 s[4:5], vcc
	s_cbranch_execz .LBB684_351
; %bb.344:
	s_add_u32 s16, s12, -1
	v_lshl_add_u64 v[24:25], v[24:25], 0, 2
	v_lshl_add_u64 v[22:23], v[22:23], 0, 2
	s_addc_u32 s17, s13, -1
	s_mov_b64 s[18:19], 0
	s_mov_b64 s[26:27], 0
                                        ; implicit-def: $sgpr24_sgpr25
	s_branch .LBB684_347
.LBB684_345:                            ;   in Loop: Header=BB684_347 Depth=1
	global_load_ushort v1, v[22:23], off
	global_load_ushort v26, v[24:25], off
	s_add_u32 s26, s26, 1
	s_addc_u32 s27, s27, 0
	s_andn2_b64 s[24:25], s[24:25], exec
	v_lshl_add_u64 v[24:25], v[24:25], 0, 2
	v_lshl_add_u64 v[22:23], v[22:23], 0, 2
	s_waitcnt vmcnt(0)
	v_cmp_ne_u16_e32 vcc, v1, v26
	s_and_b64 s[28:29], vcc, exec
	s_or_b64 s[24:25], s[24:25], s[28:29]
.LBB684_346:                            ;   in Loop: Header=BB684_347 Depth=1
	s_and_b64 s[28:29], exec, s[24:25]
	s_or_b64 s[18:19], s[28:29], s[18:19]
	v_mov_b64_e32 v[26:27], s[26:27]
	s_andn2_b64 exec, exec, s[18:19]
	s_cbranch_execz .LBB684_350
.LBB684_347:                            ; =>This Inner Loop Header: Depth=1
	s_or_b64 s[24:25], s[24:25], exec
	s_cmp_eq_u64 s[16:17], s[26:27]
	s_cbranch_scc0 .LBB684_345
; %bb.348:                              ;   in Loop: Header=BB684_347 Depth=1
                                        ; implicit-def: $vgpr24_vgpr25
                                        ; implicit-def: $vgpr22_vgpr23
	s_mov_b64 s[26:27], s[12:13]
	s_branch .LBB684_346
.LBB684_349:
	v_mov_b64_e32 v[58:59], 0
	s_branch .LBB684_352
.LBB684_350:
	s_or_b64 exec, exec, s[18:19]
	v_cmp_gt_i64_e32 vcc, s[12:13], v[26:27]
	s_mov_b32 s16, 0
	v_mov_b32_e32 v59, s16
	v_cndmask_b32_e64 v58, 0, 1, vcc
.LBB684_351:
	s_or_b64 exec, exec, s[4:5]
.LBB684_352:
	v_cmp_ne_u32_e32 vcc, 0, v0
	s_waitcnt lgkmcnt(0)
	s_barrier
	s_waitcnt lgkmcnt(0)
                                        ; implicit-def: $sgpr18_sgpr19
	s_and_saveexec_b64 s[4:5], vcc
	s_cbranch_execz .LBB684_364
; %bb.353:
	s_and_b64 vcc, exec, s[2:3]
	s_cbranch_vccnz .LBB684_360
; %bb.354:
	v_add_u32_e32 v22, -8, v40
	ds_read_b64 v[22:23], v22
	v_mul_lo_u32 v1, v3, s12
	v_mul_lo_u32 v26, v2, s13
	v_mad_u64_u32 v[24:25], s[2:3], v2, s12, 0
	v_add3_u32 v25, v25, v26, v1
	s_waitcnt lgkmcnt(0)
	v_mul_lo_u32 v1, v23, s12
	v_mul_lo_u32 v26, v22, s13
	v_mad_u64_u32 v[22:23], s[2:3], v22, s12, 0
	v_add3_u32 v23, v23, v26, v1
	v_lshl_add_u64 v[24:25], v[24:25], 1, s[14:15]
	v_lshl_add_u64 v[22:23], v[22:23], 1, s[14:15]
	global_load_ushort v1, v[24:25], off
	global_load_ushort v26, v[22:23], off
	s_mov_b64 s[16:17], -1
	s_waitcnt vmcnt(0)
	v_cmp_eq_u16_e32 vcc, v1, v26
	s_and_saveexec_b64 s[2:3], vcc
	s_cbranch_execz .LBB684_362
; %bb.355:
	s_add_u32 s16, s12, -1
	v_lshl_add_u64 v[22:23], v[22:23], 0, 2
	v_lshl_add_u64 v[24:25], v[24:25], 0, 2
	s_addc_u32 s17, s13, -1
	s_mov_b64 s[18:19], 0
	s_mov_b64 s[26:27], 0
                                        ; implicit-def: $sgpr24_sgpr25
	s_branch .LBB684_358
.LBB684_356:                            ;   in Loop: Header=BB684_358 Depth=1
	global_load_ushort v1, v[24:25], off
	global_load_ushort v26, v[22:23], off
	s_add_u32 s26, s26, 1
	s_addc_u32 s27, s27, 0
	s_andn2_b64 s[24:25], s[24:25], exec
	v_lshl_add_u64 v[22:23], v[22:23], 0, 2
	v_lshl_add_u64 v[24:25], v[24:25], 0, 2
	s_waitcnt vmcnt(0)
	v_cmp_ne_u16_e32 vcc, v1, v26
	s_and_b64 s[28:29], vcc, exec
	s_or_b64 s[24:25], s[24:25], s[28:29]
.LBB684_357:                            ;   in Loop: Header=BB684_358 Depth=1
	s_and_b64 s[28:29], exec, s[24:25]
	s_or_b64 s[18:19], s[28:29], s[18:19]
	v_mov_b64_e32 v[26:27], s[26:27]
	s_andn2_b64 exec, exec, s[18:19]
	s_cbranch_execz .LBB684_361
.LBB684_358:                            ; =>This Inner Loop Header: Depth=1
	s_or_b64 s[24:25], s[24:25], exec
	s_cmp_eq_u64 s[16:17], s[26:27]
	s_cbranch_scc0 .LBB684_356
; %bb.359:                              ;   in Loop: Header=BB684_358 Depth=1
                                        ; implicit-def: $vgpr22_vgpr23
                                        ; implicit-def: $vgpr24_vgpr25
	s_mov_b64 s[26:27], s[12:13]
	s_branch .LBB684_357
.LBB684_360:
	s_mov_b64 s[16:17], 0
	s_branch .LBB684_363
.LBB684_361:
	s_or_b64 exec, exec, s[18:19]
	v_cmp_gt_i64_e32 vcc, s[12:13], v[26:27]
	s_orn2_b64 s[16:17], vcc, exec
.LBB684_362:
	s_or_b64 exec, exec, s[2:3]
.LBB684_363:
	s_and_b64 s[18:19], s[16:17], exec
	s_or_b64 s[22:23], s[22:23], exec
.LBB684_364:
	s_or_b64 exec, exec, s[4:5]
	v_mov_b64_e32 v[60:61], v[44:45]
	v_mov_b64_e32 v[22:23], v[38:39]
	;; [unrolled: 1-line block ×9, first 2 shown]
	s_branch .LBB684_488
.LBB684_365:
	s_waitcnt lgkmcnt(0)
	v_mad_u32_u24 v22, v0, 11, 10
	v_cmp_gt_i64_e64 s[2:3], s[12:13], 0
	v_cmp_gt_u32_e32 vcc, s10, v22
	v_mul_u32_u24_e32 v1, 11, v0
	v_cndmask_b32_e64 v22, 0, 1, s[2:3]
	v_cmp_ne_u32_e64 s[2:3], 1, v22
	ds_write_b64 v40, v[36:37]
	s_and_saveexec_b64 s[4:5], vcc
	s_cbranch_execz .LBB684_376
; %bb.366:
	s_and_b64 vcc, exec, s[2:3]
	s_cbranch_vccnz .LBB684_373
; %bb.367:
	v_mul_lo_u32 v24, v37, s12
	v_mul_lo_u32 v25, v36, s13
	v_mad_u64_u32 v[22:23], s[16:17], v36, s12, 0
	v_add3_u32 v23, v23, v25, v24
	v_mul_lo_u32 v24, v21, s12
	v_mul_lo_u32 v25, v20, s13
	v_mad_u64_u32 v[26:27], s[16:17], v20, s12, 0
	v_add3_u32 v27, v27, v25, v24
	v_lshl_add_u64 v[24:25], v[22:23], 1, s[14:15]
	v_lshl_add_u64 v[22:23], v[26:27], 1, s[14:15]
	global_load_ushort v26, v[24:25], off
	global_load_ushort v27, v[22:23], off
	v_mov_b64_e32 v[36:37], 1
	s_waitcnt vmcnt(0)
	v_cmp_eq_u16_e32 vcc, v26, v27
	s_and_saveexec_b64 s[16:17], vcc
	s_cbranch_execz .LBB684_375
; %bb.368:
	s_add_u32 s18, s12, -1
	v_lshl_add_u64 v[22:23], v[22:23], 0, 2
	v_lshl_add_u64 v[24:25], v[24:25], 0, 2
	s_addc_u32 s19, s13, -1
	s_mov_b64 s[24:25], 0
	s_mov_b64 s[28:29], 0
                                        ; implicit-def: $sgpr26_sgpr27
	s_branch .LBB684_371
.LBB684_369:                            ;   in Loop: Header=BB684_371 Depth=1
	global_load_ushort v26, v[24:25], off
	global_load_ushort v27, v[22:23], off
	s_add_u32 s28, s28, 1
	s_addc_u32 s29, s29, 0
	s_andn2_b64 s[26:27], s[26:27], exec
	v_lshl_add_u64 v[22:23], v[22:23], 0, 2
	v_lshl_add_u64 v[24:25], v[24:25], 0, 2
	s_waitcnt vmcnt(0)
	v_cmp_ne_u16_e32 vcc, v26, v27
	s_and_b64 s[30:31], vcc, exec
	s_or_b64 s[26:27], s[26:27], s[30:31]
.LBB684_370:                            ;   in Loop: Header=BB684_371 Depth=1
	s_and_b64 s[30:31], exec, s[26:27]
	s_or_b64 s[24:25], s[30:31], s[24:25]
	v_mov_b64_e32 v[26:27], s[28:29]
	s_andn2_b64 exec, exec, s[24:25]
	s_cbranch_execz .LBB684_374
.LBB684_371:                            ; =>This Inner Loop Header: Depth=1
	s_or_b64 s[26:27], s[26:27], exec
	s_cmp_eq_u64 s[18:19], s[28:29]
	s_cbranch_scc0 .LBB684_369
; %bb.372:                              ;   in Loop: Header=BB684_371 Depth=1
                                        ; implicit-def: $vgpr22_vgpr23
                                        ; implicit-def: $vgpr24_vgpr25
	s_mov_b64 s[28:29], s[12:13]
	s_branch .LBB684_370
.LBB684_373:
	v_mov_b64_e32 v[36:37], 0
	s_branch .LBB684_376
.LBB684_374:
	s_or_b64 exec, exec, s[24:25]
	v_cmp_gt_i64_e32 vcc, s[12:13], v[26:27]
	s_mov_b32 s18, 0
	v_mov_b32_e32 v37, s18
	v_cndmask_b32_e64 v36, 0, 1, vcc
.LBB684_375:
	s_or_b64 exec, exec, s[16:17]
.LBB684_376:
	s_or_b64 exec, exec, s[4:5]
	v_add_u32_e32 v22, 9, v1
	v_cmp_gt_u32_e32 vcc, s10, v22
	s_and_saveexec_b64 s[4:5], vcc
	s_cbranch_execz .LBB684_387
; %bb.377:
	s_and_b64 vcc, exec, s[2:3]
	s_cbranch_vccnz .LBB684_384
; %bb.378:
	v_mul_lo_u32 v22, v21, s12
	v_mul_lo_u32 v23, v20, s13
	v_mad_u64_u32 v[20:21], s[16:17], v20, s12, 0
	v_add3_u32 v21, v21, v23, v22
	v_mul_lo_u32 v22, v19, s12
	v_mul_lo_u32 v23, v18, s13
	v_mad_u64_u32 v[24:25], s[16:17], v18, s12, 0
	v_add3_u32 v25, v25, v23, v22
	v_lshl_add_u64 v[22:23], v[20:21], 1, s[14:15]
	v_lshl_add_u64 v[24:25], v[24:25], 1, s[14:15]
	global_load_ushort v20, v[22:23], off
	global_load_ushort v21, v[24:25], off
	s_waitcnt vmcnt(0)
	v_cmp_eq_u16_e32 vcc, v20, v21
	v_mov_b64_e32 v[20:21], 1
	s_and_saveexec_b64 s[16:17], vcc
	s_cbranch_execz .LBB684_386
; %bb.379:
	s_add_u32 s18, s12, -1
	v_lshl_add_u64 v[20:21], v[24:25], 0, 2
	v_lshl_add_u64 v[22:23], v[22:23], 0, 2
	s_addc_u32 s19, s13, -1
	s_mov_b64 s[24:25], 0
	s_mov_b64 s[28:29], 0
                                        ; implicit-def: $sgpr26_sgpr27
	s_branch .LBB684_382
.LBB684_380:                            ;   in Loop: Header=BB684_382 Depth=1
	global_load_ushort v24, v[22:23], off
	global_load_ushort v25, v[20:21], off
	s_add_u32 s28, s28, 1
	s_addc_u32 s29, s29, 0
	s_andn2_b64 s[26:27], s[26:27], exec
	v_lshl_add_u64 v[20:21], v[20:21], 0, 2
	v_lshl_add_u64 v[22:23], v[22:23], 0, 2
	s_waitcnt vmcnt(0)
	v_cmp_ne_u16_e32 vcc, v24, v25
	s_and_b64 s[30:31], vcc, exec
	s_or_b64 s[26:27], s[26:27], s[30:31]
.LBB684_381:                            ;   in Loop: Header=BB684_382 Depth=1
	s_and_b64 s[30:31], exec, s[26:27]
	s_or_b64 s[24:25], s[30:31], s[24:25]
	v_mov_b64_e32 v[24:25], s[28:29]
	s_andn2_b64 exec, exec, s[24:25]
	s_cbranch_execz .LBB684_385
.LBB684_382:                            ; =>This Inner Loop Header: Depth=1
	s_or_b64 s[26:27], s[26:27], exec
	s_cmp_eq_u64 s[18:19], s[28:29]
	s_cbranch_scc0 .LBB684_380
; %bb.383:                              ;   in Loop: Header=BB684_382 Depth=1
                                        ; implicit-def: $vgpr20_vgpr21
                                        ; implicit-def: $vgpr22_vgpr23
	s_mov_b64 s[28:29], s[12:13]
	s_branch .LBB684_381
.LBB684_384:
	v_mov_b64_e32 v[20:21], 0
	s_branch .LBB684_387
.LBB684_385:
	s_or_b64 exec, exec, s[24:25]
	v_cmp_gt_i64_e32 vcc, s[12:13], v[24:25]
	s_mov_b32 s18, 0
	v_mov_b32_e32 v21, s18
	v_cndmask_b32_e64 v20, 0, 1, vcc
.LBB684_386:
	s_or_b64 exec, exec, s[16:17]
.LBB684_387:
	s_or_b64 exec, exec, s[4:5]
	v_add_u32_e32 v22, 8, v1
	v_cmp_gt_u32_e32 vcc, s10, v22
	s_and_saveexec_b64 s[4:5], vcc
	s_cbranch_execz .LBB684_398
; %bb.388:
	s_and_b64 vcc, exec, s[2:3]
	s_cbranch_vccnz .LBB684_395
; %bb.389:
	v_mul_lo_u32 v22, v19, s12
	v_mul_lo_u32 v23, v18, s13
	v_mad_u64_u32 v[18:19], s[16:17], v18, s12, 0
	v_add3_u32 v19, v19, v23, v22
	v_mul_lo_u32 v22, v17, s12
	v_mul_lo_u32 v23, v16, s13
	v_mad_u64_u32 v[24:25], s[16:17], v16, s12, 0
	v_add3_u32 v25, v25, v23, v22
	v_lshl_add_u64 v[22:23], v[18:19], 1, s[14:15]
	v_lshl_add_u64 v[24:25], v[24:25], 1, s[14:15]
	global_load_ushort v18, v[22:23], off
	global_load_ushort v19, v[24:25], off
	s_waitcnt vmcnt(0)
	v_cmp_eq_u16_e32 vcc, v18, v19
	v_mov_b64_e32 v[18:19], 1
	s_and_saveexec_b64 s[16:17], vcc
	s_cbranch_execz .LBB684_397
; %bb.390:
	s_add_u32 s18, s12, -1
	v_lshl_add_u64 v[18:19], v[24:25], 0, 2
	v_lshl_add_u64 v[22:23], v[22:23], 0, 2
	s_addc_u32 s19, s13, -1
	s_mov_b64 s[24:25], 0
	s_mov_b64 s[28:29], 0
                                        ; implicit-def: $sgpr26_sgpr27
	s_branch .LBB684_393
.LBB684_391:                            ;   in Loop: Header=BB684_393 Depth=1
	global_load_ushort v24, v[22:23], off
	global_load_ushort v25, v[18:19], off
	s_add_u32 s28, s28, 1
	s_addc_u32 s29, s29, 0
	s_andn2_b64 s[26:27], s[26:27], exec
	v_lshl_add_u64 v[18:19], v[18:19], 0, 2
	v_lshl_add_u64 v[22:23], v[22:23], 0, 2
	s_waitcnt vmcnt(0)
	v_cmp_ne_u16_e32 vcc, v24, v25
	s_and_b64 s[30:31], vcc, exec
	s_or_b64 s[26:27], s[26:27], s[30:31]
.LBB684_392:                            ;   in Loop: Header=BB684_393 Depth=1
	s_and_b64 s[30:31], exec, s[26:27]
	s_or_b64 s[24:25], s[30:31], s[24:25]
	v_mov_b64_e32 v[24:25], s[28:29]
	s_andn2_b64 exec, exec, s[24:25]
	s_cbranch_execz .LBB684_396
.LBB684_393:                            ; =>This Inner Loop Header: Depth=1
	s_or_b64 s[26:27], s[26:27], exec
	s_cmp_eq_u64 s[18:19], s[28:29]
	s_cbranch_scc0 .LBB684_391
; %bb.394:                              ;   in Loop: Header=BB684_393 Depth=1
                                        ; implicit-def: $vgpr18_vgpr19
                                        ; implicit-def: $vgpr22_vgpr23
	s_mov_b64 s[28:29], s[12:13]
	s_branch .LBB684_392
.LBB684_395:
	v_mov_b64_e32 v[18:19], 0
	s_branch .LBB684_398
.LBB684_396:
	s_or_b64 exec, exec, s[24:25]
	v_cmp_gt_i64_e32 vcc, s[12:13], v[24:25]
	s_mov_b32 s18, 0
	v_mov_b32_e32 v19, s18
	v_cndmask_b32_e64 v18, 0, 1, vcc
.LBB684_397:
	s_or_b64 exec, exec, s[16:17]
.LBB684_398:
	s_or_b64 exec, exec, s[4:5]
	v_add_u32_e32 v22, 7, v1
	v_cmp_gt_u32_e32 vcc, s10, v22
	s_and_saveexec_b64 s[4:5], vcc
	s_cbranch_execz .LBB684_409
; %bb.399:
	s_and_b64 vcc, exec, s[2:3]
	s_cbranch_vccnz .LBB684_406
; %bb.400:
	v_mul_lo_u32 v22, v17, s12
	v_mul_lo_u32 v23, v16, s13
	v_mad_u64_u32 v[16:17], s[16:17], v16, s12, 0
	v_add3_u32 v17, v17, v23, v22
	v_mul_lo_u32 v22, v15, s12
	v_mul_lo_u32 v23, v14, s13
	v_mad_u64_u32 v[24:25], s[16:17], v14, s12, 0
	v_add3_u32 v25, v25, v23, v22
	v_lshl_add_u64 v[22:23], v[16:17], 1, s[14:15]
	v_lshl_add_u64 v[24:25], v[24:25], 1, s[14:15]
	global_load_ushort v16, v[22:23], off
	global_load_ushort v17, v[24:25], off
	s_waitcnt vmcnt(0)
	v_cmp_eq_u16_e32 vcc, v16, v17
	v_mov_b64_e32 v[16:17], 1
	s_and_saveexec_b64 s[16:17], vcc
	s_cbranch_execz .LBB684_408
; %bb.401:
	s_add_u32 s18, s12, -1
	v_lshl_add_u64 v[16:17], v[24:25], 0, 2
	v_lshl_add_u64 v[22:23], v[22:23], 0, 2
	s_addc_u32 s19, s13, -1
	s_mov_b64 s[24:25], 0
	s_mov_b64 s[28:29], 0
                                        ; implicit-def: $sgpr26_sgpr27
	s_branch .LBB684_404
.LBB684_402:                            ;   in Loop: Header=BB684_404 Depth=1
	global_load_ushort v24, v[22:23], off
	global_load_ushort v25, v[16:17], off
	s_add_u32 s28, s28, 1
	s_addc_u32 s29, s29, 0
	s_andn2_b64 s[26:27], s[26:27], exec
	v_lshl_add_u64 v[16:17], v[16:17], 0, 2
	v_lshl_add_u64 v[22:23], v[22:23], 0, 2
	s_waitcnt vmcnt(0)
	v_cmp_ne_u16_e32 vcc, v24, v25
	s_and_b64 s[30:31], vcc, exec
	s_or_b64 s[26:27], s[26:27], s[30:31]
.LBB684_403:                            ;   in Loop: Header=BB684_404 Depth=1
	s_and_b64 s[30:31], exec, s[26:27]
	s_or_b64 s[24:25], s[30:31], s[24:25]
	v_mov_b64_e32 v[24:25], s[28:29]
	s_andn2_b64 exec, exec, s[24:25]
	s_cbranch_execz .LBB684_407
.LBB684_404:                            ; =>This Inner Loop Header: Depth=1
	s_or_b64 s[26:27], s[26:27], exec
	s_cmp_eq_u64 s[18:19], s[28:29]
	s_cbranch_scc0 .LBB684_402
; %bb.405:                              ;   in Loop: Header=BB684_404 Depth=1
                                        ; implicit-def: $vgpr16_vgpr17
                                        ; implicit-def: $vgpr22_vgpr23
	s_mov_b64 s[28:29], s[12:13]
	s_branch .LBB684_403
.LBB684_406:
	v_mov_b64_e32 v[16:17], 0
	s_branch .LBB684_409
.LBB684_407:
	s_or_b64 exec, exec, s[24:25]
	v_cmp_gt_i64_e32 vcc, s[12:13], v[24:25]
	s_mov_b32 s18, 0
	v_mov_b32_e32 v17, s18
	v_cndmask_b32_e64 v16, 0, 1, vcc
.LBB684_408:
	s_or_b64 exec, exec, s[16:17]
.LBB684_409:
	s_or_b64 exec, exec, s[4:5]
	v_add_u32_e32 v22, 6, v1
	v_cmp_gt_u32_e32 vcc, s10, v22
	s_and_saveexec_b64 s[4:5], vcc
	s_cbranch_execz .LBB684_420
; %bb.410:
	s_and_b64 vcc, exec, s[2:3]
	s_cbranch_vccnz .LBB684_417
; %bb.411:
	v_mul_lo_u32 v22, v15, s12
	v_mul_lo_u32 v23, v14, s13
	v_mad_u64_u32 v[14:15], s[16:17], v14, s12, 0
	v_add3_u32 v15, v15, v23, v22
	v_mul_lo_u32 v22, v13, s12
	v_mul_lo_u32 v23, v12, s13
	v_mad_u64_u32 v[24:25], s[16:17], v12, s12, 0
	v_add3_u32 v25, v25, v23, v22
	v_lshl_add_u64 v[22:23], v[14:15], 1, s[14:15]
	v_lshl_add_u64 v[24:25], v[24:25], 1, s[14:15]
	global_load_ushort v14, v[22:23], off
	global_load_ushort v15, v[24:25], off
	s_waitcnt vmcnt(0)
	v_cmp_eq_u16_e32 vcc, v14, v15
	v_mov_b64_e32 v[14:15], 1
	s_and_saveexec_b64 s[16:17], vcc
	s_cbranch_execz .LBB684_419
; %bb.412:
	s_add_u32 s18, s12, -1
	v_lshl_add_u64 v[14:15], v[24:25], 0, 2
	v_lshl_add_u64 v[22:23], v[22:23], 0, 2
	s_addc_u32 s19, s13, -1
	s_mov_b64 s[24:25], 0
	s_mov_b64 s[28:29], 0
                                        ; implicit-def: $sgpr26_sgpr27
	s_branch .LBB684_415
.LBB684_413:                            ;   in Loop: Header=BB684_415 Depth=1
	global_load_ushort v24, v[22:23], off
	global_load_ushort v25, v[14:15], off
	s_add_u32 s28, s28, 1
	s_addc_u32 s29, s29, 0
	s_andn2_b64 s[26:27], s[26:27], exec
	v_lshl_add_u64 v[14:15], v[14:15], 0, 2
	v_lshl_add_u64 v[22:23], v[22:23], 0, 2
	s_waitcnt vmcnt(0)
	v_cmp_ne_u16_e32 vcc, v24, v25
	s_and_b64 s[30:31], vcc, exec
	s_or_b64 s[26:27], s[26:27], s[30:31]
.LBB684_414:                            ;   in Loop: Header=BB684_415 Depth=1
	s_and_b64 s[30:31], exec, s[26:27]
	s_or_b64 s[24:25], s[30:31], s[24:25]
	v_mov_b64_e32 v[24:25], s[28:29]
	s_andn2_b64 exec, exec, s[24:25]
	s_cbranch_execz .LBB684_418
.LBB684_415:                            ; =>This Inner Loop Header: Depth=1
	s_or_b64 s[26:27], s[26:27], exec
	s_cmp_eq_u64 s[18:19], s[28:29]
	s_cbranch_scc0 .LBB684_413
; %bb.416:                              ;   in Loop: Header=BB684_415 Depth=1
                                        ; implicit-def: $vgpr14_vgpr15
                                        ; implicit-def: $vgpr22_vgpr23
	s_mov_b64 s[28:29], s[12:13]
	s_branch .LBB684_414
.LBB684_417:
	v_mov_b64_e32 v[14:15], 0
	s_branch .LBB684_420
.LBB684_418:
	s_or_b64 exec, exec, s[24:25]
	v_cmp_gt_i64_e32 vcc, s[12:13], v[24:25]
	s_mov_b32 s18, 0
	v_mov_b32_e32 v15, s18
	v_cndmask_b32_e64 v14, 0, 1, vcc
.LBB684_419:
	s_or_b64 exec, exec, s[16:17]
.LBB684_420:
	s_or_b64 exec, exec, s[4:5]
	v_add_u32_e32 v22, 5, v1
	v_cmp_gt_u32_e32 vcc, s10, v22
	s_and_saveexec_b64 s[4:5], vcc
	s_cbranch_execz .LBB684_431
; %bb.421:
	s_and_b64 vcc, exec, s[2:3]
	s_cbranch_vccnz .LBB684_428
; %bb.422:
	v_mul_lo_u32 v22, v13, s12
	v_mul_lo_u32 v23, v12, s13
	v_mad_u64_u32 v[12:13], s[16:17], v12, s12, 0
	v_add3_u32 v13, v13, v23, v22
	v_mul_lo_u32 v22, v11, s12
	v_mul_lo_u32 v23, v10, s13
	v_mad_u64_u32 v[24:25], s[16:17], v10, s12, 0
	v_add3_u32 v25, v25, v23, v22
	v_lshl_add_u64 v[22:23], v[12:13], 1, s[14:15]
	v_lshl_add_u64 v[24:25], v[24:25], 1, s[14:15]
	global_load_ushort v12, v[22:23], off
	global_load_ushort v13, v[24:25], off
	s_waitcnt vmcnt(0)
	v_cmp_eq_u16_e32 vcc, v12, v13
	v_mov_b64_e32 v[12:13], 1
	s_and_saveexec_b64 s[16:17], vcc
	s_cbranch_execz .LBB684_430
; %bb.423:
	s_add_u32 s18, s12, -1
	v_lshl_add_u64 v[12:13], v[24:25], 0, 2
	v_lshl_add_u64 v[22:23], v[22:23], 0, 2
	s_addc_u32 s19, s13, -1
	s_mov_b64 s[24:25], 0
	s_mov_b64 s[28:29], 0
                                        ; implicit-def: $sgpr26_sgpr27
	s_branch .LBB684_426
.LBB684_424:                            ;   in Loop: Header=BB684_426 Depth=1
	global_load_ushort v24, v[22:23], off
	global_load_ushort v25, v[12:13], off
	s_add_u32 s28, s28, 1
	s_addc_u32 s29, s29, 0
	s_andn2_b64 s[26:27], s[26:27], exec
	v_lshl_add_u64 v[12:13], v[12:13], 0, 2
	v_lshl_add_u64 v[22:23], v[22:23], 0, 2
	s_waitcnt vmcnt(0)
	v_cmp_ne_u16_e32 vcc, v24, v25
	s_and_b64 s[30:31], vcc, exec
	s_or_b64 s[26:27], s[26:27], s[30:31]
.LBB684_425:                            ;   in Loop: Header=BB684_426 Depth=1
	s_and_b64 s[30:31], exec, s[26:27]
	s_or_b64 s[24:25], s[30:31], s[24:25]
	v_mov_b64_e32 v[24:25], s[28:29]
	s_andn2_b64 exec, exec, s[24:25]
	s_cbranch_execz .LBB684_429
.LBB684_426:                            ; =>This Inner Loop Header: Depth=1
	s_or_b64 s[26:27], s[26:27], exec
	s_cmp_eq_u64 s[18:19], s[28:29]
	s_cbranch_scc0 .LBB684_424
; %bb.427:                              ;   in Loop: Header=BB684_426 Depth=1
                                        ; implicit-def: $vgpr12_vgpr13
                                        ; implicit-def: $vgpr22_vgpr23
	s_mov_b64 s[28:29], s[12:13]
	s_branch .LBB684_425
.LBB684_428:
	v_mov_b64_e32 v[12:13], 0
	s_branch .LBB684_431
.LBB684_429:
	s_or_b64 exec, exec, s[24:25]
	v_cmp_gt_i64_e32 vcc, s[12:13], v[24:25]
	s_mov_b32 s18, 0
	v_mov_b32_e32 v13, s18
	v_cndmask_b32_e64 v12, 0, 1, vcc
.LBB684_430:
	s_or_b64 exec, exec, s[16:17]
.LBB684_431:
	s_or_b64 exec, exec, s[4:5]
	v_add_u32_e32 v22, 4, v1
	v_cmp_gt_u32_e32 vcc, s10, v22
	s_and_saveexec_b64 s[4:5], vcc
	s_cbranch_execz .LBB684_442
; %bb.432:
	s_and_b64 vcc, exec, s[2:3]
	s_cbranch_vccnz .LBB684_439
; %bb.433:
	v_mul_lo_u32 v22, v11, s12
	v_mul_lo_u32 v23, v10, s13
	v_mad_u64_u32 v[10:11], s[16:17], v10, s12, 0
	v_add3_u32 v11, v11, v23, v22
	v_mul_lo_u32 v22, v9, s12
	v_mul_lo_u32 v23, v8, s13
	v_mad_u64_u32 v[24:25], s[16:17], v8, s12, 0
	v_add3_u32 v25, v25, v23, v22
	v_lshl_add_u64 v[22:23], v[10:11], 1, s[14:15]
	v_lshl_add_u64 v[24:25], v[24:25], 1, s[14:15]
	global_load_ushort v10, v[22:23], off
	global_load_ushort v11, v[24:25], off
	s_waitcnt vmcnt(0)
	v_cmp_eq_u16_e32 vcc, v10, v11
	v_mov_b64_e32 v[10:11], 1
	s_and_saveexec_b64 s[16:17], vcc
	s_cbranch_execz .LBB684_441
; %bb.434:
	s_add_u32 s18, s12, -1
	v_lshl_add_u64 v[10:11], v[24:25], 0, 2
	v_lshl_add_u64 v[22:23], v[22:23], 0, 2
	s_addc_u32 s19, s13, -1
	s_mov_b64 s[24:25], 0
	s_mov_b64 s[28:29], 0
                                        ; implicit-def: $sgpr26_sgpr27
	s_branch .LBB684_437
.LBB684_435:                            ;   in Loop: Header=BB684_437 Depth=1
	global_load_ushort v24, v[22:23], off
	global_load_ushort v25, v[10:11], off
	s_add_u32 s28, s28, 1
	s_addc_u32 s29, s29, 0
	s_andn2_b64 s[26:27], s[26:27], exec
	v_lshl_add_u64 v[10:11], v[10:11], 0, 2
	v_lshl_add_u64 v[22:23], v[22:23], 0, 2
	s_waitcnt vmcnt(0)
	v_cmp_ne_u16_e32 vcc, v24, v25
	s_and_b64 s[30:31], vcc, exec
	s_or_b64 s[26:27], s[26:27], s[30:31]
.LBB684_436:                            ;   in Loop: Header=BB684_437 Depth=1
	s_and_b64 s[30:31], exec, s[26:27]
	s_or_b64 s[24:25], s[30:31], s[24:25]
	v_mov_b64_e32 v[24:25], s[28:29]
	s_andn2_b64 exec, exec, s[24:25]
	s_cbranch_execz .LBB684_440
.LBB684_437:                            ; =>This Inner Loop Header: Depth=1
	s_or_b64 s[26:27], s[26:27], exec
	s_cmp_eq_u64 s[18:19], s[28:29]
	s_cbranch_scc0 .LBB684_435
; %bb.438:                              ;   in Loop: Header=BB684_437 Depth=1
                                        ; implicit-def: $vgpr10_vgpr11
                                        ; implicit-def: $vgpr22_vgpr23
	s_mov_b64 s[28:29], s[12:13]
	s_branch .LBB684_436
.LBB684_439:
	v_mov_b64_e32 v[10:11], 0
	s_branch .LBB684_442
.LBB684_440:
	s_or_b64 exec, exec, s[24:25]
	v_cmp_gt_i64_e32 vcc, s[12:13], v[24:25]
	s_mov_b32 s18, 0
	v_mov_b32_e32 v11, s18
	v_cndmask_b32_e64 v10, 0, 1, vcc
.LBB684_441:
	s_or_b64 exec, exec, s[16:17]
.LBB684_442:
	s_or_b64 exec, exec, s[4:5]
	v_add_u32_e32 v22, 3, v1
	v_cmp_gt_u32_e32 vcc, s10, v22
	s_and_saveexec_b64 s[4:5], vcc
	s_cbranch_execz .LBB684_453
; %bb.443:
	s_and_b64 vcc, exec, s[2:3]
	s_cbranch_vccnz .LBB684_450
; %bb.444:
	v_mul_lo_u32 v22, v9, s12
	v_mul_lo_u32 v23, v8, s13
	v_mad_u64_u32 v[8:9], s[16:17], v8, s12, 0
	v_add3_u32 v9, v9, v23, v22
	v_mul_lo_u32 v22, v7, s12
	v_mul_lo_u32 v23, v6, s13
	v_mad_u64_u32 v[24:25], s[16:17], v6, s12, 0
	v_add3_u32 v25, v25, v23, v22
	v_lshl_add_u64 v[22:23], v[8:9], 1, s[14:15]
	v_lshl_add_u64 v[24:25], v[24:25], 1, s[14:15]
	global_load_ushort v8, v[22:23], off
	global_load_ushort v9, v[24:25], off
	s_waitcnt vmcnt(0)
	v_cmp_eq_u16_e32 vcc, v8, v9
	v_mov_b64_e32 v[8:9], 1
	s_and_saveexec_b64 s[16:17], vcc
	s_cbranch_execz .LBB684_452
; %bb.445:
	s_add_u32 s18, s12, -1
	v_lshl_add_u64 v[8:9], v[24:25], 0, 2
	v_lshl_add_u64 v[22:23], v[22:23], 0, 2
	s_addc_u32 s19, s13, -1
	s_mov_b64 s[24:25], 0
	s_mov_b64 s[28:29], 0
                                        ; implicit-def: $sgpr26_sgpr27
	s_branch .LBB684_448
.LBB684_446:                            ;   in Loop: Header=BB684_448 Depth=1
	global_load_ushort v24, v[22:23], off
	global_load_ushort v25, v[8:9], off
	s_add_u32 s28, s28, 1
	s_addc_u32 s29, s29, 0
	s_andn2_b64 s[26:27], s[26:27], exec
	v_lshl_add_u64 v[8:9], v[8:9], 0, 2
	v_lshl_add_u64 v[22:23], v[22:23], 0, 2
	s_waitcnt vmcnt(0)
	v_cmp_ne_u16_e32 vcc, v24, v25
	s_and_b64 s[30:31], vcc, exec
	s_or_b64 s[26:27], s[26:27], s[30:31]
.LBB684_447:                            ;   in Loop: Header=BB684_448 Depth=1
	s_and_b64 s[30:31], exec, s[26:27]
	s_or_b64 s[24:25], s[30:31], s[24:25]
	v_mov_b64_e32 v[24:25], s[28:29]
	s_andn2_b64 exec, exec, s[24:25]
	s_cbranch_execz .LBB684_451
.LBB684_448:                            ; =>This Inner Loop Header: Depth=1
	s_or_b64 s[26:27], s[26:27], exec
	s_cmp_eq_u64 s[18:19], s[28:29]
	s_cbranch_scc0 .LBB684_446
; %bb.449:                              ;   in Loop: Header=BB684_448 Depth=1
                                        ; implicit-def: $vgpr8_vgpr9
                                        ; implicit-def: $vgpr22_vgpr23
	s_mov_b64 s[28:29], s[12:13]
	s_branch .LBB684_447
.LBB684_450:
	v_mov_b64_e32 v[8:9], 0
	s_branch .LBB684_453
.LBB684_451:
	s_or_b64 exec, exec, s[24:25]
	v_cmp_gt_i64_e32 vcc, s[12:13], v[24:25]
	s_mov_b32 s18, 0
	v_mov_b32_e32 v9, s18
	v_cndmask_b32_e64 v8, 0, 1, vcc
.LBB684_452:
	s_or_b64 exec, exec, s[16:17]
.LBB684_453:
	s_or_b64 exec, exec, s[4:5]
	v_add_u32_e32 v22, 2, v1
	v_cmp_gt_u32_e32 vcc, s10, v22
	s_and_saveexec_b64 s[4:5], vcc
	s_cbranch_execz .LBB684_464
; %bb.454:
	s_and_b64 vcc, exec, s[2:3]
	s_cbranch_vccnz .LBB684_461
; %bb.455:
	v_mul_lo_u32 v22, v7, s12
	v_mul_lo_u32 v23, v6, s13
	v_mad_u64_u32 v[6:7], s[16:17], v6, s12, 0
	v_add3_u32 v7, v7, v23, v22
	v_mul_lo_u32 v22, v5, s12
	v_mul_lo_u32 v23, v4, s13
	v_mad_u64_u32 v[24:25], s[16:17], v4, s12, 0
	v_add3_u32 v25, v25, v23, v22
	v_lshl_add_u64 v[22:23], v[6:7], 1, s[14:15]
	v_lshl_add_u64 v[24:25], v[24:25], 1, s[14:15]
	global_load_ushort v6, v[22:23], off
	global_load_ushort v7, v[24:25], off
	s_waitcnt vmcnt(0)
	v_cmp_eq_u16_e32 vcc, v6, v7
	v_mov_b64_e32 v[6:7], 1
	s_and_saveexec_b64 s[16:17], vcc
	s_cbranch_execz .LBB684_463
; %bb.456:
	s_add_u32 s18, s12, -1
	v_lshl_add_u64 v[6:7], v[24:25], 0, 2
	v_lshl_add_u64 v[22:23], v[22:23], 0, 2
	s_addc_u32 s19, s13, -1
	s_mov_b64 s[24:25], 0
	s_mov_b64 s[28:29], 0
                                        ; implicit-def: $sgpr26_sgpr27
	s_branch .LBB684_459
.LBB684_457:                            ;   in Loop: Header=BB684_459 Depth=1
	global_load_ushort v24, v[22:23], off
	global_load_ushort v25, v[6:7], off
	s_add_u32 s28, s28, 1
	s_addc_u32 s29, s29, 0
	s_andn2_b64 s[26:27], s[26:27], exec
	v_lshl_add_u64 v[6:7], v[6:7], 0, 2
	v_lshl_add_u64 v[22:23], v[22:23], 0, 2
	s_waitcnt vmcnt(0)
	v_cmp_ne_u16_e32 vcc, v24, v25
	s_and_b64 s[30:31], vcc, exec
	s_or_b64 s[26:27], s[26:27], s[30:31]
.LBB684_458:                            ;   in Loop: Header=BB684_459 Depth=1
	s_and_b64 s[30:31], exec, s[26:27]
	s_or_b64 s[24:25], s[30:31], s[24:25]
	v_mov_b64_e32 v[24:25], s[28:29]
	s_andn2_b64 exec, exec, s[24:25]
	s_cbranch_execz .LBB684_462
.LBB684_459:                            ; =>This Inner Loop Header: Depth=1
	s_or_b64 s[26:27], s[26:27], exec
	s_cmp_eq_u64 s[18:19], s[28:29]
	s_cbranch_scc0 .LBB684_457
; %bb.460:                              ;   in Loop: Header=BB684_459 Depth=1
                                        ; implicit-def: $vgpr6_vgpr7
                                        ; implicit-def: $vgpr22_vgpr23
	s_mov_b64 s[28:29], s[12:13]
	s_branch .LBB684_458
.LBB684_461:
	v_mov_b64_e32 v[6:7], 0
	s_branch .LBB684_464
.LBB684_462:
	s_or_b64 exec, exec, s[24:25]
	v_cmp_gt_i64_e32 vcc, s[12:13], v[24:25]
	s_mov_b32 s18, 0
	v_mov_b32_e32 v7, s18
	v_cndmask_b32_e64 v6, 0, 1, vcc
.LBB684_463:
	s_or_b64 exec, exec, s[16:17]
.LBB684_464:
	s_or_b64 exec, exec, s[4:5]
	v_add_u32_e32 v22, 1, v1
	v_cmp_gt_u32_e32 vcc, s10, v22
	s_and_saveexec_b64 s[4:5], vcc
	s_cbranch_execz .LBB684_475
; %bb.465:
	s_and_b64 vcc, exec, s[2:3]
	s_cbranch_vccnz .LBB684_472
; %bb.466:
	v_mul_lo_u32 v22, v5, s12
	v_mul_lo_u32 v23, v4, s13
	v_mad_u64_u32 v[4:5], s[16:17], v4, s12, 0
	v_add3_u32 v5, v5, v23, v22
	v_mul_lo_u32 v22, v3, s12
	v_mul_lo_u32 v23, v2, s13
	v_mad_u64_u32 v[24:25], s[16:17], v2, s12, 0
	v_add3_u32 v25, v25, v23, v22
	v_lshl_add_u64 v[22:23], v[4:5], 1, s[14:15]
	v_lshl_add_u64 v[24:25], v[24:25], 1, s[14:15]
	global_load_ushort v4, v[22:23], off
	global_load_ushort v5, v[24:25], off
	s_waitcnt vmcnt(0)
	v_cmp_eq_u16_e32 vcc, v4, v5
	v_mov_b64_e32 v[4:5], 1
	s_and_saveexec_b64 s[16:17], vcc
	s_cbranch_execz .LBB684_474
; %bb.467:
	s_add_u32 s18, s12, -1
	v_lshl_add_u64 v[4:5], v[24:25], 0, 2
	v_lshl_add_u64 v[22:23], v[22:23], 0, 2
	s_addc_u32 s19, s13, -1
	s_mov_b64 s[24:25], 0
	s_mov_b64 s[28:29], 0
                                        ; implicit-def: $sgpr26_sgpr27
	s_branch .LBB684_470
.LBB684_468:                            ;   in Loop: Header=BB684_470 Depth=1
	global_load_ushort v24, v[22:23], off
	global_load_ushort v25, v[4:5], off
	s_add_u32 s28, s28, 1
	s_addc_u32 s29, s29, 0
	s_andn2_b64 s[26:27], s[26:27], exec
	v_lshl_add_u64 v[4:5], v[4:5], 0, 2
	v_lshl_add_u64 v[22:23], v[22:23], 0, 2
	s_waitcnt vmcnt(0)
	v_cmp_ne_u16_e32 vcc, v24, v25
	s_and_b64 s[30:31], vcc, exec
	s_or_b64 s[26:27], s[26:27], s[30:31]
.LBB684_469:                            ;   in Loop: Header=BB684_470 Depth=1
	s_and_b64 s[30:31], exec, s[26:27]
	s_or_b64 s[24:25], s[30:31], s[24:25]
	v_mov_b64_e32 v[24:25], s[28:29]
	s_andn2_b64 exec, exec, s[24:25]
	s_cbranch_execz .LBB684_473
.LBB684_470:                            ; =>This Inner Loop Header: Depth=1
	s_or_b64 s[26:27], s[26:27], exec
	s_cmp_eq_u64 s[18:19], s[28:29]
	s_cbranch_scc0 .LBB684_468
; %bb.471:                              ;   in Loop: Header=BB684_470 Depth=1
                                        ; implicit-def: $vgpr4_vgpr5
                                        ; implicit-def: $vgpr22_vgpr23
	s_mov_b64 s[28:29], s[12:13]
	s_branch .LBB684_469
.LBB684_472:
	v_mov_b64_e32 v[4:5], 0
	s_branch .LBB684_475
.LBB684_473:
	s_or_b64 exec, exec, s[24:25]
	v_cmp_gt_i64_e32 vcc, s[12:13], v[24:25]
	s_mov_b32 s18, 0
	v_mov_b32_e32 v5, s18
	v_cndmask_b32_e64 v4, 0, 1, vcc
.LBB684_474:
	s_or_b64 exec, exec, s[16:17]
.LBB684_475:
	s_or_b64 exec, exec, s[4:5]
	v_cmp_ne_u32_e32 vcc, 0, v0
	v_cmp_gt_u32_e64 s[4:5], s10, v1
	s_and_b64 s[16:17], vcc, s[4:5]
	s_waitcnt lgkmcnt(0)
	s_barrier
	s_waitcnt lgkmcnt(0)
                                        ; implicit-def: $sgpr18_sgpr19
	s_and_saveexec_b64 s[4:5], s[16:17]
	s_cbranch_execz .LBB684_487
; %bb.476:
	s_and_b64 vcc, exec, s[2:3]
	s_cbranch_vccnz .LBB684_483
; %bb.477:
	v_mul_lo_u32 v1, v3, s12
	v_add_u32_e32 v3, -8, v40
	ds_read_b64 v[22:23], v3
	v_mul_lo_u32 v24, v2, s13
	v_mad_u64_u32 v[2:3], s[2:3], v2, s12, 0
	v_add3_u32 v3, v3, v24, v1
	s_waitcnt lgkmcnt(0)
	v_mul_lo_u32 v1, v23, s12
	v_mul_lo_u32 v23, v22, s13
	v_mad_u64_u32 v[24:25], s[2:3], v22, s12, 0
	v_add3_u32 v25, v25, v23, v1
	v_lshl_add_u64 v[22:23], v[2:3], 1, s[14:15]
	v_lshl_add_u64 v[2:3], v[24:25], 1, s[14:15]
	global_load_ushort v1, v[22:23], off
	global_load_ushort v24, v[2:3], off
	s_mov_b64 s[14:15], -1
	s_waitcnt vmcnt(0)
	v_cmp_eq_u16_e32 vcc, v1, v24
	s_and_saveexec_b64 s[2:3], vcc
	s_cbranch_execz .LBB684_485
; %bb.478:
	s_add_u32 s14, s12, -1
	v_lshl_add_u64 v[2:3], v[2:3], 0, 2
	v_lshl_add_u64 v[22:23], v[22:23], 0, 2
	s_addc_u32 s15, s13, -1
	s_mov_b64 s[16:17], 0
	s_mov_b64 s[24:25], 0
                                        ; implicit-def: $sgpr18_sgpr19
	s_branch .LBB684_481
.LBB684_479:                            ;   in Loop: Header=BB684_481 Depth=1
	global_load_ushort v1, v[22:23], off
	global_load_ushort v24, v[2:3], off
	s_add_u32 s24, s24, 1
	s_addc_u32 s25, s25, 0
	s_andn2_b64 s[18:19], s[18:19], exec
	v_lshl_add_u64 v[2:3], v[2:3], 0, 2
	v_lshl_add_u64 v[22:23], v[22:23], 0, 2
	s_waitcnt vmcnt(0)
	v_cmp_ne_u16_e32 vcc, v1, v24
	s_and_b64 s[26:27], vcc, exec
	s_or_b64 s[18:19], s[18:19], s[26:27]
.LBB684_480:                            ;   in Loop: Header=BB684_481 Depth=1
	s_and_b64 s[26:27], exec, s[18:19]
	s_or_b64 s[16:17], s[26:27], s[16:17]
	v_mov_b64_e32 v[24:25], s[24:25]
	s_andn2_b64 exec, exec, s[16:17]
	s_cbranch_execz .LBB684_484
.LBB684_481:                            ; =>This Inner Loop Header: Depth=1
	s_or_b64 s[18:19], s[18:19], exec
	s_cmp_eq_u64 s[14:15], s[24:25]
	s_cbranch_scc0 .LBB684_479
; %bb.482:                              ;   in Loop: Header=BB684_481 Depth=1
                                        ; implicit-def: $vgpr2_vgpr3
                                        ; implicit-def: $vgpr22_vgpr23
	s_mov_b64 s[24:25], s[12:13]
	s_branch .LBB684_480
.LBB684_483:
	s_mov_b64 s[14:15], 0
	s_branch .LBB684_486
.LBB684_484:
	s_or_b64 exec, exec, s[16:17]
	v_cmp_gt_i64_e32 vcc, s[12:13], v[24:25]
	s_orn2_b64 s[14:15], vcc, exec
.LBB684_485:
	s_or_b64 exec, exec, s[2:3]
.LBB684_486:
	s_and_b64 s[18:19], s[14:15], exec
	s_or_b64 s[22:23], s[22:23], exec
.LBB684_487:
	s_or_b64 exec, exec, s[4:5]
	v_mov_b64_e32 v[42:43], v[36:37]
	v_mov_b64_e32 v[44:45], v[20:21]
	;; [unrolled: 1-line block ×19, first 2 shown]
.LBB684_488:
	s_and_saveexec_b64 s[2:3], s[22:23]
	s_cbranch_execz .LBB684_490
; %bb.489:
	s_mov_b32 s4, 0
	v_cndmask_b32_e64 v2, 0, 1, s[18:19]
	v_mov_b32_e32 v3, s4
	v_mov_b64_e32 v[26:27], v[46:47]
	v_mov_b64_e32 v[66:67], v[48:49]
	;; [unrolled: 1-line block ×7, first 2 shown]
	s_waitcnt lgkmcnt(0)
	v_mov_b64_e32 v[22:23], v[38:39]
	v_mov_b64_e32 v[60:61], v[44:45]
.LBB684_490:
	s_or_b64 exec, exec, s[2:3]
	s_add_u32 s4, s8, s6
	s_addc_u32 s5, s9, s7
	s_and_b64 vcc, exec, s[0:1]
	s_waitcnt lgkmcnt(0)
	s_barrier
	s_cbranch_vccz .LBB684_512
; %bb.491:
	s_movk_i32 s2, 0x58
	v_mul_u32_u24_e32 v1, 0x58, v0
	v_mov_b32_e32 v4, v68
	v_mov_b32_e32 v5, v69
	v_mul_i32_i24_e32 v24, 0xffffffb0, v0
	ds_write2_b64 v1, v[2:3], v[4:5] offset1:1
	ds_write2_b64 v1, v[62:63], v[34:35] offset0:2 offset1:3
	ds_write2_b64 v1, v[64:65], v[30:31] offset0:4 offset1:5
	;; [unrolled: 1-line block ×4, first 2 shown]
	ds_write_b64 v1, v[42:43] offset:80
	v_mad_u32_u24 v4, v0, s2, v24
	s_waitcnt lgkmcnt(0)
	s_barrier
	ds_read2st64_b64 v[36:39], v4 offset0:4 offset1:8
	ds_read2st64_b64 v[16:19], v4 offset0:12 offset1:16
	;; [unrolled: 1-line block ×5, first 2 shown]
	s_mov_b32 s21, 0
	s_add_i32 s11, s11, s10
	s_lshl_b64 s[0:1], s[20:21], 3
	s_add_u32 s0, s4, s0
	s_addc_u32 s1, s5, s1
	v_mov_b32_e32 v41, 0
	v_lshl_add_u64 v[20:21], s[0:1], 0, v[40:41]
	v_cmp_gt_u32_e32 vcc, s11, v0
	s_and_saveexec_b64 s[0:1], vcc
	s_cbranch_execz .LBB684_493
; %bb.492:
	v_add_u32_e32 v1, v1, v24
	ds_read_b64 v[24:25], v1
	s_waitcnt lgkmcnt(0)
	global_store_dwordx2 v[20:21], v[24:25], off
.LBB684_493:
	s_or_b64 exec, exec, s[0:1]
	v_or_b32_e32 v1, 0x100, v0
	v_cmp_gt_u32_e32 vcc, s11, v1
	s_and_saveexec_b64 s[0:1], vcc
	s_cbranch_execz .LBB684_495
; %bb.494:
	s_waitcnt lgkmcnt(4)
	global_store_dwordx2 v[20:21], v[36:37], off offset:2048
.LBB684_495:
	s_or_b64 exec, exec, s[0:1]
	v_or_b32_e32 v1, 0x200, v0
	v_cmp_gt_u32_e32 vcc, s11, v1
	s_and_saveexec_b64 s[0:1], vcc
	s_cbranch_execz .LBB684_497
; %bb.496:
	v_add_co_u32_e32 v24, vcc, 0x1000, v20
	s_nop 1
	v_addc_co_u32_e32 v25, vcc, 0, v21, vcc
	s_waitcnt lgkmcnt(4)
	global_store_dwordx2 v[24:25], v[38:39], off
.LBB684_497:
	s_or_b64 exec, exec, s[0:1]
	v_or_b32_e32 v1, 0x300, v0
	v_cmp_gt_u32_e32 vcc, s11, v1
	s_and_saveexec_b64 s[0:1], vcc
	s_cbranch_execz .LBB684_499
; %bb.498:
	v_add_co_u32_e32 v24, vcc, 0x1000, v20
	s_nop 1
	v_addc_co_u32_e32 v25, vcc, 0, v21, vcc
	s_waitcnt lgkmcnt(3)
	global_store_dwordx2 v[24:25], v[16:17], off offset:2048
.LBB684_499:
	s_or_b64 exec, exec, s[0:1]
	v_or_b32_e32 v1, 0x400, v0
	v_cmp_gt_u32_e32 vcc, s11, v1
	s_and_saveexec_b64 s[0:1], vcc
	s_cbranch_execz .LBB684_501
; %bb.500:
	s_waitcnt lgkmcnt(3)
	v_add_co_u32_e32 v16, vcc, 0x2000, v20
	s_nop 1
	v_addc_co_u32_e32 v17, vcc, 0, v21, vcc
	global_store_dwordx2 v[16:17], v[18:19], off
.LBB684_501:
	s_or_b64 exec, exec, s[0:1]
	v_or_b32_e32 v1, 0x500, v0
	v_cmp_gt_u32_e32 vcc, s11, v1
	s_and_saveexec_b64 s[0:1], vcc
	s_cbranch_execz .LBB684_503
; %bb.502:
	s_waitcnt lgkmcnt(3)
	v_add_co_u32_e32 v16, vcc, 0x2000, v20
	s_nop 1
	v_addc_co_u32_e32 v17, vcc, 0, v21, vcc
	s_waitcnt lgkmcnt(2)
	global_store_dwordx2 v[16:17], v[12:13], off offset:2048
.LBB684_503:
	s_or_b64 exec, exec, s[0:1]
	v_or_b32_e32 v1, 0x600, v0
	v_cmp_gt_u32_e32 vcc, s11, v1
	s_and_saveexec_b64 s[0:1], vcc
	s_cbranch_execz .LBB684_505
; %bb.504:
	s_waitcnt lgkmcnt(2)
	v_add_co_u32_e32 v12, vcc, 0x3000, v20
	s_nop 1
	v_addc_co_u32_e32 v13, vcc, 0, v21, vcc
	global_store_dwordx2 v[12:13], v[14:15], off
.LBB684_505:
	s_or_b64 exec, exec, s[0:1]
	v_or_b32_e32 v1, 0x700, v0
	v_cmp_gt_u32_e32 vcc, s11, v1
	s_and_saveexec_b64 s[0:1], vcc
	s_cbranch_execz .LBB684_507
; %bb.506:
	s_waitcnt lgkmcnt(2)
	v_add_co_u32_e32 v12, vcc, 0x3000, v20
	s_nop 1
	v_addc_co_u32_e32 v13, vcc, 0, v21, vcc
	s_waitcnt lgkmcnt(1)
	global_store_dwordx2 v[12:13], v[8:9], off offset:2048
.LBB684_507:
	;; [unrolled: 25-line block ×3, first 2 shown]
	s_or_b64 exec, exec, s[0:1]
	v_or_b32_e32 v1, 0xa00, v0
	v_cmp_gt_u32_e64 s[0:1], s11, v1
	s_branch .LBB684_514
.LBB684_512:
	s_mov_b64 s[0:1], 0
                                        ; implicit-def: $vgpr6_vgpr7
                                        ; implicit-def: $vgpr20_vgpr21
	s_cbranch_execz .LBB684_514
; %bb.513:
	s_mov_b32 s21, 0
	s_lshl_b64 s[2:3], s[20:21], 3
	v_mul_u32_u24_e32 v1, 0x58, v0
	s_add_u32 s2, s4, s2
	s_movk_i32 s4, 0x58
	ds_write2_b64 v1, v[2:3], v[68:69] offset1:1
	ds_write2_b64 v1, v[62:63], v[34:35] offset0:2 offset1:3
	ds_write2_b64 v1, v[64:65], v[30:31] offset0:4 offset1:5
	;; [unrolled: 1-line block ×4, first 2 shown]
	ds_write_b64 v1, v[42:43] offset:80
	v_mul_i32_i24_e32 v1, 0xffffffb0, v0
	s_addc_u32 s3, s5, s3
	s_waitcnt lgkmcnt(6)
	v_mad_u32_u24 v4, v0, s4, v1
	v_mov_b32_e32 v41, 0
	s_waitcnt lgkmcnt(0)
	s_barrier
	ds_read2st64_b64 v[0:3], v4 offset1:4
	ds_read2st64_b64 v[8:11], v4 offset0:8 offset1:12
	ds_read2st64_b64 v[12:15], v4 offset0:16 offset1:20
	;; [unrolled: 1-line block ×4, first 2 shown]
	ds_read_b64 v[6:7], v4 offset:20480
	v_lshl_add_u64 v[20:21], s[2:3], 0, v[40:41]
	s_waitcnt lgkmcnt(5)
	global_store_dwordx2 v40, v[0:1], s[2:3]
	global_store_dwordx2 v40, v[2:3], s[2:3] offset:2048
	s_movk_i32 s2, 0x1000
	v_add_co_u32_e32 v0, vcc, s2, v20
	s_movk_i32 s2, 0x2000
	s_nop 0
	v_addc_co_u32_e32 v1, vcc, 0, v21, vcc
	v_add_co_u32_e32 v2, vcc, s2, v20
	s_or_b64 s[0:1], s[0:1], exec
	s_nop 0
	v_addc_co_u32_e32 v3, vcc, 0, v21, vcc
	s_waitcnt lgkmcnt(4)
	global_store_dwordx2 v[2:3], v[8:9], off offset:-4096
	global_store_dwordx2 v[0:1], v[10:11], off offset:2048
	s_waitcnt lgkmcnt(3)
	global_store_dwordx2 v[2:3], v[12:13], off
	global_store_dwordx2 v[2:3], v[14:15], off offset:2048
	v_add_co_u32_e32 v0, vcc, 0x3000, v20
	s_nop 1
	v_addc_co_u32_e32 v1, vcc, 0, v21, vcc
	s_waitcnt lgkmcnt(2)
	global_store_dwordx2 v[0:1], v[16:17], off
	global_store_dwordx2 v[0:1], v[18:19], off offset:2048
	v_add_co_u32_e32 v0, vcc, 0x4000, v20
	s_nop 1
	v_addc_co_u32_e32 v1, vcc, 0, v21, vcc
	s_waitcnt lgkmcnt(1)
	global_store_dwordx2 v[0:1], v[22:23], off
	global_store_dwordx2 v[0:1], v[24:25], off offset:2048
.LBB684_514:
	s_and_saveexec_b64 s[2:3], s[0:1]
	s_cbranch_execnz .LBB684_516
; %bb.515:
	s_endpgm
.LBB684_516:
	v_add_co_u32_e32 v0, vcc, 0x5000, v20
	s_nop 1
	v_addc_co_u32_e32 v1, vcc, 0, v21, vcc
	s_waitcnt lgkmcnt(0)
	global_store_dwordx2 v[0:1], v[6:7], off
	s_endpgm
	.section	.rodata,"a",@progbits
	.p2align	6, 0x0
	.amdhsa_kernel _ZN7rocprim17ROCPRIM_400000_NS6detail17trampoline_kernelINS0_14default_configENS1_35adjacent_difference_config_selectorILb1ElEEZNS1_24adjacent_difference_implIS3_Lb1ELb0EPlS7_ZN2at6native12_GLOBAL__N_124unique_dim_cuda_templateIsEESt5tupleIJNS8_6TensorESD_SD_EERKSD_lbbbEUlllE1_EE10hipError_tPvRmT2_T3_mT4_P12ihipStream_tbEUlT_E_NS1_11comp_targetILNS1_3genE5ELNS1_11target_archE942ELNS1_3gpuE9ELNS1_3repE0EEENS1_30default_config_static_selectorELNS0_4arch9wavefront6targetE1EEEvT1_
		.amdhsa_group_segment_fixed_size 22528
		.amdhsa_private_segment_fixed_size 0
		.amdhsa_kernarg_size 64
		.amdhsa_user_sgpr_count 2
		.amdhsa_user_sgpr_dispatch_ptr 0
		.amdhsa_user_sgpr_queue_ptr 0
		.amdhsa_user_sgpr_kernarg_segment_ptr 1
		.amdhsa_user_sgpr_dispatch_id 0
		.amdhsa_user_sgpr_kernarg_preload_length 0
		.amdhsa_user_sgpr_kernarg_preload_offset 0
		.amdhsa_user_sgpr_private_segment_size 0
		.amdhsa_uses_dynamic_stack 0
		.amdhsa_enable_private_segment 0
		.amdhsa_system_sgpr_workgroup_id_x 1
		.amdhsa_system_sgpr_workgroup_id_y 0
		.amdhsa_system_sgpr_workgroup_id_z 0
		.amdhsa_system_sgpr_workgroup_info 0
		.amdhsa_system_vgpr_workitem_id 0
		.amdhsa_next_free_vgpr 70
		.amdhsa_next_free_sgpr 38
		.amdhsa_accum_offset 72
		.amdhsa_reserve_vcc 1
		.amdhsa_float_round_mode_32 0
		.amdhsa_float_round_mode_16_64 0
		.amdhsa_float_denorm_mode_32 3
		.amdhsa_float_denorm_mode_16_64 3
		.amdhsa_dx10_clamp 1
		.amdhsa_ieee_mode 1
		.amdhsa_fp16_overflow 0
		.amdhsa_tg_split 0
		.amdhsa_exception_fp_ieee_invalid_op 0
		.amdhsa_exception_fp_denorm_src 0
		.amdhsa_exception_fp_ieee_div_zero 0
		.amdhsa_exception_fp_ieee_overflow 0
		.amdhsa_exception_fp_ieee_underflow 0
		.amdhsa_exception_fp_ieee_inexact 0
		.amdhsa_exception_int_div_zero 0
	.end_amdhsa_kernel
	.section	.text._ZN7rocprim17ROCPRIM_400000_NS6detail17trampoline_kernelINS0_14default_configENS1_35adjacent_difference_config_selectorILb1ElEEZNS1_24adjacent_difference_implIS3_Lb1ELb0EPlS7_ZN2at6native12_GLOBAL__N_124unique_dim_cuda_templateIsEESt5tupleIJNS8_6TensorESD_SD_EERKSD_lbbbEUlllE1_EE10hipError_tPvRmT2_T3_mT4_P12ihipStream_tbEUlT_E_NS1_11comp_targetILNS1_3genE5ELNS1_11target_archE942ELNS1_3gpuE9ELNS1_3repE0EEENS1_30default_config_static_selectorELNS0_4arch9wavefront6targetE1EEEvT1_,"axG",@progbits,_ZN7rocprim17ROCPRIM_400000_NS6detail17trampoline_kernelINS0_14default_configENS1_35adjacent_difference_config_selectorILb1ElEEZNS1_24adjacent_difference_implIS3_Lb1ELb0EPlS7_ZN2at6native12_GLOBAL__N_124unique_dim_cuda_templateIsEESt5tupleIJNS8_6TensorESD_SD_EERKSD_lbbbEUlllE1_EE10hipError_tPvRmT2_T3_mT4_P12ihipStream_tbEUlT_E_NS1_11comp_targetILNS1_3genE5ELNS1_11target_archE942ELNS1_3gpuE9ELNS1_3repE0EEENS1_30default_config_static_selectorELNS0_4arch9wavefront6targetE1EEEvT1_,comdat
.Lfunc_end684:
	.size	_ZN7rocprim17ROCPRIM_400000_NS6detail17trampoline_kernelINS0_14default_configENS1_35adjacent_difference_config_selectorILb1ElEEZNS1_24adjacent_difference_implIS3_Lb1ELb0EPlS7_ZN2at6native12_GLOBAL__N_124unique_dim_cuda_templateIsEESt5tupleIJNS8_6TensorESD_SD_EERKSD_lbbbEUlllE1_EE10hipError_tPvRmT2_T3_mT4_P12ihipStream_tbEUlT_E_NS1_11comp_targetILNS1_3genE5ELNS1_11target_archE942ELNS1_3gpuE9ELNS1_3repE0EEENS1_30default_config_static_selectorELNS0_4arch9wavefront6targetE1EEEvT1_, .Lfunc_end684-_ZN7rocprim17ROCPRIM_400000_NS6detail17trampoline_kernelINS0_14default_configENS1_35adjacent_difference_config_selectorILb1ElEEZNS1_24adjacent_difference_implIS3_Lb1ELb0EPlS7_ZN2at6native12_GLOBAL__N_124unique_dim_cuda_templateIsEESt5tupleIJNS8_6TensorESD_SD_EERKSD_lbbbEUlllE1_EE10hipError_tPvRmT2_T3_mT4_P12ihipStream_tbEUlT_E_NS1_11comp_targetILNS1_3genE5ELNS1_11target_archE942ELNS1_3gpuE9ELNS1_3repE0EEENS1_30default_config_static_selectorELNS0_4arch9wavefront6targetE1EEEvT1_
                                        ; -- End function
	.section	.AMDGPU.csdata,"",@progbits
; Kernel info:
; codeLenInByte = 15780
; NumSgprs: 44
; NumVgprs: 70
; NumAgprs: 0
; TotalNumVgprs: 70
; ScratchSize: 0
; MemoryBound: 0
; FloatMode: 240
; IeeeMode: 1
; LDSByteSize: 22528 bytes/workgroup (compile time only)
; SGPRBlocks: 5
; VGPRBlocks: 8
; NumSGPRsForWavesPerEU: 44
; NumVGPRsForWavesPerEU: 70
; AccumOffset: 72
; Occupancy: 2
; WaveLimiterHint : 1
; COMPUTE_PGM_RSRC2:SCRATCH_EN: 0
; COMPUTE_PGM_RSRC2:USER_SGPR: 2
; COMPUTE_PGM_RSRC2:TRAP_HANDLER: 0
; COMPUTE_PGM_RSRC2:TGID_X_EN: 1
; COMPUTE_PGM_RSRC2:TGID_Y_EN: 0
; COMPUTE_PGM_RSRC2:TGID_Z_EN: 0
; COMPUTE_PGM_RSRC2:TIDIG_COMP_CNT: 0
; COMPUTE_PGM_RSRC3_GFX90A:ACCUM_OFFSET: 17
; COMPUTE_PGM_RSRC3_GFX90A:TG_SPLIT: 0
	.section	.text._ZN7rocprim17ROCPRIM_400000_NS6detail17trampoline_kernelINS0_14default_configENS1_35adjacent_difference_config_selectorILb1ElEEZNS1_24adjacent_difference_implIS3_Lb1ELb0EPlS7_ZN2at6native12_GLOBAL__N_124unique_dim_cuda_templateIsEESt5tupleIJNS8_6TensorESD_SD_EERKSD_lbbbEUlllE1_EE10hipError_tPvRmT2_T3_mT4_P12ihipStream_tbEUlT_E_NS1_11comp_targetILNS1_3genE4ELNS1_11target_archE910ELNS1_3gpuE8ELNS1_3repE0EEENS1_30default_config_static_selectorELNS0_4arch9wavefront6targetE1EEEvT1_,"axG",@progbits,_ZN7rocprim17ROCPRIM_400000_NS6detail17trampoline_kernelINS0_14default_configENS1_35adjacent_difference_config_selectorILb1ElEEZNS1_24adjacent_difference_implIS3_Lb1ELb0EPlS7_ZN2at6native12_GLOBAL__N_124unique_dim_cuda_templateIsEESt5tupleIJNS8_6TensorESD_SD_EERKSD_lbbbEUlllE1_EE10hipError_tPvRmT2_T3_mT4_P12ihipStream_tbEUlT_E_NS1_11comp_targetILNS1_3genE4ELNS1_11target_archE910ELNS1_3gpuE8ELNS1_3repE0EEENS1_30default_config_static_selectorELNS0_4arch9wavefront6targetE1EEEvT1_,comdat
	.globl	_ZN7rocprim17ROCPRIM_400000_NS6detail17trampoline_kernelINS0_14default_configENS1_35adjacent_difference_config_selectorILb1ElEEZNS1_24adjacent_difference_implIS3_Lb1ELb0EPlS7_ZN2at6native12_GLOBAL__N_124unique_dim_cuda_templateIsEESt5tupleIJNS8_6TensorESD_SD_EERKSD_lbbbEUlllE1_EE10hipError_tPvRmT2_T3_mT4_P12ihipStream_tbEUlT_E_NS1_11comp_targetILNS1_3genE4ELNS1_11target_archE910ELNS1_3gpuE8ELNS1_3repE0EEENS1_30default_config_static_selectorELNS0_4arch9wavefront6targetE1EEEvT1_ ; -- Begin function _ZN7rocprim17ROCPRIM_400000_NS6detail17trampoline_kernelINS0_14default_configENS1_35adjacent_difference_config_selectorILb1ElEEZNS1_24adjacent_difference_implIS3_Lb1ELb0EPlS7_ZN2at6native12_GLOBAL__N_124unique_dim_cuda_templateIsEESt5tupleIJNS8_6TensorESD_SD_EERKSD_lbbbEUlllE1_EE10hipError_tPvRmT2_T3_mT4_P12ihipStream_tbEUlT_E_NS1_11comp_targetILNS1_3genE4ELNS1_11target_archE910ELNS1_3gpuE8ELNS1_3repE0EEENS1_30default_config_static_selectorELNS0_4arch9wavefront6targetE1EEEvT1_
	.p2align	8
	.type	_ZN7rocprim17ROCPRIM_400000_NS6detail17trampoline_kernelINS0_14default_configENS1_35adjacent_difference_config_selectorILb1ElEEZNS1_24adjacent_difference_implIS3_Lb1ELb0EPlS7_ZN2at6native12_GLOBAL__N_124unique_dim_cuda_templateIsEESt5tupleIJNS8_6TensorESD_SD_EERKSD_lbbbEUlllE1_EE10hipError_tPvRmT2_T3_mT4_P12ihipStream_tbEUlT_E_NS1_11comp_targetILNS1_3genE4ELNS1_11target_archE910ELNS1_3gpuE8ELNS1_3repE0EEENS1_30default_config_static_selectorELNS0_4arch9wavefront6targetE1EEEvT1_,@function
_ZN7rocprim17ROCPRIM_400000_NS6detail17trampoline_kernelINS0_14default_configENS1_35adjacent_difference_config_selectorILb1ElEEZNS1_24adjacent_difference_implIS3_Lb1ELb0EPlS7_ZN2at6native12_GLOBAL__N_124unique_dim_cuda_templateIsEESt5tupleIJNS8_6TensorESD_SD_EERKSD_lbbbEUlllE1_EE10hipError_tPvRmT2_T3_mT4_P12ihipStream_tbEUlT_E_NS1_11comp_targetILNS1_3genE4ELNS1_11target_archE910ELNS1_3gpuE8ELNS1_3repE0EEENS1_30default_config_static_selectorELNS0_4arch9wavefront6targetE1EEEvT1_: ; @_ZN7rocprim17ROCPRIM_400000_NS6detail17trampoline_kernelINS0_14default_configENS1_35adjacent_difference_config_selectorILb1ElEEZNS1_24adjacent_difference_implIS3_Lb1ELb0EPlS7_ZN2at6native12_GLOBAL__N_124unique_dim_cuda_templateIsEESt5tupleIJNS8_6TensorESD_SD_EERKSD_lbbbEUlllE1_EE10hipError_tPvRmT2_T3_mT4_P12ihipStream_tbEUlT_E_NS1_11comp_targetILNS1_3genE4ELNS1_11target_archE910ELNS1_3gpuE8ELNS1_3repE0EEENS1_30default_config_static_selectorELNS0_4arch9wavefront6targetE1EEEvT1_
; %bb.0:
	.section	.rodata,"a",@progbits
	.p2align	6, 0x0
	.amdhsa_kernel _ZN7rocprim17ROCPRIM_400000_NS6detail17trampoline_kernelINS0_14default_configENS1_35adjacent_difference_config_selectorILb1ElEEZNS1_24adjacent_difference_implIS3_Lb1ELb0EPlS7_ZN2at6native12_GLOBAL__N_124unique_dim_cuda_templateIsEESt5tupleIJNS8_6TensorESD_SD_EERKSD_lbbbEUlllE1_EE10hipError_tPvRmT2_T3_mT4_P12ihipStream_tbEUlT_E_NS1_11comp_targetILNS1_3genE4ELNS1_11target_archE910ELNS1_3gpuE8ELNS1_3repE0EEENS1_30default_config_static_selectorELNS0_4arch9wavefront6targetE1EEEvT1_
		.amdhsa_group_segment_fixed_size 0
		.amdhsa_private_segment_fixed_size 0
		.amdhsa_kernarg_size 64
		.amdhsa_user_sgpr_count 2
		.amdhsa_user_sgpr_dispatch_ptr 0
		.amdhsa_user_sgpr_queue_ptr 0
		.amdhsa_user_sgpr_kernarg_segment_ptr 1
		.amdhsa_user_sgpr_dispatch_id 0
		.amdhsa_user_sgpr_kernarg_preload_length 0
		.amdhsa_user_sgpr_kernarg_preload_offset 0
		.amdhsa_user_sgpr_private_segment_size 0
		.amdhsa_uses_dynamic_stack 0
		.amdhsa_enable_private_segment 0
		.amdhsa_system_sgpr_workgroup_id_x 1
		.amdhsa_system_sgpr_workgroup_id_y 0
		.amdhsa_system_sgpr_workgroup_id_z 0
		.amdhsa_system_sgpr_workgroup_info 0
		.amdhsa_system_vgpr_workitem_id 0
		.amdhsa_next_free_vgpr 1
		.amdhsa_next_free_sgpr 0
		.amdhsa_accum_offset 4
		.amdhsa_reserve_vcc 0
		.amdhsa_float_round_mode_32 0
		.amdhsa_float_round_mode_16_64 0
		.amdhsa_float_denorm_mode_32 3
		.amdhsa_float_denorm_mode_16_64 3
		.amdhsa_dx10_clamp 1
		.amdhsa_ieee_mode 1
		.amdhsa_fp16_overflow 0
		.amdhsa_tg_split 0
		.amdhsa_exception_fp_ieee_invalid_op 0
		.amdhsa_exception_fp_denorm_src 0
		.amdhsa_exception_fp_ieee_div_zero 0
		.amdhsa_exception_fp_ieee_overflow 0
		.amdhsa_exception_fp_ieee_underflow 0
		.amdhsa_exception_fp_ieee_inexact 0
		.amdhsa_exception_int_div_zero 0
	.end_amdhsa_kernel
	.section	.text._ZN7rocprim17ROCPRIM_400000_NS6detail17trampoline_kernelINS0_14default_configENS1_35adjacent_difference_config_selectorILb1ElEEZNS1_24adjacent_difference_implIS3_Lb1ELb0EPlS7_ZN2at6native12_GLOBAL__N_124unique_dim_cuda_templateIsEESt5tupleIJNS8_6TensorESD_SD_EERKSD_lbbbEUlllE1_EE10hipError_tPvRmT2_T3_mT4_P12ihipStream_tbEUlT_E_NS1_11comp_targetILNS1_3genE4ELNS1_11target_archE910ELNS1_3gpuE8ELNS1_3repE0EEENS1_30default_config_static_selectorELNS0_4arch9wavefront6targetE1EEEvT1_,"axG",@progbits,_ZN7rocprim17ROCPRIM_400000_NS6detail17trampoline_kernelINS0_14default_configENS1_35adjacent_difference_config_selectorILb1ElEEZNS1_24adjacent_difference_implIS3_Lb1ELb0EPlS7_ZN2at6native12_GLOBAL__N_124unique_dim_cuda_templateIsEESt5tupleIJNS8_6TensorESD_SD_EERKSD_lbbbEUlllE1_EE10hipError_tPvRmT2_T3_mT4_P12ihipStream_tbEUlT_E_NS1_11comp_targetILNS1_3genE4ELNS1_11target_archE910ELNS1_3gpuE8ELNS1_3repE0EEENS1_30default_config_static_selectorELNS0_4arch9wavefront6targetE1EEEvT1_,comdat
.Lfunc_end685:
	.size	_ZN7rocprim17ROCPRIM_400000_NS6detail17trampoline_kernelINS0_14default_configENS1_35adjacent_difference_config_selectorILb1ElEEZNS1_24adjacent_difference_implIS3_Lb1ELb0EPlS7_ZN2at6native12_GLOBAL__N_124unique_dim_cuda_templateIsEESt5tupleIJNS8_6TensorESD_SD_EERKSD_lbbbEUlllE1_EE10hipError_tPvRmT2_T3_mT4_P12ihipStream_tbEUlT_E_NS1_11comp_targetILNS1_3genE4ELNS1_11target_archE910ELNS1_3gpuE8ELNS1_3repE0EEENS1_30default_config_static_selectorELNS0_4arch9wavefront6targetE1EEEvT1_, .Lfunc_end685-_ZN7rocprim17ROCPRIM_400000_NS6detail17trampoline_kernelINS0_14default_configENS1_35adjacent_difference_config_selectorILb1ElEEZNS1_24adjacent_difference_implIS3_Lb1ELb0EPlS7_ZN2at6native12_GLOBAL__N_124unique_dim_cuda_templateIsEESt5tupleIJNS8_6TensorESD_SD_EERKSD_lbbbEUlllE1_EE10hipError_tPvRmT2_T3_mT4_P12ihipStream_tbEUlT_E_NS1_11comp_targetILNS1_3genE4ELNS1_11target_archE910ELNS1_3gpuE8ELNS1_3repE0EEENS1_30default_config_static_selectorELNS0_4arch9wavefront6targetE1EEEvT1_
                                        ; -- End function
	.section	.AMDGPU.csdata,"",@progbits
; Kernel info:
; codeLenInByte = 0
; NumSgprs: 6
; NumVgprs: 0
; NumAgprs: 0
; TotalNumVgprs: 0
; ScratchSize: 0
; MemoryBound: 0
; FloatMode: 240
; IeeeMode: 1
; LDSByteSize: 0 bytes/workgroup (compile time only)
; SGPRBlocks: 0
; VGPRBlocks: 0
; NumSGPRsForWavesPerEU: 6
; NumVGPRsForWavesPerEU: 1
; AccumOffset: 4
; Occupancy: 8
; WaveLimiterHint : 0
; COMPUTE_PGM_RSRC2:SCRATCH_EN: 0
; COMPUTE_PGM_RSRC2:USER_SGPR: 2
; COMPUTE_PGM_RSRC2:TRAP_HANDLER: 0
; COMPUTE_PGM_RSRC2:TGID_X_EN: 1
; COMPUTE_PGM_RSRC2:TGID_Y_EN: 0
; COMPUTE_PGM_RSRC2:TGID_Z_EN: 0
; COMPUTE_PGM_RSRC2:TIDIG_COMP_CNT: 0
; COMPUTE_PGM_RSRC3_GFX90A:ACCUM_OFFSET: 0
; COMPUTE_PGM_RSRC3_GFX90A:TG_SPLIT: 0
	.section	.text._ZN7rocprim17ROCPRIM_400000_NS6detail17trampoline_kernelINS0_14default_configENS1_35adjacent_difference_config_selectorILb1ElEEZNS1_24adjacent_difference_implIS3_Lb1ELb0EPlS7_ZN2at6native12_GLOBAL__N_124unique_dim_cuda_templateIsEESt5tupleIJNS8_6TensorESD_SD_EERKSD_lbbbEUlllE1_EE10hipError_tPvRmT2_T3_mT4_P12ihipStream_tbEUlT_E_NS1_11comp_targetILNS1_3genE3ELNS1_11target_archE908ELNS1_3gpuE7ELNS1_3repE0EEENS1_30default_config_static_selectorELNS0_4arch9wavefront6targetE1EEEvT1_,"axG",@progbits,_ZN7rocprim17ROCPRIM_400000_NS6detail17trampoline_kernelINS0_14default_configENS1_35adjacent_difference_config_selectorILb1ElEEZNS1_24adjacent_difference_implIS3_Lb1ELb0EPlS7_ZN2at6native12_GLOBAL__N_124unique_dim_cuda_templateIsEESt5tupleIJNS8_6TensorESD_SD_EERKSD_lbbbEUlllE1_EE10hipError_tPvRmT2_T3_mT4_P12ihipStream_tbEUlT_E_NS1_11comp_targetILNS1_3genE3ELNS1_11target_archE908ELNS1_3gpuE7ELNS1_3repE0EEENS1_30default_config_static_selectorELNS0_4arch9wavefront6targetE1EEEvT1_,comdat
	.globl	_ZN7rocprim17ROCPRIM_400000_NS6detail17trampoline_kernelINS0_14default_configENS1_35adjacent_difference_config_selectorILb1ElEEZNS1_24adjacent_difference_implIS3_Lb1ELb0EPlS7_ZN2at6native12_GLOBAL__N_124unique_dim_cuda_templateIsEESt5tupleIJNS8_6TensorESD_SD_EERKSD_lbbbEUlllE1_EE10hipError_tPvRmT2_T3_mT4_P12ihipStream_tbEUlT_E_NS1_11comp_targetILNS1_3genE3ELNS1_11target_archE908ELNS1_3gpuE7ELNS1_3repE0EEENS1_30default_config_static_selectorELNS0_4arch9wavefront6targetE1EEEvT1_ ; -- Begin function _ZN7rocprim17ROCPRIM_400000_NS6detail17trampoline_kernelINS0_14default_configENS1_35adjacent_difference_config_selectorILb1ElEEZNS1_24adjacent_difference_implIS3_Lb1ELb0EPlS7_ZN2at6native12_GLOBAL__N_124unique_dim_cuda_templateIsEESt5tupleIJNS8_6TensorESD_SD_EERKSD_lbbbEUlllE1_EE10hipError_tPvRmT2_T3_mT4_P12ihipStream_tbEUlT_E_NS1_11comp_targetILNS1_3genE3ELNS1_11target_archE908ELNS1_3gpuE7ELNS1_3repE0EEENS1_30default_config_static_selectorELNS0_4arch9wavefront6targetE1EEEvT1_
	.p2align	8
	.type	_ZN7rocprim17ROCPRIM_400000_NS6detail17trampoline_kernelINS0_14default_configENS1_35adjacent_difference_config_selectorILb1ElEEZNS1_24adjacent_difference_implIS3_Lb1ELb0EPlS7_ZN2at6native12_GLOBAL__N_124unique_dim_cuda_templateIsEESt5tupleIJNS8_6TensorESD_SD_EERKSD_lbbbEUlllE1_EE10hipError_tPvRmT2_T3_mT4_P12ihipStream_tbEUlT_E_NS1_11comp_targetILNS1_3genE3ELNS1_11target_archE908ELNS1_3gpuE7ELNS1_3repE0EEENS1_30default_config_static_selectorELNS0_4arch9wavefront6targetE1EEEvT1_,@function
_ZN7rocprim17ROCPRIM_400000_NS6detail17trampoline_kernelINS0_14default_configENS1_35adjacent_difference_config_selectorILb1ElEEZNS1_24adjacent_difference_implIS3_Lb1ELb0EPlS7_ZN2at6native12_GLOBAL__N_124unique_dim_cuda_templateIsEESt5tupleIJNS8_6TensorESD_SD_EERKSD_lbbbEUlllE1_EE10hipError_tPvRmT2_T3_mT4_P12ihipStream_tbEUlT_E_NS1_11comp_targetILNS1_3genE3ELNS1_11target_archE908ELNS1_3gpuE7ELNS1_3repE0EEENS1_30default_config_static_selectorELNS0_4arch9wavefront6targetE1EEEvT1_: ; @_ZN7rocprim17ROCPRIM_400000_NS6detail17trampoline_kernelINS0_14default_configENS1_35adjacent_difference_config_selectorILb1ElEEZNS1_24adjacent_difference_implIS3_Lb1ELb0EPlS7_ZN2at6native12_GLOBAL__N_124unique_dim_cuda_templateIsEESt5tupleIJNS8_6TensorESD_SD_EERKSD_lbbbEUlllE1_EE10hipError_tPvRmT2_T3_mT4_P12ihipStream_tbEUlT_E_NS1_11comp_targetILNS1_3genE3ELNS1_11target_archE908ELNS1_3gpuE7ELNS1_3repE0EEENS1_30default_config_static_selectorELNS0_4arch9wavefront6targetE1EEEvT1_
; %bb.0:
	.section	.rodata,"a",@progbits
	.p2align	6, 0x0
	.amdhsa_kernel _ZN7rocprim17ROCPRIM_400000_NS6detail17trampoline_kernelINS0_14default_configENS1_35adjacent_difference_config_selectorILb1ElEEZNS1_24adjacent_difference_implIS3_Lb1ELb0EPlS7_ZN2at6native12_GLOBAL__N_124unique_dim_cuda_templateIsEESt5tupleIJNS8_6TensorESD_SD_EERKSD_lbbbEUlllE1_EE10hipError_tPvRmT2_T3_mT4_P12ihipStream_tbEUlT_E_NS1_11comp_targetILNS1_3genE3ELNS1_11target_archE908ELNS1_3gpuE7ELNS1_3repE0EEENS1_30default_config_static_selectorELNS0_4arch9wavefront6targetE1EEEvT1_
		.amdhsa_group_segment_fixed_size 0
		.amdhsa_private_segment_fixed_size 0
		.amdhsa_kernarg_size 64
		.amdhsa_user_sgpr_count 2
		.amdhsa_user_sgpr_dispatch_ptr 0
		.amdhsa_user_sgpr_queue_ptr 0
		.amdhsa_user_sgpr_kernarg_segment_ptr 1
		.amdhsa_user_sgpr_dispatch_id 0
		.amdhsa_user_sgpr_kernarg_preload_length 0
		.amdhsa_user_sgpr_kernarg_preload_offset 0
		.amdhsa_user_sgpr_private_segment_size 0
		.amdhsa_uses_dynamic_stack 0
		.amdhsa_enable_private_segment 0
		.amdhsa_system_sgpr_workgroup_id_x 1
		.amdhsa_system_sgpr_workgroup_id_y 0
		.amdhsa_system_sgpr_workgroup_id_z 0
		.amdhsa_system_sgpr_workgroup_info 0
		.amdhsa_system_vgpr_workitem_id 0
		.amdhsa_next_free_vgpr 1
		.amdhsa_next_free_sgpr 0
		.amdhsa_accum_offset 4
		.amdhsa_reserve_vcc 0
		.amdhsa_float_round_mode_32 0
		.amdhsa_float_round_mode_16_64 0
		.amdhsa_float_denorm_mode_32 3
		.amdhsa_float_denorm_mode_16_64 3
		.amdhsa_dx10_clamp 1
		.amdhsa_ieee_mode 1
		.amdhsa_fp16_overflow 0
		.amdhsa_tg_split 0
		.amdhsa_exception_fp_ieee_invalid_op 0
		.amdhsa_exception_fp_denorm_src 0
		.amdhsa_exception_fp_ieee_div_zero 0
		.amdhsa_exception_fp_ieee_overflow 0
		.amdhsa_exception_fp_ieee_underflow 0
		.amdhsa_exception_fp_ieee_inexact 0
		.amdhsa_exception_int_div_zero 0
	.end_amdhsa_kernel
	.section	.text._ZN7rocprim17ROCPRIM_400000_NS6detail17trampoline_kernelINS0_14default_configENS1_35adjacent_difference_config_selectorILb1ElEEZNS1_24adjacent_difference_implIS3_Lb1ELb0EPlS7_ZN2at6native12_GLOBAL__N_124unique_dim_cuda_templateIsEESt5tupleIJNS8_6TensorESD_SD_EERKSD_lbbbEUlllE1_EE10hipError_tPvRmT2_T3_mT4_P12ihipStream_tbEUlT_E_NS1_11comp_targetILNS1_3genE3ELNS1_11target_archE908ELNS1_3gpuE7ELNS1_3repE0EEENS1_30default_config_static_selectorELNS0_4arch9wavefront6targetE1EEEvT1_,"axG",@progbits,_ZN7rocprim17ROCPRIM_400000_NS6detail17trampoline_kernelINS0_14default_configENS1_35adjacent_difference_config_selectorILb1ElEEZNS1_24adjacent_difference_implIS3_Lb1ELb0EPlS7_ZN2at6native12_GLOBAL__N_124unique_dim_cuda_templateIsEESt5tupleIJNS8_6TensorESD_SD_EERKSD_lbbbEUlllE1_EE10hipError_tPvRmT2_T3_mT4_P12ihipStream_tbEUlT_E_NS1_11comp_targetILNS1_3genE3ELNS1_11target_archE908ELNS1_3gpuE7ELNS1_3repE0EEENS1_30default_config_static_selectorELNS0_4arch9wavefront6targetE1EEEvT1_,comdat
.Lfunc_end686:
	.size	_ZN7rocprim17ROCPRIM_400000_NS6detail17trampoline_kernelINS0_14default_configENS1_35adjacent_difference_config_selectorILb1ElEEZNS1_24adjacent_difference_implIS3_Lb1ELb0EPlS7_ZN2at6native12_GLOBAL__N_124unique_dim_cuda_templateIsEESt5tupleIJNS8_6TensorESD_SD_EERKSD_lbbbEUlllE1_EE10hipError_tPvRmT2_T3_mT4_P12ihipStream_tbEUlT_E_NS1_11comp_targetILNS1_3genE3ELNS1_11target_archE908ELNS1_3gpuE7ELNS1_3repE0EEENS1_30default_config_static_selectorELNS0_4arch9wavefront6targetE1EEEvT1_, .Lfunc_end686-_ZN7rocprim17ROCPRIM_400000_NS6detail17trampoline_kernelINS0_14default_configENS1_35adjacent_difference_config_selectorILb1ElEEZNS1_24adjacent_difference_implIS3_Lb1ELb0EPlS7_ZN2at6native12_GLOBAL__N_124unique_dim_cuda_templateIsEESt5tupleIJNS8_6TensorESD_SD_EERKSD_lbbbEUlllE1_EE10hipError_tPvRmT2_T3_mT4_P12ihipStream_tbEUlT_E_NS1_11comp_targetILNS1_3genE3ELNS1_11target_archE908ELNS1_3gpuE7ELNS1_3repE0EEENS1_30default_config_static_selectorELNS0_4arch9wavefront6targetE1EEEvT1_
                                        ; -- End function
	.section	.AMDGPU.csdata,"",@progbits
; Kernel info:
; codeLenInByte = 0
; NumSgprs: 6
; NumVgprs: 0
; NumAgprs: 0
; TotalNumVgprs: 0
; ScratchSize: 0
; MemoryBound: 0
; FloatMode: 240
; IeeeMode: 1
; LDSByteSize: 0 bytes/workgroup (compile time only)
; SGPRBlocks: 0
; VGPRBlocks: 0
; NumSGPRsForWavesPerEU: 6
; NumVGPRsForWavesPerEU: 1
; AccumOffset: 4
; Occupancy: 8
; WaveLimiterHint : 0
; COMPUTE_PGM_RSRC2:SCRATCH_EN: 0
; COMPUTE_PGM_RSRC2:USER_SGPR: 2
; COMPUTE_PGM_RSRC2:TRAP_HANDLER: 0
; COMPUTE_PGM_RSRC2:TGID_X_EN: 1
; COMPUTE_PGM_RSRC2:TGID_Y_EN: 0
; COMPUTE_PGM_RSRC2:TGID_Z_EN: 0
; COMPUTE_PGM_RSRC2:TIDIG_COMP_CNT: 0
; COMPUTE_PGM_RSRC3_GFX90A:ACCUM_OFFSET: 0
; COMPUTE_PGM_RSRC3_GFX90A:TG_SPLIT: 0
	.section	.text._ZN7rocprim17ROCPRIM_400000_NS6detail17trampoline_kernelINS0_14default_configENS1_35adjacent_difference_config_selectorILb1ElEEZNS1_24adjacent_difference_implIS3_Lb1ELb0EPlS7_ZN2at6native12_GLOBAL__N_124unique_dim_cuda_templateIsEESt5tupleIJNS8_6TensorESD_SD_EERKSD_lbbbEUlllE1_EE10hipError_tPvRmT2_T3_mT4_P12ihipStream_tbEUlT_E_NS1_11comp_targetILNS1_3genE2ELNS1_11target_archE906ELNS1_3gpuE6ELNS1_3repE0EEENS1_30default_config_static_selectorELNS0_4arch9wavefront6targetE1EEEvT1_,"axG",@progbits,_ZN7rocprim17ROCPRIM_400000_NS6detail17trampoline_kernelINS0_14default_configENS1_35adjacent_difference_config_selectorILb1ElEEZNS1_24adjacent_difference_implIS3_Lb1ELb0EPlS7_ZN2at6native12_GLOBAL__N_124unique_dim_cuda_templateIsEESt5tupleIJNS8_6TensorESD_SD_EERKSD_lbbbEUlllE1_EE10hipError_tPvRmT2_T3_mT4_P12ihipStream_tbEUlT_E_NS1_11comp_targetILNS1_3genE2ELNS1_11target_archE906ELNS1_3gpuE6ELNS1_3repE0EEENS1_30default_config_static_selectorELNS0_4arch9wavefront6targetE1EEEvT1_,comdat
	.globl	_ZN7rocprim17ROCPRIM_400000_NS6detail17trampoline_kernelINS0_14default_configENS1_35adjacent_difference_config_selectorILb1ElEEZNS1_24adjacent_difference_implIS3_Lb1ELb0EPlS7_ZN2at6native12_GLOBAL__N_124unique_dim_cuda_templateIsEESt5tupleIJNS8_6TensorESD_SD_EERKSD_lbbbEUlllE1_EE10hipError_tPvRmT2_T3_mT4_P12ihipStream_tbEUlT_E_NS1_11comp_targetILNS1_3genE2ELNS1_11target_archE906ELNS1_3gpuE6ELNS1_3repE0EEENS1_30default_config_static_selectorELNS0_4arch9wavefront6targetE1EEEvT1_ ; -- Begin function _ZN7rocprim17ROCPRIM_400000_NS6detail17trampoline_kernelINS0_14default_configENS1_35adjacent_difference_config_selectorILb1ElEEZNS1_24adjacent_difference_implIS3_Lb1ELb0EPlS7_ZN2at6native12_GLOBAL__N_124unique_dim_cuda_templateIsEESt5tupleIJNS8_6TensorESD_SD_EERKSD_lbbbEUlllE1_EE10hipError_tPvRmT2_T3_mT4_P12ihipStream_tbEUlT_E_NS1_11comp_targetILNS1_3genE2ELNS1_11target_archE906ELNS1_3gpuE6ELNS1_3repE0EEENS1_30default_config_static_selectorELNS0_4arch9wavefront6targetE1EEEvT1_
	.p2align	8
	.type	_ZN7rocprim17ROCPRIM_400000_NS6detail17trampoline_kernelINS0_14default_configENS1_35adjacent_difference_config_selectorILb1ElEEZNS1_24adjacent_difference_implIS3_Lb1ELb0EPlS7_ZN2at6native12_GLOBAL__N_124unique_dim_cuda_templateIsEESt5tupleIJNS8_6TensorESD_SD_EERKSD_lbbbEUlllE1_EE10hipError_tPvRmT2_T3_mT4_P12ihipStream_tbEUlT_E_NS1_11comp_targetILNS1_3genE2ELNS1_11target_archE906ELNS1_3gpuE6ELNS1_3repE0EEENS1_30default_config_static_selectorELNS0_4arch9wavefront6targetE1EEEvT1_,@function
_ZN7rocprim17ROCPRIM_400000_NS6detail17trampoline_kernelINS0_14default_configENS1_35adjacent_difference_config_selectorILb1ElEEZNS1_24adjacent_difference_implIS3_Lb1ELb0EPlS7_ZN2at6native12_GLOBAL__N_124unique_dim_cuda_templateIsEESt5tupleIJNS8_6TensorESD_SD_EERKSD_lbbbEUlllE1_EE10hipError_tPvRmT2_T3_mT4_P12ihipStream_tbEUlT_E_NS1_11comp_targetILNS1_3genE2ELNS1_11target_archE906ELNS1_3gpuE6ELNS1_3repE0EEENS1_30default_config_static_selectorELNS0_4arch9wavefront6targetE1EEEvT1_: ; @_ZN7rocprim17ROCPRIM_400000_NS6detail17trampoline_kernelINS0_14default_configENS1_35adjacent_difference_config_selectorILb1ElEEZNS1_24adjacent_difference_implIS3_Lb1ELb0EPlS7_ZN2at6native12_GLOBAL__N_124unique_dim_cuda_templateIsEESt5tupleIJNS8_6TensorESD_SD_EERKSD_lbbbEUlllE1_EE10hipError_tPvRmT2_T3_mT4_P12ihipStream_tbEUlT_E_NS1_11comp_targetILNS1_3genE2ELNS1_11target_archE906ELNS1_3gpuE6ELNS1_3repE0EEENS1_30default_config_static_selectorELNS0_4arch9wavefront6targetE1EEEvT1_
; %bb.0:
	.section	.rodata,"a",@progbits
	.p2align	6, 0x0
	.amdhsa_kernel _ZN7rocprim17ROCPRIM_400000_NS6detail17trampoline_kernelINS0_14default_configENS1_35adjacent_difference_config_selectorILb1ElEEZNS1_24adjacent_difference_implIS3_Lb1ELb0EPlS7_ZN2at6native12_GLOBAL__N_124unique_dim_cuda_templateIsEESt5tupleIJNS8_6TensorESD_SD_EERKSD_lbbbEUlllE1_EE10hipError_tPvRmT2_T3_mT4_P12ihipStream_tbEUlT_E_NS1_11comp_targetILNS1_3genE2ELNS1_11target_archE906ELNS1_3gpuE6ELNS1_3repE0EEENS1_30default_config_static_selectorELNS0_4arch9wavefront6targetE1EEEvT1_
		.amdhsa_group_segment_fixed_size 0
		.amdhsa_private_segment_fixed_size 0
		.amdhsa_kernarg_size 64
		.amdhsa_user_sgpr_count 2
		.amdhsa_user_sgpr_dispatch_ptr 0
		.amdhsa_user_sgpr_queue_ptr 0
		.amdhsa_user_sgpr_kernarg_segment_ptr 1
		.amdhsa_user_sgpr_dispatch_id 0
		.amdhsa_user_sgpr_kernarg_preload_length 0
		.amdhsa_user_sgpr_kernarg_preload_offset 0
		.amdhsa_user_sgpr_private_segment_size 0
		.amdhsa_uses_dynamic_stack 0
		.amdhsa_enable_private_segment 0
		.amdhsa_system_sgpr_workgroup_id_x 1
		.amdhsa_system_sgpr_workgroup_id_y 0
		.amdhsa_system_sgpr_workgroup_id_z 0
		.amdhsa_system_sgpr_workgroup_info 0
		.amdhsa_system_vgpr_workitem_id 0
		.amdhsa_next_free_vgpr 1
		.amdhsa_next_free_sgpr 0
		.amdhsa_accum_offset 4
		.amdhsa_reserve_vcc 0
		.amdhsa_float_round_mode_32 0
		.amdhsa_float_round_mode_16_64 0
		.amdhsa_float_denorm_mode_32 3
		.amdhsa_float_denorm_mode_16_64 3
		.amdhsa_dx10_clamp 1
		.amdhsa_ieee_mode 1
		.amdhsa_fp16_overflow 0
		.amdhsa_tg_split 0
		.amdhsa_exception_fp_ieee_invalid_op 0
		.amdhsa_exception_fp_denorm_src 0
		.amdhsa_exception_fp_ieee_div_zero 0
		.amdhsa_exception_fp_ieee_overflow 0
		.amdhsa_exception_fp_ieee_underflow 0
		.amdhsa_exception_fp_ieee_inexact 0
		.amdhsa_exception_int_div_zero 0
	.end_amdhsa_kernel
	.section	.text._ZN7rocprim17ROCPRIM_400000_NS6detail17trampoline_kernelINS0_14default_configENS1_35adjacent_difference_config_selectorILb1ElEEZNS1_24adjacent_difference_implIS3_Lb1ELb0EPlS7_ZN2at6native12_GLOBAL__N_124unique_dim_cuda_templateIsEESt5tupleIJNS8_6TensorESD_SD_EERKSD_lbbbEUlllE1_EE10hipError_tPvRmT2_T3_mT4_P12ihipStream_tbEUlT_E_NS1_11comp_targetILNS1_3genE2ELNS1_11target_archE906ELNS1_3gpuE6ELNS1_3repE0EEENS1_30default_config_static_selectorELNS0_4arch9wavefront6targetE1EEEvT1_,"axG",@progbits,_ZN7rocprim17ROCPRIM_400000_NS6detail17trampoline_kernelINS0_14default_configENS1_35adjacent_difference_config_selectorILb1ElEEZNS1_24adjacent_difference_implIS3_Lb1ELb0EPlS7_ZN2at6native12_GLOBAL__N_124unique_dim_cuda_templateIsEESt5tupleIJNS8_6TensorESD_SD_EERKSD_lbbbEUlllE1_EE10hipError_tPvRmT2_T3_mT4_P12ihipStream_tbEUlT_E_NS1_11comp_targetILNS1_3genE2ELNS1_11target_archE906ELNS1_3gpuE6ELNS1_3repE0EEENS1_30default_config_static_selectorELNS0_4arch9wavefront6targetE1EEEvT1_,comdat
.Lfunc_end687:
	.size	_ZN7rocprim17ROCPRIM_400000_NS6detail17trampoline_kernelINS0_14default_configENS1_35adjacent_difference_config_selectorILb1ElEEZNS1_24adjacent_difference_implIS3_Lb1ELb0EPlS7_ZN2at6native12_GLOBAL__N_124unique_dim_cuda_templateIsEESt5tupleIJNS8_6TensorESD_SD_EERKSD_lbbbEUlllE1_EE10hipError_tPvRmT2_T3_mT4_P12ihipStream_tbEUlT_E_NS1_11comp_targetILNS1_3genE2ELNS1_11target_archE906ELNS1_3gpuE6ELNS1_3repE0EEENS1_30default_config_static_selectorELNS0_4arch9wavefront6targetE1EEEvT1_, .Lfunc_end687-_ZN7rocprim17ROCPRIM_400000_NS6detail17trampoline_kernelINS0_14default_configENS1_35adjacent_difference_config_selectorILb1ElEEZNS1_24adjacent_difference_implIS3_Lb1ELb0EPlS7_ZN2at6native12_GLOBAL__N_124unique_dim_cuda_templateIsEESt5tupleIJNS8_6TensorESD_SD_EERKSD_lbbbEUlllE1_EE10hipError_tPvRmT2_T3_mT4_P12ihipStream_tbEUlT_E_NS1_11comp_targetILNS1_3genE2ELNS1_11target_archE906ELNS1_3gpuE6ELNS1_3repE0EEENS1_30default_config_static_selectorELNS0_4arch9wavefront6targetE1EEEvT1_
                                        ; -- End function
	.section	.AMDGPU.csdata,"",@progbits
; Kernel info:
; codeLenInByte = 0
; NumSgprs: 6
; NumVgprs: 0
; NumAgprs: 0
; TotalNumVgprs: 0
; ScratchSize: 0
; MemoryBound: 0
; FloatMode: 240
; IeeeMode: 1
; LDSByteSize: 0 bytes/workgroup (compile time only)
; SGPRBlocks: 0
; VGPRBlocks: 0
; NumSGPRsForWavesPerEU: 6
; NumVGPRsForWavesPerEU: 1
; AccumOffset: 4
; Occupancy: 8
; WaveLimiterHint : 0
; COMPUTE_PGM_RSRC2:SCRATCH_EN: 0
; COMPUTE_PGM_RSRC2:USER_SGPR: 2
; COMPUTE_PGM_RSRC2:TRAP_HANDLER: 0
; COMPUTE_PGM_RSRC2:TGID_X_EN: 1
; COMPUTE_PGM_RSRC2:TGID_Y_EN: 0
; COMPUTE_PGM_RSRC2:TGID_Z_EN: 0
; COMPUTE_PGM_RSRC2:TIDIG_COMP_CNT: 0
; COMPUTE_PGM_RSRC3_GFX90A:ACCUM_OFFSET: 0
; COMPUTE_PGM_RSRC3_GFX90A:TG_SPLIT: 0
	.section	.text._ZN7rocprim17ROCPRIM_400000_NS6detail17trampoline_kernelINS0_14default_configENS1_35adjacent_difference_config_selectorILb1ElEEZNS1_24adjacent_difference_implIS3_Lb1ELb0EPlS7_ZN2at6native12_GLOBAL__N_124unique_dim_cuda_templateIsEESt5tupleIJNS8_6TensorESD_SD_EERKSD_lbbbEUlllE1_EE10hipError_tPvRmT2_T3_mT4_P12ihipStream_tbEUlT_E_NS1_11comp_targetILNS1_3genE9ELNS1_11target_archE1100ELNS1_3gpuE3ELNS1_3repE0EEENS1_30default_config_static_selectorELNS0_4arch9wavefront6targetE1EEEvT1_,"axG",@progbits,_ZN7rocprim17ROCPRIM_400000_NS6detail17trampoline_kernelINS0_14default_configENS1_35adjacent_difference_config_selectorILb1ElEEZNS1_24adjacent_difference_implIS3_Lb1ELb0EPlS7_ZN2at6native12_GLOBAL__N_124unique_dim_cuda_templateIsEESt5tupleIJNS8_6TensorESD_SD_EERKSD_lbbbEUlllE1_EE10hipError_tPvRmT2_T3_mT4_P12ihipStream_tbEUlT_E_NS1_11comp_targetILNS1_3genE9ELNS1_11target_archE1100ELNS1_3gpuE3ELNS1_3repE0EEENS1_30default_config_static_selectorELNS0_4arch9wavefront6targetE1EEEvT1_,comdat
	.globl	_ZN7rocprim17ROCPRIM_400000_NS6detail17trampoline_kernelINS0_14default_configENS1_35adjacent_difference_config_selectorILb1ElEEZNS1_24adjacent_difference_implIS3_Lb1ELb0EPlS7_ZN2at6native12_GLOBAL__N_124unique_dim_cuda_templateIsEESt5tupleIJNS8_6TensorESD_SD_EERKSD_lbbbEUlllE1_EE10hipError_tPvRmT2_T3_mT4_P12ihipStream_tbEUlT_E_NS1_11comp_targetILNS1_3genE9ELNS1_11target_archE1100ELNS1_3gpuE3ELNS1_3repE0EEENS1_30default_config_static_selectorELNS0_4arch9wavefront6targetE1EEEvT1_ ; -- Begin function _ZN7rocprim17ROCPRIM_400000_NS6detail17trampoline_kernelINS0_14default_configENS1_35adjacent_difference_config_selectorILb1ElEEZNS1_24adjacent_difference_implIS3_Lb1ELb0EPlS7_ZN2at6native12_GLOBAL__N_124unique_dim_cuda_templateIsEESt5tupleIJNS8_6TensorESD_SD_EERKSD_lbbbEUlllE1_EE10hipError_tPvRmT2_T3_mT4_P12ihipStream_tbEUlT_E_NS1_11comp_targetILNS1_3genE9ELNS1_11target_archE1100ELNS1_3gpuE3ELNS1_3repE0EEENS1_30default_config_static_selectorELNS0_4arch9wavefront6targetE1EEEvT1_
	.p2align	8
	.type	_ZN7rocprim17ROCPRIM_400000_NS6detail17trampoline_kernelINS0_14default_configENS1_35adjacent_difference_config_selectorILb1ElEEZNS1_24adjacent_difference_implIS3_Lb1ELb0EPlS7_ZN2at6native12_GLOBAL__N_124unique_dim_cuda_templateIsEESt5tupleIJNS8_6TensorESD_SD_EERKSD_lbbbEUlllE1_EE10hipError_tPvRmT2_T3_mT4_P12ihipStream_tbEUlT_E_NS1_11comp_targetILNS1_3genE9ELNS1_11target_archE1100ELNS1_3gpuE3ELNS1_3repE0EEENS1_30default_config_static_selectorELNS0_4arch9wavefront6targetE1EEEvT1_,@function
_ZN7rocprim17ROCPRIM_400000_NS6detail17trampoline_kernelINS0_14default_configENS1_35adjacent_difference_config_selectorILb1ElEEZNS1_24adjacent_difference_implIS3_Lb1ELb0EPlS7_ZN2at6native12_GLOBAL__N_124unique_dim_cuda_templateIsEESt5tupleIJNS8_6TensorESD_SD_EERKSD_lbbbEUlllE1_EE10hipError_tPvRmT2_T3_mT4_P12ihipStream_tbEUlT_E_NS1_11comp_targetILNS1_3genE9ELNS1_11target_archE1100ELNS1_3gpuE3ELNS1_3repE0EEENS1_30default_config_static_selectorELNS0_4arch9wavefront6targetE1EEEvT1_: ; @_ZN7rocprim17ROCPRIM_400000_NS6detail17trampoline_kernelINS0_14default_configENS1_35adjacent_difference_config_selectorILb1ElEEZNS1_24adjacent_difference_implIS3_Lb1ELb0EPlS7_ZN2at6native12_GLOBAL__N_124unique_dim_cuda_templateIsEESt5tupleIJNS8_6TensorESD_SD_EERKSD_lbbbEUlllE1_EE10hipError_tPvRmT2_T3_mT4_P12ihipStream_tbEUlT_E_NS1_11comp_targetILNS1_3genE9ELNS1_11target_archE1100ELNS1_3gpuE3ELNS1_3repE0EEENS1_30default_config_static_selectorELNS0_4arch9wavefront6targetE1EEEvT1_
; %bb.0:
	.section	.rodata,"a",@progbits
	.p2align	6, 0x0
	.amdhsa_kernel _ZN7rocprim17ROCPRIM_400000_NS6detail17trampoline_kernelINS0_14default_configENS1_35adjacent_difference_config_selectorILb1ElEEZNS1_24adjacent_difference_implIS3_Lb1ELb0EPlS7_ZN2at6native12_GLOBAL__N_124unique_dim_cuda_templateIsEESt5tupleIJNS8_6TensorESD_SD_EERKSD_lbbbEUlllE1_EE10hipError_tPvRmT2_T3_mT4_P12ihipStream_tbEUlT_E_NS1_11comp_targetILNS1_3genE9ELNS1_11target_archE1100ELNS1_3gpuE3ELNS1_3repE0EEENS1_30default_config_static_selectorELNS0_4arch9wavefront6targetE1EEEvT1_
		.amdhsa_group_segment_fixed_size 0
		.amdhsa_private_segment_fixed_size 0
		.amdhsa_kernarg_size 64
		.amdhsa_user_sgpr_count 2
		.amdhsa_user_sgpr_dispatch_ptr 0
		.amdhsa_user_sgpr_queue_ptr 0
		.amdhsa_user_sgpr_kernarg_segment_ptr 1
		.amdhsa_user_sgpr_dispatch_id 0
		.amdhsa_user_sgpr_kernarg_preload_length 0
		.amdhsa_user_sgpr_kernarg_preload_offset 0
		.amdhsa_user_sgpr_private_segment_size 0
		.amdhsa_uses_dynamic_stack 0
		.amdhsa_enable_private_segment 0
		.amdhsa_system_sgpr_workgroup_id_x 1
		.amdhsa_system_sgpr_workgroup_id_y 0
		.amdhsa_system_sgpr_workgroup_id_z 0
		.amdhsa_system_sgpr_workgroup_info 0
		.amdhsa_system_vgpr_workitem_id 0
		.amdhsa_next_free_vgpr 1
		.amdhsa_next_free_sgpr 0
		.amdhsa_accum_offset 4
		.amdhsa_reserve_vcc 0
		.amdhsa_float_round_mode_32 0
		.amdhsa_float_round_mode_16_64 0
		.amdhsa_float_denorm_mode_32 3
		.amdhsa_float_denorm_mode_16_64 3
		.amdhsa_dx10_clamp 1
		.amdhsa_ieee_mode 1
		.amdhsa_fp16_overflow 0
		.amdhsa_tg_split 0
		.amdhsa_exception_fp_ieee_invalid_op 0
		.amdhsa_exception_fp_denorm_src 0
		.amdhsa_exception_fp_ieee_div_zero 0
		.amdhsa_exception_fp_ieee_overflow 0
		.amdhsa_exception_fp_ieee_underflow 0
		.amdhsa_exception_fp_ieee_inexact 0
		.amdhsa_exception_int_div_zero 0
	.end_amdhsa_kernel
	.section	.text._ZN7rocprim17ROCPRIM_400000_NS6detail17trampoline_kernelINS0_14default_configENS1_35adjacent_difference_config_selectorILb1ElEEZNS1_24adjacent_difference_implIS3_Lb1ELb0EPlS7_ZN2at6native12_GLOBAL__N_124unique_dim_cuda_templateIsEESt5tupleIJNS8_6TensorESD_SD_EERKSD_lbbbEUlllE1_EE10hipError_tPvRmT2_T3_mT4_P12ihipStream_tbEUlT_E_NS1_11comp_targetILNS1_3genE9ELNS1_11target_archE1100ELNS1_3gpuE3ELNS1_3repE0EEENS1_30default_config_static_selectorELNS0_4arch9wavefront6targetE1EEEvT1_,"axG",@progbits,_ZN7rocprim17ROCPRIM_400000_NS6detail17trampoline_kernelINS0_14default_configENS1_35adjacent_difference_config_selectorILb1ElEEZNS1_24adjacent_difference_implIS3_Lb1ELb0EPlS7_ZN2at6native12_GLOBAL__N_124unique_dim_cuda_templateIsEESt5tupleIJNS8_6TensorESD_SD_EERKSD_lbbbEUlllE1_EE10hipError_tPvRmT2_T3_mT4_P12ihipStream_tbEUlT_E_NS1_11comp_targetILNS1_3genE9ELNS1_11target_archE1100ELNS1_3gpuE3ELNS1_3repE0EEENS1_30default_config_static_selectorELNS0_4arch9wavefront6targetE1EEEvT1_,comdat
.Lfunc_end688:
	.size	_ZN7rocprim17ROCPRIM_400000_NS6detail17trampoline_kernelINS0_14default_configENS1_35adjacent_difference_config_selectorILb1ElEEZNS1_24adjacent_difference_implIS3_Lb1ELb0EPlS7_ZN2at6native12_GLOBAL__N_124unique_dim_cuda_templateIsEESt5tupleIJNS8_6TensorESD_SD_EERKSD_lbbbEUlllE1_EE10hipError_tPvRmT2_T3_mT4_P12ihipStream_tbEUlT_E_NS1_11comp_targetILNS1_3genE9ELNS1_11target_archE1100ELNS1_3gpuE3ELNS1_3repE0EEENS1_30default_config_static_selectorELNS0_4arch9wavefront6targetE1EEEvT1_, .Lfunc_end688-_ZN7rocprim17ROCPRIM_400000_NS6detail17trampoline_kernelINS0_14default_configENS1_35adjacent_difference_config_selectorILb1ElEEZNS1_24adjacent_difference_implIS3_Lb1ELb0EPlS7_ZN2at6native12_GLOBAL__N_124unique_dim_cuda_templateIsEESt5tupleIJNS8_6TensorESD_SD_EERKSD_lbbbEUlllE1_EE10hipError_tPvRmT2_T3_mT4_P12ihipStream_tbEUlT_E_NS1_11comp_targetILNS1_3genE9ELNS1_11target_archE1100ELNS1_3gpuE3ELNS1_3repE0EEENS1_30default_config_static_selectorELNS0_4arch9wavefront6targetE1EEEvT1_
                                        ; -- End function
	.section	.AMDGPU.csdata,"",@progbits
; Kernel info:
; codeLenInByte = 0
; NumSgprs: 6
; NumVgprs: 0
; NumAgprs: 0
; TotalNumVgprs: 0
; ScratchSize: 0
; MemoryBound: 0
; FloatMode: 240
; IeeeMode: 1
; LDSByteSize: 0 bytes/workgroup (compile time only)
; SGPRBlocks: 0
; VGPRBlocks: 0
; NumSGPRsForWavesPerEU: 6
; NumVGPRsForWavesPerEU: 1
; AccumOffset: 4
; Occupancy: 8
; WaveLimiterHint : 0
; COMPUTE_PGM_RSRC2:SCRATCH_EN: 0
; COMPUTE_PGM_RSRC2:USER_SGPR: 2
; COMPUTE_PGM_RSRC2:TRAP_HANDLER: 0
; COMPUTE_PGM_RSRC2:TGID_X_EN: 1
; COMPUTE_PGM_RSRC2:TGID_Y_EN: 0
; COMPUTE_PGM_RSRC2:TGID_Z_EN: 0
; COMPUTE_PGM_RSRC2:TIDIG_COMP_CNT: 0
; COMPUTE_PGM_RSRC3_GFX90A:ACCUM_OFFSET: 0
; COMPUTE_PGM_RSRC3_GFX90A:TG_SPLIT: 0
	.section	.text._ZN7rocprim17ROCPRIM_400000_NS6detail17trampoline_kernelINS0_14default_configENS1_35adjacent_difference_config_selectorILb1ElEEZNS1_24adjacent_difference_implIS3_Lb1ELb0EPlS7_ZN2at6native12_GLOBAL__N_124unique_dim_cuda_templateIsEESt5tupleIJNS8_6TensorESD_SD_EERKSD_lbbbEUlllE1_EE10hipError_tPvRmT2_T3_mT4_P12ihipStream_tbEUlT_E_NS1_11comp_targetILNS1_3genE8ELNS1_11target_archE1030ELNS1_3gpuE2ELNS1_3repE0EEENS1_30default_config_static_selectorELNS0_4arch9wavefront6targetE1EEEvT1_,"axG",@progbits,_ZN7rocprim17ROCPRIM_400000_NS6detail17trampoline_kernelINS0_14default_configENS1_35adjacent_difference_config_selectorILb1ElEEZNS1_24adjacent_difference_implIS3_Lb1ELb0EPlS7_ZN2at6native12_GLOBAL__N_124unique_dim_cuda_templateIsEESt5tupleIJNS8_6TensorESD_SD_EERKSD_lbbbEUlllE1_EE10hipError_tPvRmT2_T3_mT4_P12ihipStream_tbEUlT_E_NS1_11comp_targetILNS1_3genE8ELNS1_11target_archE1030ELNS1_3gpuE2ELNS1_3repE0EEENS1_30default_config_static_selectorELNS0_4arch9wavefront6targetE1EEEvT1_,comdat
	.globl	_ZN7rocprim17ROCPRIM_400000_NS6detail17trampoline_kernelINS0_14default_configENS1_35adjacent_difference_config_selectorILb1ElEEZNS1_24adjacent_difference_implIS3_Lb1ELb0EPlS7_ZN2at6native12_GLOBAL__N_124unique_dim_cuda_templateIsEESt5tupleIJNS8_6TensorESD_SD_EERKSD_lbbbEUlllE1_EE10hipError_tPvRmT2_T3_mT4_P12ihipStream_tbEUlT_E_NS1_11comp_targetILNS1_3genE8ELNS1_11target_archE1030ELNS1_3gpuE2ELNS1_3repE0EEENS1_30default_config_static_selectorELNS0_4arch9wavefront6targetE1EEEvT1_ ; -- Begin function _ZN7rocprim17ROCPRIM_400000_NS6detail17trampoline_kernelINS0_14default_configENS1_35adjacent_difference_config_selectorILb1ElEEZNS1_24adjacent_difference_implIS3_Lb1ELb0EPlS7_ZN2at6native12_GLOBAL__N_124unique_dim_cuda_templateIsEESt5tupleIJNS8_6TensorESD_SD_EERKSD_lbbbEUlllE1_EE10hipError_tPvRmT2_T3_mT4_P12ihipStream_tbEUlT_E_NS1_11comp_targetILNS1_3genE8ELNS1_11target_archE1030ELNS1_3gpuE2ELNS1_3repE0EEENS1_30default_config_static_selectorELNS0_4arch9wavefront6targetE1EEEvT1_
	.p2align	8
	.type	_ZN7rocprim17ROCPRIM_400000_NS6detail17trampoline_kernelINS0_14default_configENS1_35adjacent_difference_config_selectorILb1ElEEZNS1_24adjacent_difference_implIS3_Lb1ELb0EPlS7_ZN2at6native12_GLOBAL__N_124unique_dim_cuda_templateIsEESt5tupleIJNS8_6TensorESD_SD_EERKSD_lbbbEUlllE1_EE10hipError_tPvRmT2_T3_mT4_P12ihipStream_tbEUlT_E_NS1_11comp_targetILNS1_3genE8ELNS1_11target_archE1030ELNS1_3gpuE2ELNS1_3repE0EEENS1_30default_config_static_selectorELNS0_4arch9wavefront6targetE1EEEvT1_,@function
_ZN7rocprim17ROCPRIM_400000_NS6detail17trampoline_kernelINS0_14default_configENS1_35adjacent_difference_config_selectorILb1ElEEZNS1_24adjacent_difference_implIS3_Lb1ELb0EPlS7_ZN2at6native12_GLOBAL__N_124unique_dim_cuda_templateIsEESt5tupleIJNS8_6TensorESD_SD_EERKSD_lbbbEUlllE1_EE10hipError_tPvRmT2_T3_mT4_P12ihipStream_tbEUlT_E_NS1_11comp_targetILNS1_3genE8ELNS1_11target_archE1030ELNS1_3gpuE2ELNS1_3repE0EEENS1_30default_config_static_selectorELNS0_4arch9wavefront6targetE1EEEvT1_: ; @_ZN7rocprim17ROCPRIM_400000_NS6detail17trampoline_kernelINS0_14default_configENS1_35adjacent_difference_config_selectorILb1ElEEZNS1_24adjacent_difference_implIS3_Lb1ELb0EPlS7_ZN2at6native12_GLOBAL__N_124unique_dim_cuda_templateIsEESt5tupleIJNS8_6TensorESD_SD_EERKSD_lbbbEUlllE1_EE10hipError_tPvRmT2_T3_mT4_P12ihipStream_tbEUlT_E_NS1_11comp_targetILNS1_3genE8ELNS1_11target_archE1030ELNS1_3gpuE2ELNS1_3repE0EEENS1_30default_config_static_selectorELNS0_4arch9wavefront6targetE1EEEvT1_
; %bb.0:
	.section	.rodata,"a",@progbits
	.p2align	6, 0x0
	.amdhsa_kernel _ZN7rocprim17ROCPRIM_400000_NS6detail17trampoline_kernelINS0_14default_configENS1_35adjacent_difference_config_selectorILb1ElEEZNS1_24adjacent_difference_implIS3_Lb1ELb0EPlS7_ZN2at6native12_GLOBAL__N_124unique_dim_cuda_templateIsEESt5tupleIJNS8_6TensorESD_SD_EERKSD_lbbbEUlllE1_EE10hipError_tPvRmT2_T3_mT4_P12ihipStream_tbEUlT_E_NS1_11comp_targetILNS1_3genE8ELNS1_11target_archE1030ELNS1_3gpuE2ELNS1_3repE0EEENS1_30default_config_static_selectorELNS0_4arch9wavefront6targetE1EEEvT1_
		.amdhsa_group_segment_fixed_size 0
		.amdhsa_private_segment_fixed_size 0
		.amdhsa_kernarg_size 64
		.amdhsa_user_sgpr_count 2
		.amdhsa_user_sgpr_dispatch_ptr 0
		.amdhsa_user_sgpr_queue_ptr 0
		.amdhsa_user_sgpr_kernarg_segment_ptr 1
		.amdhsa_user_sgpr_dispatch_id 0
		.amdhsa_user_sgpr_kernarg_preload_length 0
		.amdhsa_user_sgpr_kernarg_preload_offset 0
		.amdhsa_user_sgpr_private_segment_size 0
		.amdhsa_uses_dynamic_stack 0
		.amdhsa_enable_private_segment 0
		.amdhsa_system_sgpr_workgroup_id_x 1
		.amdhsa_system_sgpr_workgroup_id_y 0
		.amdhsa_system_sgpr_workgroup_id_z 0
		.amdhsa_system_sgpr_workgroup_info 0
		.amdhsa_system_vgpr_workitem_id 0
		.amdhsa_next_free_vgpr 1
		.amdhsa_next_free_sgpr 0
		.amdhsa_accum_offset 4
		.amdhsa_reserve_vcc 0
		.amdhsa_float_round_mode_32 0
		.amdhsa_float_round_mode_16_64 0
		.amdhsa_float_denorm_mode_32 3
		.amdhsa_float_denorm_mode_16_64 3
		.amdhsa_dx10_clamp 1
		.amdhsa_ieee_mode 1
		.amdhsa_fp16_overflow 0
		.amdhsa_tg_split 0
		.amdhsa_exception_fp_ieee_invalid_op 0
		.amdhsa_exception_fp_denorm_src 0
		.amdhsa_exception_fp_ieee_div_zero 0
		.amdhsa_exception_fp_ieee_overflow 0
		.amdhsa_exception_fp_ieee_underflow 0
		.amdhsa_exception_fp_ieee_inexact 0
		.amdhsa_exception_int_div_zero 0
	.end_amdhsa_kernel
	.section	.text._ZN7rocprim17ROCPRIM_400000_NS6detail17trampoline_kernelINS0_14default_configENS1_35adjacent_difference_config_selectorILb1ElEEZNS1_24adjacent_difference_implIS3_Lb1ELb0EPlS7_ZN2at6native12_GLOBAL__N_124unique_dim_cuda_templateIsEESt5tupleIJNS8_6TensorESD_SD_EERKSD_lbbbEUlllE1_EE10hipError_tPvRmT2_T3_mT4_P12ihipStream_tbEUlT_E_NS1_11comp_targetILNS1_3genE8ELNS1_11target_archE1030ELNS1_3gpuE2ELNS1_3repE0EEENS1_30default_config_static_selectorELNS0_4arch9wavefront6targetE1EEEvT1_,"axG",@progbits,_ZN7rocprim17ROCPRIM_400000_NS6detail17trampoline_kernelINS0_14default_configENS1_35adjacent_difference_config_selectorILb1ElEEZNS1_24adjacent_difference_implIS3_Lb1ELb0EPlS7_ZN2at6native12_GLOBAL__N_124unique_dim_cuda_templateIsEESt5tupleIJNS8_6TensorESD_SD_EERKSD_lbbbEUlllE1_EE10hipError_tPvRmT2_T3_mT4_P12ihipStream_tbEUlT_E_NS1_11comp_targetILNS1_3genE8ELNS1_11target_archE1030ELNS1_3gpuE2ELNS1_3repE0EEENS1_30default_config_static_selectorELNS0_4arch9wavefront6targetE1EEEvT1_,comdat
.Lfunc_end689:
	.size	_ZN7rocprim17ROCPRIM_400000_NS6detail17trampoline_kernelINS0_14default_configENS1_35adjacent_difference_config_selectorILb1ElEEZNS1_24adjacent_difference_implIS3_Lb1ELb0EPlS7_ZN2at6native12_GLOBAL__N_124unique_dim_cuda_templateIsEESt5tupleIJNS8_6TensorESD_SD_EERKSD_lbbbEUlllE1_EE10hipError_tPvRmT2_T3_mT4_P12ihipStream_tbEUlT_E_NS1_11comp_targetILNS1_3genE8ELNS1_11target_archE1030ELNS1_3gpuE2ELNS1_3repE0EEENS1_30default_config_static_selectorELNS0_4arch9wavefront6targetE1EEEvT1_, .Lfunc_end689-_ZN7rocprim17ROCPRIM_400000_NS6detail17trampoline_kernelINS0_14default_configENS1_35adjacent_difference_config_selectorILb1ElEEZNS1_24adjacent_difference_implIS3_Lb1ELb0EPlS7_ZN2at6native12_GLOBAL__N_124unique_dim_cuda_templateIsEESt5tupleIJNS8_6TensorESD_SD_EERKSD_lbbbEUlllE1_EE10hipError_tPvRmT2_T3_mT4_P12ihipStream_tbEUlT_E_NS1_11comp_targetILNS1_3genE8ELNS1_11target_archE1030ELNS1_3gpuE2ELNS1_3repE0EEENS1_30default_config_static_selectorELNS0_4arch9wavefront6targetE1EEEvT1_
                                        ; -- End function
	.section	.AMDGPU.csdata,"",@progbits
; Kernel info:
; codeLenInByte = 0
; NumSgprs: 6
; NumVgprs: 0
; NumAgprs: 0
; TotalNumVgprs: 0
; ScratchSize: 0
; MemoryBound: 0
; FloatMode: 240
; IeeeMode: 1
; LDSByteSize: 0 bytes/workgroup (compile time only)
; SGPRBlocks: 0
; VGPRBlocks: 0
; NumSGPRsForWavesPerEU: 6
; NumVGPRsForWavesPerEU: 1
; AccumOffset: 4
; Occupancy: 8
; WaveLimiterHint : 0
; COMPUTE_PGM_RSRC2:SCRATCH_EN: 0
; COMPUTE_PGM_RSRC2:USER_SGPR: 2
; COMPUTE_PGM_RSRC2:TRAP_HANDLER: 0
; COMPUTE_PGM_RSRC2:TGID_X_EN: 1
; COMPUTE_PGM_RSRC2:TGID_Y_EN: 0
; COMPUTE_PGM_RSRC2:TGID_Z_EN: 0
; COMPUTE_PGM_RSRC2:TIDIG_COMP_CNT: 0
; COMPUTE_PGM_RSRC3_GFX90A:ACCUM_OFFSET: 0
; COMPUTE_PGM_RSRC3_GFX90A:TG_SPLIT: 0
	.section	.text._ZN7rocprim17ROCPRIM_400000_NS6detail17trampoline_kernelINS0_14default_configENS1_25partition_config_selectorILNS1_17partition_subalgoE8ElNS0_10empty_typeEbEEZZNS1_14partition_implILS5_8ELb0ES3_jPlPS6_PKS6_NS0_5tupleIJS9_S6_EEENSD_IJSA_SA_EEENS0_18inequality_wrapperIZN2at6native12_GLOBAL__N_124unique_dim_cuda_templateIsEESt5tupleIJNSH_6TensorESM_SM_EERKSM_lbbbEUlllE0_EEPmJS6_EEE10hipError_tPvRmT3_T4_T5_T6_T7_T9_mT8_P12ihipStream_tbDpT10_ENKUlT_T0_E_clISt17integral_constantIbLb0EES1C_EEDaS17_S18_EUlS17_E_NS1_11comp_targetILNS1_3genE0ELNS1_11target_archE4294967295ELNS1_3gpuE0ELNS1_3repE0EEENS1_30default_config_static_selectorELNS0_4arch9wavefront6targetE1EEEvT1_,"axG",@progbits,_ZN7rocprim17ROCPRIM_400000_NS6detail17trampoline_kernelINS0_14default_configENS1_25partition_config_selectorILNS1_17partition_subalgoE8ElNS0_10empty_typeEbEEZZNS1_14partition_implILS5_8ELb0ES3_jPlPS6_PKS6_NS0_5tupleIJS9_S6_EEENSD_IJSA_SA_EEENS0_18inequality_wrapperIZN2at6native12_GLOBAL__N_124unique_dim_cuda_templateIsEESt5tupleIJNSH_6TensorESM_SM_EERKSM_lbbbEUlllE0_EEPmJS6_EEE10hipError_tPvRmT3_T4_T5_T6_T7_T9_mT8_P12ihipStream_tbDpT10_ENKUlT_T0_E_clISt17integral_constantIbLb0EES1C_EEDaS17_S18_EUlS17_E_NS1_11comp_targetILNS1_3genE0ELNS1_11target_archE4294967295ELNS1_3gpuE0ELNS1_3repE0EEENS1_30default_config_static_selectorELNS0_4arch9wavefront6targetE1EEEvT1_,comdat
	.globl	_ZN7rocprim17ROCPRIM_400000_NS6detail17trampoline_kernelINS0_14default_configENS1_25partition_config_selectorILNS1_17partition_subalgoE8ElNS0_10empty_typeEbEEZZNS1_14partition_implILS5_8ELb0ES3_jPlPS6_PKS6_NS0_5tupleIJS9_S6_EEENSD_IJSA_SA_EEENS0_18inequality_wrapperIZN2at6native12_GLOBAL__N_124unique_dim_cuda_templateIsEESt5tupleIJNSH_6TensorESM_SM_EERKSM_lbbbEUlllE0_EEPmJS6_EEE10hipError_tPvRmT3_T4_T5_T6_T7_T9_mT8_P12ihipStream_tbDpT10_ENKUlT_T0_E_clISt17integral_constantIbLb0EES1C_EEDaS17_S18_EUlS17_E_NS1_11comp_targetILNS1_3genE0ELNS1_11target_archE4294967295ELNS1_3gpuE0ELNS1_3repE0EEENS1_30default_config_static_selectorELNS0_4arch9wavefront6targetE1EEEvT1_ ; -- Begin function _ZN7rocprim17ROCPRIM_400000_NS6detail17trampoline_kernelINS0_14default_configENS1_25partition_config_selectorILNS1_17partition_subalgoE8ElNS0_10empty_typeEbEEZZNS1_14partition_implILS5_8ELb0ES3_jPlPS6_PKS6_NS0_5tupleIJS9_S6_EEENSD_IJSA_SA_EEENS0_18inequality_wrapperIZN2at6native12_GLOBAL__N_124unique_dim_cuda_templateIsEESt5tupleIJNSH_6TensorESM_SM_EERKSM_lbbbEUlllE0_EEPmJS6_EEE10hipError_tPvRmT3_T4_T5_T6_T7_T9_mT8_P12ihipStream_tbDpT10_ENKUlT_T0_E_clISt17integral_constantIbLb0EES1C_EEDaS17_S18_EUlS17_E_NS1_11comp_targetILNS1_3genE0ELNS1_11target_archE4294967295ELNS1_3gpuE0ELNS1_3repE0EEENS1_30default_config_static_selectorELNS0_4arch9wavefront6targetE1EEEvT1_
	.p2align	8
	.type	_ZN7rocprim17ROCPRIM_400000_NS6detail17trampoline_kernelINS0_14default_configENS1_25partition_config_selectorILNS1_17partition_subalgoE8ElNS0_10empty_typeEbEEZZNS1_14partition_implILS5_8ELb0ES3_jPlPS6_PKS6_NS0_5tupleIJS9_S6_EEENSD_IJSA_SA_EEENS0_18inequality_wrapperIZN2at6native12_GLOBAL__N_124unique_dim_cuda_templateIsEESt5tupleIJNSH_6TensorESM_SM_EERKSM_lbbbEUlllE0_EEPmJS6_EEE10hipError_tPvRmT3_T4_T5_T6_T7_T9_mT8_P12ihipStream_tbDpT10_ENKUlT_T0_E_clISt17integral_constantIbLb0EES1C_EEDaS17_S18_EUlS17_E_NS1_11comp_targetILNS1_3genE0ELNS1_11target_archE4294967295ELNS1_3gpuE0ELNS1_3repE0EEENS1_30default_config_static_selectorELNS0_4arch9wavefront6targetE1EEEvT1_,@function
_ZN7rocprim17ROCPRIM_400000_NS6detail17trampoline_kernelINS0_14default_configENS1_25partition_config_selectorILNS1_17partition_subalgoE8ElNS0_10empty_typeEbEEZZNS1_14partition_implILS5_8ELb0ES3_jPlPS6_PKS6_NS0_5tupleIJS9_S6_EEENSD_IJSA_SA_EEENS0_18inequality_wrapperIZN2at6native12_GLOBAL__N_124unique_dim_cuda_templateIsEESt5tupleIJNSH_6TensorESM_SM_EERKSM_lbbbEUlllE0_EEPmJS6_EEE10hipError_tPvRmT3_T4_T5_T6_T7_T9_mT8_P12ihipStream_tbDpT10_ENKUlT_T0_E_clISt17integral_constantIbLb0EES1C_EEDaS17_S18_EUlS17_E_NS1_11comp_targetILNS1_3genE0ELNS1_11target_archE4294967295ELNS1_3gpuE0ELNS1_3repE0EEENS1_30default_config_static_selectorELNS0_4arch9wavefront6targetE1EEEvT1_: ; @_ZN7rocprim17ROCPRIM_400000_NS6detail17trampoline_kernelINS0_14default_configENS1_25partition_config_selectorILNS1_17partition_subalgoE8ElNS0_10empty_typeEbEEZZNS1_14partition_implILS5_8ELb0ES3_jPlPS6_PKS6_NS0_5tupleIJS9_S6_EEENSD_IJSA_SA_EEENS0_18inequality_wrapperIZN2at6native12_GLOBAL__N_124unique_dim_cuda_templateIsEESt5tupleIJNSH_6TensorESM_SM_EERKSM_lbbbEUlllE0_EEPmJS6_EEE10hipError_tPvRmT3_T4_T5_T6_T7_T9_mT8_P12ihipStream_tbDpT10_ENKUlT_T0_E_clISt17integral_constantIbLb0EES1C_EEDaS17_S18_EUlS17_E_NS1_11comp_targetILNS1_3genE0ELNS1_11target_archE4294967295ELNS1_3gpuE0ELNS1_3repE0EEENS1_30default_config_static_selectorELNS0_4arch9wavefront6targetE1EEEvT1_
; %bb.0:
	.section	.rodata,"a",@progbits
	.p2align	6, 0x0
	.amdhsa_kernel _ZN7rocprim17ROCPRIM_400000_NS6detail17trampoline_kernelINS0_14default_configENS1_25partition_config_selectorILNS1_17partition_subalgoE8ElNS0_10empty_typeEbEEZZNS1_14partition_implILS5_8ELb0ES3_jPlPS6_PKS6_NS0_5tupleIJS9_S6_EEENSD_IJSA_SA_EEENS0_18inequality_wrapperIZN2at6native12_GLOBAL__N_124unique_dim_cuda_templateIsEESt5tupleIJNSH_6TensorESM_SM_EERKSM_lbbbEUlllE0_EEPmJS6_EEE10hipError_tPvRmT3_T4_T5_T6_T7_T9_mT8_P12ihipStream_tbDpT10_ENKUlT_T0_E_clISt17integral_constantIbLb0EES1C_EEDaS17_S18_EUlS17_E_NS1_11comp_targetILNS1_3genE0ELNS1_11target_archE4294967295ELNS1_3gpuE0ELNS1_3repE0EEENS1_30default_config_static_selectorELNS0_4arch9wavefront6targetE1EEEvT1_
		.amdhsa_group_segment_fixed_size 0
		.amdhsa_private_segment_fixed_size 0
		.amdhsa_kernarg_size 120
		.amdhsa_user_sgpr_count 2
		.amdhsa_user_sgpr_dispatch_ptr 0
		.amdhsa_user_sgpr_queue_ptr 0
		.amdhsa_user_sgpr_kernarg_segment_ptr 1
		.amdhsa_user_sgpr_dispatch_id 0
		.amdhsa_user_sgpr_kernarg_preload_length 0
		.amdhsa_user_sgpr_kernarg_preload_offset 0
		.amdhsa_user_sgpr_private_segment_size 0
		.amdhsa_uses_dynamic_stack 0
		.amdhsa_enable_private_segment 0
		.amdhsa_system_sgpr_workgroup_id_x 1
		.amdhsa_system_sgpr_workgroup_id_y 0
		.amdhsa_system_sgpr_workgroup_id_z 0
		.amdhsa_system_sgpr_workgroup_info 0
		.amdhsa_system_vgpr_workitem_id 0
		.amdhsa_next_free_vgpr 1
		.amdhsa_next_free_sgpr 0
		.amdhsa_accum_offset 4
		.amdhsa_reserve_vcc 0
		.amdhsa_float_round_mode_32 0
		.amdhsa_float_round_mode_16_64 0
		.amdhsa_float_denorm_mode_32 3
		.amdhsa_float_denorm_mode_16_64 3
		.amdhsa_dx10_clamp 1
		.amdhsa_ieee_mode 1
		.amdhsa_fp16_overflow 0
		.amdhsa_tg_split 0
		.amdhsa_exception_fp_ieee_invalid_op 0
		.amdhsa_exception_fp_denorm_src 0
		.amdhsa_exception_fp_ieee_div_zero 0
		.amdhsa_exception_fp_ieee_overflow 0
		.amdhsa_exception_fp_ieee_underflow 0
		.amdhsa_exception_fp_ieee_inexact 0
		.amdhsa_exception_int_div_zero 0
	.end_amdhsa_kernel
	.section	.text._ZN7rocprim17ROCPRIM_400000_NS6detail17trampoline_kernelINS0_14default_configENS1_25partition_config_selectorILNS1_17partition_subalgoE8ElNS0_10empty_typeEbEEZZNS1_14partition_implILS5_8ELb0ES3_jPlPS6_PKS6_NS0_5tupleIJS9_S6_EEENSD_IJSA_SA_EEENS0_18inequality_wrapperIZN2at6native12_GLOBAL__N_124unique_dim_cuda_templateIsEESt5tupleIJNSH_6TensorESM_SM_EERKSM_lbbbEUlllE0_EEPmJS6_EEE10hipError_tPvRmT3_T4_T5_T6_T7_T9_mT8_P12ihipStream_tbDpT10_ENKUlT_T0_E_clISt17integral_constantIbLb0EES1C_EEDaS17_S18_EUlS17_E_NS1_11comp_targetILNS1_3genE0ELNS1_11target_archE4294967295ELNS1_3gpuE0ELNS1_3repE0EEENS1_30default_config_static_selectorELNS0_4arch9wavefront6targetE1EEEvT1_,"axG",@progbits,_ZN7rocprim17ROCPRIM_400000_NS6detail17trampoline_kernelINS0_14default_configENS1_25partition_config_selectorILNS1_17partition_subalgoE8ElNS0_10empty_typeEbEEZZNS1_14partition_implILS5_8ELb0ES3_jPlPS6_PKS6_NS0_5tupleIJS9_S6_EEENSD_IJSA_SA_EEENS0_18inequality_wrapperIZN2at6native12_GLOBAL__N_124unique_dim_cuda_templateIsEESt5tupleIJNSH_6TensorESM_SM_EERKSM_lbbbEUlllE0_EEPmJS6_EEE10hipError_tPvRmT3_T4_T5_T6_T7_T9_mT8_P12ihipStream_tbDpT10_ENKUlT_T0_E_clISt17integral_constantIbLb0EES1C_EEDaS17_S18_EUlS17_E_NS1_11comp_targetILNS1_3genE0ELNS1_11target_archE4294967295ELNS1_3gpuE0ELNS1_3repE0EEENS1_30default_config_static_selectorELNS0_4arch9wavefront6targetE1EEEvT1_,comdat
.Lfunc_end690:
	.size	_ZN7rocprim17ROCPRIM_400000_NS6detail17trampoline_kernelINS0_14default_configENS1_25partition_config_selectorILNS1_17partition_subalgoE8ElNS0_10empty_typeEbEEZZNS1_14partition_implILS5_8ELb0ES3_jPlPS6_PKS6_NS0_5tupleIJS9_S6_EEENSD_IJSA_SA_EEENS0_18inequality_wrapperIZN2at6native12_GLOBAL__N_124unique_dim_cuda_templateIsEESt5tupleIJNSH_6TensorESM_SM_EERKSM_lbbbEUlllE0_EEPmJS6_EEE10hipError_tPvRmT3_T4_T5_T6_T7_T9_mT8_P12ihipStream_tbDpT10_ENKUlT_T0_E_clISt17integral_constantIbLb0EES1C_EEDaS17_S18_EUlS17_E_NS1_11comp_targetILNS1_3genE0ELNS1_11target_archE4294967295ELNS1_3gpuE0ELNS1_3repE0EEENS1_30default_config_static_selectorELNS0_4arch9wavefront6targetE1EEEvT1_, .Lfunc_end690-_ZN7rocprim17ROCPRIM_400000_NS6detail17trampoline_kernelINS0_14default_configENS1_25partition_config_selectorILNS1_17partition_subalgoE8ElNS0_10empty_typeEbEEZZNS1_14partition_implILS5_8ELb0ES3_jPlPS6_PKS6_NS0_5tupleIJS9_S6_EEENSD_IJSA_SA_EEENS0_18inequality_wrapperIZN2at6native12_GLOBAL__N_124unique_dim_cuda_templateIsEESt5tupleIJNSH_6TensorESM_SM_EERKSM_lbbbEUlllE0_EEPmJS6_EEE10hipError_tPvRmT3_T4_T5_T6_T7_T9_mT8_P12ihipStream_tbDpT10_ENKUlT_T0_E_clISt17integral_constantIbLb0EES1C_EEDaS17_S18_EUlS17_E_NS1_11comp_targetILNS1_3genE0ELNS1_11target_archE4294967295ELNS1_3gpuE0ELNS1_3repE0EEENS1_30default_config_static_selectorELNS0_4arch9wavefront6targetE1EEEvT1_
                                        ; -- End function
	.section	.AMDGPU.csdata,"",@progbits
; Kernel info:
; codeLenInByte = 0
; NumSgprs: 6
; NumVgprs: 0
; NumAgprs: 0
; TotalNumVgprs: 0
; ScratchSize: 0
; MemoryBound: 0
; FloatMode: 240
; IeeeMode: 1
; LDSByteSize: 0 bytes/workgroup (compile time only)
; SGPRBlocks: 0
; VGPRBlocks: 0
; NumSGPRsForWavesPerEU: 6
; NumVGPRsForWavesPerEU: 1
; AccumOffset: 4
; Occupancy: 8
; WaveLimiterHint : 0
; COMPUTE_PGM_RSRC2:SCRATCH_EN: 0
; COMPUTE_PGM_RSRC2:USER_SGPR: 2
; COMPUTE_PGM_RSRC2:TRAP_HANDLER: 0
; COMPUTE_PGM_RSRC2:TGID_X_EN: 1
; COMPUTE_PGM_RSRC2:TGID_Y_EN: 0
; COMPUTE_PGM_RSRC2:TGID_Z_EN: 0
; COMPUTE_PGM_RSRC2:TIDIG_COMP_CNT: 0
; COMPUTE_PGM_RSRC3_GFX90A:ACCUM_OFFSET: 0
; COMPUTE_PGM_RSRC3_GFX90A:TG_SPLIT: 0
	.section	.text._ZN7rocprim17ROCPRIM_400000_NS6detail17trampoline_kernelINS0_14default_configENS1_25partition_config_selectorILNS1_17partition_subalgoE8ElNS0_10empty_typeEbEEZZNS1_14partition_implILS5_8ELb0ES3_jPlPS6_PKS6_NS0_5tupleIJS9_S6_EEENSD_IJSA_SA_EEENS0_18inequality_wrapperIZN2at6native12_GLOBAL__N_124unique_dim_cuda_templateIsEESt5tupleIJNSH_6TensorESM_SM_EERKSM_lbbbEUlllE0_EEPmJS6_EEE10hipError_tPvRmT3_T4_T5_T6_T7_T9_mT8_P12ihipStream_tbDpT10_ENKUlT_T0_E_clISt17integral_constantIbLb0EES1C_EEDaS17_S18_EUlS17_E_NS1_11comp_targetILNS1_3genE5ELNS1_11target_archE942ELNS1_3gpuE9ELNS1_3repE0EEENS1_30default_config_static_selectorELNS0_4arch9wavefront6targetE1EEEvT1_,"axG",@progbits,_ZN7rocprim17ROCPRIM_400000_NS6detail17trampoline_kernelINS0_14default_configENS1_25partition_config_selectorILNS1_17partition_subalgoE8ElNS0_10empty_typeEbEEZZNS1_14partition_implILS5_8ELb0ES3_jPlPS6_PKS6_NS0_5tupleIJS9_S6_EEENSD_IJSA_SA_EEENS0_18inequality_wrapperIZN2at6native12_GLOBAL__N_124unique_dim_cuda_templateIsEESt5tupleIJNSH_6TensorESM_SM_EERKSM_lbbbEUlllE0_EEPmJS6_EEE10hipError_tPvRmT3_T4_T5_T6_T7_T9_mT8_P12ihipStream_tbDpT10_ENKUlT_T0_E_clISt17integral_constantIbLb0EES1C_EEDaS17_S18_EUlS17_E_NS1_11comp_targetILNS1_3genE5ELNS1_11target_archE942ELNS1_3gpuE9ELNS1_3repE0EEENS1_30default_config_static_selectorELNS0_4arch9wavefront6targetE1EEEvT1_,comdat
	.globl	_ZN7rocprim17ROCPRIM_400000_NS6detail17trampoline_kernelINS0_14default_configENS1_25partition_config_selectorILNS1_17partition_subalgoE8ElNS0_10empty_typeEbEEZZNS1_14partition_implILS5_8ELb0ES3_jPlPS6_PKS6_NS0_5tupleIJS9_S6_EEENSD_IJSA_SA_EEENS0_18inequality_wrapperIZN2at6native12_GLOBAL__N_124unique_dim_cuda_templateIsEESt5tupleIJNSH_6TensorESM_SM_EERKSM_lbbbEUlllE0_EEPmJS6_EEE10hipError_tPvRmT3_T4_T5_T6_T7_T9_mT8_P12ihipStream_tbDpT10_ENKUlT_T0_E_clISt17integral_constantIbLb0EES1C_EEDaS17_S18_EUlS17_E_NS1_11comp_targetILNS1_3genE5ELNS1_11target_archE942ELNS1_3gpuE9ELNS1_3repE0EEENS1_30default_config_static_selectorELNS0_4arch9wavefront6targetE1EEEvT1_ ; -- Begin function _ZN7rocprim17ROCPRIM_400000_NS6detail17trampoline_kernelINS0_14default_configENS1_25partition_config_selectorILNS1_17partition_subalgoE8ElNS0_10empty_typeEbEEZZNS1_14partition_implILS5_8ELb0ES3_jPlPS6_PKS6_NS0_5tupleIJS9_S6_EEENSD_IJSA_SA_EEENS0_18inequality_wrapperIZN2at6native12_GLOBAL__N_124unique_dim_cuda_templateIsEESt5tupleIJNSH_6TensorESM_SM_EERKSM_lbbbEUlllE0_EEPmJS6_EEE10hipError_tPvRmT3_T4_T5_T6_T7_T9_mT8_P12ihipStream_tbDpT10_ENKUlT_T0_E_clISt17integral_constantIbLb0EES1C_EEDaS17_S18_EUlS17_E_NS1_11comp_targetILNS1_3genE5ELNS1_11target_archE942ELNS1_3gpuE9ELNS1_3repE0EEENS1_30default_config_static_selectorELNS0_4arch9wavefront6targetE1EEEvT1_
	.p2align	8
	.type	_ZN7rocprim17ROCPRIM_400000_NS6detail17trampoline_kernelINS0_14default_configENS1_25partition_config_selectorILNS1_17partition_subalgoE8ElNS0_10empty_typeEbEEZZNS1_14partition_implILS5_8ELb0ES3_jPlPS6_PKS6_NS0_5tupleIJS9_S6_EEENSD_IJSA_SA_EEENS0_18inequality_wrapperIZN2at6native12_GLOBAL__N_124unique_dim_cuda_templateIsEESt5tupleIJNSH_6TensorESM_SM_EERKSM_lbbbEUlllE0_EEPmJS6_EEE10hipError_tPvRmT3_T4_T5_T6_T7_T9_mT8_P12ihipStream_tbDpT10_ENKUlT_T0_E_clISt17integral_constantIbLb0EES1C_EEDaS17_S18_EUlS17_E_NS1_11comp_targetILNS1_3genE5ELNS1_11target_archE942ELNS1_3gpuE9ELNS1_3repE0EEENS1_30default_config_static_selectorELNS0_4arch9wavefront6targetE1EEEvT1_,@function
_ZN7rocprim17ROCPRIM_400000_NS6detail17trampoline_kernelINS0_14default_configENS1_25partition_config_selectorILNS1_17partition_subalgoE8ElNS0_10empty_typeEbEEZZNS1_14partition_implILS5_8ELb0ES3_jPlPS6_PKS6_NS0_5tupleIJS9_S6_EEENSD_IJSA_SA_EEENS0_18inequality_wrapperIZN2at6native12_GLOBAL__N_124unique_dim_cuda_templateIsEESt5tupleIJNSH_6TensorESM_SM_EERKSM_lbbbEUlllE0_EEPmJS6_EEE10hipError_tPvRmT3_T4_T5_T6_T7_T9_mT8_P12ihipStream_tbDpT10_ENKUlT_T0_E_clISt17integral_constantIbLb0EES1C_EEDaS17_S18_EUlS17_E_NS1_11comp_targetILNS1_3genE5ELNS1_11target_archE942ELNS1_3gpuE9ELNS1_3repE0EEENS1_30default_config_static_selectorELNS0_4arch9wavefront6targetE1EEEvT1_: ; @_ZN7rocprim17ROCPRIM_400000_NS6detail17trampoline_kernelINS0_14default_configENS1_25partition_config_selectorILNS1_17partition_subalgoE8ElNS0_10empty_typeEbEEZZNS1_14partition_implILS5_8ELb0ES3_jPlPS6_PKS6_NS0_5tupleIJS9_S6_EEENSD_IJSA_SA_EEENS0_18inequality_wrapperIZN2at6native12_GLOBAL__N_124unique_dim_cuda_templateIsEESt5tupleIJNSH_6TensorESM_SM_EERKSM_lbbbEUlllE0_EEPmJS6_EEE10hipError_tPvRmT3_T4_T5_T6_T7_T9_mT8_P12ihipStream_tbDpT10_ENKUlT_T0_E_clISt17integral_constantIbLb0EES1C_EEDaS17_S18_EUlS17_E_NS1_11comp_targetILNS1_3genE5ELNS1_11target_archE942ELNS1_3gpuE9ELNS1_3repE0EEENS1_30default_config_static_selectorELNS0_4arch9wavefront6targetE1EEEvT1_
; %bb.0:
	s_load_dwordx8 s[20:27], s[0:1], 0x40
	s_load_dwordx4 s[4:7], s[0:1], 0x8
	s_load_dwordx4 s[28:31], s[0:1], 0x60
	s_load_dword s3, s[0:1], 0x70
	s_waitcnt lgkmcnt(0)
	v_mov_b32_e32 v2, s24
	s_lshl_b64 s[8:9], s[6:7], 3
	s_add_u32 s12, s4, s8
	s_mul_i32 s8, s3, 0xe00
	s_addc_u32 s13, s5, s9
	s_add_i32 s10, s3, -1
	s_add_i32 s3, s8, s6
	s_sub_i32 s3, s24, s3
	s_add_u32 s8, s6, s8
	s_addc_u32 s9, s7, 0
	v_mov_b32_e32 v3, s25
	s_cmp_eq_u32 s2, s10
	s_load_dwordx2 s[22:23], s[22:23], 0x0
	v_cmp_ge_u64_e32 vcc, s[8:9], v[2:3]
	s_cselect_b64 s[24:25], -1, 0
	s_mul_i32 s4, s2, 0xe00
	s_mov_b32 s5, 0
	s_and_b64 s[8:9], s[24:25], vcc
	s_xor_b64 s[34:35], s[8:9], -1
	s_lshl_b64 s[4:5], s[4:5], 3
	s_add_u32 s4, s12, s4
	s_mov_b64 s[10:11], -1
	s_addc_u32 s5, s13, s5
	s_and_b64 vcc, exec, s[34:35]
	s_cbranch_vccz .LBB691_2
; %bb.1:
	v_lshlrev_b32_e32 v2, 3, v0
	v_mov_b32_e32 v3, 0
	v_lshl_add_u64 v[4:5], s[4:5], 0, v[2:3]
	v_add_co_u32_e32 v8, vcc, 0x1000, v4
	global_load_dwordx2 v[6:7], v2, s[4:5]
	s_nop 0
	v_addc_co_u32_e32 v9, vcc, 0, v5, vcc
	v_add_co_u32_e32 v10, vcc, 0x2000, v4
	s_mov_b64 s[10:11], 0
	s_nop 0
	v_addc_co_u32_e32 v11, vcc, 0, v5, vcc
	v_add_co_u32_e32 v12, vcc, 0x3000, v4
	s_nop 1
	v_addc_co_u32_e32 v13, vcc, 0, v5, vcc
	v_add_co_u32_e32 v14, vcc, 0x4000, v4
	s_nop 1
	v_addc_co_u32_e32 v15, vcc, 0, v5, vcc
	global_load_dwordx2 v[16:17], v[8:9], off
	global_load_dwordx2 v[18:19], v[10:11], off
	;; [unrolled: 1-line block ×4, first 2 shown]
	v_add_co_u32_e32 v8, vcc, 0x5000, v4
	s_nop 1
	v_addc_co_u32_e32 v9, vcc, 0, v5, vcc
	v_add_co_u32_e32 v4, vcc, 0x6000, v4
	global_load_dwordx2 v[8:9], v[8:9], off
	s_nop 0
	v_addc_co_u32_e32 v5, vcc, 0, v5, vcc
	global_load_dwordx2 v[4:5], v[4:5], off
	s_waitcnt vmcnt(5)
	ds_write2st64_b64 v2, v[6:7], v[16:17] offset1:8
	s_waitcnt vmcnt(3)
	ds_write2st64_b64 v2, v[18:19], v[20:21] offset0:16 offset1:24
	s_waitcnt vmcnt(1)
	ds_write2st64_b64 v2, v[22:23], v[8:9] offset0:32 offset1:40
	s_waitcnt vmcnt(0)
	ds_write_b64 v2, v[4:5] offset:24576
	s_waitcnt lgkmcnt(0)
	s_barrier
.LBB691_2:
	s_andn2_b64 vcc, exec, s[10:11]
	s_addk_i32 s3, 0xe00
	s_cbranch_vccnz .LBB691_18
; %bb.3:
	v_cmp_gt_u32_e32 vcc, s3, v0
                                        ; implicit-def: $vgpr2_vgpr3_vgpr4_vgpr5_vgpr6_vgpr7_vgpr8_vgpr9_vgpr10_vgpr11_vgpr12_vgpr13_vgpr14_vgpr15_vgpr16_vgpr17
	s_and_saveexec_b64 s[10:11], vcc
	s_cbranch_execz .LBB691_5
; %bb.4:
	v_lshlrev_b32_e32 v1, 3, v0
	global_load_dwordx2 v[2:3], v1, s[4:5]
.LBB691_5:
	s_or_b64 exec, exec, s[10:11]
	v_or_b32_e32 v1, 0x200, v0
	v_cmp_gt_u32_e32 vcc, s3, v1
	s_and_saveexec_b64 s[10:11], vcc
	s_cbranch_execz .LBB691_7
; %bb.6:
	v_lshlrev_b32_e32 v1, 3, v1
	global_load_dwordx2 v[4:5], v1, s[4:5]
.LBB691_7:
	s_or_b64 exec, exec, s[10:11]
	v_or_b32_e32 v1, 0x400, v0
	v_cmp_gt_u32_e32 vcc, s3, v1
	;; [unrolled: 9-line block ×6, first 2 shown]
	s_and_saveexec_b64 s[10:11], vcc
	s_cbranch_execz .LBB691_17
; %bb.16:
	v_lshlrev_b32_e32 v1, 3, v1
	global_load_dwordx2 v[14:15], v1, s[4:5]
.LBB691_17:
	s_or_b64 exec, exec, s[10:11]
	v_lshlrev_b32_e32 v1, 3, v0
	s_waitcnt vmcnt(0)
	ds_write2st64_b64 v1, v[2:3], v[4:5] offset1:8
	ds_write2st64_b64 v1, v[6:7], v[8:9] offset0:16 offset1:24
	ds_write2st64_b64 v1, v[10:11], v[12:13] offset0:32 offset1:40
	ds_write_b64 v1, v[14:15] offset:24576
	s_waitcnt lgkmcnt(0)
	s_barrier
.LBB691_18:
	v_mul_u32_u24_e32 v1, 7, v0
	v_lshlrev_b32_e32 v30, 3, v1
	s_waitcnt lgkmcnt(0)
	ds_read2_b64 v[10:13], v30 offset1:1
	ds_read2_b64 v[6:9], v30 offset0:2 offset1:3
	ds_read2_b64 v[2:5], v30 offset0:4 offset1:5
	ds_read_b64 v[14:15], v30 offset:48
	s_cmp_lg_u32 s2, 0
	s_cselect_b64 s[16:17], -1, 0
	s_cmp_lg_u64 s[6:7], 0
	s_cselect_b64 s[6:7], -1, 0
	s_or_b64 s[6:7], s[16:17], s[6:7]
	v_mad_u32_u24 v25, v0, 7, 1
	v_mad_u32_u24 v24, v0, 7, 2
	;; [unrolled: 1-line block ×6, first 2 shown]
	s_mov_b64 s[10:11], 0
	s_and_b64 vcc, exec, s[6:7]
	v_cmp_gt_i64_e64 s[12:13], s[26:27], 0
	s_waitcnt lgkmcnt(0)
	s_barrier
	s_cbranch_vccz .LBB691_27
; %bb.19:
	s_add_u32 s4, s4, -8
	s_addc_u32 s5, s5, -1
	s_load_dwordx2 s[6:7], s[4:5], 0x0
	v_cndmask_b32_e64 v16, 0, 1, s[12:13]
	v_lshlrev_b32_e32 v31, 3, v0
	s_and_b64 vcc, exec, s[34:35]
	v_cmp_ne_u32_e64 s[4:5], 1, v16
	ds_write_b64 v31, v[14:15]
	s_cbranch_vccz .LBB691_29
; %bb.20:
	v_mul_lo_u32 v18, v5, s26
	v_mul_lo_u32 v19, v4, s27
	v_mad_u64_u32 v[16:17], s[12:13], v4, s26, 0
	v_add3_u32 v17, v17, v19, v18
	s_and_b64 vcc, exec, s[4:5]
	v_lshl_add_u64 v[16:17], v[16:17], 1, s[28:29]
	s_cbranch_vccnz .LBB691_32
; %bb.21:
	v_mul_lo_u32 v20, v15, s26
	v_mul_lo_u32 v21, v14, s27
	v_mad_u64_u32 v[18:19], s[10:11], v14, s26, 0
	v_add3_u32 v19, v19, v21, v20
	v_lshl_add_u64 v[18:19], v[18:19], 1, s[28:29]
	global_load_ushort v20, v[16:17], off
	global_load_ushort v21, v[18:19], off
	s_mov_b64 s[10:11], -1
	s_waitcnt vmcnt(0)
	v_cmp_eq_u16_e32 vcc, v20, v21
	s_and_saveexec_b64 s[12:13], vcc
	s_cbranch_execz .LBB691_31
; %bb.22:
	s_add_u32 s10, s26, -1
	v_lshl_add_u64 v[18:19], v[18:19], 0, 2
	v_lshl_add_u64 v[20:21], v[16:17], 0, 2
	s_addc_u32 s11, s27, -1
	s_mov_b64 s[14:15], 0
	s_mov_b64 s[36:37], 0
                                        ; implicit-def: $sgpr18_sgpr19
	s_branch .LBB691_25
.LBB691_23:                             ;   in Loop: Header=BB691_25 Depth=1
	global_load_ushort v22, v[20:21], off
	global_load_ushort v23, v[18:19], off
	s_add_u32 s36, s36, 1
	s_addc_u32 s37, s37, 0
	s_andn2_b64 s[18:19], s[18:19], exec
	v_lshl_add_u64 v[18:19], v[18:19], 0, 2
	v_lshl_add_u64 v[20:21], v[20:21], 0, 2
	s_waitcnt vmcnt(0)
	v_cmp_ne_u16_e32 vcc, v22, v23
	s_and_b64 s[38:39], vcc, exec
	s_or_b64 s[18:19], s[18:19], s[38:39]
.LBB691_24:                             ;   in Loop: Header=BB691_25 Depth=1
	s_and_b64 s[38:39], exec, s[18:19]
	s_or_b64 s[14:15], s[38:39], s[14:15]
	v_mov_b64_e32 v[22:23], s[36:37]
	s_andn2_b64 exec, exec, s[14:15]
	s_cbranch_execz .LBB691_30
.LBB691_25:                             ; =>This Inner Loop Header: Depth=1
	s_or_b64 s[18:19], s[18:19], exec
	s_cmp_eq_u64 s[10:11], s[36:37]
	s_cbranch_scc0 .LBB691_23
; %bb.26:                               ;   in Loop: Header=BB691_25 Depth=1
                                        ; implicit-def: $vgpr18_vgpr19
                                        ; implicit-def: $vgpr20_vgpr21
	s_mov_b64 s[36:37], s[26:27]
	s_branch .LBB691_24
.LBB691_27:
                                        ; implicit-def: $sgpr18_sgpr19
                                        ; implicit-def: $vgpr34
                                        ; implicit-def: $vgpr33
                                        ; implicit-def: $vgpr32
                                        ; implicit-def: $vgpr20
	s_branch .LBB691_170
.LBB691_28:
                                        ; implicit-def: $vgpr16_vgpr17
	s_branch .LBB691_318
.LBB691_29:
                                        ; implicit-def: $sgpr18_sgpr19
                                        ; implicit-def: $vgpr34
                                        ; implicit-def: $vgpr33
                                        ; implicit-def: $vgpr32
                                        ; implicit-def: $vgpr20
	s_cbranch_execnz .LBB691_89
	s_branch .LBB691_169
.LBB691_30:
	s_or_b64 exec, exec, s[14:15]
	v_cmp_gt_i64_e32 vcc, s[26:27], v[22:23]
	s_orn2_b64 s[10:11], vcc, exec
.LBB691_31:
	s_or_b64 exec, exec, s[12:13]
.LBB691_32:
	v_mul_lo_u32 v20, v3, s26
	v_mul_lo_u32 v21, v2, s27
	v_mad_u64_u32 v[18:19], s[12:13], v2, s26, 0
	v_add3_u32 v19, v19, v21, v20
	s_mov_b64 s[12:13], 0
	s_and_b64 vcc, exec, s[4:5]
	v_lshl_add_u64 v[18:19], v[18:19], 1, s[28:29]
	s_mov_b64 s[14:15], 0
	s_cbranch_vccnz .LBB691_41
; %bb.33:
	global_load_ushort v20, v[18:19], off
	global_load_ushort v21, v[16:17], off
	s_mov_b64 s[14:15], -1
	s_waitcnt vmcnt(0)
	v_cmp_eq_u16_e32 vcc, v20, v21
	s_and_saveexec_b64 s[18:19], vcc
	s_cbranch_execz .LBB691_40
; %bb.34:
	s_add_u32 s14, s26, -1
	v_lshl_add_u64 v[16:17], v[16:17], 0, 2
	v_lshl_add_u64 v[20:21], v[18:19], 0, 2
	s_addc_u32 s15, s27, -1
	s_mov_b64 s[36:37], 0
	s_mov_b64 s[40:41], 0
                                        ; implicit-def: $sgpr38_sgpr39
	s_branch .LBB691_37
.LBB691_35:                             ;   in Loop: Header=BB691_37 Depth=1
	global_load_ushort v22, v[20:21], off
	global_load_ushort v23, v[16:17], off
	s_add_u32 s40, s40, 1
	s_addc_u32 s41, s41, 0
	s_andn2_b64 s[38:39], s[38:39], exec
	v_lshl_add_u64 v[16:17], v[16:17], 0, 2
	v_lshl_add_u64 v[20:21], v[20:21], 0, 2
	s_waitcnt vmcnt(0)
	v_cmp_ne_u16_e32 vcc, v22, v23
	s_and_b64 s[42:43], vcc, exec
	s_or_b64 s[38:39], s[38:39], s[42:43]
.LBB691_36:                             ;   in Loop: Header=BB691_37 Depth=1
	s_and_b64 s[42:43], exec, s[38:39]
	s_or_b64 s[36:37], s[42:43], s[36:37]
	v_mov_b64_e32 v[22:23], s[40:41]
	s_andn2_b64 exec, exec, s[36:37]
	s_cbranch_execz .LBB691_39
.LBB691_37:                             ; =>This Inner Loop Header: Depth=1
	s_or_b64 s[38:39], s[38:39], exec
	s_cmp_eq_u64 s[14:15], s[40:41]
	s_cbranch_scc0 .LBB691_35
; %bb.38:                               ;   in Loop: Header=BB691_37 Depth=1
                                        ; implicit-def: $vgpr16_vgpr17
                                        ; implicit-def: $vgpr20_vgpr21
	s_mov_b64 s[40:41], s[26:27]
	s_branch .LBB691_36
.LBB691_39:
	s_or_b64 exec, exec, s[36:37]
	v_cmp_gt_i64_e32 vcc, s[26:27], v[22:23]
	s_orn2_b64 s[14:15], vcc, exec
.LBB691_40:
	s_or_b64 exec, exec, s[18:19]
.LBB691_41:
	v_mul_lo_u32 v20, v9, s26
	v_mul_lo_u32 v21, v8, s27
	v_mad_u64_u32 v[16:17], s[18:19], v8, s26, 0
	v_add3_u32 v17, v17, v21, v20
	s_and_b64 vcc, exec, s[4:5]
	v_lshl_add_u64 v[16:17], v[16:17], 1, s[28:29]
	s_cbranch_vccnz .LBB691_50
; %bb.42:
	global_load_ushort v20, v[16:17], off
	global_load_ushort v21, v[18:19], off
	s_mov_b64 s[12:13], -1
	s_waitcnt vmcnt(0)
	v_cmp_eq_u16_e32 vcc, v20, v21
	s_and_saveexec_b64 s[18:19], vcc
	s_cbranch_execz .LBB691_49
; %bb.43:
	s_add_u32 s12, s26, -1
	v_lshl_add_u64 v[18:19], v[18:19], 0, 2
	v_lshl_add_u64 v[20:21], v[16:17], 0, 2
	s_addc_u32 s13, s27, -1
	s_mov_b64 s[36:37], 0
	s_mov_b64 s[40:41], 0
                                        ; implicit-def: $sgpr38_sgpr39
	s_branch .LBB691_46
.LBB691_44:                             ;   in Loop: Header=BB691_46 Depth=1
	global_load_ushort v22, v[20:21], off
	global_load_ushort v23, v[18:19], off
	s_add_u32 s40, s40, 1
	s_addc_u32 s41, s41, 0
	s_andn2_b64 s[38:39], s[38:39], exec
	v_lshl_add_u64 v[18:19], v[18:19], 0, 2
	v_lshl_add_u64 v[20:21], v[20:21], 0, 2
	s_waitcnt vmcnt(0)
	v_cmp_ne_u16_e32 vcc, v22, v23
	s_and_b64 s[42:43], vcc, exec
	s_or_b64 s[38:39], s[38:39], s[42:43]
.LBB691_45:                             ;   in Loop: Header=BB691_46 Depth=1
	s_and_b64 s[42:43], exec, s[38:39]
	s_or_b64 s[36:37], s[42:43], s[36:37]
	v_mov_b64_e32 v[22:23], s[40:41]
	s_andn2_b64 exec, exec, s[36:37]
	s_cbranch_execz .LBB691_48
.LBB691_46:                             ; =>This Inner Loop Header: Depth=1
	s_or_b64 s[38:39], s[38:39], exec
	s_cmp_eq_u64 s[12:13], s[40:41]
	s_cbranch_scc0 .LBB691_44
; %bb.47:                               ;   in Loop: Header=BB691_46 Depth=1
                                        ; implicit-def: $vgpr18_vgpr19
                                        ; implicit-def: $vgpr20_vgpr21
	s_mov_b64 s[40:41], s[26:27]
	s_branch .LBB691_45
.LBB691_48:
	s_or_b64 exec, exec, s[36:37]
	v_cmp_gt_i64_e32 vcc, s[26:27], v[22:23]
	s_orn2_b64 s[12:13], vcc, exec
.LBB691_49:
	s_or_b64 exec, exec, s[18:19]
.LBB691_50:
	v_mul_lo_u32 v20, v7, s26
	v_mul_lo_u32 v21, v6, s27
	v_mad_u64_u32 v[18:19], s[18:19], v6, s26, 0
	v_add3_u32 v19, v19, v21, v20
	s_mov_b64 s[18:19], 0
	s_and_b64 vcc, exec, s[4:5]
	v_lshl_add_u64 v[20:21], v[18:19], 1, s[28:29]
	s_mov_b64 s[36:37], 0
	s_cbranch_vccnz .LBB691_59
; %bb.51:
	global_load_ushort v18, v[20:21], off
	global_load_ushort v19, v[16:17], off
	s_mov_b64 s[36:37], -1
	s_waitcnt vmcnt(0)
	v_cmp_eq_u16_e32 vcc, v18, v19
	s_and_saveexec_b64 s[38:39], vcc
	s_cbranch_execz .LBB691_58
; %bb.52:
	s_add_u32 s36, s26, -1
	v_lshl_add_u64 v[16:17], v[16:17], 0, 2
	v_lshl_add_u64 v[18:19], v[20:21], 0, 2
	s_addc_u32 s37, s27, -1
	s_mov_b64 s[40:41], 0
	s_mov_b64 s[44:45], 0
                                        ; implicit-def: $sgpr42_sgpr43
	s_branch .LBB691_55
.LBB691_53:                             ;   in Loop: Header=BB691_55 Depth=1
	global_load_ushort v22, v[18:19], off
	global_load_ushort v23, v[16:17], off
	s_add_u32 s44, s44, 1
	s_addc_u32 s45, s45, 0
	s_andn2_b64 s[42:43], s[42:43], exec
	v_lshl_add_u64 v[16:17], v[16:17], 0, 2
	v_lshl_add_u64 v[18:19], v[18:19], 0, 2
	s_waitcnt vmcnt(0)
	v_cmp_ne_u16_e32 vcc, v22, v23
	s_and_b64 s[46:47], vcc, exec
	s_or_b64 s[42:43], s[42:43], s[46:47]
.LBB691_54:                             ;   in Loop: Header=BB691_55 Depth=1
	s_and_b64 s[46:47], exec, s[42:43]
	s_or_b64 s[40:41], s[46:47], s[40:41]
	v_mov_b64_e32 v[22:23], s[44:45]
	s_andn2_b64 exec, exec, s[40:41]
	s_cbranch_execz .LBB691_57
.LBB691_55:                             ; =>This Inner Loop Header: Depth=1
	s_or_b64 s[42:43], s[42:43], exec
	s_cmp_eq_u64 s[36:37], s[44:45]
	s_cbranch_scc0 .LBB691_53
; %bb.56:                               ;   in Loop: Header=BB691_55 Depth=1
                                        ; implicit-def: $vgpr16_vgpr17
                                        ; implicit-def: $vgpr18_vgpr19
	s_mov_b64 s[44:45], s[26:27]
	s_branch .LBB691_54
.LBB691_57:
	s_or_b64 exec, exec, s[40:41]
	v_cmp_gt_i64_e32 vcc, s[26:27], v[22:23]
	s_orn2_b64 s[36:37], vcc, exec
.LBB691_58:
	s_or_b64 exec, exec, s[38:39]
.LBB691_59:
	v_mul_lo_u32 v18, v13, s26
	v_mul_lo_u32 v19, v12, s27
	v_mad_u64_u32 v[16:17], s[38:39], v12, s26, 0
	v_add3_u32 v17, v17, v19, v18
	s_and_b64 vcc, exec, s[4:5]
	v_lshl_add_u64 v[18:19], v[16:17], 1, s[28:29]
	s_cbranch_vccnz .LBB691_68
; %bb.60:
	global_load_ushort v16, v[18:19], off
	global_load_ushort v17, v[20:21], off
	s_mov_b64 s[18:19], -1
	s_waitcnt vmcnt(0)
	v_cmp_eq_u16_e32 vcc, v16, v17
	s_and_saveexec_b64 s[38:39], vcc
	s_cbranch_execz .LBB691_67
; %bb.61:
	s_add_u32 s18, s26, -1
	v_lshl_add_u64 v[16:17], v[20:21], 0, 2
	v_lshl_add_u64 v[20:21], v[18:19], 0, 2
	s_addc_u32 s19, s27, -1
	s_mov_b64 s[40:41], 0
	s_mov_b64 s[44:45], 0
                                        ; implicit-def: $sgpr42_sgpr43
	s_branch .LBB691_64
.LBB691_62:                             ;   in Loop: Header=BB691_64 Depth=1
	global_load_ushort v22, v[20:21], off
	global_load_ushort v23, v[16:17], off
	s_add_u32 s44, s44, 1
	s_addc_u32 s45, s45, 0
	s_andn2_b64 s[42:43], s[42:43], exec
	v_lshl_add_u64 v[16:17], v[16:17], 0, 2
	v_lshl_add_u64 v[20:21], v[20:21], 0, 2
	s_waitcnt vmcnt(0)
	v_cmp_ne_u16_e32 vcc, v22, v23
	s_and_b64 s[46:47], vcc, exec
	s_or_b64 s[42:43], s[42:43], s[46:47]
.LBB691_63:                             ;   in Loop: Header=BB691_64 Depth=1
	s_and_b64 s[46:47], exec, s[42:43]
	s_or_b64 s[40:41], s[46:47], s[40:41]
	v_mov_b64_e32 v[22:23], s[44:45]
	s_andn2_b64 exec, exec, s[40:41]
	s_cbranch_execz .LBB691_66
.LBB691_64:                             ; =>This Inner Loop Header: Depth=1
	s_or_b64 s[42:43], s[42:43], exec
	s_cmp_eq_u64 s[18:19], s[44:45]
	s_cbranch_scc0 .LBB691_62
; %bb.65:                               ;   in Loop: Header=BB691_64 Depth=1
                                        ; implicit-def: $vgpr16_vgpr17
                                        ; implicit-def: $vgpr20_vgpr21
	s_mov_b64 s[44:45], s[26:27]
	s_branch .LBB691_63
.LBB691_66:
	s_or_b64 exec, exec, s[40:41]
	v_cmp_gt_i64_e32 vcc, s[26:27], v[22:23]
	s_orn2_b64 s[18:19], vcc, exec
.LBB691_67:
	s_or_b64 exec, exec, s[38:39]
.LBB691_68:
	v_mul_lo_u32 v20, v11, s26
	v_mul_lo_u32 v21, v10, s27
	v_mad_u64_u32 v[16:17], s[38:39], v10, s26, 0
	v_add3_u32 v17, v17, v21, v20
	s_mov_b64 s[40:41], 0
	s_and_b64 vcc, exec, s[4:5]
	v_lshl_add_u64 v[16:17], v[16:17], 1, s[28:29]
	s_cbranch_vccnz .LBB691_77
; %bb.69:
	global_load_ushort v20, v[16:17], off
	global_load_ushort v21, v[18:19], off
	s_mov_b64 s[40:41], -1
	s_waitcnt vmcnt(0)
	v_cmp_eq_u16_e32 vcc, v20, v21
	s_and_saveexec_b64 s[38:39], vcc
	s_cbranch_execz .LBB691_76
; %bb.70:
	s_add_u32 s40, s26, -1
	v_lshl_add_u64 v[18:19], v[18:19], 0, 2
	v_lshl_add_u64 v[20:21], v[16:17], 0, 2
	s_addc_u32 s41, s27, -1
	s_mov_b64 s[42:43], 0
	s_mov_b64 s[46:47], 0
                                        ; implicit-def: $sgpr44_sgpr45
	s_branch .LBB691_73
.LBB691_71:                             ;   in Loop: Header=BB691_73 Depth=1
	global_load_ushort v22, v[20:21], off
	global_load_ushort v23, v[18:19], off
	s_add_u32 s46, s46, 1
	s_addc_u32 s47, s47, 0
	s_andn2_b64 s[44:45], s[44:45], exec
	v_lshl_add_u64 v[18:19], v[18:19], 0, 2
	v_lshl_add_u64 v[20:21], v[20:21], 0, 2
	s_waitcnt vmcnt(0)
	v_cmp_ne_u16_e32 vcc, v22, v23
	s_and_b64 s[48:49], vcc, exec
	s_or_b64 s[44:45], s[44:45], s[48:49]
.LBB691_72:                             ;   in Loop: Header=BB691_73 Depth=1
	s_and_b64 s[48:49], exec, s[44:45]
	s_or_b64 s[42:43], s[48:49], s[42:43]
	v_mov_b64_e32 v[22:23], s[46:47]
	s_andn2_b64 exec, exec, s[42:43]
	s_cbranch_execz .LBB691_75
.LBB691_73:                             ; =>This Inner Loop Header: Depth=1
	s_or_b64 s[44:45], s[44:45], exec
	s_cmp_eq_u64 s[40:41], s[46:47]
	s_cbranch_scc0 .LBB691_71
; %bb.74:                               ;   in Loop: Header=BB691_73 Depth=1
                                        ; implicit-def: $vgpr18_vgpr19
                                        ; implicit-def: $vgpr20_vgpr21
	s_mov_b64 s[46:47], s[26:27]
	s_branch .LBB691_72
.LBB691_75:
	s_or_b64 exec, exec, s[42:43]
	v_cmp_gt_i64_e32 vcc, s[26:27], v[22:23]
	s_orn2_b64 s[40:41], vcc, exec
.LBB691_76:
	s_or_b64 exec, exec, s[38:39]
.LBB691_77:
	v_cmp_ne_u32_e32 vcc, 0, v0
	s_waitcnt lgkmcnt(0)
	v_mov_b64_e32 v[18:19], s[6:7]
	s_barrier
	s_and_saveexec_b64 s[38:39], vcc
	s_cbranch_execz .LBB691_79
; %bb.78:
	v_add_u32_e32 v18, -8, v31
	ds_read_b64 v[18:19], v18
.LBB691_79:
	s_or_b64 exec, exec, s[38:39]
	v_cndmask_b32_e64 v21, 0, 1, s[36:37]
	v_cndmask_b32_e64 v20, 0, 1, s[18:19]
	;; [unrolled: 1-line block ×3, first 2 shown]
	v_lshlrev_b16_e32 v21, 8, v21
	v_lshlrev_b16_e32 v22, 8, v22
	v_or_b32_sdwa v23, v20, v21 dst_sel:WORD_1 dst_unused:UNUSED_PAD src0_sel:DWORD src1_sel:DWORD
	s_mov_b64 s[36:37], 0
	s_and_b64 vcc, exec, s[4:5]
	s_mov_b64 s[18:19], 0
	s_cbranch_vccnz .LBB691_88
; %bb.80:
	s_waitcnt lgkmcnt(0)
	v_mul_lo_u32 v20, v19, s26
	v_mul_lo_u32 v21, v18, s27
	v_mad_u64_u32 v[18:19], s[18:19], v18, s26, 0
	v_add3_u32 v19, v19, v21, v20
	v_lshl_add_u64 v[18:19], v[18:19], 1, s[28:29]
	global_load_ushort v20, v[18:19], off
	global_load_ushort v21, v[16:17], off
	s_mov_b64 s[18:19], -1
	s_waitcnt vmcnt(0)
	v_cmp_eq_u16_e32 vcc, v20, v21
	s_and_saveexec_b64 s[38:39], vcc
	s_cbranch_execz .LBB691_87
; %bb.81:
	s_add_u32 s18, s26, -1
	v_lshl_add_u64 v[16:17], v[16:17], 0, 2
	v_lshl_add_u64 v[18:19], v[18:19], 0, 2
	s_addc_u32 s19, s27, -1
	s_mov_b64 s[40:41], 0
	s_mov_b64 s[44:45], 0
                                        ; implicit-def: $sgpr42_sgpr43
	s_branch .LBB691_84
.LBB691_82:                             ;   in Loop: Header=BB691_84 Depth=1
	global_load_ushort v20, v[18:19], off
	global_load_ushort v21, v[16:17], off
	s_add_u32 s44, s44, 1
	s_addc_u32 s45, s45, 0
	s_andn2_b64 s[42:43], s[42:43], exec
	v_lshl_add_u64 v[16:17], v[16:17], 0, 2
	v_lshl_add_u64 v[18:19], v[18:19], 0, 2
	s_waitcnt vmcnt(0)
	v_cmp_ne_u16_e32 vcc, v20, v21
	s_and_b64 s[46:47], vcc, exec
	s_or_b64 s[42:43], s[42:43], s[46:47]
.LBB691_83:                             ;   in Loop: Header=BB691_84 Depth=1
	s_and_b64 s[46:47], exec, s[42:43]
	s_or_b64 s[40:41], s[46:47], s[40:41]
	v_mov_b64_e32 v[20:21], s[44:45]
	s_andn2_b64 exec, exec, s[40:41]
	s_cbranch_execz .LBB691_86
.LBB691_84:                             ; =>This Inner Loop Header: Depth=1
	s_or_b64 s[42:43], s[42:43], exec
	s_cmp_eq_u64 s[18:19], s[44:45]
	s_cbranch_scc0 .LBB691_82
; %bb.85:                               ;   in Loop: Header=BB691_84 Depth=1
                                        ; implicit-def: $vgpr16_vgpr17
                                        ; implicit-def: $vgpr18_vgpr19
	s_mov_b64 s[44:45], s[26:27]
	s_branch .LBB691_83
.LBB691_86:
	s_or_b64 exec, exec, s[40:41]
	v_cmp_gt_i64_e32 vcc, s[26:27], v[20:21]
	s_orn2_b64 s[18:19], vcc, exec
.LBB691_87:
	s_or_b64 exec, exec, s[38:39]
.LBB691_88:
	v_cndmask_b32_e64 v32, 0, 1, s[12:13]
	v_cndmask_b32_e64 v33, 0, 1, s[14:15]
	;; [unrolled: 1-line block ×3, first 2 shown]
	v_or_b32_e32 v20, v22, v23
	s_and_b64 vcc, exec, s[36:37]
	s_cbranch_vccz .LBB691_169
.LBB691_89:
	v_cmp_gt_u32_e32 vcc, s3, v27
	s_mov_b64 s[12:13], 0
	s_mov_b64 s[10:11], 0
	s_and_saveexec_b64 s[14:15], vcc
	s_cbranch_execz .LBB691_100
; %bb.90:
	s_and_b64 vcc, exec, s[4:5]
	s_mov_b64 s[18:19], 0
	s_cbranch_vccnz .LBB691_99
; %bb.91:
	s_waitcnt lgkmcnt(0)
	v_mul_lo_u32 v18, v5, s26
	v_mul_lo_u32 v19, v4, s27
	v_mad_u64_u32 v[16:17], s[10:11], v4, s26, 0
	v_add3_u32 v17, v17, v19, v18
	v_mul_lo_u32 v18, v15, s26
	v_mul_lo_u32 v19, v14, s27
	v_mad_u64_u32 v[20:21], s[10:11], v14, s26, 0
	v_add3_u32 v21, v21, v19, v18
	v_lshl_add_u64 v[18:19], v[16:17], 1, s[28:29]
	v_lshl_add_u64 v[16:17], v[20:21], 1, s[28:29]
	global_load_ushort v20, v[18:19], off
	global_load_ushort v21, v[16:17], off
	s_mov_b64 s[18:19], -1
	s_waitcnt vmcnt(0)
	v_cmp_eq_u16_e32 vcc, v20, v21
	s_and_saveexec_b64 s[10:11], vcc
	s_cbranch_execz .LBB691_98
; %bb.92:
	s_add_u32 s18, s26, -1
	v_lshl_add_u64 v[16:17], v[16:17], 0, 2
	v_lshl_add_u64 v[18:19], v[18:19], 0, 2
	s_addc_u32 s19, s27, -1
	s_mov_b64 s[36:37], 0
	s_mov_b64 s[40:41], 0
                                        ; implicit-def: $sgpr38_sgpr39
	s_branch .LBB691_95
.LBB691_93:                             ;   in Loop: Header=BB691_95 Depth=1
	global_load_ushort v20, v[18:19], off
	global_load_ushort v21, v[16:17], off
	s_add_u32 s40, s40, 1
	s_addc_u32 s41, s41, 0
	s_andn2_b64 s[38:39], s[38:39], exec
	v_lshl_add_u64 v[16:17], v[16:17], 0, 2
	v_lshl_add_u64 v[18:19], v[18:19], 0, 2
	s_waitcnt vmcnt(0)
	v_cmp_ne_u16_e32 vcc, v20, v21
	s_and_b64 s[42:43], vcc, exec
	s_or_b64 s[38:39], s[38:39], s[42:43]
.LBB691_94:                             ;   in Loop: Header=BB691_95 Depth=1
	s_and_b64 s[42:43], exec, s[38:39]
	s_or_b64 s[36:37], s[42:43], s[36:37]
	v_mov_b64_e32 v[20:21], s[40:41]
	s_andn2_b64 exec, exec, s[36:37]
	s_cbranch_execz .LBB691_97
.LBB691_95:                             ; =>This Inner Loop Header: Depth=1
	s_or_b64 s[38:39], s[38:39], exec
	s_cmp_eq_u64 s[18:19], s[40:41]
	s_cbranch_scc0 .LBB691_93
; %bb.96:                               ;   in Loop: Header=BB691_95 Depth=1
                                        ; implicit-def: $vgpr16_vgpr17
                                        ; implicit-def: $vgpr18_vgpr19
	s_mov_b64 s[40:41], s[26:27]
	s_branch .LBB691_94
.LBB691_97:
	s_or_b64 exec, exec, s[36:37]
	v_cmp_gt_i64_e32 vcc, s[26:27], v[20:21]
	s_orn2_b64 s[18:19], vcc, exec
.LBB691_98:
	s_or_b64 exec, exec, s[10:11]
.LBB691_99:
	s_and_b64 s[10:11], s[18:19], exec
.LBB691_100:
	s_or_b64 exec, exec, s[14:15]
	v_cmp_gt_u32_e32 vcc, s3, v29
	s_and_saveexec_b64 s[14:15], vcc
	s_cbranch_execz .LBB691_111
; %bb.101:
	s_and_b64 vcc, exec, s[4:5]
	s_mov_b64 s[18:19], 0
	s_cbranch_vccnz .LBB691_110
; %bb.102:
	s_waitcnt lgkmcnt(0)
	v_mul_lo_u32 v18, v3, s26
	v_mul_lo_u32 v19, v2, s27
	v_mad_u64_u32 v[16:17], s[12:13], v2, s26, 0
	v_add3_u32 v17, v17, v19, v18
	v_mul_lo_u32 v18, v5, s26
	v_mul_lo_u32 v19, v4, s27
	v_mad_u64_u32 v[20:21], s[12:13], v4, s26, 0
	v_add3_u32 v21, v21, v19, v18
	v_lshl_add_u64 v[18:19], v[16:17], 1, s[28:29]
	v_lshl_add_u64 v[16:17], v[20:21], 1, s[28:29]
	global_load_ushort v20, v[18:19], off
	global_load_ushort v21, v[16:17], off
	s_mov_b64 s[18:19], -1
	s_waitcnt vmcnt(0)
	v_cmp_eq_u16_e32 vcc, v20, v21
	s_and_saveexec_b64 s[12:13], vcc
	s_cbranch_execz .LBB691_109
; %bb.103:
	s_add_u32 s18, s26, -1
	v_lshl_add_u64 v[16:17], v[16:17], 0, 2
	v_lshl_add_u64 v[18:19], v[18:19], 0, 2
	s_addc_u32 s19, s27, -1
	s_mov_b64 s[36:37], 0
	s_mov_b64 s[40:41], 0
                                        ; implicit-def: $sgpr38_sgpr39
	s_branch .LBB691_106
.LBB691_104:                            ;   in Loop: Header=BB691_106 Depth=1
	global_load_ushort v20, v[18:19], off
	global_load_ushort v21, v[16:17], off
	s_add_u32 s40, s40, 1
	s_addc_u32 s41, s41, 0
	s_andn2_b64 s[38:39], s[38:39], exec
	v_lshl_add_u64 v[16:17], v[16:17], 0, 2
	v_lshl_add_u64 v[18:19], v[18:19], 0, 2
	s_waitcnt vmcnt(0)
	v_cmp_ne_u16_e32 vcc, v20, v21
	s_and_b64 s[42:43], vcc, exec
	s_or_b64 s[38:39], s[38:39], s[42:43]
.LBB691_105:                            ;   in Loop: Header=BB691_106 Depth=1
	s_and_b64 s[42:43], exec, s[38:39]
	s_or_b64 s[36:37], s[42:43], s[36:37]
	v_mov_b64_e32 v[20:21], s[40:41]
	s_andn2_b64 exec, exec, s[36:37]
	s_cbranch_execz .LBB691_108
.LBB691_106:                            ; =>This Inner Loop Header: Depth=1
	s_or_b64 s[38:39], s[38:39], exec
	s_cmp_eq_u64 s[18:19], s[40:41]
	s_cbranch_scc0 .LBB691_104
; %bb.107:                              ;   in Loop: Header=BB691_106 Depth=1
                                        ; implicit-def: $vgpr16_vgpr17
                                        ; implicit-def: $vgpr18_vgpr19
	s_mov_b64 s[40:41], s[26:27]
	s_branch .LBB691_105
.LBB691_108:
	s_or_b64 exec, exec, s[36:37]
	v_cmp_gt_i64_e32 vcc, s[26:27], v[20:21]
	s_orn2_b64 s[18:19], vcc, exec
.LBB691_109:
	s_or_b64 exec, exec, s[12:13]
.LBB691_110:
	s_and_b64 s[12:13], s[18:19], exec
.LBB691_111:
	s_or_b64 exec, exec, s[14:15]
	v_cmp_gt_u32_e32 vcc, s3, v26
	s_mov_b64 s[18:19], 0
	s_mov_b64 s[14:15], 0
	s_and_saveexec_b64 s[36:37], vcc
	s_cbranch_execz .LBB691_122
; %bb.112:
	s_and_b64 vcc, exec, s[4:5]
	s_mov_b64 s[38:39], 0
	s_cbranch_vccnz .LBB691_121
; %bb.113:
	s_waitcnt lgkmcnt(0)
	v_mul_lo_u32 v18, v9, s26
	v_mul_lo_u32 v19, v8, s27
	v_mad_u64_u32 v[16:17], s[14:15], v8, s26, 0
	v_add3_u32 v17, v17, v19, v18
	v_mul_lo_u32 v18, v3, s26
	v_mul_lo_u32 v19, v2, s27
	v_mad_u64_u32 v[20:21], s[14:15], v2, s26, 0
	v_add3_u32 v21, v21, v19, v18
	v_lshl_add_u64 v[18:19], v[16:17], 1, s[28:29]
	v_lshl_add_u64 v[16:17], v[20:21], 1, s[28:29]
	global_load_ushort v20, v[18:19], off
	global_load_ushort v21, v[16:17], off
	s_mov_b64 s[38:39], -1
	s_waitcnt vmcnt(0)
	v_cmp_eq_u16_e32 vcc, v20, v21
	s_and_saveexec_b64 s[14:15], vcc
	s_cbranch_execz .LBB691_120
; %bb.114:
	s_add_u32 s38, s26, -1
	v_lshl_add_u64 v[16:17], v[16:17], 0, 2
	v_lshl_add_u64 v[18:19], v[18:19], 0, 2
	s_addc_u32 s39, s27, -1
	s_mov_b64 s[40:41], 0
	s_mov_b64 s[44:45], 0
                                        ; implicit-def: $sgpr42_sgpr43
	s_branch .LBB691_117
.LBB691_115:                            ;   in Loop: Header=BB691_117 Depth=1
	global_load_ushort v20, v[18:19], off
	global_load_ushort v21, v[16:17], off
	s_add_u32 s44, s44, 1
	s_addc_u32 s45, s45, 0
	s_andn2_b64 s[42:43], s[42:43], exec
	v_lshl_add_u64 v[16:17], v[16:17], 0, 2
	v_lshl_add_u64 v[18:19], v[18:19], 0, 2
	s_waitcnt vmcnt(0)
	v_cmp_ne_u16_e32 vcc, v20, v21
	s_and_b64 s[46:47], vcc, exec
	s_or_b64 s[42:43], s[42:43], s[46:47]
.LBB691_116:                            ;   in Loop: Header=BB691_117 Depth=1
	s_and_b64 s[46:47], exec, s[42:43]
	s_or_b64 s[40:41], s[46:47], s[40:41]
	v_mov_b64_e32 v[20:21], s[44:45]
	s_andn2_b64 exec, exec, s[40:41]
	s_cbranch_execz .LBB691_119
.LBB691_117:                            ; =>This Inner Loop Header: Depth=1
	s_or_b64 s[42:43], s[42:43], exec
	s_cmp_eq_u64 s[38:39], s[44:45]
	s_cbranch_scc0 .LBB691_115
; %bb.118:                              ;   in Loop: Header=BB691_117 Depth=1
                                        ; implicit-def: $vgpr16_vgpr17
                                        ; implicit-def: $vgpr18_vgpr19
	s_mov_b64 s[44:45], s[26:27]
	s_branch .LBB691_116
.LBB691_119:
	s_or_b64 exec, exec, s[40:41]
	v_cmp_gt_i64_e32 vcc, s[26:27], v[20:21]
	s_orn2_b64 s[38:39], vcc, exec
.LBB691_120:
	s_or_b64 exec, exec, s[14:15]
.LBB691_121:
	s_and_b64 s[14:15], s[38:39], exec
.LBB691_122:
	s_or_b64 exec, exec, s[36:37]
	v_cmp_gt_u32_e32 vcc, s3, v28
	s_and_saveexec_b64 s[36:37], vcc
	s_cbranch_execz .LBB691_133
; %bb.123:
	s_and_b64 vcc, exec, s[4:5]
	s_mov_b64 s[38:39], 0
	s_cbranch_vccnz .LBB691_132
; %bb.124:
	s_waitcnt lgkmcnt(0)
	v_mul_lo_u32 v18, v7, s26
	v_mul_lo_u32 v19, v6, s27
	v_mad_u64_u32 v[16:17], s[18:19], v6, s26, 0
	v_add3_u32 v17, v17, v19, v18
	v_mul_lo_u32 v18, v9, s26
	v_mul_lo_u32 v19, v8, s27
	v_mad_u64_u32 v[20:21], s[18:19], v8, s26, 0
	v_add3_u32 v21, v21, v19, v18
	v_lshl_add_u64 v[18:19], v[16:17], 1, s[28:29]
	v_lshl_add_u64 v[16:17], v[20:21], 1, s[28:29]
	global_load_ushort v20, v[18:19], off
	global_load_ushort v21, v[16:17], off
	s_mov_b64 s[38:39], -1
	s_waitcnt vmcnt(0)
	v_cmp_eq_u16_e32 vcc, v20, v21
	s_and_saveexec_b64 s[18:19], vcc
	s_cbranch_execz .LBB691_131
; %bb.125:
	s_add_u32 s38, s26, -1
	v_lshl_add_u64 v[16:17], v[16:17], 0, 2
	v_lshl_add_u64 v[18:19], v[18:19], 0, 2
	s_addc_u32 s39, s27, -1
	s_mov_b64 s[40:41], 0
	s_mov_b64 s[44:45], 0
                                        ; implicit-def: $sgpr42_sgpr43
	s_branch .LBB691_128
.LBB691_126:                            ;   in Loop: Header=BB691_128 Depth=1
	global_load_ushort v20, v[18:19], off
	global_load_ushort v21, v[16:17], off
	s_add_u32 s44, s44, 1
	s_addc_u32 s45, s45, 0
	s_andn2_b64 s[42:43], s[42:43], exec
	v_lshl_add_u64 v[16:17], v[16:17], 0, 2
	v_lshl_add_u64 v[18:19], v[18:19], 0, 2
	s_waitcnt vmcnt(0)
	v_cmp_ne_u16_e32 vcc, v20, v21
	s_and_b64 s[46:47], vcc, exec
	s_or_b64 s[42:43], s[42:43], s[46:47]
.LBB691_127:                            ;   in Loop: Header=BB691_128 Depth=1
	s_and_b64 s[46:47], exec, s[42:43]
	s_or_b64 s[40:41], s[46:47], s[40:41]
	v_mov_b64_e32 v[20:21], s[44:45]
	s_andn2_b64 exec, exec, s[40:41]
	s_cbranch_execz .LBB691_130
.LBB691_128:                            ; =>This Inner Loop Header: Depth=1
	s_or_b64 s[42:43], s[42:43], exec
	s_cmp_eq_u64 s[38:39], s[44:45]
	s_cbranch_scc0 .LBB691_126
; %bb.129:                              ;   in Loop: Header=BB691_128 Depth=1
                                        ; implicit-def: $vgpr16_vgpr17
                                        ; implicit-def: $vgpr18_vgpr19
	s_mov_b64 s[44:45], s[26:27]
	s_branch .LBB691_127
.LBB691_130:
	s_or_b64 exec, exec, s[40:41]
	v_cmp_gt_i64_e32 vcc, s[26:27], v[20:21]
	s_orn2_b64 s[38:39], vcc, exec
.LBB691_131:
	s_or_b64 exec, exec, s[18:19]
.LBB691_132:
	s_and_b64 s[18:19], s[38:39], exec
.LBB691_133:
	s_or_b64 exec, exec, s[36:37]
	v_cmp_gt_u32_e32 vcc, s3, v24
	s_mov_b64 s[36:37], 0
	s_mov_b64 s[38:39], 0
	s_and_saveexec_b64 s[40:41], vcc
	s_cbranch_execz .LBB691_144
; %bb.134:
	s_and_b64 vcc, exec, s[4:5]
	s_mov_b64 s[42:43], 0
	s_cbranch_vccnz .LBB691_143
; %bb.135:
	s_waitcnt lgkmcnt(0)
	v_mul_lo_u32 v18, v13, s26
	v_mul_lo_u32 v19, v12, s27
	v_mad_u64_u32 v[16:17], s[38:39], v12, s26, 0
	v_add3_u32 v17, v17, v19, v18
	v_mul_lo_u32 v18, v7, s26
	v_mul_lo_u32 v19, v6, s27
	v_mad_u64_u32 v[20:21], s[38:39], v6, s26, 0
	v_add3_u32 v21, v21, v19, v18
	v_lshl_add_u64 v[18:19], v[16:17], 1, s[28:29]
	v_lshl_add_u64 v[16:17], v[20:21], 1, s[28:29]
	global_load_ushort v20, v[18:19], off
	global_load_ushort v21, v[16:17], off
	s_mov_b64 s[42:43], -1
	s_waitcnt vmcnt(0)
	v_cmp_eq_u16_e32 vcc, v20, v21
	s_and_saveexec_b64 s[38:39], vcc
	s_cbranch_execz .LBB691_142
; %bb.136:
	s_add_u32 s42, s26, -1
	v_lshl_add_u64 v[16:17], v[16:17], 0, 2
	v_lshl_add_u64 v[18:19], v[18:19], 0, 2
	s_addc_u32 s43, s27, -1
	s_mov_b64 s[44:45], 0
	s_mov_b64 s[48:49], 0
                                        ; implicit-def: $sgpr46_sgpr47
	s_branch .LBB691_139
.LBB691_137:                            ;   in Loop: Header=BB691_139 Depth=1
	global_load_ushort v20, v[18:19], off
	global_load_ushort v21, v[16:17], off
	s_add_u32 s48, s48, 1
	s_addc_u32 s49, s49, 0
	s_andn2_b64 s[46:47], s[46:47], exec
	v_lshl_add_u64 v[16:17], v[16:17], 0, 2
	v_lshl_add_u64 v[18:19], v[18:19], 0, 2
	s_waitcnt vmcnt(0)
	v_cmp_ne_u16_e32 vcc, v20, v21
	s_and_b64 s[50:51], vcc, exec
	s_or_b64 s[46:47], s[46:47], s[50:51]
.LBB691_138:                            ;   in Loop: Header=BB691_139 Depth=1
	s_and_b64 s[50:51], exec, s[46:47]
	s_or_b64 s[44:45], s[50:51], s[44:45]
	v_mov_b64_e32 v[20:21], s[48:49]
	s_andn2_b64 exec, exec, s[44:45]
	s_cbranch_execz .LBB691_141
.LBB691_139:                            ; =>This Inner Loop Header: Depth=1
	s_or_b64 s[46:47], s[46:47], exec
	s_cmp_eq_u64 s[42:43], s[48:49]
	s_cbranch_scc0 .LBB691_137
; %bb.140:                              ;   in Loop: Header=BB691_139 Depth=1
                                        ; implicit-def: $vgpr16_vgpr17
                                        ; implicit-def: $vgpr18_vgpr19
	s_mov_b64 s[48:49], s[26:27]
	s_branch .LBB691_138
.LBB691_141:
	s_or_b64 exec, exec, s[44:45]
	v_cmp_gt_i64_e32 vcc, s[26:27], v[20:21]
	s_orn2_b64 s[42:43], vcc, exec
.LBB691_142:
	s_or_b64 exec, exec, s[38:39]
.LBB691_143:
	s_and_b64 s[38:39], s[42:43], exec
.LBB691_144:
	s_or_b64 exec, exec, s[40:41]
	v_cmp_gt_u32_e32 vcc, s3, v25
	s_and_saveexec_b64 s[40:41], vcc
	s_cbranch_execz .LBB691_155
; %bb.145:
	s_and_b64 vcc, exec, s[4:5]
	s_mov_b64 s[42:43], 0
	s_cbranch_vccnz .LBB691_154
; %bb.146:
	s_waitcnt lgkmcnt(0)
	v_mul_lo_u32 v18, v11, s26
	v_mul_lo_u32 v19, v10, s27
	v_mad_u64_u32 v[16:17], s[36:37], v10, s26, 0
	v_add3_u32 v17, v17, v19, v18
	v_mul_lo_u32 v18, v13, s26
	v_mul_lo_u32 v19, v12, s27
	v_mad_u64_u32 v[20:21], s[36:37], v12, s26, 0
	v_add3_u32 v21, v21, v19, v18
	v_lshl_add_u64 v[18:19], v[16:17], 1, s[28:29]
	v_lshl_add_u64 v[16:17], v[20:21], 1, s[28:29]
	global_load_ushort v20, v[18:19], off
	global_load_ushort v21, v[16:17], off
	s_mov_b64 s[42:43], -1
	s_waitcnt vmcnt(0)
	v_cmp_eq_u16_e32 vcc, v20, v21
	s_and_saveexec_b64 s[36:37], vcc
	s_cbranch_execz .LBB691_153
; %bb.147:
	s_add_u32 s42, s26, -1
	v_lshl_add_u64 v[16:17], v[16:17], 0, 2
	v_lshl_add_u64 v[18:19], v[18:19], 0, 2
	s_addc_u32 s43, s27, -1
	s_mov_b64 s[44:45], 0
	s_mov_b64 s[48:49], 0
                                        ; implicit-def: $sgpr46_sgpr47
	s_branch .LBB691_150
.LBB691_148:                            ;   in Loop: Header=BB691_150 Depth=1
	global_load_ushort v20, v[18:19], off
	global_load_ushort v21, v[16:17], off
	s_add_u32 s48, s48, 1
	s_addc_u32 s49, s49, 0
	s_andn2_b64 s[46:47], s[46:47], exec
	v_lshl_add_u64 v[16:17], v[16:17], 0, 2
	v_lshl_add_u64 v[18:19], v[18:19], 0, 2
	s_waitcnt vmcnt(0)
	v_cmp_ne_u16_e32 vcc, v20, v21
	s_and_b64 s[50:51], vcc, exec
	s_or_b64 s[46:47], s[46:47], s[50:51]
.LBB691_149:                            ;   in Loop: Header=BB691_150 Depth=1
	s_and_b64 s[50:51], exec, s[46:47]
	s_or_b64 s[44:45], s[50:51], s[44:45]
	v_mov_b64_e32 v[20:21], s[48:49]
	s_andn2_b64 exec, exec, s[44:45]
	s_cbranch_execz .LBB691_152
.LBB691_150:                            ; =>This Inner Loop Header: Depth=1
	s_or_b64 s[46:47], s[46:47], exec
	s_cmp_eq_u64 s[42:43], s[48:49]
	s_cbranch_scc0 .LBB691_148
; %bb.151:                              ;   in Loop: Header=BB691_150 Depth=1
                                        ; implicit-def: $vgpr16_vgpr17
                                        ; implicit-def: $vgpr18_vgpr19
	s_mov_b64 s[48:49], s[26:27]
	s_branch .LBB691_149
.LBB691_152:
	s_or_b64 exec, exec, s[44:45]
	v_cmp_gt_i64_e32 vcc, s[26:27], v[20:21]
	s_orn2_b64 s[42:43], vcc, exec
.LBB691_153:
	s_or_b64 exec, exec, s[36:37]
.LBB691_154:
	s_and_b64 s[36:37], s[42:43], exec
.LBB691_155:
	s_or_b64 exec, exec, s[40:41]
	v_cmp_ne_u32_e32 vcc, 0, v0
	s_waitcnt lgkmcnt(0)
	v_mov_b64_e32 v[16:17], s[6:7]
	s_barrier
	s_and_saveexec_b64 s[6:7], vcc
	s_cbranch_execz .LBB691_157
; %bb.156:
	v_add_u32_e32 v16, -8, v31
	ds_read_b64 v[16:17], v16
.LBB691_157:
	s_or_b64 exec, exec, s[6:7]
	v_cndmask_b32_e64 v19, 0, 1, s[18:19]
	v_cndmask_b32_e64 v18, 0, 1, s[38:39]
	;; [unrolled: 1-line block ×3, first 2 shown]
	v_lshlrev_b16_e32 v19, 8, v19
	v_cmp_gt_u32_e32 vcc, s3, v1
	v_lshlrev_b16_e32 v22, 8, v20
	v_or_b32_sdwa v23, v18, v19 dst_sel:WORD_1 dst_unused:UNUSED_PAD src0_sel:DWORD src1_sel:DWORD
	s_mov_b64 s[18:19], 0
	s_and_saveexec_b64 s[6:7], vcc
	s_cbranch_execz .LBB691_168
; %bb.158:
	s_and_b64 vcc, exec, s[4:5]
	s_cbranch_vccnz .LBB691_167
; %bb.159:
	s_waitcnt lgkmcnt(0)
	v_mul_lo_u32 v18, v17, s26
	v_mul_lo_u32 v19, v16, s27
	v_mad_u64_u32 v[16:17], s[4:5], v16, s26, 0
	v_add3_u32 v17, v17, v19, v18
	v_mul_lo_u32 v18, v11, s26
	v_mul_lo_u32 v19, v10, s27
	v_mad_u64_u32 v[20:21], s[4:5], v10, s26, 0
	v_add3_u32 v21, v21, v19, v18
	v_lshl_add_u64 v[18:19], v[16:17], 1, s[28:29]
	v_lshl_add_u64 v[16:17], v[20:21], 1, s[28:29]
	global_load_ushort v20, v[18:19], off
	global_load_ushort v21, v[16:17], off
	s_mov_b64 s[18:19], -1
	s_waitcnt vmcnt(0)
	v_cmp_eq_u16_e32 vcc, v20, v21
	s_and_saveexec_b64 s[4:5], vcc
	s_cbranch_execz .LBB691_166
; %bb.160:
	s_add_u32 s18, s26, -1
	v_lshl_add_u64 v[16:17], v[16:17], 0, 2
	v_lshl_add_u64 v[18:19], v[18:19], 0, 2
	s_addc_u32 s19, s27, -1
	s_mov_b64 s[36:37], 0
	s_mov_b64 s[40:41], 0
                                        ; implicit-def: $sgpr38_sgpr39
	s_branch .LBB691_163
.LBB691_161:                            ;   in Loop: Header=BB691_163 Depth=1
	global_load_ushort v20, v[18:19], off
	global_load_ushort v21, v[16:17], off
	s_add_u32 s40, s40, 1
	s_addc_u32 s41, s41, 0
	s_andn2_b64 s[38:39], s[38:39], exec
	v_lshl_add_u64 v[16:17], v[16:17], 0, 2
	v_lshl_add_u64 v[18:19], v[18:19], 0, 2
	s_waitcnt vmcnt(0)
	v_cmp_ne_u16_e32 vcc, v20, v21
	s_and_b64 s[42:43], vcc, exec
	s_or_b64 s[38:39], s[38:39], s[42:43]
.LBB691_162:                            ;   in Loop: Header=BB691_163 Depth=1
	s_and_b64 s[42:43], exec, s[38:39]
	s_or_b64 s[36:37], s[42:43], s[36:37]
	v_mov_b64_e32 v[20:21], s[40:41]
	s_andn2_b64 exec, exec, s[36:37]
	s_cbranch_execz .LBB691_165
.LBB691_163:                            ; =>This Inner Loop Header: Depth=1
	s_or_b64 s[38:39], s[38:39], exec
	s_cmp_eq_u64 s[18:19], s[40:41]
	s_cbranch_scc0 .LBB691_161
; %bb.164:                              ;   in Loop: Header=BB691_163 Depth=1
                                        ; implicit-def: $vgpr16_vgpr17
                                        ; implicit-def: $vgpr18_vgpr19
	s_mov_b64 s[40:41], s[26:27]
	s_branch .LBB691_162
.LBB691_165:
	s_or_b64 exec, exec, s[36:37]
	v_cmp_gt_i64_e32 vcc, s[26:27], v[20:21]
	s_orn2_b64 s[18:19], vcc, exec
.LBB691_166:
	s_or_b64 exec, exec, s[4:5]
.LBB691_167:
	s_and_b64 s[18:19], s[18:19], exec
.LBB691_168:
	s_or_b64 exec, exec, s[6:7]
	v_cndmask_b32_e64 v32, 0, 1, s[14:15]
	v_cndmask_b32_e64 v33, 0, 1, s[12:13]
	;; [unrolled: 1-line block ×3, first 2 shown]
	v_or_b32_e32 v20, v22, v23
.LBB691_169:
	s_mov_b64 s[10:11], -1
	s_cbranch_execnz .LBB691_28
.LBB691_170:
	s_movk_i32 s4, 0xffd0
	v_mad_i32_i24 v30, v0, s4, v30
	s_mov_b64 s[12:13], 0
	s_waitcnt lgkmcnt(0)
	v_cmp_gt_i64_e64 s[6:7], s[26:27], 0
	s_and_b64 vcc, exec, s[34:35]
	ds_write_b64 v30, v[14:15]
	s_cbranch_vccz .LBB691_178
; %bb.171:
	v_mul_lo_u32 v18, v5, s26
	v_mul_lo_u32 v19, v4, s27
	v_mad_u64_u32 v[16:17], s[4:5], v4, s26, 0
	v_add3_u32 v17, v17, v19, v18
	v_cndmask_b32_e64 v18, 0, 1, s[6:7]
	v_cmp_ne_u32_e64 s[4:5], 1, v18
	s_andn2_b64 vcc, exec, s[6:7]
	v_lshl_add_u64 v[16:17], v[16:17], 1, s[28:29]
	s_cbranch_vccnz .LBB691_181
; %bb.172:
	v_mul_lo_u32 v20, v15, s26
	v_mul_lo_u32 v21, v14, s27
	v_mad_u64_u32 v[18:19], s[12:13], v14, s26, 0
	v_add3_u32 v19, v19, v21, v20
	v_lshl_add_u64 v[18:19], v[18:19], 1, s[28:29]
	global_load_ushort v20, v[16:17], off
	global_load_ushort v21, v[18:19], off
	s_mov_b64 s[12:13], -1
	s_waitcnt vmcnt(0)
	v_cmp_eq_u16_e32 vcc, v20, v21
	s_and_saveexec_b64 s[14:15], vcc
	s_cbranch_execz .LBB691_180
; %bb.173:
	s_add_u32 s12, s26, -1
	v_lshl_add_u64 v[18:19], v[18:19], 0, 2
	v_lshl_add_u64 v[20:21], v[16:17], 0, 2
	s_addc_u32 s13, s27, -1
	s_mov_b64 s[18:19], 0
	s_mov_b64 s[38:39], 0
                                        ; implicit-def: $sgpr36_sgpr37
	s_branch .LBB691_176
.LBB691_174:                            ;   in Loop: Header=BB691_176 Depth=1
	global_load_ushort v22, v[20:21], off
	global_load_ushort v23, v[18:19], off
	s_add_u32 s38, s38, 1
	s_addc_u32 s39, s39, 0
	s_andn2_b64 s[36:37], s[36:37], exec
	v_lshl_add_u64 v[18:19], v[18:19], 0, 2
	v_lshl_add_u64 v[20:21], v[20:21], 0, 2
	s_waitcnt vmcnt(0)
	v_cmp_ne_u16_e32 vcc, v22, v23
	s_and_b64 s[40:41], vcc, exec
	s_or_b64 s[36:37], s[36:37], s[40:41]
.LBB691_175:                            ;   in Loop: Header=BB691_176 Depth=1
	s_and_b64 s[40:41], exec, s[36:37]
	s_or_b64 s[18:19], s[40:41], s[18:19]
	v_mov_b64_e32 v[22:23], s[38:39]
	s_andn2_b64 exec, exec, s[18:19]
	s_cbranch_execz .LBB691_179
.LBB691_176:                            ; =>This Inner Loop Header: Depth=1
	s_or_b64 s[36:37], s[36:37], exec
	s_cmp_eq_u64 s[12:13], s[38:39]
	s_cbranch_scc0 .LBB691_174
; %bb.177:                              ;   in Loop: Header=BB691_176 Depth=1
                                        ; implicit-def: $vgpr18_vgpr19
                                        ; implicit-def: $vgpr20_vgpr21
	s_mov_b64 s[38:39], s[26:27]
	s_branch .LBB691_175
.LBB691_178:
                                        ; implicit-def: $sgpr18_sgpr19
                                        ; implicit-def: $vgpr34
                                        ; implicit-def: $vgpr33
                                        ; implicit-def: $vgpr32
                                        ; implicit-def: $vgpr20
                                        ; implicit-def: $vgpr16_vgpr17
	s_cbranch_execnz .LBB691_238
	s_branch .LBB691_318
.LBB691_179:
	s_or_b64 exec, exec, s[18:19]
	v_cmp_gt_i64_e32 vcc, s[26:27], v[22:23]
	s_orn2_b64 s[12:13], vcc, exec
.LBB691_180:
	s_or_b64 exec, exec, s[14:15]
.LBB691_181:
	v_mul_lo_u32 v20, v3, s26
	v_mul_lo_u32 v21, v2, s27
	v_mad_u64_u32 v[18:19], s[14:15], v2, s26, 0
	v_add3_u32 v19, v19, v21, v20
	s_mov_b64 s[14:15], 0
	s_and_b64 vcc, exec, s[4:5]
	v_lshl_add_u64 v[18:19], v[18:19], 1, s[28:29]
	s_mov_b64 s[18:19], 0
	s_cbranch_vccnz .LBB691_190
; %bb.182:
	global_load_ushort v20, v[18:19], off
	global_load_ushort v21, v[16:17], off
	s_mov_b64 s[18:19], -1
	s_waitcnt vmcnt(0)
	v_cmp_eq_u16_e32 vcc, v20, v21
	s_and_saveexec_b64 s[36:37], vcc
	s_cbranch_execz .LBB691_189
; %bb.183:
	s_add_u32 s18, s26, -1
	v_lshl_add_u64 v[16:17], v[16:17], 0, 2
	v_lshl_add_u64 v[20:21], v[18:19], 0, 2
	s_addc_u32 s19, s27, -1
	s_mov_b64 s[38:39], 0
	s_mov_b64 s[42:43], 0
                                        ; implicit-def: $sgpr40_sgpr41
	s_branch .LBB691_186
.LBB691_184:                            ;   in Loop: Header=BB691_186 Depth=1
	global_load_ushort v22, v[20:21], off
	global_load_ushort v23, v[16:17], off
	s_add_u32 s42, s42, 1
	s_addc_u32 s43, s43, 0
	s_andn2_b64 s[40:41], s[40:41], exec
	v_lshl_add_u64 v[16:17], v[16:17], 0, 2
	v_lshl_add_u64 v[20:21], v[20:21], 0, 2
	s_waitcnt vmcnt(0)
	v_cmp_ne_u16_e32 vcc, v22, v23
	s_and_b64 s[44:45], vcc, exec
	s_or_b64 s[40:41], s[40:41], s[44:45]
.LBB691_185:                            ;   in Loop: Header=BB691_186 Depth=1
	s_and_b64 s[44:45], exec, s[40:41]
	s_or_b64 s[38:39], s[44:45], s[38:39]
	v_mov_b64_e32 v[22:23], s[42:43]
	s_andn2_b64 exec, exec, s[38:39]
	s_cbranch_execz .LBB691_188
.LBB691_186:                            ; =>This Inner Loop Header: Depth=1
	s_or_b64 s[40:41], s[40:41], exec
	s_cmp_eq_u64 s[18:19], s[42:43]
	s_cbranch_scc0 .LBB691_184
; %bb.187:                              ;   in Loop: Header=BB691_186 Depth=1
                                        ; implicit-def: $vgpr16_vgpr17
                                        ; implicit-def: $vgpr20_vgpr21
	s_mov_b64 s[42:43], s[26:27]
	s_branch .LBB691_185
.LBB691_188:
	s_or_b64 exec, exec, s[38:39]
	v_cmp_gt_i64_e32 vcc, s[26:27], v[22:23]
	s_orn2_b64 s[18:19], vcc, exec
.LBB691_189:
	s_or_b64 exec, exec, s[36:37]
.LBB691_190:
	v_mul_lo_u32 v20, v9, s26
	v_mul_lo_u32 v21, v8, s27
	v_mad_u64_u32 v[16:17], s[36:37], v8, s26, 0
	v_add3_u32 v17, v17, v21, v20
	s_and_b64 vcc, exec, s[4:5]
	v_lshl_add_u64 v[16:17], v[16:17], 1, s[28:29]
	s_cbranch_vccnz .LBB691_199
; %bb.191:
	global_load_ushort v20, v[16:17], off
	global_load_ushort v21, v[18:19], off
	s_mov_b64 s[14:15], -1
	s_waitcnt vmcnt(0)
	v_cmp_eq_u16_e32 vcc, v20, v21
	s_and_saveexec_b64 s[36:37], vcc
	s_cbranch_execz .LBB691_198
; %bb.192:
	s_add_u32 s14, s26, -1
	v_lshl_add_u64 v[18:19], v[18:19], 0, 2
	v_lshl_add_u64 v[20:21], v[16:17], 0, 2
	s_addc_u32 s15, s27, -1
	s_mov_b64 s[38:39], 0
	s_mov_b64 s[42:43], 0
                                        ; implicit-def: $sgpr40_sgpr41
	s_branch .LBB691_195
.LBB691_193:                            ;   in Loop: Header=BB691_195 Depth=1
	global_load_ushort v22, v[20:21], off
	global_load_ushort v23, v[18:19], off
	s_add_u32 s42, s42, 1
	s_addc_u32 s43, s43, 0
	s_andn2_b64 s[40:41], s[40:41], exec
	v_lshl_add_u64 v[18:19], v[18:19], 0, 2
	v_lshl_add_u64 v[20:21], v[20:21], 0, 2
	s_waitcnt vmcnt(0)
	v_cmp_ne_u16_e32 vcc, v22, v23
	s_and_b64 s[44:45], vcc, exec
	s_or_b64 s[40:41], s[40:41], s[44:45]
.LBB691_194:                            ;   in Loop: Header=BB691_195 Depth=1
	s_and_b64 s[44:45], exec, s[40:41]
	s_or_b64 s[38:39], s[44:45], s[38:39]
	v_mov_b64_e32 v[22:23], s[42:43]
	s_andn2_b64 exec, exec, s[38:39]
	s_cbranch_execz .LBB691_197
.LBB691_195:                            ; =>This Inner Loop Header: Depth=1
	s_or_b64 s[40:41], s[40:41], exec
	s_cmp_eq_u64 s[14:15], s[42:43]
	s_cbranch_scc0 .LBB691_193
; %bb.196:                              ;   in Loop: Header=BB691_195 Depth=1
                                        ; implicit-def: $vgpr18_vgpr19
                                        ; implicit-def: $vgpr20_vgpr21
	s_mov_b64 s[42:43], s[26:27]
	s_branch .LBB691_194
.LBB691_197:
	s_or_b64 exec, exec, s[38:39]
	v_cmp_gt_i64_e32 vcc, s[26:27], v[22:23]
	s_orn2_b64 s[14:15], vcc, exec
.LBB691_198:
	s_or_b64 exec, exec, s[36:37]
.LBB691_199:
	v_mul_lo_u32 v20, v7, s26
	v_mul_lo_u32 v21, v6, s27
	v_mad_u64_u32 v[18:19], s[36:37], v6, s26, 0
	v_add3_u32 v19, v19, v21, v20
	s_mov_b64 s[36:37], 0
	s_and_b64 vcc, exec, s[4:5]
	v_lshl_add_u64 v[18:19], v[18:19], 1, s[28:29]
	s_mov_b64 s[38:39], 0
	s_cbranch_vccnz .LBB691_208
; %bb.200:
	global_load_ushort v20, v[18:19], off
	global_load_ushort v21, v[16:17], off
	s_mov_b64 s[38:39], -1
	s_waitcnt vmcnt(0)
	v_cmp_eq_u16_e32 vcc, v20, v21
	s_and_saveexec_b64 s[40:41], vcc
	s_cbranch_execz .LBB691_207
; %bb.201:
	s_add_u32 s38, s26, -1
	v_lshl_add_u64 v[16:17], v[16:17], 0, 2
	v_lshl_add_u64 v[20:21], v[18:19], 0, 2
	s_addc_u32 s39, s27, -1
	s_mov_b64 s[42:43], 0
	s_mov_b64 s[46:47], 0
                                        ; implicit-def: $sgpr44_sgpr45
	s_branch .LBB691_204
.LBB691_202:                            ;   in Loop: Header=BB691_204 Depth=1
	global_load_ushort v22, v[20:21], off
	global_load_ushort v23, v[16:17], off
	s_add_u32 s46, s46, 1
	s_addc_u32 s47, s47, 0
	s_andn2_b64 s[44:45], s[44:45], exec
	v_lshl_add_u64 v[16:17], v[16:17], 0, 2
	v_lshl_add_u64 v[20:21], v[20:21], 0, 2
	s_waitcnt vmcnt(0)
	v_cmp_ne_u16_e32 vcc, v22, v23
	s_and_b64 s[48:49], vcc, exec
	s_or_b64 s[44:45], s[44:45], s[48:49]
.LBB691_203:                            ;   in Loop: Header=BB691_204 Depth=1
	s_and_b64 s[48:49], exec, s[44:45]
	s_or_b64 s[42:43], s[48:49], s[42:43]
	v_mov_b64_e32 v[22:23], s[46:47]
	s_andn2_b64 exec, exec, s[42:43]
	s_cbranch_execz .LBB691_206
.LBB691_204:                            ; =>This Inner Loop Header: Depth=1
	s_or_b64 s[44:45], s[44:45], exec
	s_cmp_eq_u64 s[38:39], s[46:47]
	s_cbranch_scc0 .LBB691_202
; %bb.205:                              ;   in Loop: Header=BB691_204 Depth=1
                                        ; implicit-def: $vgpr16_vgpr17
                                        ; implicit-def: $vgpr20_vgpr21
	s_mov_b64 s[46:47], s[26:27]
	s_branch .LBB691_203
.LBB691_206:
	s_or_b64 exec, exec, s[42:43]
	v_cmp_gt_i64_e32 vcc, s[26:27], v[22:23]
	s_orn2_b64 s[38:39], vcc, exec
.LBB691_207:
	s_or_b64 exec, exec, s[40:41]
.LBB691_208:
	v_mul_lo_u32 v20, v13, s26
	v_mul_lo_u32 v21, v12, s27
	v_mad_u64_u32 v[16:17], s[40:41], v12, s26, 0
	v_add3_u32 v17, v17, v21, v20
	s_and_b64 vcc, exec, s[4:5]
	v_lshl_add_u64 v[16:17], v[16:17], 1, s[28:29]
	s_cbranch_vccnz .LBB691_217
; %bb.209:
	global_load_ushort v20, v[16:17], off
	global_load_ushort v21, v[18:19], off
	s_mov_b64 s[36:37], -1
	s_waitcnt vmcnt(0)
	v_cmp_eq_u16_e32 vcc, v20, v21
	s_and_saveexec_b64 s[40:41], vcc
	s_cbranch_execz .LBB691_216
; %bb.210:
	s_add_u32 s36, s26, -1
	v_lshl_add_u64 v[18:19], v[18:19], 0, 2
	v_lshl_add_u64 v[20:21], v[16:17], 0, 2
	s_addc_u32 s37, s27, -1
	s_mov_b64 s[42:43], 0
	s_mov_b64 s[46:47], 0
                                        ; implicit-def: $sgpr44_sgpr45
	s_branch .LBB691_213
.LBB691_211:                            ;   in Loop: Header=BB691_213 Depth=1
	global_load_ushort v22, v[20:21], off
	global_load_ushort v23, v[18:19], off
	s_add_u32 s46, s46, 1
	s_addc_u32 s47, s47, 0
	s_andn2_b64 s[44:45], s[44:45], exec
	v_lshl_add_u64 v[18:19], v[18:19], 0, 2
	v_lshl_add_u64 v[20:21], v[20:21], 0, 2
	s_waitcnt vmcnt(0)
	v_cmp_ne_u16_e32 vcc, v22, v23
	s_and_b64 s[48:49], vcc, exec
	s_or_b64 s[44:45], s[44:45], s[48:49]
.LBB691_212:                            ;   in Loop: Header=BB691_213 Depth=1
	s_and_b64 s[48:49], exec, s[44:45]
	s_or_b64 s[42:43], s[48:49], s[42:43]
	v_mov_b64_e32 v[22:23], s[46:47]
	s_andn2_b64 exec, exec, s[42:43]
	s_cbranch_execz .LBB691_215
.LBB691_213:                            ; =>This Inner Loop Header: Depth=1
	s_or_b64 s[44:45], s[44:45], exec
	s_cmp_eq_u64 s[36:37], s[46:47]
	s_cbranch_scc0 .LBB691_211
; %bb.214:                              ;   in Loop: Header=BB691_213 Depth=1
                                        ; implicit-def: $vgpr18_vgpr19
                                        ; implicit-def: $vgpr20_vgpr21
	s_mov_b64 s[46:47], s[26:27]
	s_branch .LBB691_212
.LBB691_215:
	s_or_b64 exec, exec, s[42:43]
	v_cmp_gt_i64_e32 vcc, s[26:27], v[22:23]
	s_orn2_b64 s[36:37], vcc, exec
.LBB691_216:
	s_or_b64 exec, exec, s[40:41]
.LBB691_217:
	v_mul_lo_u32 v20, v11, s26
	v_mul_lo_u32 v21, v10, s27
	v_mad_u64_u32 v[18:19], s[40:41], v10, s26, 0
	v_add3_u32 v19, v19, v21, v20
	s_and_b64 vcc, exec, s[4:5]
	s_mov_b64 s[42:43], 0
	s_cbranch_vccnz .LBB691_226
; %bb.218:
	v_lshl_add_u64 v[20:21], v[18:19], 1, s[28:29]
	global_load_ushort v22, v[20:21], off
	global_load_ushort v23, v[16:17], off
	s_mov_b64 s[42:43], -1
	s_waitcnt vmcnt(0)
	v_cmp_eq_u16_e32 vcc, v22, v23
	s_and_saveexec_b64 s[40:41], vcc
	s_cbranch_execz .LBB691_225
; %bb.219:
	s_add_u32 s42, s26, -1
	v_lshl_add_u64 v[16:17], v[16:17], 0, 2
	v_lshl_add_u64 v[20:21], v[20:21], 0, 2
	s_addc_u32 s43, s27, -1
	s_mov_b64 s[44:45], 0
	s_mov_b64 s[48:49], 0
                                        ; implicit-def: $sgpr46_sgpr47
	s_branch .LBB691_222
.LBB691_220:                            ;   in Loop: Header=BB691_222 Depth=1
	global_load_ushort v22, v[20:21], off
	global_load_ushort v23, v[16:17], off
	s_add_u32 s48, s48, 1
	s_addc_u32 s49, s49, 0
	s_andn2_b64 s[46:47], s[46:47], exec
	v_lshl_add_u64 v[16:17], v[16:17], 0, 2
	v_lshl_add_u64 v[20:21], v[20:21], 0, 2
	s_waitcnt vmcnt(0)
	v_cmp_ne_u16_e32 vcc, v22, v23
	s_and_b64 s[50:51], vcc, exec
	s_or_b64 s[46:47], s[46:47], s[50:51]
.LBB691_221:                            ;   in Loop: Header=BB691_222 Depth=1
	s_and_b64 s[50:51], exec, s[46:47]
	s_or_b64 s[44:45], s[50:51], s[44:45]
	v_mov_b64_e32 v[22:23], s[48:49]
	s_andn2_b64 exec, exec, s[44:45]
	s_cbranch_execz .LBB691_224
.LBB691_222:                            ; =>This Inner Loop Header: Depth=1
	s_or_b64 s[46:47], s[46:47], exec
	s_cmp_eq_u64 s[42:43], s[48:49]
	s_cbranch_scc0 .LBB691_220
; %bb.223:                              ;   in Loop: Header=BB691_222 Depth=1
                                        ; implicit-def: $vgpr16_vgpr17
                                        ; implicit-def: $vgpr20_vgpr21
	s_mov_b64 s[48:49], s[26:27]
	s_branch .LBB691_221
.LBB691_224:
	s_or_b64 exec, exec, s[44:45]
	v_cmp_gt_i64_e32 vcc, s[26:27], v[22:23]
	s_orn2_b64 s[42:43], vcc, exec
.LBB691_225:
	s_or_b64 exec, exec, s[40:41]
.LBB691_226:
	v_cndmask_b32_e64 v17, 0, 1, s[38:39]
	v_cndmask_b32_e64 v16, 0, 1, s[36:37]
	v_cndmask_b32_e64 v33, 0, 1, s[18:19]
	v_lshlrev_b16_e32 v17, 8, v17
	v_cndmask_b32_e64 v32, 0, 1, s[14:15]
	v_cndmask_b32_e64 v20, 0, 1, s[42:43]
	v_or_b32_sdwa v16, v16, v17 dst_sel:WORD_1 dst_unused:UNUSED_PAD src0_sel:DWORD src1_sel:DWORD
	v_lshlrev_b16_e32 v17, 8, v33
	v_lshlrev_b16_e32 v20, 8, v20
	v_or_b32_e32 v17, v32, v17
	v_or_b32_e32 v20, 1, v20
	v_and_b32_e32 v17, 0xffff, v17
	v_cndmask_b32_e64 v34, 0, 1, s[12:13]
	v_or_b32_sdwa v16, v20, v16 dst_sel:DWORD dst_unused:UNUSED_PAD src0_sel:WORD_0 src1_sel:DWORD
	v_lshl_or_b32 v17, v34, 16, v17
	v_cmp_ne_u32_e32 vcc, 0, v0
	s_waitcnt lgkmcnt(0)
	s_barrier
	s_waitcnt lgkmcnt(0)
                                        ; implicit-def: $sgpr18_sgpr19
                                        ; implicit-def: $vgpr20
	s_and_saveexec_b64 s[12:13], vcc
	s_xor_b64 s[12:13], exec, s[12:13]
	s_cbranch_execz .LBB691_237
; %bb.227:
	s_mov_b32 s33, 0x3020104
	s_and_b64 vcc, exec, s[4:5]
	s_mov_b64 s[14:15], 0
	s_cbranch_vccnz .LBB691_236
; %bb.228:
	v_add_u32_e32 v17, -8, v30
	ds_read_b64 v[20:21], v17
	v_lshl_add_u64 v[18:19], v[18:19], 1, s[28:29]
	s_mov_b64 s[14:15], -1
	s_waitcnt lgkmcnt(0)
	v_mul_lo_u32 v17, v21, s26
	v_mul_lo_u32 v22, v20, s27
	v_mad_u64_u32 v[20:21], s[4:5], v20, s26, 0
	v_add3_u32 v21, v21, v22, v17
	v_lshl_add_u64 v[20:21], v[20:21], 1, s[28:29]
	global_load_ushort v17, v[20:21], off
	global_load_ushort v22, v[18:19], off
	s_waitcnt vmcnt(0)
	v_cmp_eq_u16_e32 vcc, v17, v22
	s_and_saveexec_b64 s[4:5], vcc
	s_cbranch_execz .LBB691_235
; %bb.229:
	s_add_u32 s14, s26, -1
	v_lshl_add_u64 v[18:19], v[18:19], 0, 2
	v_lshl_add_u64 v[20:21], v[20:21], 0, 2
	s_addc_u32 s15, s27, -1
	s_mov_b64 s[18:19], 0
	s_mov_b64 s[38:39], 0
                                        ; implicit-def: $sgpr36_sgpr37
	s_branch .LBB691_232
.LBB691_230:                            ;   in Loop: Header=BB691_232 Depth=1
	global_load_ushort v17, v[20:21], off
	global_load_ushort v22, v[18:19], off
	s_add_u32 s38, s38, 1
	s_addc_u32 s39, s39, 0
	s_andn2_b64 s[36:37], s[36:37], exec
	v_lshl_add_u64 v[18:19], v[18:19], 0, 2
	v_lshl_add_u64 v[20:21], v[20:21], 0, 2
	s_waitcnt vmcnt(0)
	v_cmp_ne_u16_e32 vcc, v17, v22
	s_and_b64 s[40:41], vcc, exec
	s_or_b64 s[36:37], s[36:37], s[40:41]
.LBB691_231:                            ;   in Loop: Header=BB691_232 Depth=1
	s_and_b64 s[40:41], exec, s[36:37]
	s_or_b64 s[18:19], s[40:41], s[18:19]
	v_mov_b64_e32 v[22:23], s[38:39]
	s_andn2_b64 exec, exec, s[18:19]
	s_cbranch_execz .LBB691_234
.LBB691_232:                            ; =>This Inner Loop Header: Depth=1
	s_or_b64 s[36:37], s[36:37], exec
	s_cmp_eq_u64 s[14:15], s[38:39]
	s_cbranch_scc0 .LBB691_230
; %bb.233:                              ;   in Loop: Header=BB691_232 Depth=1
                                        ; implicit-def: $vgpr18_vgpr19
                                        ; implicit-def: $vgpr20_vgpr21
	s_mov_b64 s[38:39], s[26:27]
	s_branch .LBB691_231
.LBB691_234:
	s_or_b64 exec, exec, s[18:19]
	v_cmp_gt_i64_e32 vcc, s[26:27], v[22:23]
	s_orn2_b64 s[14:15], vcc, exec
.LBB691_235:
	s_or_b64 exec, exec, s[4:5]
.LBB691_236:
	v_perm_b32 v20, v16, v16, s33
	s_and_b64 s[18:19], s[14:15], exec
	s_or_b64 s[10:11], s[10:11], exec
                                        ; implicit-def: $vgpr16_vgpr17
.LBB691_237:
	s_or_b64 exec, exec, s[12:13]
	s_branch .LBB691_318
.LBB691_238:
	v_cmp_gt_u32_e32 vcc, s3, v27
	s_mov_b64 s[12:13], 0
	s_mov_b64 s[4:5], 0
	s_and_saveexec_b64 s[14:15], vcc
	s_cbranch_execz .LBB691_249
; %bb.239:
	s_andn2_b64 vcc, exec, s[6:7]
	s_mov_b64 s[18:19], 0
	s_cbranch_vccnz .LBB691_248
; %bb.240:
	v_mul_lo_u32 v18, v5, s26
	v_mul_lo_u32 v19, v4, s27
	v_mad_u64_u32 v[16:17], s[4:5], v4, s26, 0
	v_add3_u32 v17, v17, v19, v18
	v_mul_lo_u32 v18, v15, s26
	v_mul_lo_u32 v19, v14, s27
	v_mad_u64_u32 v[20:21], s[4:5], v14, s26, 0
	v_add3_u32 v21, v21, v19, v18
	v_lshl_add_u64 v[18:19], v[16:17], 1, s[28:29]
	v_lshl_add_u64 v[16:17], v[20:21], 1, s[28:29]
	global_load_ushort v20, v[18:19], off
	global_load_ushort v21, v[16:17], off
	s_mov_b64 s[18:19], -1
	s_waitcnt vmcnt(0)
	v_cmp_eq_u16_e32 vcc, v20, v21
	s_and_saveexec_b64 s[4:5], vcc
	s_cbranch_execz .LBB691_247
; %bb.241:
	s_add_u32 s18, s26, -1
	v_lshl_add_u64 v[16:17], v[16:17], 0, 2
	v_lshl_add_u64 v[18:19], v[18:19], 0, 2
	s_addc_u32 s19, s27, -1
	s_mov_b64 s[36:37], 0
	s_mov_b64 s[40:41], 0
                                        ; implicit-def: $sgpr38_sgpr39
	s_branch .LBB691_244
.LBB691_242:                            ;   in Loop: Header=BB691_244 Depth=1
	global_load_ushort v20, v[18:19], off
	global_load_ushort v21, v[16:17], off
	s_add_u32 s40, s40, 1
	s_addc_u32 s41, s41, 0
	s_andn2_b64 s[38:39], s[38:39], exec
	v_lshl_add_u64 v[16:17], v[16:17], 0, 2
	v_lshl_add_u64 v[18:19], v[18:19], 0, 2
	s_waitcnt vmcnt(0)
	v_cmp_ne_u16_e32 vcc, v20, v21
	s_and_b64 s[42:43], vcc, exec
	s_or_b64 s[38:39], s[38:39], s[42:43]
.LBB691_243:                            ;   in Loop: Header=BB691_244 Depth=1
	s_and_b64 s[42:43], exec, s[38:39]
	s_or_b64 s[36:37], s[42:43], s[36:37]
	v_mov_b64_e32 v[20:21], s[40:41]
	s_andn2_b64 exec, exec, s[36:37]
	s_cbranch_execz .LBB691_246
.LBB691_244:                            ; =>This Inner Loop Header: Depth=1
	s_or_b64 s[38:39], s[38:39], exec
	s_cmp_eq_u64 s[18:19], s[40:41]
	s_cbranch_scc0 .LBB691_242
; %bb.245:                              ;   in Loop: Header=BB691_244 Depth=1
                                        ; implicit-def: $vgpr16_vgpr17
                                        ; implicit-def: $vgpr18_vgpr19
	s_mov_b64 s[40:41], s[26:27]
	s_branch .LBB691_243
.LBB691_246:
	s_or_b64 exec, exec, s[36:37]
	v_cmp_gt_i64_e32 vcc, s[26:27], v[20:21]
	s_orn2_b64 s[18:19], vcc, exec
.LBB691_247:
	s_or_b64 exec, exec, s[4:5]
.LBB691_248:
	s_and_b64 s[4:5], s[18:19], exec
.LBB691_249:
	s_or_b64 exec, exec, s[14:15]
	v_cmp_gt_u32_e32 vcc, s3, v29
	s_and_saveexec_b64 s[14:15], vcc
	s_cbranch_execz .LBB691_260
; %bb.250:
	s_andn2_b64 vcc, exec, s[6:7]
	s_mov_b64 s[18:19], 0
	s_cbranch_vccnz .LBB691_259
; %bb.251:
	v_mul_lo_u32 v18, v3, s26
	v_mul_lo_u32 v19, v2, s27
	v_mad_u64_u32 v[16:17], s[12:13], v2, s26, 0
	v_add3_u32 v17, v17, v19, v18
	v_mul_lo_u32 v18, v5, s26
	v_mul_lo_u32 v19, v4, s27
	v_mad_u64_u32 v[20:21], s[12:13], v4, s26, 0
	v_add3_u32 v21, v21, v19, v18
	v_lshl_add_u64 v[18:19], v[16:17], 1, s[28:29]
	v_lshl_add_u64 v[16:17], v[20:21], 1, s[28:29]
	global_load_ushort v20, v[18:19], off
	global_load_ushort v21, v[16:17], off
	s_mov_b64 s[18:19], -1
	s_waitcnt vmcnt(0)
	v_cmp_eq_u16_e32 vcc, v20, v21
	s_and_saveexec_b64 s[12:13], vcc
	s_cbranch_execz .LBB691_258
; %bb.252:
	s_add_u32 s18, s26, -1
	v_lshl_add_u64 v[16:17], v[16:17], 0, 2
	v_lshl_add_u64 v[18:19], v[18:19], 0, 2
	s_addc_u32 s19, s27, -1
	s_mov_b64 s[36:37], 0
	s_mov_b64 s[40:41], 0
                                        ; implicit-def: $sgpr38_sgpr39
	s_branch .LBB691_255
.LBB691_253:                            ;   in Loop: Header=BB691_255 Depth=1
	global_load_ushort v20, v[18:19], off
	global_load_ushort v21, v[16:17], off
	s_add_u32 s40, s40, 1
	s_addc_u32 s41, s41, 0
	s_andn2_b64 s[38:39], s[38:39], exec
	v_lshl_add_u64 v[16:17], v[16:17], 0, 2
	v_lshl_add_u64 v[18:19], v[18:19], 0, 2
	s_waitcnt vmcnt(0)
	v_cmp_ne_u16_e32 vcc, v20, v21
	s_and_b64 s[42:43], vcc, exec
	s_or_b64 s[38:39], s[38:39], s[42:43]
.LBB691_254:                            ;   in Loop: Header=BB691_255 Depth=1
	s_and_b64 s[42:43], exec, s[38:39]
	s_or_b64 s[36:37], s[42:43], s[36:37]
	v_mov_b64_e32 v[20:21], s[40:41]
	s_andn2_b64 exec, exec, s[36:37]
	s_cbranch_execz .LBB691_257
.LBB691_255:                            ; =>This Inner Loop Header: Depth=1
	s_or_b64 s[38:39], s[38:39], exec
	s_cmp_eq_u64 s[18:19], s[40:41]
	s_cbranch_scc0 .LBB691_253
; %bb.256:                              ;   in Loop: Header=BB691_255 Depth=1
                                        ; implicit-def: $vgpr16_vgpr17
                                        ; implicit-def: $vgpr18_vgpr19
	s_mov_b64 s[40:41], s[26:27]
	s_branch .LBB691_254
.LBB691_257:
	s_or_b64 exec, exec, s[36:37]
	v_cmp_gt_i64_e32 vcc, s[26:27], v[20:21]
	s_orn2_b64 s[18:19], vcc, exec
.LBB691_258:
	s_or_b64 exec, exec, s[12:13]
.LBB691_259:
	s_and_b64 s[12:13], s[18:19], exec
.LBB691_260:
	s_or_b64 exec, exec, s[14:15]
	v_cmp_gt_u32_e32 vcc, s3, v26
	s_mov_b64 s[18:19], 0
	s_mov_b64 s[14:15], 0
	s_and_saveexec_b64 s[36:37], vcc
	s_cbranch_execz .LBB691_271
; %bb.261:
	s_andn2_b64 vcc, exec, s[6:7]
	s_mov_b64 s[38:39], 0
	s_cbranch_vccnz .LBB691_270
; %bb.262:
	v_mul_lo_u32 v18, v9, s26
	v_mul_lo_u32 v19, v8, s27
	v_mad_u64_u32 v[16:17], s[14:15], v8, s26, 0
	v_add3_u32 v17, v17, v19, v18
	v_mul_lo_u32 v18, v3, s26
	v_mul_lo_u32 v19, v2, s27
	v_mad_u64_u32 v[20:21], s[14:15], v2, s26, 0
	v_add3_u32 v21, v21, v19, v18
	v_lshl_add_u64 v[18:19], v[16:17], 1, s[28:29]
	v_lshl_add_u64 v[16:17], v[20:21], 1, s[28:29]
	global_load_ushort v20, v[18:19], off
	global_load_ushort v21, v[16:17], off
	s_mov_b64 s[38:39], -1
	s_waitcnt vmcnt(0)
	v_cmp_eq_u16_e32 vcc, v20, v21
	s_and_saveexec_b64 s[14:15], vcc
	s_cbranch_execz .LBB691_269
; %bb.263:
	s_add_u32 s38, s26, -1
	v_lshl_add_u64 v[16:17], v[16:17], 0, 2
	v_lshl_add_u64 v[18:19], v[18:19], 0, 2
	s_addc_u32 s39, s27, -1
	s_mov_b64 s[40:41], 0
	s_mov_b64 s[44:45], 0
                                        ; implicit-def: $sgpr42_sgpr43
	s_branch .LBB691_266
.LBB691_264:                            ;   in Loop: Header=BB691_266 Depth=1
	global_load_ushort v20, v[18:19], off
	global_load_ushort v21, v[16:17], off
	s_add_u32 s44, s44, 1
	s_addc_u32 s45, s45, 0
	s_andn2_b64 s[42:43], s[42:43], exec
	v_lshl_add_u64 v[16:17], v[16:17], 0, 2
	v_lshl_add_u64 v[18:19], v[18:19], 0, 2
	s_waitcnt vmcnt(0)
	v_cmp_ne_u16_e32 vcc, v20, v21
	s_and_b64 s[46:47], vcc, exec
	s_or_b64 s[42:43], s[42:43], s[46:47]
.LBB691_265:                            ;   in Loop: Header=BB691_266 Depth=1
	s_and_b64 s[46:47], exec, s[42:43]
	s_or_b64 s[40:41], s[46:47], s[40:41]
	v_mov_b64_e32 v[20:21], s[44:45]
	s_andn2_b64 exec, exec, s[40:41]
	s_cbranch_execz .LBB691_268
.LBB691_266:                            ; =>This Inner Loop Header: Depth=1
	s_or_b64 s[42:43], s[42:43], exec
	s_cmp_eq_u64 s[38:39], s[44:45]
	s_cbranch_scc0 .LBB691_264
; %bb.267:                              ;   in Loop: Header=BB691_266 Depth=1
                                        ; implicit-def: $vgpr16_vgpr17
                                        ; implicit-def: $vgpr18_vgpr19
	s_mov_b64 s[44:45], s[26:27]
	s_branch .LBB691_265
.LBB691_268:
	s_or_b64 exec, exec, s[40:41]
	v_cmp_gt_i64_e32 vcc, s[26:27], v[20:21]
	s_orn2_b64 s[38:39], vcc, exec
.LBB691_269:
	s_or_b64 exec, exec, s[14:15]
.LBB691_270:
	s_and_b64 s[14:15], s[38:39], exec
.LBB691_271:
	s_or_b64 exec, exec, s[36:37]
	v_cmp_gt_u32_e32 vcc, s3, v28
	s_and_saveexec_b64 s[36:37], vcc
	s_cbranch_execz .LBB691_282
; %bb.272:
	s_andn2_b64 vcc, exec, s[6:7]
	s_mov_b64 s[38:39], 0
	s_cbranch_vccnz .LBB691_281
; %bb.273:
	v_mul_lo_u32 v18, v7, s26
	v_mul_lo_u32 v19, v6, s27
	v_mad_u64_u32 v[16:17], s[18:19], v6, s26, 0
	v_add3_u32 v17, v17, v19, v18
	v_mul_lo_u32 v18, v9, s26
	v_mul_lo_u32 v19, v8, s27
	v_mad_u64_u32 v[20:21], s[18:19], v8, s26, 0
	v_add3_u32 v21, v21, v19, v18
	v_lshl_add_u64 v[18:19], v[16:17], 1, s[28:29]
	v_lshl_add_u64 v[16:17], v[20:21], 1, s[28:29]
	global_load_ushort v20, v[18:19], off
	global_load_ushort v21, v[16:17], off
	s_mov_b64 s[38:39], -1
	s_waitcnt vmcnt(0)
	v_cmp_eq_u16_e32 vcc, v20, v21
	s_and_saveexec_b64 s[18:19], vcc
	s_cbranch_execz .LBB691_280
; %bb.274:
	s_add_u32 s38, s26, -1
	v_lshl_add_u64 v[16:17], v[16:17], 0, 2
	v_lshl_add_u64 v[18:19], v[18:19], 0, 2
	s_addc_u32 s39, s27, -1
	s_mov_b64 s[40:41], 0
	s_mov_b64 s[44:45], 0
                                        ; implicit-def: $sgpr42_sgpr43
	s_branch .LBB691_277
.LBB691_275:                            ;   in Loop: Header=BB691_277 Depth=1
	global_load_ushort v20, v[18:19], off
	global_load_ushort v21, v[16:17], off
	s_add_u32 s44, s44, 1
	s_addc_u32 s45, s45, 0
	s_andn2_b64 s[42:43], s[42:43], exec
	v_lshl_add_u64 v[16:17], v[16:17], 0, 2
	v_lshl_add_u64 v[18:19], v[18:19], 0, 2
	s_waitcnt vmcnt(0)
	v_cmp_ne_u16_e32 vcc, v20, v21
	s_and_b64 s[46:47], vcc, exec
	s_or_b64 s[42:43], s[42:43], s[46:47]
.LBB691_276:                            ;   in Loop: Header=BB691_277 Depth=1
	s_and_b64 s[46:47], exec, s[42:43]
	s_or_b64 s[40:41], s[46:47], s[40:41]
	v_mov_b64_e32 v[20:21], s[44:45]
	s_andn2_b64 exec, exec, s[40:41]
	s_cbranch_execz .LBB691_279
.LBB691_277:                            ; =>This Inner Loop Header: Depth=1
	s_or_b64 s[42:43], s[42:43], exec
	s_cmp_eq_u64 s[38:39], s[44:45]
	s_cbranch_scc0 .LBB691_275
; %bb.278:                              ;   in Loop: Header=BB691_277 Depth=1
                                        ; implicit-def: $vgpr16_vgpr17
                                        ; implicit-def: $vgpr18_vgpr19
	s_mov_b64 s[44:45], s[26:27]
	s_branch .LBB691_276
.LBB691_279:
	s_or_b64 exec, exec, s[40:41]
	v_cmp_gt_i64_e32 vcc, s[26:27], v[20:21]
	s_orn2_b64 s[38:39], vcc, exec
.LBB691_280:
	s_or_b64 exec, exec, s[18:19]
.LBB691_281:
	s_and_b64 s[18:19], s[38:39], exec
.LBB691_282:
	s_or_b64 exec, exec, s[36:37]
	v_cmp_gt_u32_e32 vcc, s3, v24
	s_mov_b64 s[36:37], 0
	s_mov_b64 s[38:39], 0
	s_and_saveexec_b64 s[40:41], vcc
	s_cbranch_execz .LBB691_293
; %bb.283:
	s_andn2_b64 vcc, exec, s[6:7]
	s_mov_b64 s[42:43], 0
	s_cbranch_vccnz .LBB691_292
; %bb.284:
	v_mul_lo_u32 v18, v13, s26
	v_mul_lo_u32 v19, v12, s27
	v_mad_u64_u32 v[16:17], s[38:39], v12, s26, 0
	v_add3_u32 v17, v17, v19, v18
	v_mul_lo_u32 v18, v7, s26
	v_mul_lo_u32 v19, v6, s27
	v_mad_u64_u32 v[20:21], s[38:39], v6, s26, 0
	v_add3_u32 v21, v21, v19, v18
	v_lshl_add_u64 v[18:19], v[16:17], 1, s[28:29]
	v_lshl_add_u64 v[16:17], v[20:21], 1, s[28:29]
	global_load_ushort v20, v[18:19], off
	global_load_ushort v21, v[16:17], off
	s_mov_b64 s[42:43], -1
	s_waitcnt vmcnt(0)
	v_cmp_eq_u16_e32 vcc, v20, v21
	s_and_saveexec_b64 s[38:39], vcc
	s_cbranch_execz .LBB691_291
; %bb.285:
	s_add_u32 s42, s26, -1
	v_lshl_add_u64 v[16:17], v[16:17], 0, 2
	v_lshl_add_u64 v[18:19], v[18:19], 0, 2
	s_addc_u32 s43, s27, -1
	s_mov_b64 s[44:45], 0
	s_mov_b64 s[48:49], 0
                                        ; implicit-def: $sgpr46_sgpr47
	s_branch .LBB691_288
.LBB691_286:                            ;   in Loop: Header=BB691_288 Depth=1
	global_load_ushort v20, v[18:19], off
	global_load_ushort v21, v[16:17], off
	s_add_u32 s48, s48, 1
	s_addc_u32 s49, s49, 0
	s_andn2_b64 s[46:47], s[46:47], exec
	v_lshl_add_u64 v[16:17], v[16:17], 0, 2
	v_lshl_add_u64 v[18:19], v[18:19], 0, 2
	s_waitcnt vmcnt(0)
	v_cmp_ne_u16_e32 vcc, v20, v21
	s_and_b64 s[50:51], vcc, exec
	s_or_b64 s[46:47], s[46:47], s[50:51]
.LBB691_287:                            ;   in Loop: Header=BB691_288 Depth=1
	s_and_b64 s[50:51], exec, s[46:47]
	s_or_b64 s[44:45], s[50:51], s[44:45]
	v_mov_b64_e32 v[20:21], s[48:49]
	s_andn2_b64 exec, exec, s[44:45]
	s_cbranch_execz .LBB691_290
.LBB691_288:                            ; =>This Inner Loop Header: Depth=1
	s_or_b64 s[46:47], s[46:47], exec
	s_cmp_eq_u64 s[42:43], s[48:49]
	s_cbranch_scc0 .LBB691_286
; %bb.289:                              ;   in Loop: Header=BB691_288 Depth=1
                                        ; implicit-def: $vgpr16_vgpr17
                                        ; implicit-def: $vgpr18_vgpr19
	s_mov_b64 s[48:49], s[26:27]
	s_branch .LBB691_287
.LBB691_290:
	s_or_b64 exec, exec, s[44:45]
	v_cmp_gt_i64_e32 vcc, s[26:27], v[20:21]
	s_orn2_b64 s[42:43], vcc, exec
.LBB691_291:
	s_or_b64 exec, exec, s[38:39]
.LBB691_292:
	s_and_b64 s[38:39], s[42:43], exec
.LBB691_293:
	s_or_b64 exec, exec, s[40:41]
	v_cmp_gt_u32_e32 vcc, s3, v25
	s_and_saveexec_b64 s[40:41], vcc
	s_cbranch_execz .LBB691_304
; %bb.294:
	s_andn2_b64 vcc, exec, s[6:7]
	s_mov_b64 s[42:43], 0
	s_cbranch_vccnz .LBB691_303
; %bb.295:
	v_mul_lo_u32 v18, v11, s26
	v_mul_lo_u32 v19, v10, s27
	v_mad_u64_u32 v[16:17], s[36:37], v10, s26, 0
	v_add3_u32 v17, v17, v19, v18
	v_mul_lo_u32 v18, v13, s26
	v_mul_lo_u32 v19, v12, s27
	v_mad_u64_u32 v[20:21], s[36:37], v12, s26, 0
	v_add3_u32 v21, v21, v19, v18
	v_lshl_add_u64 v[18:19], v[16:17], 1, s[28:29]
	v_lshl_add_u64 v[16:17], v[20:21], 1, s[28:29]
	global_load_ushort v20, v[18:19], off
	global_load_ushort v21, v[16:17], off
	s_mov_b64 s[42:43], -1
	s_waitcnt vmcnt(0)
	v_cmp_eq_u16_e32 vcc, v20, v21
	s_and_saveexec_b64 s[36:37], vcc
	s_cbranch_execz .LBB691_302
; %bb.296:
	s_add_u32 s42, s26, -1
	v_lshl_add_u64 v[16:17], v[16:17], 0, 2
	v_lshl_add_u64 v[18:19], v[18:19], 0, 2
	s_addc_u32 s43, s27, -1
	s_mov_b64 s[44:45], 0
	s_mov_b64 s[48:49], 0
                                        ; implicit-def: $sgpr46_sgpr47
	s_branch .LBB691_299
.LBB691_297:                            ;   in Loop: Header=BB691_299 Depth=1
	global_load_ushort v20, v[18:19], off
	global_load_ushort v21, v[16:17], off
	s_add_u32 s48, s48, 1
	s_addc_u32 s49, s49, 0
	s_andn2_b64 s[46:47], s[46:47], exec
	v_lshl_add_u64 v[16:17], v[16:17], 0, 2
	v_lshl_add_u64 v[18:19], v[18:19], 0, 2
	s_waitcnt vmcnt(0)
	v_cmp_ne_u16_e32 vcc, v20, v21
	s_and_b64 s[50:51], vcc, exec
	s_or_b64 s[46:47], s[46:47], s[50:51]
.LBB691_298:                            ;   in Loop: Header=BB691_299 Depth=1
	s_and_b64 s[50:51], exec, s[46:47]
	s_or_b64 s[44:45], s[50:51], s[44:45]
	v_mov_b64_e32 v[20:21], s[48:49]
	s_andn2_b64 exec, exec, s[44:45]
	s_cbranch_execz .LBB691_301
.LBB691_299:                            ; =>This Inner Loop Header: Depth=1
	s_or_b64 s[46:47], s[46:47], exec
	s_cmp_eq_u64 s[42:43], s[48:49]
	s_cbranch_scc0 .LBB691_297
; %bb.300:                              ;   in Loop: Header=BB691_299 Depth=1
                                        ; implicit-def: $vgpr16_vgpr17
                                        ; implicit-def: $vgpr18_vgpr19
	s_mov_b64 s[48:49], s[26:27]
	s_branch .LBB691_298
.LBB691_301:
	s_or_b64 exec, exec, s[44:45]
	v_cmp_gt_i64_e32 vcc, s[26:27], v[20:21]
	s_orn2_b64 s[42:43], vcc, exec
.LBB691_302:
	s_or_b64 exec, exec, s[36:37]
.LBB691_303:
	s_and_b64 s[36:37], s[42:43], exec
.LBB691_304:
	s_or_b64 exec, exec, s[40:41]
	v_cndmask_b32_e64 v17, 0, 1, s[18:19]
	v_cndmask_b32_e64 v16, 0, 1, s[38:39]
	;; [unrolled: 1-line block ×3, first 2 shown]
	v_lshlrev_b16_e32 v17, 8, v17
	v_cndmask_b32_e64 v32, 0, 1, s[14:15]
	v_cndmask_b32_e64 v18, 0, 1, s[36:37]
	v_or_b32_sdwa v16, v16, v17 dst_sel:WORD_1 dst_unused:UNUSED_PAD src0_sel:DWORD src1_sel:DWORD
	v_lshlrev_b16_e32 v17, 8, v33
	v_lshlrev_b16_e32 v18, 8, v18
	v_or_b32_e32 v17, v32, v17
	v_or_b32_e32 v18, 1, v18
	v_and_b32_e32 v17, 0xffff, v17
	v_cndmask_b32_e64 v34, 0, 1, s[4:5]
	v_or_b32_sdwa v16, v18, v16 dst_sel:DWORD dst_unused:UNUSED_PAD src0_sel:WORD_0 src1_sel:DWORD
	v_lshl_or_b32 v17, v34, 16, v17
	v_cmp_ne_u32_e32 vcc, 0, v0
	s_waitcnt lgkmcnt(0)
	s_barrier
	s_waitcnt lgkmcnt(0)
                                        ; implicit-def: $sgpr18_sgpr19
                                        ; implicit-def: $vgpr20
	s_and_saveexec_b64 s[4:5], vcc
	s_cbranch_execz .LBB691_317
; %bb.305:
	v_cmp_gt_u32_e32 vcc, s3, v1
	s_mov_b32 s33, 0x3020104
	s_mov_b64 s[14:15], 0
	s_and_saveexec_b64 s[12:13], vcc
	s_cbranch_execz .LBB691_316
; %bb.306:
	s_andn2_b64 vcc, exec, s[6:7]
	s_cbranch_vccnz .LBB691_315
; %bb.307:
	v_add_u32_e32 v17, -8, v30
	ds_read_b64 v[18:19], v17
	v_mul_lo_u32 v17, v11, s26
	v_mad_u64_u32 v[22:23], s[6:7], v10, s26, 0
	s_mov_b64 s[14:15], -1
	s_waitcnt lgkmcnt(0)
	v_mul_lo_u32 v20, v19, s26
	v_mul_lo_u32 v21, v18, s27
	v_mad_u64_u32 v[18:19], s[6:7], v18, s26, 0
	v_add3_u32 v19, v19, v21, v20
	v_mul_lo_u32 v20, v10, s27
	v_add3_u32 v23, v23, v20, v17
	v_lshl_add_u64 v[20:21], v[18:19], 1, s[28:29]
	v_lshl_add_u64 v[18:19], v[22:23], 1, s[28:29]
	global_load_ushort v17, v[20:21], off
	global_load_ushort v22, v[18:19], off
	s_waitcnt vmcnt(0)
	v_cmp_eq_u16_e32 vcc, v17, v22
	s_and_saveexec_b64 s[6:7], vcc
	s_cbranch_execz .LBB691_314
; %bb.308:
	s_add_u32 s14, s26, -1
	v_lshl_add_u64 v[18:19], v[18:19], 0, 2
	v_lshl_add_u64 v[20:21], v[20:21], 0, 2
	s_addc_u32 s15, s27, -1
	s_mov_b64 s[18:19], 0
	s_mov_b64 s[36:37], 0
                                        ; implicit-def: $sgpr28_sgpr29
	s_branch .LBB691_311
.LBB691_309:                            ;   in Loop: Header=BB691_311 Depth=1
	global_load_ushort v17, v[20:21], off
	global_load_ushort v22, v[18:19], off
	s_add_u32 s36, s36, 1
	s_addc_u32 s37, s37, 0
	s_andn2_b64 s[28:29], s[28:29], exec
	v_lshl_add_u64 v[18:19], v[18:19], 0, 2
	v_lshl_add_u64 v[20:21], v[20:21], 0, 2
	s_waitcnt vmcnt(0)
	v_cmp_ne_u16_e32 vcc, v17, v22
	s_and_b64 s[38:39], vcc, exec
	s_or_b64 s[28:29], s[28:29], s[38:39]
.LBB691_310:                            ;   in Loop: Header=BB691_311 Depth=1
	s_and_b64 s[38:39], exec, s[28:29]
	s_or_b64 s[18:19], s[38:39], s[18:19]
	v_mov_b64_e32 v[22:23], s[36:37]
	s_andn2_b64 exec, exec, s[18:19]
	s_cbranch_execz .LBB691_313
.LBB691_311:                            ; =>This Inner Loop Header: Depth=1
	s_or_b64 s[28:29], s[28:29], exec
	s_cmp_eq_u64 s[14:15], s[36:37]
	s_cbranch_scc0 .LBB691_309
; %bb.312:                              ;   in Loop: Header=BB691_311 Depth=1
                                        ; implicit-def: $vgpr18_vgpr19
                                        ; implicit-def: $vgpr20_vgpr21
	s_mov_b64 s[36:37], s[26:27]
	s_branch .LBB691_310
.LBB691_313:
	s_or_b64 exec, exec, s[18:19]
	v_cmp_gt_i64_e32 vcc, s[26:27], v[22:23]
	s_orn2_b64 s[14:15], vcc, exec
.LBB691_314:
	s_or_b64 exec, exec, s[6:7]
.LBB691_315:
	s_and_b64 s[14:15], s[14:15], exec
.LBB691_316:
	s_or_b64 exec, exec, s[12:13]
	v_perm_b32 v20, v16, v16, s33
	s_and_b64 s[18:19], s[14:15], exec
	s_or_b64 s[10:11], s[10:11], exec
                                        ; implicit-def: $vgpr16_vgpr17
.LBB691_317:
	s_or_b64 exec, exec, s[4:5]
.LBB691_318:
	s_and_saveexec_b64 s[4:5], s[10:11]
	s_cbranch_execz .LBB691_320
; %bb.319:
	s_waitcnt lgkmcnt(0)
	v_lshlrev_b16_e32 v17, 8, v33
	v_and_b32_e32 v18, 0xff, v34
	v_or_b32_sdwa v17, v32, v17 dst_sel:DWORD dst_unused:UNUSED_PAD src0_sel:BYTE_0 src1_sel:DWORD
	v_lshlrev_b32_e32 v18, 16, v18
	s_movk_i32 s6, 0xff
	v_or_b32_sdwa v17, v17, v18 dst_sel:DWORD dst_unused:UNUSED_PAD src0_sel:WORD_0 src1_sel:DWORD
	v_lshrrev_b32_e32 v18, 24, v20
	v_lshlrev_b16_e32 v18, 8, v18
	v_and_b32_sdwa v19, v20, s6 dst_sel:DWORD dst_unused:UNUSED_PAD src0_sel:WORD_1 src1_sel:DWORD
	v_or_b32_sdwa v18, v19, v18 dst_sel:WORD_1 dst_unused:UNUSED_PAD src0_sel:DWORD src1_sel:DWORD
	v_mov_b32_e32 v19, 8
	v_cndmask_b32_e64 v16, 0, 1, s[18:19]
	v_lshrrev_b32_sdwa v19, v19, v20 dst_sel:BYTE_1 dst_unused:UNUSED_PAD src0_sel:DWORD src1_sel:DWORD
	s_nop 0
	v_or_b32_e32 v16, v16, v19
	v_or_b32_sdwa v16, v16, v18 dst_sel:DWORD dst_unused:UNUSED_PAD src0_sel:WORD_0 src1_sel:DWORD
.LBB691_320:
	s_or_b64 exec, exec, s[4:5]
	s_andn2_b64 vcc, exec, s[8:9]
	s_cbranch_vccnz .LBB691_322
; %bb.321:
	s_waitcnt lgkmcnt(0)
	v_and_b32_e32 v18, 0xffff0000, v16
	v_cmp_gt_u32_e32 vcc, s3, v1
	s_mov_b32 s4, 0x40c0100
	s_nop 0
	v_cndmask_b32_e32 v1, v18, v16, vcc
	v_and_b32_e32 v1, 0xffff00ff, v1
	v_cmp_gt_u32_e32 vcc, s3, v25
	s_nop 1
	v_cndmask_b32_e32 v1, v1, v16, vcc
	v_lshrrev_b32_e32 v18, 24, v1
	v_perm_b32 v1, v18, v1, s4
	v_cmp_gt_u32_e32 vcc, s3, v24
	v_and_b32_e32 v18, 0xffffff00, v17
	s_nop 0
	v_cndmask_b32_e32 v1, v1, v16, vcc
	v_and_b32_e32 v1, 0xffffff, v1
	v_cmp_gt_u32_e32 vcc, s3, v28
	s_nop 1
	v_cndmask_b32_e32 v1, v1, v16, vcc
	v_cmp_gt_u32_e32 vcc, s3, v26
	s_nop 1
	v_cndmask_b32_e32 v18, v18, v17, vcc
	v_and_b32_e32 v18, 0xffff00ff, v18
	v_cndmask_b32_e32 v1, v1, v16, vcc
	v_cmp_gt_u32_e32 vcc, s3, v29
	s_nop 1
	v_cndmask_b32_e32 v18, v18, v17, vcc
	v_lshrrev_b32_e32 v19, 24, v18
	v_cndmask_b32_e32 v1, v1, v16, vcc
	v_perm_b32 v18, v19, v18, s4
	v_cmp_gt_u32_e32 vcc, s3, v27
	s_mov_b32 s3, 0x3020104
	s_nop 0
	v_cndmask_b32_e32 v1, v1, v16, vcc
	v_cndmask_b32_e32 v16, v18, v17, vcc
	v_mov_b32_e32 v17, 8
	v_lshrrev_b32_sdwa v17, v17, v16 dst_sel:BYTE_1 dst_unused:UNUSED_PAD src0_sel:DWORD src1_sel:DWORD
	s_nop 0
	v_or_b32_sdwa v17, v16, v17 dst_sel:DWORD dst_unused:UNUSED_PAD src0_sel:BYTE_0 src1_sel:DWORD
	v_and_b32_e32 v17, 0xffff, v17
	v_bfe_u32 v16, v16, 16, 8
	v_lshl_or_b32 v17, v16, 16, v17
	v_perm_b32 v16, v1, v1, s3
.LBB691_322:
	s_waitcnt lgkmcnt(0)
	v_and_b32_e32 v1, 0xff, v16
	v_bfe_u32 v29, v16, 8, 8
	v_bfe_u32 v31, v16, 16, 8
	v_alignbit_b32 v18, v17, v16, 24
	v_and_b32_e32 v33, 0xff, v18
	v_and_b32_e32 v35, 0xff, v17
	v_add3_u32 v19, v29, v1, v31
	v_bfe_u32 v36, v17, 8, 8
	v_bfe_u32 v18, v17, 16, 8
	v_add3_u32 v19, v19, v33, v35
	v_add3_u32 v39, v19, v36, v18
	v_mbcnt_lo_u32_b32 v18, -1, 0
	v_mbcnt_hi_u32_b32 v37, -1, v18
	v_and_b32_e32 v18, 15, v37
	v_cmp_eq_u32_e64 s[14:15], 0, v18
	v_cmp_lt_u32_e64 s[12:13], 1, v18
	v_cmp_lt_u32_e64 s[10:11], 3, v18
	v_cmp_lt_u32_e64 s[8:9], 7, v18
	v_and_b32_e32 v18, 16, v37
	v_cmp_eq_u32_e64 s[6:7], 0, v18
	v_or_b32_e32 v18, 63, v0
	v_cmp_lt_u32_e64 s[18:19], 31, v37
	v_lshrrev_b32_e32 v38, 6, v0
	v_cmp_eq_u32_e64 s[4:5], v18, v0
	s_and_b64 vcc, exec, s[16:17]
	s_barrier
	s_cbranch_vccz .LBB691_349
; %bb.323:
	v_mov_b32_dpp v18, v39 row_shr:1 row_mask:0xf bank_mask:0xf
	v_cndmask_b32_e64 v18, v18, 0, s[14:15]
	v_add_u32_e32 v18, v18, v39
	s_nop 1
	v_mov_b32_dpp v19, v18 row_shr:2 row_mask:0xf bank_mask:0xf
	v_cndmask_b32_e64 v19, 0, v19, s[12:13]
	v_add_u32_e32 v18, v18, v19
	s_nop 1
	;; [unrolled: 4-line block ×4, first 2 shown]
	v_mov_b32_dpp v19, v18 row_bcast:15 row_mask:0xf bank_mask:0xf
	v_cndmask_b32_e64 v19, v19, 0, s[6:7]
	v_add_u32_e32 v18, v18, v19
	s_nop 1
	v_mov_b32_dpp v19, v18 row_bcast:31 row_mask:0xf bank_mask:0xf
	v_cndmask_b32_e64 v19, 0, v19, s[18:19]
	v_add_u32_e32 v18, v18, v19
	s_and_saveexec_b64 s[16:17], s[4:5]
	s_cbranch_execz .LBB691_325
; %bb.324:
	v_lshlrev_b32_e32 v19, 2, v38
	ds_write_b32 v19, v18
.LBB691_325:
	s_or_b64 exec, exec, s[16:17]
	v_cmp_gt_u32_e32 vcc, 8, v0
	s_waitcnt lgkmcnt(0)
	s_barrier
	s_and_saveexec_b64 s[16:17], vcc
	s_cbranch_execz .LBB691_327
; %bb.326:
	v_lshlrev_b32_e32 v19, 2, v0
	ds_read_b32 v20, v19
	v_and_b32_e32 v21, 7, v37
	v_cmp_ne_u32_e32 vcc, 0, v21
	s_waitcnt lgkmcnt(0)
	v_mov_b32_dpp v22, v20 row_shr:1 row_mask:0xf bank_mask:0xf
	v_cndmask_b32_e32 v22, 0, v22, vcc
	v_add_u32_e32 v20, v22, v20
	v_cmp_lt_u32_e32 vcc, 1, v21
	s_nop 0
	v_mov_b32_dpp v22, v20 row_shr:2 row_mask:0xf bank_mask:0xf
	v_cndmask_b32_e32 v22, 0, v22, vcc
	v_add_u32_e32 v20, v20, v22
	v_cmp_lt_u32_e32 vcc, 3, v21
	s_nop 0
	v_mov_b32_dpp v22, v20 row_shr:4 row_mask:0xf bank_mask:0xf
	v_cndmask_b32_e32 v21, 0, v22, vcc
	v_add_u32_e32 v20, v20, v21
	ds_write_b32 v19, v20
.LBB691_327:
	s_or_b64 exec, exec, s[16:17]
	v_cmp_gt_u32_e32 vcc, 64, v0
	v_cmp_lt_u32_e64 s[16:17], 63, v0
	s_waitcnt lgkmcnt(0)
	s_barrier
	s_waitcnt lgkmcnt(0)
                                        ; implicit-def: $vgpr28
	s_and_saveexec_b64 s[26:27], s[16:17]
	s_cbranch_execz .LBB691_329
; %bb.328:
	v_lshl_add_u32 v19, v38, 2, -4
	ds_read_b32 v28, v19
	s_waitcnt lgkmcnt(0)
	v_add_u32_e32 v18, v28, v18
.LBB691_329:
	s_or_b64 exec, exec, s[26:27]
	v_add_u32_e32 v19, -1, v37
	v_and_b32_e32 v20, 64, v37
	v_cmp_lt_i32_e64 s[16:17], v19, v20
	s_nop 1
	v_cndmask_b32_e64 v19, v19, v37, s[16:17]
	v_lshlrev_b32_e32 v19, 2, v19
	ds_bpermute_b32 v30, v19, v18
	v_cmp_eq_u32_e64 s[16:17], 0, v37
	s_and_saveexec_b64 s[26:27], vcc
	s_cbranch_execz .LBB691_348
; %bb.330:
	v_mov_b32_e32 v25, 0
	ds_read_b32 v18, v25 offset:28
	s_and_saveexec_b64 s[28:29], s[16:17]
	s_cbranch_execz .LBB691_332
; %bb.331:
	s_add_i32 s36, s2, 64
	s_mov_b32 s37, 0
	s_lshl_b64 s[36:37], s[36:37], 3
	s_add_u32 s36, s30, s36
	v_mov_b32_e32 v19, 1
	s_addc_u32 s37, s31, s37
	s_waitcnt lgkmcnt(0)
	global_store_dwordx2 v25, v[18:19], s[36:37] sc1
.LBB691_332:
	s_or_b64 exec, exec, s[28:29]
	v_xad_u32 v20, v37, -1, s2
	v_add_u32_e32 v24, 64, v20
	v_lshl_add_u64 v[26:27], v[24:25], 3, s[30:31]
	global_load_dwordx2 v[22:23], v[26:27], off sc1
	s_waitcnt vmcnt(0)
	v_cmp_eq_u16_sdwa s[36:37], v23, v25 src0_sel:BYTE_0 src1_sel:DWORD
	s_and_saveexec_b64 s[28:29], s[36:37]
	s_cbranch_execz .LBB691_336
; %bb.333:
	s_mov_b64 s[36:37], 0
	v_mov_b32_e32 v19, 0
.LBB691_334:                            ; =>This Inner Loop Header: Depth=1
	global_load_dwordx2 v[22:23], v[26:27], off sc1
	s_waitcnt vmcnt(0)
	v_cmp_ne_u16_sdwa s[38:39], v23, v19 src0_sel:BYTE_0 src1_sel:DWORD
	s_or_b64 s[36:37], s[38:39], s[36:37]
	s_andn2_b64 exec, exec, s[36:37]
	s_cbranch_execnz .LBB691_334
; %bb.335:
	s_or_b64 exec, exec, s[36:37]
.LBB691_336:
	s_or_b64 exec, exec, s[28:29]
	v_and_b32_e32 v32, 63, v37
	v_mov_b32_e32 v19, 2
	v_cmp_ne_u32_e32 vcc, 63, v32
	v_cmp_eq_u16_sdwa s[28:29], v23, v19 src0_sel:BYTE_0 src1_sel:DWORD
	v_lshlrev_b64 v[24:25], v37, -1
	v_addc_co_u32_e32 v27, vcc, 0, v37, vcc
	v_and_b32_e32 v21, s29, v25
	v_lshlrev_b32_e32 v34, 2, v27
	v_or_b32_e32 v21, 0x80000000, v21
	ds_bpermute_b32 v27, v34, v22
	v_and_b32_e32 v26, s28, v24
	v_ffbl_b32_e32 v21, v21
	v_add_u32_e32 v21, 32, v21
	v_ffbl_b32_e32 v26, v26
	v_min_u32_e32 v21, v26, v21
	v_cmp_lt_u32_e32 vcc, v32, v21
	v_add_u32_e32 v41, 2, v32
	v_add_u32_e32 v43, 4, v32
	s_waitcnt lgkmcnt(0)
	v_cndmask_b32_e32 v26, 0, v27, vcc
	v_cmp_gt_u32_e32 vcc, 62, v32
	v_add_u32_e32 v22, v26, v22
	v_add_u32_e32 v45, 8, v32
	v_cndmask_b32_e64 v26, 0, 1, vcc
	v_lshlrev_b32_e32 v26, 1, v26
	v_add_lshl_u32 v40, v26, v37, 2
	ds_bpermute_b32 v26, v40, v22
	v_cmp_le_u32_e32 vcc, v41, v21
	v_add_u32_e32 v48, 16, v32
	v_add_u32_e32 v50, 32, v32
	s_waitcnt lgkmcnt(0)
	v_cndmask_b32_e32 v26, 0, v26, vcc
	v_cmp_gt_u32_e32 vcc, 60, v32
	v_add_u32_e32 v22, v22, v26
	s_nop 0
	v_cndmask_b32_e64 v26, 0, 1, vcc
	v_lshlrev_b32_e32 v26, 2, v26
	v_add_lshl_u32 v42, v26, v37, 2
	ds_bpermute_b32 v26, v42, v22
	v_cmp_le_u32_e32 vcc, v43, v21
	s_waitcnt lgkmcnt(0)
	s_nop 0
	v_cndmask_b32_e32 v26, 0, v26, vcc
	v_cmp_gt_u32_e32 vcc, 56, v32
	v_add_u32_e32 v22, v22, v26
	s_nop 0
	v_cndmask_b32_e64 v26, 0, 1, vcc
	v_lshlrev_b32_e32 v26, 3, v26
	v_add_lshl_u32 v44, v26, v37, 2
	ds_bpermute_b32 v26, v44, v22
	v_cmp_le_u32_e32 vcc, v45, v21
	s_waitcnt lgkmcnt(0)
	s_nop 0
	;; [unrolled: 11-line block ×4, first 2 shown]
	v_cndmask_b32_e32 v21, 0, v26, vcc
	v_add_u32_e32 v22, v22, v21
	v_mov_b32_e32 v21, 0
	s_branch .LBB691_338
.LBB691_337:                            ;   in Loop: Header=BB691_338 Depth=1
	s_or_b64 exec, exec, s[28:29]
	v_cmp_eq_u16_sdwa s[28:29], v23, v19 src0_sel:BYTE_0 src1_sel:DWORD
	ds_bpermute_b32 v51, v34, v22
	v_subrev_u32_e32 v20, 64, v20
	v_and_b32_e32 v26, s29, v25
	v_or_b32_e32 v26, 0x80000000, v26
	v_and_b32_e32 v27, s28, v24
	v_ffbl_b32_e32 v26, v26
	v_add_u32_e32 v26, 32, v26
	v_ffbl_b32_e32 v27, v27
	v_min_u32_e32 v26, v27, v26
	v_cmp_lt_u32_e32 vcc, v32, v26
	s_waitcnt lgkmcnt(0)
	s_nop 0
	v_cndmask_b32_e32 v27, 0, v51, vcc
	v_add_u32_e32 v22, v27, v22
	ds_bpermute_b32 v27, v40, v22
	v_cmp_le_u32_e32 vcc, v41, v26
	s_waitcnt lgkmcnt(0)
	s_nop 0
	v_cndmask_b32_e32 v27, 0, v27, vcc
	v_add_u32_e32 v22, v22, v27
	ds_bpermute_b32 v27, v42, v22
	v_cmp_le_u32_e32 vcc, v43, v26
	;; [unrolled: 6-line block ×5, first 2 shown]
	s_waitcnt lgkmcnt(0)
	s_nop 0
	v_cndmask_b32_e32 v26, 0, v27, vcc
	v_add3_u32 v22, v26, v46, v22
.LBB691_338:                            ; =>This Loop Header: Depth=1
                                        ;     Child Loop BB691_341 Depth 2
	v_cmp_ne_u16_sdwa s[28:29], v23, v19 src0_sel:BYTE_0 src1_sel:DWORD
	v_mov_b32_e32 v46, v22
	s_nop 0
	v_cndmask_b32_e64 v23, 0, 1, s[28:29]
	;;#ASMSTART
	;;#ASMEND
	s_nop 0
	v_cmp_ne_u32_e32 vcc, 0, v23
	s_cmp_lg_u64 vcc, exec
	s_cbranch_scc1 .LBB691_343
; %bb.339:                              ;   in Loop: Header=BB691_338 Depth=1
	v_lshl_add_u64 v[26:27], v[20:21], 3, s[30:31]
	global_load_dwordx2 v[22:23], v[26:27], off sc1
	s_waitcnt vmcnt(0)
	v_cmp_eq_u16_sdwa s[36:37], v23, v21 src0_sel:BYTE_0 src1_sel:DWORD
	s_and_saveexec_b64 s[28:29], s[36:37]
	s_cbranch_execz .LBB691_337
; %bb.340:                              ;   in Loop: Header=BB691_338 Depth=1
	s_mov_b64 s[36:37], 0
.LBB691_341:                            ;   Parent Loop BB691_338 Depth=1
                                        ; =>  This Inner Loop Header: Depth=2
	global_load_dwordx2 v[22:23], v[26:27], off sc1
	s_waitcnt vmcnt(0)
	v_cmp_ne_u16_sdwa s[38:39], v23, v21 src0_sel:BYTE_0 src1_sel:DWORD
	s_or_b64 s[36:37], s[38:39], s[36:37]
	s_andn2_b64 exec, exec, s[36:37]
	s_cbranch_execnz .LBB691_341
; %bb.342:                              ;   in Loop: Header=BB691_338 Depth=1
	s_or_b64 exec, exec, s[36:37]
	s_branch .LBB691_337
.LBB691_343:                            ;   in Loop: Header=BB691_338 Depth=1
                                        ; implicit-def: $vgpr22
                                        ; implicit-def: $vgpr23
	s_cbranch_execz .LBB691_338
; %bb.344:
	s_and_saveexec_b64 s[28:29], s[16:17]
	s_cbranch_execz .LBB691_346
; %bb.345:
	s_add_i32 s2, s2, 64
	s_mov_b32 s3, 0
	s_lshl_b64 s[2:3], s[2:3], 3
	s_add_u32 s2, s30, s2
	v_add_u32_e32 v20, v46, v18
	v_mov_b32_e32 v21, 2
	s_addc_u32 s3, s31, s3
	v_mov_b32_e32 v19, 0
	global_store_dwordx2 v19, v[20:21], s[2:3] sc1
	s_movk_i32 s2, 0x7000
	v_add_u32_e64 v19, s2, 0
	ds_write2_b32 v19, v18, v46 offset1:2
.LBB691_346:
	s_or_b64 exec, exec, s[28:29]
	v_cmp_eq_u32_e32 vcc, 0, v0
	s_and_b64 exec, exec, vcc
	s_cbranch_execz .LBB691_348
; %bb.347:
	v_mov_b32_e32 v18, 0
	ds_write_b32 v18, v46 offset:28
.LBB691_348:
	s_or_b64 exec, exec, s[26:27]
	v_mov_b32_e32 v18, 0
	s_waitcnt lgkmcnt(0)
	s_barrier
	ds_read_b32 v18, v18 offset:28
	v_cndmask_b32_e64 v19, v30, v28, s[16:17]
	v_cmp_ne_u32_e32 vcc, 0, v0
	s_movk_i32 s2, 0x7000
	s_waitcnt lgkmcnt(0)
	v_cndmask_b32_e32 v19, 0, v19, vcc
	v_add_u32_e32 v34, v18, v19
	v_add_u32_e32 v32, v34, v1
	v_add_u32_e64 v18, s2, 0
	v_add_u32_e32 v30, v32, v29
	s_barrier
	ds_read2_b32 v[18:19], v18 offset1:2
	v_add_u32_e32 v28, v30, v31
	v_add_u32_e32 v26, v28, v33
	;; [unrolled: 1-line block ×4, first 2 shown]
	s_load_dwordx2 s[2:3], s[0:1], 0x28
	v_lshrrev_b64 v[20:21], 24, v[16:17]
	s_branch .LBB691_359
.LBB691_349:
                                        ; implicit-def: $vgpr22
                                        ; implicit-def: $vgpr24
                                        ; implicit-def: $vgpr26
                                        ; implicit-def: $vgpr28
                                        ; implicit-def: $vgpr30
                                        ; implicit-def: $vgpr32
                                        ; implicit-def: $vgpr34
                                        ; implicit-def: $vgpr19
	s_load_dwordx2 s[2:3], s[0:1], 0x28
	v_lshrrev_b64 v[20:21], 24, v[16:17]
	s_cbranch_execz .LBB691_359
; %bb.350:
	s_waitcnt lgkmcnt(0)
	v_mov_b32_dpp v18, v39 row_shr:1 row_mask:0xf bank_mask:0xf
	v_cndmask_b32_e64 v18, v18, 0, s[14:15]
	v_add_u32_e32 v18, v18, v39
	s_nop 1
	v_mov_b32_dpp v19, v18 row_shr:2 row_mask:0xf bank_mask:0xf
	v_cndmask_b32_e64 v19, 0, v19, s[12:13]
	v_add_u32_e32 v18, v18, v19
	s_nop 1
	;; [unrolled: 4-line block ×4, first 2 shown]
	v_mov_b32_dpp v19, v18 row_bcast:15 row_mask:0xf bank_mask:0xf
	v_cndmask_b32_e64 v19, v19, 0, s[6:7]
	v_add_u32_e32 v18, v18, v19
	s_nop 1
	v_mov_b32_dpp v19, v18 row_bcast:31 row_mask:0xf bank_mask:0xf
	v_cndmask_b32_e64 v19, 0, v19, s[18:19]
	v_add_u32_e32 v18, v18, v19
	s_and_saveexec_b64 s[0:1], s[4:5]
	s_cbranch_execz .LBB691_352
; %bb.351:
	v_lshlrev_b32_e32 v19, 2, v38
	ds_write_b32 v19, v18
.LBB691_352:
	s_or_b64 exec, exec, s[0:1]
	v_cmp_gt_u32_e32 vcc, 8, v0
	s_waitcnt lgkmcnt(0)
	s_barrier
	s_and_saveexec_b64 s[0:1], vcc
	s_cbranch_execz .LBB691_354
; %bb.353:
	v_lshlrev_b32_e32 v19, 2, v0
	ds_read_b32 v21, v19
	v_and_b32_e32 v22, 7, v37
	v_cmp_ne_u32_e32 vcc, 0, v22
	s_waitcnt lgkmcnt(0)
	v_mov_b32_dpp v23, v21 row_shr:1 row_mask:0xf bank_mask:0xf
	v_cndmask_b32_e32 v23, 0, v23, vcc
	v_add_u32_e32 v21, v23, v21
	v_cmp_lt_u32_e32 vcc, 1, v22
	s_nop 0
	v_mov_b32_dpp v23, v21 row_shr:2 row_mask:0xf bank_mask:0xf
	v_cndmask_b32_e32 v23, 0, v23, vcc
	v_add_u32_e32 v21, v21, v23
	v_cmp_lt_u32_e32 vcc, 3, v22
	s_nop 0
	v_mov_b32_dpp v23, v21 row_shr:4 row_mask:0xf bank_mask:0xf
	v_cndmask_b32_e32 v22, 0, v23, vcc
	v_add_u32_e32 v21, v21, v22
	ds_write_b32 v19, v21
.LBB691_354:
	s_or_b64 exec, exec, s[0:1]
	v_cmp_lt_u32_e32 vcc, 63, v0
	v_mov_b32_e32 v19, 0
	v_mov_b32_e32 v21, 0
	s_waitcnt lgkmcnt(0)
	s_barrier
	s_and_saveexec_b64 s[0:1], vcc
	s_cbranch_execz .LBB691_356
; %bb.355:
	v_lshl_add_u32 v21, v38, 2, -4
	ds_read_b32 v21, v21
.LBB691_356:
	s_or_b64 exec, exec, s[0:1]
	v_add_u32_e32 v22, -1, v37
	v_and_b32_e32 v23, 64, v37
	v_cmp_lt_i32_e32 vcc, v22, v23
	s_waitcnt lgkmcnt(0)
	v_add_u32_e32 v18, v21, v18
	v_cndmask_b32_e32 v22, v22, v37, vcc
	v_lshlrev_b32_e32 v22, 2, v22
	ds_bpermute_b32 v22, v22, v18
	ds_read_b32 v18, v19 offset:28
	v_cmp_eq_u32_e32 vcc, 0, v0
	s_and_saveexec_b64 s[0:1], vcc
	s_cbranch_execz .LBB691_358
; %bb.357:
	v_mov_b32_e32 v23, 0
	v_mov_b32_e32 v19, 2
	s_waitcnt lgkmcnt(0)
	global_store_dwordx2 v23, v[18:19], s[30:31] offset:512 sc1
.LBB691_358:
	s_or_b64 exec, exec, s[0:1]
	v_cmp_eq_u32_e64 s[0:1], 0, v37
	v_mov_b32_e32 v19, 0
	s_waitcnt lgkmcnt(0)
	v_cndmask_b32_e64 v21, v22, v21, s[0:1]
	v_cndmask_b32_e64 v34, v21, 0, vcc
	v_add_u32_e32 v32, v34, v1
	v_add_u32_e32 v30, v32, v29
	;; [unrolled: 1-line block ×6, first 2 shown]
	s_barrier
.LBB691_359:
	s_movk_i32 s0, 0x201
	s_waitcnt lgkmcnt(0)
	v_cmp_gt_u32_e32 vcc, s0, v18
	v_lshrrev_b32_e32 v21, 8, v16
	v_lshrrev_b32_e32 v1, 8, v17
	s_mov_b64 s[0:1], -1
	s_cbranch_vccnz .LBB691_363
; %bb.360:
	s_and_b64 vcc, exec, s[0:1]
	s_cbranch_vccnz .LBB691_385
.LBB691_361:
	v_cmp_eq_u32_e32 vcc, 0, v0
	s_and_b64 s[0:1], vcc, s[24:25]
	s_and_saveexec_b64 s[2:3], s[0:1]
	s_cbranch_execnz .LBB691_403
.LBB691_362:
	s_endpgm
.LBB691_363:
	v_add_u32_e32 v23, v19, v18
	v_cmp_lt_u32_e32 vcc, v34, v23
	s_or_b64 s[4:5], s[34:35], vcc
	s_and_saveexec_b64 s[0:1], s[4:5]
	s_cbranch_execz .LBB691_366
; %bb.364:
	v_and_b32_e32 v25, 1, v16
	v_cmp_eq_u32_e32 vcc, 1, v25
	s_and_b64 exec, exec, vcc
	s_cbranch_execz .LBB691_366
; %bb.365:
	s_lshl_b64 s[4:5], s[22:23], 3
	s_add_u32 s4, s2, s4
	s_addc_u32 s5, s3, s5
	v_mov_b32_e32 v35, 0
	v_lshl_add_u64 v[36:37], v[34:35], 3, s[4:5]
	global_store_dwordx2 v[36:37], v[10:11], off
.LBB691_366:
	s_or_b64 exec, exec, s[0:1]
	v_cmp_lt_u32_e32 vcc, v32, v23
	s_or_b64 s[4:5], s[34:35], vcc
	s_and_saveexec_b64 s[0:1], s[4:5]
	s_cbranch_execz .LBB691_369
; %bb.367:
	v_and_b32_e32 v25, 1, v21
	v_cmp_eq_u32_e32 vcc, 1, v25
	s_and_b64 exec, exec, vcc
	s_cbranch_execz .LBB691_369
; %bb.368:
	s_lshl_b64 s[4:5], s[22:23], 3
	s_add_u32 s4, s2, s4
	s_addc_u32 s5, s3, s5
	v_mov_b32_e32 v33, 0
	v_lshl_add_u64 v[36:37], v[32:33], 3, s[4:5]
	global_store_dwordx2 v[36:37], v[12:13], off
.LBB691_369:
	s_or_b64 exec, exec, s[0:1]
	v_cmp_lt_u32_e32 vcc, v30, v23
	s_or_b64 s[4:5], s[34:35], vcc
	s_and_saveexec_b64 s[0:1], s[4:5]
	s_cbranch_execz .LBB691_372
; %bb.370:
	v_mov_b32_e32 v25, 1
	v_and_b32_sdwa v25, v25, v16 dst_sel:DWORD dst_unused:UNUSED_PAD src0_sel:DWORD src1_sel:WORD_1
	v_cmp_eq_u32_e32 vcc, 1, v25
	s_and_b64 exec, exec, vcc
	s_cbranch_execz .LBB691_372
; %bb.371:
	s_lshl_b64 s[4:5], s[22:23], 3
	s_add_u32 s4, s2, s4
	s_addc_u32 s5, s3, s5
	v_mov_b32_e32 v31, 0
	v_lshl_add_u64 v[36:37], v[30:31], 3, s[4:5]
	global_store_dwordx2 v[36:37], v[6:7], off
.LBB691_372:
	s_or_b64 exec, exec, s[0:1]
	v_cmp_lt_u32_e32 vcc, v28, v23
	s_or_b64 s[4:5], s[34:35], vcc
	s_and_saveexec_b64 s[0:1], s[4:5]
	s_cbranch_execz .LBB691_375
; %bb.373:
	v_and_b32_e32 v25, 1, v20
	v_cmp_eq_u32_e32 vcc, 1, v25
	s_and_b64 exec, exec, vcc
	s_cbranch_execz .LBB691_375
; %bb.374:
	s_lshl_b64 s[4:5], s[22:23], 3
	s_add_u32 s4, s2, s4
	s_addc_u32 s5, s3, s5
	v_mov_b32_e32 v29, 0
	v_lshl_add_u64 v[36:37], v[28:29], 3, s[4:5]
	global_store_dwordx2 v[36:37], v[8:9], off
.LBB691_375:
	s_or_b64 exec, exec, s[0:1]
	v_cmp_lt_u32_e32 vcc, v26, v23
	s_or_b64 s[4:5], s[34:35], vcc
	s_and_saveexec_b64 s[0:1], s[4:5]
	s_cbranch_execz .LBB691_378
; %bb.376:
	v_and_b32_e32 v25, 1, v17
	v_cmp_eq_u32_e32 vcc, 1, v25
	s_and_b64 exec, exec, vcc
	s_cbranch_execz .LBB691_378
; %bb.377:
	s_lshl_b64 s[4:5], s[22:23], 3
	s_add_u32 s4, s2, s4
	s_addc_u32 s5, s3, s5
	v_mov_b32_e32 v27, 0
	v_lshl_add_u64 v[36:37], v[26:27], 3, s[4:5]
	global_store_dwordx2 v[36:37], v[2:3], off
.LBB691_378:
	;; [unrolled: 18-line block ×3, first 2 shown]
	s_or_b64 exec, exec, s[0:1]
	v_cmp_lt_u32_e32 vcc, v22, v23
	s_or_b64 s[4:5], s[34:35], vcc
	s_and_saveexec_b64 s[0:1], s[4:5]
	s_cbranch_execz .LBB691_384
; %bb.382:
	v_mov_b32_e32 v23, 1
	v_and_b32_sdwa v23, v23, v17 dst_sel:DWORD dst_unused:UNUSED_PAD src0_sel:DWORD src1_sel:WORD_1
	v_cmp_eq_u32_e32 vcc, 1, v23
	s_and_b64 exec, exec, vcc
	s_cbranch_execz .LBB691_384
; %bb.383:
	s_lshl_b64 s[4:5], s[22:23], 3
	s_add_u32 s4, s2, s4
	s_addc_u32 s5, s3, s5
	v_mov_b32_e32 v23, 0
	v_lshl_add_u64 v[36:37], v[22:23], 3, s[4:5]
	global_store_dwordx2 v[36:37], v[14:15], off
.LBB691_384:
	s_or_b64 exec, exec, s[0:1]
	s_branch .LBB691_361
.LBB691_385:
	v_and_b32_e32 v23, 1, v16
	v_cmp_eq_u32_e32 vcc, 1, v23
	s_and_saveexec_b64 s[0:1], vcc
	s_cbranch_execz .LBB691_387
; %bb.386:
	v_sub_u32_e32 v23, v34, v19
	v_lshlrev_b32_e32 v23, 3, v23
	ds_write_b64 v23, v[10:11]
.LBB691_387:
	s_or_b64 exec, exec, s[0:1]
	v_and_b32_e32 v10, 1, v21
	v_cmp_eq_u32_e32 vcc, 1, v10
	s_and_saveexec_b64 s[0:1], vcc
	s_cbranch_execz .LBB691_389
; %bb.388:
	v_sub_u32_e32 v10, v32, v19
	v_lshlrev_b32_e32 v10, 3, v10
	ds_write_b64 v10, v[12:13]
.LBB691_389:
	s_or_b64 exec, exec, s[0:1]
	v_mov_b32_e32 v10, 1
	v_and_b32_sdwa v10, v10, v16 dst_sel:DWORD dst_unused:UNUSED_PAD src0_sel:DWORD src1_sel:WORD_1
	v_cmp_eq_u32_e32 vcc, 1, v10
	s_and_saveexec_b64 s[0:1], vcc
	s_cbranch_execz .LBB691_391
; %bb.390:
	v_sub_u32_e32 v10, v30, v19
	v_lshlrev_b32_e32 v10, 3, v10
	ds_write_b64 v10, v[6:7]
.LBB691_391:
	s_or_b64 exec, exec, s[0:1]
	v_and_b32_e32 v6, 1, v20
	v_cmp_eq_u32_e32 vcc, 1, v6
	s_and_saveexec_b64 s[0:1], vcc
	s_cbranch_execz .LBB691_393
; %bb.392:
	v_sub_u32_e32 v6, v28, v19
	v_lshlrev_b32_e32 v6, 3, v6
	ds_write_b64 v6, v[8:9]
.LBB691_393:
	s_or_b64 exec, exec, s[0:1]
	v_and_b32_e32 v6, 1, v17
	;; [unrolled: 10-line block ×3, first 2 shown]
	v_cmp_eq_u32_e32 vcc, 1, v1
	s_and_saveexec_b64 s[0:1], vcc
	s_cbranch_execz .LBB691_397
; %bb.396:
	v_sub_u32_e32 v1, v24, v19
	v_lshlrev_b32_e32 v1, 3, v1
	ds_write_b64 v1, v[4:5]
.LBB691_397:
	s_or_b64 exec, exec, s[0:1]
	v_mov_b32_e32 v1, 1
	v_and_b32_sdwa v1, v1, v17 dst_sel:DWORD dst_unused:UNUSED_PAD src0_sel:DWORD src1_sel:WORD_1
	v_cmp_eq_u32_e32 vcc, 1, v1
	s_and_saveexec_b64 s[0:1], vcc
	s_cbranch_execz .LBB691_399
; %bb.398:
	v_sub_u32_e32 v1, v22, v19
	v_lshlrev_b32_e32 v1, 3, v1
	ds_write_b64 v1, v[14:15]
.LBB691_399:
	s_or_b64 exec, exec, s[0:1]
	v_cmp_lt_u32_e32 vcc, v0, v18
	s_waitcnt lgkmcnt(0)
	s_barrier
	s_and_saveexec_b64 s[0:1], vcc
	s_cbranch_execz .LBB691_402
; %bb.400:
	v_mov_b32_e32 v5, 0
	v_mov_b32_e32 v4, v19
	s_lshl_b64 s[4:5], s[22:23], 3
	v_lshlrev_b64 v[6:7], 3, v[4:5]
	v_lshl_add_u64 v[6:7], s[4:5], 0, v[6:7]
	v_lshlrev_b32_e32 v2, 3, v0
	v_mov_b32_e32 v3, v5
	v_lshl_add_u64 v[4:5], s[2:3], 0, v[6:7]
	v_lshl_add_u64 v[4:5], v[4:5], 0, v[2:3]
	s_mov_b64 s[2:3], 0
	s_mov_b64 s[4:5], 0x1000
	v_mov_b32_e32 v1, v0
.LBB691_401:                            ; =>This Inner Loop Header: Depth=1
	ds_read_b64 v[6:7], v2
	v_add_u32_e32 v1, 0x200, v1
	v_cmp_ge_u32_e32 vcc, v1, v18
	v_add_u32_e32 v2, 0x1000, v2
	s_or_b64 s[2:3], vcc, s[2:3]
	s_waitcnt lgkmcnt(0)
	global_store_dwordx2 v[4:5], v[6:7], off
	v_lshl_add_u64 v[4:5], v[4:5], 0, s[4:5]
	s_andn2_b64 exec, exec, s[2:3]
	s_cbranch_execnz .LBB691_401
.LBB691_402:
	s_or_b64 exec, exec, s[0:1]
	v_cmp_eq_u32_e32 vcc, 0, v0
	s_and_b64 s[0:1], vcc, s[24:25]
	s_and_saveexec_b64 s[2:3], s[0:1]
	s_cbranch_execz .LBB691_362
.LBB691_403:
	v_mov_b32_e32 v1, 0
	v_mov_b32_e32 v0, v18
	v_lshl_add_u64 v[2:3], s[22:23], 0, v[0:1]
	v_mov_b32_e32 v0, v19
	v_lshl_add_u64 v[2:3], v[2:3], 0, v[0:1]
	global_store_dwordx2 v1, v[2:3], s[20:21]
	s_endpgm
	.section	.rodata,"a",@progbits
	.p2align	6, 0x0
	.amdhsa_kernel _ZN7rocprim17ROCPRIM_400000_NS6detail17trampoline_kernelINS0_14default_configENS1_25partition_config_selectorILNS1_17partition_subalgoE8ElNS0_10empty_typeEbEEZZNS1_14partition_implILS5_8ELb0ES3_jPlPS6_PKS6_NS0_5tupleIJS9_S6_EEENSD_IJSA_SA_EEENS0_18inequality_wrapperIZN2at6native12_GLOBAL__N_124unique_dim_cuda_templateIsEESt5tupleIJNSH_6TensorESM_SM_EERKSM_lbbbEUlllE0_EEPmJS6_EEE10hipError_tPvRmT3_T4_T5_T6_T7_T9_mT8_P12ihipStream_tbDpT10_ENKUlT_T0_E_clISt17integral_constantIbLb0EES1C_EEDaS17_S18_EUlS17_E_NS1_11comp_targetILNS1_3genE5ELNS1_11target_archE942ELNS1_3gpuE9ELNS1_3repE0EEENS1_30default_config_static_selectorELNS0_4arch9wavefront6targetE1EEEvT1_
		.amdhsa_group_segment_fixed_size 28684
		.amdhsa_private_segment_fixed_size 0
		.amdhsa_kernarg_size 120
		.amdhsa_user_sgpr_count 2
		.amdhsa_user_sgpr_dispatch_ptr 0
		.amdhsa_user_sgpr_queue_ptr 0
		.amdhsa_user_sgpr_kernarg_segment_ptr 1
		.amdhsa_user_sgpr_dispatch_id 0
		.amdhsa_user_sgpr_kernarg_preload_length 0
		.amdhsa_user_sgpr_kernarg_preload_offset 0
		.amdhsa_user_sgpr_private_segment_size 0
		.amdhsa_uses_dynamic_stack 0
		.amdhsa_enable_private_segment 0
		.amdhsa_system_sgpr_workgroup_id_x 1
		.amdhsa_system_sgpr_workgroup_id_y 0
		.amdhsa_system_sgpr_workgroup_id_z 0
		.amdhsa_system_sgpr_workgroup_info 0
		.amdhsa_system_vgpr_workitem_id 0
		.amdhsa_next_free_vgpr 52
		.amdhsa_next_free_sgpr 52
		.amdhsa_accum_offset 52
		.amdhsa_reserve_vcc 1
		.amdhsa_float_round_mode_32 0
		.amdhsa_float_round_mode_16_64 0
		.amdhsa_float_denorm_mode_32 3
		.amdhsa_float_denorm_mode_16_64 3
		.amdhsa_dx10_clamp 1
		.amdhsa_ieee_mode 1
		.amdhsa_fp16_overflow 0
		.amdhsa_tg_split 0
		.amdhsa_exception_fp_ieee_invalid_op 0
		.amdhsa_exception_fp_denorm_src 0
		.amdhsa_exception_fp_ieee_div_zero 0
		.amdhsa_exception_fp_ieee_overflow 0
		.amdhsa_exception_fp_ieee_underflow 0
		.amdhsa_exception_fp_ieee_inexact 0
		.amdhsa_exception_int_div_zero 0
	.end_amdhsa_kernel
	.section	.text._ZN7rocprim17ROCPRIM_400000_NS6detail17trampoline_kernelINS0_14default_configENS1_25partition_config_selectorILNS1_17partition_subalgoE8ElNS0_10empty_typeEbEEZZNS1_14partition_implILS5_8ELb0ES3_jPlPS6_PKS6_NS0_5tupleIJS9_S6_EEENSD_IJSA_SA_EEENS0_18inequality_wrapperIZN2at6native12_GLOBAL__N_124unique_dim_cuda_templateIsEESt5tupleIJNSH_6TensorESM_SM_EERKSM_lbbbEUlllE0_EEPmJS6_EEE10hipError_tPvRmT3_T4_T5_T6_T7_T9_mT8_P12ihipStream_tbDpT10_ENKUlT_T0_E_clISt17integral_constantIbLb0EES1C_EEDaS17_S18_EUlS17_E_NS1_11comp_targetILNS1_3genE5ELNS1_11target_archE942ELNS1_3gpuE9ELNS1_3repE0EEENS1_30default_config_static_selectorELNS0_4arch9wavefront6targetE1EEEvT1_,"axG",@progbits,_ZN7rocprim17ROCPRIM_400000_NS6detail17trampoline_kernelINS0_14default_configENS1_25partition_config_selectorILNS1_17partition_subalgoE8ElNS0_10empty_typeEbEEZZNS1_14partition_implILS5_8ELb0ES3_jPlPS6_PKS6_NS0_5tupleIJS9_S6_EEENSD_IJSA_SA_EEENS0_18inequality_wrapperIZN2at6native12_GLOBAL__N_124unique_dim_cuda_templateIsEESt5tupleIJNSH_6TensorESM_SM_EERKSM_lbbbEUlllE0_EEPmJS6_EEE10hipError_tPvRmT3_T4_T5_T6_T7_T9_mT8_P12ihipStream_tbDpT10_ENKUlT_T0_E_clISt17integral_constantIbLb0EES1C_EEDaS17_S18_EUlS17_E_NS1_11comp_targetILNS1_3genE5ELNS1_11target_archE942ELNS1_3gpuE9ELNS1_3repE0EEENS1_30default_config_static_selectorELNS0_4arch9wavefront6targetE1EEEvT1_,comdat
.Lfunc_end691:
	.size	_ZN7rocprim17ROCPRIM_400000_NS6detail17trampoline_kernelINS0_14default_configENS1_25partition_config_selectorILNS1_17partition_subalgoE8ElNS0_10empty_typeEbEEZZNS1_14partition_implILS5_8ELb0ES3_jPlPS6_PKS6_NS0_5tupleIJS9_S6_EEENSD_IJSA_SA_EEENS0_18inequality_wrapperIZN2at6native12_GLOBAL__N_124unique_dim_cuda_templateIsEESt5tupleIJNSH_6TensorESM_SM_EERKSM_lbbbEUlllE0_EEPmJS6_EEE10hipError_tPvRmT3_T4_T5_T6_T7_T9_mT8_P12ihipStream_tbDpT10_ENKUlT_T0_E_clISt17integral_constantIbLb0EES1C_EEDaS17_S18_EUlS17_E_NS1_11comp_targetILNS1_3genE5ELNS1_11target_archE942ELNS1_3gpuE9ELNS1_3repE0EEENS1_30default_config_static_selectorELNS0_4arch9wavefront6targetE1EEEvT1_, .Lfunc_end691-_ZN7rocprim17ROCPRIM_400000_NS6detail17trampoline_kernelINS0_14default_configENS1_25partition_config_selectorILNS1_17partition_subalgoE8ElNS0_10empty_typeEbEEZZNS1_14partition_implILS5_8ELb0ES3_jPlPS6_PKS6_NS0_5tupleIJS9_S6_EEENSD_IJSA_SA_EEENS0_18inequality_wrapperIZN2at6native12_GLOBAL__N_124unique_dim_cuda_templateIsEESt5tupleIJNSH_6TensorESM_SM_EERKSM_lbbbEUlllE0_EEPmJS6_EEE10hipError_tPvRmT3_T4_T5_T6_T7_T9_mT8_P12ihipStream_tbDpT10_ENKUlT_T0_E_clISt17integral_constantIbLb0EES1C_EEDaS17_S18_EUlS17_E_NS1_11comp_targetILNS1_3genE5ELNS1_11target_archE942ELNS1_3gpuE9ELNS1_3repE0EEENS1_30default_config_static_selectorELNS0_4arch9wavefront6targetE1EEEvT1_
                                        ; -- End function
	.section	.AMDGPU.csdata,"",@progbits
; Kernel info:
; codeLenInByte = 12836
; NumSgprs: 58
; NumVgprs: 52
; NumAgprs: 0
; TotalNumVgprs: 52
; ScratchSize: 0
; MemoryBound: 0
; FloatMode: 240
; IeeeMode: 1
; LDSByteSize: 28684 bytes/workgroup (compile time only)
; SGPRBlocks: 7
; VGPRBlocks: 6
; NumSGPRsForWavesPerEU: 58
; NumVGPRsForWavesPerEU: 52
; AccumOffset: 52
; Occupancy: 4
; WaveLimiterHint : 1
; COMPUTE_PGM_RSRC2:SCRATCH_EN: 0
; COMPUTE_PGM_RSRC2:USER_SGPR: 2
; COMPUTE_PGM_RSRC2:TRAP_HANDLER: 0
; COMPUTE_PGM_RSRC2:TGID_X_EN: 1
; COMPUTE_PGM_RSRC2:TGID_Y_EN: 0
; COMPUTE_PGM_RSRC2:TGID_Z_EN: 0
; COMPUTE_PGM_RSRC2:TIDIG_COMP_CNT: 0
; COMPUTE_PGM_RSRC3_GFX90A:ACCUM_OFFSET: 12
; COMPUTE_PGM_RSRC3_GFX90A:TG_SPLIT: 0
	.section	.text._ZN7rocprim17ROCPRIM_400000_NS6detail17trampoline_kernelINS0_14default_configENS1_25partition_config_selectorILNS1_17partition_subalgoE8ElNS0_10empty_typeEbEEZZNS1_14partition_implILS5_8ELb0ES3_jPlPS6_PKS6_NS0_5tupleIJS9_S6_EEENSD_IJSA_SA_EEENS0_18inequality_wrapperIZN2at6native12_GLOBAL__N_124unique_dim_cuda_templateIsEESt5tupleIJNSH_6TensorESM_SM_EERKSM_lbbbEUlllE0_EEPmJS6_EEE10hipError_tPvRmT3_T4_T5_T6_T7_T9_mT8_P12ihipStream_tbDpT10_ENKUlT_T0_E_clISt17integral_constantIbLb0EES1C_EEDaS17_S18_EUlS17_E_NS1_11comp_targetILNS1_3genE4ELNS1_11target_archE910ELNS1_3gpuE8ELNS1_3repE0EEENS1_30default_config_static_selectorELNS0_4arch9wavefront6targetE1EEEvT1_,"axG",@progbits,_ZN7rocprim17ROCPRIM_400000_NS6detail17trampoline_kernelINS0_14default_configENS1_25partition_config_selectorILNS1_17partition_subalgoE8ElNS0_10empty_typeEbEEZZNS1_14partition_implILS5_8ELb0ES3_jPlPS6_PKS6_NS0_5tupleIJS9_S6_EEENSD_IJSA_SA_EEENS0_18inequality_wrapperIZN2at6native12_GLOBAL__N_124unique_dim_cuda_templateIsEESt5tupleIJNSH_6TensorESM_SM_EERKSM_lbbbEUlllE0_EEPmJS6_EEE10hipError_tPvRmT3_T4_T5_T6_T7_T9_mT8_P12ihipStream_tbDpT10_ENKUlT_T0_E_clISt17integral_constantIbLb0EES1C_EEDaS17_S18_EUlS17_E_NS1_11comp_targetILNS1_3genE4ELNS1_11target_archE910ELNS1_3gpuE8ELNS1_3repE0EEENS1_30default_config_static_selectorELNS0_4arch9wavefront6targetE1EEEvT1_,comdat
	.globl	_ZN7rocprim17ROCPRIM_400000_NS6detail17trampoline_kernelINS0_14default_configENS1_25partition_config_selectorILNS1_17partition_subalgoE8ElNS0_10empty_typeEbEEZZNS1_14partition_implILS5_8ELb0ES3_jPlPS6_PKS6_NS0_5tupleIJS9_S6_EEENSD_IJSA_SA_EEENS0_18inequality_wrapperIZN2at6native12_GLOBAL__N_124unique_dim_cuda_templateIsEESt5tupleIJNSH_6TensorESM_SM_EERKSM_lbbbEUlllE0_EEPmJS6_EEE10hipError_tPvRmT3_T4_T5_T6_T7_T9_mT8_P12ihipStream_tbDpT10_ENKUlT_T0_E_clISt17integral_constantIbLb0EES1C_EEDaS17_S18_EUlS17_E_NS1_11comp_targetILNS1_3genE4ELNS1_11target_archE910ELNS1_3gpuE8ELNS1_3repE0EEENS1_30default_config_static_selectorELNS0_4arch9wavefront6targetE1EEEvT1_ ; -- Begin function _ZN7rocprim17ROCPRIM_400000_NS6detail17trampoline_kernelINS0_14default_configENS1_25partition_config_selectorILNS1_17partition_subalgoE8ElNS0_10empty_typeEbEEZZNS1_14partition_implILS5_8ELb0ES3_jPlPS6_PKS6_NS0_5tupleIJS9_S6_EEENSD_IJSA_SA_EEENS0_18inequality_wrapperIZN2at6native12_GLOBAL__N_124unique_dim_cuda_templateIsEESt5tupleIJNSH_6TensorESM_SM_EERKSM_lbbbEUlllE0_EEPmJS6_EEE10hipError_tPvRmT3_T4_T5_T6_T7_T9_mT8_P12ihipStream_tbDpT10_ENKUlT_T0_E_clISt17integral_constantIbLb0EES1C_EEDaS17_S18_EUlS17_E_NS1_11comp_targetILNS1_3genE4ELNS1_11target_archE910ELNS1_3gpuE8ELNS1_3repE0EEENS1_30default_config_static_selectorELNS0_4arch9wavefront6targetE1EEEvT1_
	.p2align	8
	.type	_ZN7rocprim17ROCPRIM_400000_NS6detail17trampoline_kernelINS0_14default_configENS1_25partition_config_selectorILNS1_17partition_subalgoE8ElNS0_10empty_typeEbEEZZNS1_14partition_implILS5_8ELb0ES3_jPlPS6_PKS6_NS0_5tupleIJS9_S6_EEENSD_IJSA_SA_EEENS0_18inequality_wrapperIZN2at6native12_GLOBAL__N_124unique_dim_cuda_templateIsEESt5tupleIJNSH_6TensorESM_SM_EERKSM_lbbbEUlllE0_EEPmJS6_EEE10hipError_tPvRmT3_T4_T5_T6_T7_T9_mT8_P12ihipStream_tbDpT10_ENKUlT_T0_E_clISt17integral_constantIbLb0EES1C_EEDaS17_S18_EUlS17_E_NS1_11comp_targetILNS1_3genE4ELNS1_11target_archE910ELNS1_3gpuE8ELNS1_3repE0EEENS1_30default_config_static_selectorELNS0_4arch9wavefront6targetE1EEEvT1_,@function
_ZN7rocprim17ROCPRIM_400000_NS6detail17trampoline_kernelINS0_14default_configENS1_25partition_config_selectorILNS1_17partition_subalgoE8ElNS0_10empty_typeEbEEZZNS1_14partition_implILS5_8ELb0ES3_jPlPS6_PKS6_NS0_5tupleIJS9_S6_EEENSD_IJSA_SA_EEENS0_18inequality_wrapperIZN2at6native12_GLOBAL__N_124unique_dim_cuda_templateIsEESt5tupleIJNSH_6TensorESM_SM_EERKSM_lbbbEUlllE0_EEPmJS6_EEE10hipError_tPvRmT3_T4_T5_T6_T7_T9_mT8_P12ihipStream_tbDpT10_ENKUlT_T0_E_clISt17integral_constantIbLb0EES1C_EEDaS17_S18_EUlS17_E_NS1_11comp_targetILNS1_3genE4ELNS1_11target_archE910ELNS1_3gpuE8ELNS1_3repE0EEENS1_30default_config_static_selectorELNS0_4arch9wavefront6targetE1EEEvT1_: ; @_ZN7rocprim17ROCPRIM_400000_NS6detail17trampoline_kernelINS0_14default_configENS1_25partition_config_selectorILNS1_17partition_subalgoE8ElNS0_10empty_typeEbEEZZNS1_14partition_implILS5_8ELb0ES3_jPlPS6_PKS6_NS0_5tupleIJS9_S6_EEENSD_IJSA_SA_EEENS0_18inequality_wrapperIZN2at6native12_GLOBAL__N_124unique_dim_cuda_templateIsEESt5tupleIJNSH_6TensorESM_SM_EERKSM_lbbbEUlllE0_EEPmJS6_EEE10hipError_tPvRmT3_T4_T5_T6_T7_T9_mT8_P12ihipStream_tbDpT10_ENKUlT_T0_E_clISt17integral_constantIbLb0EES1C_EEDaS17_S18_EUlS17_E_NS1_11comp_targetILNS1_3genE4ELNS1_11target_archE910ELNS1_3gpuE8ELNS1_3repE0EEENS1_30default_config_static_selectorELNS0_4arch9wavefront6targetE1EEEvT1_
; %bb.0:
	.section	.rodata,"a",@progbits
	.p2align	6, 0x0
	.amdhsa_kernel _ZN7rocprim17ROCPRIM_400000_NS6detail17trampoline_kernelINS0_14default_configENS1_25partition_config_selectorILNS1_17partition_subalgoE8ElNS0_10empty_typeEbEEZZNS1_14partition_implILS5_8ELb0ES3_jPlPS6_PKS6_NS0_5tupleIJS9_S6_EEENSD_IJSA_SA_EEENS0_18inequality_wrapperIZN2at6native12_GLOBAL__N_124unique_dim_cuda_templateIsEESt5tupleIJNSH_6TensorESM_SM_EERKSM_lbbbEUlllE0_EEPmJS6_EEE10hipError_tPvRmT3_T4_T5_T6_T7_T9_mT8_P12ihipStream_tbDpT10_ENKUlT_T0_E_clISt17integral_constantIbLb0EES1C_EEDaS17_S18_EUlS17_E_NS1_11comp_targetILNS1_3genE4ELNS1_11target_archE910ELNS1_3gpuE8ELNS1_3repE0EEENS1_30default_config_static_selectorELNS0_4arch9wavefront6targetE1EEEvT1_
		.amdhsa_group_segment_fixed_size 0
		.amdhsa_private_segment_fixed_size 0
		.amdhsa_kernarg_size 120
		.amdhsa_user_sgpr_count 2
		.amdhsa_user_sgpr_dispatch_ptr 0
		.amdhsa_user_sgpr_queue_ptr 0
		.amdhsa_user_sgpr_kernarg_segment_ptr 1
		.amdhsa_user_sgpr_dispatch_id 0
		.amdhsa_user_sgpr_kernarg_preload_length 0
		.amdhsa_user_sgpr_kernarg_preload_offset 0
		.amdhsa_user_sgpr_private_segment_size 0
		.amdhsa_uses_dynamic_stack 0
		.amdhsa_enable_private_segment 0
		.amdhsa_system_sgpr_workgroup_id_x 1
		.amdhsa_system_sgpr_workgroup_id_y 0
		.amdhsa_system_sgpr_workgroup_id_z 0
		.amdhsa_system_sgpr_workgroup_info 0
		.amdhsa_system_vgpr_workitem_id 0
		.amdhsa_next_free_vgpr 1
		.amdhsa_next_free_sgpr 0
		.amdhsa_accum_offset 4
		.amdhsa_reserve_vcc 0
		.amdhsa_float_round_mode_32 0
		.amdhsa_float_round_mode_16_64 0
		.amdhsa_float_denorm_mode_32 3
		.amdhsa_float_denorm_mode_16_64 3
		.amdhsa_dx10_clamp 1
		.amdhsa_ieee_mode 1
		.amdhsa_fp16_overflow 0
		.amdhsa_tg_split 0
		.amdhsa_exception_fp_ieee_invalid_op 0
		.amdhsa_exception_fp_denorm_src 0
		.amdhsa_exception_fp_ieee_div_zero 0
		.amdhsa_exception_fp_ieee_overflow 0
		.amdhsa_exception_fp_ieee_underflow 0
		.amdhsa_exception_fp_ieee_inexact 0
		.amdhsa_exception_int_div_zero 0
	.end_amdhsa_kernel
	.section	.text._ZN7rocprim17ROCPRIM_400000_NS6detail17trampoline_kernelINS0_14default_configENS1_25partition_config_selectorILNS1_17partition_subalgoE8ElNS0_10empty_typeEbEEZZNS1_14partition_implILS5_8ELb0ES3_jPlPS6_PKS6_NS0_5tupleIJS9_S6_EEENSD_IJSA_SA_EEENS0_18inequality_wrapperIZN2at6native12_GLOBAL__N_124unique_dim_cuda_templateIsEESt5tupleIJNSH_6TensorESM_SM_EERKSM_lbbbEUlllE0_EEPmJS6_EEE10hipError_tPvRmT3_T4_T5_T6_T7_T9_mT8_P12ihipStream_tbDpT10_ENKUlT_T0_E_clISt17integral_constantIbLb0EES1C_EEDaS17_S18_EUlS17_E_NS1_11comp_targetILNS1_3genE4ELNS1_11target_archE910ELNS1_3gpuE8ELNS1_3repE0EEENS1_30default_config_static_selectorELNS0_4arch9wavefront6targetE1EEEvT1_,"axG",@progbits,_ZN7rocprim17ROCPRIM_400000_NS6detail17trampoline_kernelINS0_14default_configENS1_25partition_config_selectorILNS1_17partition_subalgoE8ElNS0_10empty_typeEbEEZZNS1_14partition_implILS5_8ELb0ES3_jPlPS6_PKS6_NS0_5tupleIJS9_S6_EEENSD_IJSA_SA_EEENS0_18inequality_wrapperIZN2at6native12_GLOBAL__N_124unique_dim_cuda_templateIsEESt5tupleIJNSH_6TensorESM_SM_EERKSM_lbbbEUlllE0_EEPmJS6_EEE10hipError_tPvRmT3_T4_T5_T6_T7_T9_mT8_P12ihipStream_tbDpT10_ENKUlT_T0_E_clISt17integral_constantIbLb0EES1C_EEDaS17_S18_EUlS17_E_NS1_11comp_targetILNS1_3genE4ELNS1_11target_archE910ELNS1_3gpuE8ELNS1_3repE0EEENS1_30default_config_static_selectorELNS0_4arch9wavefront6targetE1EEEvT1_,comdat
.Lfunc_end692:
	.size	_ZN7rocprim17ROCPRIM_400000_NS6detail17trampoline_kernelINS0_14default_configENS1_25partition_config_selectorILNS1_17partition_subalgoE8ElNS0_10empty_typeEbEEZZNS1_14partition_implILS5_8ELb0ES3_jPlPS6_PKS6_NS0_5tupleIJS9_S6_EEENSD_IJSA_SA_EEENS0_18inequality_wrapperIZN2at6native12_GLOBAL__N_124unique_dim_cuda_templateIsEESt5tupleIJNSH_6TensorESM_SM_EERKSM_lbbbEUlllE0_EEPmJS6_EEE10hipError_tPvRmT3_T4_T5_T6_T7_T9_mT8_P12ihipStream_tbDpT10_ENKUlT_T0_E_clISt17integral_constantIbLb0EES1C_EEDaS17_S18_EUlS17_E_NS1_11comp_targetILNS1_3genE4ELNS1_11target_archE910ELNS1_3gpuE8ELNS1_3repE0EEENS1_30default_config_static_selectorELNS0_4arch9wavefront6targetE1EEEvT1_, .Lfunc_end692-_ZN7rocprim17ROCPRIM_400000_NS6detail17trampoline_kernelINS0_14default_configENS1_25partition_config_selectorILNS1_17partition_subalgoE8ElNS0_10empty_typeEbEEZZNS1_14partition_implILS5_8ELb0ES3_jPlPS6_PKS6_NS0_5tupleIJS9_S6_EEENSD_IJSA_SA_EEENS0_18inequality_wrapperIZN2at6native12_GLOBAL__N_124unique_dim_cuda_templateIsEESt5tupleIJNSH_6TensorESM_SM_EERKSM_lbbbEUlllE0_EEPmJS6_EEE10hipError_tPvRmT3_T4_T5_T6_T7_T9_mT8_P12ihipStream_tbDpT10_ENKUlT_T0_E_clISt17integral_constantIbLb0EES1C_EEDaS17_S18_EUlS17_E_NS1_11comp_targetILNS1_3genE4ELNS1_11target_archE910ELNS1_3gpuE8ELNS1_3repE0EEENS1_30default_config_static_selectorELNS0_4arch9wavefront6targetE1EEEvT1_
                                        ; -- End function
	.section	.AMDGPU.csdata,"",@progbits
; Kernel info:
; codeLenInByte = 0
; NumSgprs: 6
; NumVgprs: 0
; NumAgprs: 0
; TotalNumVgprs: 0
; ScratchSize: 0
; MemoryBound: 0
; FloatMode: 240
; IeeeMode: 1
; LDSByteSize: 0 bytes/workgroup (compile time only)
; SGPRBlocks: 0
; VGPRBlocks: 0
; NumSGPRsForWavesPerEU: 6
; NumVGPRsForWavesPerEU: 1
; AccumOffset: 4
; Occupancy: 8
; WaveLimiterHint : 0
; COMPUTE_PGM_RSRC2:SCRATCH_EN: 0
; COMPUTE_PGM_RSRC2:USER_SGPR: 2
; COMPUTE_PGM_RSRC2:TRAP_HANDLER: 0
; COMPUTE_PGM_RSRC2:TGID_X_EN: 1
; COMPUTE_PGM_RSRC2:TGID_Y_EN: 0
; COMPUTE_PGM_RSRC2:TGID_Z_EN: 0
; COMPUTE_PGM_RSRC2:TIDIG_COMP_CNT: 0
; COMPUTE_PGM_RSRC3_GFX90A:ACCUM_OFFSET: 0
; COMPUTE_PGM_RSRC3_GFX90A:TG_SPLIT: 0
	.section	.text._ZN7rocprim17ROCPRIM_400000_NS6detail17trampoline_kernelINS0_14default_configENS1_25partition_config_selectorILNS1_17partition_subalgoE8ElNS0_10empty_typeEbEEZZNS1_14partition_implILS5_8ELb0ES3_jPlPS6_PKS6_NS0_5tupleIJS9_S6_EEENSD_IJSA_SA_EEENS0_18inequality_wrapperIZN2at6native12_GLOBAL__N_124unique_dim_cuda_templateIsEESt5tupleIJNSH_6TensorESM_SM_EERKSM_lbbbEUlllE0_EEPmJS6_EEE10hipError_tPvRmT3_T4_T5_T6_T7_T9_mT8_P12ihipStream_tbDpT10_ENKUlT_T0_E_clISt17integral_constantIbLb0EES1C_EEDaS17_S18_EUlS17_E_NS1_11comp_targetILNS1_3genE3ELNS1_11target_archE908ELNS1_3gpuE7ELNS1_3repE0EEENS1_30default_config_static_selectorELNS0_4arch9wavefront6targetE1EEEvT1_,"axG",@progbits,_ZN7rocprim17ROCPRIM_400000_NS6detail17trampoline_kernelINS0_14default_configENS1_25partition_config_selectorILNS1_17partition_subalgoE8ElNS0_10empty_typeEbEEZZNS1_14partition_implILS5_8ELb0ES3_jPlPS6_PKS6_NS0_5tupleIJS9_S6_EEENSD_IJSA_SA_EEENS0_18inequality_wrapperIZN2at6native12_GLOBAL__N_124unique_dim_cuda_templateIsEESt5tupleIJNSH_6TensorESM_SM_EERKSM_lbbbEUlllE0_EEPmJS6_EEE10hipError_tPvRmT3_T4_T5_T6_T7_T9_mT8_P12ihipStream_tbDpT10_ENKUlT_T0_E_clISt17integral_constantIbLb0EES1C_EEDaS17_S18_EUlS17_E_NS1_11comp_targetILNS1_3genE3ELNS1_11target_archE908ELNS1_3gpuE7ELNS1_3repE0EEENS1_30default_config_static_selectorELNS0_4arch9wavefront6targetE1EEEvT1_,comdat
	.globl	_ZN7rocprim17ROCPRIM_400000_NS6detail17trampoline_kernelINS0_14default_configENS1_25partition_config_selectorILNS1_17partition_subalgoE8ElNS0_10empty_typeEbEEZZNS1_14partition_implILS5_8ELb0ES3_jPlPS6_PKS6_NS0_5tupleIJS9_S6_EEENSD_IJSA_SA_EEENS0_18inequality_wrapperIZN2at6native12_GLOBAL__N_124unique_dim_cuda_templateIsEESt5tupleIJNSH_6TensorESM_SM_EERKSM_lbbbEUlllE0_EEPmJS6_EEE10hipError_tPvRmT3_T4_T5_T6_T7_T9_mT8_P12ihipStream_tbDpT10_ENKUlT_T0_E_clISt17integral_constantIbLb0EES1C_EEDaS17_S18_EUlS17_E_NS1_11comp_targetILNS1_3genE3ELNS1_11target_archE908ELNS1_3gpuE7ELNS1_3repE0EEENS1_30default_config_static_selectorELNS0_4arch9wavefront6targetE1EEEvT1_ ; -- Begin function _ZN7rocprim17ROCPRIM_400000_NS6detail17trampoline_kernelINS0_14default_configENS1_25partition_config_selectorILNS1_17partition_subalgoE8ElNS0_10empty_typeEbEEZZNS1_14partition_implILS5_8ELb0ES3_jPlPS6_PKS6_NS0_5tupleIJS9_S6_EEENSD_IJSA_SA_EEENS0_18inequality_wrapperIZN2at6native12_GLOBAL__N_124unique_dim_cuda_templateIsEESt5tupleIJNSH_6TensorESM_SM_EERKSM_lbbbEUlllE0_EEPmJS6_EEE10hipError_tPvRmT3_T4_T5_T6_T7_T9_mT8_P12ihipStream_tbDpT10_ENKUlT_T0_E_clISt17integral_constantIbLb0EES1C_EEDaS17_S18_EUlS17_E_NS1_11comp_targetILNS1_3genE3ELNS1_11target_archE908ELNS1_3gpuE7ELNS1_3repE0EEENS1_30default_config_static_selectorELNS0_4arch9wavefront6targetE1EEEvT1_
	.p2align	8
	.type	_ZN7rocprim17ROCPRIM_400000_NS6detail17trampoline_kernelINS0_14default_configENS1_25partition_config_selectorILNS1_17partition_subalgoE8ElNS0_10empty_typeEbEEZZNS1_14partition_implILS5_8ELb0ES3_jPlPS6_PKS6_NS0_5tupleIJS9_S6_EEENSD_IJSA_SA_EEENS0_18inequality_wrapperIZN2at6native12_GLOBAL__N_124unique_dim_cuda_templateIsEESt5tupleIJNSH_6TensorESM_SM_EERKSM_lbbbEUlllE0_EEPmJS6_EEE10hipError_tPvRmT3_T4_T5_T6_T7_T9_mT8_P12ihipStream_tbDpT10_ENKUlT_T0_E_clISt17integral_constantIbLb0EES1C_EEDaS17_S18_EUlS17_E_NS1_11comp_targetILNS1_3genE3ELNS1_11target_archE908ELNS1_3gpuE7ELNS1_3repE0EEENS1_30default_config_static_selectorELNS0_4arch9wavefront6targetE1EEEvT1_,@function
_ZN7rocprim17ROCPRIM_400000_NS6detail17trampoline_kernelINS0_14default_configENS1_25partition_config_selectorILNS1_17partition_subalgoE8ElNS0_10empty_typeEbEEZZNS1_14partition_implILS5_8ELb0ES3_jPlPS6_PKS6_NS0_5tupleIJS9_S6_EEENSD_IJSA_SA_EEENS0_18inequality_wrapperIZN2at6native12_GLOBAL__N_124unique_dim_cuda_templateIsEESt5tupleIJNSH_6TensorESM_SM_EERKSM_lbbbEUlllE0_EEPmJS6_EEE10hipError_tPvRmT3_T4_T5_T6_T7_T9_mT8_P12ihipStream_tbDpT10_ENKUlT_T0_E_clISt17integral_constantIbLb0EES1C_EEDaS17_S18_EUlS17_E_NS1_11comp_targetILNS1_3genE3ELNS1_11target_archE908ELNS1_3gpuE7ELNS1_3repE0EEENS1_30default_config_static_selectorELNS0_4arch9wavefront6targetE1EEEvT1_: ; @_ZN7rocprim17ROCPRIM_400000_NS6detail17trampoline_kernelINS0_14default_configENS1_25partition_config_selectorILNS1_17partition_subalgoE8ElNS0_10empty_typeEbEEZZNS1_14partition_implILS5_8ELb0ES3_jPlPS6_PKS6_NS0_5tupleIJS9_S6_EEENSD_IJSA_SA_EEENS0_18inequality_wrapperIZN2at6native12_GLOBAL__N_124unique_dim_cuda_templateIsEESt5tupleIJNSH_6TensorESM_SM_EERKSM_lbbbEUlllE0_EEPmJS6_EEE10hipError_tPvRmT3_T4_T5_T6_T7_T9_mT8_P12ihipStream_tbDpT10_ENKUlT_T0_E_clISt17integral_constantIbLb0EES1C_EEDaS17_S18_EUlS17_E_NS1_11comp_targetILNS1_3genE3ELNS1_11target_archE908ELNS1_3gpuE7ELNS1_3repE0EEENS1_30default_config_static_selectorELNS0_4arch9wavefront6targetE1EEEvT1_
; %bb.0:
	.section	.rodata,"a",@progbits
	.p2align	6, 0x0
	.amdhsa_kernel _ZN7rocprim17ROCPRIM_400000_NS6detail17trampoline_kernelINS0_14default_configENS1_25partition_config_selectorILNS1_17partition_subalgoE8ElNS0_10empty_typeEbEEZZNS1_14partition_implILS5_8ELb0ES3_jPlPS6_PKS6_NS0_5tupleIJS9_S6_EEENSD_IJSA_SA_EEENS0_18inequality_wrapperIZN2at6native12_GLOBAL__N_124unique_dim_cuda_templateIsEESt5tupleIJNSH_6TensorESM_SM_EERKSM_lbbbEUlllE0_EEPmJS6_EEE10hipError_tPvRmT3_T4_T5_T6_T7_T9_mT8_P12ihipStream_tbDpT10_ENKUlT_T0_E_clISt17integral_constantIbLb0EES1C_EEDaS17_S18_EUlS17_E_NS1_11comp_targetILNS1_3genE3ELNS1_11target_archE908ELNS1_3gpuE7ELNS1_3repE0EEENS1_30default_config_static_selectorELNS0_4arch9wavefront6targetE1EEEvT1_
		.amdhsa_group_segment_fixed_size 0
		.amdhsa_private_segment_fixed_size 0
		.amdhsa_kernarg_size 120
		.amdhsa_user_sgpr_count 2
		.amdhsa_user_sgpr_dispatch_ptr 0
		.amdhsa_user_sgpr_queue_ptr 0
		.amdhsa_user_sgpr_kernarg_segment_ptr 1
		.amdhsa_user_sgpr_dispatch_id 0
		.amdhsa_user_sgpr_kernarg_preload_length 0
		.amdhsa_user_sgpr_kernarg_preload_offset 0
		.amdhsa_user_sgpr_private_segment_size 0
		.amdhsa_uses_dynamic_stack 0
		.amdhsa_enable_private_segment 0
		.amdhsa_system_sgpr_workgroup_id_x 1
		.amdhsa_system_sgpr_workgroup_id_y 0
		.amdhsa_system_sgpr_workgroup_id_z 0
		.amdhsa_system_sgpr_workgroup_info 0
		.amdhsa_system_vgpr_workitem_id 0
		.amdhsa_next_free_vgpr 1
		.amdhsa_next_free_sgpr 0
		.amdhsa_accum_offset 4
		.amdhsa_reserve_vcc 0
		.amdhsa_float_round_mode_32 0
		.amdhsa_float_round_mode_16_64 0
		.amdhsa_float_denorm_mode_32 3
		.amdhsa_float_denorm_mode_16_64 3
		.amdhsa_dx10_clamp 1
		.amdhsa_ieee_mode 1
		.amdhsa_fp16_overflow 0
		.amdhsa_tg_split 0
		.amdhsa_exception_fp_ieee_invalid_op 0
		.amdhsa_exception_fp_denorm_src 0
		.amdhsa_exception_fp_ieee_div_zero 0
		.amdhsa_exception_fp_ieee_overflow 0
		.amdhsa_exception_fp_ieee_underflow 0
		.amdhsa_exception_fp_ieee_inexact 0
		.amdhsa_exception_int_div_zero 0
	.end_amdhsa_kernel
	.section	.text._ZN7rocprim17ROCPRIM_400000_NS6detail17trampoline_kernelINS0_14default_configENS1_25partition_config_selectorILNS1_17partition_subalgoE8ElNS0_10empty_typeEbEEZZNS1_14partition_implILS5_8ELb0ES3_jPlPS6_PKS6_NS0_5tupleIJS9_S6_EEENSD_IJSA_SA_EEENS0_18inequality_wrapperIZN2at6native12_GLOBAL__N_124unique_dim_cuda_templateIsEESt5tupleIJNSH_6TensorESM_SM_EERKSM_lbbbEUlllE0_EEPmJS6_EEE10hipError_tPvRmT3_T4_T5_T6_T7_T9_mT8_P12ihipStream_tbDpT10_ENKUlT_T0_E_clISt17integral_constantIbLb0EES1C_EEDaS17_S18_EUlS17_E_NS1_11comp_targetILNS1_3genE3ELNS1_11target_archE908ELNS1_3gpuE7ELNS1_3repE0EEENS1_30default_config_static_selectorELNS0_4arch9wavefront6targetE1EEEvT1_,"axG",@progbits,_ZN7rocprim17ROCPRIM_400000_NS6detail17trampoline_kernelINS0_14default_configENS1_25partition_config_selectorILNS1_17partition_subalgoE8ElNS0_10empty_typeEbEEZZNS1_14partition_implILS5_8ELb0ES3_jPlPS6_PKS6_NS0_5tupleIJS9_S6_EEENSD_IJSA_SA_EEENS0_18inequality_wrapperIZN2at6native12_GLOBAL__N_124unique_dim_cuda_templateIsEESt5tupleIJNSH_6TensorESM_SM_EERKSM_lbbbEUlllE0_EEPmJS6_EEE10hipError_tPvRmT3_T4_T5_T6_T7_T9_mT8_P12ihipStream_tbDpT10_ENKUlT_T0_E_clISt17integral_constantIbLb0EES1C_EEDaS17_S18_EUlS17_E_NS1_11comp_targetILNS1_3genE3ELNS1_11target_archE908ELNS1_3gpuE7ELNS1_3repE0EEENS1_30default_config_static_selectorELNS0_4arch9wavefront6targetE1EEEvT1_,comdat
.Lfunc_end693:
	.size	_ZN7rocprim17ROCPRIM_400000_NS6detail17trampoline_kernelINS0_14default_configENS1_25partition_config_selectorILNS1_17partition_subalgoE8ElNS0_10empty_typeEbEEZZNS1_14partition_implILS5_8ELb0ES3_jPlPS6_PKS6_NS0_5tupleIJS9_S6_EEENSD_IJSA_SA_EEENS0_18inequality_wrapperIZN2at6native12_GLOBAL__N_124unique_dim_cuda_templateIsEESt5tupleIJNSH_6TensorESM_SM_EERKSM_lbbbEUlllE0_EEPmJS6_EEE10hipError_tPvRmT3_T4_T5_T6_T7_T9_mT8_P12ihipStream_tbDpT10_ENKUlT_T0_E_clISt17integral_constantIbLb0EES1C_EEDaS17_S18_EUlS17_E_NS1_11comp_targetILNS1_3genE3ELNS1_11target_archE908ELNS1_3gpuE7ELNS1_3repE0EEENS1_30default_config_static_selectorELNS0_4arch9wavefront6targetE1EEEvT1_, .Lfunc_end693-_ZN7rocprim17ROCPRIM_400000_NS6detail17trampoline_kernelINS0_14default_configENS1_25partition_config_selectorILNS1_17partition_subalgoE8ElNS0_10empty_typeEbEEZZNS1_14partition_implILS5_8ELb0ES3_jPlPS6_PKS6_NS0_5tupleIJS9_S6_EEENSD_IJSA_SA_EEENS0_18inequality_wrapperIZN2at6native12_GLOBAL__N_124unique_dim_cuda_templateIsEESt5tupleIJNSH_6TensorESM_SM_EERKSM_lbbbEUlllE0_EEPmJS6_EEE10hipError_tPvRmT3_T4_T5_T6_T7_T9_mT8_P12ihipStream_tbDpT10_ENKUlT_T0_E_clISt17integral_constantIbLb0EES1C_EEDaS17_S18_EUlS17_E_NS1_11comp_targetILNS1_3genE3ELNS1_11target_archE908ELNS1_3gpuE7ELNS1_3repE0EEENS1_30default_config_static_selectorELNS0_4arch9wavefront6targetE1EEEvT1_
                                        ; -- End function
	.section	.AMDGPU.csdata,"",@progbits
; Kernel info:
; codeLenInByte = 0
; NumSgprs: 6
; NumVgprs: 0
; NumAgprs: 0
; TotalNumVgprs: 0
; ScratchSize: 0
; MemoryBound: 0
; FloatMode: 240
; IeeeMode: 1
; LDSByteSize: 0 bytes/workgroup (compile time only)
; SGPRBlocks: 0
; VGPRBlocks: 0
; NumSGPRsForWavesPerEU: 6
; NumVGPRsForWavesPerEU: 1
; AccumOffset: 4
; Occupancy: 8
; WaveLimiterHint : 0
; COMPUTE_PGM_RSRC2:SCRATCH_EN: 0
; COMPUTE_PGM_RSRC2:USER_SGPR: 2
; COMPUTE_PGM_RSRC2:TRAP_HANDLER: 0
; COMPUTE_PGM_RSRC2:TGID_X_EN: 1
; COMPUTE_PGM_RSRC2:TGID_Y_EN: 0
; COMPUTE_PGM_RSRC2:TGID_Z_EN: 0
; COMPUTE_PGM_RSRC2:TIDIG_COMP_CNT: 0
; COMPUTE_PGM_RSRC3_GFX90A:ACCUM_OFFSET: 0
; COMPUTE_PGM_RSRC3_GFX90A:TG_SPLIT: 0
	.section	.text._ZN7rocprim17ROCPRIM_400000_NS6detail17trampoline_kernelINS0_14default_configENS1_25partition_config_selectorILNS1_17partition_subalgoE8ElNS0_10empty_typeEbEEZZNS1_14partition_implILS5_8ELb0ES3_jPlPS6_PKS6_NS0_5tupleIJS9_S6_EEENSD_IJSA_SA_EEENS0_18inequality_wrapperIZN2at6native12_GLOBAL__N_124unique_dim_cuda_templateIsEESt5tupleIJNSH_6TensorESM_SM_EERKSM_lbbbEUlllE0_EEPmJS6_EEE10hipError_tPvRmT3_T4_T5_T6_T7_T9_mT8_P12ihipStream_tbDpT10_ENKUlT_T0_E_clISt17integral_constantIbLb0EES1C_EEDaS17_S18_EUlS17_E_NS1_11comp_targetILNS1_3genE2ELNS1_11target_archE906ELNS1_3gpuE6ELNS1_3repE0EEENS1_30default_config_static_selectorELNS0_4arch9wavefront6targetE1EEEvT1_,"axG",@progbits,_ZN7rocprim17ROCPRIM_400000_NS6detail17trampoline_kernelINS0_14default_configENS1_25partition_config_selectorILNS1_17partition_subalgoE8ElNS0_10empty_typeEbEEZZNS1_14partition_implILS5_8ELb0ES3_jPlPS6_PKS6_NS0_5tupleIJS9_S6_EEENSD_IJSA_SA_EEENS0_18inequality_wrapperIZN2at6native12_GLOBAL__N_124unique_dim_cuda_templateIsEESt5tupleIJNSH_6TensorESM_SM_EERKSM_lbbbEUlllE0_EEPmJS6_EEE10hipError_tPvRmT3_T4_T5_T6_T7_T9_mT8_P12ihipStream_tbDpT10_ENKUlT_T0_E_clISt17integral_constantIbLb0EES1C_EEDaS17_S18_EUlS17_E_NS1_11comp_targetILNS1_3genE2ELNS1_11target_archE906ELNS1_3gpuE6ELNS1_3repE0EEENS1_30default_config_static_selectorELNS0_4arch9wavefront6targetE1EEEvT1_,comdat
	.globl	_ZN7rocprim17ROCPRIM_400000_NS6detail17trampoline_kernelINS0_14default_configENS1_25partition_config_selectorILNS1_17partition_subalgoE8ElNS0_10empty_typeEbEEZZNS1_14partition_implILS5_8ELb0ES3_jPlPS6_PKS6_NS0_5tupleIJS9_S6_EEENSD_IJSA_SA_EEENS0_18inequality_wrapperIZN2at6native12_GLOBAL__N_124unique_dim_cuda_templateIsEESt5tupleIJNSH_6TensorESM_SM_EERKSM_lbbbEUlllE0_EEPmJS6_EEE10hipError_tPvRmT3_T4_T5_T6_T7_T9_mT8_P12ihipStream_tbDpT10_ENKUlT_T0_E_clISt17integral_constantIbLb0EES1C_EEDaS17_S18_EUlS17_E_NS1_11comp_targetILNS1_3genE2ELNS1_11target_archE906ELNS1_3gpuE6ELNS1_3repE0EEENS1_30default_config_static_selectorELNS0_4arch9wavefront6targetE1EEEvT1_ ; -- Begin function _ZN7rocprim17ROCPRIM_400000_NS6detail17trampoline_kernelINS0_14default_configENS1_25partition_config_selectorILNS1_17partition_subalgoE8ElNS0_10empty_typeEbEEZZNS1_14partition_implILS5_8ELb0ES3_jPlPS6_PKS6_NS0_5tupleIJS9_S6_EEENSD_IJSA_SA_EEENS0_18inequality_wrapperIZN2at6native12_GLOBAL__N_124unique_dim_cuda_templateIsEESt5tupleIJNSH_6TensorESM_SM_EERKSM_lbbbEUlllE0_EEPmJS6_EEE10hipError_tPvRmT3_T4_T5_T6_T7_T9_mT8_P12ihipStream_tbDpT10_ENKUlT_T0_E_clISt17integral_constantIbLb0EES1C_EEDaS17_S18_EUlS17_E_NS1_11comp_targetILNS1_3genE2ELNS1_11target_archE906ELNS1_3gpuE6ELNS1_3repE0EEENS1_30default_config_static_selectorELNS0_4arch9wavefront6targetE1EEEvT1_
	.p2align	8
	.type	_ZN7rocprim17ROCPRIM_400000_NS6detail17trampoline_kernelINS0_14default_configENS1_25partition_config_selectorILNS1_17partition_subalgoE8ElNS0_10empty_typeEbEEZZNS1_14partition_implILS5_8ELb0ES3_jPlPS6_PKS6_NS0_5tupleIJS9_S6_EEENSD_IJSA_SA_EEENS0_18inequality_wrapperIZN2at6native12_GLOBAL__N_124unique_dim_cuda_templateIsEESt5tupleIJNSH_6TensorESM_SM_EERKSM_lbbbEUlllE0_EEPmJS6_EEE10hipError_tPvRmT3_T4_T5_T6_T7_T9_mT8_P12ihipStream_tbDpT10_ENKUlT_T0_E_clISt17integral_constantIbLb0EES1C_EEDaS17_S18_EUlS17_E_NS1_11comp_targetILNS1_3genE2ELNS1_11target_archE906ELNS1_3gpuE6ELNS1_3repE0EEENS1_30default_config_static_selectorELNS0_4arch9wavefront6targetE1EEEvT1_,@function
_ZN7rocprim17ROCPRIM_400000_NS6detail17trampoline_kernelINS0_14default_configENS1_25partition_config_selectorILNS1_17partition_subalgoE8ElNS0_10empty_typeEbEEZZNS1_14partition_implILS5_8ELb0ES3_jPlPS6_PKS6_NS0_5tupleIJS9_S6_EEENSD_IJSA_SA_EEENS0_18inequality_wrapperIZN2at6native12_GLOBAL__N_124unique_dim_cuda_templateIsEESt5tupleIJNSH_6TensorESM_SM_EERKSM_lbbbEUlllE0_EEPmJS6_EEE10hipError_tPvRmT3_T4_T5_T6_T7_T9_mT8_P12ihipStream_tbDpT10_ENKUlT_T0_E_clISt17integral_constantIbLb0EES1C_EEDaS17_S18_EUlS17_E_NS1_11comp_targetILNS1_3genE2ELNS1_11target_archE906ELNS1_3gpuE6ELNS1_3repE0EEENS1_30default_config_static_selectorELNS0_4arch9wavefront6targetE1EEEvT1_: ; @_ZN7rocprim17ROCPRIM_400000_NS6detail17trampoline_kernelINS0_14default_configENS1_25partition_config_selectorILNS1_17partition_subalgoE8ElNS0_10empty_typeEbEEZZNS1_14partition_implILS5_8ELb0ES3_jPlPS6_PKS6_NS0_5tupleIJS9_S6_EEENSD_IJSA_SA_EEENS0_18inequality_wrapperIZN2at6native12_GLOBAL__N_124unique_dim_cuda_templateIsEESt5tupleIJNSH_6TensorESM_SM_EERKSM_lbbbEUlllE0_EEPmJS6_EEE10hipError_tPvRmT3_T4_T5_T6_T7_T9_mT8_P12ihipStream_tbDpT10_ENKUlT_T0_E_clISt17integral_constantIbLb0EES1C_EEDaS17_S18_EUlS17_E_NS1_11comp_targetILNS1_3genE2ELNS1_11target_archE906ELNS1_3gpuE6ELNS1_3repE0EEENS1_30default_config_static_selectorELNS0_4arch9wavefront6targetE1EEEvT1_
; %bb.0:
	.section	.rodata,"a",@progbits
	.p2align	6, 0x0
	.amdhsa_kernel _ZN7rocprim17ROCPRIM_400000_NS6detail17trampoline_kernelINS0_14default_configENS1_25partition_config_selectorILNS1_17partition_subalgoE8ElNS0_10empty_typeEbEEZZNS1_14partition_implILS5_8ELb0ES3_jPlPS6_PKS6_NS0_5tupleIJS9_S6_EEENSD_IJSA_SA_EEENS0_18inequality_wrapperIZN2at6native12_GLOBAL__N_124unique_dim_cuda_templateIsEESt5tupleIJNSH_6TensorESM_SM_EERKSM_lbbbEUlllE0_EEPmJS6_EEE10hipError_tPvRmT3_T4_T5_T6_T7_T9_mT8_P12ihipStream_tbDpT10_ENKUlT_T0_E_clISt17integral_constantIbLb0EES1C_EEDaS17_S18_EUlS17_E_NS1_11comp_targetILNS1_3genE2ELNS1_11target_archE906ELNS1_3gpuE6ELNS1_3repE0EEENS1_30default_config_static_selectorELNS0_4arch9wavefront6targetE1EEEvT1_
		.amdhsa_group_segment_fixed_size 0
		.amdhsa_private_segment_fixed_size 0
		.amdhsa_kernarg_size 120
		.amdhsa_user_sgpr_count 2
		.amdhsa_user_sgpr_dispatch_ptr 0
		.amdhsa_user_sgpr_queue_ptr 0
		.amdhsa_user_sgpr_kernarg_segment_ptr 1
		.amdhsa_user_sgpr_dispatch_id 0
		.amdhsa_user_sgpr_kernarg_preload_length 0
		.amdhsa_user_sgpr_kernarg_preload_offset 0
		.amdhsa_user_sgpr_private_segment_size 0
		.amdhsa_uses_dynamic_stack 0
		.amdhsa_enable_private_segment 0
		.amdhsa_system_sgpr_workgroup_id_x 1
		.amdhsa_system_sgpr_workgroup_id_y 0
		.amdhsa_system_sgpr_workgroup_id_z 0
		.amdhsa_system_sgpr_workgroup_info 0
		.amdhsa_system_vgpr_workitem_id 0
		.amdhsa_next_free_vgpr 1
		.amdhsa_next_free_sgpr 0
		.amdhsa_accum_offset 4
		.amdhsa_reserve_vcc 0
		.amdhsa_float_round_mode_32 0
		.amdhsa_float_round_mode_16_64 0
		.amdhsa_float_denorm_mode_32 3
		.amdhsa_float_denorm_mode_16_64 3
		.amdhsa_dx10_clamp 1
		.amdhsa_ieee_mode 1
		.amdhsa_fp16_overflow 0
		.amdhsa_tg_split 0
		.amdhsa_exception_fp_ieee_invalid_op 0
		.amdhsa_exception_fp_denorm_src 0
		.amdhsa_exception_fp_ieee_div_zero 0
		.amdhsa_exception_fp_ieee_overflow 0
		.amdhsa_exception_fp_ieee_underflow 0
		.amdhsa_exception_fp_ieee_inexact 0
		.amdhsa_exception_int_div_zero 0
	.end_amdhsa_kernel
	.section	.text._ZN7rocprim17ROCPRIM_400000_NS6detail17trampoline_kernelINS0_14default_configENS1_25partition_config_selectorILNS1_17partition_subalgoE8ElNS0_10empty_typeEbEEZZNS1_14partition_implILS5_8ELb0ES3_jPlPS6_PKS6_NS0_5tupleIJS9_S6_EEENSD_IJSA_SA_EEENS0_18inequality_wrapperIZN2at6native12_GLOBAL__N_124unique_dim_cuda_templateIsEESt5tupleIJNSH_6TensorESM_SM_EERKSM_lbbbEUlllE0_EEPmJS6_EEE10hipError_tPvRmT3_T4_T5_T6_T7_T9_mT8_P12ihipStream_tbDpT10_ENKUlT_T0_E_clISt17integral_constantIbLb0EES1C_EEDaS17_S18_EUlS17_E_NS1_11comp_targetILNS1_3genE2ELNS1_11target_archE906ELNS1_3gpuE6ELNS1_3repE0EEENS1_30default_config_static_selectorELNS0_4arch9wavefront6targetE1EEEvT1_,"axG",@progbits,_ZN7rocprim17ROCPRIM_400000_NS6detail17trampoline_kernelINS0_14default_configENS1_25partition_config_selectorILNS1_17partition_subalgoE8ElNS0_10empty_typeEbEEZZNS1_14partition_implILS5_8ELb0ES3_jPlPS6_PKS6_NS0_5tupleIJS9_S6_EEENSD_IJSA_SA_EEENS0_18inequality_wrapperIZN2at6native12_GLOBAL__N_124unique_dim_cuda_templateIsEESt5tupleIJNSH_6TensorESM_SM_EERKSM_lbbbEUlllE0_EEPmJS6_EEE10hipError_tPvRmT3_T4_T5_T6_T7_T9_mT8_P12ihipStream_tbDpT10_ENKUlT_T0_E_clISt17integral_constantIbLb0EES1C_EEDaS17_S18_EUlS17_E_NS1_11comp_targetILNS1_3genE2ELNS1_11target_archE906ELNS1_3gpuE6ELNS1_3repE0EEENS1_30default_config_static_selectorELNS0_4arch9wavefront6targetE1EEEvT1_,comdat
.Lfunc_end694:
	.size	_ZN7rocprim17ROCPRIM_400000_NS6detail17trampoline_kernelINS0_14default_configENS1_25partition_config_selectorILNS1_17partition_subalgoE8ElNS0_10empty_typeEbEEZZNS1_14partition_implILS5_8ELb0ES3_jPlPS6_PKS6_NS0_5tupleIJS9_S6_EEENSD_IJSA_SA_EEENS0_18inequality_wrapperIZN2at6native12_GLOBAL__N_124unique_dim_cuda_templateIsEESt5tupleIJNSH_6TensorESM_SM_EERKSM_lbbbEUlllE0_EEPmJS6_EEE10hipError_tPvRmT3_T4_T5_T6_T7_T9_mT8_P12ihipStream_tbDpT10_ENKUlT_T0_E_clISt17integral_constantIbLb0EES1C_EEDaS17_S18_EUlS17_E_NS1_11comp_targetILNS1_3genE2ELNS1_11target_archE906ELNS1_3gpuE6ELNS1_3repE0EEENS1_30default_config_static_selectorELNS0_4arch9wavefront6targetE1EEEvT1_, .Lfunc_end694-_ZN7rocprim17ROCPRIM_400000_NS6detail17trampoline_kernelINS0_14default_configENS1_25partition_config_selectorILNS1_17partition_subalgoE8ElNS0_10empty_typeEbEEZZNS1_14partition_implILS5_8ELb0ES3_jPlPS6_PKS6_NS0_5tupleIJS9_S6_EEENSD_IJSA_SA_EEENS0_18inequality_wrapperIZN2at6native12_GLOBAL__N_124unique_dim_cuda_templateIsEESt5tupleIJNSH_6TensorESM_SM_EERKSM_lbbbEUlllE0_EEPmJS6_EEE10hipError_tPvRmT3_T4_T5_T6_T7_T9_mT8_P12ihipStream_tbDpT10_ENKUlT_T0_E_clISt17integral_constantIbLb0EES1C_EEDaS17_S18_EUlS17_E_NS1_11comp_targetILNS1_3genE2ELNS1_11target_archE906ELNS1_3gpuE6ELNS1_3repE0EEENS1_30default_config_static_selectorELNS0_4arch9wavefront6targetE1EEEvT1_
                                        ; -- End function
	.section	.AMDGPU.csdata,"",@progbits
; Kernel info:
; codeLenInByte = 0
; NumSgprs: 6
; NumVgprs: 0
; NumAgprs: 0
; TotalNumVgprs: 0
; ScratchSize: 0
; MemoryBound: 0
; FloatMode: 240
; IeeeMode: 1
; LDSByteSize: 0 bytes/workgroup (compile time only)
; SGPRBlocks: 0
; VGPRBlocks: 0
; NumSGPRsForWavesPerEU: 6
; NumVGPRsForWavesPerEU: 1
; AccumOffset: 4
; Occupancy: 8
; WaveLimiterHint : 0
; COMPUTE_PGM_RSRC2:SCRATCH_EN: 0
; COMPUTE_PGM_RSRC2:USER_SGPR: 2
; COMPUTE_PGM_RSRC2:TRAP_HANDLER: 0
; COMPUTE_PGM_RSRC2:TGID_X_EN: 1
; COMPUTE_PGM_RSRC2:TGID_Y_EN: 0
; COMPUTE_PGM_RSRC2:TGID_Z_EN: 0
; COMPUTE_PGM_RSRC2:TIDIG_COMP_CNT: 0
; COMPUTE_PGM_RSRC3_GFX90A:ACCUM_OFFSET: 0
; COMPUTE_PGM_RSRC3_GFX90A:TG_SPLIT: 0
	.section	.text._ZN7rocprim17ROCPRIM_400000_NS6detail17trampoline_kernelINS0_14default_configENS1_25partition_config_selectorILNS1_17partition_subalgoE8ElNS0_10empty_typeEbEEZZNS1_14partition_implILS5_8ELb0ES3_jPlPS6_PKS6_NS0_5tupleIJS9_S6_EEENSD_IJSA_SA_EEENS0_18inequality_wrapperIZN2at6native12_GLOBAL__N_124unique_dim_cuda_templateIsEESt5tupleIJNSH_6TensorESM_SM_EERKSM_lbbbEUlllE0_EEPmJS6_EEE10hipError_tPvRmT3_T4_T5_T6_T7_T9_mT8_P12ihipStream_tbDpT10_ENKUlT_T0_E_clISt17integral_constantIbLb0EES1C_EEDaS17_S18_EUlS17_E_NS1_11comp_targetILNS1_3genE10ELNS1_11target_archE1200ELNS1_3gpuE4ELNS1_3repE0EEENS1_30default_config_static_selectorELNS0_4arch9wavefront6targetE1EEEvT1_,"axG",@progbits,_ZN7rocprim17ROCPRIM_400000_NS6detail17trampoline_kernelINS0_14default_configENS1_25partition_config_selectorILNS1_17partition_subalgoE8ElNS0_10empty_typeEbEEZZNS1_14partition_implILS5_8ELb0ES3_jPlPS6_PKS6_NS0_5tupleIJS9_S6_EEENSD_IJSA_SA_EEENS0_18inequality_wrapperIZN2at6native12_GLOBAL__N_124unique_dim_cuda_templateIsEESt5tupleIJNSH_6TensorESM_SM_EERKSM_lbbbEUlllE0_EEPmJS6_EEE10hipError_tPvRmT3_T4_T5_T6_T7_T9_mT8_P12ihipStream_tbDpT10_ENKUlT_T0_E_clISt17integral_constantIbLb0EES1C_EEDaS17_S18_EUlS17_E_NS1_11comp_targetILNS1_3genE10ELNS1_11target_archE1200ELNS1_3gpuE4ELNS1_3repE0EEENS1_30default_config_static_selectorELNS0_4arch9wavefront6targetE1EEEvT1_,comdat
	.globl	_ZN7rocprim17ROCPRIM_400000_NS6detail17trampoline_kernelINS0_14default_configENS1_25partition_config_selectorILNS1_17partition_subalgoE8ElNS0_10empty_typeEbEEZZNS1_14partition_implILS5_8ELb0ES3_jPlPS6_PKS6_NS0_5tupleIJS9_S6_EEENSD_IJSA_SA_EEENS0_18inequality_wrapperIZN2at6native12_GLOBAL__N_124unique_dim_cuda_templateIsEESt5tupleIJNSH_6TensorESM_SM_EERKSM_lbbbEUlllE0_EEPmJS6_EEE10hipError_tPvRmT3_T4_T5_T6_T7_T9_mT8_P12ihipStream_tbDpT10_ENKUlT_T0_E_clISt17integral_constantIbLb0EES1C_EEDaS17_S18_EUlS17_E_NS1_11comp_targetILNS1_3genE10ELNS1_11target_archE1200ELNS1_3gpuE4ELNS1_3repE0EEENS1_30default_config_static_selectorELNS0_4arch9wavefront6targetE1EEEvT1_ ; -- Begin function _ZN7rocprim17ROCPRIM_400000_NS6detail17trampoline_kernelINS0_14default_configENS1_25partition_config_selectorILNS1_17partition_subalgoE8ElNS0_10empty_typeEbEEZZNS1_14partition_implILS5_8ELb0ES3_jPlPS6_PKS6_NS0_5tupleIJS9_S6_EEENSD_IJSA_SA_EEENS0_18inequality_wrapperIZN2at6native12_GLOBAL__N_124unique_dim_cuda_templateIsEESt5tupleIJNSH_6TensorESM_SM_EERKSM_lbbbEUlllE0_EEPmJS6_EEE10hipError_tPvRmT3_T4_T5_T6_T7_T9_mT8_P12ihipStream_tbDpT10_ENKUlT_T0_E_clISt17integral_constantIbLb0EES1C_EEDaS17_S18_EUlS17_E_NS1_11comp_targetILNS1_3genE10ELNS1_11target_archE1200ELNS1_3gpuE4ELNS1_3repE0EEENS1_30default_config_static_selectorELNS0_4arch9wavefront6targetE1EEEvT1_
	.p2align	8
	.type	_ZN7rocprim17ROCPRIM_400000_NS6detail17trampoline_kernelINS0_14default_configENS1_25partition_config_selectorILNS1_17partition_subalgoE8ElNS0_10empty_typeEbEEZZNS1_14partition_implILS5_8ELb0ES3_jPlPS6_PKS6_NS0_5tupleIJS9_S6_EEENSD_IJSA_SA_EEENS0_18inequality_wrapperIZN2at6native12_GLOBAL__N_124unique_dim_cuda_templateIsEESt5tupleIJNSH_6TensorESM_SM_EERKSM_lbbbEUlllE0_EEPmJS6_EEE10hipError_tPvRmT3_T4_T5_T6_T7_T9_mT8_P12ihipStream_tbDpT10_ENKUlT_T0_E_clISt17integral_constantIbLb0EES1C_EEDaS17_S18_EUlS17_E_NS1_11comp_targetILNS1_3genE10ELNS1_11target_archE1200ELNS1_3gpuE4ELNS1_3repE0EEENS1_30default_config_static_selectorELNS0_4arch9wavefront6targetE1EEEvT1_,@function
_ZN7rocprim17ROCPRIM_400000_NS6detail17trampoline_kernelINS0_14default_configENS1_25partition_config_selectorILNS1_17partition_subalgoE8ElNS0_10empty_typeEbEEZZNS1_14partition_implILS5_8ELb0ES3_jPlPS6_PKS6_NS0_5tupleIJS9_S6_EEENSD_IJSA_SA_EEENS0_18inequality_wrapperIZN2at6native12_GLOBAL__N_124unique_dim_cuda_templateIsEESt5tupleIJNSH_6TensorESM_SM_EERKSM_lbbbEUlllE0_EEPmJS6_EEE10hipError_tPvRmT3_T4_T5_T6_T7_T9_mT8_P12ihipStream_tbDpT10_ENKUlT_T0_E_clISt17integral_constantIbLb0EES1C_EEDaS17_S18_EUlS17_E_NS1_11comp_targetILNS1_3genE10ELNS1_11target_archE1200ELNS1_3gpuE4ELNS1_3repE0EEENS1_30default_config_static_selectorELNS0_4arch9wavefront6targetE1EEEvT1_: ; @_ZN7rocprim17ROCPRIM_400000_NS6detail17trampoline_kernelINS0_14default_configENS1_25partition_config_selectorILNS1_17partition_subalgoE8ElNS0_10empty_typeEbEEZZNS1_14partition_implILS5_8ELb0ES3_jPlPS6_PKS6_NS0_5tupleIJS9_S6_EEENSD_IJSA_SA_EEENS0_18inequality_wrapperIZN2at6native12_GLOBAL__N_124unique_dim_cuda_templateIsEESt5tupleIJNSH_6TensorESM_SM_EERKSM_lbbbEUlllE0_EEPmJS6_EEE10hipError_tPvRmT3_T4_T5_T6_T7_T9_mT8_P12ihipStream_tbDpT10_ENKUlT_T0_E_clISt17integral_constantIbLb0EES1C_EEDaS17_S18_EUlS17_E_NS1_11comp_targetILNS1_3genE10ELNS1_11target_archE1200ELNS1_3gpuE4ELNS1_3repE0EEENS1_30default_config_static_selectorELNS0_4arch9wavefront6targetE1EEEvT1_
; %bb.0:
	.section	.rodata,"a",@progbits
	.p2align	6, 0x0
	.amdhsa_kernel _ZN7rocprim17ROCPRIM_400000_NS6detail17trampoline_kernelINS0_14default_configENS1_25partition_config_selectorILNS1_17partition_subalgoE8ElNS0_10empty_typeEbEEZZNS1_14partition_implILS5_8ELb0ES3_jPlPS6_PKS6_NS0_5tupleIJS9_S6_EEENSD_IJSA_SA_EEENS0_18inequality_wrapperIZN2at6native12_GLOBAL__N_124unique_dim_cuda_templateIsEESt5tupleIJNSH_6TensorESM_SM_EERKSM_lbbbEUlllE0_EEPmJS6_EEE10hipError_tPvRmT3_T4_T5_T6_T7_T9_mT8_P12ihipStream_tbDpT10_ENKUlT_T0_E_clISt17integral_constantIbLb0EES1C_EEDaS17_S18_EUlS17_E_NS1_11comp_targetILNS1_3genE10ELNS1_11target_archE1200ELNS1_3gpuE4ELNS1_3repE0EEENS1_30default_config_static_selectorELNS0_4arch9wavefront6targetE1EEEvT1_
		.amdhsa_group_segment_fixed_size 0
		.amdhsa_private_segment_fixed_size 0
		.amdhsa_kernarg_size 120
		.amdhsa_user_sgpr_count 2
		.amdhsa_user_sgpr_dispatch_ptr 0
		.amdhsa_user_sgpr_queue_ptr 0
		.amdhsa_user_sgpr_kernarg_segment_ptr 1
		.amdhsa_user_sgpr_dispatch_id 0
		.amdhsa_user_sgpr_kernarg_preload_length 0
		.amdhsa_user_sgpr_kernarg_preload_offset 0
		.amdhsa_user_sgpr_private_segment_size 0
		.amdhsa_uses_dynamic_stack 0
		.amdhsa_enable_private_segment 0
		.amdhsa_system_sgpr_workgroup_id_x 1
		.amdhsa_system_sgpr_workgroup_id_y 0
		.amdhsa_system_sgpr_workgroup_id_z 0
		.amdhsa_system_sgpr_workgroup_info 0
		.amdhsa_system_vgpr_workitem_id 0
		.amdhsa_next_free_vgpr 1
		.amdhsa_next_free_sgpr 0
		.amdhsa_accum_offset 4
		.amdhsa_reserve_vcc 0
		.amdhsa_float_round_mode_32 0
		.amdhsa_float_round_mode_16_64 0
		.amdhsa_float_denorm_mode_32 3
		.amdhsa_float_denorm_mode_16_64 3
		.amdhsa_dx10_clamp 1
		.amdhsa_ieee_mode 1
		.amdhsa_fp16_overflow 0
		.amdhsa_tg_split 0
		.amdhsa_exception_fp_ieee_invalid_op 0
		.amdhsa_exception_fp_denorm_src 0
		.amdhsa_exception_fp_ieee_div_zero 0
		.amdhsa_exception_fp_ieee_overflow 0
		.amdhsa_exception_fp_ieee_underflow 0
		.amdhsa_exception_fp_ieee_inexact 0
		.amdhsa_exception_int_div_zero 0
	.end_amdhsa_kernel
	.section	.text._ZN7rocprim17ROCPRIM_400000_NS6detail17trampoline_kernelINS0_14default_configENS1_25partition_config_selectorILNS1_17partition_subalgoE8ElNS0_10empty_typeEbEEZZNS1_14partition_implILS5_8ELb0ES3_jPlPS6_PKS6_NS0_5tupleIJS9_S6_EEENSD_IJSA_SA_EEENS0_18inequality_wrapperIZN2at6native12_GLOBAL__N_124unique_dim_cuda_templateIsEESt5tupleIJNSH_6TensorESM_SM_EERKSM_lbbbEUlllE0_EEPmJS6_EEE10hipError_tPvRmT3_T4_T5_T6_T7_T9_mT8_P12ihipStream_tbDpT10_ENKUlT_T0_E_clISt17integral_constantIbLb0EES1C_EEDaS17_S18_EUlS17_E_NS1_11comp_targetILNS1_3genE10ELNS1_11target_archE1200ELNS1_3gpuE4ELNS1_3repE0EEENS1_30default_config_static_selectorELNS0_4arch9wavefront6targetE1EEEvT1_,"axG",@progbits,_ZN7rocprim17ROCPRIM_400000_NS6detail17trampoline_kernelINS0_14default_configENS1_25partition_config_selectorILNS1_17partition_subalgoE8ElNS0_10empty_typeEbEEZZNS1_14partition_implILS5_8ELb0ES3_jPlPS6_PKS6_NS0_5tupleIJS9_S6_EEENSD_IJSA_SA_EEENS0_18inequality_wrapperIZN2at6native12_GLOBAL__N_124unique_dim_cuda_templateIsEESt5tupleIJNSH_6TensorESM_SM_EERKSM_lbbbEUlllE0_EEPmJS6_EEE10hipError_tPvRmT3_T4_T5_T6_T7_T9_mT8_P12ihipStream_tbDpT10_ENKUlT_T0_E_clISt17integral_constantIbLb0EES1C_EEDaS17_S18_EUlS17_E_NS1_11comp_targetILNS1_3genE10ELNS1_11target_archE1200ELNS1_3gpuE4ELNS1_3repE0EEENS1_30default_config_static_selectorELNS0_4arch9wavefront6targetE1EEEvT1_,comdat
.Lfunc_end695:
	.size	_ZN7rocprim17ROCPRIM_400000_NS6detail17trampoline_kernelINS0_14default_configENS1_25partition_config_selectorILNS1_17partition_subalgoE8ElNS0_10empty_typeEbEEZZNS1_14partition_implILS5_8ELb0ES3_jPlPS6_PKS6_NS0_5tupleIJS9_S6_EEENSD_IJSA_SA_EEENS0_18inequality_wrapperIZN2at6native12_GLOBAL__N_124unique_dim_cuda_templateIsEESt5tupleIJNSH_6TensorESM_SM_EERKSM_lbbbEUlllE0_EEPmJS6_EEE10hipError_tPvRmT3_T4_T5_T6_T7_T9_mT8_P12ihipStream_tbDpT10_ENKUlT_T0_E_clISt17integral_constantIbLb0EES1C_EEDaS17_S18_EUlS17_E_NS1_11comp_targetILNS1_3genE10ELNS1_11target_archE1200ELNS1_3gpuE4ELNS1_3repE0EEENS1_30default_config_static_selectorELNS0_4arch9wavefront6targetE1EEEvT1_, .Lfunc_end695-_ZN7rocprim17ROCPRIM_400000_NS6detail17trampoline_kernelINS0_14default_configENS1_25partition_config_selectorILNS1_17partition_subalgoE8ElNS0_10empty_typeEbEEZZNS1_14partition_implILS5_8ELb0ES3_jPlPS6_PKS6_NS0_5tupleIJS9_S6_EEENSD_IJSA_SA_EEENS0_18inequality_wrapperIZN2at6native12_GLOBAL__N_124unique_dim_cuda_templateIsEESt5tupleIJNSH_6TensorESM_SM_EERKSM_lbbbEUlllE0_EEPmJS6_EEE10hipError_tPvRmT3_T4_T5_T6_T7_T9_mT8_P12ihipStream_tbDpT10_ENKUlT_T0_E_clISt17integral_constantIbLb0EES1C_EEDaS17_S18_EUlS17_E_NS1_11comp_targetILNS1_3genE10ELNS1_11target_archE1200ELNS1_3gpuE4ELNS1_3repE0EEENS1_30default_config_static_selectorELNS0_4arch9wavefront6targetE1EEEvT1_
                                        ; -- End function
	.section	.AMDGPU.csdata,"",@progbits
; Kernel info:
; codeLenInByte = 0
; NumSgprs: 6
; NumVgprs: 0
; NumAgprs: 0
; TotalNumVgprs: 0
; ScratchSize: 0
; MemoryBound: 0
; FloatMode: 240
; IeeeMode: 1
; LDSByteSize: 0 bytes/workgroup (compile time only)
; SGPRBlocks: 0
; VGPRBlocks: 0
; NumSGPRsForWavesPerEU: 6
; NumVGPRsForWavesPerEU: 1
; AccumOffset: 4
; Occupancy: 8
; WaveLimiterHint : 0
; COMPUTE_PGM_RSRC2:SCRATCH_EN: 0
; COMPUTE_PGM_RSRC2:USER_SGPR: 2
; COMPUTE_PGM_RSRC2:TRAP_HANDLER: 0
; COMPUTE_PGM_RSRC2:TGID_X_EN: 1
; COMPUTE_PGM_RSRC2:TGID_Y_EN: 0
; COMPUTE_PGM_RSRC2:TGID_Z_EN: 0
; COMPUTE_PGM_RSRC2:TIDIG_COMP_CNT: 0
; COMPUTE_PGM_RSRC3_GFX90A:ACCUM_OFFSET: 0
; COMPUTE_PGM_RSRC3_GFX90A:TG_SPLIT: 0
	.section	.text._ZN7rocprim17ROCPRIM_400000_NS6detail17trampoline_kernelINS0_14default_configENS1_25partition_config_selectorILNS1_17partition_subalgoE8ElNS0_10empty_typeEbEEZZNS1_14partition_implILS5_8ELb0ES3_jPlPS6_PKS6_NS0_5tupleIJS9_S6_EEENSD_IJSA_SA_EEENS0_18inequality_wrapperIZN2at6native12_GLOBAL__N_124unique_dim_cuda_templateIsEESt5tupleIJNSH_6TensorESM_SM_EERKSM_lbbbEUlllE0_EEPmJS6_EEE10hipError_tPvRmT3_T4_T5_T6_T7_T9_mT8_P12ihipStream_tbDpT10_ENKUlT_T0_E_clISt17integral_constantIbLb0EES1C_EEDaS17_S18_EUlS17_E_NS1_11comp_targetILNS1_3genE9ELNS1_11target_archE1100ELNS1_3gpuE3ELNS1_3repE0EEENS1_30default_config_static_selectorELNS0_4arch9wavefront6targetE1EEEvT1_,"axG",@progbits,_ZN7rocprim17ROCPRIM_400000_NS6detail17trampoline_kernelINS0_14default_configENS1_25partition_config_selectorILNS1_17partition_subalgoE8ElNS0_10empty_typeEbEEZZNS1_14partition_implILS5_8ELb0ES3_jPlPS6_PKS6_NS0_5tupleIJS9_S6_EEENSD_IJSA_SA_EEENS0_18inequality_wrapperIZN2at6native12_GLOBAL__N_124unique_dim_cuda_templateIsEESt5tupleIJNSH_6TensorESM_SM_EERKSM_lbbbEUlllE0_EEPmJS6_EEE10hipError_tPvRmT3_T4_T5_T6_T7_T9_mT8_P12ihipStream_tbDpT10_ENKUlT_T0_E_clISt17integral_constantIbLb0EES1C_EEDaS17_S18_EUlS17_E_NS1_11comp_targetILNS1_3genE9ELNS1_11target_archE1100ELNS1_3gpuE3ELNS1_3repE0EEENS1_30default_config_static_selectorELNS0_4arch9wavefront6targetE1EEEvT1_,comdat
	.globl	_ZN7rocprim17ROCPRIM_400000_NS6detail17trampoline_kernelINS0_14default_configENS1_25partition_config_selectorILNS1_17partition_subalgoE8ElNS0_10empty_typeEbEEZZNS1_14partition_implILS5_8ELb0ES3_jPlPS6_PKS6_NS0_5tupleIJS9_S6_EEENSD_IJSA_SA_EEENS0_18inequality_wrapperIZN2at6native12_GLOBAL__N_124unique_dim_cuda_templateIsEESt5tupleIJNSH_6TensorESM_SM_EERKSM_lbbbEUlllE0_EEPmJS6_EEE10hipError_tPvRmT3_T4_T5_T6_T7_T9_mT8_P12ihipStream_tbDpT10_ENKUlT_T0_E_clISt17integral_constantIbLb0EES1C_EEDaS17_S18_EUlS17_E_NS1_11comp_targetILNS1_3genE9ELNS1_11target_archE1100ELNS1_3gpuE3ELNS1_3repE0EEENS1_30default_config_static_selectorELNS0_4arch9wavefront6targetE1EEEvT1_ ; -- Begin function _ZN7rocprim17ROCPRIM_400000_NS6detail17trampoline_kernelINS0_14default_configENS1_25partition_config_selectorILNS1_17partition_subalgoE8ElNS0_10empty_typeEbEEZZNS1_14partition_implILS5_8ELb0ES3_jPlPS6_PKS6_NS0_5tupleIJS9_S6_EEENSD_IJSA_SA_EEENS0_18inequality_wrapperIZN2at6native12_GLOBAL__N_124unique_dim_cuda_templateIsEESt5tupleIJNSH_6TensorESM_SM_EERKSM_lbbbEUlllE0_EEPmJS6_EEE10hipError_tPvRmT3_T4_T5_T6_T7_T9_mT8_P12ihipStream_tbDpT10_ENKUlT_T0_E_clISt17integral_constantIbLb0EES1C_EEDaS17_S18_EUlS17_E_NS1_11comp_targetILNS1_3genE9ELNS1_11target_archE1100ELNS1_3gpuE3ELNS1_3repE0EEENS1_30default_config_static_selectorELNS0_4arch9wavefront6targetE1EEEvT1_
	.p2align	8
	.type	_ZN7rocprim17ROCPRIM_400000_NS6detail17trampoline_kernelINS0_14default_configENS1_25partition_config_selectorILNS1_17partition_subalgoE8ElNS0_10empty_typeEbEEZZNS1_14partition_implILS5_8ELb0ES3_jPlPS6_PKS6_NS0_5tupleIJS9_S6_EEENSD_IJSA_SA_EEENS0_18inequality_wrapperIZN2at6native12_GLOBAL__N_124unique_dim_cuda_templateIsEESt5tupleIJNSH_6TensorESM_SM_EERKSM_lbbbEUlllE0_EEPmJS6_EEE10hipError_tPvRmT3_T4_T5_T6_T7_T9_mT8_P12ihipStream_tbDpT10_ENKUlT_T0_E_clISt17integral_constantIbLb0EES1C_EEDaS17_S18_EUlS17_E_NS1_11comp_targetILNS1_3genE9ELNS1_11target_archE1100ELNS1_3gpuE3ELNS1_3repE0EEENS1_30default_config_static_selectorELNS0_4arch9wavefront6targetE1EEEvT1_,@function
_ZN7rocprim17ROCPRIM_400000_NS6detail17trampoline_kernelINS0_14default_configENS1_25partition_config_selectorILNS1_17partition_subalgoE8ElNS0_10empty_typeEbEEZZNS1_14partition_implILS5_8ELb0ES3_jPlPS6_PKS6_NS0_5tupleIJS9_S6_EEENSD_IJSA_SA_EEENS0_18inequality_wrapperIZN2at6native12_GLOBAL__N_124unique_dim_cuda_templateIsEESt5tupleIJNSH_6TensorESM_SM_EERKSM_lbbbEUlllE0_EEPmJS6_EEE10hipError_tPvRmT3_T4_T5_T6_T7_T9_mT8_P12ihipStream_tbDpT10_ENKUlT_T0_E_clISt17integral_constantIbLb0EES1C_EEDaS17_S18_EUlS17_E_NS1_11comp_targetILNS1_3genE9ELNS1_11target_archE1100ELNS1_3gpuE3ELNS1_3repE0EEENS1_30default_config_static_selectorELNS0_4arch9wavefront6targetE1EEEvT1_: ; @_ZN7rocprim17ROCPRIM_400000_NS6detail17trampoline_kernelINS0_14default_configENS1_25partition_config_selectorILNS1_17partition_subalgoE8ElNS0_10empty_typeEbEEZZNS1_14partition_implILS5_8ELb0ES3_jPlPS6_PKS6_NS0_5tupleIJS9_S6_EEENSD_IJSA_SA_EEENS0_18inequality_wrapperIZN2at6native12_GLOBAL__N_124unique_dim_cuda_templateIsEESt5tupleIJNSH_6TensorESM_SM_EERKSM_lbbbEUlllE0_EEPmJS6_EEE10hipError_tPvRmT3_T4_T5_T6_T7_T9_mT8_P12ihipStream_tbDpT10_ENKUlT_T0_E_clISt17integral_constantIbLb0EES1C_EEDaS17_S18_EUlS17_E_NS1_11comp_targetILNS1_3genE9ELNS1_11target_archE1100ELNS1_3gpuE3ELNS1_3repE0EEENS1_30default_config_static_selectorELNS0_4arch9wavefront6targetE1EEEvT1_
; %bb.0:
	.section	.rodata,"a",@progbits
	.p2align	6, 0x0
	.amdhsa_kernel _ZN7rocprim17ROCPRIM_400000_NS6detail17trampoline_kernelINS0_14default_configENS1_25partition_config_selectorILNS1_17partition_subalgoE8ElNS0_10empty_typeEbEEZZNS1_14partition_implILS5_8ELb0ES3_jPlPS6_PKS6_NS0_5tupleIJS9_S6_EEENSD_IJSA_SA_EEENS0_18inequality_wrapperIZN2at6native12_GLOBAL__N_124unique_dim_cuda_templateIsEESt5tupleIJNSH_6TensorESM_SM_EERKSM_lbbbEUlllE0_EEPmJS6_EEE10hipError_tPvRmT3_T4_T5_T6_T7_T9_mT8_P12ihipStream_tbDpT10_ENKUlT_T0_E_clISt17integral_constantIbLb0EES1C_EEDaS17_S18_EUlS17_E_NS1_11comp_targetILNS1_3genE9ELNS1_11target_archE1100ELNS1_3gpuE3ELNS1_3repE0EEENS1_30default_config_static_selectorELNS0_4arch9wavefront6targetE1EEEvT1_
		.amdhsa_group_segment_fixed_size 0
		.amdhsa_private_segment_fixed_size 0
		.amdhsa_kernarg_size 120
		.amdhsa_user_sgpr_count 2
		.amdhsa_user_sgpr_dispatch_ptr 0
		.amdhsa_user_sgpr_queue_ptr 0
		.amdhsa_user_sgpr_kernarg_segment_ptr 1
		.amdhsa_user_sgpr_dispatch_id 0
		.amdhsa_user_sgpr_kernarg_preload_length 0
		.amdhsa_user_sgpr_kernarg_preload_offset 0
		.amdhsa_user_sgpr_private_segment_size 0
		.amdhsa_uses_dynamic_stack 0
		.amdhsa_enable_private_segment 0
		.amdhsa_system_sgpr_workgroup_id_x 1
		.amdhsa_system_sgpr_workgroup_id_y 0
		.amdhsa_system_sgpr_workgroup_id_z 0
		.amdhsa_system_sgpr_workgroup_info 0
		.amdhsa_system_vgpr_workitem_id 0
		.amdhsa_next_free_vgpr 1
		.amdhsa_next_free_sgpr 0
		.amdhsa_accum_offset 4
		.amdhsa_reserve_vcc 0
		.amdhsa_float_round_mode_32 0
		.amdhsa_float_round_mode_16_64 0
		.amdhsa_float_denorm_mode_32 3
		.amdhsa_float_denorm_mode_16_64 3
		.amdhsa_dx10_clamp 1
		.amdhsa_ieee_mode 1
		.amdhsa_fp16_overflow 0
		.amdhsa_tg_split 0
		.amdhsa_exception_fp_ieee_invalid_op 0
		.amdhsa_exception_fp_denorm_src 0
		.amdhsa_exception_fp_ieee_div_zero 0
		.amdhsa_exception_fp_ieee_overflow 0
		.amdhsa_exception_fp_ieee_underflow 0
		.amdhsa_exception_fp_ieee_inexact 0
		.amdhsa_exception_int_div_zero 0
	.end_amdhsa_kernel
	.section	.text._ZN7rocprim17ROCPRIM_400000_NS6detail17trampoline_kernelINS0_14default_configENS1_25partition_config_selectorILNS1_17partition_subalgoE8ElNS0_10empty_typeEbEEZZNS1_14partition_implILS5_8ELb0ES3_jPlPS6_PKS6_NS0_5tupleIJS9_S6_EEENSD_IJSA_SA_EEENS0_18inequality_wrapperIZN2at6native12_GLOBAL__N_124unique_dim_cuda_templateIsEESt5tupleIJNSH_6TensorESM_SM_EERKSM_lbbbEUlllE0_EEPmJS6_EEE10hipError_tPvRmT3_T4_T5_T6_T7_T9_mT8_P12ihipStream_tbDpT10_ENKUlT_T0_E_clISt17integral_constantIbLb0EES1C_EEDaS17_S18_EUlS17_E_NS1_11comp_targetILNS1_3genE9ELNS1_11target_archE1100ELNS1_3gpuE3ELNS1_3repE0EEENS1_30default_config_static_selectorELNS0_4arch9wavefront6targetE1EEEvT1_,"axG",@progbits,_ZN7rocprim17ROCPRIM_400000_NS6detail17trampoline_kernelINS0_14default_configENS1_25partition_config_selectorILNS1_17partition_subalgoE8ElNS0_10empty_typeEbEEZZNS1_14partition_implILS5_8ELb0ES3_jPlPS6_PKS6_NS0_5tupleIJS9_S6_EEENSD_IJSA_SA_EEENS0_18inequality_wrapperIZN2at6native12_GLOBAL__N_124unique_dim_cuda_templateIsEESt5tupleIJNSH_6TensorESM_SM_EERKSM_lbbbEUlllE0_EEPmJS6_EEE10hipError_tPvRmT3_T4_T5_T6_T7_T9_mT8_P12ihipStream_tbDpT10_ENKUlT_T0_E_clISt17integral_constantIbLb0EES1C_EEDaS17_S18_EUlS17_E_NS1_11comp_targetILNS1_3genE9ELNS1_11target_archE1100ELNS1_3gpuE3ELNS1_3repE0EEENS1_30default_config_static_selectorELNS0_4arch9wavefront6targetE1EEEvT1_,comdat
.Lfunc_end696:
	.size	_ZN7rocprim17ROCPRIM_400000_NS6detail17trampoline_kernelINS0_14default_configENS1_25partition_config_selectorILNS1_17partition_subalgoE8ElNS0_10empty_typeEbEEZZNS1_14partition_implILS5_8ELb0ES3_jPlPS6_PKS6_NS0_5tupleIJS9_S6_EEENSD_IJSA_SA_EEENS0_18inequality_wrapperIZN2at6native12_GLOBAL__N_124unique_dim_cuda_templateIsEESt5tupleIJNSH_6TensorESM_SM_EERKSM_lbbbEUlllE0_EEPmJS6_EEE10hipError_tPvRmT3_T4_T5_T6_T7_T9_mT8_P12ihipStream_tbDpT10_ENKUlT_T0_E_clISt17integral_constantIbLb0EES1C_EEDaS17_S18_EUlS17_E_NS1_11comp_targetILNS1_3genE9ELNS1_11target_archE1100ELNS1_3gpuE3ELNS1_3repE0EEENS1_30default_config_static_selectorELNS0_4arch9wavefront6targetE1EEEvT1_, .Lfunc_end696-_ZN7rocprim17ROCPRIM_400000_NS6detail17trampoline_kernelINS0_14default_configENS1_25partition_config_selectorILNS1_17partition_subalgoE8ElNS0_10empty_typeEbEEZZNS1_14partition_implILS5_8ELb0ES3_jPlPS6_PKS6_NS0_5tupleIJS9_S6_EEENSD_IJSA_SA_EEENS0_18inequality_wrapperIZN2at6native12_GLOBAL__N_124unique_dim_cuda_templateIsEESt5tupleIJNSH_6TensorESM_SM_EERKSM_lbbbEUlllE0_EEPmJS6_EEE10hipError_tPvRmT3_T4_T5_T6_T7_T9_mT8_P12ihipStream_tbDpT10_ENKUlT_T0_E_clISt17integral_constantIbLb0EES1C_EEDaS17_S18_EUlS17_E_NS1_11comp_targetILNS1_3genE9ELNS1_11target_archE1100ELNS1_3gpuE3ELNS1_3repE0EEENS1_30default_config_static_selectorELNS0_4arch9wavefront6targetE1EEEvT1_
                                        ; -- End function
	.section	.AMDGPU.csdata,"",@progbits
; Kernel info:
; codeLenInByte = 0
; NumSgprs: 6
; NumVgprs: 0
; NumAgprs: 0
; TotalNumVgprs: 0
; ScratchSize: 0
; MemoryBound: 0
; FloatMode: 240
; IeeeMode: 1
; LDSByteSize: 0 bytes/workgroup (compile time only)
; SGPRBlocks: 0
; VGPRBlocks: 0
; NumSGPRsForWavesPerEU: 6
; NumVGPRsForWavesPerEU: 1
; AccumOffset: 4
; Occupancy: 8
; WaveLimiterHint : 0
; COMPUTE_PGM_RSRC2:SCRATCH_EN: 0
; COMPUTE_PGM_RSRC2:USER_SGPR: 2
; COMPUTE_PGM_RSRC2:TRAP_HANDLER: 0
; COMPUTE_PGM_RSRC2:TGID_X_EN: 1
; COMPUTE_PGM_RSRC2:TGID_Y_EN: 0
; COMPUTE_PGM_RSRC2:TGID_Z_EN: 0
; COMPUTE_PGM_RSRC2:TIDIG_COMP_CNT: 0
; COMPUTE_PGM_RSRC3_GFX90A:ACCUM_OFFSET: 0
; COMPUTE_PGM_RSRC3_GFX90A:TG_SPLIT: 0
	.section	.text._ZN7rocprim17ROCPRIM_400000_NS6detail17trampoline_kernelINS0_14default_configENS1_25partition_config_selectorILNS1_17partition_subalgoE8ElNS0_10empty_typeEbEEZZNS1_14partition_implILS5_8ELb0ES3_jPlPS6_PKS6_NS0_5tupleIJS9_S6_EEENSD_IJSA_SA_EEENS0_18inequality_wrapperIZN2at6native12_GLOBAL__N_124unique_dim_cuda_templateIsEESt5tupleIJNSH_6TensorESM_SM_EERKSM_lbbbEUlllE0_EEPmJS6_EEE10hipError_tPvRmT3_T4_T5_T6_T7_T9_mT8_P12ihipStream_tbDpT10_ENKUlT_T0_E_clISt17integral_constantIbLb0EES1C_EEDaS17_S18_EUlS17_E_NS1_11comp_targetILNS1_3genE8ELNS1_11target_archE1030ELNS1_3gpuE2ELNS1_3repE0EEENS1_30default_config_static_selectorELNS0_4arch9wavefront6targetE1EEEvT1_,"axG",@progbits,_ZN7rocprim17ROCPRIM_400000_NS6detail17trampoline_kernelINS0_14default_configENS1_25partition_config_selectorILNS1_17partition_subalgoE8ElNS0_10empty_typeEbEEZZNS1_14partition_implILS5_8ELb0ES3_jPlPS6_PKS6_NS0_5tupleIJS9_S6_EEENSD_IJSA_SA_EEENS0_18inequality_wrapperIZN2at6native12_GLOBAL__N_124unique_dim_cuda_templateIsEESt5tupleIJNSH_6TensorESM_SM_EERKSM_lbbbEUlllE0_EEPmJS6_EEE10hipError_tPvRmT3_T4_T5_T6_T7_T9_mT8_P12ihipStream_tbDpT10_ENKUlT_T0_E_clISt17integral_constantIbLb0EES1C_EEDaS17_S18_EUlS17_E_NS1_11comp_targetILNS1_3genE8ELNS1_11target_archE1030ELNS1_3gpuE2ELNS1_3repE0EEENS1_30default_config_static_selectorELNS0_4arch9wavefront6targetE1EEEvT1_,comdat
	.globl	_ZN7rocprim17ROCPRIM_400000_NS6detail17trampoline_kernelINS0_14default_configENS1_25partition_config_selectorILNS1_17partition_subalgoE8ElNS0_10empty_typeEbEEZZNS1_14partition_implILS5_8ELb0ES3_jPlPS6_PKS6_NS0_5tupleIJS9_S6_EEENSD_IJSA_SA_EEENS0_18inequality_wrapperIZN2at6native12_GLOBAL__N_124unique_dim_cuda_templateIsEESt5tupleIJNSH_6TensorESM_SM_EERKSM_lbbbEUlllE0_EEPmJS6_EEE10hipError_tPvRmT3_T4_T5_T6_T7_T9_mT8_P12ihipStream_tbDpT10_ENKUlT_T0_E_clISt17integral_constantIbLb0EES1C_EEDaS17_S18_EUlS17_E_NS1_11comp_targetILNS1_3genE8ELNS1_11target_archE1030ELNS1_3gpuE2ELNS1_3repE0EEENS1_30default_config_static_selectorELNS0_4arch9wavefront6targetE1EEEvT1_ ; -- Begin function _ZN7rocprim17ROCPRIM_400000_NS6detail17trampoline_kernelINS0_14default_configENS1_25partition_config_selectorILNS1_17partition_subalgoE8ElNS0_10empty_typeEbEEZZNS1_14partition_implILS5_8ELb0ES3_jPlPS6_PKS6_NS0_5tupleIJS9_S6_EEENSD_IJSA_SA_EEENS0_18inequality_wrapperIZN2at6native12_GLOBAL__N_124unique_dim_cuda_templateIsEESt5tupleIJNSH_6TensorESM_SM_EERKSM_lbbbEUlllE0_EEPmJS6_EEE10hipError_tPvRmT3_T4_T5_T6_T7_T9_mT8_P12ihipStream_tbDpT10_ENKUlT_T0_E_clISt17integral_constantIbLb0EES1C_EEDaS17_S18_EUlS17_E_NS1_11comp_targetILNS1_3genE8ELNS1_11target_archE1030ELNS1_3gpuE2ELNS1_3repE0EEENS1_30default_config_static_selectorELNS0_4arch9wavefront6targetE1EEEvT1_
	.p2align	8
	.type	_ZN7rocprim17ROCPRIM_400000_NS6detail17trampoline_kernelINS0_14default_configENS1_25partition_config_selectorILNS1_17partition_subalgoE8ElNS0_10empty_typeEbEEZZNS1_14partition_implILS5_8ELb0ES3_jPlPS6_PKS6_NS0_5tupleIJS9_S6_EEENSD_IJSA_SA_EEENS0_18inequality_wrapperIZN2at6native12_GLOBAL__N_124unique_dim_cuda_templateIsEESt5tupleIJNSH_6TensorESM_SM_EERKSM_lbbbEUlllE0_EEPmJS6_EEE10hipError_tPvRmT3_T4_T5_T6_T7_T9_mT8_P12ihipStream_tbDpT10_ENKUlT_T0_E_clISt17integral_constantIbLb0EES1C_EEDaS17_S18_EUlS17_E_NS1_11comp_targetILNS1_3genE8ELNS1_11target_archE1030ELNS1_3gpuE2ELNS1_3repE0EEENS1_30default_config_static_selectorELNS0_4arch9wavefront6targetE1EEEvT1_,@function
_ZN7rocprim17ROCPRIM_400000_NS6detail17trampoline_kernelINS0_14default_configENS1_25partition_config_selectorILNS1_17partition_subalgoE8ElNS0_10empty_typeEbEEZZNS1_14partition_implILS5_8ELb0ES3_jPlPS6_PKS6_NS0_5tupleIJS9_S6_EEENSD_IJSA_SA_EEENS0_18inequality_wrapperIZN2at6native12_GLOBAL__N_124unique_dim_cuda_templateIsEESt5tupleIJNSH_6TensorESM_SM_EERKSM_lbbbEUlllE0_EEPmJS6_EEE10hipError_tPvRmT3_T4_T5_T6_T7_T9_mT8_P12ihipStream_tbDpT10_ENKUlT_T0_E_clISt17integral_constantIbLb0EES1C_EEDaS17_S18_EUlS17_E_NS1_11comp_targetILNS1_3genE8ELNS1_11target_archE1030ELNS1_3gpuE2ELNS1_3repE0EEENS1_30default_config_static_selectorELNS0_4arch9wavefront6targetE1EEEvT1_: ; @_ZN7rocprim17ROCPRIM_400000_NS6detail17trampoline_kernelINS0_14default_configENS1_25partition_config_selectorILNS1_17partition_subalgoE8ElNS0_10empty_typeEbEEZZNS1_14partition_implILS5_8ELb0ES3_jPlPS6_PKS6_NS0_5tupleIJS9_S6_EEENSD_IJSA_SA_EEENS0_18inequality_wrapperIZN2at6native12_GLOBAL__N_124unique_dim_cuda_templateIsEESt5tupleIJNSH_6TensorESM_SM_EERKSM_lbbbEUlllE0_EEPmJS6_EEE10hipError_tPvRmT3_T4_T5_T6_T7_T9_mT8_P12ihipStream_tbDpT10_ENKUlT_T0_E_clISt17integral_constantIbLb0EES1C_EEDaS17_S18_EUlS17_E_NS1_11comp_targetILNS1_3genE8ELNS1_11target_archE1030ELNS1_3gpuE2ELNS1_3repE0EEENS1_30default_config_static_selectorELNS0_4arch9wavefront6targetE1EEEvT1_
; %bb.0:
	.section	.rodata,"a",@progbits
	.p2align	6, 0x0
	.amdhsa_kernel _ZN7rocprim17ROCPRIM_400000_NS6detail17trampoline_kernelINS0_14default_configENS1_25partition_config_selectorILNS1_17partition_subalgoE8ElNS0_10empty_typeEbEEZZNS1_14partition_implILS5_8ELb0ES3_jPlPS6_PKS6_NS0_5tupleIJS9_S6_EEENSD_IJSA_SA_EEENS0_18inequality_wrapperIZN2at6native12_GLOBAL__N_124unique_dim_cuda_templateIsEESt5tupleIJNSH_6TensorESM_SM_EERKSM_lbbbEUlllE0_EEPmJS6_EEE10hipError_tPvRmT3_T4_T5_T6_T7_T9_mT8_P12ihipStream_tbDpT10_ENKUlT_T0_E_clISt17integral_constantIbLb0EES1C_EEDaS17_S18_EUlS17_E_NS1_11comp_targetILNS1_3genE8ELNS1_11target_archE1030ELNS1_3gpuE2ELNS1_3repE0EEENS1_30default_config_static_selectorELNS0_4arch9wavefront6targetE1EEEvT1_
		.amdhsa_group_segment_fixed_size 0
		.amdhsa_private_segment_fixed_size 0
		.amdhsa_kernarg_size 120
		.amdhsa_user_sgpr_count 2
		.amdhsa_user_sgpr_dispatch_ptr 0
		.amdhsa_user_sgpr_queue_ptr 0
		.amdhsa_user_sgpr_kernarg_segment_ptr 1
		.amdhsa_user_sgpr_dispatch_id 0
		.amdhsa_user_sgpr_kernarg_preload_length 0
		.amdhsa_user_sgpr_kernarg_preload_offset 0
		.amdhsa_user_sgpr_private_segment_size 0
		.amdhsa_uses_dynamic_stack 0
		.amdhsa_enable_private_segment 0
		.amdhsa_system_sgpr_workgroup_id_x 1
		.amdhsa_system_sgpr_workgroup_id_y 0
		.amdhsa_system_sgpr_workgroup_id_z 0
		.amdhsa_system_sgpr_workgroup_info 0
		.amdhsa_system_vgpr_workitem_id 0
		.amdhsa_next_free_vgpr 1
		.amdhsa_next_free_sgpr 0
		.amdhsa_accum_offset 4
		.amdhsa_reserve_vcc 0
		.amdhsa_float_round_mode_32 0
		.amdhsa_float_round_mode_16_64 0
		.amdhsa_float_denorm_mode_32 3
		.amdhsa_float_denorm_mode_16_64 3
		.amdhsa_dx10_clamp 1
		.amdhsa_ieee_mode 1
		.amdhsa_fp16_overflow 0
		.amdhsa_tg_split 0
		.amdhsa_exception_fp_ieee_invalid_op 0
		.amdhsa_exception_fp_denorm_src 0
		.amdhsa_exception_fp_ieee_div_zero 0
		.amdhsa_exception_fp_ieee_overflow 0
		.amdhsa_exception_fp_ieee_underflow 0
		.amdhsa_exception_fp_ieee_inexact 0
		.amdhsa_exception_int_div_zero 0
	.end_amdhsa_kernel
	.section	.text._ZN7rocprim17ROCPRIM_400000_NS6detail17trampoline_kernelINS0_14default_configENS1_25partition_config_selectorILNS1_17partition_subalgoE8ElNS0_10empty_typeEbEEZZNS1_14partition_implILS5_8ELb0ES3_jPlPS6_PKS6_NS0_5tupleIJS9_S6_EEENSD_IJSA_SA_EEENS0_18inequality_wrapperIZN2at6native12_GLOBAL__N_124unique_dim_cuda_templateIsEESt5tupleIJNSH_6TensorESM_SM_EERKSM_lbbbEUlllE0_EEPmJS6_EEE10hipError_tPvRmT3_T4_T5_T6_T7_T9_mT8_P12ihipStream_tbDpT10_ENKUlT_T0_E_clISt17integral_constantIbLb0EES1C_EEDaS17_S18_EUlS17_E_NS1_11comp_targetILNS1_3genE8ELNS1_11target_archE1030ELNS1_3gpuE2ELNS1_3repE0EEENS1_30default_config_static_selectorELNS0_4arch9wavefront6targetE1EEEvT1_,"axG",@progbits,_ZN7rocprim17ROCPRIM_400000_NS6detail17trampoline_kernelINS0_14default_configENS1_25partition_config_selectorILNS1_17partition_subalgoE8ElNS0_10empty_typeEbEEZZNS1_14partition_implILS5_8ELb0ES3_jPlPS6_PKS6_NS0_5tupleIJS9_S6_EEENSD_IJSA_SA_EEENS0_18inequality_wrapperIZN2at6native12_GLOBAL__N_124unique_dim_cuda_templateIsEESt5tupleIJNSH_6TensorESM_SM_EERKSM_lbbbEUlllE0_EEPmJS6_EEE10hipError_tPvRmT3_T4_T5_T6_T7_T9_mT8_P12ihipStream_tbDpT10_ENKUlT_T0_E_clISt17integral_constantIbLb0EES1C_EEDaS17_S18_EUlS17_E_NS1_11comp_targetILNS1_3genE8ELNS1_11target_archE1030ELNS1_3gpuE2ELNS1_3repE0EEENS1_30default_config_static_selectorELNS0_4arch9wavefront6targetE1EEEvT1_,comdat
.Lfunc_end697:
	.size	_ZN7rocprim17ROCPRIM_400000_NS6detail17trampoline_kernelINS0_14default_configENS1_25partition_config_selectorILNS1_17partition_subalgoE8ElNS0_10empty_typeEbEEZZNS1_14partition_implILS5_8ELb0ES3_jPlPS6_PKS6_NS0_5tupleIJS9_S6_EEENSD_IJSA_SA_EEENS0_18inequality_wrapperIZN2at6native12_GLOBAL__N_124unique_dim_cuda_templateIsEESt5tupleIJNSH_6TensorESM_SM_EERKSM_lbbbEUlllE0_EEPmJS6_EEE10hipError_tPvRmT3_T4_T5_T6_T7_T9_mT8_P12ihipStream_tbDpT10_ENKUlT_T0_E_clISt17integral_constantIbLb0EES1C_EEDaS17_S18_EUlS17_E_NS1_11comp_targetILNS1_3genE8ELNS1_11target_archE1030ELNS1_3gpuE2ELNS1_3repE0EEENS1_30default_config_static_selectorELNS0_4arch9wavefront6targetE1EEEvT1_, .Lfunc_end697-_ZN7rocprim17ROCPRIM_400000_NS6detail17trampoline_kernelINS0_14default_configENS1_25partition_config_selectorILNS1_17partition_subalgoE8ElNS0_10empty_typeEbEEZZNS1_14partition_implILS5_8ELb0ES3_jPlPS6_PKS6_NS0_5tupleIJS9_S6_EEENSD_IJSA_SA_EEENS0_18inequality_wrapperIZN2at6native12_GLOBAL__N_124unique_dim_cuda_templateIsEESt5tupleIJNSH_6TensorESM_SM_EERKSM_lbbbEUlllE0_EEPmJS6_EEE10hipError_tPvRmT3_T4_T5_T6_T7_T9_mT8_P12ihipStream_tbDpT10_ENKUlT_T0_E_clISt17integral_constantIbLb0EES1C_EEDaS17_S18_EUlS17_E_NS1_11comp_targetILNS1_3genE8ELNS1_11target_archE1030ELNS1_3gpuE2ELNS1_3repE0EEENS1_30default_config_static_selectorELNS0_4arch9wavefront6targetE1EEEvT1_
                                        ; -- End function
	.section	.AMDGPU.csdata,"",@progbits
; Kernel info:
; codeLenInByte = 0
; NumSgprs: 6
; NumVgprs: 0
; NumAgprs: 0
; TotalNumVgprs: 0
; ScratchSize: 0
; MemoryBound: 0
; FloatMode: 240
; IeeeMode: 1
; LDSByteSize: 0 bytes/workgroup (compile time only)
; SGPRBlocks: 0
; VGPRBlocks: 0
; NumSGPRsForWavesPerEU: 6
; NumVGPRsForWavesPerEU: 1
; AccumOffset: 4
; Occupancy: 8
; WaveLimiterHint : 0
; COMPUTE_PGM_RSRC2:SCRATCH_EN: 0
; COMPUTE_PGM_RSRC2:USER_SGPR: 2
; COMPUTE_PGM_RSRC2:TRAP_HANDLER: 0
; COMPUTE_PGM_RSRC2:TGID_X_EN: 1
; COMPUTE_PGM_RSRC2:TGID_Y_EN: 0
; COMPUTE_PGM_RSRC2:TGID_Z_EN: 0
; COMPUTE_PGM_RSRC2:TIDIG_COMP_CNT: 0
; COMPUTE_PGM_RSRC3_GFX90A:ACCUM_OFFSET: 0
; COMPUTE_PGM_RSRC3_GFX90A:TG_SPLIT: 0
	.section	.text._ZN7rocprim17ROCPRIM_400000_NS6detail17trampoline_kernelINS0_14default_configENS1_25partition_config_selectorILNS1_17partition_subalgoE8ElNS0_10empty_typeEbEEZZNS1_14partition_implILS5_8ELb0ES3_jPlPS6_PKS6_NS0_5tupleIJS9_S6_EEENSD_IJSA_SA_EEENS0_18inequality_wrapperIZN2at6native12_GLOBAL__N_124unique_dim_cuda_templateIsEESt5tupleIJNSH_6TensorESM_SM_EERKSM_lbbbEUlllE0_EEPmJS6_EEE10hipError_tPvRmT3_T4_T5_T6_T7_T9_mT8_P12ihipStream_tbDpT10_ENKUlT_T0_E_clISt17integral_constantIbLb1EES1C_EEDaS17_S18_EUlS17_E_NS1_11comp_targetILNS1_3genE0ELNS1_11target_archE4294967295ELNS1_3gpuE0ELNS1_3repE0EEENS1_30default_config_static_selectorELNS0_4arch9wavefront6targetE1EEEvT1_,"axG",@progbits,_ZN7rocprim17ROCPRIM_400000_NS6detail17trampoline_kernelINS0_14default_configENS1_25partition_config_selectorILNS1_17partition_subalgoE8ElNS0_10empty_typeEbEEZZNS1_14partition_implILS5_8ELb0ES3_jPlPS6_PKS6_NS0_5tupleIJS9_S6_EEENSD_IJSA_SA_EEENS0_18inequality_wrapperIZN2at6native12_GLOBAL__N_124unique_dim_cuda_templateIsEESt5tupleIJNSH_6TensorESM_SM_EERKSM_lbbbEUlllE0_EEPmJS6_EEE10hipError_tPvRmT3_T4_T5_T6_T7_T9_mT8_P12ihipStream_tbDpT10_ENKUlT_T0_E_clISt17integral_constantIbLb1EES1C_EEDaS17_S18_EUlS17_E_NS1_11comp_targetILNS1_3genE0ELNS1_11target_archE4294967295ELNS1_3gpuE0ELNS1_3repE0EEENS1_30default_config_static_selectorELNS0_4arch9wavefront6targetE1EEEvT1_,comdat
	.globl	_ZN7rocprim17ROCPRIM_400000_NS6detail17trampoline_kernelINS0_14default_configENS1_25partition_config_selectorILNS1_17partition_subalgoE8ElNS0_10empty_typeEbEEZZNS1_14partition_implILS5_8ELb0ES3_jPlPS6_PKS6_NS0_5tupleIJS9_S6_EEENSD_IJSA_SA_EEENS0_18inequality_wrapperIZN2at6native12_GLOBAL__N_124unique_dim_cuda_templateIsEESt5tupleIJNSH_6TensorESM_SM_EERKSM_lbbbEUlllE0_EEPmJS6_EEE10hipError_tPvRmT3_T4_T5_T6_T7_T9_mT8_P12ihipStream_tbDpT10_ENKUlT_T0_E_clISt17integral_constantIbLb1EES1C_EEDaS17_S18_EUlS17_E_NS1_11comp_targetILNS1_3genE0ELNS1_11target_archE4294967295ELNS1_3gpuE0ELNS1_3repE0EEENS1_30default_config_static_selectorELNS0_4arch9wavefront6targetE1EEEvT1_ ; -- Begin function _ZN7rocprim17ROCPRIM_400000_NS6detail17trampoline_kernelINS0_14default_configENS1_25partition_config_selectorILNS1_17partition_subalgoE8ElNS0_10empty_typeEbEEZZNS1_14partition_implILS5_8ELb0ES3_jPlPS6_PKS6_NS0_5tupleIJS9_S6_EEENSD_IJSA_SA_EEENS0_18inequality_wrapperIZN2at6native12_GLOBAL__N_124unique_dim_cuda_templateIsEESt5tupleIJNSH_6TensorESM_SM_EERKSM_lbbbEUlllE0_EEPmJS6_EEE10hipError_tPvRmT3_T4_T5_T6_T7_T9_mT8_P12ihipStream_tbDpT10_ENKUlT_T0_E_clISt17integral_constantIbLb1EES1C_EEDaS17_S18_EUlS17_E_NS1_11comp_targetILNS1_3genE0ELNS1_11target_archE4294967295ELNS1_3gpuE0ELNS1_3repE0EEENS1_30default_config_static_selectorELNS0_4arch9wavefront6targetE1EEEvT1_
	.p2align	8
	.type	_ZN7rocprim17ROCPRIM_400000_NS6detail17trampoline_kernelINS0_14default_configENS1_25partition_config_selectorILNS1_17partition_subalgoE8ElNS0_10empty_typeEbEEZZNS1_14partition_implILS5_8ELb0ES3_jPlPS6_PKS6_NS0_5tupleIJS9_S6_EEENSD_IJSA_SA_EEENS0_18inequality_wrapperIZN2at6native12_GLOBAL__N_124unique_dim_cuda_templateIsEESt5tupleIJNSH_6TensorESM_SM_EERKSM_lbbbEUlllE0_EEPmJS6_EEE10hipError_tPvRmT3_T4_T5_T6_T7_T9_mT8_P12ihipStream_tbDpT10_ENKUlT_T0_E_clISt17integral_constantIbLb1EES1C_EEDaS17_S18_EUlS17_E_NS1_11comp_targetILNS1_3genE0ELNS1_11target_archE4294967295ELNS1_3gpuE0ELNS1_3repE0EEENS1_30default_config_static_selectorELNS0_4arch9wavefront6targetE1EEEvT1_,@function
_ZN7rocprim17ROCPRIM_400000_NS6detail17trampoline_kernelINS0_14default_configENS1_25partition_config_selectorILNS1_17partition_subalgoE8ElNS0_10empty_typeEbEEZZNS1_14partition_implILS5_8ELb0ES3_jPlPS6_PKS6_NS0_5tupleIJS9_S6_EEENSD_IJSA_SA_EEENS0_18inequality_wrapperIZN2at6native12_GLOBAL__N_124unique_dim_cuda_templateIsEESt5tupleIJNSH_6TensorESM_SM_EERKSM_lbbbEUlllE0_EEPmJS6_EEE10hipError_tPvRmT3_T4_T5_T6_T7_T9_mT8_P12ihipStream_tbDpT10_ENKUlT_T0_E_clISt17integral_constantIbLb1EES1C_EEDaS17_S18_EUlS17_E_NS1_11comp_targetILNS1_3genE0ELNS1_11target_archE4294967295ELNS1_3gpuE0ELNS1_3repE0EEENS1_30default_config_static_selectorELNS0_4arch9wavefront6targetE1EEEvT1_: ; @_ZN7rocprim17ROCPRIM_400000_NS6detail17trampoline_kernelINS0_14default_configENS1_25partition_config_selectorILNS1_17partition_subalgoE8ElNS0_10empty_typeEbEEZZNS1_14partition_implILS5_8ELb0ES3_jPlPS6_PKS6_NS0_5tupleIJS9_S6_EEENSD_IJSA_SA_EEENS0_18inequality_wrapperIZN2at6native12_GLOBAL__N_124unique_dim_cuda_templateIsEESt5tupleIJNSH_6TensorESM_SM_EERKSM_lbbbEUlllE0_EEPmJS6_EEE10hipError_tPvRmT3_T4_T5_T6_T7_T9_mT8_P12ihipStream_tbDpT10_ENKUlT_T0_E_clISt17integral_constantIbLb1EES1C_EEDaS17_S18_EUlS17_E_NS1_11comp_targetILNS1_3genE0ELNS1_11target_archE4294967295ELNS1_3gpuE0ELNS1_3repE0EEENS1_30default_config_static_selectorELNS0_4arch9wavefront6targetE1EEEvT1_
; %bb.0:
	.section	.rodata,"a",@progbits
	.p2align	6, 0x0
	.amdhsa_kernel _ZN7rocprim17ROCPRIM_400000_NS6detail17trampoline_kernelINS0_14default_configENS1_25partition_config_selectorILNS1_17partition_subalgoE8ElNS0_10empty_typeEbEEZZNS1_14partition_implILS5_8ELb0ES3_jPlPS6_PKS6_NS0_5tupleIJS9_S6_EEENSD_IJSA_SA_EEENS0_18inequality_wrapperIZN2at6native12_GLOBAL__N_124unique_dim_cuda_templateIsEESt5tupleIJNSH_6TensorESM_SM_EERKSM_lbbbEUlllE0_EEPmJS6_EEE10hipError_tPvRmT3_T4_T5_T6_T7_T9_mT8_P12ihipStream_tbDpT10_ENKUlT_T0_E_clISt17integral_constantIbLb1EES1C_EEDaS17_S18_EUlS17_E_NS1_11comp_targetILNS1_3genE0ELNS1_11target_archE4294967295ELNS1_3gpuE0ELNS1_3repE0EEENS1_30default_config_static_selectorELNS0_4arch9wavefront6targetE1EEEvT1_
		.amdhsa_group_segment_fixed_size 0
		.amdhsa_private_segment_fixed_size 0
		.amdhsa_kernarg_size 136
		.amdhsa_user_sgpr_count 2
		.amdhsa_user_sgpr_dispatch_ptr 0
		.amdhsa_user_sgpr_queue_ptr 0
		.amdhsa_user_sgpr_kernarg_segment_ptr 1
		.amdhsa_user_sgpr_dispatch_id 0
		.amdhsa_user_sgpr_kernarg_preload_length 0
		.amdhsa_user_sgpr_kernarg_preload_offset 0
		.amdhsa_user_sgpr_private_segment_size 0
		.amdhsa_uses_dynamic_stack 0
		.amdhsa_enable_private_segment 0
		.amdhsa_system_sgpr_workgroup_id_x 1
		.amdhsa_system_sgpr_workgroup_id_y 0
		.amdhsa_system_sgpr_workgroup_id_z 0
		.amdhsa_system_sgpr_workgroup_info 0
		.amdhsa_system_vgpr_workitem_id 0
		.amdhsa_next_free_vgpr 1
		.amdhsa_next_free_sgpr 0
		.amdhsa_accum_offset 4
		.amdhsa_reserve_vcc 0
		.amdhsa_float_round_mode_32 0
		.amdhsa_float_round_mode_16_64 0
		.amdhsa_float_denorm_mode_32 3
		.amdhsa_float_denorm_mode_16_64 3
		.amdhsa_dx10_clamp 1
		.amdhsa_ieee_mode 1
		.amdhsa_fp16_overflow 0
		.amdhsa_tg_split 0
		.amdhsa_exception_fp_ieee_invalid_op 0
		.amdhsa_exception_fp_denorm_src 0
		.amdhsa_exception_fp_ieee_div_zero 0
		.amdhsa_exception_fp_ieee_overflow 0
		.amdhsa_exception_fp_ieee_underflow 0
		.amdhsa_exception_fp_ieee_inexact 0
		.amdhsa_exception_int_div_zero 0
	.end_amdhsa_kernel
	.section	.text._ZN7rocprim17ROCPRIM_400000_NS6detail17trampoline_kernelINS0_14default_configENS1_25partition_config_selectorILNS1_17partition_subalgoE8ElNS0_10empty_typeEbEEZZNS1_14partition_implILS5_8ELb0ES3_jPlPS6_PKS6_NS0_5tupleIJS9_S6_EEENSD_IJSA_SA_EEENS0_18inequality_wrapperIZN2at6native12_GLOBAL__N_124unique_dim_cuda_templateIsEESt5tupleIJNSH_6TensorESM_SM_EERKSM_lbbbEUlllE0_EEPmJS6_EEE10hipError_tPvRmT3_T4_T5_T6_T7_T9_mT8_P12ihipStream_tbDpT10_ENKUlT_T0_E_clISt17integral_constantIbLb1EES1C_EEDaS17_S18_EUlS17_E_NS1_11comp_targetILNS1_3genE0ELNS1_11target_archE4294967295ELNS1_3gpuE0ELNS1_3repE0EEENS1_30default_config_static_selectorELNS0_4arch9wavefront6targetE1EEEvT1_,"axG",@progbits,_ZN7rocprim17ROCPRIM_400000_NS6detail17trampoline_kernelINS0_14default_configENS1_25partition_config_selectorILNS1_17partition_subalgoE8ElNS0_10empty_typeEbEEZZNS1_14partition_implILS5_8ELb0ES3_jPlPS6_PKS6_NS0_5tupleIJS9_S6_EEENSD_IJSA_SA_EEENS0_18inequality_wrapperIZN2at6native12_GLOBAL__N_124unique_dim_cuda_templateIsEESt5tupleIJNSH_6TensorESM_SM_EERKSM_lbbbEUlllE0_EEPmJS6_EEE10hipError_tPvRmT3_T4_T5_T6_T7_T9_mT8_P12ihipStream_tbDpT10_ENKUlT_T0_E_clISt17integral_constantIbLb1EES1C_EEDaS17_S18_EUlS17_E_NS1_11comp_targetILNS1_3genE0ELNS1_11target_archE4294967295ELNS1_3gpuE0ELNS1_3repE0EEENS1_30default_config_static_selectorELNS0_4arch9wavefront6targetE1EEEvT1_,comdat
.Lfunc_end698:
	.size	_ZN7rocprim17ROCPRIM_400000_NS6detail17trampoline_kernelINS0_14default_configENS1_25partition_config_selectorILNS1_17partition_subalgoE8ElNS0_10empty_typeEbEEZZNS1_14partition_implILS5_8ELb0ES3_jPlPS6_PKS6_NS0_5tupleIJS9_S6_EEENSD_IJSA_SA_EEENS0_18inequality_wrapperIZN2at6native12_GLOBAL__N_124unique_dim_cuda_templateIsEESt5tupleIJNSH_6TensorESM_SM_EERKSM_lbbbEUlllE0_EEPmJS6_EEE10hipError_tPvRmT3_T4_T5_T6_T7_T9_mT8_P12ihipStream_tbDpT10_ENKUlT_T0_E_clISt17integral_constantIbLb1EES1C_EEDaS17_S18_EUlS17_E_NS1_11comp_targetILNS1_3genE0ELNS1_11target_archE4294967295ELNS1_3gpuE0ELNS1_3repE0EEENS1_30default_config_static_selectorELNS0_4arch9wavefront6targetE1EEEvT1_, .Lfunc_end698-_ZN7rocprim17ROCPRIM_400000_NS6detail17trampoline_kernelINS0_14default_configENS1_25partition_config_selectorILNS1_17partition_subalgoE8ElNS0_10empty_typeEbEEZZNS1_14partition_implILS5_8ELb0ES3_jPlPS6_PKS6_NS0_5tupleIJS9_S6_EEENSD_IJSA_SA_EEENS0_18inequality_wrapperIZN2at6native12_GLOBAL__N_124unique_dim_cuda_templateIsEESt5tupleIJNSH_6TensorESM_SM_EERKSM_lbbbEUlllE0_EEPmJS6_EEE10hipError_tPvRmT3_T4_T5_T6_T7_T9_mT8_P12ihipStream_tbDpT10_ENKUlT_T0_E_clISt17integral_constantIbLb1EES1C_EEDaS17_S18_EUlS17_E_NS1_11comp_targetILNS1_3genE0ELNS1_11target_archE4294967295ELNS1_3gpuE0ELNS1_3repE0EEENS1_30default_config_static_selectorELNS0_4arch9wavefront6targetE1EEEvT1_
                                        ; -- End function
	.section	.AMDGPU.csdata,"",@progbits
; Kernel info:
; codeLenInByte = 0
; NumSgprs: 6
; NumVgprs: 0
; NumAgprs: 0
; TotalNumVgprs: 0
; ScratchSize: 0
; MemoryBound: 0
; FloatMode: 240
; IeeeMode: 1
; LDSByteSize: 0 bytes/workgroup (compile time only)
; SGPRBlocks: 0
; VGPRBlocks: 0
; NumSGPRsForWavesPerEU: 6
; NumVGPRsForWavesPerEU: 1
; AccumOffset: 4
; Occupancy: 8
; WaveLimiterHint : 0
; COMPUTE_PGM_RSRC2:SCRATCH_EN: 0
; COMPUTE_PGM_RSRC2:USER_SGPR: 2
; COMPUTE_PGM_RSRC2:TRAP_HANDLER: 0
; COMPUTE_PGM_RSRC2:TGID_X_EN: 1
; COMPUTE_PGM_RSRC2:TGID_Y_EN: 0
; COMPUTE_PGM_RSRC2:TGID_Z_EN: 0
; COMPUTE_PGM_RSRC2:TIDIG_COMP_CNT: 0
; COMPUTE_PGM_RSRC3_GFX90A:ACCUM_OFFSET: 0
; COMPUTE_PGM_RSRC3_GFX90A:TG_SPLIT: 0
	.section	.text._ZN7rocprim17ROCPRIM_400000_NS6detail17trampoline_kernelINS0_14default_configENS1_25partition_config_selectorILNS1_17partition_subalgoE8ElNS0_10empty_typeEbEEZZNS1_14partition_implILS5_8ELb0ES3_jPlPS6_PKS6_NS0_5tupleIJS9_S6_EEENSD_IJSA_SA_EEENS0_18inequality_wrapperIZN2at6native12_GLOBAL__N_124unique_dim_cuda_templateIsEESt5tupleIJNSH_6TensorESM_SM_EERKSM_lbbbEUlllE0_EEPmJS6_EEE10hipError_tPvRmT3_T4_T5_T6_T7_T9_mT8_P12ihipStream_tbDpT10_ENKUlT_T0_E_clISt17integral_constantIbLb1EES1C_EEDaS17_S18_EUlS17_E_NS1_11comp_targetILNS1_3genE5ELNS1_11target_archE942ELNS1_3gpuE9ELNS1_3repE0EEENS1_30default_config_static_selectorELNS0_4arch9wavefront6targetE1EEEvT1_,"axG",@progbits,_ZN7rocprim17ROCPRIM_400000_NS6detail17trampoline_kernelINS0_14default_configENS1_25partition_config_selectorILNS1_17partition_subalgoE8ElNS0_10empty_typeEbEEZZNS1_14partition_implILS5_8ELb0ES3_jPlPS6_PKS6_NS0_5tupleIJS9_S6_EEENSD_IJSA_SA_EEENS0_18inequality_wrapperIZN2at6native12_GLOBAL__N_124unique_dim_cuda_templateIsEESt5tupleIJNSH_6TensorESM_SM_EERKSM_lbbbEUlllE0_EEPmJS6_EEE10hipError_tPvRmT3_T4_T5_T6_T7_T9_mT8_P12ihipStream_tbDpT10_ENKUlT_T0_E_clISt17integral_constantIbLb1EES1C_EEDaS17_S18_EUlS17_E_NS1_11comp_targetILNS1_3genE5ELNS1_11target_archE942ELNS1_3gpuE9ELNS1_3repE0EEENS1_30default_config_static_selectorELNS0_4arch9wavefront6targetE1EEEvT1_,comdat
	.globl	_ZN7rocprim17ROCPRIM_400000_NS6detail17trampoline_kernelINS0_14default_configENS1_25partition_config_selectorILNS1_17partition_subalgoE8ElNS0_10empty_typeEbEEZZNS1_14partition_implILS5_8ELb0ES3_jPlPS6_PKS6_NS0_5tupleIJS9_S6_EEENSD_IJSA_SA_EEENS0_18inequality_wrapperIZN2at6native12_GLOBAL__N_124unique_dim_cuda_templateIsEESt5tupleIJNSH_6TensorESM_SM_EERKSM_lbbbEUlllE0_EEPmJS6_EEE10hipError_tPvRmT3_T4_T5_T6_T7_T9_mT8_P12ihipStream_tbDpT10_ENKUlT_T0_E_clISt17integral_constantIbLb1EES1C_EEDaS17_S18_EUlS17_E_NS1_11comp_targetILNS1_3genE5ELNS1_11target_archE942ELNS1_3gpuE9ELNS1_3repE0EEENS1_30default_config_static_selectorELNS0_4arch9wavefront6targetE1EEEvT1_ ; -- Begin function _ZN7rocprim17ROCPRIM_400000_NS6detail17trampoline_kernelINS0_14default_configENS1_25partition_config_selectorILNS1_17partition_subalgoE8ElNS0_10empty_typeEbEEZZNS1_14partition_implILS5_8ELb0ES3_jPlPS6_PKS6_NS0_5tupleIJS9_S6_EEENSD_IJSA_SA_EEENS0_18inequality_wrapperIZN2at6native12_GLOBAL__N_124unique_dim_cuda_templateIsEESt5tupleIJNSH_6TensorESM_SM_EERKSM_lbbbEUlllE0_EEPmJS6_EEE10hipError_tPvRmT3_T4_T5_T6_T7_T9_mT8_P12ihipStream_tbDpT10_ENKUlT_T0_E_clISt17integral_constantIbLb1EES1C_EEDaS17_S18_EUlS17_E_NS1_11comp_targetILNS1_3genE5ELNS1_11target_archE942ELNS1_3gpuE9ELNS1_3repE0EEENS1_30default_config_static_selectorELNS0_4arch9wavefront6targetE1EEEvT1_
	.p2align	8
	.type	_ZN7rocprim17ROCPRIM_400000_NS6detail17trampoline_kernelINS0_14default_configENS1_25partition_config_selectorILNS1_17partition_subalgoE8ElNS0_10empty_typeEbEEZZNS1_14partition_implILS5_8ELb0ES3_jPlPS6_PKS6_NS0_5tupleIJS9_S6_EEENSD_IJSA_SA_EEENS0_18inequality_wrapperIZN2at6native12_GLOBAL__N_124unique_dim_cuda_templateIsEESt5tupleIJNSH_6TensorESM_SM_EERKSM_lbbbEUlllE0_EEPmJS6_EEE10hipError_tPvRmT3_T4_T5_T6_T7_T9_mT8_P12ihipStream_tbDpT10_ENKUlT_T0_E_clISt17integral_constantIbLb1EES1C_EEDaS17_S18_EUlS17_E_NS1_11comp_targetILNS1_3genE5ELNS1_11target_archE942ELNS1_3gpuE9ELNS1_3repE0EEENS1_30default_config_static_selectorELNS0_4arch9wavefront6targetE1EEEvT1_,@function
_ZN7rocprim17ROCPRIM_400000_NS6detail17trampoline_kernelINS0_14default_configENS1_25partition_config_selectorILNS1_17partition_subalgoE8ElNS0_10empty_typeEbEEZZNS1_14partition_implILS5_8ELb0ES3_jPlPS6_PKS6_NS0_5tupleIJS9_S6_EEENSD_IJSA_SA_EEENS0_18inequality_wrapperIZN2at6native12_GLOBAL__N_124unique_dim_cuda_templateIsEESt5tupleIJNSH_6TensorESM_SM_EERKSM_lbbbEUlllE0_EEPmJS6_EEE10hipError_tPvRmT3_T4_T5_T6_T7_T9_mT8_P12ihipStream_tbDpT10_ENKUlT_T0_E_clISt17integral_constantIbLb1EES1C_EEDaS17_S18_EUlS17_E_NS1_11comp_targetILNS1_3genE5ELNS1_11target_archE942ELNS1_3gpuE9ELNS1_3repE0EEENS1_30default_config_static_selectorELNS0_4arch9wavefront6targetE1EEEvT1_: ; @_ZN7rocprim17ROCPRIM_400000_NS6detail17trampoline_kernelINS0_14default_configENS1_25partition_config_selectorILNS1_17partition_subalgoE8ElNS0_10empty_typeEbEEZZNS1_14partition_implILS5_8ELb0ES3_jPlPS6_PKS6_NS0_5tupleIJS9_S6_EEENSD_IJSA_SA_EEENS0_18inequality_wrapperIZN2at6native12_GLOBAL__N_124unique_dim_cuda_templateIsEESt5tupleIJNSH_6TensorESM_SM_EERKSM_lbbbEUlllE0_EEPmJS6_EEE10hipError_tPvRmT3_T4_T5_T6_T7_T9_mT8_P12ihipStream_tbDpT10_ENKUlT_T0_E_clISt17integral_constantIbLb1EES1C_EEDaS17_S18_EUlS17_E_NS1_11comp_targetILNS1_3genE5ELNS1_11target_archE942ELNS1_3gpuE9ELNS1_3repE0EEENS1_30default_config_static_selectorELNS0_4arch9wavefront6targetE1EEEvT1_
; %bb.0:
	s_load_dwordx2 s[34:35], s[0:1], 0x28
	s_load_dwordx8 s[20:27], s[0:1], 0x40
	s_load_dwordx4 s[28:31], s[0:1], 0x60
	v_cmp_ne_u32_e64 s[2:3], 0, v0
	v_cmp_eq_u32_e64 s[18:19], 0, v0
	s_and_saveexec_b64 s[4:5], s[18:19]
	s_cbranch_execz .LBB699_4
; %bb.1:
	s_mov_b64 s[8:9], exec
	v_mbcnt_lo_u32_b32 v1, s8, 0
	v_mbcnt_hi_u32_b32 v1, s9, v1
	v_cmp_eq_u32_e32 vcc, 0, v1
                                        ; implicit-def: $vgpr2
	s_and_saveexec_b64 s[6:7], vcc
	s_cbranch_execz .LBB699_3
; %bb.2:
	s_load_dwordx2 s[10:11], s[0:1], 0x78
	s_bcnt1_i32_b64 s8, s[8:9]
	v_mov_b32_e32 v2, 0
	v_mov_b32_e32 v3, s8
	s_waitcnt lgkmcnt(0)
	global_atomic_add v2, v2, v3, s[10:11] sc0
.LBB699_3:
	s_or_b64 exec, exec, s[6:7]
	s_waitcnt vmcnt(0)
	v_readfirstlane_b32 s6, v2
	v_mov_b32_e32 v2, 0
	s_nop 0
	v_add_u32_e32 v1, s6, v1
	ds_write_b32 v2, v1
.LBB699_4:
	s_or_b64 exec, exec, s[4:5]
	v_mov_b32_e32 v3, 0
	s_load_dwordx4 s[4:7], s[0:1], 0x8
	s_load_dword s10, s[0:1], 0x70
	s_waitcnt lgkmcnt(0)
	s_barrier
	ds_read_b32 v1, v3
	s_waitcnt lgkmcnt(0)
	s_barrier
	global_load_dwordx2 v[4:5], v3, s[22:23]
	s_lshl_b64 s[0:1], s[6:7], 3
	s_mul_i32 s12, s10, 0xe00
	s_add_u32 s0, s4, s0
	s_addc_u32 s1, s5, s1
	s_add_i32 s4, s12, s6
	s_add_i32 s10, s10, -1
	s_sub_i32 s52, s24, s4
	s_add_u32 s4, s6, s12
	s_movk_i32 s11, 0xe00
	s_addc_u32 s5, s7, 0
	v_readfirstlane_b32 s33, v1
	v_mov_b32_e32 v6, s24
	v_mov_b32_e32 v7, s25
	v_mul_lo_u32 v2, v1, s11
	s_cmp_eq_u32 s33, s10
	v_cmp_ge_u64_e32 vcc, s[4:5], v[6:7]
	v_lshlrev_b64 v[6:7], 3, v[2:3]
	s_cselect_b64 s[24:25], -1, 0
	v_lshl_add_u64 v[18:19], s[0:1], 0, v[6:7]
	s_and_b64 s[0:1], vcc, s[24:25]
	s_xor_b64 s[36:37], s[0:1], -1
	s_mov_b64 s[8:9], -1
	s_and_b64 vcc, exec, s[36:37]
	s_waitcnt vmcnt(0)
	v_readfirstlane_b32 s22, v4
	v_readfirstlane_b32 s23, v5
	s_cbranch_vccz .LBB699_6
; %bb.5:
	v_lshlrev_b32_e32 v2, 3, v0
	v_lshl_add_u64 v[4:5], v[18:19], 0, v[2:3]
	v_add_co_u32_e32 v8, vcc, 0x1000, v4
	v_readfirstlane_b32 s4, v18
	s_nop 0
	v_addc_co_u32_e32 v9, vcc, 0, v5, vcc
	v_add_co_u32_e32 v10, vcc, 0x2000, v4
	v_readfirstlane_b32 s5, v19
	s_nop 0
	v_addc_co_u32_e32 v11, vcc, 0, v5, vcc
	v_add_co_u32_e32 v12, vcc, 0x3000, v4
	s_mov_b64 s[8:9], 0
	s_nop 0
	v_addc_co_u32_e32 v13, vcc, 0, v5, vcc
	v_add_co_u32_e32 v14, vcc, 0x4000, v4
	global_load_dwordx2 v[6:7], v2, s[4:5]
	s_nop 0
	v_addc_co_u32_e32 v15, vcc, 0, v5, vcc
	global_load_dwordx2 v[16:17], v[8:9], off
	global_load_dwordx2 v[20:21], v[10:11], off
	;; [unrolled: 1-line block ×4, first 2 shown]
	v_add_co_u32_e32 v8, vcc, 0x5000, v4
	s_nop 1
	v_addc_co_u32_e32 v9, vcc, 0, v5, vcc
	v_add_co_u32_e32 v4, vcc, 0x6000, v4
	global_load_dwordx2 v[8:9], v[8:9], off
	s_nop 0
	v_addc_co_u32_e32 v5, vcc, 0, v5, vcc
	global_load_dwordx2 v[4:5], v[4:5], off
	s_waitcnt vmcnt(5)
	ds_write2st64_b64 v2, v[6:7], v[16:17] offset1:8
	s_waitcnt vmcnt(3)
	ds_write2st64_b64 v2, v[20:21], v[22:23] offset0:16 offset1:24
	s_waitcnt vmcnt(1)
	ds_write2st64_b64 v2, v[24:25], v[8:9] offset0:32 offset1:40
	s_waitcnt vmcnt(0)
	ds_write_b64 v2, v[4:5] offset:24576
	s_waitcnt lgkmcnt(0)
	s_barrier
.LBB699_6:
	s_andn2_b64 vcc, exec, s[8:9]
	s_addk_i32 s52, 0xe00
	s_cbranch_vccnz .LBB699_22
; %bb.7:
	v_cmp_gt_u32_e32 vcc, s52, v0
                                        ; implicit-def: $vgpr2_vgpr3_vgpr4_vgpr5_vgpr6_vgpr7_vgpr8_vgpr9_vgpr10_vgpr11_vgpr12_vgpr13_vgpr14_vgpr15_vgpr16_vgpr17
	s_and_saveexec_b64 s[4:5], vcc
	s_cbranch_execz .LBB699_9
; %bb.8:
	v_lshlrev_b32_e32 v1, 3, v0
	v_readfirstlane_b32 s8, v18
	v_readfirstlane_b32 s9, v19
	s_nop 4
	global_load_dwordx2 v[2:3], v1, s[8:9]
.LBB699_9:
	s_or_b64 exec, exec, s[4:5]
	v_or_b32_e32 v1, 0x200, v0
	v_cmp_gt_u32_e32 vcc, s52, v1
	s_and_saveexec_b64 s[4:5], vcc
	s_cbranch_execz .LBB699_11
; %bb.10:
	v_lshlrev_b32_e32 v1, 3, v1
	v_readfirstlane_b32 s8, v18
	v_readfirstlane_b32 s9, v19
	s_nop 4
	global_load_dwordx2 v[4:5], v1, s[8:9]
.LBB699_11:
	s_or_b64 exec, exec, s[4:5]
	v_or_b32_e32 v1, 0x400, v0
	v_cmp_gt_u32_e32 vcc, s52, v1
	;; [unrolled: 12-line block ×6, first 2 shown]
	s_and_saveexec_b64 s[4:5], vcc
	s_cbranch_execz .LBB699_21
; %bb.20:
	v_lshlrev_b32_e32 v1, 3, v1
	v_readfirstlane_b32 s8, v18
	v_readfirstlane_b32 s9, v19
	s_nop 4
	global_load_dwordx2 v[14:15], v1, s[8:9]
.LBB699_21:
	s_or_b64 exec, exec, s[4:5]
	v_lshlrev_b32_e32 v1, 3, v0
	s_waitcnt vmcnt(0)
	ds_write2st64_b64 v1, v[2:3], v[4:5] offset1:8
	ds_write2st64_b64 v1, v[6:7], v[8:9] offset0:16 offset1:24
	ds_write2st64_b64 v1, v[10:11], v[12:13] offset0:32 offset1:40
	ds_write_b64 v1, v[14:15] offset:24576
	s_waitcnt lgkmcnt(0)
	s_barrier
.LBB699_22:
	v_mul_u32_u24_e32 v1, 7, v0
	v_lshlrev_b32_e32 v32, 3, v1
	ds_read2_b64 v[10:13], v32 offset1:1
	ds_read2_b64 v[6:9], v32 offset0:2 offset1:3
	ds_read2_b64 v[2:5], v32 offset0:4 offset1:5
	ds_read_b64 v[14:15], v32 offset:48
	s_cmp_lg_u32 s33, 0
	s_cselect_b64 s[16:17], -1, 0
	s_cmp_lg_u64 s[6:7], 0
	s_cselect_b64 s[4:5], -1, 0
	s_or_b64 s[4:5], s[4:5], s[16:17]
	v_mad_u32_u24 v27, v0, 7, 1
	v_mad_u32_u24 v26, v0, 7, 2
	;; [unrolled: 1-line block ×6, first 2 shown]
	s_mov_b64 s[8:9], 0
	s_and_b64 vcc, exec, s[4:5]
	v_cmp_gt_i64_e64 s[4:5], s[26:27], 0
	s_waitcnt lgkmcnt(0)
	s_barrier
	s_cbranch_vccz .LBB699_31
; %bb.23:
	global_load_dwordx2 v[16:17], v[18:19], off offset:-8
	v_cndmask_b32_e64 v18, 0, 1, s[4:5]
	v_lshlrev_b32_e32 v33, 3, v0
	s_mov_b64 s[6:7], 0
	s_and_b64 vcc, exec, s[36:37]
	v_cmp_ne_u32_e64 s[4:5], 1, v18
	ds_write_b64 v33, v[14:15]
	s_cbranch_vccz .LBB699_33
; %bb.24:
	v_mul_lo_u32 v20, v5, s26
	v_mul_lo_u32 v21, v4, s27
	v_mad_u64_u32 v[18:19], s[8:9], v4, s26, 0
	v_add3_u32 v19, v19, v21, v20
	s_and_b64 vcc, exec, s[4:5]
	v_lshl_add_u64 v[18:19], v[18:19], 1, s[28:29]
	s_cbranch_vccnz .LBB699_36
; %bb.25:
	v_mul_lo_u32 v22, v15, s26
	v_mul_lo_u32 v23, v14, s27
	v_mad_u64_u32 v[20:21], s[6:7], v14, s26, 0
	v_add3_u32 v21, v21, v23, v22
	v_lshl_add_u64 v[20:21], v[20:21], 1, s[28:29]
	global_load_ushort v22, v[18:19], off
	global_load_ushort v23, v[20:21], off
	s_mov_b64 s[6:7], -1
	s_waitcnt vmcnt(0)
	v_cmp_eq_u16_e32 vcc, v22, v23
	s_and_saveexec_b64 s[8:9], vcc
	s_cbranch_execz .LBB699_35
; %bb.26:
	s_add_u32 s6, s26, -1
	v_lshl_add_u64 v[20:21], v[20:21], 0, 2
	v_lshl_add_u64 v[22:23], v[18:19], 0, 2
	s_addc_u32 s7, s27, -1
	s_mov_b64 s[10:11], 0
	s_mov_b64 s[14:15], 0
                                        ; implicit-def: $sgpr12_sgpr13
	s_branch .LBB699_29
.LBB699_27:                             ;   in Loop: Header=BB699_29 Depth=1
	global_load_ushort v24, v[22:23], off
	global_load_ushort v25, v[20:21], off
	s_add_u32 s14, s14, 1
	s_addc_u32 s15, s15, 0
	s_andn2_b64 s[12:13], s[12:13], exec
	v_lshl_add_u64 v[20:21], v[20:21], 0, 2
	v_lshl_add_u64 v[22:23], v[22:23], 0, 2
	s_waitcnt vmcnt(0)
	v_cmp_ne_u16_e32 vcc, v24, v25
	s_and_b64 s[38:39], vcc, exec
	s_or_b64 s[12:13], s[12:13], s[38:39]
.LBB699_28:                             ;   in Loop: Header=BB699_29 Depth=1
	s_and_b64 s[38:39], exec, s[12:13]
	s_or_b64 s[10:11], s[38:39], s[10:11]
	v_mov_b64_e32 v[24:25], s[14:15]
	s_andn2_b64 exec, exec, s[10:11]
	s_cbranch_execz .LBB699_34
.LBB699_29:                             ; =>This Inner Loop Header: Depth=1
	s_or_b64 s[12:13], s[12:13], exec
	s_cmp_eq_u64 s[6:7], s[14:15]
	s_cbranch_scc0 .LBB699_27
; %bb.30:                               ;   in Loop: Header=BB699_29 Depth=1
                                        ; implicit-def: $vgpr20_vgpr21
                                        ; implicit-def: $vgpr22_vgpr23
	s_mov_b64 s[14:15], s[26:27]
	s_branch .LBB699_28
.LBB699_31:
                                        ; implicit-def: $sgpr12_sgpr13
                                        ; implicit-def: $vgpr35
                                        ; implicit-def: $vgpr34
                                        ; implicit-def: $vgpr25
                                        ; implicit-def: $vgpr20
	s_branch .LBB699_174
.LBB699_32:
                                        ; implicit-def: $vgpr16_vgpr17
	s_branch .LBB699_322
.LBB699_33:
                                        ; implicit-def: $sgpr12_sgpr13
                                        ; implicit-def: $vgpr35
                                        ; implicit-def: $vgpr34
                                        ; implicit-def: $vgpr25
                                        ; implicit-def: $vgpr20
	s_cbranch_execnz .LBB699_93
	s_branch .LBB699_173
.LBB699_34:
	s_or_b64 exec, exec, s[10:11]
	v_cmp_gt_i64_e32 vcc, s[26:27], v[24:25]
	s_orn2_b64 s[6:7], vcc, exec
.LBB699_35:
	s_or_b64 exec, exec, s[8:9]
.LBB699_36:
	v_mul_lo_u32 v22, v3, s26
	v_mul_lo_u32 v23, v2, s27
	v_mad_u64_u32 v[20:21], s[8:9], v2, s26, 0
	v_add3_u32 v21, v21, v23, v22
	s_mov_b64 s[8:9], 0
	s_and_b64 vcc, exec, s[4:5]
	v_lshl_add_u64 v[20:21], v[20:21], 1, s[28:29]
	s_mov_b64 s[10:11], 0
	s_cbranch_vccnz .LBB699_45
; %bb.37:
	global_load_ushort v22, v[20:21], off
	global_load_ushort v23, v[18:19], off
	s_mov_b64 s[10:11], -1
	s_waitcnt vmcnt(0)
	v_cmp_eq_u16_e32 vcc, v22, v23
	s_and_saveexec_b64 s[12:13], vcc
	s_cbranch_execz .LBB699_44
; %bb.38:
	s_add_u32 s10, s26, -1
	v_lshl_add_u64 v[18:19], v[18:19], 0, 2
	v_lshl_add_u64 v[22:23], v[20:21], 0, 2
	s_addc_u32 s11, s27, -1
	s_mov_b64 s[14:15], 0
	s_mov_b64 s[40:41], 0
                                        ; implicit-def: $sgpr38_sgpr39
	s_branch .LBB699_41
.LBB699_39:                             ;   in Loop: Header=BB699_41 Depth=1
	global_load_ushort v24, v[22:23], off
	global_load_ushort v25, v[18:19], off
	s_add_u32 s40, s40, 1
	s_addc_u32 s41, s41, 0
	s_andn2_b64 s[38:39], s[38:39], exec
	v_lshl_add_u64 v[18:19], v[18:19], 0, 2
	v_lshl_add_u64 v[22:23], v[22:23], 0, 2
	s_waitcnt vmcnt(0)
	v_cmp_ne_u16_e32 vcc, v24, v25
	s_and_b64 s[42:43], vcc, exec
	s_or_b64 s[38:39], s[38:39], s[42:43]
.LBB699_40:                             ;   in Loop: Header=BB699_41 Depth=1
	s_and_b64 s[42:43], exec, s[38:39]
	s_or_b64 s[14:15], s[42:43], s[14:15]
	v_mov_b64_e32 v[24:25], s[40:41]
	s_andn2_b64 exec, exec, s[14:15]
	s_cbranch_execz .LBB699_43
.LBB699_41:                             ; =>This Inner Loop Header: Depth=1
	s_or_b64 s[38:39], s[38:39], exec
	s_cmp_eq_u64 s[10:11], s[40:41]
	s_cbranch_scc0 .LBB699_39
; %bb.42:                               ;   in Loop: Header=BB699_41 Depth=1
                                        ; implicit-def: $vgpr18_vgpr19
                                        ; implicit-def: $vgpr22_vgpr23
	s_mov_b64 s[40:41], s[26:27]
	s_branch .LBB699_40
.LBB699_43:
	s_or_b64 exec, exec, s[14:15]
	v_cmp_gt_i64_e32 vcc, s[26:27], v[24:25]
	s_orn2_b64 s[10:11], vcc, exec
.LBB699_44:
	s_or_b64 exec, exec, s[12:13]
.LBB699_45:
	v_mul_lo_u32 v22, v9, s26
	v_mul_lo_u32 v23, v8, s27
	v_mad_u64_u32 v[18:19], s[12:13], v8, s26, 0
	v_add3_u32 v19, v19, v23, v22
	s_and_b64 vcc, exec, s[4:5]
	v_lshl_add_u64 v[18:19], v[18:19], 1, s[28:29]
	s_cbranch_vccnz .LBB699_54
; %bb.46:
	global_load_ushort v22, v[18:19], off
	global_load_ushort v23, v[20:21], off
	s_mov_b64 s[8:9], -1
	s_waitcnt vmcnt(0)
	v_cmp_eq_u16_e32 vcc, v22, v23
	s_and_saveexec_b64 s[12:13], vcc
	s_cbranch_execz .LBB699_53
; %bb.47:
	s_add_u32 s8, s26, -1
	v_lshl_add_u64 v[20:21], v[20:21], 0, 2
	v_lshl_add_u64 v[22:23], v[18:19], 0, 2
	s_addc_u32 s9, s27, -1
	s_mov_b64 s[14:15], 0
	s_mov_b64 s[40:41], 0
                                        ; implicit-def: $sgpr38_sgpr39
	s_branch .LBB699_50
.LBB699_48:                             ;   in Loop: Header=BB699_50 Depth=1
	global_load_ushort v24, v[22:23], off
	global_load_ushort v25, v[20:21], off
	s_add_u32 s40, s40, 1
	s_addc_u32 s41, s41, 0
	s_andn2_b64 s[38:39], s[38:39], exec
	v_lshl_add_u64 v[20:21], v[20:21], 0, 2
	v_lshl_add_u64 v[22:23], v[22:23], 0, 2
	s_waitcnt vmcnt(0)
	v_cmp_ne_u16_e32 vcc, v24, v25
	s_and_b64 s[42:43], vcc, exec
	s_or_b64 s[38:39], s[38:39], s[42:43]
.LBB699_49:                             ;   in Loop: Header=BB699_50 Depth=1
	s_and_b64 s[42:43], exec, s[38:39]
	s_or_b64 s[14:15], s[42:43], s[14:15]
	v_mov_b64_e32 v[24:25], s[40:41]
	s_andn2_b64 exec, exec, s[14:15]
	s_cbranch_execz .LBB699_52
.LBB699_50:                             ; =>This Inner Loop Header: Depth=1
	s_or_b64 s[38:39], s[38:39], exec
	s_cmp_eq_u64 s[8:9], s[40:41]
	s_cbranch_scc0 .LBB699_48
; %bb.51:                               ;   in Loop: Header=BB699_50 Depth=1
                                        ; implicit-def: $vgpr20_vgpr21
                                        ; implicit-def: $vgpr22_vgpr23
	s_mov_b64 s[40:41], s[26:27]
	s_branch .LBB699_49
.LBB699_52:
	s_or_b64 exec, exec, s[14:15]
	v_cmp_gt_i64_e32 vcc, s[26:27], v[24:25]
	s_orn2_b64 s[8:9], vcc, exec
.LBB699_53:
	s_or_b64 exec, exec, s[12:13]
.LBB699_54:
	v_mul_lo_u32 v22, v7, s26
	v_mul_lo_u32 v23, v6, s27
	v_mad_u64_u32 v[20:21], s[12:13], v6, s26, 0
	v_add3_u32 v21, v21, v23, v22
	s_mov_b64 s[12:13], 0
	s_and_b64 vcc, exec, s[4:5]
	v_lshl_add_u64 v[22:23], v[20:21], 1, s[28:29]
	s_mov_b64 s[14:15], 0
	s_cbranch_vccnz .LBB699_63
; %bb.55:
	global_load_ushort v20, v[22:23], off
	global_load_ushort v21, v[18:19], off
	s_mov_b64 s[14:15], -1
	s_waitcnt vmcnt(0)
	v_cmp_eq_u16_e32 vcc, v20, v21
	s_and_saveexec_b64 s[38:39], vcc
	s_cbranch_execz .LBB699_62
; %bb.56:
	s_add_u32 s14, s26, -1
	v_lshl_add_u64 v[18:19], v[18:19], 0, 2
	v_lshl_add_u64 v[20:21], v[22:23], 0, 2
	s_addc_u32 s15, s27, -1
	s_mov_b64 s[40:41], 0
	s_mov_b64 s[44:45], 0
                                        ; implicit-def: $sgpr42_sgpr43
	s_branch .LBB699_59
.LBB699_57:                             ;   in Loop: Header=BB699_59 Depth=1
	global_load_ushort v24, v[20:21], off
	global_load_ushort v25, v[18:19], off
	s_add_u32 s44, s44, 1
	s_addc_u32 s45, s45, 0
	s_andn2_b64 s[42:43], s[42:43], exec
	v_lshl_add_u64 v[18:19], v[18:19], 0, 2
	v_lshl_add_u64 v[20:21], v[20:21], 0, 2
	s_waitcnt vmcnt(0)
	v_cmp_ne_u16_e32 vcc, v24, v25
	s_and_b64 s[46:47], vcc, exec
	s_or_b64 s[42:43], s[42:43], s[46:47]
.LBB699_58:                             ;   in Loop: Header=BB699_59 Depth=1
	s_and_b64 s[46:47], exec, s[42:43]
	s_or_b64 s[40:41], s[46:47], s[40:41]
	v_mov_b64_e32 v[24:25], s[44:45]
	s_andn2_b64 exec, exec, s[40:41]
	s_cbranch_execz .LBB699_61
.LBB699_59:                             ; =>This Inner Loop Header: Depth=1
	s_or_b64 s[42:43], s[42:43], exec
	s_cmp_eq_u64 s[14:15], s[44:45]
	s_cbranch_scc0 .LBB699_57
; %bb.60:                               ;   in Loop: Header=BB699_59 Depth=1
                                        ; implicit-def: $vgpr18_vgpr19
                                        ; implicit-def: $vgpr20_vgpr21
	s_mov_b64 s[44:45], s[26:27]
	s_branch .LBB699_58
.LBB699_61:
	s_or_b64 exec, exec, s[40:41]
	v_cmp_gt_i64_e32 vcc, s[26:27], v[24:25]
	s_orn2_b64 s[14:15], vcc, exec
.LBB699_62:
	s_or_b64 exec, exec, s[38:39]
.LBB699_63:
	v_mul_lo_u32 v20, v13, s26
	v_mul_lo_u32 v21, v12, s27
	v_mad_u64_u32 v[18:19], s[38:39], v12, s26, 0
	v_add3_u32 v19, v19, v21, v20
	s_and_b64 vcc, exec, s[4:5]
	v_lshl_add_u64 v[20:21], v[18:19], 1, s[28:29]
	s_cbranch_vccnz .LBB699_72
; %bb.64:
	global_load_ushort v18, v[20:21], off
	global_load_ushort v19, v[22:23], off
	s_mov_b64 s[12:13], -1
	s_waitcnt vmcnt(0)
	v_cmp_eq_u16_e32 vcc, v18, v19
	s_and_saveexec_b64 s[38:39], vcc
	s_cbranch_execz .LBB699_71
; %bb.65:
	s_add_u32 s12, s26, -1
	v_lshl_add_u64 v[18:19], v[22:23], 0, 2
	v_lshl_add_u64 v[22:23], v[20:21], 0, 2
	s_addc_u32 s13, s27, -1
	s_mov_b64 s[40:41], 0
	s_mov_b64 s[44:45], 0
                                        ; implicit-def: $sgpr42_sgpr43
	s_branch .LBB699_68
.LBB699_66:                             ;   in Loop: Header=BB699_68 Depth=1
	global_load_ushort v24, v[22:23], off
	global_load_ushort v25, v[18:19], off
	s_add_u32 s44, s44, 1
	s_addc_u32 s45, s45, 0
	s_andn2_b64 s[42:43], s[42:43], exec
	v_lshl_add_u64 v[18:19], v[18:19], 0, 2
	v_lshl_add_u64 v[22:23], v[22:23], 0, 2
	s_waitcnt vmcnt(0)
	v_cmp_ne_u16_e32 vcc, v24, v25
	s_and_b64 s[46:47], vcc, exec
	s_or_b64 s[42:43], s[42:43], s[46:47]
.LBB699_67:                             ;   in Loop: Header=BB699_68 Depth=1
	s_and_b64 s[46:47], exec, s[42:43]
	s_or_b64 s[40:41], s[46:47], s[40:41]
	v_mov_b64_e32 v[24:25], s[44:45]
	s_andn2_b64 exec, exec, s[40:41]
	s_cbranch_execz .LBB699_70
.LBB699_68:                             ; =>This Inner Loop Header: Depth=1
	s_or_b64 s[42:43], s[42:43], exec
	s_cmp_eq_u64 s[12:13], s[44:45]
	s_cbranch_scc0 .LBB699_66
; %bb.69:                               ;   in Loop: Header=BB699_68 Depth=1
                                        ; implicit-def: $vgpr18_vgpr19
                                        ; implicit-def: $vgpr22_vgpr23
	s_mov_b64 s[44:45], s[26:27]
	s_branch .LBB699_67
.LBB699_70:
	s_or_b64 exec, exec, s[40:41]
	v_cmp_gt_i64_e32 vcc, s[26:27], v[24:25]
	s_orn2_b64 s[12:13], vcc, exec
.LBB699_71:
	s_or_b64 exec, exec, s[38:39]
.LBB699_72:
	v_mul_lo_u32 v22, v11, s26
	v_mul_lo_u32 v23, v10, s27
	v_mad_u64_u32 v[18:19], s[38:39], v10, s26, 0
	v_add3_u32 v19, v19, v23, v22
	s_mov_b64 s[40:41], 0
	s_and_b64 vcc, exec, s[4:5]
	v_lshl_add_u64 v[18:19], v[18:19], 1, s[28:29]
	s_cbranch_vccnz .LBB699_81
; %bb.73:
	global_load_ushort v22, v[18:19], off
	global_load_ushort v23, v[20:21], off
	s_mov_b64 s[40:41], -1
	s_waitcnt vmcnt(0)
	v_cmp_eq_u16_e32 vcc, v22, v23
	s_and_saveexec_b64 s[38:39], vcc
	s_cbranch_execz .LBB699_80
; %bb.74:
	s_add_u32 s40, s26, -1
	v_lshl_add_u64 v[20:21], v[20:21], 0, 2
	v_lshl_add_u64 v[22:23], v[18:19], 0, 2
	s_addc_u32 s41, s27, -1
	s_mov_b64 s[42:43], 0
	s_mov_b64 s[46:47], 0
                                        ; implicit-def: $sgpr44_sgpr45
	s_branch .LBB699_77
.LBB699_75:                             ;   in Loop: Header=BB699_77 Depth=1
	global_load_ushort v24, v[22:23], off
	global_load_ushort v25, v[20:21], off
	s_add_u32 s46, s46, 1
	s_addc_u32 s47, s47, 0
	s_andn2_b64 s[44:45], s[44:45], exec
	v_lshl_add_u64 v[20:21], v[20:21], 0, 2
	v_lshl_add_u64 v[22:23], v[22:23], 0, 2
	s_waitcnt vmcnt(0)
	v_cmp_ne_u16_e32 vcc, v24, v25
	s_and_b64 s[48:49], vcc, exec
	s_or_b64 s[44:45], s[44:45], s[48:49]
.LBB699_76:                             ;   in Loop: Header=BB699_77 Depth=1
	s_and_b64 s[48:49], exec, s[44:45]
	s_or_b64 s[42:43], s[48:49], s[42:43]
	v_mov_b64_e32 v[24:25], s[46:47]
	s_andn2_b64 exec, exec, s[42:43]
	s_cbranch_execz .LBB699_79
.LBB699_77:                             ; =>This Inner Loop Header: Depth=1
	s_or_b64 s[44:45], s[44:45], exec
	s_cmp_eq_u64 s[40:41], s[46:47]
	s_cbranch_scc0 .LBB699_75
; %bb.78:                               ;   in Loop: Header=BB699_77 Depth=1
                                        ; implicit-def: $vgpr20_vgpr21
                                        ; implicit-def: $vgpr22_vgpr23
	s_mov_b64 s[46:47], s[26:27]
	s_branch .LBB699_76
.LBB699_79:
	s_or_b64 exec, exec, s[42:43]
	v_cmp_gt_i64_e32 vcc, s[26:27], v[24:25]
	s_orn2_b64 s[40:41], vcc, exec
.LBB699_80:
	s_or_b64 exec, exec, s[38:39]
.LBB699_81:
	s_waitcnt vmcnt(0)
	v_mov_b64_e32 v[20:21], v[16:17]
	s_waitcnt lgkmcnt(0)
	s_barrier
	s_and_saveexec_b64 s[38:39], s[2:3]
	s_cbranch_execz .LBB699_83
; %bb.82:
	v_add_u32_e32 v20, -8, v33
	ds_read_b64 v[20:21], v20
.LBB699_83:
	s_or_b64 exec, exec, s[38:39]
	v_cndmask_b32_e64 v23, 0, 1, s[14:15]
	v_cndmask_b32_e64 v22, 0, 1, s[12:13]
	;; [unrolled: 1-line block ×3, first 2 shown]
	v_lshlrev_b16_e32 v23, 8, v23
	v_lshlrev_b16_e32 v24, 8, v24
	v_or_b32_sdwa v36, v22, v23 dst_sel:WORD_1 dst_unused:UNUSED_PAD src0_sel:DWORD src1_sel:DWORD
	s_mov_b64 s[14:15], 0
	s_and_b64 vcc, exec, s[4:5]
	s_mov_b64 s[12:13], 0
	s_cbranch_vccnz .LBB699_92
; %bb.84:
	s_waitcnt lgkmcnt(0)
	v_mul_lo_u32 v22, v21, s26
	v_mul_lo_u32 v23, v20, s27
	v_mad_u64_u32 v[20:21], s[12:13], v20, s26, 0
	v_add3_u32 v21, v21, v23, v22
	v_lshl_add_u64 v[20:21], v[20:21], 1, s[28:29]
	global_load_ushort v22, v[20:21], off
	global_load_ushort v23, v[18:19], off
	s_mov_b64 s[12:13], -1
	s_waitcnt vmcnt(0)
	v_cmp_eq_u16_e32 vcc, v22, v23
	s_and_saveexec_b64 s[38:39], vcc
	s_cbranch_execz .LBB699_91
; %bb.85:
	s_add_u32 s12, s26, -1
	v_lshl_add_u64 v[18:19], v[18:19], 0, 2
	v_lshl_add_u64 v[20:21], v[20:21], 0, 2
	s_addc_u32 s13, s27, -1
	s_mov_b64 s[40:41], 0
	s_mov_b64 s[44:45], 0
                                        ; implicit-def: $sgpr42_sgpr43
	s_branch .LBB699_88
.LBB699_86:                             ;   in Loop: Header=BB699_88 Depth=1
	global_load_ushort v22, v[20:21], off
	global_load_ushort v23, v[18:19], off
	s_add_u32 s44, s44, 1
	s_addc_u32 s45, s45, 0
	s_andn2_b64 s[42:43], s[42:43], exec
	v_lshl_add_u64 v[18:19], v[18:19], 0, 2
	v_lshl_add_u64 v[20:21], v[20:21], 0, 2
	s_waitcnt vmcnt(0)
	v_cmp_ne_u16_e32 vcc, v22, v23
	s_and_b64 s[46:47], vcc, exec
	s_or_b64 s[42:43], s[42:43], s[46:47]
.LBB699_87:                             ;   in Loop: Header=BB699_88 Depth=1
	s_and_b64 s[46:47], exec, s[42:43]
	s_or_b64 s[40:41], s[46:47], s[40:41]
	v_mov_b64_e32 v[22:23], s[44:45]
	s_andn2_b64 exec, exec, s[40:41]
	s_cbranch_execz .LBB699_90
.LBB699_88:                             ; =>This Inner Loop Header: Depth=1
	s_or_b64 s[42:43], s[42:43], exec
	s_cmp_eq_u64 s[12:13], s[44:45]
	s_cbranch_scc0 .LBB699_86
; %bb.89:                               ;   in Loop: Header=BB699_88 Depth=1
                                        ; implicit-def: $vgpr18_vgpr19
                                        ; implicit-def: $vgpr20_vgpr21
	s_mov_b64 s[44:45], s[26:27]
	s_branch .LBB699_87
.LBB699_90:
	s_or_b64 exec, exec, s[40:41]
	v_cmp_gt_i64_e32 vcc, s[26:27], v[22:23]
	s_orn2_b64 s[12:13], vcc, exec
.LBB699_91:
	s_or_b64 exec, exec, s[38:39]
.LBB699_92:
	v_cndmask_b32_e64 v25, 0, 1, s[8:9]
	v_cndmask_b32_e64 v34, 0, 1, s[10:11]
	;; [unrolled: 1-line block ×3, first 2 shown]
	s_waitcnt lgkmcnt(0)
	v_or_b32_e32 v20, v24, v36
	s_and_b64 vcc, exec, s[14:15]
	s_cbranch_vccz .LBB699_173
.LBB699_93:
	v_cmp_gt_u32_e32 vcc, s52, v29
	s_mov_b64 s[8:9], 0
	s_mov_b64 s[6:7], 0
	s_and_saveexec_b64 s[10:11], vcc
	s_cbranch_execz .LBB699_104
; %bb.94:
	s_and_b64 vcc, exec, s[4:5]
	s_mov_b64 s[12:13], 0
	s_cbranch_vccnz .LBB699_103
; %bb.95:
	v_mul_lo_u32 v20, v5, s26
	v_mul_lo_u32 v21, v4, s27
	v_mad_u64_u32 v[18:19], s[6:7], v4, s26, 0
	v_add3_u32 v19, v19, v21, v20
	v_mul_lo_u32 v20, v15, s26
	v_mul_lo_u32 v21, v14, s27
	v_mad_u64_u32 v[22:23], s[6:7], v14, s26, 0
	v_add3_u32 v23, v23, v21, v20
	v_lshl_add_u64 v[20:21], v[18:19], 1, s[28:29]
	v_lshl_add_u64 v[18:19], v[22:23], 1, s[28:29]
	global_load_ushort v22, v[20:21], off
	global_load_ushort v23, v[18:19], off
	s_mov_b64 s[12:13], -1
	s_waitcnt vmcnt(0)
	v_cmp_eq_u16_e32 vcc, v22, v23
	s_and_saveexec_b64 s[6:7], vcc
	s_cbranch_execz .LBB699_102
; %bb.96:
	s_add_u32 s12, s26, -1
	v_lshl_add_u64 v[18:19], v[18:19], 0, 2
	v_lshl_add_u64 v[20:21], v[20:21], 0, 2
	s_addc_u32 s13, s27, -1
	s_mov_b64 s[14:15], 0
	s_mov_b64 s[40:41], 0
                                        ; implicit-def: $sgpr38_sgpr39
	s_branch .LBB699_99
.LBB699_97:                             ;   in Loop: Header=BB699_99 Depth=1
	global_load_ushort v22, v[20:21], off
	global_load_ushort v23, v[18:19], off
	s_add_u32 s40, s40, 1
	s_addc_u32 s41, s41, 0
	s_andn2_b64 s[38:39], s[38:39], exec
	v_lshl_add_u64 v[18:19], v[18:19], 0, 2
	v_lshl_add_u64 v[20:21], v[20:21], 0, 2
	s_waitcnt vmcnt(0)
	v_cmp_ne_u16_e32 vcc, v22, v23
	s_and_b64 s[42:43], vcc, exec
	s_or_b64 s[38:39], s[38:39], s[42:43]
.LBB699_98:                             ;   in Loop: Header=BB699_99 Depth=1
	s_and_b64 s[42:43], exec, s[38:39]
	s_or_b64 s[14:15], s[42:43], s[14:15]
	v_mov_b64_e32 v[22:23], s[40:41]
	s_andn2_b64 exec, exec, s[14:15]
	s_cbranch_execz .LBB699_101
.LBB699_99:                             ; =>This Inner Loop Header: Depth=1
	s_or_b64 s[38:39], s[38:39], exec
	s_cmp_eq_u64 s[12:13], s[40:41]
	s_cbranch_scc0 .LBB699_97
; %bb.100:                              ;   in Loop: Header=BB699_99 Depth=1
                                        ; implicit-def: $vgpr18_vgpr19
                                        ; implicit-def: $vgpr20_vgpr21
	s_mov_b64 s[40:41], s[26:27]
	s_branch .LBB699_98
.LBB699_101:
	s_or_b64 exec, exec, s[14:15]
	v_cmp_gt_i64_e32 vcc, s[26:27], v[22:23]
	s_orn2_b64 s[12:13], vcc, exec
.LBB699_102:
	s_or_b64 exec, exec, s[6:7]
.LBB699_103:
	s_and_b64 s[6:7], s[12:13], exec
.LBB699_104:
	s_or_b64 exec, exec, s[10:11]
	v_cmp_gt_u32_e32 vcc, s52, v31
	s_and_saveexec_b64 s[10:11], vcc
	s_cbranch_execz .LBB699_115
; %bb.105:
	s_and_b64 vcc, exec, s[4:5]
	s_mov_b64 s[12:13], 0
	s_cbranch_vccnz .LBB699_114
; %bb.106:
	v_mul_lo_u32 v20, v3, s26
	v_mul_lo_u32 v21, v2, s27
	v_mad_u64_u32 v[18:19], s[8:9], v2, s26, 0
	v_add3_u32 v19, v19, v21, v20
	v_mul_lo_u32 v20, v5, s26
	v_mul_lo_u32 v21, v4, s27
	v_mad_u64_u32 v[22:23], s[8:9], v4, s26, 0
	v_add3_u32 v23, v23, v21, v20
	v_lshl_add_u64 v[20:21], v[18:19], 1, s[28:29]
	v_lshl_add_u64 v[18:19], v[22:23], 1, s[28:29]
	global_load_ushort v22, v[20:21], off
	global_load_ushort v23, v[18:19], off
	s_mov_b64 s[12:13], -1
	s_waitcnt vmcnt(0)
	v_cmp_eq_u16_e32 vcc, v22, v23
	s_and_saveexec_b64 s[8:9], vcc
	s_cbranch_execz .LBB699_113
; %bb.107:
	s_add_u32 s12, s26, -1
	v_lshl_add_u64 v[18:19], v[18:19], 0, 2
	v_lshl_add_u64 v[20:21], v[20:21], 0, 2
	s_addc_u32 s13, s27, -1
	s_mov_b64 s[14:15], 0
	s_mov_b64 s[40:41], 0
                                        ; implicit-def: $sgpr38_sgpr39
	s_branch .LBB699_110
.LBB699_108:                            ;   in Loop: Header=BB699_110 Depth=1
	global_load_ushort v22, v[20:21], off
	global_load_ushort v23, v[18:19], off
	s_add_u32 s40, s40, 1
	s_addc_u32 s41, s41, 0
	s_andn2_b64 s[38:39], s[38:39], exec
	v_lshl_add_u64 v[18:19], v[18:19], 0, 2
	v_lshl_add_u64 v[20:21], v[20:21], 0, 2
	s_waitcnt vmcnt(0)
	v_cmp_ne_u16_e32 vcc, v22, v23
	s_and_b64 s[42:43], vcc, exec
	s_or_b64 s[38:39], s[38:39], s[42:43]
.LBB699_109:                            ;   in Loop: Header=BB699_110 Depth=1
	s_and_b64 s[42:43], exec, s[38:39]
	s_or_b64 s[14:15], s[42:43], s[14:15]
	v_mov_b64_e32 v[22:23], s[40:41]
	s_andn2_b64 exec, exec, s[14:15]
	s_cbranch_execz .LBB699_112
.LBB699_110:                            ; =>This Inner Loop Header: Depth=1
	s_or_b64 s[38:39], s[38:39], exec
	s_cmp_eq_u64 s[12:13], s[40:41]
	s_cbranch_scc0 .LBB699_108
; %bb.111:                              ;   in Loop: Header=BB699_110 Depth=1
                                        ; implicit-def: $vgpr18_vgpr19
                                        ; implicit-def: $vgpr20_vgpr21
	s_mov_b64 s[40:41], s[26:27]
	s_branch .LBB699_109
.LBB699_112:
	s_or_b64 exec, exec, s[14:15]
	v_cmp_gt_i64_e32 vcc, s[26:27], v[22:23]
	s_orn2_b64 s[12:13], vcc, exec
.LBB699_113:
	s_or_b64 exec, exec, s[8:9]
.LBB699_114:
	s_and_b64 s[8:9], s[12:13], exec
.LBB699_115:
	s_or_b64 exec, exec, s[10:11]
	v_cmp_gt_u32_e32 vcc, s52, v28
	s_mov_b64 s[12:13], 0
	s_mov_b64 s[10:11], 0
	s_and_saveexec_b64 s[14:15], vcc
	s_cbranch_execz .LBB699_126
; %bb.116:
	s_and_b64 vcc, exec, s[4:5]
	s_mov_b64 s[38:39], 0
	s_cbranch_vccnz .LBB699_125
; %bb.117:
	v_mul_lo_u32 v20, v9, s26
	v_mul_lo_u32 v21, v8, s27
	v_mad_u64_u32 v[18:19], s[10:11], v8, s26, 0
	v_add3_u32 v19, v19, v21, v20
	v_mul_lo_u32 v20, v3, s26
	v_mul_lo_u32 v21, v2, s27
	v_mad_u64_u32 v[22:23], s[10:11], v2, s26, 0
	v_add3_u32 v23, v23, v21, v20
	v_lshl_add_u64 v[20:21], v[18:19], 1, s[28:29]
	v_lshl_add_u64 v[18:19], v[22:23], 1, s[28:29]
	global_load_ushort v22, v[20:21], off
	global_load_ushort v23, v[18:19], off
	s_mov_b64 s[38:39], -1
	s_waitcnt vmcnt(0)
	v_cmp_eq_u16_e32 vcc, v22, v23
	s_and_saveexec_b64 s[10:11], vcc
	s_cbranch_execz .LBB699_124
; %bb.118:
	s_add_u32 s38, s26, -1
	v_lshl_add_u64 v[18:19], v[18:19], 0, 2
	v_lshl_add_u64 v[20:21], v[20:21], 0, 2
	s_addc_u32 s39, s27, -1
	s_mov_b64 s[40:41], 0
	s_mov_b64 s[44:45], 0
                                        ; implicit-def: $sgpr42_sgpr43
	s_branch .LBB699_121
.LBB699_119:                            ;   in Loop: Header=BB699_121 Depth=1
	global_load_ushort v22, v[20:21], off
	global_load_ushort v23, v[18:19], off
	s_add_u32 s44, s44, 1
	s_addc_u32 s45, s45, 0
	s_andn2_b64 s[42:43], s[42:43], exec
	v_lshl_add_u64 v[18:19], v[18:19], 0, 2
	v_lshl_add_u64 v[20:21], v[20:21], 0, 2
	s_waitcnt vmcnt(0)
	v_cmp_ne_u16_e32 vcc, v22, v23
	s_and_b64 s[46:47], vcc, exec
	s_or_b64 s[42:43], s[42:43], s[46:47]
.LBB699_120:                            ;   in Loop: Header=BB699_121 Depth=1
	s_and_b64 s[46:47], exec, s[42:43]
	s_or_b64 s[40:41], s[46:47], s[40:41]
	v_mov_b64_e32 v[22:23], s[44:45]
	s_andn2_b64 exec, exec, s[40:41]
	s_cbranch_execz .LBB699_123
.LBB699_121:                            ; =>This Inner Loop Header: Depth=1
	s_or_b64 s[42:43], s[42:43], exec
	s_cmp_eq_u64 s[38:39], s[44:45]
	s_cbranch_scc0 .LBB699_119
; %bb.122:                              ;   in Loop: Header=BB699_121 Depth=1
                                        ; implicit-def: $vgpr18_vgpr19
                                        ; implicit-def: $vgpr20_vgpr21
	s_mov_b64 s[44:45], s[26:27]
	s_branch .LBB699_120
.LBB699_123:
	s_or_b64 exec, exec, s[40:41]
	v_cmp_gt_i64_e32 vcc, s[26:27], v[22:23]
	s_orn2_b64 s[38:39], vcc, exec
.LBB699_124:
	s_or_b64 exec, exec, s[10:11]
.LBB699_125:
	s_and_b64 s[10:11], s[38:39], exec
.LBB699_126:
	s_or_b64 exec, exec, s[14:15]
	v_cmp_gt_u32_e32 vcc, s52, v30
	s_and_saveexec_b64 s[14:15], vcc
	s_cbranch_execz .LBB699_137
; %bb.127:
	s_and_b64 vcc, exec, s[4:5]
	s_mov_b64 s[38:39], 0
	s_cbranch_vccnz .LBB699_136
; %bb.128:
	v_mul_lo_u32 v20, v7, s26
	v_mul_lo_u32 v21, v6, s27
	v_mad_u64_u32 v[18:19], s[12:13], v6, s26, 0
	v_add3_u32 v19, v19, v21, v20
	v_mul_lo_u32 v20, v9, s26
	v_mul_lo_u32 v21, v8, s27
	v_mad_u64_u32 v[22:23], s[12:13], v8, s26, 0
	v_add3_u32 v23, v23, v21, v20
	v_lshl_add_u64 v[20:21], v[18:19], 1, s[28:29]
	v_lshl_add_u64 v[18:19], v[22:23], 1, s[28:29]
	global_load_ushort v22, v[20:21], off
	global_load_ushort v23, v[18:19], off
	s_mov_b64 s[38:39], -1
	s_waitcnt vmcnt(0)
	v_cmp_eq_u16_e32 vcc, v22, v23
	s_and_saveexec_b64 s[12:13], vcc
	s_cbranch_execz .LBB699_135
; %bb.129:
	s_add_u32 s38, s26, -1
	v_lshl_add_u64 v[18:19], v[18:19], 0, 2
	v_lshl_add_u64 v[20:21], v[20:21], 0, 2
	s_addc_u32 s39, s27, -1
	s_mov_b64 s[40:41], 0
	s_mov_b64 s[44:45], 0
                                        ; implicit-def: $sgpr42_sgpr43
	s_branch .LBB699_132
.LBB699_130:                            ;   in Loop: Header=BB699_132 Depth=1
	global_load_ushort v22, v[20:21], off
	global_load_ushort v23, v[18:19], off
	s_add_u32 s44, s44, 1
	s_addc_u32 s45, s45, 0
	s_andn2_b64 s[42:43], s[42:43], exec
	v_lshl_add_u64 v[18:19], v[18:19], 0, 2
	v_lshl_add_u64 v[20:21], v[20:21], 0, 2
	s_waitcnt vmcnt(0)
	v_cmp_ne_u16_e32 vcc, v22, v23
	s_and_b64 s[46:47], vcc, exec
	s_or_b64 s[42:43], s[42:43], s[46:47]
.LBB699_131:                            ;   in Loop: Header=BB699_132 Depth=1
	s_and_b64 s[46:47], exec, s[42:43]
	s_or_b64 s[40:41], s[46:47], s[40:41]
	v_mov_b64_e32 v[22:23], s[44:45]
	s_andn2_b64 exec, exec, s[40:41]
	s_cbranch_execz .LBB699_134
.LBB699_132:                            ; =>This Inner Loop Header: Depth=1
	s_or_b64 s[42:43], s[42:43], exec
	s_cmp_eq_u64 s[38:39], s[44:45]
	s_cbranch_scc0 .LBB699_130
; %bb.133:                              ;   in Loop: Header=BB699_132 Depth=1
                                        ; implicit-def: $vgpr18_vgpr19
                                        ; implicit-def: $vgpr20_vgpr21
	s_mov_b64 s[44:45], s[26:27]
	s_branch .LBB699_131
.LBB699_134:
	s_or_b64 exec, exec, s[40:41]
	v_cmp_gt_i64_e32 vcc, s[26:27], v[22:23]
	s_orn2_b64 s[38:39], vcc, exec
.LBB699_135:
	s_or_b64 exec, exec, s[12:13]
.LBB699_136:
	s_and_b64 s[12:13], s[38:39], exec
.LBB699_137:
	s_or_b64 exec, exec, s[14:15]
	v_cmp_gt_u32_e32 vcc, s52, v26
	s_mov_b64 s[14:15], 0
	s_mov_b64 s[38:39], 0
	s_and_saveexec_b64 s[40:41], vcc
	s_cbranch_execz .LBB699_148
; %bb.138:
	s_and_b64 vcc, exec, s[4:5]
	s_mov_b64 s[42:43], 0
	s_cbranch_vccnz .LBB699_147
; %bb.139:
	v_mul_lo_u32 v20, v13, s26
	v_mul_lo_u32 v21, v12, s27
	v_mad_u64_u32 v[18:19], s[38:39], v12, s26, 0
	v_add3_u32 v19, v19, v21, v20
	v_mul_lo_u32 v20, v7, s26
	v_mul_lo_u32 v21, v6, s27
	v_mad_u64_u32 v[22:23], s[38:39], v6, s26, 0
	v_add3_u32 v23, v23, v21, v20
	v_lshl_add_u64 v[20:21], v[18:19], 1, s[28:29]
	v_lshl_add_u64 v[18:19], v[22:23], 1, s[28:29]
	global_load_ushort v22, v[20:21], off
	global_load_ushort v23, v[18:19], off
	s_mov_b64 s[42:43], -1
	s_waitcnt vmcnt(0)
	v_cmp_eq_u16_e32 vcc, v22, v23
	s_and_saveexec_b64 s[38:39], vcc
	s_cbranch_execz .LBB699_146
; %bb.140:
	s_add_u32 s42, s26, -1
	v_lshl_add_u64 v[18:19], v[18:19], 0, 2
	v_lshl_add_u64 v[20:21], v[20:21], 0, 2
	s_addc_u32 s43, s27, -1
	s_mov_b64 s[44:45], 0
	s_mov_b64 s[48:49], 0
                                        ; implicit-def: $sgpr46_sgpr47
	s_branch .LBB699_143
.LBB699_141:                            ;   in Loop: Header=BB699_143 Depth=1
	global_load_ushort v22, v[20:21], off
	global_load_ushort v23, v[18:19], off
	s_add_u32 s48, s48, 1
	s_addc_u32 s49, s49, 0
	s_andn2_b64 s[46:47], s[46:47], exec
	v_lshl_add_u64 v[18:19], v[18:19], 0, 2
	v_lshl_add_u64 v[20:21], v[20:21], 0, 2
	s_waitcnt vmcnt(0)
	v_cmp_ne_u16_e32 vcc, v22, v23
	s_and_b64 s[50:51], vcc, exec
	s_or_b64 s[46:47], s[46:47], s[50:51]
.LBB699_142:                            ;   in Loop: Header=BB699_143 Depth=1
	s_and_b64 s[50:51], exec, s[46:47]
	s_or_b64 s[44:45], s[50:51], s[44:45]
	v_mov_b64_e32 v[22:23], s[48:49]
	s_andn2_b64 exec, exec, s[44:45]
	s_cbranch_execz .LBB699_145
.LBB699_143:                            ; =>This Inner Loop Header: Depth=1
	s_or_b64 s[46:47], s[46:47], exec
	s_cmp_eq_u64 s[42:43], s[48:49]
	s_cbranch_scc0 .LBB699_141
; %bb.144:                              ;   in Loop: Header=BB699_143 Depth=1
                                        ; implicit-def: $vgpr18_vgpr19
                                        ; implicit-def: $vgpr20_vgpr21
	s_mov_b64 s[48:49], s[26:27]
	s_branch .LBB699_142
.LBB699_145:
	s_or_b64 exec, exec, s[44:45]
	v_cmp_gt_i64_e32 vcc, s[26:27], v[22:23]
	s_orn2_b64 s[42:43], vcc, exec
.LBB699_146:
	s_or_b64 exec, exec, s[38:39]
.LBB699_147:
	s_and_b64 s[38:39], s[42:43], exec
.LBB699_148:
	s_or_b64 exec, exec, s[40:41]
	v_cmp_gt_u32_e32 vcc, s52, v27
	s_and_saveexec_b64 s[40:41], vcc
	s_cbranch_execz .LBB699_159
; %bb.149:
	s_and_b64 vcc, exec, s[4:5]
	s_mov_b64 s[42:43], 0
	s_cbranch_vccnz .LBB699_158
; %bb.150:
	v_mul_lo_u32 v20, v11, s26
	v_mul_lo_u32 v21, v10, s27
	v_mad_u64_u32 v[18:19], s[14:15], v10, s26, 0
	v_add3_u32 v19, v19, v21, v20
	v_mul_lo_u32 v20, v13, s26
	v_mul_lo_u32 v21, v12, s27
	v_mad_u64_u32 v[22:23], s[14:15], v12, s26, 0
	v_add3_u32 v23, v23, v21, v20
	v_lshl_add_u64 v[20:21], v[18:19], 1, s[28:29]
	v_lshl_add_u64 v[18:19], v[22:23], 1, s[28:29]
	global_load_ushort v22, v[20:21], off
	global_load_ushort v23, v[18:19], off
	s_mov_b64 s[42:43], -1
	s_waitcnt vmcnt(0)
	v_cmp_eq_u16_e32 vcc, v22, v23
	s_and_saveexec_b64 s[14:15], vcc
	s_cbranch_execz .LBB699_157
; %bb.151:
	s_add_u32 s42, s26, -1
	v_lshl_add_u64 v[18:19], v[18:19], 0, 2
	v_lshl_add_u64 v[20:21], v[20:21], 0, 2
	s_addc_u32 s43, s27, -1
	s_mov_b64 s[44:45], 0
	s_mov_b64 s[48:49], 0
                                        ; implicit-def: $sgpr46_sgpr47
	s_branch .LBB699_154
.LBB699_152:                            ;   in Loop: Header=BB699_154 Depth=1
	global_load_ushort v22, v[20:21], off
	global_load_ushort v23, v[18:19], off
	s_add_u32 s48, s48, 1
	s_addc_u32 s49, s49, 0
	s_andn2_b64 s[46:47], s[46:47], exec
	v_lshl_add_u64 v[18:19], v[18:19], 0, 2
	v_lshl_add_u64 v[20:21], v[20:21], 0, 2
	s_waitcnt vmcnt(0)
	v_cmp_ne_u16_e32 vcc, v22, v23
	s_and_b64 s[50:51], vcc, exec
	s_or_b64 s[46:47], s[46:47], s[50:51]
.LBB699_153:                            ;   in Loop: Header=BB699_154 Depth=1
	s_and_b64 s[50:51], exec, s[46:47]
	s_or_b64 s[44:45], s[50:51], s[44:45]
	v_mov_b64_e32 v[22:23], s[48:49]
	s_andn2_b64 exec, exec, s[44:45]
	s_cbranch_execz .LBB699_156
.LBB699_154:                            ; =>This Inner Loop Header: Depth=1
	s_or_b64 s[46:47], s[46:47], exec
	s_cmp_eq_u64 s[42:43], s[48:49]
	s_cbranch_scc0 .LBB699_152
; %bb.155:                              ;   in Loop: Header=BB699_154 Depth=1
                                        ; implicit-def: $vgpr18_vgpr19
                                        ; implicit-def: $vgpr20_vgpr21
	s_mov_b64 s[48:49], s[26:27]
	s_branch .LBB699_153
.LBB699_156:
	s_or_b64 exec, exec, s[44:45]
	v_cmp_gt_i64_e32 vcc, s[26:27], v[22:23]
	s_orn2_b64 s[42:43], vcc, exec
.LBB699_157:
	s_or_b64 exec, exec, s[14:15]
.LBB699_158:
	s_and_b64 s[14:15], s[42:43], exec
.LBB699_159:
	s_or_b64 exec, exec, s[40:41]
	s_waitcnt lgkmcnt(0)
	s_barrier
	s_and_saveexec_b64 s[40:41], s[2:3]
	s_cbranch_execz .LBB699_161
; %bb.160:
	s_waitcnt vmcnt(0)
	v_add_u32_e32 v16, -8, v33
	ds_read_b64 v[16:17], v16
.LBB699_161:
	s_or_b64 exec, exec, s[40:41]
	v_cndmask_b32_e64 v19, 0, 1, s[12:13]
	v_cndmask_b32_e64 v18, 0, 1, s[38:39]
	v_cndmask_b32_e64 v20, 0, 1, s[14:15]
	v_lshlrev_b16_e32 v19, 8, v19
	v_cmp_gt_u32_e32 vcc, s52, v1
	v_lshlrev_b16_e32 v22, 8, v20
	v_or_b32_sdwa v23, v18, v19 dst_sel:WORD_1 dst_unused:UNUSED_PAD src0_sel:DWORD src1_sel:DWORD
	s_mov_b64 s[12:13], 0
	s_and_saveexec_b64 s[14:15], vcc
	s_cbranch_execz .LBB699_172
; %bb.162:
	s_and_b64 vcc, exec, s[4:5]
	s_cbranch_vccnz .LBB699_171
; %bb.163:
	s_waitcnt vmcnt(0) lgkmcnt(0)
	v_mul_lo_u32 v18, v17, s26
	v_mul_lo_u32 v19, v16, s27
	v_mad_u64_u32 v[16:17], s[4:5], v16, s26, 0
	v_add3_u32 v17, v17, v19, v18
	v_mul_lo_u32 v18, v11, s26
	v_mul_lo_u32 v19, v10, s27
	v_mad_u64_u32 v[20:21], s[4:5], v10, s26, 0
	v_add3_u32 v21, v21, v19, v18
	v_lshl_add_u64 v[18:19], v[16:17], 1, s[28:29]
	v_lshl_add_u64 v[16:17], v[20:21], 1, s[28:29]
	global_load_ushort v20, v[18:19], off
	global_load_ushort v21, v[16:17], off
	s_mov_b64 s[12:13], -1
	s_waitcnt vmcnt(0)
	v_cmp_eq_u16_e32 vcc, v20, v21
	s_and_saveexec_b64 s[4:5], vcc
	s_cbranch_execz .LBB699_170
; %bb.164:
	s_add_u32 s12, s26, -1
	v_lshl_add_u64 v[16:17], v[16:17], 0, 2
	v_lshl_add_u64 v[18:19], v[18:19], 0, 2
	s_addc_u32 s13, s27, -1
	s_mov_b64 s[38:39], 0
	s_mov_b64 s[42:43], 0
                                        ; implicit-def: $sgpr40_sgpr41
	s_branch .LBB699_167
.LBB699_165:                            ;   in Loop: Header=BB699_167 Depth=1
	global_load_ushort v20, v[18:19], off
	global_load_ushort v21, v[16:17], off
	s_add_u32 s42, s42, 1
	s_addc_u32 s43, s43, 0
	s_andn2_b64 s[40:41], s[40:41], exec
	v_lshl_add_u64 v[16:17], v[16:17], 0, 2
	v_lshl_add_u64 v[18:19], v[18:19], 0, 2
	s_waitcnt vmcnt(0)
	v_cmp_ne_u16_e32 vcc, v20, v21
	s_and_b64 s[44:45], vcc, exec
	s_or_b64 s[40:41], s[40:41], s[44:45]
.LBB699_166:                            ;   in Loop: Header=BB699_167 Depth=1
	s_and_b64 s[44:45], exec, s[40:41]
	s_or_b64 s[38:39], s[44:45], s[38:39]
	v_mov_b64_e32 v[20:21], s[42:43]
	s_andn2_b64 exec, exec, s[38:39]
	s_cbranch_execz .LBB699_169
.LBB699_167:                            ; =>This Inner Loop Header: Depth=1
	s_or_b64 s[40:41], s[40:41], exec
	s_cmp_eq_u64 s[12:13], s[42:43]
	s_cbranch_scc0 .LBB699_165
; %bb.168:                              ;   in Loop: Header=BB699_167 Depth=1
                                        ; implicit-def: $vgpr16_vgpr17
                                        ; implicit-def: $vgpr18_vgpr19
	s_mov_b64 s[42:43], s[26:27]
	s_branch .LBB699_166
.LBB699_169:
	s_or_b64 exec, exec, s[38:39]
	v_cmp_gt_i64_e32 vcc, s[26:27], v[20:21]
	s_orn2_b64 s[12:13], vcc, exec
.LBB699_170:
	s_or_b64 exec, exec, s[4:5]
.LBB699_171:
	s_and_b64 s[12:13], s[12:13], exec
.LBB699_172:
	s_or_b64 exec, exec, s[14:15]
	v_cndmask_b32_e64 v25, 0, 1, s[10:11]
	v_cndmask_b32_e64 v34, 0, 1, s[8:9]
	;; [unrolled: 1-line block ×3, first 2 shown]
	v_or_b32_e32 v20, v22, v23
.LBB699_173:
	s_mov_b64 s[8:9], -1
	s_cbranch_execnz .LBB699_32
.LBB699_174:
	s_movk_i32 s4, 0xffd0
	v_mad_i32_i24 v24, v0, s4, v32
	s_mov_b64 s[10:11], 0
	v_cmp_gt_i64_e64 s[6:7], s[26:27], 0
	s_and_b64 vcc, exec, s[36:37]
	ds_write_b64 v24, v[14:15]
	s_cbranch_vccz .LBB699_182
; %bb.175:
	v_mul_lo_u32 v18, v5, s26
	v_mul_lo_u32 v19, v4, s27
	s_waitcnt vmcnt(0) lgkmcnt(1)
	v_mad_u64_u32 v[16:17], s[4:5], v4, s26, 0
	v_add3_u32 v17, v17, v19, v18
	v_cndmask_b32_e64 v18, 0, 1, s[6:7]
	v_cmp_ne_u32_e64 s[4:5], 1, v18
	s_andn2_b64 vcc, exec, s[6:7]
	v_lshl_add_u64 v[16:17], v[16:17], 1, s[28:29]
	s_cbranch_vccnz .LBB699_185
; %bb.176:
	v_mul_lo_u32 v20, v15, s26
	v_mul_lo_u32 v21, v14, s27
	v_mad_u64_u32 v[18:19], s[10:11], v14, s26, 0
	v_add3_u32 v19, v19, v21, v20
	v_lshl_add_u64 v[18:19], v[18:19], 1, s[28:29]
	global_load_ushort v20, v[16:17], off
	global_load_ushort v21, v[18:19], off
	s_mov_b64 s[10:11], -1
	s_waitcnt vmcnt(0)
	v_cmp_eq_u16_e32 vcc, v20, v21
	s_and_saveexec_b64 s[12:13], vcc
	s_cbranch_execz .LBB699_184
; %bb.177:
	s_add_u32 s10, s26, -1
	v_lshl_add_u64 v[18:19], v[18:19], 0, 2
	v_lshl_add_u64 v[20:21], v[16:17], 0, 2
	s_addc_u32 s11, s27, -1
	s_mov_b64 s[14:15], 0
	s_mov_b64 s[40:41], 0
                                        ; implicit-def: $sgpr38_sgpr39
	s_branch .LBB699_180
.LBB699_178:                            ;   in Loop: Header=BB699_180 Depth=1
	global_load_ushort v22, v[20:21], off
	global_load_ushort v23, v[18:19], off
	s_add_u32 s40, s40, 1
	s_addc_u32 s41, s41, 0
	s_andn2_b64 s[38:39], s[38:39], exec
	v_lshl_add_u64 v[18:19], v[18:19], 0, 2
	v_lshl_add_u64 v[20:21], v[20:21], 0, 2
	s_waitcnt vmcnt(0)
	v_cmp_ne_u16_e32 vcc, v22, v23
	s_and_b64 s[42:43], vcc, exec
	s_or_b64 s[38:39], s[38:39], s[42:43]
.LBB699_179:                            ;   in Loop: Header=BB699_180 Depth=1
	s_and_b64 s[42:43], exec, s[38:39]
	s_or_b64 s[14:15], s[42:43], s[14:15]
	v_mov_b64_e32 v[22:23], s[40:41]
	s_andn2_b64 exec, exec, s[14:15]
	s_cbranch_execz .LBB699_183
.LBB699_180:                            ; =>This Inner Loop Header: Depth=1
	s_or_b64 s[38:39], s[38:39], exec
	s_cmp_eq_u64 s[10:11], s[40:41]
	s_cbranch_scc0 .LBB699_178
; %bb.181:                              ;   in Loop: Header=BB699_180 Depth=1
                                        ; implicit-def: $vgpr18_vgpr19
                                        ; implicit-def: $vgpr20_vgpr21
	s_mov_b64 s[40:41], s[26:27]
	s_branch .LBB699_179
.LBB699_182:
                                        ; implicit-def: $sgpr12_sgpr13
                                        ; implicit-def: $vgpr35
                                        ; implicit-def: $vgpr34
                                        ; implicit-def: $vgpr25
                                        ; implicit-def: $vgpr20
                                        ; implicit-def: $vgpr16_vgpr17
	s_cbranch_execnz .LBB699_242
	s_branch .LBB699_322
.LBB699_183:
	s_or_b64 exec, exec, s[14:15]
	v_cmp_gt_i64_e32 vcc, s[26:27], v[22:23]
	s_orn2_b64 s[10:11], vcc, exec
.LBB699_184:
	s_or_b64 exec, exec, s[12:13]
.LBB699_185:
	v_mul_lo_u32 v20, v3, s26
	v_mul_lo_u32 v21, v2, s27
	v_mad_u64_u32 v[18:19], s[12:13], v2, s26, 0
	v_add3_u32 v19, v19, v21, v20
	s_mov_b64 s[12:13], 0
	s_and_b64 vcc, exec, s[4:5]
	v_lshl_add_u64 v[18:19], v[18:19], 1, s[28:29]
	s_mov_b64 s[14:15], 0
	s_cbranch_vccnz .LBB699_194
; %bb.186:
	global_load_ushort v20, v[18:19], off
	global_load_ushort v21, v[16:17], off
	s_mov_b64 s[14:15], -1
	s_waitcnt vmcnt(0)
	v_cmp_eq_u16_e32 vcc, v20, v21
	s_and_saveexec_b64 s[38:39], vcc
	s_cbranch_execz .LBB699_193
; %bb.187:
	s_add_u32 s14, s26, -1
	v_lshl_add_u64 v[16:17], v[16:17], 0, 2
	v_lshl_add_u64 v[20:21], v[18:19], 0, 2
	s_addc_u32 s15, s27, -1
	s_mov_b64 s[40:41], 0
	s_mov_b64 s[44:45], 0
                                        ; implicit-def: $sgpr42_sgpr43
	s_branch .LBB699_190
.LBB699_188:                            ;   in Loop: Header=BB699_190 Depth=1
	global_load_ushort v22, v[20:21], off
	global_load_ushort v23, v[16:17], off
	s_add_u32 s44, s44, 1
	s_addc_u32 s45, s45, 0
	s_andn2_b64 s[42:43], s[42:43], exec
	v_lshl_add_u64 v[16:17], v[16:17], 0, 2
	v_lshl_add_u64 v[20:21], v[20:21], 0, 2
	s_waitcnt vmcnt(0)
	v_cmp_ne_u16_e32 vcc, v22, v23
	s_and_b64 s[46:47], vcc, exec
	s_or_b64 s[42:43], s[42:43], s[46:47]
.LBB699_189:                            ;   in Loop: Header=BB699_190 Depth=1
	s_and_b64 s[46:47], exec, s[42:43]
	s_or_b64 s[40:41], s[46:47], s[40:41]
	v_mov_b64_e32 v[22:23], s[44:45]
	s_andn2_b64 exec, exec, s[40:41]
	s_cbranch_execz .LBB699_192
.LBB699_190:                            ; =>This Inner Loop Header: Depth=1
	s_or_b64 s[42:43], s[42:43], exec
	s_cmp_eq_u64 s[14:15], s[44:45]
	s_cbranch_scc0 .LBB699_188
; %bb.191:                              ;   in Loop: Header=BB699_190 Depth=1
                                        ; implicit-def: $vgpr16_vgpr17
                                        ; implicit-def: $vgpr20_vgpr21
	s_mov_b64 s[44:45], s[26:27]
	s_branch .LBB699_189
.LBB699_192:
	s_or_b64 exec, exec, s[40:41]
	v_cmp_gt_i64_e32 vcc, s[26:27], v[22:23]
	s_orn2_b64 s[14:15], vcc, exec
.LBB699_193:
	s_or_b64 exec, exec, s[38:39]
.LBB699_194:
	v_mul_lo_u32 v20, v9, s26
	v_mul_lo_u32 v21, v8, s27
	v_mad_u64_u32 v[16:17], s[38:39], v8, s26, 0
	v_add3_u32 v17, v17, v21, v20
	s_and_b64 vcc, exec, s[4:5]
	v_lshl_add_u64 v[16:17], v[16:17], 1, s[28:29]
	s_cbranch_vccnz .LBB699_203
; %bb.195:
	global_load_ushort v20, v[16:17], off
	global_load_ushort v21, v[18:19], off
	s_mov_b64 s[12:13], -1
	s_waitcnt vmcnt(0)
	v_cmp_eq_u16_e32 vcc, v20, v21
	s_and_saveexec_b64 s[38:39], vcc
	s_cbranch_execz .LBB699_202
; %bb.196:
	s_add_u32 s12, s26, -1
	v_lshl_add_u64 v[18:19], v[18:19], 0, 2
	v_lshl_add_u64 v[20:21], v[16:17], 0, 2
	s_addc_u32 s13, s27, -1
	s_mov_b64 s[40:41], 0
	s_mov_b64 s[44:45], 0
                                        ; implicit-def: $sgpr42_sgpr43
	s_branch .LBB699_199
.LBB699_197:                            ;   in Loop: Header=BB699_199 Depth=1
	global_load_ushort v22, v[20:21], off
	global_load_ushort v23, v[18:19], off
	s_add_u32 s44, s44, 1
	s_addc_u32 s45, s45, 0
	s_andn2_b64 s[42:43], s[42:43], exec
	v_lshl_add_u64 v[18:19], v[18:19], 0, 2
	v_lshl_add_u64 v[20:21], v[20:21], 0, 2
	s_waitcnt vmcnt(0)
	v_cmp_ne_u16_e32 vcc, v22, v23
	s_and_b64 s[46:47], vcc, exec
	s_or_b64 s[42:43], s[42:43], s[46:47]
.LBB699_198:                            ;   in Loop: Header=BB699_199 Depth=1
	s_and_b64 s[46:47], exec, s[42:43]
	s_or_b64 s[40:41], s[46:47], s[40:41]
	v_mov_b64_e32 v[22:23], s[44:45]
	s_andn2_b64 exec, exec, s[40:41]
	s_cbranch_execz .LBB699_201
.LBB699_199:                            ; =>This Inner Loop Header: Depth=1
	s_or_b64 s[42:43], s[42:43], exec
	s_cmp_eq_u64 s[12:13], s[44:45]
	s_cbranch_scc0 .LBB699_197
; %bb.200:                              ;   in Loop: Header=BB699_199 Depth=1
                                        ; implicit-def: $vgpr18_vgpr19
                                        ; implicit-def: $vgpr20_vgpr21
	s_mov_b64 s[44:45], s[26:27]
	s_branch .LBB699_198
.LBB699_201:
	s_or_b64 exec, exec, s[40:41]
	v_cmp_gt_i64_e32 vcc, s[26:27], v[22:23]
	s_orn2_b64 s[12:13], vcc, exec
.LBB699_202:
	s_or_b64 exec, exec, s[38:39]
.LBB699_203:
	v_mul_lo_u32 v20, v7, s26
	v_mul_lo_u32 v21, v6, s27
	v_mad_u64_u32 v[18:19], s[38:39], v6, s26, 0
	v_add3_u32 v19, v19, v21, v20
	s_mov_b64 s[38:39], 0
	s_and_b64 vcc, exec, s[4:5]
	v_lshl_add_u64 v[18:19], v[18:19], 1, s[28:29]
	s_mov_b64 s[40:41], 0
	s_cbranch_vccnz .LBB699_212
; %bb.204:
	global_load_ushort v20, v[18:19], off
	global_load_ushort v21, v[16:17], off
	s_mov_b64 s[40:41], -1
	s_waitcnt vmcnt(0)
	v_cmp_eq_u16_e32 vcc, v20, v21
	s_and_saveexec_b64 s[42:43], vcc
	s_cbranch_execz .LBB699_211
; %bb.205:
	s_add_u32 s40, s26, -1
	v_lshl_add_u64 v[16:17], v[16:17], 0, 2
	v_lshl_add_u64 v[20:21], v[18:19], 0, 2
	s_addc_u32 s41, s27, -1
	s_mov_b64 s[44:45], 0
	s_mov_b64 s[48:49], 0
                                        ; implicit-def: $sgpr46_sgpr47
	s_branch .LBB699_208
.LBB699_206:                            ;   in Loop: Header=BB699_208 Depth=1
	global_load_ushort v22, v[20:21], off
	global_load_ushort v23, v[16:17], off
	s_add_u32 s48, s48, 1
	s_addc_u32 s49, s49, 0
	s_andn2_b64 s[46:47], s[46:47], exec
	v_lshl_add_u64 v[16:17], v[16:17], 0, 2
	v_lshl_add_u64 v[20:21], v[20:21], 0, 2
	s_waitcnt vmcnt(0)
	v_cmp_ne_u16_e32 vcc, v22, v23
	s_and_b64 s[50:51], vcc, exec
	s_or_b64 s[46:47], s[46:47], s[50:51]
.LBB699_207:                            ;   in Loop: Header=BB699_208 Depth=1
	s_and_b64 s[50:51], exec, s[46:47]
	s_or_b64 s[44:45], s[50:51], s[44:45]
	v_mov_b64_e32 v[22:23], s[48:49]
	s_andn2_b64 exec, exec, s[44:45]
	s_cbranch_execz .LBB699_210
.LBB699_208:                            ; =>This Inner Loop Header: Depth=1
	s_or_b64 s[46:47], s[46:47], exec
	s_cmp_eq_u64 s[40:41], s[48:49]
	s_cbranch_scc0 .LBB699_206
; %bb.209:                              ;   in Loop: Header=BB699_208 Depth=1
                                        ; implicit-def: $vgpr16_vgpr17
                                        ; implicit-def: $vgpr20_vgpr21
	s_mov_b64 s[48:49], s[26:27]
	s_branch .LBB699_207
.LBB699_210:
	s_or_b64 exec, exec, s[44:45]
	v_cmp_gt_i64_e32 vcc, s[26:27], v[22:23]
	s_orn2_b64 s[40:41], vcc, exec
.LBB699_211:
	s_or_b64 exec, exec, s[42:43]
.LBB699_212:
	v_mul_lo_u32 v20, v13, s26
	v_mul_lo_u32 v21, v12, s27
	v_mad_u64_u32 v[16:17], s[42:43], v12, s26, 0
	v_add3_u32 v17, v17, v21, v20
	s_and_b64 vcc, exec, s[4:5]
	v_lshl_add_u64 v[16:17], v[16:17], 1, s[28:29]
	s_cbranch_vccnz .LBB699_221
; %bb.213:
	global_load_ushort v20, v[16:17], off
	global_load_ushort v21, v[18:19], off
	s_mov_b64 s[38:39], -1
	s_waitcnt vmcnt(0)
	v_cmp_eq_u16_e32 vcc, v20, v21
	s_and_saveexec_b64 s[42:43], vcc
	s_cbranch_execz .LBB699_220
; %bb.214:
	s_add_u32 s38, s26, -1
	v_lshl_add_u64 v[18:19], v[18:19], 0, 2
	v_lshl_add_u64 v[20:21], v[16:17], 0, 2
	s_addc_u32 s39, s27, -1
	s_mov_b64 s[44:45], 0
	s_mov_b64 s[48:49], 0
                                        ; implicit-def: $sgpr46_sgpr47
	s_branch .LBB699_217
.LBB699_215:                            ;   in Loop: Header=BB699_217 Depth=1
	global_load_ushort v22, v[20:21], off
	global_load_ushort v23, v[18:19], off
	s_add_u32 s48, s48, 1
	s_addc_u32 s49, s49, 0
	s_andn2_b64 s[46:47], s[46:47], exec
	v_lshl_add_u64 v[18:19], v[18:19], 0, 2
	v_lshl_add_u64 v[20:21], v[20:21], 0, 2
	s_waitcnt vmcnt(0)
	v_cmp_ne_u16_e32 vcc, v22, v23
	s_and_b64 s[50:51], vcc, exec
	s_or_b64 s[46:47], s[46:47], s[50:51]
.LBB699_216:                            ;   in Loop: Header=BB699_217 Depth=1
	s_and_b64 s[50:51], exec, s[46:47]
	s_or_b64 s[44:45], s[50:51], s[44:45]
	v_mov_b64_e32 v[22:23], s[48:49]
	s_andn2_b64 exec, exec, s[44:45]
	s_cbranch_execz .LBB699_219
.LBB699_217:                            ; =>This Inner Loop Header: Depth=1
	s_or_b64 s[46:47], s[46:47], exec
	s_cmp_eq_u64 s[38:39], s[48:49]
	s_cbranch_scc0 .LBB699_215
; %bb.218:                              ;   in Loop: Header=BB699_217 Depth=1
                                        ; implicit-def: $vgpr18_vgpr19
                                        ; implicit-def: $vgpr20_vgpr21
	s_mov_b64 s[48:49], s[26:27]
	s_branch .LBB699_216
.LBB699_219:
	s_or_b64 exec, exec, s[44:45]
	v_cmp_gt_i64_e32 vcc, s[26:27], v[22:23]
	s_orn2_b64 s[38:39], vcc, exec
.LBB699_220:
	s_or_b64 exec, exec, s[42:43]
.LBB699_221:
	v_mul_lo_u32 v20, v11, s26
	v_mul_lo_u32 v21, v10, s27
	v_mad_u64_u32 v[18:19], s[42:43], v10, s26, 0
	v_add3_u32 v19, v19, v21, v20
	s_and_b64 vcc, exec, s[4:5]
	s_mov_b64 s[44:45], 0
	s_cbranch_vccnz .LBB699_230
; %bb.222:
	v_lshl_add_u64 v[20:21], v[18:19], 1, s[28:29]
	global_load_ushort v22, v[20:21], off
	global_load_ushort v23, v[16:17], off
	s_mov_b64 s[44:45], -1
	s_waitcnt vmcnt(0)
	v_cmp_eq_u16_e32 vcc, v22, v23
	s_and_saveexec_b64 s[42:43], vcc
	s_cbranch_execz .LBB699_229
; %bb.223:
	s_add_u32 s44, s26, -1
	v_lshl_add_u64 v[16:17], v[16:17], 0, 2
	v_lshl_add_u64 v[20:21], v[20:21], 0, 2
	s_addc_u32 s45, s27, -1
	s_mov_b64 s[46:47], 0
	s_mov_b64 s[50:51], 0
                                        ; implicit-def: $sgpr48_sgpr49
	s_branch .LBB699_226
.LBB699_224:                            ;   in Loop: Header=BB699_226 Depth=1
	global_load_ushort v22, v[20:21], off
	global_load_ushort v23, v[16:17], off
	s_add_u32 s50, s50, 1
	s_addc_u32 s51, s51, 0
	s_andn2_b64 s[48:49], s[48:49], exec
	v_lshl_add_u64 v[16:17], v[16:17], 0, 2
	v_lshl_add_u64 v[20:21], v[20:21], 0, 2
	s_waitcnt vmcnt(0)
	v_cmp_ne_u16_e32 vcc, v22, v23
	s_and_b64 s[54:55], vcc, exec
	s_or_b64 s[48:49], s[48:49], s[54:55]
.LBB699_225:                            ;   in Loop: Header=BB699_226 Depth=1
	s_and_b64 s[54:55], exec, s[48:49]
	s_or_b64 s[46:47], s[54:55], s[46:47]
	v_mov_b64_e32 v[22:23], s[50:51]
	s_andn2_b64 exec, exec, s[46:47]
	s_cbranch_execz .LBB699_228
.LBB699_226:                            ; =>This Inner Loop Header: Depth=1
	s_or_b64 s[48:49], s[48:49], exec
	s_cmp_eq_u64 s[44:45], s[50:51]
	s_cbranch_scc0 .LBB699_224
; %bb.227:                              ;   in Loop: Header=BB699_226 Depth=1
                                        ; implicit-def: $vgpr16_vgpr17
                                        ; implicit-def: $vgpr20_vgpr21
	s_mov_b64 s[50:51], s[26:27]
	s_branch .LBB699_225
.LBB699_228:
	s_or_b64 exec, exec, s[46:47]
	v_cmp_gt_i64_e32 vcc, s[26:27], v[22:23]
	s_orn2_b64 s[44:45], vcc, exec
.LBB699_229:
	s_or_b64 exec, exec, s[42:43]
.LBB699_230:
	v_cndmask_b32_e64 v17, 0, 1, s[40:41]
	v_cndmask_b32_e64 v16, 0, 1, s[38:39]
	;; [unrolled: 1-line block ×3, first 2 shown]
	v_lshlrev_b16_e32 v17, 8, v17
	v_cndmask_b32_e64 v25, 0, 1, s[12:13]
	v_cndmask_b32_e64 v20, 0, 1, s[44:45]
	v_or_b32_sdwa v16, v16, v17 dst_sel:WORD_1 dst_unused:UNUSED_PAD src0_sel:DWORD src1_sel:DWORD
	v_lshlrev_b16_e32 v17, 8, v34
	v_lshlrev_b16_e32 v20, 8, v20
	v_or_b32_e32 v17, v25, v17
	v_or_b32_e32 v20, 1, v20
	v_and_b32_e32 v17, 0xffff, v17
	v_cndmask_b32_e64 v35, 0, 1, s[10:11]
	v_or_b32_sdwa v16, v20, v16 dst_sel:DWORD dst_unused:UNUSED_PAD src0_sel:WORD_0 src1_sel:DWORD
	v_lshl_or_b32 v17, v35, 16, v17
	s_waitcnt lgkmcnt(0)
	s_barrier
	s_waitcnt lgkmcnt(0)
                                        ; implicit-def: $sgpr12_sgpr13
                                        ; implicit-def: $vgpr20
	s_and_saveexec_b64 s[10:11], s[2:3]
	s_xor_b64 s[10:11], exec, s[10:11]
	s_cbranch_execz .LBB699_241
; %bb.231:
	s_mov_b32 s42, 0x3020104
	s_and_b64 vcc, exec, s[4:5]
	s_mov_b64 s[12:13], 0
	s_cbranch_vccnz .LBB699_240
; %bb.232:
	v_add_u32_e32 v17, -8, v24
	ds_read_b64 v[20:21], v17
	v_lshl_add_u64 v[18:19], v[18:19], 1, s[28:29]
	s_mov_b64 s[12:13], -1
	s_waitcnt lgkmcnt(0)
	v_mul_lo_u32 v17, v21, s26
	v_mul_lo_u32 v22, v20, s27
	v_mad_u64_u32 v[20:21], s[4:5], v20, s26, 0
	v_add3_u32 v21, v21, v22, v17
	v_lshl_add_u64 v[20:21], v[20:21], 1, s[28:29]
	global_load_ushort v17, v[20:21], off
	global_load_ushort v22, v[18:19], off
	s_waitcnt vmcnt(0)
	v_cmp_eq_u16_e32 vcc, v17, v22
	s_and_saveexec_b64 s[4:5], vcc
	s_cbranch_execz .LBB699_239
; %bb.233:
	s_add_u32 s12, s26, -1
	v_lshl_add_u64 v[18:19], v[18:19], 0, 2
	v_lshl_add_u64 v[20:21], v[20:21], 0, 2
	s_addc_u32 s13, s27, -1
	s_mov_b64 s[14:15], 0
	s_mov_b64 s[40:41], 0
                                        ; implicit-def: $sgpr38_sgpr39
	s_branch .LBB699_236
.LBB699_234:                            ;   in Loop: Header=BB699_236 Depth=1
	global_load_ushort v17, v[20:21], off
	global_load_ushort v22, v[18:19], off
	s_add_u32 s40, s40, 1
	s_addc_u32 s41, s41, 0
	s_andn2_b64 s[38:39], s[38:39], exec
	v_lshl_add_u64 v[18:19], v[18:19], 0, 2
	v_lshl_add_u64 v[20:21], v[20:21], 0, 2
	s_waitcnt vmcnt(0)
	v_cmp_ne_u16_e32 vcc, v17, v22
	s_and_b64 s[44:45], vcc, exec
	s_or_b64 s[38:39], s[38:39], s[44:45]
.LBB699_235:                            ;   in Loop: Header=BB699_236 Depth=1
	s_and_b64 s[44:45], exec, s[38:39]
	s_or_b64 s[14:15], s[44:45], s[14:15]
	v_mov_b64_e32 v[22:23], s[40:41]
	s_andn2_b64 exec, exec, s[14:15]
	s_cbranch_execz .LBB699_238
.LBB699_236:                            ; =>This Inner Loop Header: Depth=1
	s_or_b64 s[38:39], s[38:39], exec
	s_cmp_eq_u64 s[12:13], s[40:41]
	s_cbranch_scc0 .LBB699_234
; %bb.237:                              ;   in Loop: Header=BB699_236 Depth=1
                                        ; implicit-def: $vgpr18_vgpr19
                                        ; implicit-def: $vgpr20_vgpr21
	s_mov_b64 s[40:41], s[26:27]
	s_branch .LBB699_235
.LBB699_238:
	s_or_b64 exec, exec, s[14:15]
	v_cmp_gt_i64_e32 vcc, s[26:27], v[22:23]
	s_orn2_b64 s[12:13], vcc, exec
.LBB699_239:
	s_or_b64 exec, exec, s[4:5]
.LBB699_240:
	v_perm_b32 v20, v16, v16, s42
	s_and_b64 s[12:13], s[12:13], exec
	s_or_b64 s[8:9], s[8:9], exec
                                        ; implicit-def: $vgpr16_vgpr17
.LBB699_241:
	s_or_b64 exec, exec, s[10:11]
	s_branch .LBB699_322
.LBB699_242:
	v_cmp_gt_u32_e32 vcc, s52, v29
	s_mov_b64 s[10:11], 0
	s_mov_b64 s[4:5], 0
	s_and_saveexec_b64 s[12:13], vcc
	s_cbranch_execz .LBB699_253
; %bb.243:
	s_andn2_b64 vcc, exec, s[6:7]
	s_mov_b64 s[14:15], 0
	s_cbranch_vccnz .LBB699_252
; %bb.244:
	v_mul_lo_u32 v18, v5, s26
	v_mul_lo_u32 v19, v4, s27
	s_waitcnt vmcnt(0) lgkmcnt(1)
	v_mad_u64_u32 v[16:17], s[4:5], v4, s26, 0
	v_add3_u32 v17, v17, v19, v18
	v_mul_lo_u32 v18, v15, s26
	v_mul_lo_u32 v19, v14, s27
	v_mad_u64_u32 v[20:21], s[4:5], v14, s26, 0
	v_add3_u32 v21, v21, v19, v18
	v_lshl_add_u64 v[18:19], v[16:17], 1, s[28:29]
	v_lshl_add_u64 v[16:17], v[20:21], 1, s[28:29]
	global_load_ushort v20, v[18:19], off
	global_load_ushort v21, v[16:17], off
	s_mov_b64 s[14:15], -1
	s_waitcnt vmcnt(0)
	v_cmp_eq_u16_e32 vcc, v20, v21
	s_and_saveexec_b64 s[4:5], vcc
	s_cbranch_execz .LBB699_251
; %bb.245:
	s_add_u32 s14, s26, -1
	v_lshl_add_u64 v[16:17], v[16:17], 0, 2
	v_lshl_add_u64 v[18:19], v[18:19], 0, 2
	s_addc_u32 s15, s27, -1
	s_mov_b64 s[38:39], 0
	s_mov_b64 s[42:43], 0
                                        ; implicit-def: $sgpr40_sgpr41
	s_branch .LBB699_248
.LBB699_246:                            ;   in Loop: Header=BB699_248 Depth=1
	global_load_ushort v20, v[18:19], off
	global_load_ushort v21, v[16:17], off
	s_add_u32 s42, s42, 1
	s_addc_u32 s43, s43, 0
	s_andn2_b64 s[40:41], s[40:41], exec
	v_lshl_add_u64 v[16:17], v[16:17], 0, 2
	v_lshl_add_u64 v[18:19], v[18:19], 0, 2
	s_waitcnt vmcnt(0)
	v_cmp_ne_u16_e32 vcc, v20, v21
	s_and_b64 s[44:45], vcc, exec
	s_or_b64 s[40:41], s[40:41], s[44:45]
.LBB699_247:                            ;   in Loop: Header=BB699_248 Depth=1
	s_and_b64 s[44:45], exec, s[40:41]
	s_or_b64 s[38:39], s[44:45], s[38:39]
	v_mov_b64_e32 v[20:21], s[42:43]
	s_andn2_b64 exec, exec, s[38:39]
	s_cbranch_execz .LBB699_250
.LBB699_248:                            ; =>This Inner Loop Header: Depth=1
	s_or_b64 s[40:41], s[40:41], exec
	s_cmp_eq_u64 s[14:15], s[42:43]
	s_cbranch_scc0 .LBB699_246
; %bb.249:                              ;   in Loop: Header=BB699_248 Depth=1
                                        ; implicit-def: $vgpr16_vgpr17
                                        ; implicit-def: $vgpr18_vgpr19
	s_mov_b64 s[42:43], s[26:27]
	s_branch .LBB699_247
.LBB699_250:
	s_or_b64 exec, exec, s[38:39]
	v_cmp_gt_i64_e32 vcc, s[26:27], v[20:21]
	s_orn2_b64 s[14:15], vcc, exec
.LBB699_251:
	s_or_b64 exec, exec, s[4:5]
.LBB699_252:
	s_and_b64 s[4:5], s[14:15], exec
.LBB699_253:
	s_or_b64 exec, exec, s[12:13]
	v_cmp_gt_u32_e32 vcc, s52, v31
	s_and_saveexec_b64 s[12:13], vcc
	s_cbranch_execz .LBB699_264
; %bb.254:
	s_andn2_b64 vcc, exec, s[6:7]
	s_mov_b64 s[14:15], 0
	s_cbranch_vccnz .LBB699_263
; %bb.255:
	v_mul_lo_u32 v18, v3, s26
	v_mul_lo_u32 v19, v2, s27
	s_waitcnt vmcnt(0) lgkmcnt(1)
	v_mad_u64_u32 v[16:17], s[10:11], v2, s26, 0
	v_add3_u32 v17, v17, v19, v18
	v_mul_lo_u32 v18, v5, s26
	v_mul_lo_u32 v19, v4, s27
	v_mad_u64_u32 v[20:21], s[10:11], v4, s26, 0
	v_add3_u32 v21, v21, v19, v18
	v_lshl_add_u64 v[18:19], v[16:17], 1, s[28:29]
	v_lshl_add_u64 v[16:17], v[20:21], 1, s[28:29]
	global_load_ushort v20, v[18:19], off
	global_load_ushort v21, v[16:17], off
	s_mov_b64 s[14:15], -1
	s_waitcnt vmcnt(0)
	v_cmp_eq_u16_e32 vcc, v20, v21
	s_and_saveexec_b64 s[10:11], vcc
	s_cbranch_execz .LBB699_262
; %bb.256:
	s_add_u32 s14, s26, -1
	v_lshl_add_u64 v[16:17], v[16:17], 0, 2
	v_lshl_add_u64 v[18:19], v[18:19], 0, 2
	s_addc_u32 s15, s27, -1
	s_mov_b64 s[38:39], 0
	s_mov_b64 s[42:43], 0
                                        ; implicit-def: $sgpr40_sgpr41
	s_branch .LBB699_259
.LBB699_257:                            ;   in Loop: Header=BB699_259 Depth=1
	global_load_ushort v20, v[18:19], off
	global_load_ushort v21, v[16:17], off
	s_add_u32 s42, s42, 1
	s_addc_u32 s43, s43, 0
	s_andn2_b64 s[40:41], s[40:41], exec
	v_lshl_add_u64 v[16:17], v[16:17], 0, 2
	v_lshl_add_u64 v[18:19], v[18:19], 0, 2
	s_waitcnt vmcnt(0)
	v_cmp_ne_u16_e32 vcc, v20, v21
	s_and_b64 s[44:45], vcc, exec
	s_or_b64 s[40:41], s[40:41], s[44:45]
.LBB699_258:                            ;   in Loop: Header=BB699_259 Depth=1
	s_and_b64 s[44:45], exec, s[40:41]
	s_or_b64 s[38:39], s[44:45], s[38:39]
	v_mov_b64_e32 v[20:21], s[42:43]
	s_andn2_b64 exec, exec, s[38:39]
	s_cbranch_execz .LBB699_261
.LBB699_259:                            ; =>This Inner Loop Header: Depth=1
	s_or_b64 s[40:41], s[40:41], exec
	s_cmp_eq_u64 s[14:15], s[42:43]
	s_cbranch_scc0 .LBB699_257
; %bb.260:                              ;   in Loop: Header=BB699_259 Depth=1
                                        ; implicit-def: $vgpr16_vgpr17
                                        ; implicit-def: $vgpr18_vgpr19
	s_mov_b64 s[42:43], s[26:27]
	s_branch .LBB699_258
.LBB699_261:
	s_or_b64 exec, exec, s[38:39]
	v_cmp_gt_i64_e32 vcc, s[26:27], v[20:21]
	s_orn2_b64 s[14:15], vcc, exec
.LBB699_262:
	s_or_b64 exec, exec, s[10:11]
.LBB699_263:
	s_and_b64 s[10:11], s[14:15], exec
.LBB699_264:
	s_or_b64 exec, exec, s[12:13]
	v_cmp_gt_u32_e32 vcc, s52, v28
	s_mov_b64 s[14:15], 0
	s_mov_b64 s[12:13], 0
	s_and_saveexec_b64 s[38:39], vcc
	s_cbranch_execz .LBB699_275
; %bb.265:
	s_andn2_b64 vcc, exec, s[6:7]
	s_mov_b64 s[40:41], 0
	s_cbranch_vccnz .LBB699_274
; %bb.266:
	v_mul_lo_u32 v18, v9, s26
	v_mul_lo_u32 v19, v8, s27
	s_waitcnt vmcnt(0) lgkmcnt(1)
	v_mad_u64_u32 v[16:17], s[12:13], v8, s26, 0
	v_add3_u32 v17, v17, v19, v18
	v_mul_lo_u32 v18, v3, s26
	v_mul_lo_u32 v19, v2, s27
	v_mad_u64_u32 v[20:21], s[12:13], v2, s26, 0
	v_add3_u32 v21, v21, v19, v18
	v_lshl_add_u64 v[18:19], v[16:17], 1, s[28:29]
	v_lshl_add_u64 v[16:17], v[20:21], 1, s[28:29]
	global_load_ushort v20, v[18:19], off
	global_load_ushort v21, v[16:17], off
	s_mov_b64 s[40:41], -1
	s_waitcnt vmcnt(0)
	v_cmp_eq_u16_e32 vcc, v20, v21
	s_and_saveexec_b64 s[12:13], vcc
	s_cbranch_execz .LBB699_273
; %bb.267:
	s_add_u32 s40, s26, -1
	v_lshl_add_u64 v[16:17], v[16:17], 0, 2
	v_lshl_add_u64 v[18:19], v[18:19], 0, 2
	s_addc_u32 s41, s27, -1
	s_mov_b64 s[42:43], 0
	s_mov_b64 s[46:47], 0
                                        ; implicit-def: $sgpr44_sgpr45
	s_branch .LBB699_270
.LBB699_268:                            ;   in Loop: Header=BB699_270 Depth=1
	global_load_ushort v20, v[18:19], off
	global_load_ushort v21, v[16:17], off
	s_add_u32 s46, s46, 1
	s_addc_u32 s47, s47, 0
	s_andn2_b64 s[44:45], s[44:45], exec
	v_lshl_add_u64 v[16:17], v[16:17], 0, 2
	v_lshl_add_u64 v[18:19], v[18:19], 0, 2
	s_waitcnt vmcnt(0)
	v_cmp_ne_u16_e32 vcc, v20, v21
	s_and_b64 s[48:49], vcc, exec
	s_or_b64 s[44:45], s[44:45], s[48:49]
.LBB699_269:                            ;   in Loop: Header=BB699_270 Depth=1
	s_and_b64 s[48:49], exec, s[44:45]
	s_or_b64 s[42:43], s[48:49], s[42:43]
	v_mov_b64_e32 v[20:21], s[46:47]
	s_andn2_b64 exec, exec, s[42:43]
	s_cbranch_execz .LBB699_272
.LBB699_270:                            ; =>This Inner Loop Header: Depth=1
	s_or_b64 s[44:45], s[44:45], exec
	s_cmp_eq_u64 s[40:41], s[46:47]
	s_cbranch_scc0 .LBB699_268
; %bb.271:                              ;   in Loop: Header=BB699_270 Depth=1
                                        ; implicit-def: $vgpr16_vgpr17
                                        ; implicit-def: $vgpr18_vgpr19
	s_mov_b64 s[46:47], s[26:27]
	s_branch .LBB699_269
.LBB699_272:
	s_or_b64 exec, exec, s[42:43]
	v_cmp_gt_i64_e32 vcc, s[26:27], v[20:21]
	s_orn2_b64 s[40:41], vcc, exec
.LBB699_273:
	s_or_b64 exec, exec, s[12:13]
.LBB699_274:
	s_and_b64 s[12:13], s[40:41], exec
.LBB699_275:
	s_or_b64 exec, exec, s[38:39]
	v_cmp_gt_u32_e32 vcc, s52, v30
	s_and_saveexec_b64 s[38:39], vcc
	s_cbranch_execz .LBB699_286
; %bb.276:
	s_andn2_b64 vcc, exec, s[6:7]
	s_mov_b64 s[40:41], 0
	s_cbranch_vccnz .LBB699_285
; %bb.277:
	v_mul_lo_u32 v18, v7, s26
	v_mul_lo_u32 v19, v6, s27
	s_waitcnt vmcnt(0) lgkmcnt(1)
	v_mad_u64_u32 v[16:17], s[14:15], v6, s26, 0
	v_add3_u32 v17, v17, v19, v18
	v_mul_lo_u32 v18, v9, s26
	v_mul_lo_u32 v19, v8, s27
	v_mad_u64_u32 v[20:21], s[14:15], v8, s26, 0
	v_add3_u32 v21, v21, v19, v18
	v_lshl_add_u64 v[18:19], v[16:17], 1, s[28:29]
	v_lshl_add_u64 v[16:17], v[20:21], 1, s[28:29]
	global_load_ushort v20, v[18:19], off
	global_load_ushort v21, v[16:17], off
	s_mov_b64 s[40:41], -1
	s_waitcnt vmcnt(0)
	v_cmp_eq_u16_e32 vcc, v20, v21
	s_and_saveexec_b64 s[14:15], vcc
	s_cbranch_execz .LBB699_284
; %bb.278:
	s_add_u32 s40, s26, -1
	v_lshl_add_u64 v[16:17], v[16:17], 0, 2
	v_lshl_add_u64 v[18:19], v[18:19], 0, 2
	s_addc_u32 s41, s27, -1
	s_mov_b64 s[42:43], 0
	s_mov_b64 s[46:47], 0
                                        ; implicit-def: $sgpr44_sgpr45
	s_branch .LBB699_281
.LBB699_279:                            ;   in Loop: Header=BB699_281 Depth=1
	global_load_ushort v20, v[18:19], off
	global_load_ushort v21, v[16:17], off
	s_add_u32 s46, s46, 1
	s_addc_u32 s47, s47, 0
	s_andn2_b64 s[44:45], s[44:45], exec
	v_lshl_add_u64 v[16:17], v[16:17], 0, 2
	v_lshl_add_u64 v[18:19], v[18:19], 0, 2
	s_waitcnt vmcnt(0)
	v_cmp_ne_u16_e32 vcc, v20, v21
	s_and_b64 s[48:49], vcc, exec
	s_or_b64 s[44:45], s[44:45], s[48:49]
.LBB699_280:                            ;   in Loop: Header=BB699_281 Depth=1
	s_and_b64 s[48:49], exec, s[44:45]
	s_or_b64 s[42:43], s[48:49], s[42:43]
	v_mov_b64_e32 v[20:21], s[46:47]
	s_andn2_b64 exec, exec, s[42:43]
	s_cbranch_execz .LBB699_283
.LBB699_281:                            ; =>This Inner Loop Header: Depth=1
	s_or_b64 s[44:45], s[44:45], exec
	s_cmp_eq_u64 s[40:41], s[46:47]
	s_cbranch_scc0 .LBB699_279
; %bb.282:                              ;   in Loop: Header=BB699_281 Depth=1
                                        ; implicit-def: $vgpr16_vgpr17
                                        ; implicit-def: $vgpr18_vgpr19
	s_mov_b64 s[46:47], s[26:27]
	s_branch .LBB699_280
.LBB699_283:
	s_or_b64 exec, exec, s[42:43]
	v_cmp_gt_i64_e32 vcc, s[26:27], v[20:21]
	s_orn2_b64 s[40:41], vcc, exec
.LBB699_284:
	s_or_b64 exec, exec, s[14:15]
.LBB699_285:
	s_and_b64 s[14:15], s[40:41], exec
.LBB699_286:
	s_or_b64 exec, exec, s[38:39]
	v_cmp_gt_u32_e32 vcc, s52, v26
	s_mov_b64 s[38:39], 0
	s_mov_b64 s[40:41], 0
	s_and_saveexec_b64 s[42:43], vcc
	s_cbranch_execz .LBB699_297
; %bb.287:
	s_andn2_b64 vcc, exec, s[6:7]
	s_mov_b64 s[44:45], 0
	s_cbranch_vccnz .LBB699_296
; %bb.288:
	v_mul_lo_u32 v18, v13, s26
	v_mul_lo_u32 v19, v12, s27
	s_waitcnt vmcnt(0) lgkmcnt(1)
	v_mad_u64_u32 v[16:17], s[40:41], v12, s26, 0
	v_add3_u32 v17, v17, v19, v18
	v_mul_lo_u32 v18, v7, s26
	v_mul_lo_u32 v19, v6, s27
	v_mad_u64_u32 v[20:21], s[40:41], v6, s26, 0
	v_add3_u32 v21, v21, v19, v18
	v_lshl_add_u64 v[18:19], v[16:17], 1, s[28:29]
	v_lshl_add_u64 v[16:17], v[20:21], 1, s[28:29]
	global_load_ushort v20, v[18:19], off
	global_load_ushort v21, v[16:17], off
	s_mov_b64 s[44:45], -1
	s_waitcnt vmcnt(0)
	v_cmp_eq_u16_e32 vcc, v20, v21
	s_and_saveexec_b64 s[40:41], vcc
	s_cbranch_execz .LBB699_295
; %bb.289:
	s_add_u32 s44, s26, -1
	v_lshl_add_u64 v[16:17], v[16:17], 0, 2
	v_lshl_add_u64 v[18:19], v[18:19], 0, 2
	s_addc_u32 s45, s27, -1
	s_mov_b64 s[46:47], 0
	s_mov_b64 s[50:51], 0
                                        ; implicit-def: $sgpr48_sgpr49
	s_branch .LBB699_292
.LBB699_290:                            ;   in Loop: Header=BB699_292 Depth=1
	global_load_ushort v20, v[18:19], off
	global_load_ushort v21, v[16:17], off
	s_add_u32 s50, s50, 1
	s_addc_u32 s51, s51, 0
	s_andn2_b64 s[48:49], s[48:49], exec
	v_lshl_add_u64 v[16:17], v[16:17], 0, 2
	v_lshl_add_u64 v[18:19], v[18:19], 0, 2
	s_waitcnt vmcnt(0)
	v_cmp_ne_u16_e32 vcc, v20, v21
	s_and_b64 s[54:55], vcc, exec
	s_or_b64 s[48:49], s[48:49], s[54:55]
.LBB699_291:                            ;   in Loop: Header=BB699_292 Depth=1
	s_and_b64 s[54:55], exec, s[48:49]
	s_or_b64 s[46:47], s[54:55], s[46:47]
	v_mov_b64_e32 v[20:21], s[50:51]
	s_andn2_b64 exec, exec, s[46:47]
	s_cbranch_execz .LBB699_294
.LBB699_292:                            ; =>This Inner Loop Header: Depth=1
	s_or_b64 s[48:49], s[48:49], exec
	s_cmp_eq_u64 s[44:45], s[50:51]
	s_cbranch_scc0 .LBB699_290
; %bb.293:                              ;   in Loop: Header=BB699_292 Depth=1
                                        ; implicit-def: $vgpr16_vgpr17
                                        ; implicit-def: $vgpr18_vgpr19
	s_mov_b64 s[50:51], s[26:27]
	s_branch .LBB699_291
.LBB699_294:
	s_or_b64 exec, exec, s[46:47]
	v_cmp_gt_i64_e32 vcc, s[26:27], v[20:21]
	s_orn2_b64 s[44:45], vcc, exec
.LBB699_295:
	s_or_b64 exec, exec, s[40:41]
.LBB699_296:
	s_and_b64 s[40:41], s[44:45], exec
.LBB699_297:
	s_or_b64 exec, exec, s[42:43]
	v_cmp_gt_u32_e32 vcc, s52, v27
	s_and_saveexec_b64 s[42:43], vcc
	s_cbranch_execz .LBB699_308
; %bb.298:
	s_andn2_b64 vcc, exec, s[6:7]
	s_mov_b64 s[44:45], 0
	s_cbranch_vccnz .LBB699_307
; %bb.299:
	v_mul_lo_u32 v18, v11, s26
	v_mul_lo_u32 v19, v10, s27
	s_waitcnt vmcnt(0) lgkmcnt(1)
	v_mad_u64_u32 v[16:17], s[38:39], v10, s26, 0
	v_add3_u32 v17, v17, v19, v18
	v_mul_lo_u32 v18, v13, s26
	v_mul_lo_u32 v19, v12, s27
	v_mad_u64_u32 v[20:21], s[38:39], v12, s26, 0
	v_add3_u32 v21, v21, v19, v18
	v_lshl_add_u64 v[18:19], v[16:17], 1, s[28:29]
	v_lshl_add_u64 v[16:17], v[20:21], 1, s[28:29]
	global_load_ushort v20, v[18:19], off
	global_load_ushort v21, v[16:17], off
	s_mov_b64 s[44:45], -1
	s_waitcnt vmcnt(0)
	v_cmp_eq_u16_e32 vcc, v20, v21
	s_and_saveexec_b64 s[38:39], vcc
	s_cbranch_execz .LBB699_306
; %bb.300:
	s_add_u32 s44, s26, -1
	v_lshl_add_u64 v[16:17], v[16:17], 0, 2
	v_lshl_add_u64 v[18:19], v[18:19], 0, 2
	s_addc_u32 s45, s27, -1
	s_mov_b64 s[46:47], 0
	s_mov_b64 s[50:51], 0
                                        ; implicit-def: $sgpr48_sgpr49
	s_branch .LBB699_303
.LBB699_301:                            ;   in Loop: Header=BB699_303 Depth=1
	global_load_ushort v20, v[18:19], off
	global_load_ushort v21, v[16:17], off
	s_add_u32 s50, s50, 1
	s_addc_u32 s51, s51, 0
	s_andn2_b64 s[48:49], s[48:49], exec
	v_lshl_add_u64 v[16:17], v[16:17], 0, 2
	v_lshl_add_u64 v[18:19], v[18:19], 0, 2
	s_waitcnt vmcnt(0)
	v_cmp_ne_u16_e32 vcc, v20, v21
	s_and_b64 s[54:55], vcc, exec
	s_or_b64 s[48:49], s[48:49], s[54:55]
.LBB699_302:                            ;   in Loop: Header=BB699_303 Depth=1
	s_and_b64 s[54:55], exec, s[48:49]
	s_or_b64 s[46:47], s[54:55], s[46:47]
	v_mov_b64_e32 v[20:21], s[50:51]
	s_andn2_b64 exec, exec, s[46:47]
	s_cbranch_execz .LBB699_305
.LBB699_303:                            ; =>This Inner Loop Header: Depth=1
	s_or_b64 s[48:49], s[48:49], exec
	s_cmp_eq_u64 s[44:45], s[50:51]
	s_cbranch_scc0 .LBB699_301
; %bb.304:                              ;   in Loop: Header=BB699_303 Depth=1
                                        ; implicit-def: $vgpr16_vgpr17
                                        ; implicit-def: $vgpr18_vgpr19
	s_mov_b64 s[50:51], s[26:27]
	s_branch .LBB699_302
.LBB699_305:
	s_or_b64 exec, exec, s[46:47]
	v_cmp_gt_i64_e32 vcc, s[26:27], v[20:21]
	s_orn2_b64 s[44:45], vcc, exec
.LBB699_306:
	s_or_b64 exec, exec, s[38:39]
.LBB699_307:
	s_and_b64 s[38:39], s[44:45], exec
.LBB699_308:
	s_or_b64 exec, exec, s[42:43]
	s_waitcnt vmcnt(0) lgkmcnt(1)
	v_cndmask_b32_e64 v17, 0, 1, s[14:15]
	v_cndmask_b32_e64 v16, 0, 1, s[40:41]
	v_cndmask_b32_e64 v34, 0, 1, s[10:11]
	v_lshlrev_b16_e32 v17, 8, v17
	v_cndmask_b32_e64 v25, 0, 1, s[12:13]
	v_cndmask_b32_e64 v18, 0, 1, s[38:39]
	v_or_b32_sdwa v16, v16, v17 dst_sel:WORD_1 dst_unused:UNUSED_PAD src0_sel:DWORD src1_sel:DWORD
	v_lshlrev_b16_e32 v17, 8, v34
	v_lshlrev_b16_e32 v18, 8, v18
	v_or_b32_e32 v17, v25, v17
	v_or_b32_e32 v18, 1, v18
	v_and_b32_e32 v17, 0xffff, v17
	v_cndmask_b32_e64 v35, 0, 1, s[4:5]
	v_or_b32_sdwa v16, v18, v16 dst_sel:DWORD dst_unused:UNUSED_PAD src0_sel:WORD_0 src1_sel:DWORD
	v_lshl_or_b32 v17, v35, 16, v17
	s_waitcnt lgkmcnt(0)
	s_barrier
	s_waitcnt lgkmcnt(0)
                                        ; implicit-def: $sgpr12_sgpr13
                                        ; implicit-def: $vgpr20
	s_and_saveexec_b64 s[4:5], s[2:3]
	s_cbranch_execz .LBB699_321
; %bb.309:
	v_cmp_gt_u32_e32 vcc, s52, v1
	s_mov_b32 s38, 0x3020104
	s_mov_b64 s[10:11], 0
	s_and_saveexec_b64 s[2:3], vcc
	s_cbranch_execz .LBB699_320
; %bb.310:
	s_andn2_b64 vcc, exec, s[6:7]
	s_cbranch_vccnz .LBB699_319
; %bb.311:
	v_add_u32_e32 v17, -8, v24
	ds_read_b64 v[18:19], v17
	v_mul_lo_u32 v17, v11, s26
	v_mad_u64_u32 v[22:23], s[6:7], v10, s26, 0
	s_mov_b64 s[10:11], -1
	s_waitcnt lgkmcnt(0)
	v_mul_lo_u32 v20, v19, s26
	v_mul_lo_u32 v21, v18, s27
	v_mad_u64_u32 v[18:19], s[6:7], v18, s26, 0
	v_add3_u32 v19, v19, v21, v20
	v_mul_lo_u32 v20, v10, s27
	v_add3_u32 v23, v23, v20, v17
	v_lshl_add_u64 v[20:21], v[18:19], 1, s[28:29]
	v_lshl_add_u64 v[18:19], v[22:23], 1, s[28:29]
	global_load_ushort v17, v[20:21], off
	global_load_ushort v22, v[18:19], off
	s_waitcnt vmcnt(0)
	v_cmp_eq_u16_e32 vcc, v17, v22
	s_and_saveexec_b64 s[6:7], vcc
	s_cbranch_execz .LBB699_318
; %bb.312:
	s_add_u32 s10, s26, -1
	v_lshl_add_u64 v[18:19], v[18:19], 0, 2
	v_lshl_add_u64 v[20:21], v[20:21], 0, 2
	s_addc_u32 s11, s27, -1
	s_mov_b64 s[12:13], 0
	s_mov_b64 s[28:29], 0
                                        ; implicit-def: $sgpr14_sgpr15
	s_branch .LBB699_315
.LBB699_313:                            ;   in Loop: Header=BB699_315 Depth=1
	global_load_ushort v17, v[20:21], off
	global_load_ushort v22, v[18:19], off
	s_add_u32 s28, s28, 1
	s_addc_u32 s29, s29, 0
	s_andn2_b64 s[14:15], s[14:15], exec
	v_lshl_add_u64 v[18:19], v[18:19], 0, 2
	v_lshl_add_u64 v[20:21], v[20:21], 0, 2
	s_waitcnt vmcnt(0)
	v_cmp_ne_u16_e32 vcc, v17, v22
	s_and_b64 s[40:41], vcc, exec
	s_or_b64 s[14:15], s[14:15], s[40:41]
.LBB699_314:                            ;   in Loop: Header=BB699_315 Depth=1
	s_and_b64 s[40:41], exec, s[14:15]
	s_or_b64 s[12:13], s[40:41], s[12:13]
	v_mov_b64_e32 v[22:23], s[28:29]
	s_andn2_b64 exec, exec, s[12:13]
	s_cbranch_execz .LBB699_317
.LBB699_315:                            ; =>This Inner Loop Header: Depth=1
	s_or_b64 s[14:15], s[14:15], exec
	s_cmp_eq_u64 s[10:11], s[28:29]
	s_cbranch_scc0 .LBB699_313
; %bb.316:                              ;   in Loop: Header=BB699_315 Depth=1
                                        ; implicit-def: $vgpr18_vgpr19
                                        ; implicit-def: $vgpr20_vgpr21
	s_mov_b64 s[28:29], s[26:27]
	s_branch .LBB699_314
.LBB699_317:
	s_or_b64 exec, exec, s[12:13]
	v_cmp_gt_i64_e32 vcc, s[26:27], v[22:23]
	s_orn2_b64 s[10:11], vcc, exec
.LBB699_318:
	s_or_b64 exec, exec, s[6:7]
.LBB699_319:
	s_and_b64 s[10:11], s[10:11], exec
.LBB699_320:
	s_or_b64 exec, exec, s[2:3]
	v_perm_b32 v20, v16, v16, s38
	s_and_b64 s[12:13], s[10:11], exec
	s_or_b64 s[8:9], s[8:9], exec
                                        ; implicit-def: $vgpr16_vgpr17
.LBB699_321:
	s_or_b64 exec, exec, s[4:5]
.LBB699_322:
	s_and_saveexec_b64 s[2:3], s[8:9]
	s_cbranch_execz .LBB699_324
; %bb.323:
	s_waitcnt vmcnt(0) lgkmcnt(0)
	v_lshlrev_b16_e32 v17, 8, v34
	v_and_b32_e32 v18, 0xff, v35
	v_or_b32_sdwa v17, v25, v17 dst_sel:DWORD dst_unused:UNUSED_PAD src0_sel:BYTE_0 src1_sel:DWORD
	v_lshlrev_b32_e32 v18, 16, v18
	s_movk_i32 s4, 0xff
	v_or_b32_sdwa v17, v17, v18 dst_sel:DWORD dst_unused:UNUSED_PAD src0_sel:WORD_0 src1_sel:DWORD
	v_lshrrev_b32_e32 v18, 24, v20
	v_lshlrev_b16_e32 v18, 8, v18
	v_and_b32_sdwa v19, v20, s4 dst_sel:DWORD dst_unused:UNUSED_PAD src0_sel:WORD_1 src1_sel:DWORD
	v_or_b32_sdwa v18, v19, v18 dst_sel:WORD_1 dst_unused:UNUSED_PAD src0_sel:DWORD src1_sel:DWORD
	v_mov_b32_e32 v19, 8
	v_cndmask_b32_e64 v16, 0, 1, s[12:13]
	v_lshrrev_b32_sdwa v19, v19, v20 dst_sel:BYTE_1 dst_unused:UNUSED_PAD src0_sel:DWORD src1_sel:DWORD
	s_nop 0
	v_or_b32_e32 v16, v16, v19
	v_or_b32_sdwa v16, v16, v18 dst_sel:DWORD dst_unused:UNUSED_PAD src0_sel:WORD_0 src1_sel:DWORD
.LBB699_324:
	s_or_b64 exec, exec, s[2:3]
	s_andn2_b64 vcc, exec, s[0:1]
	s_cbranch_vccnz .LBB699_326
; %bb.325:
	s_waitcnt vmcnt(0) lgkmcnt(0)
	v_and_b32_e32 v18, 0xffff0000, v16
	v_cmp_gt_u32_e32 vcc, s52, v1
	s_mov_b32 s0, 0x40c0100
	s_nop 0
	v_cndmask_b32_e32 v1, v18, v16, vcc
	v_and_b32_e32 v1, 0xffff00ff, v1
	v_cmp_gt_u32_e32 vcc, s52, v27
	s_nop 1
	v_cndmask_b32_e32 v1, v1, v16, vcc
	v_lshrrev_b32_e32 v18, 24, v1
	v_perm_b32 v1, v18, v1, s0
	v_cmp_gt_u32_e32 vcc, s52, v26
	v_and_b32_e32 v18, 0xffffff00, v17
	s_nop 0
	v_cndmask_b32_e32 v1, v1, v16, vcc
	v_and_b32_e32 v1, 0xffffff, v1
	v_cmp_gt_u32_e32 vcc, s52, v30
	s_nop 1
	v_cndmask_b32_e32 v1, v1, v16, vcc
	v_cmp_gt_u32_e32 vcc, s52, v28
	s_nop 1
	v_cndmask_b32_e32 v18, v18, v17, vcc
	v_and_b32_e32 v18, 0xffff00ff, v18
	v_cndmask_b32_e32 v1, v1, v16, vcc
	v_cmp_gt_u32_e32 vcc, s52, v31
	s_nop 1
	v_cndmask_b32_e32 v18, v18, v17, vcc
	v_lshrrev_b32_e32 v19, 24, v18
	v_cndmask_b32_e32 v1, v1, v16, vcc
	v_perm_b32 v18, v19, v18, s0
	v_cmp_gt_u32_e32 vcc, s52, v29
	s_mov_b32 s0, 0x3020104
	s_nop 0
	v_cndmask_b32_e32 v1, v1, v16, vcc
	v_cndmask_b32_e32 v16, v18, v17, vcc
	v_mov_b32_e32 v17, 8
	v_lshrrev_b32_sdwa v17, v17, v16 dst_sel:BYTE_1 dst_unused:UNUSED_PAD src0_sel:DWORD src1_sel:DWORD
	s_nop 0
	v_or_b32_sdwa v17, v16, v17 dst_sel:DWORD dst_unused:UNUSED_PAD src0_sel:BYTE_0 src1_sel:DWORD
	v_and_b32_e32 v17, 0xffff, v17
	v_bfe_u32 v16, v16, 16, 8
	v_lshl_or_b32 v17, v16, 16, v17
	v_perm_b32 v16, v1, v1, s0
.LBB699_326:
	s_waitcnt vmcnt(0) lgkmcnt(0)
	v_and_b32_e32 v1, 0xff, v16
	v_bfe_u32 v29, v16, 8, 8
	v_bfe_u32 v31, v16, 16, 8
	v_alignbit_b32 v18, v17, v16, 24
	v_and_b32_e32 v33, 0xff, v18
	v_and_b32_e32 v35, 0xff, v17
	v_add3_u32 v19, v29, v1, v31
	v_bfe_u32 v36, v17, 8, 8
	v_bfe_u32 v18, v17, 16, 8
	v_add3_u32 v19, v19, v33, v35
	v_add3_u32 v39, v19, v36, v18
	v_mbcnt_lo_u32_b32 v18, -1, 0
	v_mbcnt_hi_u32_b32 v37, -1, v18
	v_and_b32_e32 v18, 15, v37
	v_cmp_eq_u32_e64 s[14:15], 0, v18
	v_cmp_lt_u32_e64 s[12:13], 1, v18
	v_cmp_lt_u32_e64 s[10:11], 3, v18
	;; [unrolled: 1-line block ×3, first 2 shown]
	v_and_b32_e32 v18, 16, v37
	v_cmp_eq_u32_e64 s[6:7], 0, v18
	v_or_b32_e32 v18, 63, v0
	v_cmp_lt_u32_e64 s[2:3], 31, v37
	v_lshrrev_b32_e32 v38, 6, v0
	v_cmp_eq_u32_e64 s[4:5], v18, v0
	s_and_b64 vcc, exec, s[16:17]
	s_barrier
	s_cbranch_vccz .LBB699_357
; %bb.327:
	v_mov_b32_dpp v18, v39 row_shr:1 row_mask:0xf bank_mask:0xf
	v_cndmask_b32_e64 v18, v18, 0, s[14:15]
	v_add_u32_e32 v18, v18, v39
	s_nop 1
	v_mov_b32_dpp v19, v18 row_shr:2 row_mask:0xf bank_mask:0xf
	v_cndmask_b32_e64 v19, 0, v19, s[12:13]
	v_add_u32_e32 v18, v18, v19
	s_nop 1
	;; [unrolled: 4-line block ×4, first 2 shown]
	v_mov_b32_dpp v19, v18 row_bcast:15 row_mask:0xf bank_mask:0xf
	v_cndmask_b32_e64 v19, v19, 0, s[6:7]
	v_add_u32_e32 v18, v18, v19
	s_nop 1
	v_mov_b32_dpp v19, v18 row_bcast:31 row_mask:0xf bank_mask:0xf
	v_cndmask_b32_e64 v19, 0, v19, s[2:3]
	v_add_u32_e32 v18, v18, v19
	s_and_saveexec_b64 s[0:1], s[4:5]
	s_cbranch_execz .LBB699_329
; %bb.328:
	v_lshlrev_b32_e32 v19, 2, v38
	ds_write_b32 v19, v18
.LBB699_329:
	s_or_b64 exec, exec, s[0:1]
	v_cmp_gt_u32_e32 vcc, 8, v0
	s_waitcnt lgkmcnt(0)
	s_barrier
	s_and_saveexec_b64 s[0:1], vcc
	s_cbranch_execz .LBB699_331
; %bb.330:
	v_lshlrev_b32_e32 v19, 2, v0
	ds_read_b32 v20, v19
	v_and_b32_e32 v21, 7, v37
	v_cmp_ne_u32_e32 vcc, 0, v21
	s_waitcnt lgkmcnt(0)
	v_mov_b32_dpp v22, v20 row_shr:1 row_mask:0xf bank_mask:0xf
	v_cndmask_b32_e32 v22, 0, v22, vcc
	v_add_u32_e32 v20, v22, v20
	v_cmp_lt_u32_e32 vcc, 1, v21
	s_nop 0
	v_mov_b32_dpp v22, v20 row_shr:2 row_mask:0xf bank_mask:0xf
	v_cndmask_b32_e32 v22, 0, v22, vcc
	v_add_u32_e32 v20, v20, v22
	v_cmp_lt_u32_e32 vcc, 3, v21
	s_nop 0
	v_mov_b32_dpp v22, v20 row_shr:4 row_mask:0xf bank_mask:0xf
	v_cndmask_b32_e32 v21, 0, v22, vcc
	v_add_u32_e32 v20, v20, v21
	ds_write_b32 v19, v20
.LBB699_331:
	s_or_b64 exec, exec, s[0:1]
	v_cmp_gt_u32_e32 vcc, 64, v0
	v_cmp_lt_u32_e64 s[0:1], 63, v0
	s_waitcnt lgkmcnt(0)
	s_barrier
	s_waitcnt lgkmcnt(0)
                                        ; implicit-def: $vgpr28
	s_and_saveexec_b64 s[16:17], s[0:1]
	s_cbranch_execz .LBB699_333
; %bb.332:
	v_lshl_add_u32 v19, v38, 2, -4
	ds_read_b32 v28, v19
	s_waitcnt lgkmcnt(0)
	v_add_u32_e32 v18, v28, v18
.LBB699_333:
	s_or_b64 exec, exec, s[16:17]
	v_add_u32_e32 v19, -1, v37
	v_and_b32_e32 v20, 64, v37
	v_cmp_lt_i32_e64 s[0:1], v19, v20
	v_cmp_eq_u32_e64 s[16:17], 0, v37
	s_nop 0
	v_cndmask_b32_e64 v19, v19, v37, s[0:1]
	v_lshlrev_b32_e32 v19, 2, v19
	ds_bpermute_b32 v30, v19, v18
	s_and_saveexec_b64 s[0:1], vcc
	s_cbranch_execz .LBB699_356
; %bb.334:
	v_mov_b32_e32 v27, 0
	ds_read_b32 v18, v27 offset:28
	s_and_saveexec_b64 s[26:27], s[16:17]
	s_cbranch_execz .LBB699_336
; %bb.335:
	s_add_i32 s28, s33, 64
	s_mov_b32 s29, 0
	s_lshl_b64 s[28:29], s[28:29], 3
	s_add_u32 s28, s30, s28
	v_mov_b32_e32 v19, 1
	s_addc_u32 s29, s31, s29
	s_waitcnt lgkmcnt(0)
	global_store_dwordx2 v27, v[18:19], s[28:29] sc1
.LBB699_336:
	s_or_b64 exec, exec, s[26:27]
	v_xad_u32 v20, v37, -1, s33
	v_add_u32_e32 v26, 64, v20
	v_lshl_add_u64 v[22:23], v[26:27], 3, s[30:31]
	global_load_dwordx2 v[24:25], v[22:23], off sc1
	s_waitcnt vmcnt(0)
	v_cmp_eq_u16_sdwa s[28:29], v25, v27 src0_sel:BYTE_0 src1_sel:DWORD
	s_and_saveexec_b64 s[26:27], s[28:29]
	s_cbranch_execz .LBB699_342
; %bb.337:
	s_mov_b32 s38, 1
	s_mov_b64 s[28:29], 0
	v_mov_b32_e32 v19, 0
.LBB699_338:                            ; =>This Loop Header: Depth=1
                                        ;     Child Loop BB699_339 Depth 2
	s_max_u32 s39, s38, 1
.LBB699_339:                            ;   Parent Loop BB699_338 Depth=1
                                        ; =>  This Inner Loop Header: Depth=2
	s_add_i32 s39, s39, -1
	s_cmp_eq_u32 s39, 0
	s_sleep 1
	s_cbranch_scc0 .LBB699_339
; %bb.340:                              ;   in Loop: Header=BB699_338 Depth=1
	global_load_dwordx2 v[24:25], v[22:23], off sc1
	s_cmp_lt_u32 s38, 32
	s_cselect_b64 s[40:41], -1, 0
	s_cmp_lg_u64 s[40:41], 0
	s_addc_u32 s38, s38, 0
	s_waitcnt vmcnt(0)
	v_cmp_ne_u16_sdwa s[40:41], v25, v19 src0_sel:BYTE_0 src1_sel:DWORD
	s_or_b64 s[28:29], s[40:41], s[28:29]
	s_andn2_b64 exec, exec, s[28:29]
	s_cbranch_execnz .LBB699_338
; %bb.341:
	s_or_b64 exec, exec, s[28:29]
.LBB699_342:
	s_or_b64 exec, exec, s[26:27]
	v_and_b32_e32 v32, 63, v37
	v_mov_b32_e32 v19, 2
	v_cmp_ne_u32_e32 vcc, 63, v32
	v_cmp_eq_u16_sdwa s[26:27], v25, v19 src0_sel:BYTE_0 src1_sel:DWORD
	v_lshlrev_b64 v[22:23], v37, -1
	v_addc_co_u32_e32 v27, vcc, 0, v37, vcc
	v_and_b32_e32 v21, s27, v23
	v_lshlrev_b32_e32 v34, 2, v27
	v_or_b32_e32 v21, 0x80000000, v21
	ds_bpermute_b32 v27, v34, v24
	v_and_b32_e32 v26, s26, v22
	v_ffbl_b32_e32 v21, v21
	v_add_u32_e32 v21, 32, v21
	v_ffbl_b32_e32 v26, v26
	v_min_u32_e32 v21, v26, v21
	v_cmp_lt_u32_e32 vcc, v32, v21
	v_add_u32_e32 v41, 2, v32
	v_add_u32_e32 v43, 4, v32
	s_waitcnt lgkmcnt(0)
	v_cndmask_b32_e32 v26, 0, v27, vcc
	v_cmp_gt_u32_e32 vcc, 62, v32
	v_add_u32_e32 v24, v26, v24
	v_add_u32_e32 v45, 8, v32
	v_cndmask_b32_e64 v26, 0, 1, vcc
	v_lshlrev_b32_e32 v26, 1, v26
	v_add_lshl_u32 v40, v26, v37, 2
	ds_bpermute_b32 v26, v40, v24
	v_cmp_le_u32_e32 vcc, v41, v21
	v_add_u32_e32 v48, 16, v32
	v_add_u32_e32 v50, 32, v32
	s_waitcnt lgkmcnt(0)
	v_cndmask_b32_e32 v26, 0, v26, vcc
	v_cmp_gt_u32_e32 vcc, 60, v32
	v_add_u32_e32 v24, v24, v26
	s_nop 0
	v_cndmask_b32_e64 v26, 0, 1, vcc
	v_lshlrev_b32_e32 v26, 2, v26
	v_add_lshl_u32 v42, v26, v37, 2
	ds_bpermute_b32 v26, v42, v24
	v_cmp_le_u32_e32 vcc, v43, v21
	s_waitcnt lgkmcnt(0)
	s_nop 0
	v_cndmask_b32_e32 v26, 0, v26, vcc
	v_cmp_gt_u32_e32 vcc, 56, v32
	v_add_u32_e32 v24, v24, v26
	s_nop 0
	v_cndmask_b32_e64 v26, 0, 1, vcc
	v_lshlrev_b32_e32 v26, 3, v26
	v_add_lshl_u32 v44, v26, v37, 2
	ds_bpermute_b32 v26, v44, v24
	v_cmp_le_u32_e32 vcc, v45, v21
	s_waitcnt lgkmcnt(0)
	s_nop 0
	;; [unrolled: 11-line block ×4, first 2 shown]
	v_cndmask_b32_e32 v21, 0, v26, vcc
	v_add_u32_e32 v24, v24, v21
	v_mov_b32_e32 v21, 0
	s_branch .LBB699_344
.LBB699_343:                            ;   in Loop: Header=BB699_344 Depth=1
	s_or_b64 exec, exec, s[26:27]
	v_cmp_eq_u16_sdwa s[26:27], v25, v19 src0_sel:BYTE_0 src1_sel:DWORD
	ds_bpermute_b32 v51, v34, v24
	v_subrev_u32_e32 v20, 64, v20
	v_and_b32_e32 v26, s27, v23
	v_or_b32_e32 v26, 0x80000000, v26
	v_and_b32_e32 v27, s26, v22
	v_ffbl_b32_e32 v26, v26
	v_add_u32_e32 v26, 32, v26
	v_ffbl_b32_e32 v27, v27
	v_min_u32_e32 v26, v27, v26
	v_cmp_lt_u32_e32 vcc, v32, v26
	s_waitcnt lgkmcnt(0)
	s_nop 0
	v_cndmask_b32_e32 v27, 0, v51, vcc
	v_add_u32_e32 v24, v27, v24
	ds_bpermute_b32 v27, v40, v24
	v_cmp_le_u32_e32 vcc, v41, v26
	s_waitcnt lgkmcnt(0)
	s_nop 0
	v_cndmask_b32_e32 v27, 0, v27, vcc
	v_add_u32_e32 v24, v24, v27
	ds_bpermute_b32 v27, v42, v24
	v_cmp_le_u32_e32 vcc, v43, v26
	s_waitcnt lgkmcnt(0)
	s_nop 0
	v_cndmask_b32_e32 v27, 0, v27, vcc
	v_add_u32_e32 v24, v24, v27
	ds_bpermute_b32 v27, v44, v24
	v_cmp_le_u32_e32 vcc, v45, v26
	s_waitcnt lgkmcnt(0)
	s_nop 0
	v_cndmask_b32_e32 v27, 0, v27, vcc
	v_add_u32_e32 v24, v24, v27
	ds_bpermute_b32 v27, v47, v24
	v_cmp_le_u32_e32 vcc, v48, v26
	s_waitcnt lgkmcnt(0)
	s_nop 0
	v_cndmask_b32_e32 v27, 0, v27, vcc
	v_add_u32_e32 v24, v24, v27
	ds_bpermute_b32 v27, v49, v24
	v_cmp_le_u32_e32 vcc, v50, v26
	s_waitcnt lgkmcnt(0)
	s_nop 0
	v_cndmask_b32_e32 v26, 0, v27, vcc
	v_add3_u32 v24, v26, v46, v24
.LBB699_344:                            ; =>This Loop Header: Depth=1
                                        ;     Child Loop BB699_347 Depth 2
                                        ;       Child Loop BB699_348 Depth 3
	v_cmp_ne_u16_sdwa s[26:27], v25, v19 src0_sel:BYTE_0 src1_sel:DWORD
	v_mov_b32_e32 v46, v24
	s_nop 0
	v_cndmask_b32_e64 v25, 0, 1, s[26:27]
	;;#ASMSTART
	;;#ASMEND
	s_nop 0
	v_cmp_ne_u32_e32 vcc, 0, v25
	s_cmp_lg_u64 vcc, exec
	s_cbranch_scc1 .LBB699_351
; %bb.345:                              ;   in Loop: Header=BB699_344 Depth=1
	v_lshl_add_u64 v[26:27], v[20:21], 3, s[30:31]
	global_load_dwordx2 v[24:25], v[26:27], off sc1
	s_waitcnt vmcnt(0)
	v_cmp_eq_u16_sdwa s[28:29], v25, v21 src0_sel:BYTE_0 src1_sel:DWORD
	s_and_saveexec_b64 s[26:27], s[28:29]
	s_cbranch_execz .LBB699_343
; %bb.346:                              ;   in Loop: Header=BB699_344 Depth=1
	s_mov_b32 s38, 1
	s_mov_b64 s[28:29], 0
.LBB699_347:                            ;   Parent Loop BB699_344 Depth=1
                                        ; =>  This Loop Header: Depth=2
                                        ;       Child Loop BB699_348 Depth 3
	s_max_u32 s39, s38, 1
.LBB699_348:                            ;   Parent Loop BB699_344 Depth=1
                                        ;     Parent Loop BB699_347 Depth=2
                                        ; =>    This Inner Loop Header: Depth=3
	s_add_i32 s39, s39, -1
	s_cmp_eq_u32 s39, 0
	s_sleep 1
	s_cbranch_scc0 .LBB699_348
; %bb.349:                              ;   in Loop: Header=BB699_347 Depth=2
	global_load_dwordx2 v[24:25], v[26:27], off sc1
	s_cmp_lt_u32 s38, 32
	s_cselect_b64 s[40:41], -1, 0
	s_cmp_lg_u64 s[40:41], 0
	s_addc_u32 s38, s38, 0
	s_waitcnt vmcnt(0)
	v_cmp_ne_u16_sdwa s[40:41], v25, v21 src0_sel:BYTE_0 src1_sel:DWORD
	s_or_b64 s[28:29], s[40:41], s[28:29]
	s_andn2_b64 exec, exec, s[28:29]
	s_cbranch_execnz .LBB699_347
; %bb.350:                              ;   in Loop: Header=BB699_344 Depth=1
	s_or_b64 exec, exec, s[28:29]
	s_branch .LBB699_343
.LBB699_351:                            ;   in Loop: Header=BB699_344 Depth=1
                                        ; implicit-def: $vgpr24
                                        ; implicit-def: $vgpr25
	s_cbranch_execz .LBB699_344
; %bb.352:
	s_and_saveexec_b64 s[26:27], s[16:17]
	s_cbranch_execz .LBB699_354
; %bb.353:
	s_add_i32 s28, s33, 64
	s_mov_b32 s29, 0
	s_lshl_b64 s[28:29], s[28:29], 3
	s_add_u32 s28, s30, s28
	v_add_u32_e32 v20, v46, v18
	v_mov_b32_e32 v21, 2
	s_addc_u32 s29, s31, s29
	v_mov_b32_e32 v19, 0
	global_store_dwordx2 v19, v[20:21], s[28:29] sc1
	s_movk_i32 s28, 0x7000
	v_add_u32_e64 v19, s28, 0
	ds_write2_b32 v19, v18, v46 offset1:2
.LBB699_354:
	s_or_b64 exec, exec, s[26:27]
	s_and_b64 exec, exec, s[18:19]
	s_cbranch_execz .LBB699_356
; %bb.355:
	v_mov_b32_e32 v18, 0
	ds_write_b32 v18, v46 offset:28
.LBB699_356:
	s_or_b64 exec, exec, s[0:1]
	v_mov_b32_e32 v18, 0
	s_waitcnt lgkmcnt(0)
	s_barrier
	ds_read_b32 v18, v18 offset:28
	v_cndmask_b32_e64 v19, v30, v28, s[16:17]
	v_cndmask_b32_e64 v19, v19, 0, s[18:19]
	s_movk_i32 s0, 0x7000
	s_waitcnt lgkmcnt(0)
	v_add_u32_e32 v34, v18, v19
	v_add_u32_e32 v32, v34, v1
	v_add_u32_e64 v18, s0, 0
	v_add_u32_e32 v30, v32, v29
	s_barrier
	ds_read2_b32 v[18:19], v18 offset1:2
	v_add_u32_e32 v28, v30, v31
	v_add_u32_e32 v26, v28, v33
	;; [unrolled: 1-line block ×4, first 2 shown]
	v_lshrrev_b64 v[20:21], 24, v[16:17]
	s_branch .LBB699_367
.LBB699_357:
                                        ; implicit-def: $vgpr22
                                        ; implicit-def: $vgpr24
                                        ; implicit-def: $vgpr26
                                        ; implicit-def: $vgpr28
                                        ; implicit-def: $vgpr30
                                        ; implicit-def: $vgpr32
                                        ; implicit-def: $vgpr34
                                        ; implicit-def: $vgpr19
	v_lshrrev_b64 v[20:21], 24, v[16:17]
	s_cbranch_execz .LBB699_367
; %bb.358:
	s_waitcnt lgkmcnt(0)
	v_mov_b32_dpp v18, v39 row_shr:1 row_mask:0xf bank_mask:0xf
	v_cndmask_b32_e64 v18, v18, 0, s[14:15]
	v_add_u32_e32 v18, v18, v39
	s_nop 1
	v_mov_b32_dpp v19, v18 row_shr:2 row_mask:0xf bank_mask:0xf
	v_cndmask_b32_e64 v19, 0, v19, s[12:13]
	v_add_u32_e32 v18, v18, v19
	s_nop 1
	;; [unrolled: 4-line block ×4, first 2 shown]
	v_mov_b32_dpp v19, v18 row_bcast:15 row_mask:0xf bank_mask:0xf
	v_cndmask_b32_e64 v19, v19, 0, s[6:7]
	v_add_u32_e32 v18, v18, v19
	s_nop 1
	v_mov_b32_dpp v19, v18 row_bcast:31 row_mask:0xf bank_mask:0xf
	v_cndmask_b32_e64 v19, 0, v19, s[2:3]
	v_add_u32_e32 v18, v18, v19
	s_and_saveexec_b64 s[0:1], s[4:5]
	s_cbranch_execz .LBB699_360
; %bb.359:
	v_lshlrev_b32_e32 v19, 2, v38
	ds_write_b32 v19, v18
.LBB699_360:
	s_or_b64 exec, exec, s[0:1]
	v_cmp_gt_u32_e32 vcc, 8, v0
	s_waitcnt lgkmcnt(0)
	s_barrier
	s_and_saveexec_b64 s[0:1], vcc
	s_cbranch_execz .LBB699_362
; %bb.361:
	v_lshlrev_b32_e32 v19, 2, v0
	ds_read_b32 v21, v19
	v_and_b32_e32 v22, 7, v37
	v_cmp_ne_u32_e32 vcc, 0, v22
	s_waitcnt lgkmcnt(0)
	v_mov_b32_dpp v23, v21 row_shr:1 row_mask:0xf bank_mask:0xf
	v_cndmask_b32_e32 v23, 0, v23, vcc
	v_add_u32_e32 v21, v23, v21
	v_cmp_lt_u32_e32 vcc, 1, v22
	s_nop 0
	v_mov_b32_dpp v23, v21 row_shr:2 row_mask:0xf bank_mask:0xf
	v_cndmask_b32_e32 v23, 0, v23, vcc
	v_add_u32_e32 v21, v21, v23
	v_cmp_lt_u32_e32 vcc, 3, v22
	s_nop 0
	v_mov_b32_dpp v23, v21 row_shr:4 row_mask:0xf bank_mask:0xf
	v_cndmask_b32_e32 v22, 0, v23, vcc
	v_add_u32_e32 v21, v21, v22
	ds_write_b32 v19, v21
.LBB699_362:
	s_or_b64 exec, exec, s[0:1]
	v_cmp_lt_u32_e32 vcc, 63, v0
	v_mov_b32_e32 v19, 0
	v_mov_b32_e32 v21, 0
	s_waitcnt lgkmcnt(0)
	s_barrier
	s_and_saveexec_b64 s[0:1], vcc
	s_cbranch_execz .LBB699_364
; %bb.363:
	v_lshl_add_u32 v21, v38, 2, -4
	ds_read_b32 v21, v21
.LBB699_364:
	s_or_b64 exec, exec, s[0:1]
	v_add_u32_e32 v22, -1, v37
	v_and_b32_e32 v23, 64, v37
	v_cmp_lt_i32_e32 vcc, v22, v23
	s_waitcnt lgkmcnt(0)
	v_add_u32_e32 v18, v21, v18
	v_cndmask_b32_e32 v22, v22, v37, vcc
	v_lshlrev_b32_e32 v22, 2, v22
	ds_bpermute_b32 v22, v22, v18
	ds_read_b32 v18, v19 offset:28
	s_and_saveexec_b64 s[0:1], s[18:19]
	s_cbranch_execz .LBB699_366
; %bb.365:
	v_mov_b32_e32 v23, 0
	v_mov_b32_e32 v19, 2
	s_waitcnt lgkmcnt(0)
	global_store_dwordx2 v23, v[18:19], s[30:31] offset:512 sc1
.LBB699_366:
	s_or_b64 exec, exec, s[0:1]
	v_cmp_eq_u32_e32 vcc, 0, v37
	v_mov_b32_e32 v19, 0
	s_waitcnt lgkmcnt(0)
	v_cndmask_b32_e32 v21, v22, v21, vcc
	v_cndmask_b32_e64 v34, v21, 0, s[18:19]
	v_add_u32_e32 v32, v34, v1
	v_add_u32_e32 v30, v32, v29
	;; [unrolled: 1-line block ×6, first 2 shown]
	s_barrier
.LBB699_367:
	s_movk_i32 s0, 0x201
	s_waitcnt lgkmcnt(0)
	v_cmp_gt_u32_e32 vcc, s0, v18
	v_lshrrev_b32_e32 v21, 8, v16
	v_lshrrev_b32_e32 v1, 8, v17
	s_mov_b64 s[0:1], -1
	s_cbranch_vccnz .LBB699_371
; %bb.368:
	s_and_b64 vcc, exec, s[0:1]
	s_cbranch_vccnz .LBB699_393
.LBB699_369:
	s_and_b64 s[0:1], s[18:19], s[24:25]
	s_and_saveexec_b64 s[2:3], s[0:1]
	s_cbranch_execnz .LBB699_411
.LBB699_370:
	s_endpgm
.LBB699_371:
	v_add_u32_e32 v23, v19, v18
	v_cmp_lt_u32_e32 vcc, v34, v23
	s_or_b64 s[2:3], s[36:37], vcc
	s_and_saveexec_b64 s[0:1], s[2:3]
	s_cbranch_execz .LBB699_374
; %bb.372:
	v_and_b32_e32 v25, 1, v16
	v_cmp_eq_u32_e32 vcc, 1, v25
	s_and_b64 exec, exec, vcc
	s_cbranch_execz .LBB699_374
; %bb.373:
	s_lshl_b64 s[2:3], s[22:23], 3
	s_add_u32 s2, s34, s2
	s_addc_u32 s3, s35, s3
	v_mov_b32_e32 v35, 0
	v_lshl_add_u64 v[36:37], v[34:35], 3, s[2:3]
	global_store_dwordx2 v[36:37], v[10:11], off
.LBB699_374:
	s_or_b64 exec, exec, s[0:1]
	v_cmp_lt_u32_e32 vcc, v32, v23
	s_or_b64 s[2:3], s[36:37], vcc
	s_and_saveexec_b64 s[0:1], s[2:3]
	s_cbranch_execz .LBB699_377
; %bb.375:
	v_and_b32_e32 v25, 1, v21
	v_cmp_eq_u32_e32 vcc, 1, v25
	s_and_b64 exec, exec, vcc
	s_cbranch_execz .LBB699_377
; %bb.376:
	s_lshl_b64 s[2:3], s[22:23], 3
	s_add_u32 s2, s34, s2
	s_addc_u32 s3, s35, s3
	v_mov_b32_e32 v33, 0
	v_lshl_add_u64 v[36:37], v[32:33], 3, s[2:3]
	global_store_dwordx2 v[36:37], v[12:13], off
.LBB699_377:
	s_or_b64 exec, exec, s[0:1]
	v_cmp_lt_u32_e32 vcc, v30, v23
	s_or_b64 s[2:3], s[36:37], vcc
	s_and_saveexec_b64 s[0:1], s[2:3]
	s_cbranch_execz .LBB699_380
; %bb.378:
	v_mov_b32_e32 v25, 1
	v_and_b32_sdwa v25, v25, v16 dst_sel:DWORD dst_unused:UNUSED_PAD src0_sel:DWORD src1_sel:WORD_1
	v_cmp_eq_u32_e32 vcc, 1, v25
	s_and_b64 exec, exec, vcc
	s_cbranch_execz .LBB699_380
; %bb.379:
	s_lshl_b64 s[2:3], s[22:23], 3
	s_add_u32 s2, s34, s2
	s_addc_u32 s3, s35, s3
	v_mov_b32_e32 v31, 0
	v_lshl_add_u64 v[36:37], v[30:31], 3, s[2:3]
	global_store_dwordx2 v[36:37], v[6:7], off
.LBB699_380:
	s_or_b64 exec, exec, s[0:1]
	v_cmp_lt_u32_e32 vcc, v28, v23
	s_or_b64 s[2:3], s[36:37], vcc
	s_and_saveexec_b64 s[0:1], s[2:3]
	s_cbranch_execz .LBB699_383
; %bb.381:
	v_and_b32_e32 v25, 1, v20
	v_cmp_eq_u32_e32 vcc, 1, v25
	s_and_b64 exec, exec, vcc
	s_cbranch_execz .LBB699_383
; %bb.382:
	s_lshl_b64 s[2:3], s[22:23], 3
	s_add_u32 s2, s34, s2
	s_addc_u32 s3, s35, s3
	v_mov_b32_e32 v29, 0
	v_lshl_add_u64 v[36:37], v[28:29], 3, s[2:3]
	global_store_dwordx2 v[36:37], v[8:9], off
.LBB699_383:
	s_or_b64 exec, exec, s[0:1]
	v_cmp_lt_u32_e32 vcc, v26, v23
	s_or_b64 s[2:3], s[36:37], vcc
	s_and_saveexec_b64 s[0:1], s[2:3]
	s_cbranch_execz .LBB699_386
; %bb.384:
	v_and_b32_e32 v25, 1, v17
	v_cmp_eq_u32_e32 vcc, 1, v25
	s_and_b64 exec, exec, vcc
	s_cbranch_execz .LBB699_386
; %bb.385:
	s_lshl_b64 s[2:3], s[22:23], 3
	s_add_u32 s2, s34, s2
	s_addc_u32 s3, s35, s3
	v_mov_b32_e32 v27, 0
	v_lshl_add_u64 v[36:37], v[26:27], 3, s[2:3]
	global_store_dwordx2 v[36:37], v[2:3], off
.LBB699_386:
	;; [unrolled: 18-line block ×3, first 2 shown]
	s_or_b64 exec, exec, s[0:1]
	v_cmp_lt_u32_e32 vcc, v22, v23
	s_or_b64 s[2:3], s[36:37], vcc
	s_and_saveexec_b64 s[0:1], s[2:3]
	s_cbranch_execz .LBB699_392
; %bb.390:
	v_mov_b32_e32 v23, 1
	v_and_b32_sdwa v23, v23, v17 dst_sel:DWORD dst_unused:UNUSED_PAD src0_sel:DWORD src1_sel:WORD_1
	v_cmp_eq_u32_e32 vcc, 1, v23
	s_and_b64 exec, exec, vcc
	s_cbranch_execz .LBB699_392
; %bb.391:
	s_lshl_b64 s[2:3], s[22:23], 3
	s_add_u32 s2, s34, s2
	s_addc_u32 s3, s35, s3
	v_mov_b32_e32 v23, 0
	v_lshl_add_u64 v[36:37], v[22:23], 3, s[2:3]
	global_store_dwordx2 v[36:37], v[14:15], off
.LBB699_392:
	s_or_b64 exec, exec, s[0:1]
	s_branch .LBB699_369
.LBB699_393:
	v_and_b32_e32 v23, 1, v16
	v_cmp_eq_u32_e32 vcc, 1, v23
	s_and_saveexec_b64 s[0:1], vcc
	s_cbranch_execz .LBB699_395
; %bb.394:
	v_sub_u32_e32 v23, v34, v19
	v_lshlrev_b32_e32 v23, 3, v23
	ds_write_b64 v23, v[10:11]
.LBB699_395:
	s_or_b64 exec, exec, s[0:1]
	v_and_b32_e32 v10, 1, v21
	v_cmp_eq_u32_e32 vcc, 1, v10
	s_and_saveexec_b64 s[0:1], vcc
	s_cbranch_execz .LBB699_397
; %bb.396:
	v_sub_u32_e32 v10, v32, v19
	v_lshlrev_b32_e32 v10, 3, v10
	ds_write_b64 v10, v[12:13]
.LBB699_397:
	s_or_b64 exec, exec, s[0:1]
	v_mov_b32_e32 v10, 1
	v_and_b32_sdwa v10, v10, v16 dst_sel:DWORD dst_unused:UNUSED_PAD src0_sel:DWORD src1_sel:WORD_1
	v_cmp_eq_u32_e32 vcc, 1, v10
	s_and_saveexec_b64 s[0:1], vcc
	s_cbranch_execz .LBB699_399
; %bb.398:
	v_sub_u32_e32 v10, v30, v19
	v_lshlrev_b32_e32 v10, 3, v10
	ds_write_b64 v10, v[6:7]
.LBB699_399:
	s_or_b64 exec, exec, s[0:1]
	v_and_b32_e32 v6, 1, v20
	v_cmp_eq_u32_e32 vcc, 1, v6
	s_and_saveexec_b64 s[0:1], vcc
	s_cbranch_execz .LBB699_401
; %bb.400:
	v_sub_u32_e32 v6, v28, v19
	v_lshlrev_b32_e32 v6, 3, v6
	ds_write_b64 v6, v[8:9]
.LBB699_401:
	s_or_b64 exec, exec, s[0:1]
	v_and_b32_e32 v6, 1, v17
	;; [unrolled: 10-line block ×3, first 2 shown]
	v_cmp_eq_u32_e32 vcc, 1, v1
	s_and_saveexec_b64 s[0:1], vcc
	s_cbranch_execz .LBB699_405
; %bb.404:
	v_sub_u32_e32 v1, v24, v19
	v_lshlrev_b32_e32 v1, 3, v1
	ds_write_b64 v1, v[4:5]
.LBB699_405:
	s_or_b64 exec, exec, s[0:1]
	v_mov_b32_e32 v1, 1
	v_and_b32_sdwa v1, v1, v17 dst_sel:DWORD dst_unused:UNUSED_PAD src0_sel:DWORD src1_sel:WORD_1
	v_cmp_eq_u32_e32 vcc, 1, v1
	s_and_saveexec_b64 s[0:1], vcc
	s_cbranch_execz .LBB699_407
; %bb.406:
	v_sub_u32_e32 v1, v22, v19
	v_lshlrev_b32_e32 v1, 3, v1
	ds_write_b64 v1, v[14:15]
.LBB699_407:
	s_or_b64 exec, exec, s[0:1]
	v_cmp_lt_u32_e32 vcc, v0, v18
	s_waitcnt lgkmcnt(0)
	s_barrier
	s_and_saveexec_b64 s[0:1], vcc
	s_cbranch_execz .LBB699_410
; %bb.408:
	v_mov_b32_e32 v5, 0
	v_mov_b32_e32 v4, v19
	s_lshl_b64 s[2:3], s[22:23], 3
	v_lshlrev_b64 v[6:7], 3, v[4:5]
	v_lshl_add_u64 v[6:7], s[2:3], 0, v[6:7]
	v_lshlrev_b32_e32 v2, 3, v0
	v_mov_b32_e32 v3, v5
	v_lshl_add_u64 v[4:5], s[34:35], 0, v[6:7]
	v_lshl_add_u64 v[4:5], v[4:5], 0, v[2:3]
	s_mov_b64 s[2:3], 0
	s_mov_b64 s[4:5], 0x1000
.LBB699_409:                            ; =>This Inner Loop Header: Depth=1
	ds_read_b64 v[6:7], v2
	v_add_u32_e32 v0, 0x200, v0
	v_cmp_ge_u32_e32 vcc, v0, v18
	v_add_u32_e32 v2, 0x1000, v2
	s_or_b64 s[2:3], vcc, s[2:3]
	s_waitcnt lgkmcnt(0)
	global_store_dwordx2 v[4:5], v[6:7], off
	v_lshl_add_u64 v[4:5], v[4:5], 0, s[4:5]
	s_andn2_b64 exec, exec, s[2:3]
	s_cbranch_execnz .LBB699_409
.LBB699_410:
	s_or_b64 exec, exec, s[0:1]
	s_and_b64 s[0:1], s[18:19], s[24:25]
	s_and_saveexec_b64 s[2:3], s[0:1]
	s_cbranch_execz .LBB699_370
.LBB699_411:
	v_mov_b32_e32 v1, 0
	v_mov_b32_e32 v0, v18
	v_lshl_add_u64 v[2:3], s[22:23], 0, v[0:1]
	v_mov_b32_e32 v0, v19
	v_lshl_add_u64 v[2:3], v[2:3], 0, v[0:1]
	global_store_dwordx2 v1, v[2:3], s[20:21]
	s_endpgm
	.section	.rodata,"a",@progbits
	.p2align	6, 0x0
	.amdhsa_kernel _ZN7rocprim17ROCPRIM_400000_NS6detail17trampoline_kernelINS0_14default_configENS1_25partition_config_selectorILNS1_17partition_subalgoE8ElNS0_10empty_typeEbEEZZNS1_14partition_implILS5_8ELb0ES3_jPlPS6_PKS6_NS0_5tupleIJS9_S6_EEENSD_IJSA_SA_EEENS0_18inequality_wrapperIZN2at6native12_GLOBAL__N_124unique_dim_cuda_templateIsEESt5tupleIJNSH_6TensorESM_SM_EERKSM_lbbbEUlllE0_EEPmJS6_EEE10hipError_tPvRmT3_T4_T5_T6_T7_T9_mT8_P12ihipStream_tbDpT10_ENKUlT_T0_E_clISt17integral_constantIbLb1EES1C_EEDaS17_S18_EUlS17_E_NS1_11comp_targetILNS1_3genE5ELNS1_11target_archE942ELNS1_3gpuE9ELNS1_3repE0EEENS1_30default_config_static_selectorELNS0_4arch9wavefront6targetE1EEEvT1_
		.amdhsa_group_segment_fixed_size 28684
		.amdhsa_private_segment_fixed_size 0
		.amdhsa_kernarg_size 136
		.amdhsa_user_sgpr_count 2
		.amdhsa_user_sgpr_dispatch_ptr 0
		.amdhsa_user_sgpr_queue_ptr 0
		.amdhsa_user_sgpr_kernarg_segment_ptr 1
		.amdhsa_user_sgpr_dispatch_id 0
		.amdhsa_user_sgpr_kernarg_preload_length 0
		.amdhsa_user_sgpr_kernarg_preload_offset 0
		.amdhsa_user_sgpr_private_segment_size 0
		.amdhsa_uses_dynamic_stack 0
		.amdhsa_enable_private_segment 0
		.amdhsa_system_sgpr_workgroup_id_x 1
		.amdhsa_system_sgpr_workgroup_id_y 0
		.amdhsa_system_sgpr_workgroup_id_z 0
		.amdhsa_system_sgpr_workgroup_info 0
		.amdhsa_system_vgpr_workitem_id 0
		.amdhsa_next_free_vgpr 52
		.amdhsa_next_free_sgpr 56
		.amdhsa_accum_offset 52
		.amdhsa_reserve_vcc 1
		.amdhsa_float_round_mode_32 0
		.amdhsa_float_round_mode_16_64 0
		.amdhsa_float_denorm_mode_32 3
		.amdhsa_float_denorm_mode_16_64 3
		.amdhsa_dx10_clamp 1
		.amdhsa_ieee_mode 1
		.amdhsa_fp16_overflow 0
		.amdhsa_tg_split 0
		.amdhsa_exception_fp_ieee_invalid_op 0
		.amdhsa_exception_fp_denorm_src 0
		.amdhsa_exception_fp_ieee_div_zero 0
		.amdhsa_exception_fp_ieee_overflow 0
		.amdhsa_exception_fp_ieee_underflow 0
		.amdhsa_exception_fp_ieee_inexact 0
		.amdhsa_exception_int_div_zero 0
	.end_amdhsa_kernel
	.section	.text._ZN7rocprim17ROCPRIM_400000_NS6detail17trampoline_kernelINS0_14default_configENS1_25partition_config_selectorILNS1_17partition_subalgoE8ElNS0_10empty_typeEbEEZZNS1_14partition_implILS5_8ELb0ES3_jPlPS6_PKS6_NS0_5tupleIJS9_S6_EEENSD_IJSA_SA_EEENS0_18inequality_wrapperIZN2at6native12_GLOBAL__N_124unique_dim_cuda_templateIsEESt5tupleIJNSH_6TensorESM_SM_EERKSM_lbbbEUlllE0_EEPmJS6_EEE10hipError_tPvRmT3_T4_T5_T6_T7_T9_mT8_P12ihipStream_tbDpT10_ENKUlT_T0_E_clISt17integral_constantIbLb1EES1C_EEDaS17_S18_EUlS17_E_NS1_11comp_targetILNS1_3genE5ELNS1_11target_archE942ELNS1_3gpuE9ELNS1_3repE0EEENS1_30default_config_static_selectorELNS0_4arch9wavefront6targetE1EEEvT1_,"axG",@progbits,_ZN7rocprim17ROCPRIM_400000_NS6detail17trampoline_kernelINS0_14default_configENS1_25partition_config_selectorILNS1_17partition_subalgoE8ElNS0_10empty_typeEbEEZZNS1_14partition_implILS5_8ELb0ES3_jPlPS6_PKS6_NS0_5tupleIJS9_S6_EEENSD_IJSA_SA_EEENS0_18inequality_wrapperIZN2at6native12_GLOBAL__N_124unique_dim_cuda_templateIsEESt5tupleIJNSH_6TensorESM_SM_EERKSM_lbbbEUlllE0_EEPmJS6_EEE10hipError_tPvRmT3_T4_T5_T6_T7_T9_mT8_P12ihipStream_tbDpT10_ENKUlT_T0_E_clISt17integral_constantIbLb1EES1C_EEDaS17_S18_EUlS17_E_NS1_11comp_targetILNS1_3genE5ELNS1_11target_archE942ELNS1_3gpuE9ELNS1_3repE0EEENS1_30default_config_static_selectorELNS0_4arch9wavefront6targetE1EEEvT1_,comdat
.Lfunc_end699:
	.size	_ZN7rocprim17ROCPRIM_400000_NS6detail17trampoline_kernelINS0_14default_configENS1_25partition_config_selectorILNS1_17partition_subalgoE8ElNS0_10empty_typeEbEEZZNS1_14partition_implILS5_8ELb0ES3_jPlPS6_PKS6_NS0_5tupleIJS9_S6_EEENSD_IJSA_SA_EEENS0_18inequality_wrapperIZN2at6native12_GLOBAL__N_124unique_dim_cuda_templateIsEESt5tupleIJNSH_6TensorESM_SM_EERKSM_lbbbEUlllE0_EEPmJS6_EEE10hipError_tPvRmT3_T4_T5_T6_T7_T9_mT8_P12ihipStream_tbDpT10_ENKUlT_T0_E_clISt17integral_constantIbLb1EES1C_EEDaS17_S18_EUlS17_E_NS1_11comp_targetILNS1_3genE5ELNS1_11target_archE942ELNS1_3gpuE9ELNS1_3repE0EEENS1_30default_config_static_selectorELNS0_4arch9wavefront6targetE1EEEvT1_, .Lfunc_end699-_ZN7rocprim17ROCPRIM_400000_NS6detail17trampoline_kernelINS0_14default_configENS1_25partition_config_selectorILNS1_17partition_subalgoE8ElNS0_10empty_typeEbEEZZNS1_14partition_implILS5_8ELb0ES3_jPlPS6_PKS6_NS0_5tupleIJS9_S6_EEENSD_IJSA_SA_EEENS0_18inequality_wrapperIZN2at6native12_GLOBAL__N_124unique_dim_cuda_templateIsEESt5tupleIJNSH_6TensorESM_SM_EERKSM_lbbbEUlllE0_EEPmJS6_EEE10hipError_tPvRmT3_T4_T5_T6_T7_T9_mT8_P12ihipStream_tbDpT10_ENKUlT_T0_E_clISt17integral_constantIbLb1EES1C_EEDaS17_S18_EUlS17_E_NS1_11comp_targetILNS1_3genE5ELNS1_11target_archE942ELNS1_3gpuE9ELNS1_3repE0EEENS1_30default_config_static_selectorELNS0_4arch9wavefront6targetE1EEEvT1_
                                        ; -- End function
	.section	.AMDGPU.csdata,"",@progbits
; Kernel info:
; codeLenInByte = 13124
; NumSgprs: 62
; NumVgprs: 52
; NumAgprs: 0
; TotalNumVgprs: 52
; ScratchSize: 0
; MemoryBound: 0
; FloatMode: 240
; IeeeMode: 1
; LDSByteSize: 28684 bytes/workgroup (compile time only)
; SGPRBlocks: 7
; VGPRBlocks: 6
; NumSGPRsForWavesPerEU: 62
; NumVGPRsForWavesPerEU: 52
; AccumOffset: 52
; Occupancy: 4
; WaveLimiterHint : 1
; COMPUTE_PGM_RSRC2:SCRATCH_EN: 0
; COMPUTE_PGM_RSRC2:USER_SGPR: 2
; COMPUTE_PGM_RSRC2:TRAP_HANDLER: 0
; COMPUTE_PGM_RSRC2:TGID_X_EN: 1
; COMPUTE_PGM_RSRC2:TGID_Y_EN: 0
; COMPUTE_PGM_RSRC2:TGID_Z_EN: 0
; COMPUTE_PGM_RSRC2:TIDIG_COMP_CNT: 0
; COMPUTE_PGM_RSRC3_GFX90A:ACCUM_OFFSET: 12
; COMPUTE_PGM_RSRC3_GFX90A:TG_SPLIT: 0
	.section	.text._ZN7rocprim17ROCPRIM_400000_NS6detail17trampoline_kernelINS0_14default_configENS1_25partition_config_selectorILNS1_17partition_subalgoE8ElNS0_10empty_typeEbEEZZNS1_14partition_implILS5_8ELb0ES3_jPlPS6_PKS6_NS0_5tupleIJS9_S6_EEENSD_IJSA_SA_EEENS0_18inequality_wrapperIZN2at6native12_GLOBAL__N_124unique_dim_cuda_templateIsEESt5tupleIJNSH_6TensorESM_SM_EERKSM_lbbbEUlllE0_EEPmJS6_EEE10hipError_tPvRmT3_T4_T5_T6_T7_T9_mT8_P12ihipStream_tbDpT10_ENKUlT_T0_E_clISt17integral_constantIbLb1EES1C_EEDaS17_S18_EUlS17_E_NS1_11comp_targetILNS1_3genE4ELNS1_11target_archE910ELNS1_3gpuE8ELNS1_3repE0EEENS1_30default_config_static_selectorELNS0_4arch9wavefront6targetE1EEEvT1_,"axG",@progbits,_ZN7rocprim17ROCPRIM_400000_NS6detail17trampoline_kernelINS0_14default_configENS1_25partition_config_selectorILNS1_17partition_subalgoE8ElNS0_10empty_typeEbEEZZNS1_14partition_implILS5_8ELb0ES3_jPlPS6_PKS6_NS0_5tupleIJS9_S6_EEENSD_IJSA_SA_EEENS0_18inequality_wrapperIZN2at6native12_GLOBAL__N_124unique_dim_cuda_templateIsEESt5tupleIJNSH_6TensorESM_SM_EERKSM_lbbbEUlllE0_EEPmJS6_EEE10hipError_tPvRmT3_T4_T5_T6_T7_T9_mT8_P12ihipStream_tbDpT10_ENKUlT_T0_E_clISt17integral_constantIbLb1EES1C_EEDaS17_S18_EUlS17_E_NS1_11comp_targetILNS1_3genE4ELNS1_11target_archE910ELNS1_3gpuE8ELNS1_3repE0EEENS1_30default_config_static_selectorELNS0_4arch9wavefront6targetE1EEEvT1_,comdat
	.globl	_ZN7rocprim17ROCPRIM_400000_NS6detail17trampoline_kernelINS0_14default_configENS1_25partition_config_selectorILNS1_17partition_subalgoE8ElNS0_10empty_typeEbEEZZNS1_14partition_implILS5_8ELb0ES3_jPlPS6_PKS6_NS0_5tupleIJS9_S6_EEENSD_IJSA_SA_EEENS0_18inequality_wrapperIZN2at6native12_GLOBAL__N_124unique_dim_cuda_templateIsEESt5tupleIJNSH_6TensorESM_SM_EERKSM_lbbbEUlllE0_EEPmJS6_EEE10hipError_tPvRmT3_T4_T5_T6_T7_T9_mT8_P12ihipStream_tbDpT10_ENKUlT_T0_E_clISt17integral_constantIbLb1EES1C_EEDaS17_S18_EUlS17_E_NS1_11comp_targetILNS1_3genE4ELNS1_11target_archE910ELNS1_3gpuE8ELNS1_3repE0EEENS1_30default_config_static_selectorELNS0_4arch9wavefront6targetE1EEEvT1_ ; -- Begin function _ZN7rocprim17ROCPRIM_400000_NS6detail17trampoline_kernelINS0_14default_configENS1_25partition_config_selectorILNS1_17partition_subalgoE8ElNS0_10empty_typeEbEEZZNS1_14partition_implILS5_8ELb0ES3_jPlPS6_PKS6_NS0_5tupleIJS9_S6_EEENSD_IJSA_SA_EEENS0_18inequality_wrapperIZN2at6native12_GLOBAL__N_124unique_dim_cuda_templateIsEESt5tupleIJNSH_6TensorESM_SM_EERKSM_lbbbEUlllE0_EEPmJS6_EEE10hipError_tPvRmT3_T4_T5_T6_T7_T9_mT8_P12ihipStream_tbDpT10_ENKUlT_T0_E_clISt17integral_constantIbLb1EES1C_EEDaS17_S18_EUlS17_E_NS1_11comp_targetILNS1_3genE4ELNS1_11target_archE910ELNS1_3gpuE8ELNS1_3repE0EEENS1_30default_config_static_selectorELNS0_4arch9wavefront6targetE1EEEvT1_
	.p2align	8
	.type	_ZN7rocprim17ROCPRIM_400000_NS6detail17trampoline_kernelINS0_14default_configENS1_25partition_config_selectorILNS1_17partition_subalgoE8ElNS0_10empty_typeEbEEZZNS1_14partition_implILS5_8ELb0ES3_jPlPS6_PKS6_NS0_5tupleIJS9_S6_EEENSD_IJSA_SA_EEENS0_18inequality_wrapperIZN2at6native12_GLOBAL__N_124unique_dim_cuda_templateIsEESt5tupleIJNSH_6TensorESM_SM_EERKSM_lbbbEUlllE0_EEPmJS6_EEE10hipError_tPvRmT3_T4_T5_T6_T7_T9_mT8_P12ihipStream_tbDpT10_ENKUlT_T0_E_clISt17integral_constantIbLb1EES1C_EEDaS17_S18_EUlS17_E_NS1_11comp_targetILNS1_3genE4ELNS1_11target_archE910ELNS1_3gpuE8ELNS1_3repE0EEENS1_30default_config_static_selectorELNS0_4arch9wavefront6targetE1EEEvT1_,@function
_ZN7rocprim17ROCPRIM_400000_NS6detail17trampoline_kernelINS0_14default_configENS1_25partition_config_selectorILNS1_17partition_subalgoE8ElNS0_10empty_typeEbEEZZNS1_14partition_implILS5_8ELb0ES3_jPlPS6_PKS6_NS0_5tupleIJS9_S6_EEENSD_IJSA_SA_EEENS0_18inequality_wrapperIZN2at6native12_GLOBAL__N_124unique_dim_cuda_templateIsEESt5tupleIJNSH_6TensorESM_SM_EERKSM_lbbbEUlllE0_EEPmJS6_EEE10hipError_tPvRmT3_T4_T5_T6_T7_T9_mT8_P12ihipStream_tbDpT10_ENKUlT_T0_E_clISt17integral_constantIbLb1EES1C_EEDaS17_S18_EUlS17_E_NS1_11comp_targetILNS1_3genE4ELNS1_11target_archE910ELNS1_3gpuE8ELNS1_3repE0EEENS1_30default_config_static_selectorELNS0_4arch9wavefront6targetE1EEEvT1_: ; @_ZN7rocprim17ROCPRIM_400000_NS6detail17trampoline_kernelINS0_14default_configENS1_25partition_config_selectorILNS1_17partition_subalgoE8ElNS0_10empty_typeEbEEZZNS1_14partition_implILS5_8ELb0ES3_jPlPS6_PKS6_NS0_5tupleIJS9_S6_EEENSD_IJSA_SA_EEENS0_18inequality_wrapperIZN2at6native12_GLOBAL__N_124unique_dim_cuda_templateIsEESt5tupleIJNSH_6TensorESM_SM_EERKSM_lbbbEUlllE0_EEPmJS6_EEE10hipError_tPvRmT3_T4_T5_T6_T7_T9_mT8_P12ihipStream_tbDpT10_ENKUlT_T0_E_clISt17integral_constantIbLb1EES1C_EEDaS17_S18_EUlS17_E_NS1_11comp_targetILNS1_3genE4ELNS1_11target_archE910ELNS1_3gpuE8ELNS1_3repE0EEENS1_30default_config_static_selectorELNS0_4arch9wavefront6targetE1EEEvT1_
; %bb.0:
	.section	.rodata,"a",@progbits
	.p2align	6, 0x0
	.amdhsa_kernel _ZN7rocprim17ROCPRIM_400000_NS6detail17trampoline_kernelINS0_14default_configENS1_25partition_config_selectorILNS1_17partition_subalgoE8ElNS0_10empty_typeEbEEZZNS1_14partition_implILS5_8ELb0ES3_jPlPS6_PKS6_NS0_5tupleIJS9_S6_EEENSD_IJSA_SA_EEENS0_18inequality_wrapperIZN2at6native12_GLOBAL__N_124unique_dim_cuda_templateIsEESt5tupleIJNSH_6TensorESM_SM_EERKSM_lbbbEUlllE0_EEPmJS6_EEE10hipError_tPvRmT3_T4_T5_T6_T7_T9_mT8_P12ihipStream_tbDpT10_ENKUlT_T0_E_clISt17integral_constantIbLb1EES1C_EEDaS17_S18_EUlS17_E_NS1_11comp_targetILNS1_3genE4ELNS1_11target_archE910ELNS1_3gpuE8ELNS1_3repE0EEENS1_30default_config_static_selectorELNS0_4arch9wavefront6targetE1EEEvT1_
		.amdhsa_group_segment_fixed_size 0
		.amdhsa_private_segment_fixed_size 0
		.amdhsa_kernarg_size 136
		.amdhsa_user_sgpr_count 2
		.amdhsa_user_sgpr_dispatch_ptr 0
		.amdhsa_user_sgpr_queue_ptr 0
		.amdhsa_user_sgpr_kernarg_segment_ptr 1
		.amdhsa_user_sgpr_dispatch_id 0
		.amdhsa_user_sgpr_kernarg_preload_length 0
		.amdhsa_user_sgpr_kernarg_preload_offset 0
		.amdhsa_user_sgpr_private_segment_size 0
		.amdhsa_uses_dynamic_stack 0
		.amdhsa_enable_private_segment 0
		.amdhsa_system_sgpr_workgroup_id_x 1
		.amdhsa_system_sgpr_workgroup_id_y 0
		.amdhsa_system_sgpr_workgroup_id_z 0
		.amdhsa_system_sgpr_workgroup_info 0
		.amdhsa_system_vgpr_workitem_id 0
		.amdhsa_next_free_vgpr 1
		.amdhsa_next_free_sgpr 0
		.amdhsa_accum_offset 4
		.amdhsa_reserve_vcc 0
		.amdhsa_float_round_mode_32 0
		.amdhsa_float_round_mode_16_64 0
		.amdhsa_float_denorm_mode_32 3
		.amdhsa_float_denorm_mode_16_64 3
		.amdhsa_dx10_clamp 1
		.amdhsa_ieee_mode 1
		.amdhsa_fp16_overflow 0
		.amdhsa_tg_split 0
		.amdhsa_exception_fp_ieee_invalid_op 0
		.amdhsa_exception_fp_denorm_src 0
		.amdhsa_exception_fp_ieee_div_zero 0
		.amdhsa_exception_fp_ieee_overflow 0
		.amdhsa_exception_fp_ieee_underflow 0
		.amdhsa_exception_fp_ieee_inexact 0
		.amdhsa_exception_int_div_zero 0
	.end_amdhsa_kernel
	.section	.text._ZN7rocprim17ROCPRIM_400000_NS6detail17trampoline_kernelINS0_14default_configENS1_25partition_config_selectorILNS1_17partition_subalgoE8ElNS0_10empty_typeEbEEZZNS1_14partition_implILS5_8ELb0ES3_jPlPS6_PKS6_NS0_5tupleIJS9_S6_EEENSD_IJSA_SA_EEENS0_18inequality_wrapperIZN2at6native12_GLOBAL__N_124unique_dim_cuda_templateIsEESt5tupleIJNSH_6TensorESM_SM_EERKSM_lbbbEUlllE0_EEPmJS6_EEE10hipError_tPvRmT3_T4_T5_T6_T7_T9_mT8_P12ihipStream_tbDpT10_ENKUlT_T0_E_clISt17integral_constantIbLb1EES1C_EEDaS17_S18_EUlS17_E_NS1_11comp_targetILNS1_3genE4ELNS1_11target_archE910ELNS1_3gpuE8ELNS1_3repE0EEENS1_30default_config_static_selectorELNS0_4arch9wavefront6targetE1EEEvT1_,"axG",@progbits,_ZN7rocprim17ROCPRIM_400000_NS6detail17trampoline_kernelINS0_14default_configENS1_25partition_config_selectorILNS1_17partition_subalgoE8ElNS0_10empty_typeEbEEZZNS1_14partition_implILS5_8ELb0ES3_jPlPS6_PKS6_NS0_5tupleIJS9_S6_EEENSD_IJSA_SA_EEENS0_18inequality_wrapperIZN2at6native12_GLOBAL__N_124unique_dim_cuda_templateIsEESt5tupleIJNSH_6TensorESM_SM_EERKSM_lbbbEUlllE0_EEPmJS6_EEE10hipError_tPvRmT3_T4_T5_T6_T7_T9_mT8_P12ihipStream_tbDpT10_ENKUlT_T0_E_clISt17integral_constantIbLb1EES1C_EEDaS17_S18_EUlS17_E_NS1_11comp_targetILNS1_3genE4ELNS1_11target_archE910ELNS1_3gpuE8ELNS1_3repE0EEENS1_30default_config_static_selectorELNS0_4arch9wavefront6targetE1EEEvT1_,comdat
.Lfunc_end700:
	.size	_ZN7rocprim17ROCPRIM_400000_NS6detail17trampoline_kernelINS0_14default_configENS1_25partition_config_selectorILNS1_17partition_subalgoE8ElNS0_10empty_typeEbEEZZNS1_14partition_implILS5_8ELb0ES3_jPlPS6_PKS6_NS0_5tupleIJS9_S6_EEENSD_IJSA_SA_EEENS0_18inequality_wrapperIZN2at6native12_GLOBAL__N_124unique_dim_cuda_templateIsEESt5tupleIJNSH_6TensorESM_SM_EERKSM_lbbbEUlllE0_EEPmJS6_EEE10hipError_tPvRmT3_T4_T5_T6_T7_T9_mT8_P12ihipStream_tbDpT10_ENKUlT_T0_E_clISt17integral_constantIbLb1EES1C_EEDaS17_S18_EUlS17_E_NS1_11comp_targetILNS1_3genE4ELNS1_11target_archE910ELNS1_3gpuE8ELNS1_3repE0EEENS1_30default_config_static_selectorELNS0_4arch9wavefront6targetE1EEEvT1_, .Lfunc_end700-_ZN7rocprim17ROCPRIM_400000_NS6detail17trampoline_kernelINS0_14default_configENS1_25partition_config_selectorILNS1_17partition_subalgoE8ElNS0_10empty_typeEbEEZZNS1_14partition_implILS5_8ELb0ES3_jPlPS6_PKS6_NS0_5tupleIJS9_S6_EEENSD_IJSA_SA_EEENS0_18inequality_wrapperIZN2at6native12_GLOBAL__N_124unique_dim_cuda_templateIsEESt5tupleIJNSH_6TensorESM_SM_EERKSM_lbbbEUlllE0_EEPmJS6_EEE10hipError_tPvRmT3_T4_T5_T6_T7_T9_mT8_P12ihipStream_tbDpT10_ENKUlT_T0_E_clISt17integral_constantIbLb1EES1C_EEDaS17_S18_EUlS17_E_NS1_11comp_targetILNS1_3genE4ELNS1_11target_archE910ELNS1_3gpuE8ELNS1_3repE0EEENS1_30default_config_static_selectorELNS0_4arch9wavefront6targetE1EEEvT1_
                                        ; -- End function
	.section	.AMDGPU.csdata,"",@progbits
; Kernel info:
; codeLenInByte = 0
; NumSgprs: 6
; NumVgprs: 0
; NumAgprs: 0
; TotalNumVgprs: 0
; ScratchSize: 0
; MemoryBound: 0
; FloatMode: 240
; IeeeMode: 1
; LDSByteSize: 0 bytes/workgroup (compile time only)
; SGPRBlocks: 0
; VGPRBlocks: 0
; NumSGPRsForWavesPerEU: 6
; NumVGPRsForWavesPerEU: 1
; AccumOffset: 4
; Occupancy: 8
; WaveLimiterHint : 0
; COMPUTE_PGM_RSRC2:SCRATCH_EN: 0
; COMPUTE_PGM_RSRC2:USER_SGPR: 2
; COMPUTE_PGM_RSRC2:TRAP_HANDLER: 0
; COMPUTE_PGM_RSRC2:TGID_X_EN: 1
; COMPUTE_PGM_RSRC2:TGID_Y_EN: 0
; COMPUTE_PGM_RSRC2:TGID_Z_EN: 0
; COMPUTE_PGM_RSRC2:TIDIG_COMP_CNT: 0
; COMPUTE_PGM_RSRC3_GFX90A:ACCUM_OFFSET: 0
; COMPUTE_PGM_RSRC3_GFX90A:TG_SPLIT: 0
	.section	.text._ZN7rocprim17ROCPRIM_400000_NS6detail17trampoline_kernelINS0_14default_configENS1_25partition_config_selectorILNS1_17partition_subalgoE8ElNS0_10empty_typeEbEEZZNS1_14partition_implILS5_8ELb0ES3_jPlPS6_PKS6_NS0_5tupleIJS9_S6_EEENSD_IJSA_SA_EEENS0_18inequality_wrapperIZN2at6native12_GLOBAL__N_124unique_dim_cuda_templateIsEESt5tupleIJNSH_6TensorESM_SM_EERKSM_lbbbEUlllE0_EEPmJS6_EEE10hipError_tPvRmT3_T4_T5_T6_T7_T9_mT8_P12ihipStream_tbDpT10_ENKUlT_T0_E_clISt17integral_constantIbLb1EES1C_EEDaS17_S18_EUlS17_E_NS1_11comp_targetILNS1_3genE3ELNS1_11target_archE908ELNS1_3gpuE7ELNS1_3repE0EEENS1_30default_config_static_selectorELNS0_4arch9wavefront6targetE1EEEvT1_,"axG",@progbits,_ZN7rocprim17ROCPRIM_400000_NS6detail17trampoline_kernelINS0_14default_configENS1_25partition_config_selectorILNS1_17partition_subalgoE8ElNS0_10empty_typeEbEEZZNS1_14partition_implILS5_8ELb0ES3_jPlPS6_PKS6_NS0_5tupleIJS9_S6_EEENSD_IJSA_SA_EEENS0_18inequality_wrapperIZN2at6native12_GLOBAL__N_124unique_dim_cuda_templateIsEESt5tupleIJNSH_6TensorESM_SM_EERKSM_lbbbEUlllE0_EEPmJS6_EEE10hipError_tPvRmT3_T4_T5_T6_T7_T9_mT8_P12ihipStream_tbDpT10_ENKUlT_T0_E_clISt17integral_constantIbLb1EES1C_EEDaS17_S18_EUlS17_E_NS1_11comp_targetILNS1_3genE3ELNS1_11target_archE908ELNS1_3gpuE7ELNS1_3repE0EEENS1_30default_config_static_selectorELNS0_4arch9wavefront6targetE1EEEvT1_,comdat
	.globl	_ZN7rocprim17ROCPRIM_400000_NS6detail17trampoline_kernelINS0_14default_configENS1_25partition_config_selectorILNS1_17partition_subalgoE8ElNS0_10empty_typeEbEEZZNS1_14partition_implILS5_8ELb0ES3_jPlPS6_PKS6_NS0_5tupleIJS9_S6_EEENSD_IJSA_SA_EEENS0_18inequality_wrapperIZN2at6native12_GLOBAL__N_124unique_dim_cuda_templateIsEESt5tupleIJNSH_6TensorESM_SM_EERKSM_lbbbEUlllE0_EEPmJS6_EEE10hipError_tPvRmT3_T4_T5_T6_T7_T9_mT8_P12ihipStream_tbDpT10_ENKUlT_T0_E_clISt17integral_constantIbLb1EES1C_EEDaS17_S18_EUlS17_E_NS1_11comp_targetILNS1_3genE3ELNS1_11target_archE908ELNS1_3gpuE7ELNS1_3repE0EEENS1_30default_config_static_selectorELNS0_4arch9wavefront6targetE1EEEvT1_ ; -- Begin function _ZN7rocprim17ROCPRIM_400000_NS6detail17trampoline_kernelINS0_14default_configENS1_25partition_config_selectorILNS1_17partition_subalgoE8ElNS0_10empty_typeEbEEZZNS1_14partition_implILS5_8ELb0ES3_jPlPS6_PKS6_NS0_5tupleIJS9_S6_EEENSD_IJSA_SA_EEENS0_18inequality_wrapperIZN2at6native12_GLOBAL__N_124unique_dim_cuda_templateIsEESt5tupleIJNSH_6TensorESM_SM_EERKSM_lbbbEUlllE0_EEPmJS6_EEE10hipError_tPvRmT3_T4_T5_T6_T7_T9_mT8_P12ihipStream_tbDpT10_ENKUlT_T0_E_clISt17integral_constantIbLb1EES1C_EEDaS17_S18_EUlS17_E_NS1_11comp_targetILNS1_3genE3ELNS1_11target_archE908ELNS1_3gpuE7ELNS1_3repE0EEENS1_30default_config_static_selectorELNS0_4arch9wavefront6targetE1EEEvT1_
	.p2align	8
	.type	_ZN7rocprim17ROCPRIM_400000_NS6detail17trampoline_kernelINS0_14default_configENS1_25partition_config_selectorILNS1_17partition_subalgoE8ElNS0_10empty_typeEbEEZZNS1_14partition_implILS5_8ELb0ES3_jPlPS6_PKS6_NS0_5tupleIJS9_S6_EEENSD_IJSA_SA_EEENS0_18inequality_wrapperIZN2at6native12_GLOBAL__N_124unique_dim_cuda_templateIsEESt5tupleIJNSH_6TensorESM_SM_EERKSM_lbbbEUlllE0_EEPmJS6_EEE10hipError_tPvRmT3_T4_T5_T6_T7_T9_mT8_P12ihipStream_tbDpT10_ENKUlT_T0_E_clISt17integral_constantIbLb1EES1C_EEDaS17_S18_EUlS17_E_NS1_11comp_targetILNS1_3genE3ELNS1_11target_archE908ELNS1_3gpuE7ELNS1_3repE0EEENS1_30default_config_static_selectorELNS0_4arch9wavefront6targetE1EEEvT1_,@function
_ZN7rocprim17ROCPRIM_400000_NS6detail17trampoline_kernelINS0_14default_configENS1_25partition_config_selectorILNS1_17partition_subalgoE8ElNS0_10empty_typeEbEEZZNS1_14partition_implILS5_8ELb0ES3_jPlPS6_PKS6_NS0_5tupleIJS9_S6_EEENSD_IJSA_SA_EEENS0_18inequality_wrapperIZN2at6native12_GLOBAL__N_124unique_dim_cuda_templateIsEESt5tupleIJNSH_6TensorESM_SM_EERKSM_lbbbEUlllE0_EEPmJS6_EEE10hipError_tPvRmT3_T4_T5_T6_T7_T9_mT8_P12ihipStream_tbDpT10_ENKUlT_T0_E_clISt17integral_constantIbLb1EES1C_EEDaS17_S18_EUlS17_E_NS1_11comp_targetILNS1_3genE3ELNS1_11target_archE908ELNS1_3gpuE7ELNS1_3repE0EEENS1_30default_config_static_selectorELNS0_4arch9wavefront6targetE1EEEvT1_: ; @_ZN7rocprim17ROCPRIM_400000_NS6detail17trampoline_kernelINS0_14default_configENS1_25partition_config_selectorILNS1_17partition_subalgoE8ElNS0_10empty_typeEbEEZZNS1_14partition_implILS5_8ELb0ES3_jPlPS6_PKS6_NS0_5tupleIJS9_S6_EEENSD_IJSA_SA_EEENS0_18inequality_wrapperIZN2at6native12_GLOBAL__N_124unique_dim_cuda_templateIsEESt5tupleIJNSH_6TensorESM_SM_EERKSM_lbbbEUlllE0_EEPmJS6_EEE10hipError_tPvRmT3_T4_T5_T6_T7_T9_mT8_P12ihipStream_tbDpT10_ENKUlT_T0_E_clISt17integral_constantIbLb1EES1C_EEDaS17_S18_EUlS17_E_NS1_11comp_targetILNS1_3genE3ELNS1_11target_archE908ELNS1_3gpuE7ELNS1_3repE0EEENS1_30default_config_static_selectorELNS0_4arch9wavefront6targetE1EEEvT1_
; %bb.0:
	.section	.rodata,"a",@progbits
	.p2align	6, 0x0
	.amdhsa_kernel _ZN7rocprim17ROCPRIM_400000_NS6detail17trampoline_kernelINS0_14default_configENS1_25partition_config_selectorILNS1_17partition_subalgoE8ElNS0_10empty_typeEbEEZZNS1_14partition_implILS5_8ELb0ES3_jPlPS6_PKS6_NS0_5tupleIJS9_S6_EEENSD_IJSA_SA_EEENS0_18inequality_wrapperIZN2at6native12_GLOBAL__N_124unique_dim_cuda_templateIsEESt5tupleIJNSH_6TensorESM_SM_EERKSM_lbbbEUlllE0_EEPmJS6_EEE10hipError_tPvRmT3_T4_T5_T6_T7_T9_mT8_P12ihipStream_tbDpT10_ENKUlT_T0_E_clISt17integral_constantIbLb1EES1C_EEDaS17_S18_EUlS17_E_NS1_11comp_targetILNS1_3genE3ELNS1_11target_archE908ELNS1_3gpuE7ELNS1_3repE0EEENS1_30default_config_static_selectorELNS0_4arch9wavefront6targetE1EEEvT1_
		.amdhsa_group_segment_fixed_size 0
		.amdhsa_private_segment_fixed_size 0
		.amdhsa_kernarg_size 136
		.amdhsa_user_sgpr_count 2
		.amdhsa_user_sgpr_dispatch_ptr 0
		.amdhsa_user_sgpr_queue_ptr 0
		.amdhsa_user_sgpr_kernarg_segment_ptr 1
		.amdhsa_user_sgpr_dispatch_id 0
		.amdhsa_user_sgpr_kernarg_preload_length 0
		.amdhsa_user_sgpr_kernarg_preload_offset 0
		.amdhsa_user_sgpr_private_segment_size 0
		.amdhsa_uses_dynamic_stack 0
		.amdhsa_enable_private_segment 0
		.amdhsa_system_sgpr_workgroup_id_x 1
		.amdhsa_system_sgpr_workgroup_id_y 0
		.amdhsa_system_sgpr_workgroup_id_z 0
		.amdhsa_system_sgpr_workgroup_info 0
		.amdhsa_system_vgpr_workitem_id 0
		.amdhsa_next_free_vgpr 1
		.amdhsa_next_free_sgpr 0
		.amdhsa_accum_offset 4
		.amdhsa_reserve_vcc 0
		.amdhsa_float_round_mode_32 0
		.amdhsa_float_round_mode_16_64 0
		.amdhsa_float_denorm_mode_32 3
		.amdhsa_float_denorm_mode_16_64 3
		.amdhsa_dx10_clamp 1
		.amdhsa_ieee_mode 1
		.amdhsa_fp16_overflow 0
		.amdhsa_tg_split 0
		.amdhsa_exception_fp_ieee_invalid_op 0
		.amdhsa_exception_fp_denorm_src 0
		.amdhsa_exception_fp_ieee_div_zero 0
		.amdhsa_exception_fp_ieee_overflow 0
		.amdhsa_exception_fp_ieee_underflow 0
		.amdhsa_exception_fp_ieee_inexact 0
		.amdhsa_exception_int_div_zero 0
	.end_amdhsa_kernel
	.section	.text._ZN7rocprim17ROCPRIM_400000_NS6detail17trampoline_kernelINS0_14default_configENS1_25partition_config_selectorILNS1_17partition_subalgoE8ElNS0_10empty_typeEbEEZZNS1_14partition_implILS5_8ELb0ES3_jPlPS6_PKS6_NS0_5tupleIJS9_S6_EEENSD_IJSA_SA_EEENS0_18inequality_wrapperIZN2at6native12_GLOBAL__N_124unique_dim_cuda_templateIsEESt5tupleIJNSH_6TensorESM_SM_EERKSM_lbbbEUlllE0_EEPmJS6_EEE10hipError_tPvRmT3_T4_T5_T6_T7_T9_mT8_P12ihipStream_tbDpT10_ENKUlT_T0_E_clISt17integral_constantIbLb1EES1C_EEDaS17_S18_EUlS17_E_NS1_11comp_targetILNS1_3genE3ELNS1_11target_archE908ELNS1_3gpuE7ELNS1_3repE0EEENS1_30default_config_static_selectorELNS0_4arch9wavefront6targetE1EEEvT1_,"axG",@progbits,_ZN7rocprim17ROCPRIM_400000_NS6detail17trampoline_kernelINS0_14default_configENS1_25partition_config_selectorILNS1_17partition_subalgoE8ElNS0_10empty_typeEbEEZZNS1_14partition_implILS5_8ELb0ES3_jPlPS6_PKS6_NS0_5tupleIJS9_S6_EEENSD_IJSA_SA_EEENS0_18inequality_wrapperIZN2at6native12_GLOBAL__N_124unique_dim_cuda_templateIsEESt5tupleIJNSH_6TensorESM_SM_EERKSM_lbbbEUlllE0_EEPmJS6_EEE10hipError_tPvRmT3_T4_T5_T6_T7_T9_mT8_P12ihipStream_tbDpT10_ENKUlT_T0_E_clISt17integral_constantIbLb1EES1C_EEDaS17_S18_EUlS17_E_NS1_11comp_targetILNS1_3genE3ELNS1_11target_archE908ELNS1_3gpuE7ELNS1_3repE0EEENS1_30default_config_static_selectorELNS0_4arch9wavefront6targetE1EEEvT1_,comdat
.Lfunc_end701:
	.size	_ZN7rocprim17ROCPRIM_400000_NS6detail17trampoline_kernelINS0_14default_configENS1_25partition_config_selectorILNS1_17partition_subalgoE8ElNS0_10empty_typeEbEEZZNS1_14partition_implILS5_8ELb0ES3_jPlPS6_PKS6_NS0_5tupleIJS9_S6_EEENSD_IJSA_SA_EEENS0_18inequality_wrapperIZN2at6native12_GLOBAL__N_124unique_dim_cuda_templateIsEESt5tupleIJNSH_6TensorESM_SM_EERKSM_lbbbEUlllE0_EEPmJS6_EEE10hipError_tPvRmT3_T4_T5_T6_T7_T9_mT8_P12ihipStream_tbDpT10_ENKUlT_T0_E_clISt17integral_constantIbLb1EES1C_EEDaS17_S18_EUlS17_E_NS1_11comp_targetILNS1_3genE3ELNS1_11target_archE908ELNS1_3gpuE7ELNS1_3repE0EEENS1_30default_config_static_selectorELNS0_4arch9wavefront6targetE1EEEvT1_, .Lfunc_end701-_ZN7rocprim17ROCPRIM_400000_NS6detail17trampoline_kernelINS0_14default_configENS1_25partition_config_selectorILNS1_17partition_subalgoE8ElNS0_10empty_typeEbEEZZNS1_14partition_implILS5_8ELb0ES3_jPlPS6_PKS6_NS0_5tupleIJS9_S6_EEENSD_IJSA_SA_EEENS0_18inequality_wrapperIZN2at6native12_GLOBAL__N_124unique_dim_cuda_templateIsEESt5tupleIJNSH_6TensorESM_SM_EERKSM_lbbbEUlllE0_EEPmJS6_EEE10hipError_tPvRmT3_T4_T5_T6_T7_T9_mT8_P12ihipStream_tbDpT10_ENKUlT_T0_E_clISt17integral_constantIbLb1EES1C_EEDaS17_S18_EUlS17_E_NS1_11comp_targetILNS1_3genE3ELNS1_11target_archE908ELNS1_3gpuE7ELNS1_3repE0EEENS1_30default_config_static_selectorELNS0_4arch9wavefront6targetE1EEEvT1_
                                        ; -- End function
	.section	.AMDGPU.csdata,"",@progbits
; Kernel info:
; codeLenInByte = 0
; NumSgprs: 6
; NumVgprs: 0
; NumAgprs: 0
; TotalNumVgprs: 0
; ScratchSize: 0
; MemoryBound: 0
; FloatMode: 240
; IeeeMode: 1
; LDSByteSize: 0 bytes/workgroup (compile time only)
; SGPRBlocks: 0
; VGPRBlocks: 0
; NumSGPRsForWavesPerEU: 6
; NumVGPRsForWavesPerEU: 1
; AccumOffset: 4
; Occupancy: 8
; WaveLimiterHint : 0
; COMPUTE_PGM_RSRC2:SCRATCH_EN: 0
; COMPUTE_PGM_RSRC2:USER_SGPR: 2
; COMPUTE_PGM_RSRC2:TRAP_HANDLER: 0
; COMPUTE_PGM_RSRC2:TGID_X_EN: 1
; COMPUTE_PGM_RSRC2:TGID_Y_EN: 0
; COMPUTE_PGM_RSRC2:TGID_Z_EN: 0
; COMPUTE_PGM_RSRC2:TIDIG_COMP_CNT: 0
; COMPUTE_PGM_RSRC3_GFX90A:ACCUM_OFFSET: 0
; COMPUTE_PGM_RSRC3_GFX90A:TG_SPLIT: 0
	.section	.text._ZN7rocprim17ROCPRIM_400000_NS6detail17trampoline_kernelINS0_14default_configENS1_25partition_config_selectorILNS1_17partition_subalgoE8ElNS0_10empty_typeEbEEZZNS1_14partition_implILS5_8ELb0ES3_jPlPS6_PKS6_NS0_5tupleIJS9_S6_EEENSD_IJSA_SA_EEENS0_18inequality_wrapperIZN2at6native12_GLOBAL__N_124unique_dim_cuda_templateIsEESt5tupleIJNSH_6TensorESM_SM_EERKSM_lbbbEUlllE0_EEPmJS6_EEE10hipError_tPvRmT3_T4_T5_T6_T7_T9_mT8_P12ihipStream_tbDpT10_ENKUlT_T0_E_clISt17integral_constantIbLb1EES1C_EEDaS17_S18_EUlS17_E_NS1_11comp_targetILNS1_3genE2ELNS1_11target_archE906ELNS1_3gpuE6ELNS1_3repE0EEENS1_30default_config_static_selectorELNS0_4arch9wavefront6targetE1EEEvT1_,"axG",@progbits,_ZN7rocprim17ROCPRIM_400000_NS6detail17trampoline_kernelINS0_14default_configENS1_25partition_config_selectorILNS1_17partition_subalgoE8ElNS0_10empty_typeEbEEZZNS1_14partition_implILS5_8ELb0ES3_jPlPS6_PKS6_NS0_5tupleIJS9_S6_EEENSD_IJSA_SA_EEENS0_18inequality_wrapperIZN2at6native12_GLOBAL__N_124unique_dim_cuda_templateIsEESt5tupleIJNSH_6TensorESM_SM_EERKSM_lbbbEUlllE0_EEPmJS6_EEE10hipError_tPvRmT3_T4_T5_T6_T7_T9_mT8_P12ihipStream_tbDpT10_ENKUlT_T0_E_clISt17integral_constantIbLb1EES1C_EEDaS17_S18_EUlS17_E_NS1_11comp_targetILNS1_3genE2ELNS1_11target_archE906ELNS1_3gpuE6ELNS1_3repE0EEENS1_30default_config_static_selectorELNS0_4arch9wavefront6targetE1EEEvT1_,comdat
	.globl	_ZN7rocprim17ROCPRIM_400000_NS6detail17trampoline_kernelINS0_14default_configENS1_25partition_config_selectorILNS1_17partition_subalgoE8ElNS0_10empty_typeEbEEZZNS1_14partition_implILS5_8ELb0ES3_jPlPS6_PKS6_NS0_5tupleIJS9_S6_EEENSD_IJSA_SA_EEENS0_18inequality_wrapperIZN2at6native12_GLOBAL__N_124unique_dim_cuda_templateIsEESt5tupleIJNSH_6TensorESM_SM_EERKSM_lbbbEUlllE0_EEPmJS6_EEE10hipError_tPvRmT3_T4_T5_T6_T7_T9_mT8_P12ihipStream_tbDpT10_ENKUlT_T0_E_clISt17integral_constantIbLb1EES1C_EEDaS17_S18_EUlS17_E_NS1_11comp_targetILNS1_3genE2ELNS1_11target_archE906ELNS1_3gpuE6ELNS1_3repE0EEENS1_30default_config_static_selectorELNS0_4arch9wavefront6targetE1EEEvT1_ ; -- Begin function _ZN7rocprim17ROCPRIM_400000_NS6detail17trampoline_kernelINS0_14default_configENS1_25partition_config_selectorILNS1_17partition_subalgoE8ElNS0_10empty_typeEbEEZZNS1_14partition_implILS5_8ELb0ES3_jPlPS6_PKS6_NS0_5tupleIJS9_S6_EEENSD_IJSA_SA_EEENS0_18inequality_wrapperIZN2at6native12_GLOBAL__N_124unique_dim_cuda_templateIsEESt5tupleIJNSH_6TensorESM_SM_EERKSM_lbbbEUlllE0_EEPmJS6_EEE10hipError_tPvRmT3_T4_T5_T6_T7_T9_mT8_P12ihipStream_tbDpT10_ENKUlT_T0_E_clISt17integral_constantIbLb1EES1C_EEDaS17_S18_EUlS17_E_NS1_11comp_targetILNS1_3genE2ELNS1_11target_archE906ELNS1_3gpuE6ELNS1_3repE0EEENS1_30default_config_static_selectorELNS0_4arch9wavefront6targetE1EEEvT1_
	.p2align	8
	.type	_ZN7rocprim17ROCPRIM_400000_NS6detail17trampoline_kernelINS0_14default_configENS1_25partition_config_selectorILNS1_17partition_subalgoE8ElNS0_10empty_typeEbEEZZNS1_14partition_implILS5_8ELb0ES3_jPlPS6_PKS6_NS0_5tupleIJS9_S6_EEENSD_IJSA_SA_EEENS0_18inequality_wrapperIZN2at6native12_GLOBAL__N_124unique_dim_cuda_templateIsEESt5tupleIJNSH_6TensorESM_SM_EERKSM_lbbbEUlllE0_EEPmJS6_EEE10hipError_tPvRmT3_T4_T5_T6_T7_T9_mT8_P12ihipStream_tbDpT10_ENKUlT_T0_E_clISt17integral_constantIbLb1EES1C_EEDaS17_S18_EUlS17_E_NS1_11comp_targetILNS1_3genE2ELNS1_11target_archE906ELNS1_3gpuE6ELNS1_3repE0EEENS1_30default_config_static_selectorELNS0_4arch9wavefront6targetE1EEEvT1_,@function
_ZN7rocprim17ROCPRIM_400000_NS6detail17trampoline_kernelINS0_14default_configENS1_25partition_config_selectorILNS1_17partition_subalgoE8ElNS0_10empty_typeEbEEZZNS1_14partition_implILS5_8ELb0ES3_jPlPS6_PKS6_NS0_5tupleIJS9_S6_EEENSD_IJSA_SA_EEENS0_18inequality_wrapperIZN2at6native12_GLOBAL__N_124unique_dim_cuda_templateIsEESt5tupleIJNSH_6TensorESM_SM_EERKSM_lbbbEUlllE0_EEPmJS6_EEE10hipError_tPvRmT3_T4_T5_T6_T7_T9_mT8_P12ihipStream_tbDpT10_ENKUlT_T0_E_clISt17integral_constantIbLb1EES1C_EEDaS17_S18_EUlS17_E_NS1_11comp_targetILNS1_3genE2ELNS1_11target_archE906ELNS1_3gpuE6ELNS1_3repE0EEENS1_30default_config_static_selectorELNS0_4arch9wavefront6targetE1EEEvT1_: ; @_ZN7rocprim17ROCPRIM_400000_NS6detail17trampoline_kernelINS0_14default_configENS1_25partition_config_selectorILNS1_17partition_subalgoE8ElNS0_10empty_typeEbEEZZNS1_14partition_implILS5_8ELb0ES3_jPlPS6_PKS6_NS0_5tupleIJS9_S6_EEENSD_IJSA_SA_EEENS0_18inequality_wrapperIZN2at6native12_GLOBAL__N_124unique_dim_cuda_templateIsEESt5tupleIJNSH_6TensorESM_SM_EERKSM_lbbbEUlllE0_EEPmJS6_EEE10hipError_tPvRmT3_T4_T5_T6_T7_T9_mT8_P12ihipStream_tbDpT10_ENKUlT_T0_E_clISt17integral_constantIbLb1EES1C_EEDaS17_S18_EUlS17_E_NS1_11comp_targetILNS1_3genE2ELNS1_11target_archE906ELNS1_3gpuE6ELNS1_3repE0EEENS1_30default_config_static_selectorELNS0_4arch9wavefront6targetE1EEEvT1_
; %bb.0:
	.section	.rodata,"a",@progbits
	.p2align	6, 0x0
	.amdhsa_kernel _ZN7rocprim17ROCPRIM_400000_NS6detail17trampoline_kernelINS0_14default_configENS1_25partition_config_selectorILNS1_17partition_subalgoE8ElNS0_10empty_typeEbEEZZNS1_14partition_implILS5_8ELb0ES3_jPlPS6_PKS6_NS0_5tupleIJS9_S6_EEENSD_IJSA_SA_EEENS0_18inequality_wrapperIZN2at6native12_GLOBAL__N_124unique_dim_cuda_templateIsEESt5tupleIJNSH_6TensorESM_SM_EERKSM_lbbbEUlllE0_EEPmJS6_EEE10hipError_tPvRmT3_T4_T5_T6_T7_T9_mT8_P12ihipStream_tbDpT10_ENKUlT_T0_E_clISt17integral_constantIbLb1EES1C_EEDaS17_S18_EUlS17_E_NS1_11comp_targetILNS1_3genE2ELNS1_11target_archE906ELNS1_3gpuE6ELNS1_3repE0EEENS1_30default_config_static_selectorELNS0_4arch9wavefront6targetE1EEEvT1_
		.amdhsa_group_segment_fixed_size 0
		.amdhsa_private_segment_fixed_size 0
		.amdhsa_kernarg_size 136
		.amdhsa_user_sgpr_count 2
		.amdhsa_user_sgpr_dispatch_ptr 0
		.amdhsa_user_sgpr_queue_ptr 0
		.amdhsa_user_sgpr_kernarg_segment_ptr 1
		.amdhsa_user_sgpr_dispatch_id 0
		.amdhsa_user_sgpr_kernarg_preload_length 0
		.amdhsa_user_sgpr_kernarg_preload_offset 0
		.amdhsa_user_sgpr_private_segment_size 0
		.amdhsa_uses_dynamic_stack 0
		.amdhsa_enable_private_segment 0
		.amdhsa_system_sgpr_workgroup_id_x 1
		.amdhsa_system_sgpr_workgroup_id_y 0
		.amdhsa_system_sgpr_workgroup_id_z 0
		.amdhsa_system_sgpr_workgroup_info 0
		.amdhsa_system_vgpr_workitem_id 0
		.amdhsa_next_free_vgpr 1
		.amdhsa_next_free_sgpr 0
		.amdhsa_accum_offset 4
		.amdhsa_reserve_vcc 0
		.amdhsa_float_round_mode_32 0
		.amdhsa_float_round_mode_16_64 0
		.amdhsa_float_denorm_mode_32 3
		.amdhsa_float_denorm_mode_16_64 3
		.amdhsa_dx10_clamp 1
		.amdhsa_ieee_mode 1
		.amdhsa_fp16_overflow 0
		.amdhsa_tg_split 0
		.amdhsa_exception_fp_ieee_invalid_op 0
		.amdhsa_exception_fp_denorm_src 0
		.amdhsa_exception_fp_ieee_div_zero 0
		.amdhsa_exception_fp_ieee_overflow 0
		.amdhsa_exception_fp_ieee_underflow 0
		.amdhsa_exception_fp_ieee_inexact 0
		.amdhsa_exception_int_div_zero 0
	.end_amdhsa_kernel
	.section	.text._ZN7rocprim17ROCPRIM_400000_NS6detail17trampoline_kernelINS0_14default_configENS1_25partition_config_selectorILNS1_17partition_subalgoE8ElNS0_10empty_typeEbEEZZNS1_14partition_implILS5_8ELb0ES3_jPlPS6_PKS6_NS0_5tupleIJS9_S6_EEENSD_IJSA_SA_EEENS0_18inequality_wrapperIZN2at6native12_GLOBAL__N_124unique_dim_cuda_templateIsEESt5tupleIJNSH_6TensorESM_SM_EERKSM_lbbbEUlllE0_EEPmJS6_EEE10hipError_tPvRmT3_T4_T5_T6_T7_T9_mT8_P12ihipStream_tbDpT10_ENKUlT_T0_E_clISt17integral_constantIbLb1EES1C_EEDaS17_S18_EUlS17_E_NS1_11comp_targetILNS1_3genE2ELNS1_11target_archE906ELNS1_3gpuE6ELNS1_3repE0EEENS1_30default_config_static_selectorELNS0_4arch9wavefront6targetE1EEEvT1_,"axG",@progbits,_ZN7rocprim17ROCPRIM_400000_NS6detail17trampoline_kernelINS0_14default_configENS1_25partition_config_selectorILNS1_17partition_subalgoE8ElNS0_10empty_typeEbEEZZNS1_14partition_implILS5_8ELb0ES3_jPlPS6_PKS6_NS0_5tupleIJS9_S6_EEENSD_IJSA_SA_EEENS0_18inequality_wrapperIZN2at6native12_GLOBAL__N_124unique_dim_cuda_templateIsEESt5tupleIJNSH_6TensorESM_SM_EERKSM_lbbbEUlllE0_EEPmJS6_EEE10hipError_tPvRmT3_T4_T5_T6_T7_T9_mT8_P12ihipStream_tbDpT10_ENKUlT_T0_E_clISt17integral_constantIbLb1EES1C_EEDaS17_S18_EUlS17_E_NS1_11comp_targetILNS1_3genE2ELNS1_11target_archE906ELNS1_3gpuE6ELNS1_3repE0EEENS1_30default_config_static_selectorELNS0_4arch9wavefront6targetE1EEEvT1_,comdat
.Lfunc_end702:
	.size	_ZN7rocprim17ROCPRIM_400000_NS6detail17trampoline_kernelINS0_14default_configENS1_25partition_config_selectorILNS1_17partition_subalgoE8ElNS0_10empty_typeEbEEZZNS1_14partition_implILS5_8ELb0ES3_jPlPS6_PKS6_NS0_5tupleIJS9_S6_EEENSD_IJSA_SA_EEENS0_18inequality_wrapperIZN2at6native12_GLOBAL__N_124unique_dim_cuda_templateIsEESt5tupleIJNSH_6TensorESM_SM_EERKSM_lbbbEUlllE0_EEPmJS6_EEE10hipError_tPvRmT3_T4_T5_T6_T7_T9_mT8_P12ihipStream_tbDpT10_ENKUlT_T0_E_clISt17integral_constantIbLb1EES1C_EEDaS17_S18_EUlS17_E_NS1_11comp_targetILNS1_3genE2ELNS1_11target_archE906ELNS1_3gpuE6ELNS1_3repE0EEENS1_30default_config_static_selectorELNS0_4arch9wavefront6targetE1EEEvT1_, .Lfunc_end702-_ZN7rocprim17ROCPRIM_400000_NS6detail17trampoline_kernelINS0_14default_configENS1_25partition_config_selectorILNS1_17partition_subalgoE8ElNS0_10empty_typeEbEEZZNS1_14partition_implILS5_8ELb0ES3_jPlPS6_PKS6_NS0_5tupleIJS9_S6_EEENSD_IJSA_SA_EEENS0_18inequality_wrapperIZN2at6native12_GLOBAL__N_124unique_dim_cuda_templateIsEESt5tupleIJNSH_6TensorESM_SM_EERKSM_lbbbEUlllE0_EEPmJS6_EEE10hipError_tPvRmT3_T4_T5_T6_T7_T9_mT8_P12ihipStream_tbDpT10_ENKUlT_T0_E_clISt17integral_constantIbLb1EES1C_EEDaS17_S18_EUlS17_E_NS1_11comp_targetILNS1_3genE2ELNS1_11target_archE906ELNS1_3gpuE6ELNS1_3repE0EEENS1_30default_config_static_selectorELNS0_4arch9wavefront6targetE1EEEvT1_
                                        ; -- End function
	.section	.AMDGPU.csdata,"",@progbits
; Kernel info:
; codeLenInByte = 0
; NumSgprs: 6
; NumVgprs: 0
; NumAgprs: 0
; TotalNumVgprs: 0
; ScratchSize: 0
; MemoryBound: 0
; FloatMode: 240
; IeeeMode: 1
; LDSByteSize: 0 bytes/workgroup (compile time only)
; SGPRBlocks: 0
; VGPRBlocks: 0
; NumSGPRsForWavesPerEU: 6
; NumVGPRsForWavesPerEU: 1
; AccumOffset: 4
; Occupancy: 8
; WaveLimiterHint : 0
; COMPUTE_PGM_RSRC2:SCRATCH_EN: 0
; COMPUTE_PGM_RSRC2:USER_SGPR: 2
; COMPUTE_PGM_RSRC2:TRAP_HANDLER: 0
; COMPUTE_PGM_RSRC2:TGID_X_EN: 1
; COMPUTE_PGM_RSRC2:TGID_Y_EN: 0
; COMPUTE_PGM_RSRC2:TGID_Z_EN: 0
; COMPUTE_PGM_RSRC2:TIDIG_COMP_CNT: 0
; COMPUTE_PGM_RSRC3_GFX90A:ACCUM_OFFSET: 0
; COMPUTE_PGM_RSRC3_GFX90A:TG_SPLIT: 0
	.section	.text._ZN7rocprim17ROCPRIM_400000_NS6detail17trampoline_kernelINS0_14default_configENS1_25partition_config_selectorILNS1_17partition_subalgoE8ElNS0_10empty_typeEbEEZZNS1_14partition_implILS5_8ELb0ES3_jPlPS6_PKS6_NS0_5tupleIJS9_S6_EEENSD_IJSA_SA_EEENS0_18inequality_wrapperIZN2at6native12_GLOBAL__N_124unique_dim_cuda_templateIsEESt5tupleIJNSH_6TensorESM_SM_EERKSM_lbbbEUlllE0_EEPmJS6_EEE10hipError_tPvRmT3_T4_T5_T6_T7_T9_mT8_P12ihipStream_tbDpT10_ENKUlT_T0_E_clISt17integral_constantIbLb1EES1C_EEDaS17_S18_EUlS17_E_NS1_11comp_targetILNS1_3genE10ELNS1_11target_archE1200ELNS1_3gpuE4ELNS1_3repE0EEENS1_30default_config_static_selectorELNS0_4arch9wavefront6targetE1EEEvT1_,"axG",@progbits,_ZN7rocprim17ROCPRIM_400000_NS6detail17trampoline_kernelINS0_14default_configENS1_25partition_config_selectorILNS1_17partition_subalgoE8ElNS0_10empty_typeEbEEZZNS1_14partition_implILS5_8ELb0ES3_jPlPS6_PKS6_NS0_5tupleIJS9_S6_EEENSD_IJSA_SA_EEENS0_18inequality_wrapperIZN2at6native12_GLOBAL__N_124unique_dim_cuda_templateIsEESt5tupleIJNSH_6TensorESM_SM_EERKSM_lbbbEUlllE0_EEPmJS6_EEE10hipError_tPvRmT3_T4_T5_T6_T7_T9_mT8_P12ihipStream_tbDpT10_ENKUlT_T0_E_clISt17integral_constantIbLb1EES1C_EEDaS17_S18_EUlS17_E_NS1_11comp_targetILNS1_3genE10ELNS1_11target_archE1200ELNS1_3gpuE4ELNS1_3repE0EEENS1_30default_config_static_selectorELNS0_4arch9wavefront6targetE1EEEvT1_,comdat
	.globl	_ZN7rocprim17ROCPRIM_400000_NS6detail17trampoline_kernelINS0_14default_configENS1_25partition_config_selectorILNS1_17partition_subalgoE8ElNS0_10empty_typeEbEEZZNS1_14partition_implILS5_8ELb0ES3_jPlPS6_PKS6_NS0_5tupleIJS9_S6_EEENSD_IJSA_SA_EEENS0_18inequality_wrapperIZN2at6native12_GLOBAL__N_124unique_dim_cuda_templateIsEESt5tupleIJNSH_6TensorESM_SM_EERKSM_lbbbEUlllE0_EEPmJS6_EEE10hipError_tPvRmT3_T4_T5_T6_T7_T9_mT8_P12ihipStream_tbDpT10_ENKUlT_T0_E_clISt17integral_constantIbLb1EES1C_EEDaS17_S18_EUlS17_E_NS1_11comp_targetILNS1_3genE10ELNS1_11target_archE1200ELNS1_3gpuE4ELNS1_3repE0EEENS1_30default_config_static_selectorELNS0_4arch9wavefront6targetE1EEEvT1_ ; -- Begin function _ZN7rocprim17ROCPRIM_400000_NS6detail17trampoline_kernelINS0_14default_configENS1_25partition_config_selectorILNS1_17partition_subalgoE8ElNS0_10empty_typeEbEEZZNS1_14partition_implILS5_8ELb0ES3_jPlPS6_PKS6_NS0_5tupleIJS9_S6_EEENSD_IJSA_SA_EEENS0_18inequality_wrapperIZN2at6native12_GLOBAL__N_124unique_dim_cuda_templateIsEESt5tupleIJNSH_6TensorESM_SM_EERKSM_lbbbEUlllE0_EEPmJS6_EEE10hipError_tPvRmT3_T4_T5_T6_T7_T9_mT8_P12ihipStream_tbDpT10_ENKUlT_T0_E_clISt17integral_constantIbLb1EES1C_EEDaS17_S18_EUlS17_E_NS1_11comp_targetILNS1_3genE10ELNS1_11target_archE1200ELNS1_3gpuE4ELNS1_3repE0EEENS1_30default_config_static_selectorELNS0_4arch9wavefront6targetE1EEEvT1_
	.p2align	8
	.type	_ZN7rocprim17ROCPRIM_400000_NS6detail17trampoline_kernelINS0_14default_configENS1_25partition_config_selectorILNS1_17partition_subalgoE8ElNS0_10empty_typeEbEEZZNS1_14partition_implILS5_8ELb0ES3_jPlPS6_PKS6_NS0_5tupleIJS9_S6_EEENSD_IJSA_SA_EEENS0_18inequality_wrapperIZN2at6native12_GLOBAL__N_124unique_dim_cuda_templateIsEESt5tupleIJNSH_6TensorESM_SM_EERKSM_lbbbEUlllE0_EEPmJS6_EEE10hipError_tPvRmT3_T4_T5_T6_T7_T9_mT8_P12ihipStream_tbDpT10_ENKUlT_T0_E_clISt17integral_constantIbLb1EES1C_EEDaS17_S18_EUlS17_E_NS1_11comp_targetILNS1_3genE10ELNS1_11target_archE1200ELNS1_3gpuE4ELNS1_3repE0EEENS1_30default_config_static_selectorELNS0_4arch9wavefront6targetE1EEEvT1_,@function
_ZN7rocprim17ROCPRIM_400000_NS6detail17trampoline_kernelINS0_14default_configENS1_25partition_config_selectorILNS1_17partition_subalgoE8ElNS0_10empty_typeEbEEZZNS1_14partition_implILS5_8ELb0ES3_jPlPS6_PKS6_NS0_5tupleIJS9_S6_EEENSD_IJSA_SA_EEENS0_18inequality_wrapperIZN2at6native12_GLOBAL__N_124unique_dim_cuda_templateIsEESt5tupleIJNSH_6TensorESM_SM_EERKSM_lbbbEUlllE0_EEPmJS6_EEE10hipError_tPvRmT3_T4_T5_T6_T7_T9_mT8_P12ihipStream_tbDpT10_ENKUlT_T0_E_clISt17integral_constantIbLb1EES1C_EEDaS17_S18_EUlS17_E_NS1_11comp_targetILNS1_3genE10ELNS1_11target_archE1200ELNS1_3gpuE4ELNS1_3repE0EEENS1_30default_config_static_selectorELNS0_4arch9wavefront6targetE1EEEvT1_: ; @_ZN7rocprim17ROCPRIM_400000_NS6detail17trampoline_kernelINS0_14default_configENS1_25partition_config_selectorILNS1_17partition_subalgoE8ElNS0_10empty_typeEbEEZZNS1_14partition_implILS5_8ELb0ES3_jPlPS6_PKS6_NS0_5tupleIJS9_S6_EEENSD_IJSA_SA_EEENS0_18inequality_wrapperIZN2at6native12_GLOBAL__N_124unique_dim_cuda_templateIsEESt5tupleIJNSH_6TensorESM_SM_EERKSM_lbbbEUlllE0_EEPmJS6_EEE10hipError_tPvRmT3_T4_T5_T6_T7_T9_mT8_P12ihipStream_tbDpT10_ENKUlT_T0_E_clISt17integral_constantIbLb1EES1C_EEDaS17_S18_EUlS17_E_NS1_11comp_targetILNS1_3genE10ELNS1_11target_archE1200ELNS1_3gpuE4ELNS1_3repE0EEENS1_30default_config_static_selectorELNS0_4arch9wavefront6targetE1EEEvT1_
; %bb.0:
	.section	.rodata,"a",@progbits
	.p2align	6, 0x0
	.amdhsa_kernel _ZN7rocprim17ROCPRIM_400000_NS6detail17trampoline_kernelINS0_14default_configENS1_25partition_config_selectorILNS1_17partition_subalgoE8ElNS0_10empty_typeEbEEZZNS1_14partition_implILS5_8ELb0ES3_jPlPS6_PKS6_NS0_5tupleIJS9_S6_EEENSD_IJSA_SA_EEENS0_18inequality_wrapperIZN2at6native12_GLOBAL__N_124unique_dim_cuda_templateIsEESt5tupleIJNSH_6TensorESM_SM_EERKSM_lbbbEUlllE0_EEPmJS6_EEE10hipError_tPvRmT3_T4_T5_T6_T7_T9_mT8_P12ihipStream_tbDpT10_ENKUlT_T0_E_clISt17integral_constantIbLb1EES1C_EEDaS17_S18_EUlS17_E_NS1_11comp_targetILNS1_3genE10ELNS1_11target_archE1200ELNS1_3gpuE4ELNS1_3repE0EEENS1_30default_config_static_selectorELNS0_4arch9wavefront6targetE1EEEvT1_
		.amdhsa_group_segment_fixed_size 0
		.amdhsa_private_segment_fixed_size 0
		.amdhsa_kernarg_size 136
		.amdhsa_user_sgpr_count 2
		.amdhsa_user_sgpr_dispatch_ptr 0
		.amdhsa_user_sgpr_queue_ptr 0
		.amdhsa_user_sgpr_kernarg_segment_ptr 1
		.amdhsa_user_sgpr_dispatch_id 0
		.amdhsa_user_sgpr_kernarg_preload_length 0
		.amdhsa_user_sgpr_kernarg_preload_offset 0
		.amdhsa_user_sgpr_private_segment_size 0
		.amdhsa_uses_dynamic_stack 0
		.amdhsa_enable_private_segment 0
		.amdhsa_system_sgpr_workgroup_id_x 1
		.amdhsa_system_sgpr_workgroup_id_y 0
		.amdhsa_system_sgpr_workgroup_id_z 0
		.amdhsa_system_sgpr_workgroup_info 0
		.amdhsa_system_vgpr_workitem_id 0
		.amdhsa_next_free_vgpr 1
		.amdhsa_next_free_sgpr 0
		.amdhsa_accum_offset 4
		.amdhsa_reserve_vcc 0
		.amdhsa_float_round_mode_32 0
		.amdhsa_float_round_mode_16_64 0
		.amdhsa_float_denorm_mode_32 3
		.amdhsa_float_denorm_mode_16_64 3
		.amdhsa_dx10_clamp 1
		.amdhsa_ieee_mode 1
		.amdhsa_fp16_overflow 0
		.amdhsa_tg_split 0
		.amdhsa_exception_fp_ieee_invalid_op 0
		.amdhsa_exception_fp_denorm_src 0
		.amdhsa_exception_fp_ieee_div_zero 0
		.amdhsa_exception_fp_ieee_overflow 0
		.amdhsa_exception_fp_ieee_underflow 0
		.amdhsa_exception_fp_ieee_inexact 0
		.amdhsa_exception_int_div_zero 0
	.end_amdhsa_kernel
	.section	.text._ZN7rocprim17ROCPRIM_400000_NS6detail17trampoline_kernelINS0_14default_configENS1_25partition_config_selectorILNS1_17partition_subalgoE8ElNS0_10empty_typeEbEEZZNS1_14partition_implILS5_8ELb0ES3_jPlPS6_PKS6_NS0_5tupleIJS9_S6_EEENSD_IJSA_SA_EEENS0_18inequality_wrapperIZN2at6native12_GLOBAL__N_124unique_dim_cuda_templateIsEESt5tupleIJNSH_6TensorESM_SM_EERKSM_lbbbEUlllE0_EEPmJS6_EEE10hipError_tPvRmT3_T4_T5_T6_T7_T9_mT8_P12ihipStream_tbDpT10_ENKUlT_T0_E_clISt17integral_constantIbLb1EES1C_EEDaS17_S18_EUlS17_E_NS1_11comp_targetILNS1_3genE10ELNS1_11target_archE1200ELNS1_3gpuE4ELNS1_3repE0EEENS1_30default_config_static_selectorELNS0_4arch9wavefront6targetE1EEEvT1_,"axG",@progbits,_ZN7rocprim17ROCPRIM_400000_NS6detail17trampoline_kernelINS0_14default_configENS1_25partition_config_selectorILNS1_17partition_subalgoE8ElNS0_10empty_typeEbEEZZNS1_14partition_implILS5_8ELb0ES3_jPlPS6_PKS6_NS0_5tupleIJS9_S6_EEENSD_IJSA_SA_EEENS0_18inequality_wrapperIZN2at6native12_GLOBAL__N_124unique_dim_cuda_templateIsEESt5tupleIJNSH_6TensorESM_SM_EERKSM_lbbbEUlllE0_EEPmJS6_EEE10hipError_tPvRmT3_T4_T5_T6_T7_T9_mT8_P12ihipStream_tbDpT10_ENKUlT_T0_E_clISt17integral_constantIbLb1EES1C_EEDaS17_S18_EUlS17_E_NS1_11comp_targetILNS1_3genE10ELNS1_11target_archE1200ELNS1_3gpuE4ELNS1_3repE0EEENS1_30default_config_static_selectorELNS0_4arch9wavefront6targetE1EEEvT1_,comdat
.Lfunc_end703:
	.size	_ZN7rocprim17ROCPRIM_400000_NS6detail17trampoline_kernelINS0_14default_configENS1_25partition_config_selectorILNS1_17partition_subalgoE8ElNS0_10empty_typeEbEEZZNS1_14partition_implILS5_8ELb0ES3_jPlPS6_PKS6_NS0_5tupleIJS9_S6_EEENSD_IJSA_SA_EEENS0_18inequality_wrapperIZN2at6native12_GLOBAL__N_124unique_dim_cuda_templateIsEESt5tupleIJNSH_6TensorESM_SM_EERKSM_lbbbEUlllE0_EEPmJS6_EEE10hipError_tPvRmT3_T4_T5_T6_T7_T9_mT8_P12ihipStream_tbDpT10_ENKUlT_T0_E_clISt17integral_constantIbLb1EES1C_EEDaS17_S18_EUlS17_E_NS1_11comp_targetILNS1_3genE10ELNS1_11target_archE1200ELNS1_3gpuE4ELNS1_3repE0EEENS1_30default_config_static_selectorELNS0_4arch9wavefront6targetE1EEEvT1_, .Lfunc_end703-_ZN7rocprim17ROCPRIM_400000_NS6detail17trampoline_kernelINS0_14default_configENS1_25partition_config_selectorILNS1_17partition_subalgoE8ElNS0_10empty_typeEbEEZZNS1_14partition_implILS5_8ELb0ES3_jPlPS6_PKS6_NS0_5tupleIJS9_S6_EEENSD_IJSA_SA_EEENS0_18inequality_wrapperIZN2at6native12_GLOBAL__N_124unique_dim_cuda_templateIsEESt5tupleIJNSH_6TensorESM_SM_EERKSM_lbbbEUlllE0_EEPmJS6_EEE10hipError_tPvRmT3_T4_T5_T6_T7_T9_mT8_P12ihipStream_tbDpT10_ENKUlT_T0_E_clISt17integral_constantIbLb1EES1C_EEDaS17_S18_EUlS17_E_NS1_11comp_targetILNS1_3genE10ELNS1_11target_archE1200ELNS1_3gpuE4ELNS1_3repE0EEENS1_30default_config_static_selectorELNS0_4arch9wavefront6targetE1EEEvT1_
                                        ; -- End function
	.section	.AMDGPU.csdata,"",@progbits
; Kernel info:
; codeLenInByte = 0
; NumSgprs: 6
; NumVgprs: 0
; NumAgprs: 0
; TotalNumVgprs: 0
; ScratchSize: 0
; MemoryBound: 0
; FloatMode: 240
; IeeeMode: 1
; LDSByteSize: 0 bytes/workgroup (compile time only)
; SGPRBlocks: 0
; VGPRBlocks: 0
; NumSGPRsForWavesPerEU: 6
; NumVGPRsForWavesPerEU: 1
; AccumOffset: 4
; Occupancy: 8
; WaveLimiterHint : 0
; COMPUTE_PGM_RSRC2:SCRATCH_EN: 0
; COMPUTE_PGM_RSRC2:USER_SGPR: 2
; COMPUTE_PGM_RSRC2:TRAP_HANDLER: 0
; COMPUTE_PGM_RSRC2:TGID_X_EN: 1
; COMPUTE_PGM_RSRC2:TGID_Y_EN: 0
; COMPUTE_PGM_RSRC2:TGID_Z_EN: 0
; COMPUTE_PGM_RSRC2:TIDIG_COMP_CNT: 0
; COMPUTE_PGM_RSRC3_GFX90A:ACCUM_OFFSET: 0
; COMPUTE_PGM_RSRC3_GFX90A:TG_SPLIT: 0
	.section	.text._ZN7rocprim17ROCPRIM_400000_NS6detail17trampoline_kernelINS0_14default_configENS1_25partition_config_selectorILNS1_17partition_subalgoE8ElNS0_10empty_typeEbEEZZNS1_14partition_implILS5_8ELb0ES3_jPlPS6_PKS6_NS0_5tupleIJS9_S6_EEENSD_IJSA_SA_EEENS0_18inequality_wrapperIZN2at6native12_GLOBAL__N_124unique_dim_cuda_templateIsEESt5tupleIJNSH_6TensorESM_SM_EERKSM_lbbbEUlllE0_EEPmJS6_EEE10hipError_tPvRmT3_T4_T5_T6_T7_T9_mT8_P12ihipStream_tbDpT10_ENKUlT_T0_E_clISt17integral_constantIbLb1EES1C_EEDaS17_S18_EUlS17_E_NS1_11comp_targetILNS1_3genE9ELNS1_11target_archE1100ELNS1_3gpuE3ELNS1_3repE0EEENS1_30default_config_static_selectorELNS0_4arch9wavefront6targetE1EEEvT1_,"axG",@progbits,_ZN7rocprim17ROCPRIM_400000_NS6detail17trampoline_kernelINS0_14default_configENS1_25partition_config_selectorILNS1_17partition_subalgoE8ElNS0_10empty_typeEbEEZZNS1_14partition_implILS5_8ELb0ES3_jPlPS6_PKS6_NS0_5tupleIJS9_S6_EEENSD_IJSA_SA_EEENS0_18inequality_wrapperIZN2at6native12_GLOBAL__N_124unique_dim_cuda_templateIsEESt5tupleIJNSH_6TensorESM_SM_EERKSM_lbbbEUlllE0_EEPmJS6_EEE10hipError_tPvRmT3_T4_T5_T6_T7_T9_mT8_P12ihipStream_tbDpT10_ENKUlT_T0_E_clISt17integral_constantIbLb1EES1C_EEDaS17_S18_EUlS17_E_NS1_11comp_targetILNS1_3genE9ELNS1_11target_archE1100ELNS1_3gpuE3ELNS1_3repE0EEENS1_30default_config_static_selectorELNS0_4arch9wavefront6targetE1EEEvT1_,comdat
	.globl	_ZN7rocprim17ROCPRIM_400000_NS6detail17trampoline_kernelINS0_14default_configENS1_25partition_config_selectorILNS1_17partition_subalgoE8ElNS0_10empty_typeEbEEZZNS1_14partition_implILS5_8ELb0ES3_jPlPS6_PKS6_NS0_5tupleIJS9_S6_EEENSD_IJSA_SA_EEENS0_18inequality_wrapperIZN2at6native12_GLOBAL__N_124unique_dim_cuda_templateIsEESt5tupleIJNSH_6TensorESM_SM_EERKSM_lbbbEUlllE0_EEPmJS6_EEE10hipError_tPvRmT3_T4_T5_T6_T7_T9_mT8_P12ihipStream_tbDpT10_ENKUlT_T0_E_clISt17integral_constantIbLb1EES1C_EEDaS17_S18_EUlS17_E_NS1_11comp_targetILNS1_3genE9ELNS1_11target_archE1100ELNS1_3gpuE3ELNS1_3repE0EEENS1_30default_config_static_selectorELNS0_4arch9wavefront6targetE1EEEvT1_ ; -- Begin function _ZN7rocprim17ROCPRIM_400000_NS6detail17trampoline_kernelINS0_14default_configENS1_25partition_config_selectorILNS1_17partition_subalgoE8ElNS0_10empty_typeEbEEZZNS1_14partition_implILS5_8ELb0ES3_jPlPS6_PKS6_NS0_5tupleIJS9_S6_EEENSD_IJSA_SA_EEENS0_18inequality_wrapperIZN2at6native12_GLOBAL__N_124unique_dim_cuda_templateIsEESt5tupleIJNSH_6TensorESM_SM_EERKSM_lbbbEUlllE0_EEPmJS6_EEE10hipError_tPvRmT3_T4_T5_T6_T7_T9_mT8_P12ihipStream_tbDpT10_ENKUlT_T0_E_clISt17integral_constantIbLb1EES1C_EEDaS17_S18_EUlS17_E_NS1_11comp_targetILNS1_3genE9ELNS1_11target_archE1100ELNS1_3gpuE3ELNS1_3repE0EEENS1_30default_config_static_selectorELNS0_4arch9wavefront6targetE1EEEvT1_
	.p2align	8
	.type	_ZN7rocprim17ROCPRIM_400000_NS6detail17trampoline_kernelINS0_14default_configENS1_25partition_config_selectorILNS1_17partition_subalgoE8ElNS0_10empty_typeEbEEZZNS1_14partition_implILS5_8ELb0ES3_jPlPS6_PKS6_NS0_5tupleIJS9_S6_EEENSD_IJSA_SA_EEENS0_18inequality_wrapperIZN2at6native12_GLOBAL__N_124unique_dim_cuda_templateIsEESt5tupleIJNSH_6TensorESM_SM_EERKSM_lbbbEUlllE0_EEPmJS6_EEE10hipError_tPvRmT3_T4_T5_T6_T7_T9_mT8_P12ihipStream_tbDpT10_ENKUlT_T0_E_clISt17integral_constantIbLb1EES1C_EEDaS17_S18_EUlS17_E_NS1_11comp_targetILNS1_3genE9ELNS1_11target_archE1100ELNS1_3gpuE3ELNS1_3repE0EEENS1_30default_config_static_selectorELNS0_4arch9wavefront6targetE1EEEvT1_,@function
_ZN7rocprim17ROCPRIM_400000_NS6detail17trampoline_kernelINS0_14default_configENS1_25partition_config_selectorILNS1_17partition_subalgoE8ElNS0_10empty_typeEbEEZZNS1_14partition_implILS5_8ELb0ES3_jPlPS6_PKS6_NS0_5tupleIJS9_S6_EEENSD_IJSA_SA_EEENS0_18inequality_wrapperIZN2at6native12_GLOBAL__N_124unique_dim_cuda_templateIsEESt5tupleIJNSH_6TensorESM_SM_EERKSM_lbbbEUlllE0_EEPmJS6_EEE10hipError_tPvRmT3_T4_T5_T6_T7_T9_mT8_P12ihipStream_tbDpT10_ENKUlT_T0_E_clISt17integral_constantIbLb1EES1C_EEDaS17_S18_EUlS17_E_NS1_11comp_targetILNS1_3genE9ELNS1_11target_archE1100ELNS1_3gpuE3ELNS1_3repE0EEENS1_30default_config_static_selectorELNS0_4arch9wavefront6targetE1EEEvT1_: ; @_ZN7rocprim17ROCPRIM_400000_NS6detail17trampoline_kernelINS0_14default_configENS1_25partition_config_selectorILNS1_17partition_subalgoE8ElNS0_10empty_typeEbEEZZNS1_14partition_implILS5_8ELb0ES3_jPlPS6_PKS6_NS0_5tupleIJS9_S6_EEENSD_IJSA_SA_EEENS0_18inequality_wrapperIZN2at6native12_GLOBAL__N_124unique_dim_cuda_templateIsEESt5tupleIJNSH_6TensorESM_SM_EERKSM_lbbbEUlllE0_EEPmJS6_EEE10hipError_tPvRmT3_T4_T5_T6_T7_T9_mT8_P12ihipStream_tbDpT10_ENKUlT_T0_E_clISt17integral_constantIbLb1EES1C_EEDaS17_S18_EUlS17_E_NS1_11comp_targetILNS1_3genE9ELNS1_11target_archE1100ELNS1_3gpuE3ELNS1_3repE0EEENS1_30default_config_static_selectorELNS0_4arch9wavefront6targetE1EEEvT1_
; %bb.0:
	.section	.rodata,"a",@progbits
	.p2align	6, 0x0
	.amdhsa_kernel _ZN7rocprim17ROCPRIM_400000_NS6detail17trampoline_kernelINS0_14default_configENS1_25partition_config_selectorILNS1_17partition_subalgoE8ElNS0_10empty_typeEbEEZZNS1_14partition_implILS5_8ELb0ES3_jPlPS6_PKS6_NS0_5tupleIJS9_S6_EEENSD_IJSA_SA_EEENS0_18inequality_wrapperIZN2at6native12_GLOBAL__N_124unique_dim_cuda_templateIsEESt5tupleIJNSH_6TensorESM_SM_EERKSM_lbbbEUlllE0_EEPmJS6_EEE10hipError_tPvRmT3_T4_T5_T6_T7_T9_mT8_P12ihipStream_tbDpT10_ENKUlT_T0_E_clISt17integral_constantIbLb1EES1C_EEDaS17_S18_EUlS17_E_NS1_11comp_targetILNS1_3genE9ELNS1_11target_archE1100ELNS1_3gpuE3ELNS1_3repE0EEENS1_30default_config_static_selectorELNS0_4arch9wavefront6targetE1EEEvT1_
		.amdhsa_group_segment_fixed_size 0
		.amdhsa_private_segment_fixed_size 0
		.amdhsa_kernarg_size 136
		.amdhsa_user_sgpr_count 2
		.amdhsa_user_sgpr_dispatch_ptr 0
		.amdhsa_user_sgpr_queue_ptr 0
		.amdhsa_user_sgpr_kernarg_segment_ptr 1
		.amdhsa_user_sgpr_dispatch_id 0
		.amdhsa_user_sgpr_kernarg_preload_length 0
		.amdhsa_user_sgpr_kernarg_preload_offset 0
		.amdhsa_user_sgpr_private_segment_size 0
		.amdhsa_uses_dynamic_stack 0
		.amdhsa_enable_private_segment 0
		.amdhsa_system_sgpr_workgroup_id_x 1
		.amdhsa_system_sgpr_workgroup_id_y 0
		.amdhsa_system_sgpr_workgroup_id_z 0
		.amdhsa_system_sgpr_workgroup_info 0
		.amdhsa_system_vgpr_workitem_id 0
		.amdhsa_next_free_vgpr 1
		.amdhsa_next_free_sgpr 0
		.amdhsa_accum_offset 4
		.amdhsa_reserve_vcc 0
		.amdhsa_float_round_mode_32 0
		.amdhsa_float_round_mode_16_64 0
		.amdhsa_float_denorm_mode_32 3
		.amdhsa_float_denorm_mode_16_64 3
		.amdhsa_dx10_clamp 1
		.amdhsa_ieee_mode 1
		.amdhsa_fp16_overflow 0
		.amdhsa_tg_split 0
		.amdhsa_exception_fp_ieee_invalid_op 0
		.amdhsa_exception_fp_denorm_src 0
		.amdhsa_exception_fp_ieee_div_zero 0
		.amdhsa_exception_fp_ieee_overflow 0
		.amdhsa_exception_fp_ieee_underflow 0
		.amdhsa_exception_fp_ieee_inexact 0
		.amdhsa_exception_int_div_zero 0
	.end_amdhsa_kernel
	.section	.text._ZN7rocprim17ROCPRIM_400000_NS6detail17trampoline_kernelINS0_14default_configENS1_25partition_config_selectorILNS1_17partition_subalgoE8ElNS0_10empty_typeEbEEZZNS1_14partition_implILS5_8ELb0ES3_jPlPS6_PKS6_NS0_5tupleIJS9_S6_EEENSD_IJSA_SA_EEENS0_18inequality_wrapperIZN2at6native12_GLOBAL__N_124unique_dim_cuda_templateIsEESt5tupleIJNSH_6TensorESM_SM_EERKSM_lbbbEUlllE0_EEPmJS6_EEE10hipError_tPvRmT3_T4_T5_T6_T7_T9_mT8_P12ihipStream_tbDpT10_ENKUlT_T0_E_clISt17integral_constantIbLb1EES1C_EEDaS17_S18_EUlS17_E_NS1_11comp_targetILNS1_3genE9ELNS1_11target_archE1100ELNS1_3gpuE3ELNS1_3repE0EEENS1_30default_config_static_selectorELNS0_4arch9wavefront6targetE1EEEvT1_,"axG",@progbits,_ZN7rocprim17ROCPRIM_400000_NS6detail17trampoline_kernelINS0_14default_configENS1_25partition_config_selectorILNS1_17partition_subalgoE8ElNS0_10empty_typeEbEEZZNS1_14partition_implILS5_8ELb0ES3_jPlPS6_PKS6_NS0_5tupleIJS9_S6_EEENSD_IJSA_SA_EEENS0_18inequality_wrapperIZN2at6native12_GLOBAL__N_124unique_dim_cuda_templateIsEESt5tupleIJNSH_6TensorESM_SM_EERKSM_lbbbEUlllE0_EEPmJS6_EEE10hipError_tPvRmT3_T4_T5_T6_T7_T9_mT8_P12ihipStream_tbDpT10_ENKUlT_T0_E_clISt17integral_constantIbLb1EES1C_EEDaS17_S18_EUlS17_E_NS1_11comp_targetILNS1_3genE9ELNS1_11target_archE1100ELNS1_3gpuE3ELNS1_3repE0EEENS1_30default_config_static_selectorELNS0_4arch9wavefront6targetE1EEEvT1_,comdat
.Lfunc_end704:
	.size	_ZN7rocprim17ROCPRIM_400000_NS6detail17trampoline_kernelINS0_14default_configENS1_25partition_config_selectorILNS1_17partition_subalgoE8ElNS0_10empty_typeEbEEZZNS1_14partition_implILS5_8ELb0ES3_jPlPS6_PKS6_NS0_5tupleIJS9_S6_EEENSD_IJSA_SA_EEENS0_18inequality_wrapperIZN2at6native12_GLOBAL__N_124unique_dim_cuda_templateIsEESt5tupleIJNSH_6TensorESM_SM_EERKSM_lbbbEUlllE0_EEPmJS6_EEE10hipError_tPvRmT3_T4_T5_T6_T7_T9_mT8_P12ihipStream_tbDpT10_ENKUlT_T0_E_clISt17integral_constantIbLb1EES1C_EEDaS17_S18_EUlS17_E_NS1_11comp_targetILNS1_3genE9ELNS1_11target_archE1100ELNS1_3gpuE3ELNS1_3repE0EEENS1_30default_config_static_selectorELNS0_4arch9wavefront6targetE1EEEvT1_, .Lfunc_end704-_ZN7rocprim17ROCPRIM_400000_NS6detail17trampoline_kernelINS0_14default_configENS1_25partition_config_selectorILNS1_17partition_subalgoE8ElNS0_10empty_typeEbEEZZNS1_14partition_implILS5_8ELb0ES3_jPlPS6_PKS6_NS0_5tupleIJS9_S6_EEENSD_IJSA_SA_EEENS0_18inequality_wrapperIZN2at6native12_GLOBAL__N_124unique_dim_cuda_templateIsEESt5tupleIJNSH_6TensorESM_SM_EERKSM_lbbbEUlllE0_EEPmJS6_EEE10hipError_tPvRmT3_T4_T5_T6_T7_T9_mT8_P12ihipStream_tbDpT10_ENKUlT_T0_E_clISt17integral_constantIbLb1EES1C_EEDaS17_S18_EUlS17_E_NS1_11comp_targetILNS1_3genE9ELNS1_11target_archE1100ELNS1_3gpuE3ELNS1_3repE0EEENS1_30default_config_static_selectorELNS0_4arch9wavefront6targetE1EEEvT1_
                                        ; -- End function
	.section	.AMDGPU.csdata,"",@progbits
; Kernel info:
; codeLenInByte = 0
; NumSgprs: 6
; NumVgprs: 0
; NumAgprs: 0
; TotalNumVgprs: 0
; ScratchSize: 0
; MemoryBound: 0
; FloatMode: 240
; IeeeMode: 1
; LDSByteSize: 0 bytes/workgroup (compile time only)
; SGPRBlocks: 0
; VGPRBlocks: 0
; NumSGPRsForWavesPerEU: 6
; NumVGPRsForWavesPerEU: 1
; AccumOffset: 4
; Occupancy: 8
; WaveLimiterHint : 0
; COMPUTE_PGM_RSRC2:SCRATCH_EN: 0
; COMPUTE_PGM_RSRC2:USER_SGPR: 2
; COMPUTE_PGM_RSRC2:TRAP_HANDLER: 0
; COMPUTE_PGM_RSRC2:TGID_X_EN: 1
; COMPUTE_PGM_RSRC2:TGID_Y_EN: 0
; COMPUTE_PGM_RSRC2:TGID_Z_EN: 0
; COMPUTE_PGM_RSRC2:TIDIG_COMP_CNT: 0
; COMPUTE_PGM_RSRC3_GFX90A:ACCUM_OFFSET: 0
; COMPUTE_PGM_RSRC3_GFX90A:TG_SPLIT: 0
	.section	.text._ZN7rocprim17ROCPRIM_400000_NS6detail17trampoline_kernelINS0_14default_configENS1_25partition_config_selectorILNS1_17partition_subalgoE8ElNS0_10empty_typeEbEEZZNS1_14partition_implILS5_8ELb0ES3_jPlPS6_PKS6_NS0_5tupleIJS9_S6_EEENSD_IJSA_SA_EEENS0_18inequality_wrapperIZN2at6native12_GLOBAL__N_124unique_dim_cuda_templateIsEESt5tupleIJNSH_6TensorESM_SM_EERKSM_lbbbEUlllE0_EEPmJS6_EEE10hipError_tPvRmT3_T4_T5_T6_T7_T9_mT8_P12ihipStream_tbDpT10_ENKUlT_T0_E_clISt17integral_constantIbLb1EES1C_EEDaS17_S18_EUlS17_E_NS1_11comp_targetILNS1_3genE8ELNS1_11target_archE1030ELNS1_3gpuE2ELNS1_3repE0EEENS1_30default_config_static_selectorELNS0_4arch9wavefront6targetE1EEEvT1_,"axG",@progbits,_ZN7rocprim17ROCPRIM_400000_NS6detail17trampoline_kernelINS0_14default_configENS1_25partition_config_selectorILNS1_17partition_subalgoE8ElNS0_10empty_typeEbEEZZNS1_14partition_implILS5_8ELb0ES3_jPlPS6_PKS6_NS0_5tupleIJS9_S6_EEENSD_IJSA_SA_EEENS0_18inequality_wrapperIZN2at6native12_GLOBAL__N_124unique_dim_cuda_templateIsEESt5tupleIJNSH_6TensorESM_SM_EERKSM_lbbbEUlllE0_EEPmJS6_EEE10hipError_tPvRmT3_T4_T5_T6_T7_T9_mT8_P12ihipStream_tbDpT10_ENKUlT_T0_E_clISt17integral_constantIbLb1EES1C_EEDaS17_S18_EUlS17_E_NS1_11comp_targetILNS1_3genE8ELNS1_11target_archE1030ELNS1_3gpuE2ELNS1_3repE0EEENS1_30default_config_static_selectorELNS0_4arch9wavefront6targetE1EEEvT1_,comdat
	.globl	_ZN7rocprim17ROCPRIM_400000_NS6detail17trampoline_kernelINS0_14default_configENS1_25partition_config_selectorILNS1_17partition_subalgoE8ElNS0_10empty_typeEbEEZZNS1_14partition_implILS5_8ELb0ES3_jPlPS6_PKS6_NS0_5tupleIJS9_S6_EEENSD_IJSA_SA_EEENS0_18inequality_wrapperIZN2at6native12_GLOBAL__N_124unique_dim_cuda_templateIsEESt5tupleIJNSH_6TensorESM_SM_EERKSM_lbbbEUlllE0_EEPmJS6_EEE10hipError_tPvRmT3_T4_T5_T6_T7_T9_mT8_P12ihipStream_tbDpT10_ENKUlT_T0_E_clISt17integral_constantIbLb1EES1C_EEDaS17_S18_EUlS17_E_NS1_11comp_targetILNS1_3genE8ELNS1_11target_archE1030ELNS1_3gpuE2ELNS1_3repE0EEENS1_30default_config_static_selectorELNS0_4arch9wavefront6targetE1EEEvT1_ ; -- Begin function _ZN7rocprim17ROCPRIM_400000_NS6detail17trampoline_kernelINS0_14default_configENS1_25partition_config_selectorILNS1_17partition_subalgoE8ElNS0_10empty_typeEbEEZZNS1_14partition_implILS5_8ELb0ES3_jPlPS6_PKS6_NS0_5tupleIJS9_S6_EEENSD_IJSA_SA_EEENS0_18inequality_wrapperIZN2at6native12_GLOBAL__N_124unique_dim_cuda_templateIsEESt5tupleIJNSH_6TensorESM_SM_EERKSM_lbbbEUlllE0_EEPmJS6_EEE10hipError_tPvRmT3_T4_T5_T6_T7_T9_mT8_P12ihipStream_tbDpT10_ENKUlT_T0_E_clISt17integral_constantIbLb1EES1C_EEDaS17_S18_EUlS17_E_NS1_11comp_targetILNS1_3genE8ELNS1_11target_archE1030ELNS1_3gpuE2ELNS1_3repE0EEENS1_30default_config_static_selectorELNS0_4arch9wavefront6targetE1EEEvT1_
	.p2align	8
	.type	_ZN7rocprim17ROCPRIM_400000_NS6detail17trampoline_kernelINS0_14default_configENS1_25partition_config_selectorILNS1_17partition_subalgoE8ElNS0_10empty_typeEbEEZZNS1_14partition_implILS5_8ELb0ES3_jPlPS6_PKS6_NS0_5tupleIJS9_S6_EEENSD_IJSA_SA_EEENS0_18inequality_wrapperIZN2at6native12_GLOBAL__N_124unique_dim_cuda_templateIsEESt5tupleIJNSH_6TensorESM_SM_EERKSM_lbbbEUlllE0_EEPmJS6_EEE10hipError_tPvRmT3_T4_T5_T6_T7_T9_mT8_P12ihipStream_tbDpT10_ENKUlT_T0_E_clISt17integral_constantIbLb1EES1C_EEDaS17_S18_EUlS17_E_NS1_11comp_targetILNS1_3genE8ELNS1_11target_archE1030ELNS1_3gpuE2ELNS1_3repE0EEENS1_30default_config_static_selectorELNS0_4arch9wavefront6targetE1EEEvT1_,@function
_ZN7rocprim17ROCPRIM_400000_NS6detail17trampoline_kernelINS0_14default_configENS1_25partition_config_selectorILNS1_17partition_subalgoE8ElNS0_10empty_typeEbEEZZNS1_14partition_implILS5_8ELb0ES3_jPlPS6_PKS6_NS0_5tupleIJS9_S6_EEENSD_IJSA_SA_EEENS0_18inequality_wrapperIZN2at6native12_GLOBAL__N_124unique_dim_cuda_templateIsEESt5tupleIJNSH_6TensorESM_SM_EERKSM_lbbbEUlllE0_EEPmJS6_EEE10hipError_tPvRmT3_T4_T5_T6_T7_T9_mT8_P12ihipStream_tbDpT10_ENKUlT_T0_E_clISt17integral_constantIbLb1EES1C_EEDaS17_S18_EUlS17_E_NS1_11comp_targetILNS1_3genE8ELNS1_11target_archE1030ELNS1_3gpuE2ELNS1_3repE0EEENS1_30default_config_static_selectorELNS0_4arch9wavefront6targetE1EEEvT1_: ; @_ZN7rocprim17ROCPRIM_400000_NS6detail17trampoline_kernelINS0_14default_configENS1_25partition_config_selectorILNS1_17partition_subalgoE8ElNS0_10empty_typeEbEEZZNS1_14partition_implILS5_8ELb0ES3_jPlPS6_PKS6_NS0_5tupleIJS9_S6_EEENSD_IJSA_SA_EEENS0_18inequality_wrapperIZN2at6native12_GLOBAL__N_124unique_dim_cuda_templateIsEESt5tupleIJNSH_6TensorESM_SM_EERKSM_lbbbEUlllE0_EEPmJS6_EEE10hipError_tPvRmT3_T4_T5_T6_T7_T9_mT8_P12ihipStream_tbDpT10_ENKUlT_T0_E_clISt17integral_constantIbLb1EES1C_EEDaS17_S18_EUlS17_E_NS1_11comp_targetILNS1_3genE8ELNS1_11target_archE1030ELNS1_3gpuE2ELNS1_3repE0EEENS1_30default_config_static_selectorELNS0_4arch9wavefront6targetE1EEEvT1_
; %bb.0:
	.section	.rodata,"a",@progbits
	.p2align	6, 0x0
	.amdhsa_kernel _ZN7rocprim17ROCPRIM_400000_NS6detail17trampoline_kernelINS0_14default_configENS1_25partition_config_selectorILNS1_17partition_subalgoE8ElNS0_10empty_typeEbEEZZNS1_14partition_implILS5_8ELb0ES3_jPlPS6_PKS6_NS0_5tupleIJS9_S6_EEENSD_IJSA_SA_EEENS0_18inequality_wrapperIZN2at6native12_GLOBAL__N_124unique_dim_cuda_templateIsEESt5tupleIJNSH_6TensorESM_SM_EERKSM_lbbbEUlllE0_EEPmJS6_EEE10hipError_tPvRmT3_T4_T5_T6_T7_T9_mT8_P12ihipStream_tbDpT10_ENKUlT_T0_E_clISt17integral_constantIbLb1EES1C_EEDaS17_S18_EUlS17_E_NS1_11comp_targetILNS1_3genE8ELNS1_11target_archE1030ELNS1_3gpuE2ELNS1_3repE0EEENS1_30default_config_static_selectorELNS0_4arch9wavefront6targetE1EEEvT1_
		.amdhsa_group_segment_fixed_size 0
		.amdhsa_private_segment_fixed_size 0
		.amdhsa_kernarg_size 136
		.amdhsa_user_sgpr_count 2
		.amdhsa_user_sgpr_dispatch_ptr 0
		.amdhsa_user_sgpr_queue_ptr 0
		.amdhsa_user_sgpr_kernarg_segment_ptr 1
		.amdhsa_user_sgpr_dispatch_id 0
		.amdhsa_user_sgpr_kernarg_preload_length 0
		.amdhsa_user_sgpr_kernarg_preload_offset 0
		.amdhsa_user_sgpr_private_segment_size 0
		.amdhsa_uses_dynamic_stack 0
		.amdhsa_enable_private_segment 0
		.amdhsa_system_sgpr_workgroup_id_x 1
		.amdhsa_system_sgpr_workgroup_id_y 0
		.amdhsa_system_sgpr_workgroup_id_z 0
		.amdhsa_system_sgpr_workgroup_info 0
		.amdhsa_system_vgpr_workitem_id 0
		.amdhsa_next_free_vgpr 1
		.amdhsa_next_free_sgpr 0
		.amdhsa_accum_offset 4
		.amdhsa_reserve_vcc 0
		.amdhsa_float_round_mode_32 0
		.amdhsa_float_round_mode_16_64 0
		.amdhsa_float_denorm_mode_32 3
		.amdhsa_float_denorm_mode_16_64 3
		.amdhsa_dx10_clamp 1
		.amdhsa_ieee_mode 1
		.amdhsa_fp16_overflow 0
		.amdhsa_tg_split 0
		.amdhsa_exception_fp_ieee_invalid_op 0
		.amdhsa_exception_fp_denorm_src 0
		.amdhsa_exception_fp_ieee_div_zero 0
		.amdhsa_exception_fp_ieee_overflow 0
		.amdhsa_exception_fp_ieee_underflow 0
		.amdhsa_exception_fp_ieee_inexact 0
		.amdhsa_exception_int_div_zero 0
	.end_amdhsa_kernel
	.section	.text._ZN7rocprim17ROCPRIM_400000_NS6detail17trampoline_kernelINS0_14default_configENS1_25partition_config_selectorILNS1_17partition_subalgoE8ElNS0_10empty_typeEbEEZZNS1_14partition_implILS5_8ELb0ES3_jPlPS6_PKS6_NS0_5tupleIJS9_S6_EEENSD_IJSA_SA_EEENS0_18inequality_wrapperIZN2at6native12_GLOBAL__N_124unique_dim_cuda_templateIsEESt5tupleIJNSH_6TensorESM_SM_EERKSM_lbbbEUlllE0_EEPmJS6_EEE10hipError_tPvRmT3_T4_T5_T6_T7_T9_mT8_P12ihipStream_tbDpT10_ENKUlT_T0_E_clISt17integral_constantIbLb1EES1C_EEDaS17_S18_EUlS17_E_NS1_11comp_targetILNS1_3genE8ELNS1_11target_archE1030ELNS1_3gpuE2ELNS1_3repE0EEENS1_30default_config_static_selectorELNS0_4arch9wavefront6targetE1EEEvT1_,"axG",@progbits,_ZN7rocprim17ROCPRIM_400000_NS6detail17trampoline_kernelINS0_14default_configENS1_25partition_config_selectorILNS1_17partition_subalgoE8ElNS0_10empty_typeEbEEZZNS1_14partition_implILS5_8ELb0ES3_jPlPS6_PKS6_NS0_5tupleIJS9_S6_EEENSD_IJSA_SA_EEENS0_18inequality_wrapperIZN2at6native12_GLOBAL__N_124unique_dim_cuda_templateIsEESt5tupleIJNSH_6TensorESM_SM_EERKSM_lbbbEUlllE0_EEPmJS6_EEE10hipError_tPvRmT3_T4_T5_T6_T7_T9_mT8_P12ihipStream_tbDpT10_ENKUlT_T0_E_clISt17integral_constantIbLb1EES1C_EEDaS17_S18_EUlS17_E_NS1_11comp_targetILNS1_3genE8ELNS1_11target_archE1030ELNS1_3gpuE2ELNS1_3repE0EEENS1_30default_config_static_selectorELNS0_4arch9wavefront6targetE1EEEvT1_,comdat
.Lfunc_end705:
	.size	_ZN7rocprim17ROCPRIM_400000_NS6detail17trampoline_kernelINS0_14default_configENS1_25partition_config_selectorILNS1_17partition_subalgoE8ElNS0_10empty_typeEbEEZZNS1_14partition_implILS5_8ELb0ES3_jPlPS6_PKS6_NS0_5tupleIJS9_S6_EEENSD_IJSA_SA_EEENS0_18inequality_wrapperIZN2at6native12_GLOBAL__N_124unique_dim_cuda_templateIsEESt5tupleIJNSH_6TensorESM_SM_EERKSM_lbbbEUlllE0_EEPmJS6_EEE10hipError_tPvRmT3_T4_T5_T6_T7_T9_mT8_P12ihipStream_tbDpT10_ENKUlT_T0_E_clISt17integral_constantIbLb1EES1C_EEDaS17_S18_EUlS17_E_NS1_11comp_targetILNS1_3genE8ELNS1_11target_archE1030ELNS1_3gpuE2ELNS1_3repE0EEENS1_30default_config_static_selectorELNS0_4arch9wavefront6targetE1EEEvT1_, .Lfunc_end705-_ZN7rocprim17ROCPRIM_400000_NS6detail17trampoline_kernelINS0_14default_configENS1_25partition_config_selectorILNS1_17partition_subalgoE8ElNS0_10empty_typeEbEEZZNS1_14partition_implILS5_8ELb0ES3_jPlPS6_PKS6_NS0_5tupleIJS9_S6_EEENSD_IJSA_SA_EEENS0_18inequality_wrapperIZN2at6native12_GLOBAL__N_124unique_dim_cuda_templateIsEESt5tupleIJNSH_6TensorESM_SM_EERKSM_lbbbEUlllE0_EEPmJS6_EEE10hipError_tPvRmT3_T4_T5_T6_T7_T9_mT8_P12ihipStream_tbDpT10_ENKUlT_T0_E_clISt17integral_constantIbLb1EES1C_EEDaS17_S18_EUlS17_E_NS1_11comp_targetILNS1_3genE8ELNS1_11target_archE1030ELNS1_3gpuE2ELNS1_3repE0EEENS1_30default_config_static_selectorELNS0_4arch9wavefront6targetE1EEEvT1_
                                        ; -- End function
	.section	.AMDGPU.csdata,"",@progbits
; Kernel info:
; codeLenInByte = 0
; NumSgprs: 6
; NumVgprs: 0
; NumAgprs: 0
; TotalNumVgprs: 0
; ScratchSize: 0
; MemoryBound: 0
; FloatMode: 240
; IeeeMode: 1
; LDSByteSize: 0 bytes/workgroup (compile time only)
; SGPRBlocks: 0
; VGPRBlocks: 0
; NumSGPRsForWavesPerEU: 6
; NumVGPRsForWavesPerEU: 1
; AccumOffset: 4
; Occupancy: 8
; WaveLimiterHint : 0
; COMPUTE_PGM_RSRC2:SCRATCH_EN: 0
; COMPUTE_PGM_RSRC2:USER_SGPR: 2
; COMPUTE_PGM_RSRC2:TRAP_HANDLER: 0
; COMPUTE_PGM_RSRC2:TGID_X_EN: 1
; COMPUTE_PGM_RSRC2:TGID_Y_EN: 0
; COMPUTE_PGM_RSRC2:TGID_Z_EN: 0
; COMPUTE_PGM_RSRC2:TIDIG_COMP_CNT: 0
; COMPUTE_PGM_RSRC3_GFX90A:ACCUM_OFFSET: 0
; COMPUTE_PGM_RSRC3_GFX90A:TG_SPLIT: 0
	.section	.text._ZN7rocprim17ROCPRIM_400000_NS6detail17trampoline_kernelINS0_14default_configENS1_25partition_config_selectorILNS1_17partition_subalgoE8ElNS0_10empty_typeEbEEZZNS1_14partition_implILS5_8ELb0ES3_jPlPS6_PKS6_NS0_5tupleIJS9_S6_EEENSD_IJSA_SA_EEENS0_18inequality_wrapperIZN2at6native12_GLOBAL__N_124unique_dim_cuda_templateIsEESt5tupleIJNSH_6TensorESM_SM_EERKSM_lbbbEUlllE0_EEPmJS6_EEE10hipError_tPvRmT3_T4_T5_T6_T7_T9_mT8_P12ihipStream_tbDpT10_ENKUlT_T0_E_clISt17integral_constantIbLb1EES1B_IbLb0EEEEDaS17_S18_EUlS17_E_NS1_11comp_targetILNS1_3genE0ELNS1_11target_archE4294967295ELNS1_3gpuE0ELNS1_3repE0EEENS1_30default_config_static_selectorELNS0_4arch9wavefront6targetE1EEEvT1_,"axG",@progbits,_ZN7rocprim17ROCPRIM_400000_NS6detail17trampoline_kernelINS0_14default_configENS1_25partition_config_selectorILNS1_17partition_subalgoE8ElNS0_10empty_typeEbEEZZNS1_14partition_implILS5_8ELb0ES3_jPlPS6_PKS6_NS0_5tupleIJS9_S6_EEENSD_IJSA_SA_EEENS0_18inequality_wrapperIZN2at6native12_GLOBAL__N_124unique_dim_cuda_templateIsEESt5tupleIJNSH_6TensorESM_SM_EERKSM_lbbbEUlllE0_EEPmJS6_EEE10hipError_tPvRmT3_T4_T5_T6_T7_T9_mT8_P12ihipStream_tbDpT10_ENKUlT_T0_E_clISt17integral_constantIbLb1EES1B_IbLb0EEEEDaS17_S18_EUlS17_E_NS1_11comp_targetILNS1_3genE0ELNS1_11target_archE4294967295ELNS1_3gpuE0ELNS1_3repE0EEENS1_30default_config_static_selectorELNS0_4arch9wavefront6targetE1EEEvT1_,comdat
	.globl	_ZN7rocprim17ROCPRIM_400000_NS6detail17trampoline_kernelINS0_14default_configENS1_25partition_config_selectorILNS1_17partition_subalgoE8ElNS0_10empty_typeEbEEZZNS1_14partition_implILS5_8ELb0ES3_jPlPS6_PKS6_NS0_5tupleIJS9_S6_EEENSD_IJSA_SA_EEENS0_18inequality_wrapperIZN2at6native12_GLOBAL__N_124unique_dim_cuda_templateIsEESt5tupleIJNSH_6TensorESM_SM_EERKSM_lbbbEUlllE0_EEPmJS6_EEE10hipError_tPvRmT3_T4_T5_T6_T7_T9_mT8_P12ihipStream_tbDpT10_ENKUlT_T0_E_clISt17integral_constantIbLb1EES1B_IbLb0EEEEDaS17_S18_EUlS17_E_NS1_11comp_targetILNS1_3genE0ELNS1_11target_archE4294967295ELNS1_3gpuE0ELNS1_3repE0EEENS1_30default_config_static_selectorELNS0_4arch9wavefront6targetE1EEEvT1_ ; -- Begin function _ZN7rocprim17ROCPRIM_400000_NS6detail17trampoline_kernelINS0_14default_configENS1_25partition_config_selectorILNS1_17partition_subalgoE8ElNS0_10empty_typeEbEEZZNS1_14partition_implILS5_8ELb0ES3_jPlPS6_PKS6_NS0_5tupleIJS9_S6_EEENSD_IJSA_SA_EEENS0_18inequality_wrapperIZN2at6native12_GLOBAL__N_124unique_dim_cuda_templateIsEESt5tupleIJNSH_6TensorESM_SM_EERKSM_lbbbEUlllE0_EEPmJS6_EEE10hipError_tPvRmT3_T4_T5_T6_T7_T9_mT8_P12ihipStream_tbDpT10_ENKUlT_T0_E_clISt17integral_constantIbLb1EES1B_IbLb0EEEEDaS17_S18_EUlS17_E_NS1_11comp_targetILNS1_3genE0ELNS1_11target_archE4294967295ELNS1_3gpuE0ELNS1_3repE0EEENS1_30default_config_static_selectorELNS0_4arch9wavefront6targetE1EEEvT1_
	.p2align	8
	.type	_ZN7rocprim17ROCPRIM_400000_NS6detail17trampoline_kernelINS0_14default_configENS1_25partition_config_selectorILNS1_17partition_subalgoE8ElNS0_10empty_typeEbEEZZNS1_14partition_implILS5_8ELb0ES3_jPlPS6_PKS6_NS0_5tupleIJS9_S6_EEENSD_IJSA_SA_EEENS0_18inequality_wrapperIZN2at6native12_GLOBAL__N_124unique_dim_cuda_templateIsEESt5tupleIJNSH_6TensorESM_SM_EERKSM_lbbbEUlllE0_EEPmJS6_EEE10hipError_tPvRmT3_T4_T5_T6_T7_T9_mT8_P12ihipStream_tbDpT10_ENKUlT_T0_E_clISt17integral_constantIbLb1EES1B_IbLb0EEEEDaS17_S18_EUlS17_E_NS1_11comp_targetILNS1_3genE0ELNS1_11target_archE4294967295ELNS1_3gpuE0ELNS1_3repE0EEENS1_30default_config_static_selectorELNS0_4arch9wavefront6targetE1EEEvT1_,@function
_ZN7rocprim17ROCPRIM_400000_NS6detail17trampoline_kernelINS0_14default_configENS1_25partition_config_selectorILNS1_17partition_subalgoE8ElNS0_10empty_typeEbEEZZNS1_14partition_implILS5_8ELb0ES3_jPlPS6_PKS6_NS0_5tupleIJS9_S6_EEENSD_IJSA_SA_EEENS0_18inequality_wrapperIZN2at6native12_GLOBAL__N_124unique_dim_cuda_templateIsEESt5tupleIJNSH_6TensorESM_SM_EERKSM_lbbbEUlllE0_EEPmJS6_EEE10hipError_tPvRmT3_T4_T5_T6_T7_T9_mT8_P12ihipStream_tbDpT10_ENKUlT_T0_E_clISt17integral_constantIbLb1EES1B_IbLb0EEEEDaS17_S18_EUlS17_E_NS1_11comp_targetILNS1_3genE0ELNS1_11target_archE4294967295ELNS1_3gpuE0ELNS1_3repE0EEENS1_30default_config_static_selectorELNS0_4arch9wavefront6targetE1EEEvT1_: ; @_ZN7rocprim17ROCPRIM_400000_NS6detail17trampoline_kernelINS0_14default_configENS1_25partition_config_selectorILNS1_17partition_subalgoE8ElNS0_10empty_typeEbEEZZNS1_14partition_implILS5_8ELb0ES3_jPlPS6_PKS6_NS0_5tupleIJS9_S6_EEENSD_IJSA_SA_EEENS0_18inequality_wrapperIZN2at6native12_GLOBAL__N_124unique_dim_cuda_templateIsEESt5tupleIJNSH_6TensorESM_SM_EERKSM_lbbbEUlllE0_EEPmJS6_EEE10hipError_tPvRmT3_T4_T5_T6_T7_T9_mT8_P12ihipStream_tbDpT10_ENKUlT_T0_E_clISt17integral_constantIbLb1EES1B_IbLb0EEEEDaS17_S18_EUlS17_E_NS1_11comp_targetILNS1_3genE0ELNS1_11target_archE4294967295ELNS1_3gpuE0ELNS1_3repE0EEENS1_30default_config_static_selectorELNS0_4arch9wavefront6targetE1EEEvT1_
; %bb.0:
	.section	.rodata,"a",@progbits
	.p2align	6, 0x0
	.amdhsa_kernel _ZN7rocprim17ROCPRIM_400000_NS6detail17trampoline_kernelINS0_14default_configENS1_25partition_config_selectorILNS1_17partition_subalgoE8ElNS0_10empty_typeEbEEZZNS1_14partition_implILS5_8ELb0ES3_jPlPS6_PKS6_NS0_5tupleIJS9_S6_EEENSD_IJSA_SA_EEENS0_18inequality_wrapperIZN2at6native12_GLOBAL__N_124unique_dim_cuda_templateIsEESt5tupleIJNSH_6TensorESM_SM_EERKSM_lbbbEUlllE0_EEPmJS6_EEE10hipError_tPvRmT3_T4_T5_T6_T7_T9_mT8_P12ihipStream_tbDpT10_ENKUlT_T0_E_clISt17integral_constantIbLb1EES1B_IbLb0EEEEDaS17_S18_EUlS17_E_NS1_11comp_targetILNS1_3genE0ELNS1_11target_archE4294967295ELNS1_3gpuE0ELNS1_3repE0EEENS1_30default_config_static_selectorELNS0_4arch9wavefront6targetE1EEEvT1_
		.amdhsa_group_segment_fixed_size 0
		.amdhsa_private_segment_fixed_size 0
		.amdhsa_kernarg_size 120
		.amdhsa_user_sgpr_count 2
		.amdhsa_user_sgpr_dispatch_ptr 0
		.amdhsa_user_sgpr_queue_ptr 0
		.amdhsa_user_sgpr_kernarg_segment_ptr 1
		.amdhsa_user_sgpr_dispatch_id 0
		.amdhsa_user_sgpr_kernarg_preload_length 0
		.amdhsa_user_sgpr_kernarg_preload_offset 0
		.amdhsa_user_sgpr_private_segment_size 0
		.amdhsa_uses_dynamic_stack 0
		.amdhsa_enable_private_segment 0
		.amdhsa_system_sgpr_workgroup_id_x 1
		.amdhsa_system_sgpr_workgroup_id_y 0
		.amdhsa_system_sgpr_workgroup_id_z 0
		.amdhsa_system_sgpr_workgroup_info 0
		.amdhsa_system_vgpr_workitem_id 0
		.amdhsa_next_free_vgpr 1
		.amdhsa_next_free_sgpr 0
		.amdhsa_accum_offset 4
		.amdhsa_reserve_vcc 0
		.amdhsa_float_round_mode_32 0
		.amdhsa_float_round_mode_16_64 0
		.amdhsa_float_denorm_mode_32 3
		.amdhsa_float_denorm_mode_16_64 3
		.amdhsa_dx10_clamp 1
		.amdhsa_ieee_mode 1
		.amdhsa_fp16_overflow 0
		.amdhsa_tg_split 0
		.amdhsa_exception_fp_ieee_invalid_op 0
		.amdhsa_exception_fp_denorm_src 0
		.amdhsa_exception_fp_ieee_div_zero 0
		.amdhsa_exception_fp_ieee_overflow 0
		.amdhsa_exception_fp_ieee_underflow 0
		.amdhsa_exception_fp_ieee_inexact 0
		.amdhsa_exception_int_div_zero 0
	.end_amdhsa_kernel
	.section	.text._ZN7rocprim17ROCPRIM_400000_NS6detail17trampoline_kernelINS0_14default_configENS1_25partition_config_selectorILNS1_17partition_subalgoE8ElNS0_10empty_typeEbEEZZNS1_14partition_implILS5_8ELb0ES3_jPlPS6_PKS6_NS0_5tupleIJS9_S6_EEENSD_IJSA_SA_EEENS0_18inequality_wrapperIZN2at6native12_GLOBAL__N_124unique_dim_cuda_templateIsEESt5tupleIJNSH_6TensorESM_SM_EERKSM_lbbbEUlllE0_EEPmJS6_EEE10hipError_tPvRmT3_T4_T5_T6_T7_T9_mT8_P12ihipStream_tbDpT10_ENKUlT_T0_E_clISt17integral_constantIbLb1EES1B_IbLb0EEEEDaS17_S18_EUlS17_E_NS1_11comp_targetILNS1_3genE0ELNS1_11target_archE4294967295ELNS1_3gpuE0ELNS1_3repE0EEENS1_30default_config_static_selectorELNS0_4arch9wavefront6targetE1EEEvT1_,"axG",@progbits,_ZN7rocprim17ROCPRIM_400000_NS6detail17trampoline_kernelINS0_14default_configENS1_25partition_config_selectorILNS1_17partition_subalgoE8ElNS0_10empty_typeEbEEZZNS1_14partition_implILS5_8ELb0ES3_jPlPS6_PKS6_NS0_5tupleIJS9_S6_EEENSD_IJSA_SA_EEENS0_18inequality_wrapperIZN2at6native12_GLOBAL__N_124unique_dim_cuda_templateIsEESt5tupleIJNSH_6TensorESM_SM_EERKSM_lbbbEUlllE0_EEPmJS6_EEE10hipError_tPvRmT3_T4_T5_T6_T7_T9_mT8_P12ihipStream_tbDpT10_ENKUlT_T0_E_clISt17integral_constantIbLb1EES1B_IbLb0EEEEDaS17_S18_EUlS17_E_NS1_11comp_targetILNS1_3genE0ELNS1_11target_archE4294967295ELNS1_3gpuE0ELNS1_3repE0EEENS1_30default_config_static_selectorELNS0_4arch9wavefront6targetE1EEEvT1_,comdat
.Lfunc_end706:
	.size	_ZN7rocprim17ROCPRIM_400000_NS6detail17trampoline_kernelINS0_14default_configENS1_25partition_config_selectorILNS1_17partition_subalgoE8ElNS0_10empty_typeEbEEZZNS1_14partition_implILS5_8ELb0ES3_jPlPS6_PKS6_NS0_5tupleIJS9_S6_EEENSD_IJSA_SA_EEENS0_18inequality_wrapperIZN2at6native12_GLOBAL__N_124unique_dim_cuda_templateIsEESt5tupleIJNSH_6TensorESM_SM_EERKSM_lbbbEUlllE0_EEPmJS6_EEE10hipError_tPvRmT3_T4_T5_T6_T7_T9_mT8_P12ihipStream_tbDpT10_ENKUlT_T0_E_clISt17integral_constantIbLb1EES1B_IbLb0EEEEDaS17_S18_EUlS17_E_NS1_11comp_targetILNS1_3genE0ELNS1_11target_archE4294967295ELNS1_3gpuE0ELNS1_3repE0EEENS1_30default_config_static_selectorELNS0_4arch9wavefront6targetE1EEEvT1_, .Lfunc_end706-_ZN7rocprim17ROCPRIM_400000_NS6detail17trampoline_kernelINS0_14default_configENS1_25partition_config_selectorILNS1_17partition_subalgoE8ElNS0_10empty_typeEbEEZZNS1_14partition_implILS5_8ELb0ES3_jPlPS6_PKS6_NS0_5tupleIJS9_S6_EEENSD_IJSA_SA_EEENS0_18inequality_wrapperIZN2at6native12_GLOBAL__N_124unique_dim_cuda_templateIsEESt5tupleIJNSH_6TensorESM_SM_EERKSM_lbbbEUlllE0_EEPmJS6_EEE10hipError_tPvRmT3_T4_T5_T6_T7_T9_mT8_P12ihipStream_tbDpT10_ENKUlT_T0_E_clISt17integral_constantIbLb1EES1B_IbLb0EEEEDaS17_S18_EUlS17_E_NS1_11comp_targetILNS1_3genE0ELNS1_11target_archE4294967295ELNS1_3gpuE0ELNS1_3repE0EEENS1_30default_config_static_selectorELNS0_4arch9wavefront6targetE1EEEvT1_
                                        ; -- End function
	.section	.AMDGPU.csdata,"",@progbits
; Kernel info:
; codeLenInByte = 0
; NumSgprs: 6
; NumVgprs: 0
; NumAgprs: 0
; TotalNumVgprs: 0
; ScratchSize: 0
; MemoryBound: 0
; FloatMode: 240
; IeeeMode: 1
; LDSByteSize: 0 bytes/workgroup (compile time only)
; SGPRBlocks: 0
; VGPRBlocks: 0
; NumSGPRsForWavesPerEU: 6
; NumVGPRsForWavesPerEU: 1
; AccumOffset: 4
; Occupancy: 8
; WaveLimiterHint : 0
; COMPUTE_PGM_RSRC2:SCRATCH_EN: 0
; COMPUTE_PGM_RSRC2:USER_SGPR: 2
; COMPUTE_PGM_RSRC2:TRAP_HANDLER: 0
; COMPUTE_PGM_RSRC2:TGID_X_EN: 1
; COMPUTE_PGM_RSRC2:TGID_Y_EN: 0
; COMPUTE_PGM_RSRC2:TGID_Z_EN: 0
; COMPUTE_PGM_RSRC2:TIDIG_COMP_CNT: 0
; COMPUTE_PGM_RSRC3_GFX90A:ACCUM_OFFSET: 0
; COMPUTE_PGM_RSRC3_GFX90A:TG_SPLIT: 0
	.section	.text._ZN7rocprim17ROCPRIM_400000_NS6detail17trampoline_kernelINS0_14default_configENS1_25partition_config_selectorILNS1_17partition_subalgoE8ElNS0_10empty_typeEbEEZZNS1_14partition_implILS5_8ELb0ES3_jPlPS6_PKS6_NS0_5tupleIJS9_S6_EEENSD_IJSA_SA_EEENS0_18inequality_wrapperIZN2at6native12_GLOBAL__N_124unique_dim_cuda_templateIsEESt5tupleIJNSH_6TensorESM_SM_EERKSM_lbbbEUlllE0_EEPmJS6_EEE10hipError_tPvRmT3_T4_T5_T6_T7_T9_mT8_P12ihipStream_tbDpT10_ENKUlT_T0_E_clISt17integral_constantIbLb1EES1B_IbLb0EEEEDaS17_S18_EUlS17_E_NS1_11comp_targetILNS1_3genE5ELNS1_11target_archE942ELNS1_3gpuE9ELNS1_3repE0EEENS1_30default_config_static_selectorELNS0_4arch9wavefront6targetE1EEEvT1_,"axG",@progbits,_ZN7rocprim17ROCPRIM_400000_NS6detail17trampoline_kernelINS0_14default_configENS1_25partition_config_selectorILNS1_17partition_subalgoE8ElNS0_10empty_typeEbEEZZNS1_14partition_implILS5_8ELb0ES3_jPlPS6_PKS6_NS0_5tupleIJS9_S6_EEENSD_IJSA_SA_EEENS0_18inequality_wrapperIZN2at6native12_GLOBAL__N_124unique_dim_cuda_templateIsEESt5tupleIJNSH_6TensorESM_SM_EERKSM_lbbbEUlllE0_EEPmJS6_EEE10hipError_tPvRmT3_T4_T5_T6_T7_T9_mT8_P12ihipStream_tbDpT10_ENKUlT_T0_E_clISt17integral_constantIbLb1EES1B_IbLb0EEEEDaS17_S18_EUlS17_E_NS1_11comp_targetILNS1_3genE5ELNS1_11target_archE942ELNS1_3gpuE9ELNS1_3repE0EEENS1_30default_config_static_selectorELNS0_4arch9wavefront6targetE1EEEvT1_,comdat
	.globl	_ZN7rocprim17ROCPRIM_400000_NS6detail17trampoline_kernelINS0_14default_configENS1_25partition_config_selectorILNS1_17partition_subalgoE8ElNS0_10empty_typeEbEEZZNS1_14partition_implILS5_8ELb0ES3_jPlPS6_PKS6_NS0_5tupleIJS9_S6_EEENSD_IJSA_SA_EEENS0_18inequality_wrapperIZN2at6native12_GLOBAL__N_124unique_dim_cuda_templateIsEESt5tupleIJNSH_6TensorESM_SM_EERKSM_lbbbEUlllE0_EEPmJS6_EEE10hipError_tPvRmT3_T4_T5_T6_T7_T9_mT8_P12ihipStream_tbDpT10_ENKUlT_T0_E_clISt17integral_constantIbLb1EES1B_IbLb0EEEEDaS17_S18_EUlS17_E_NS1_11comp_targetILNS1_3genE5ELNS1_11target_archE942ELNS1_3gpuE9ELNS1_3repE0EEENS1_30default_config_static_selectorELNS0_4arch9wavefront6targetE1EEEvT1_ ; -- Begin function _ZN7rocprim17ROCPRIM_400000_NS6detail17trampoline_kernelINS0_14default_configENS1_25partition_config_selectorILNS1_17partition_subalgoE8ElNS0_10empty_typeEbEEZZNS1_14partition_implILS5_8ELb0ES3_jPlPS6_PKS6_NS0_5tupleIJS9_S6_EEENSD_IJSA_SA_EEENS0_18inequality_wrapperIZN2at6native12_GLOBAL__N_124unique_dim_cuda_templateIsEESt5tupleIJNSH_6TensorESM_SM_EERKSM_lbbbEUlllE0_EEPmJS6_EEE10hipError_tPvRmT3_T4_T5_T6_T7_T9_mT8_P12ihipStream_tbDpT10_ENKUlT_T0_E_clISt17integral_constantIbLb1EES1B_IbLb0EEEEDaS17_S18_EUlS17_E_NS1_11comp_targetILNS1_3genE5ELNS1_11target_archE942ELNS1_3gpuE9ELNS1_3repE0EEENS1_30default_config_static_selectorELNS0_4arch9wavefront6targetE1EEEvT1_
	.p2align	8
	.type	_ZN7rocprim17ROCPRIM_400000_NS6detail17trampoline_kernelINS0_14default_configENS1_25partition_config_selectorILNS1_17partition_subalgoE8ElNS0_10empty_typeEbEEZZNS1_14partition_implILS5_8ELb0ES3_jPlPS6_PKS6_NS0_5tupleIJS9_S6_EEENSD_IJSA_SA_EEENS0_18inequality_wrapperIZN2at6native12_GLOBAL__N_124unique_dim_cuda_templateIsEESt5tupleIJNSH_6TensorESM_SM_EERKSM_lbbbEUlllE0_EEPmJS6_EEE10hipError_tPvRmT3_T4_T5_T6_T7_T9_mT8_P12ihipStream_tbDpT10_ENKUlT_T0_E_clISt17integral_constantIbLb1EES1B_IbLb0EEEEDaS17_S18_EUlS17_E_NS1_11comp_targetILNS1_3genE5ELNS1_11target_archE942ELNS1_3gpuE9ELNS1_3repE0EEENS1_30default_config_static_selectorELNS0_4arch9wavefront6targetE1EEEvT1_,@function
_ZN7rocprim17ROCPRIM_400000_NS6detail17trampoline_kernelINS0_14default_configENS1_25partition_config_selectorILNS1_17partition_subalgoE8ElNS0_10empty_typeEbEEZZNS1_14partition_implILS5_8ELb0ES3_jPlPS6_PKS6_NS0_5tupleIJS9_S6_EEENSD_IJSA_SA_EEENS0_18inequality_wrapperIZN2at6native12_GLOBAL__N_124unique_dim_cuda_templateIsEESt5tupleIJNSH_6TensorESM_SM_EERKSM_lbbbEUlllE0_EEPmJS6_EEE10hipError_tPvRmT3_T4_T5_T6_T7_T9_mT8_P12ihipStream_tbDpT10_ENKUlT_T0_E_clISt17integral_constantIbLb1EES1B_IbLb0EEEEDaS17_S18_EUlS17_E_NS1_11comp_targetILNS1_3genE5ELNS1_11target_archE942ELNS1_3gpuE9ELNS1_3repE0EEENS1_30default_config_static_selectorELNS0_4arch9wavefront6targetE1EEEvT1_: ; @_ZN7rocprim17ROCPRIM_400000_NS6detail17trampoline_kernelINS0_14default_configENS1_25partition_config_selectorILNS1_17partition_subalgoE8ElNS0_10empty_typeEbEEZZNS1_14partition_implILS5_8ELb0ES3_jPlPS6_PKS6_NS0_5tupleIJS9_S6_EEENSD_IJSA_SA_EEENS0_18inequality_wrapperIZN2at6native12_GLOBAL__N_124unique_dim_cuda_templateIsEESt5tupleIJNSH_6TensorESM_SM_EERKSM_lbbbEUlllE0_EEPmJS6_EEE10hipError_tPvRmT3_T4_T5_T6_T7_T9_mT8_P12ihipStream_tbDpT10_ENKUlT_T0_E_clISt17integral_constantIbLb1EES1B_IbLb0EEEEDaS17_S18_EUlS17_E_NS1_11comp_targetILNS1_3genE5ELNS1_11target_archE942ELNS1_3gpuE9ELNS1_3repE0EEENS1_30default_config_static_selectorELNS0_4arch9wavefront6targetE1EEEvT1_
; %bb.0:
	s_load_dwordx8 s[20:27], s[0:1], 0x40
	s_load_dwordx4 s[4:7], s[0:1], 0x8
	s_load_dwordx4 s[28:31], s[0:1], 0x60
	s_load_dword s3, s[0:1], 0x70
	s_waitcnt lgkmcnt(0)
	v_mov_b32_e32 v2, s24
	s_lshl_b64 s[8:9], s[6:7], 3
	s_add_u32 s12, s4, s8
	s_mul_i32 s8, s3, 0xe00
	s_addc_u32 s13, s5, s9
	s_add_i32 s10, s3, -1
	s_add_i32 s3, s8, s6
	s_sub_i32 s3, s24, s3
	s_add_u32 s8, s6, s8
	s_addc_u32 s9, s7, 0
	v_mov_b32_e32 v3, s25
	s_cmp_eq_u32 s2, s10
	s_load_dwordx2 s[22:23], s[22:23], 0x0
	v_cmp_ge_u64_e32 vcc, s[8:9], v[2:3]
	s_cselect_b64 s[24:25], -1, 0
	s_mul_i32 s4, s2, 0xe00
	s_mov_b32 s5, 0
	s_and_b64 s[8:9], s[24:25], vcc
	s_xor_b64 s[34:35], s[8:9], -1
	s_lshl_b64 s[4:5], s[4:5], 3
	s_add_u32 s4, s12, s4
	s_mov_b64 s[10:11], -1
	s_addc_u32 s5, s13, s5
	s_and_b64 vcc, exec, s[34:35]
	s_cbranch_vccz .LBB707_2
; %bb.1:
	v_lshlrev_b32_e32 v2, 3, v0
	v_mov_b32_e32 v3, 0
	v_lshl_add_u64 v[4:5], s[4:5], 0, v[2:3]
	v_add_co_u32_e32 v8, vcc, 0x1000, v4
	global_load_dwordx2 v[6:7], v2, s[4:5]
	s_nop 0
	v_addc_co_u32_e32 v9, vcc, 0, v5, vcc
	v_add_co_u32_e32 v10, vcc, 0x2000, v4
	s_mov_b64 s[10:11], 0
	s_nop 0
	v_addc_co_u32_e32 v11, vcc, 0, v5, vcc
	v_add_co_u32_e32 v12, vcc, 0x3000, v4
	s_nop 1
	v_addc_co_u32_e32 v13, vcc, 0, v5, vcc
	v_add_co_u32_e32 v14, vcc, 0x4000, v4
	s_nop 1
	v_addc_co_u32_e32 v15, vcc, 0, v5, vcc
	global_load_dwordx2 v[16:17], v[8:9], off
	global_load_dwordx2 v[18:19], v[10:11], off
	;; [unrolled: 1-line block ×4, first 2 shown]
	v_add_co_u32_e32 v8, vcc, 0x5000, v4
	s_nop 1
	v_addc_co_u32_e32 v9, vcc, 0, v5, vcc
	v_add_co_u32_e32 v4, vcc, 0x6000, v4
	global_load_dwordx2 v[8:9], v[8:9], off
	s_nop 0
	v_addc_co_u32_e32 v5, vcc, 0, v5, vcc
	global_load_dwordx2 v[4:5], v[4:5], off
	s_waitcnt vmcnt(5)
	ds_write2st64_b64 v2, v[6:7], v[16:17] offset1:8
	s_waitcnt vmcnt(3)
	ds_write2st64_b64 v2, v[18:19], v[20:21] offset0:16 offset1:24
	s_waitcnt vmcnt(1)
	ds_write2st64_b64 v2, v[22:23], v[8:9] offset0:32 offset1:40
	s_waitcnt vmcnt(0)
	ds_write_b64 v2, v[4:5] offset:24576
	s_waitcnt lgkmcnt(0)
	s_barrier
.LBB707_2:
	s_andn2_b64 vcc, exec, s[10:11]
	s_addk_i32 s3, 0xe00
	s_cbranch_vccnz .LBB707_18
; %bb.3:
	v_cmp_gt_u32_e32 vcc, s3, v0
                                        ; implicit-def: $vgpr2_vgpr3_vgpr4_vgpr5_vgpr6_vgpr7_vgpr8_vgpr9_vgpr10_vgpr11_vgpr12_vgpr13_vgpr14_vgpr15_vgpr16_vgpr17
	s_and_saveexec_b64 s[10:11], vcc
	s_cbranch_execz .LBB707_5
; %bb.4:
	v_lshlrev_b32_e32 v1, 3, v0
	global_load_dwordx2 v[2:3], v1, s[4:5]
.LBB707_5:
	s_or_b64 exec, exec, s[10:11]
	v_or_b32_e32 v1, 0x200, v0
	v_cmp_gt_u32_e32 vcc, s3, v1
	s_and_saveexec_b64 s[10:11], vcc
	s_cbranch_execz .LBB707_7
; %bb.6:
	v_lshlrev_b32_e32 v1, 3, v1
	global_load_dwordx2 v[4:5], v1, s[4:5]
.LBB707_7:
	s_or_b64 exec, exec, s[10:11]
	v_or_b32_e32 v1, 0x400, v0
	v_cmp_gt_u32_e32 vcc, s3, v1
	;; [unrolled: 9-line block ×6, first 2 shown]
	s_and_saveexec_b64 s[10:11], vcc
	s_cbranch_execz .LBB707_17
; %bb.16:
	v_lshlrev_b32_e32 v1, 3, v1
	global_load_dwordx2 v[14:15], v1, s[4:5]
.LBB707_17:
	s_or_b64 exec, exec, s[10:11]
	v_lshlrev_b32_e32 v1, 3, v0
	s_waitcnt vmcnt(0)
	ds_write2st64_b64 v1, v[2:3], v[4:5] offset1:8
	ds_write2st64_b64 v1, v[6:7], v[8:9] offset0:16 offset1:24
	ds_write2st64_b64 v1, v[10:11], v[12:13] offset0:32 offset1:40
	ds_write_b64 v1, v[14:15] offset:24576
	s_waitcnt lgkmcnt(0)
	s_barrier
.LBB707_18:
	v_mul_u32_u24_e32 v1, 7, v0
	v_lshlrev_b32_e32 v30, 3, v1
	s_waitcnt lgkmcnt(0)
	ds_read2_b64 v[10:13], v30 offset1:1
	ds_read2_b64 v[6:9], v30 offset0:2 offset1:3
	ds_read2_b64 v[2:5], v30 offset0:4 offset1:5
	ds_read_b64 v[14:15], v30 offset:48
	s_cmp_lg_u32 s2, 0
	s_cselect_b64 s[16:17], -1, 0
	s_cmp_lg_u64 s[6:7], 0
	s_cselect_b64 s[6:7], -1, 0
	s_or_b64 s[6:7], s[16:17], s[6:7]
	v_mad_u32_u24 v25, v0, 7, 1
	v_mad_u32_u24 v24, v0, 7, 2
	;; [unrolled: 1-line block ×6, first 2 shown]
	s_mov_b64 s[10:11], 0
	s_and_b64 vcc, exec, s[6:7]
	v_cmp_gt_i64_e64 s[12:13], s[26:27], 0
	s_waitcnt lgkmcnt(0)
	s_barrier
	s_cbranch_vccz .LBB707_27
; %bb.19:
	s_add_u32 s4, s4, -8
	s_addc_u32 s5, s5, -1
	s_load_dwordx2 s[6:7], s[4:5], 0x0
	v_cndmask_b32_e64 v16, 0, 1, s[12:13]
	v_lshlrev_b32_e32 v31, 3, v0
	s_and_b64 vcc, exec, s[34:35]
	v_cmp_ne_u32_e64 s[4:5], 1, v16
	ds_write_b64 v31, v[14:15]
	s_cbranch_vccz .LBB707_29
; %bb.20:
	v_mul_lo_u32 v18, v5, s26
	v_mul_lo_u32 v19, v4, s27
	v_mad_u64_u32 v[16:17], s[12:13], v4, s26, 0
	v_add3_u32 v17, v17, v19, v18
	s_and_b64 vcc, exec, s[4:5]
	v_lshl_add_u64 v[16:17], v[16:17], 1, s[28:29]
	s_cbranch_vccnz .LBB707_32
; %bb.21:
	v_mul_lo_u32 v20, v15, s26
	v_mul_lo_u32 v21, v14, s27
	v_mad_u64_u32 v[18:19], s[10:11], v14, s26, 0
	v_add3_u32 v19, v19, v21, v20
	v_lshl_add_u64 v[18:19], v[18:19], 1, s[28:29]
	global_load_ushort v20, v[16:17], off
	global_load_ushort v21, v[18:19], off
	s_mov_b64 s[10:11], -1
	s_waitcnt vmcnt(0)
	v_cmp_eq_u16_e32 vcc, v20, v21
	s_and_saveexec_b64 s[12:13], vcc
	s_cbranch_execz .LBB707_31
; %bb.22:
	s_add_u32 s10, s26, -1
	v_lshl_add_u64 v[18:19], v[18:19], 0, 2
	v_lshl_add_u64 v[20:21], v[16:17], 0, 2
	s_addc_u32 s11, s27, -1
	s_mov_b64 s[14:15], 0
	s_mov_b64 s[36:37], 0
                                        ; implicit-def: $sgpr18_sgpr19
	s_branch .LBB707_25
.LBB707_23:                             ;   in Loop: Header=BB707_25 Depth=1
	global_load_ushort v22, v[20:21], off
	global_load_ushort v23, v[18:19], off
	s_add_u32 s36, s36, 1
	s_addc_u32 s37, s37, 0
	s_andn2_b64 s[18:19], s[18:19], exec
	v_lshl_add_u64 v[18:19], v[18:19], 0, 2
	v_lshl_add_u64 v[20:21], v[20:21], 0, 2
	s_waitcnt vmcnt(0)
	v_cmp_ne_u16_e32 vcc, v22, v23
	s_and_b64 s[38:39], vcc, exec
	s_or_b64 s[18:19], s[18:19], s[38:39]
.LBB707_24:                             ;   in Loop: Header=BB707_25 Depth=1
	s_and_b64 s[38:39], exec, s[18:19]
	s_or_b64 s[14:15], s[38:39], s[14:15]
	v_mov_b64_e32 v[22:23], s[36:37]
	s_andn2_b64 exec, exec, s[14:15]
	s_cbranch_execz .LBB707_30
.LBB707_25:                             ; =>This Inner Loop Header: Depth=1
	s_or_b64 s[18:19], s[18:19], exec
	s_cmp_eq_u64 s[10:11], s[36:37]
	s_cbranch_scc0 .LBB707_23
; %bb.26:                               ;   in Loop: Header=BB707_25 Depth=1
                                        ; implicit-def: $vgpr18_vgpr19
                                        ; implicit-def: $vgpr20_vgpr21
	s_mov_b64 s[36:37], s[26:27]
	s_branch .LBB707_24
.LBB707_27:
                                        ; implicit-def: $sgpr18_sgpr19
                                        ; implicit-def: $vgpr34
                                        ; implicit-def: $vgpr33
                                        ; implicit-def: $vgpr32
                                        ; implicit-def: $vgpr20
	s_branch .LBB707_170
.LBB707_28:
                                        ; implicit-def: $vgpr16_vgpr17
	s_branch .LBB707_318
.LBB707_29:
                                        ; implicit-def: $sgpr18_sgpr19
                                        ; implicit-def: $vgpr34
                                        ; implicit-def: $vgpr33
                                        ; implicit-def: $vgpr32
                                        ; implicit-def: $vgpr20
	s_cbranch_execnz .LBB707_89
	s_branch .LBB707_169
.LBB707_30:
	s_or_b64 exec, exec, s[14:15]
	v_cmp_gt_i64_e32 vcc, s[26:27], v[22:23]
	s_orn2_b64 s[10:11], vcc, exec
.LBB707_31:
	s_or_b64 exec, exec, s[12:13]
.LBB707_32:
	v_mul_lo_u32 v20, v3, s26
	v_mul_lo_u32 v21, v2, s27
	v_mad_u64_u32 v[18:19], s[12:13], v2, s26, 0
	v_add3_u32 v19, v19, v21, v20
	s_mov_b64 s[12:13], 0
	s_and_b64 vcc, exec, s[4:5]
	v_lshl_add_u64 v[18:19], v[18:19], 1, s[28:29]
	s_mov_b64 s[14:15], 0
	s_cbranch_vccnz .LBB707_41
; %bb.33:
	global_load_ushort v20, v[18:19], off
	global_load_ushort v21, v[16:17], off
	s_mov_b64 s[14:15], -1
	s_waitcnt vmcnt(0)
	v_cmp_eq_u16_e32 vcc, v20, v21
	s_and_saveexec_b64 s[18:19], vcc
	s_cbranch_execz .LBB707_40
; %bb.34:
	s_add_u32 s14, s26, -1
	v_lshl_add_u64 v[16:17], v[16:17], 0, 2
	v_lshl_add_u64 v[20:21], v[18:19], 0, 2
	s_addc_u32 s15, s27, -1
	s_mov_b64 s[36:37], 0
	s_mov_b64 s[40:41], 0
                                        ; implicit-def: $sgpr38_sgpr39
	s_branch .LBB707_37
.LBB707_35:                             ;   in Loop: Header=BB707_37 Depth=1
	global_load_ushort v22, v[20:21], off
	global_load_ushort v23, v[16:17], off
	s_add_u32 s40, s40, 1
	s_addc_u32 s41, s41, 0
	s_andn2_b64 s[38:39], s[38:39], exec
	v_lshl_add_u64 v[16:17], v[16:17], 0, 2
	v_lshl_add_u64 v[20:21], v[20:21], 0, 2
	s_waitcnt vmcnt(0)
	v_cmp_ne_u16_e32 vcc, v22, v23
	s_and_b64 s[42:43], vcc, exec
	s_or_b64 s[38:39], s[38:39], s[42:43]
.LBB707_36:                             ;   in Loop: Header=BB707_37 Depth=1
	s_and_b64 s[42:43], exec, s[38:39]
	s_or_b64 s[36:37], s[42:43], s[36:37]
	v_mov_b64_e32 v[22:23], s[40:41]
	s_andn2_b64 exec, exec, s[36:37]
	s_cbranch_execz .LBB707_39
.LBB707_37:                             ; =>This Inner Loop Header: Depth=1
	s_or_b64 s[38:39], s[38:39], exec
	s_cmp_eq_u64 s[14:15], s[40:41]
	s_cbranch_scc0 .LBB707_35
; %bb.38:                               ;   in Loop: Header=BB707_37 Depth=1
                                        ; implicit-def: $vgpr16_vgpr17
                                        ; implicit-def: $vgpr20_vgpr21
	s_mov_b64 s[40:41], s[26:27]
	s_branch .LBB707_36
.LBB707_39:
	s_or_b64 exec, exec, s[36:37]
	v_cmp_gt_i64_e32 vcc, s[26:27], v[22:23]
	s_orn2_b64 s[14:15], vcc, exec
.LBB707_40:
	s_or_b64 exec, exec, s[18:19]
.LBB707_41:
	v_mul_lo_u32 v20, v9, s26
	v_mul_lo_u32 v21, v8, s27
	v_mad_u64_u32 v[16:17], s[18:19], v8, s26, 0
	v_add3_u32 v17, v17, v21, v20
	s_and_b64 vcc, exec, s[4:5]
	v_lshl_add_u64 v[16:17], v[16:17], 1, s[28:29]
	s_cbranch_vccnz .LBB707_50
; %bb.42:
	global_load_ushort v20, v[16:17], off
	global_load_ushort v21, v[18:19], off
	s_mov_b64 s[12:13], -1
	s_waitcnt vmcnt(0)
	v_cmp_eq_u16_e32 vcc, v20, v21
	s_and_saveexec_b64 s[18:19], vcc
	s_cbranch_execz .LBB707_49
; %bb.43:
	s_add_u32 s12, s26, -1
	v_lshl_add_u64 v[18:19], v[18:19], 0, 2
	v_lshl_add_u64 v[20:21], v[16:17], 0, 2
	s_addc_u32 s13, s27, -1
	s_mov_b64 s[36:37], 0
	s_mov_b64 s[40:41], 0
                                        ; implicit-def: $sgpr38_sgpr39
	s_branch .LBB707_46
.LBB707_44:                             ;   in Loop: Header=BB707_46 Depth=1
	global_load_ushort v22, v[20:21], off
	global_load_ushort v23, v[18:19], off
	s_add_u32 s40, s40, 1
	s_addc_u32 s41, s41, 0
	s_andn2_b64 s[38:39], s[38:39], exec
	v_lshl_add_u64 v[18:19], v[18:19], 0, 2
	v_lshl_add_u64 v[20:21], v[20:21], 0, 2
	s_waitcnt vmcnt(0)
	v_cmp_ne_u16_e32 vcc, v22, v23
	s_and_b64 s[42:43], vcc, exec
	s_or_b64 s[38:39], s[38:39], s[42:43]
.LBB707_45:                             ;   in Loop: Header=BB707_46 Depth=1
	s_and_b64 s[42:43], exec, s[38:39]
	s_or_b64 s[36:37], s[42:43], s[36:37]
	v_mov_b64_e32 v[22:23], s[40:41]
	s_andn2_b64 exec, exec, s[36:37]
	s_cbranch_execz .LBB707_48
.LBB707_46:                             ; =>This Inner Loop Header: Depth=1
	s_or_b64 s[38:39], s[38:39], exec
	s_cmp_eq_u64 s[12:13], s[40:41]
	s_cbranch_scc0 .LBB707_44
; %bb.47:                               ;   in Loop: Header=BB707_46 Depth=1
                                        ; implicit-def: $vgpr18_vgpr19
                                        ; implicit-def: $vgpr20_vgpr21
	s_mov_b64 s[40:41], s[26:27]
	s_branch .LBB707_45
.LBB707_48:
	s_or_b64 exec, exec, s[36:37]
	v_cmp_gt_i64_e32 vcc, s[26:27], v[22:23]
	s_orn2_b64 s[12:13], vcc, exec
.LBB707_49:
	s_or_b64 exec, exec, s[18:19]
.LBB707_50:
	v_mul_lo_u32 v20, v7, s26
	v_mul_lo_u32 v21, v6, s27
	v_mad_u64_u32 v[18:19], s[18:19], v6, s26, 0
	v_add3_u32 v19, v19, v21, v20
	s_mov_b64 s[18:19], 0
	s_and_b64 vcc, exec, s[4:5]
	v_lshl_add_u64 v[20:21], v[18:19], 1, s[28:29]
	s_mov_b64 s[36:37], 0
	s_cbranch_vccnz .LBB707_59
; %bb.51:
	global_load_ushort v18, v[20:21], off
	global_load_ushort v19, v[16:17], off
	s_mov_b64 s[36:37], -1
	s_waitcnt vmcnt(0)
	v_cmp_eq_u16_e32 vcc, v18, v19
	s_and_saveexec_b64 s[38:39], vcc
	s_cbranch_execz .LBB707_58
; %bb.52:
	s_add_u32 s36, s26, -1
	v_lshl_add_u64 v[16:17], v[16:17], 0, 2
	v_lshl_add_u64 v[18:19], v[20:21], 0, 2
	s_addc_u32 s37, s27, -1
	s_mov_b64 s[40:41], 0
	s_mov_b64 s[44:45], 0
                                        ; implicit-def: $sgpr42_sgpr43
	s_branch .LBB707_55
.LBB707_53:                             ;   in Loop: Header=BB707_55 Depth=1
	global_load_ushort v22, v[18:19], off
	global_load_ushort v23, v[16:17], off
	s_add_u32 s44, s44, 1
	s_addc_u32 s45, s45, 0
	s_andn2_b64 s[42:43], s[42:43], exec
	v_lshl_add_u64 v[16:17], v[16:17], 0, 2
	v_lshl_add_u64 v[18:19], v[18:19], 0, 2
	s_waitcnt vmcnt(0)
	v_cmp_ne_u16_e32 vcc, v22, v23
	s_and_b64 s[46:47], vcc, exec
	s_or_b64 s[42:43], s[42:43], s[46:47]
.LBB707_54:                             ;   in Loop: Header=BB707_55 Depth=1
	s_and_b64 s[46:47], exec, s[42:43]
	s_or_b64 s[40:41], s[46:47], s[40:41]
	v_mov_b64_e32 v[22:23], s[44:45]
	s_andn2_b64 exec, exec, s[40:41]
	s_cbranch_execz .LBB707_57
.LBB707_55:                             ; =>This Inner Loop Header: Depth=1
	s_or_b64 s[42:43], s[42:43], exec
	s_cmp_eq_u64 s[36:37], s[44:45]
	s_cbranch_scc0 .LBB707_53
; %bb.56:                               ;   in Loop: Header=BB707_55 Depth=1
                                        ; implicit-def: $vgpr16_vgpr17
                                        ; implicit-def: $vgpr18_vgpr19
	s_mov_b64 s[44:45], s[26:27]
	s_branch .LBB707_54
.LBB707_57:
	s_or_b64 exec, exec, s[40:41]
	v_cmp_gt_i64_e32 vcc, s[26:27], v[22:23]
	s_orn2_b64 s[36:37], vcc, exec
.LBB707_58:
	s_or_b64 exec, exec, s[38:39]
.LBB707_59:
	v_mul_lo_u32 v18, v13, s26
	v_mul_lo_u32 v19, v12, s27
	v_mad_u64_u32 v[16:17], s[38:39], v12, s26, 0
	v_add3_u32 v17, v17, v19, v18
	s_and_b64 vcc, exec, s[4:5]
	v_lshl_add_u64 v[18:19], v[16:17], 1, s[28:29]
	s_cbranch_vccnz .LBB707_68
; %bb.60:
	global_load_ushort v16, v[18:19], off
	global_load_ushort v17, v[20:21], off
	s_mov_b64 s[18:19], -1
	s_waitcnt vmcnt(0)
	v_cmp_eq_u16_e32 vcc, v16, v17
	s_and_saveexec_b64 s[38:39], vcc
	s_cbranch_execz .LBB707_67
; %bb.61:
	s_add_u32 s18, s26, -1
	v_lshl_add_u64 v[16:17], v[20:21], 0, 2
	v_lshl_add_u64 v[20:21], v[18:19], 0, 2
	s_addc_u32 s19, s27, -1
	s_mov_b64 s[40:41], 0
	s_mov_b64 s[44:45], 0
                                        ; implicit-def: $sgpr42_sgpr43
	s_branch .LBB707_64
.LBB707_62:                             ;   in Loop: Header=BB707_64 Depth=1
	global_load_ushort v22, v[20:21], off
	global_load_ushort v23, v[16:17], off
	s_add_u32 s44, s44, 1
	s_addc_u32 s45, s45, 0
	s_andn2_b64 s[42:43], s[42:43], exec
	v_lshl_add_u64 v[16:17], v[16:17], 0, 2
	v_lshl_add_u64 v[20:21], v[20:21], 0, 2
	s_waitcnt vmcnt(0)
	v_cmp_ne_u16_e32 vcc, v22, v23
	s_and_b64 s[46:47], vcc, exec
	s_or_b64 s[42:43], s[42:43], s[46:47]
.LBB707_63:                             ;   in Loop: Header=BB707_64 Depth=1
	s_and_b64 s[46:47], exec, s[42:43]
	s_or_b64 s[40:41], s[46:47], s[40:41]
	v_mov_b64_e32 v[22:23], s[44:45]
	s_andn2_b64 exec, exec, s[40:41]
	s_cbranch_execz .LBB707_66
.LBB707_64:                             ; =>This Inner Loop Header: Depth=1
	s_or_b64 s[42:43], s[42:43], exec
	s_cmp_eq_u64 s[18:19], s[44:45]
	s_cbranch_scc0 .LBB707_62
; %bb.65:                               ;   in Loop: Header=BB707_64 Depth=1
                                        ; implicit-def: $vgpr16_vgpr17
                                        ; implicit-def: $vgpr20_vgpr21
	s_mov_b64 s[44:45], s[26:27]
	s_branch .LBB707_63
.LBB707_66:
	s_or_b64 exec, exec, s[40:41]
	v_cmp_gt_i64_e32 vcc, s[26:27], v[22:23]
	s_orn2_b64 s[18:19], vcc, exec
.LBB707_67:
	s_or_b64 exec, exec, s[38:39]
.LBB707_68:
	v_mul_lo_u32 v20, v11, s26
	v_mul_lo_u32 v21, v10, s27
	v_mad_u64_u32 v[16:17], s[38:39], v10, s26, 0
	v_add3_u32 v17, v17, v21, v20
	s_mov_b64 s[40:41], 0
	s_and_b64 vcc, exec, s[4:5]
	v_lshl_add_u64 v[16:17], v[16:17], 1, s[28:29]
	s_cbranch_vccnz .LBB707_77
; %bb.69:
	global_load_ushort v20, v[16:17], off
	global_load_ushort v21, v[18:19], off
	s_mov_b64 s[40:41], -1
	s_waitcnt vmcnt(0)
	v_cmp_eq_u16_e32 vcc, v20, v21
	s_and_saveexec_b64 s[38:39], vcc
	s_cbranch_execz .LBB707_76
; %bb.70:
	s_add_u32 s40, s26, -1
	v_lshl_add_u64 v[18:19], v[18:19], 0, 2
	v_lshl_add_u64 v[20:21], v[16:17], 0, 2
	s_addc_u32 s41, s27, -1
	s_mov_b64 s[42:43], 0
	s_mov_b64 s[46:47], 0
                                        ; implicit-def: $sgpr44_sgpr45
	s_branch .LBB707_73
.LBB707_71:                             ;   in Loop: Header=BB707_73 Depth=1
	global_load_ushort v22, v[20:21], off
	global_load_ushort v23, v[18:19], off
	s_add_u32 s46, s46, 1
	s_addc_u32 s47, s47, 0
	s_andn2_b64 s[44:45], s[44:45], exec
	v_lshl_add_u64 v[18:19], v[18:19], 0, 2
	v_lshl_add_u64 v[20:21], v[20:21], 0, 2
	s_waitcnt vmcnt(0)
	v_cmp_ne_u16_e32 vcc, v22, v23
	s_and_b64 s[48:49], vcc, exec
	s_or_b64 s[44:45], s[44:45], s[48:49]
.LBB707_72:                             ;   in Loop: Header=BB707_73 Depth=1
	s_and_b64 s[48:49], exec, s[44:45]
	s_or_b64 s[42:43], s[48:49], s[42:43]
	v_mov_b64_e32 v[22:23], s[46:47]
	s_andn2_b64 exec, exec, s[42:43]
	s_cbranch_execz .LBB707_75
.LBB707_73:                             ; =>This Inner Loop Header: Depth=1
	s_or_b64 s[44:45], s[44:45], exec
	s_cmp_eq_u64 s[40:41], s[46:47]
	s_cbranch_scc0 .LBB707_71
; %bb.74:                               ;   in Loop: Header=BB707_73 Depth=1
                                        ; implicit-def: $vgpr18_vgpr19
                                        ; implicit-def: $vgpr20_vgpr21
	s_mov_b64 s[46:47], s[26:27]
	s_branch .LBB707_72
.LBB707_75:
	s_or_b64 exec, exec, s[42:43]
	v_cmp_gt_i64_e32 vcc, s[26:27], v[22:23]
	s_orn2_b64 s[40:41], vcc, exec
.LBB707_76:
	s_or_b64 exec, exec, s[38:39]
.LBB707_77:
	v_cmp_ne_u32_e32 vcc, 0, v0
	s_waitcnt lgkmcnt(0)
	v_mov_b64_e32 v[18:19], s[6:7]
	s_barrier
	s_and_saveexec_b64 s[38:39], vcc
	s_cbranch_execz .LBB707_79
; %bb.78:
	v_add_u32_e32 v18, -8, v31
	ds_read_b64 v[18:19], v18
.LBB707_79:
	s_or_b64 exec, exec, s[38:39]
	v_cndmask_b32_e64 v21, 0, 1, s[36:37]
	v_cndmask_b32_e64 v20, 0, 1, s[18:19]
	;; [unrolled: 1-line block ×3, first 2 shown]
	v_lshlrev_b16_e32 v21, 8, v21
	v_lshlrev_b16_e32 v22, 8, v22
	v_or_b32_sdwa v23, v20, v21 dst_sel:WORD_1 dst_unused:UNUSED_PAD src0_sel:DWORD src1_sel:DWORD
	s_mov_b64 s[36:37], 0
	s_and_b64 vcc, exec, s[4:5]
	s_mov_b64 s[18:19], 0
	s_cbranch_vccnz .LBB707_88
; %bb.80:
	s_waitcnt lgkmcnt(0)
	v_mul_lo_u32 v20, v19, s26
	v_mul_lo_u32 v21, v18, s27
	v_mad_u64_u32 v[18:19], s[18:19], v18, s26, 0
	v_add3_u32 v19, v19, v21, v20
	v_lshl_add_u64 v[18:19], v[18:19], 1, s[28:29]
	global_load_ushort v20, v[18:19], off
	global_load_ushort v21, v[16:17], off
	s_mov_b64 s[18:19], -1
	s_waitcnt vmcnt(0)
	v_cmp_eq_u16_e32 vcc, v20, v21
	s_and_saveexec_b64 s[38:39], vcc
	s_cbranch_execz .LBB707_87
; %bb.81:
	s_add_u32 s18, s26, -1
	v_lshl_add_u64 v[16:17], v[16:17], 0, 2
	v_lshl_add_u64 v[18:19], v[18:19], 0, 2
	s_addc_u32 s19, s27, -1
	s_mov_b64 s[40:41], 0
	s_mov_b64 s[44:45], 0
                                        ; implicit-def: $sgpr42_sgpr43
	s_branch .LBB707_84
.LBB707_82:                             ;   in Loop: Header=BB707_84 Depth=1
	global_load_ushort v20, v[18:19], off
	global_load_ushort v21, v[16:17], off
	s_add_u32 s44, s44, 1
	s_addc_u32 s45, s45, 0
	s_andn2_b64 s[42:43], s[42:43], exec
	v_lshl_add_u64 v[16:17], v[16:17], 0, 2
	v_lshl_add_u64 v[18:19], v[18:19], 0, 2
	s_waitcnt vmcnt(0)
	v_cmp_ne_u16_e32 vcc, v20, v21
	s_and_b64 s[46:47], vcc, exec
	s_or_b64 s[42:43], s[42:43], s[46:47]
.LBB707_83:                             ;   in Loop: Header=BB707_84 Depth=1
	s_and_b64 s[46:47], exec, s[42:43]
	s_or_b64 s[40:41], s[46:47], s[40:41]
	v_mov_b64_e32 v[20:21], s[44:45]
	s_andn2_b64 exec, exec, s[40:41]
	s_cbranch_execz .LBB707_86
.LBB707_84:                             ; =>This Inner Loop Header: Depth=1
	s_or_b64 s[42:43], s[42:43], exec
	s_cmp_eq_u64 s[18:19], s[44:45]
	s_cbranch_scc0 .LBB707_82
; %bb.85:                               ;   in Loop: Header=BB707_84 Depth=1
                                        ; implicit-def: $vgpr16_vgpr17
                                        ; implicit-def: $vgpr18_vgpr19
	s_mov_b64 s[44:45], s[26:27]
	s_branch .LBB707_83
.LBB707_86:
	s_or_b64 exec, exec, s[40:41]
	v_cmp_gt_i64_e32 vcc, s[26:27], v[20:21]
	s_orn2_b64 s[18:19], vcc, exec
.LBB707_87:
	s_or_b64 exec, exec, s[38:39]
.LBB707_88:
	v_cndmask_b32_e64 v32, 0, 1, s[12:13]
	v_cndmask_b32_e64 v33, 0, 1, s[14:15]
	;; [unrolled: 1-line block ×3, first 2 shown]
	v_or_b32_e32 v20, v22, v23
	s_and_b64 vcc, exec, s[36:37]
	s_cbranch_vccz .LBB707_169
.LBB707_89:
	v_cmp_gt_u32_e32 vcc, s3, v27
	s_mov_b64 s[12:13], 0
	s_mov_b64 s[10:11], 0
	s_and_saveexec_b64 s[14:15], vcc
	s_cbranch_execz .LBB707_100
; %bb.90:
	s_and_b64 vcc, exec, s[4:5]
	s_mov_b64 s[18:19], 0
	s_cbranch_vccnz .LBB707_99
; %bb.91:
	s_waitcnt lgkmcnt(0)
	v_mul_lo_u32 v18, v5, s26
	v_mul_lo_u32 v19, v4, s27
	v_mad_u64_u32 v[16:17], s[10:11], v4, s26, 0
	v_add3_u32 v17, v17, v19, v18
	v_mul_lo_u32 v18, v15, s26
	v_mul_lo_u32 v19, v14, s27
	v_mad_u64_u32 v[20:21], s[10:11], v14, s26, 0
	v_add3_u32 v21, v21, v19, v18
	v_lshl_add_u64 v[18:19], v[16:17], 1, s[28:29]
	v_lshl_add_u64 v[16:17], v[20:21], 1, s[28:29]
	global_load_ushort v20, v[18:19], off
	global_load_ushort v21, v[16:17], off
	s_mov_b64 s[18:19], -1
	s_waitcnt vmcnt(0)
	v_cmp_eq_u16_e32 vcc, v20, v21
	s_and_saveexec_b64 s[10:11], vcc
	s_cbranch_execz .LBB707_98
; %bb.92:
	s_add_u32 s18, s26, -1
	v_lshl_add_u64 v[16:17], v[16:17], 0, 2
	v_lshl_add_u64 v[18:19], v[18:19], 0, 2
	s_addc_u32 s19, s27, -1
	s_mov_b64 s[36:37], 0
	s_mov_b64 s[40:41], 0
                                        ; implicit-def: $sgpr38_sgpr39
	s_branch .LBB707_95
.LBB707_93:                             ;   in Loop: Header=BB707_95 Depth=1
	global_load_ushort v20, v[18:19], off
	global_load_ushort v21, v[16:17], off
	s_add_u32 s40, s40, 1
	s_addc_u32 s41, s41, 0
	s_andn2_b64 s[38:39], s[38:39], exec
	v_lshl_add_u64 v[16:17], v[16:17], 0, 2
	v_lshl_add_u64 v[18:19], v[18:19], 0, 2
	s_waitcnt vmcnt(0)
	v_cmp_ne_u16_e32 vcc, v20, v21
	s_and_b64 s[42:43], vcc, exec
	s_or_b64 s[38:39], s[38:39], s[42:43]
.LBB707_94:                             ;   in Loop: Header=BB707_95 Depth=1
	s_and_b64 s[42:43], exec, s[38:39]
	s_or_b64 s[36:37], s[42:43], s[36:37]
	v_mov_b64_e32 v[20:21], s[40:41]
	s_andn2_b64 exec, exec, s[36:37]
	s_cbranch_execz .LBB707_97
.LBB707_95:                             ; =>This Inner Loop Header: Depth=1
	s_or_b64 s[38:39], s[38:39], exec
	s_cmp_eq_u64 s[18:19], s[40:41]
	s_cbranch_scc0 .LBB707_93
; %bb.96:                               ;   in Loop: Header=BB707_95 Depth=1
                                        ; implicit-def: $vgpr16_vgpr17
                                        ; implicit-def: $vgpr18_vgpr19
	s_mov_b64 s[40:41], s[26:27]
	s_branch .LBB707_94
.LBB707_97:
	s_or_b64 exec, exec, s[36:37]
	v_cmp_gt_i64_e32 vcc, s[26:27], v[20:21]
	s_orn2_b64 s[18:19], vcc, exec
.LBB707_98:
	s_or_b64 exec, exec, s[10:11]
.LBB707_99:
	s_and_b64 s[10:11], s[18:19], exec
.LBB707_100:
	s_or_b64 exec, exec, s[14:15]
	v_cmp_gt_u32_e32 vcc, s3, v29
	s_and_saveexec_b64 s[14:15], vcc
	s_cbranch_execz .LBB707_111
; %bb.101:
	s_and_b64 vcc, exec, s[4:5]
	s_mov_b64 s[18:19], 0
	s_cbranch_vccnz .LBB707_110
; %bb.102:
	s_waitcnt lgkmcnt(0)
	v_mul_lo_u32 v18, v3, s26
	v_mul_lo_u32 v19, v2, s27
	v_mad_u64_u32 v[16:17], s[12:13], v2, s26, 0
	v_add3_u32 v17, v17, v19, v18
	v_mul_lo_u32 v18, v5, s26
	v_mul_lo_u32 v19, v4, s27
	v_mad_u64_u32 v[20:21], s[12:13], v4, s26, 0
	v_add3_u32 v21, v21, v19, v18
	v_lshl_add_u64 v[18:19], v[16:17], 1, s[28:29]
	v_lshl_add_u64 v[16:17], v[20:21], 1, s[28:29]
	global_load_ushort v20, v[18:19], off
	global_load_ushort v21, v[16:17], off
	s_mov_b64 s[18:19], -1
	s_waitcnt vmcnt(0)
	v_cmp_eq_u16_e32 vcc, v20, v21
	s_and_saveexec_b64 s[12:13], vcc
	s_cbranch_execz .LBB707_109
; %bb.103:
	s_add_u32 s18, s26, -1
	v_lshl_add_u64 v[16:17], v[16:17], 0, 2
	v_lshl_add_u64 v[18:19], v[18:19], 0, 2
	s_addc_u32 s19, s27, -1
	s_mov_b64 s[36:37], 0
	s_mov_b64 s[40:41], 0
                                        ; implicit-def: $sgpr38_sgpr39
	s_branch .LBB707_106
.LBB707_104:                            ;   in Loop: Header=BB707_106 Depth=1
	global_load_ushort v20, v[18:19], off
	global_load_ushort v21, v[16:17], off
	s_add_u32 s40, s40, 1
	s_addc_u32 s41, s41, 0
	s_andn2_b64 s[38:39], s[38:39], exec
	v_lshl_add_u64 v[16:17], v[16:17], 0, 2
	v_lshl_add_u64 v[18:19], v[18:19], 0, 2
	s_waitcnt vmcnt(0)
	v_cmp_ne_u16_e32 vcc, v20, v21
	s_and_b64 s[42:43], vcc, exec
	s_or_b64 s[38:39], s[38:39], s[42:43]
.LBB707_105:                            ;   in Loop: Header=BB707_106 Depth=1
	s_and_b64 s[42:43], exec, s[38:39]
	s_or_b64 s[36:37], s[42:43], s[36:37]
	v_mov_b64_e32 v[20:21], s[40:41]
	s_andn2_b64 exec, exec, s[36:37]
	s_cbranch_execz .LBB707_108
.LBB707_106:                            ; =>This Inner Loop Header: Depth=1
	s_or_b64 s[38:39], s[38:39], exec
	s_cmp_eq_u64 s[18:19], s[40:41]
	s_cbranch_scc0 .LBB707_104
; %bb.107:                              ;   in Loop: Header=BB707_106 Depth=1
                                        ; implicit-def: $vgpr16_vgpr17
                                        ; implicit-def: $vgpr18_vgpr19
	s_mov_b64 s[40:41], s[26:27]
	s_branch .LBB707_105
.LBB707_108:
	s_or_b64 exec, exec, s[36:37]
	v_cmp_gt_i64_e32 vcc, s[26:27], v[20:21]
	s_orn2_b64 s[18:19], vcc, exec
.LBB707_109:
	s_or_b64 exec, exec, s[12:13]
.LBB707_110:
	s_and_b64 s[12:13], s[18:19], exec
.LBB707_111:
	s_or_b64 exec, exec, s[14:15]
	v_cmp_gt_u32_e32 vcc, s3, v26
	s_mov_b64 s[18:19], 0
	s_mov_b64 s[14:15], 0
	s_and_saveexec_b64 s[36:37], vcc
	s_cbranch_execz .LBB707_122
; %bb.112:
	s_and_b64 vcc, exec, s[4:5]
	s_mov_b64 s[38:39], 0
	s_cbranch_vccnz .LBB707_121
; %bb.113:
	s_waitcnt lgkmcnt(0)
	v_mul_lo_u32 v18, v9, s26
	v_mul_lo_u32 v19, v8, s27
	v_mad_u64_u32 v[16:17], s[14:15], v8, s26, 0
	v_add3_u32 v17, v17, v19, v18
	v_mul_lo_u32 v18, v3, s26
	v_mul_lo_u32 v19, v2, s27
	v_mad_u64_u32 v[20:21], s[14:15], v2, s26, 0
	v_add3_u32 v21, v21, v19, v18
	v_lshl_add_u64 v[18:19], v[16:17], 1, s[28:29]
	v_lshl_add_u64 v[16:17], v[20:21], 1, s[28:29]
	global_load_ushort v20, v[18:19], off
	global_load_ushort v21, v[16:17], off
	s_mov_b64 s[38:39], -1
	s_waitcnt vmcnt(0)
	v_cmp_eq_u16_e32 vcc, v20, v21
	s_and_saveexec_b64 s[14:15], vcc
	s_cbranch_execz .LBB707_120
; %bb.114:
	s_add_u32 s38, s26, -1
	v_lshl_add_u64 v[16:17], v[16:17], 0, 2
	v_lshl_add_u64 v[18:19], v[18:19], 0, 2
	s_addc_u32 s39, s27, -1
	s_mov_b64 s[40:41], 0
	s_mov_b64 s[44:45], 0
                                        ; implicit-def: $sgpr42_sgpr43
	s_branch .LBB707_117
.LBB707_115:                            ;   in Loop: Header=BB707_117 Depth=1
	global_load_ushort v20, v[18:19], off
	global_load_ushort v21, v[16:17], off
	s_add_u32 s44, s44, 1
	s_addc_u32 s45, s45, 0
	s_andn2_b64 s[42:43], s[42:43], exec
	v_lshl_add_u64 v[16:17], v[16:17], 0, 2
	v_lshl_add_u64 v[18:19], v[18:19], 0, 2
	s_waitcnt vmcnt(0)
	v_cmp_ne_u16_e32 vcc, v20, v21
	s_and_b64 s[46:47], vcc, exec
	s_or_b64 s[42:43], s[42:43], s[46:47]
.LBB707_116:                            ;   in Loop: Header=BB707_117 Depth=1
	s_and_b64 s[46:47], exec, s[42:43]
	s_or_b64 s[40:41], s[46:47], s[40:41]
	v_mov_b64_e32 v[20:21], s[44:45]
	s_andn2_b64 exec, exec, s[40:41]
	s_cbranch_execz .LBB707_119
.LBB707_117:                            ; =>This Inner Loop Header: Depth=1
	s_or_b64 s[42:43], s[42:43], exec
	s_cmp_eq_u64 s[38:39], s[44:45]
	s_cbranch_scc0 .LBB707_115
; %bb.118:                              ;   in Loop: Header=BB707_117 Depth=1
                                        ; implicit-def: $vgpr16_vgpr17
                                        ; implicit-def: $vgpr18_vgpr19
	s_mov_b64 s[44:45], s[26:27]
	s_branch .LBB707_116
.LBB707_119:
	s_or_b64 exec, exec, s[40:41]
	v_cmp_gt_i64_e32 vcc, s[26:27], v[20:21]
	s_orn2_b64 s[38:39], vcc, exec
.LBB707_120:
	s_or_b64 exec, exec, s[14:15]
.LBB707_121:
	s_and_b64 s[14:15], s[38:39], exec
.LBB707_122:
	s_or_b64 exec, exec, s[36:37]
	v_cmp_gt_u32_e32 vcc, s3, v28
	s_and_saveexec_b64 s[36:37], vcc
	s_cbranch_execz .LBB707_133
; %bb.123:
	s_and_b64 vcc, exec, s[4:5]
	s_mov_b64 s[38:39], 0
	s_cbranch_vccnz .LBB707_132
; %bb.124:
	s_waitcnt lgkmcnt(0)
	v_mul_lo_u32 v18, v7, s26
	v_mul_lo_u32 v19, v6, s27
	v_mad_u64_u32 v[16:17], s[18:19], v6, s26, 0
	v_add3_u32 v17, v17, v19, v18
	v_mul_lo_u32 v18, v9, s26
	v_mul_lo_u32 v19, v8, s27
	v_mad_u64_u32 v[20:21], s[18:19], v8, s26, 0
	v_add3_u32 v21, v21, v19, v18
	v_lshl_add_u64 v[18:19], v[16:17], 1, s[28:29]
	v_lshl_add_u64 v[16:17], v[20:21], 1, s[28:29]
	global_load_ushort v20, v[18:19], off
	global_load_ushort v21, v[16:17], off
	s_mov_b64 s[38:39], -1
	s_waitcnt vmcnt(0)
	v_cmp_eq_u16_e32 vcc, v20, v21
	s_and_saveexec_b64 s[18:19], vcc
	s_cbranch_execz .LBB707_131
; %bb.125:
	s_add_u32 s38, s26, -1
	v_lshl_add_u64 v[16:17], v[16:17], 0, 2
	v_lshl_add_u64 v[18:19], v[18:19], 0, 2
	s_addc_u32 s39, s27, -1
	s_mov_b64 s[40:41], 0
	s_mov_b64 s[44:45], 0
                                        ; implicit-def: $sgpr42_sgpr43
	s_branch .LBB707_128
.LBB707_126:                            ;   in Loop: Header=BB707_128 Depth=1
	global_load_ushort v20, v[18:19], off
	global_load_ushort v21, v[16:17], off
	s_add_u32 s44, s44, 1
	s_addc_u32 s45, s45, 0
	s_andn2_b64 s[42:43], s[42:43], exec
	v_lshl_add_u64 v[16:17], v[16:17], 0, 2
	v_lshl_add_u64 v[18:19], v[18:19], 0, 2
	s_waitcnt vmcnt(0)
	v_cmp_ne_u16_e32 vcc, v20, v21
	s_and_b64 s[46:47], vcc, exec
	s_or_b64 s[42:43], s[42:43], s[46:47]
.LBB707_127:                            ;   in Loop: Header=BB707_128 Depth=1
	s_and_b64 s[46:47], exec, s[42:43]
	s_or_b64 s[40:41], s[46:47], s[40:41]
	v_mov_b64_e32 v[20:21], s[44:45]
	s_andn2_b64 exec, exec, s[40:41]
	s_cbranch_execz .LBB707_130
.LBB707_128:                            ; =>This Inner Loop Header: Depth=1
	s_or_b64 s[42:43], s[42:43], exec
	s_cmp_eq_u64 s[38:39], s[44:45]
	s_cbranch_scc0 .LBB707_126
; %bb.129:                              ;   in Loop: Header=BB707_128 Depth=1
                                        ; implicit-def: $vgpr16_vgpr17
                                        ; implicit-def: $vgpr18_vgpr19
	s_mov_b64 s[44:45], s[26:27]
	s_branch .LBB707_127
.LBB707_130:
	s_or_b64 exec, exec, s[40:41]
	v_cmp_gt_i64_e32 vcc, s[26:27], v[20:21]
	s_orn2_b64 s[38:39], vcc, exec
.LBB707_131:
	s_or_b64 exec, exec, s[18:19]
.LBB707_132:
	s_and_b64 s[18:19], s[38:39], exec
.LBB707_133:
	s_or_b64 exec, exec, s[36:37]
	v_cmp_gt_u32_e32 vcc, s3, v24
	s_mov_b64 s[36:37], 0
	s_mov_b64 s[38:39], 0
	s_and_saveexec_b64 s[40:41], vcc
	s_cbranch_execz .LBB707_144
; %bb.134:
	s_and_b64 vcc, exec, s[4:5]
	s_mov_b64 s[42:43], 0
	s_cbranch_vccnz .LBB707_143
; %bb.135:
	s_waitcnt lgkmcnt(0)
	v_mul_lo_u32 v18, v13, s26
	v_mul_lo_u32 v19, v12, s27
	v_mad_u64_u32 v[16:17], s[38:39], v12, s26, 0
	v_add3_u32 v17, v17, v19, v18
	v_mul_lo_u32 v18, v7, s26
	v_mul_lo_u32 v19, v6, s27
	v_mad_u64_u32 v[20:21], s[38:39], v6, s26, 0
	v_add3_u32 v21, v21, v19, v18
	v_lshl_add_u64 v[18:19], v[16:17], 1, s[28:29]
	v_lshl_add_u64 v[16:17], v[20:21], 1, s[28:29]
	global_load_ushort v20, v[18:19], off
	global_load_ushort v21, v[16:17], off
	s_mov_b64 s[42:43], -1
	s_waitcnt vmcnt(0)
	v_cmp_eq_u16_e32 vcc, v20, v21
	s_and_saveexec_b64 s[38:39], vcc
	s_cbranch_execz .LBB707_142
; %bb.136:
	s_add_u32 s42, s26, -1
	v_lshl_add_u64 v[16:17], v[16:17], 0, 2
	v_lshl_add_u64 v[18:19], v[18:19], 0, 2
	s_addc_u32 s43, s27, -1
	s_mov_b64 s[44:45], 0
	s_mov_b64 s[48:49], 0
                                        ; implicit-def: $sgpr46_sgpr47
	s_branch .LBB707_139
.LBB707_137:                            ;   in Loop: Header=BB707_139 Depth=1
	global_load_ushort v20, v[18:19], off
	global_load_ushort v21, v[16:17], off
	s_add_u32 s48, s48, 1
	s_addc_u32 s49, s49, 0
	s_andn2_b64 s[46:47], s[46:47], exec
	v_lshl_add_u64 v[16:17], v[16:17], 0, 2
	v_lshl_add_u64 v[18:19], v[18:19], 0, 2
	s_waitcnt vmcnt(0)
	v_cmp_ne_u16_e32 vcc, v20, v21
	s_and_b64 s[50:51], vcc, exec
	s_or_b64 s[46:47], s[46:47], s[50:51]
.LBB707_138:                            ;   in Loop: Header=BB707_139 Depth=1
	s_and_b64 s[50:51], exec, s[46:47]
	s_or_b64 s[44:45], s[50:51], s[44:45]
	v_mov_b64_e32 v[20:21], s[48:49]
	s_andn2_b64 exec, exec, s[44:45]
	s_cbranch_execz .LBB707_141
.LBB707_139:                            ; =>This Inner Loop Header: Depth=1
	s_or_b64 s[46:47], s[46:47], exec
	s_cmp_eq_u64 s[42:43], s[48:49]
	s_cbranch_scc0 .LBB707_137
; %bb.140:                              ;   in Loop: Header=BB707_139 Depth=1
                                        ; implicit-def: $vgpr16_vgpr17
                                        ; implicit-def: $vgpr18_vgpr19
	s_mov_b64 s[48:49], s[26:27]
	s_branch .LBB707_138
.LBB707_141:
	s_or_b64 exec, exec, s[44:45]
	v_cmp_gt_i64_e32 vcc, s[26:27], v[20:21]
	s_orn2_b64 s[42:43], vcc, exec
.LBB707_142:
	s_or_b64 exec, exec, s[38:39]
.LBB707_143:
	s_and_b64 s[38:39], s[42:43], exec
.LBB707_144:
	s_or_b64 exec, exec, s[40:41]
	v_cmp_gt_u32_e32 vcc, s3, v25
	s_and_saveexec_b64 s[40:41], vcc
	s_cbranch_execz .LBB707_155
; %bb.145:
	s_and_b64 vcc, exec, s[4:5]
	s_mov_b64 s[42:43], 0
	s_cbranch_vccnz .LBB707_154
; %bb.146:
	s_waitcnt lgkmcnt(0)
	v_mul_lo_u32 v18, v11, s26
	v_mul_lo_u32 v19, v10, s27
	v_mad_u64_u32 v[16:17], s[36:37], v10, s26, 0
	v_add3_u32 v17, v17, v19, v18
	v_mul_lo_u32 v18, v13, s26
	v_mul_lo_u32 v19, v12, s27
	v_mad_u64_u32 v[20:21], s[36:37], v12, s26, 0
	v_add3_u32 v21, v21, v19, v18
	v_lshl_add_u64 v[18:19], v[16:17], 1, s[28:29]
	v_lshl_add_u64 v[16:17], v[20:21], 1, s[28:29]
	global_load_ushort v20, v[18:19], off
	global_load_ushort v21, v[16:17], off
	s_mov_b64 s[42:43], -1
	s_waitcnt vmcnt(0)
	v_cmp_eq_u16_e32 vcc, v20, v21
	s_and_saveexec_b64 s[36:37], vcc
	s_cbranch_execz .LBB707_153
; %bb.147:
	s_add_u32 s42, s26, -1
	v_lshl_add_u64 v[16:17], v[16:17], 0, 2
	v_lshl_add_u64 v[18:19], v[18:19], 0, 2
	s_addc_u32 s43, s27, -1
	s_mov_b64 s[44:45], 0
	s_mov_b64 s[48:49], 0
                                        ; implicit-def: $sgpr46_sgpr47
	s_branch .LBB707_150
.LBB707_148:                            ;   in Loop: Header=BB707_150 Depth=1
	global_load_ushort v20, v[18:19], off
	global_load_ushort v21, v[16:17], off
	s_add_u32 s48, s48, 1
	s_addc_u32 s49, s49, 0
	s_andn2_b64 s[46:47], s[46:47], exec
	v_lshl_add_u64 v[16:17], v[16:17], 0, 2
	v_lshl_add_u64 v[18:19], v[18:19], 0, 2
	s_waitcnt vmcnt(0)
	v_cmp_ne_u16_e32 vcc, v20, v21
	s_and_b64 s[50:51], vcc, exec
	s_or_b64 s[46:47], s[46:47], s[50:51]
.LBB707_149:                            ;   in Loop: Header=BB707_150 Depth=1
	s_and_b64 s[50:51], exec, s[46:47]
	s_or_b64 s[44:45], s[50:51], s[44:45]
	v_mov_b64_e32 v[20:21], s[48:49]
	s_andn2_b64 exec, exec, s[44:45]
	s_cbranch_execz .LBB707_152
.LBB707_150:                            ; =>This Inner Loop Header: Depth=1
	s_or_b64 s[46:47], s[46:47], exec
	s_cmp_eq_u64 s[42:43], s[48:49]
	s_cbranch_scc0 .LBB707_148
; %bb.151:                              ;   in Loop: Header=BB707_150 Depth=1
                                        ; implicit-def: $vgpr16_vgpr17
                                        ; implicit-def: $vgpr18_vgpr19
	s_mov_b64 s[48:49], s[26:27]
	s_branch .LBB707_149
.LBB707_152:
	s_or_b64 exec, exec, s[44:45]
	v_cmp_gt_i64_e32 vcc, s[26:27], v[20:21]
	s_orn2_b64 s[42:43], vcc, exec
.LBB707_153:
	s_or_b64 exec, exec, s[36:37]
.LBB707_154:
	s_and_b64 s[36:37], s[42:43], exec
.LBB707_155:
	s_or_b64 exec, exec, s[40:41]
	v_cmp_ne_u32_e32 vcc, 0, v0
	s_waitcnt lgkmcnt(0)
	v_mov_b64_e32 v[16:17], s[6:7]
	s_barrier
	s_and_saveexec_b64 s[6:7], vcc
	s_cbranch_execz .LBB707_157
; %bb.156:
	v_add_u32_e32 v16, -8, v31
	ds_read_b64 v[16:17], v16
.LBB707_157:
	s_or_b64 exec, exec, s[6:7]
	v_cndmask_b32_e64 v19, 0, 1, s[18:19]
	v_cndmask_b32_e64 v18, 0, 1, s[38:39]
	;; [unrolled: 1-line block ×3, first 2 shown]
	v_lshlrev_b16_e32 v19, 8, v19
	v_cmp_gt_u32_e32 vcc, s3, v1
	v_lshlrev_b16_e32 v22, 8, v20
	v_or_b32_sdwa v23, v18, v19 dst_sel:WORD_1 dst_unused:UNUSED_PAD src0_sel:DWORD src1_sel:DWORD
	s_mov_b64 s[18:19], 0
	s_and_saveexec_b64 s[6:7], vcc
	s_cbranch_execz .LBB707_168
; %bb.158:
	s_and_b64 vcc, exec, s[4:5]
	s_cbranch_vccnz .LBB707_167
; %bb.159:
	s_waitcnt lgkmcnt(0)
	v_mul_lo_u32 v18, v17, s26
	v_mul_lo_u32 v19, v16, s27
	v_mad_u64_u32 v[16:17], s[4:5], v16, s26, 0
	v_add3_u32 v17, v17, v19, v18
	v_mul_lo_u32 v18, v11, s26
	v_mul_lo_u32 v19, v10, s27
	v_mad_u64_u32 v[20:21], s[4:5], v10, s26, 0
	v_add3_u32 v21, v21, v19, v18
	v_lshl_add_u64 v[18:19], v[16:17], 1, s[28:29]
	v_lshl_add_u64 v[16:17], v[20:21], 1, s[28:29]
	global_load_ushort v20, v[18:19], off
	global_load_ushort v21, v[16:17], off
	s_mov_b64 s[18:19], -1
	s_waitcnt vmcnt(0)
	v_cmp_eq_u16_e32 vcc, v20, v21
	s_and_saveexec_b64 s[4:5], vcc
	s_cbranch_execz .LBB707_166
; %bb.160:
	s_add_u32 s18, s26, -1
	v_lshl_add_u64 v[16:17], v[16:17], 0, 2
	v_lshl_add_u64 v[18:19], v[18:19], 0, 2
	s_addc_u32 s19, s27, -1
	s_mov_b64 s[36:37], 0
	s_mov_b64 s[40:41], 0
                                        ; implicit-def: $sgpr38_sgpr39
	s_branch .LBB707_163
.LBB707_161:                            ;   in Loop: Header=BB707_163 Depth=1
	global_load_ushort v20, v[18:19], off
	global_load_ushort v21, v[16:17], off
	s_add_u32 s40, s40, 1
	s_addc_u32 s41, s41, 0
	s_andn2_b64 s[38:39], s[38:39], exec
	v_lshl_add_u64 v[16:17], v[16:17], 0, 2
	v_lshl_add_u64 v[18:19], v[18:19], 0, 2
	s_waitcnt vmcnt(0)
	v_cmp_ne_u16_e32 vcc, v20, v21
	s_and_b64 s[42:43], vcc, exec
	s_or_b64 s[38:39], s[38:39], s[42:43]
.LBB707_162:                            ;   in Loop: Header=BB707_163 Depth=1
	s_and_b64 s[42:43], exec, s[38:39]
	s_or_b64 s[36:37], s[42:43], s[36:37]
	v_mov_b64_e32 v[20:21], s[40:41]
	s_andn2_b64 exec, exec, s[36:37]
	s_cbranch_execz .LBB707_165
.LBB707_163:                            ; =>This Inner Loop Header: Depth=1
	s_or_b64 s[38:39], s[38:39], exec
	s_cmp_eq_u64 s[18:19], s[40:41]
	s_cbranch_scc0 .LBB707_161
; %bb.164:                              ;   in Loop: Header=BB707_163 Depth=1
                                        ; implicit-def: $vgpr16_vgpr17
                                        ; implicit-def: $vgpr18_vgpr19
	s_mov_b64 s[40:41], s[26:27]
	s_branch .LBB707_162
.LBB707_165:
	s_or_b64 exec, exec, s[36:37]
	v_cmp_gt_i64_e32 vcc, s[26:27], v[20:21]
	s_orn2_b64 s[18:19], vcc, exec
.LBB707_166:
	s_or_b64 exec, exec, s[4:5]
.LBB707_167:
	s_and_b64 s[18:19], s[18:19], exec
.LBB707_168:
	s_or_b64 exec, exec, s[6:7]
	v_cndmask_b32_e64 v32, 0, 1, s[14:15]
	v_cndmask_b32_e64 v33, 0, 1, s[12:13]
	v_cndmask_b32_e64 v34, 0, 1, s[10:11]
	v_or_b32_e32 v20, v22, v23
.LBB707_169:
	s_mov_b64 s[10:11], -1
	s_cbranch_execnz .LBB707_28
.LBB707_170:
	s_movk_i32 s4, 0xffd0
	v_mad_i32_i24 v30, v0, s4, v30
	s_mov_b64 s[12:13], 0
	s_waitcnt lgkmcnt(0)
	v_cmp_gt_i64_e64 s[6:7], s[26:27], 0
	s_and_b64 vcc, exec, s[34:35]
	ds_write_b64 v30, v[14:15]
	s_cbranch_vccz .LBB707_178
; %bb.171:
	v_mul_lo_u32 v18, v5, s26
	v_mul_lo_u32 v19, v4, s27
	v_mad_u64_u32 v[16:17], s[4:5], v4, s26, 0
	v_add3_u32 v17, v17, v19, v18
	v_cndmask_b32_e64 v18, 0, 1, s[6:7]
	v_cmp_ne_u32_e64 s[4:5], 1, v18
	s_andn2_b64 vcc, exec, s[6:7]
	v_lshl_add_u64 v[16:17], v[16:17], 1, s[28:29]
	s_cbranch_vccnz .LBB707_181
; %bb.172:
	v_mul_lo_u32 v20, v15, s26
	v_mul_lo_u32 v21, v14, s27
	v_mad_u64_u32 v[18:19], s[12:13], v14, s26, 0
	v_add3_u32 v19, v19, v21, v20
	v_lshl_add_u64 v[18:19], v[18:19], 1, s[28:29]
	global_load_ushort v20, v[16:17], off
	global_load_ushort v21, v[18:19], off
	s_mov_b64 s[12:13], -1
	s_waitcnt vmcnt(0)
	v_cmp_eq_u16_e32 vcc, v20, v21
	s_and_saveexec_b64 s[14:15], vcc
	s_cbranch_execz .LBB707_180
; %bb.173:
	s_add_u32 s12, s26, -1
	v_lshl_add_u64 v[18:19], v[18:19], 0, 2
	v_lshl_add_u64 v[20:21], v[16:17], 0, 2
	s_addc_u32 s13, s27, -1
	s_mov_b64 s[18:19], 0
	s_mov_b64 s[38:39], 0
                                        ; implicit-def: $sgpr36_sgpr37
	s_branch .LBB707_176
.LBB707_174:                            ;   in Loop: Header=BB707_176 Depth=1
	global_load_ushort v22, v[20:21], off
	global_load_ushort v23, v[18:19], off
	s_add_u32 s38, s38, 1
	s_addc_u32 s39, s39, 0
	s_andn2_b64 s[36:37], s[36:37], exec
	v_lshl_add_u64 v[18:19], v[18:19], 0, 2
	v_lshl_add_u64 v[20:21], v[20:21], 0, 2
	s_waitcnt vmcnt(0)
	v_cmp_ne_u16_e32 vcc, v22, v23
	s_and_b64 s[40:41], vcc, exec
	s_or_b64 s[36:37], s[36:37], s[40:41]
.LBB707_175:                            ;   in Loop: Header=BB707_176 Depth=1
	s_and_b64 s[40:41], exec, s[36:37]
	s_or_b64 s[18:19], s[40:41], s[18:19]
	v_mov_b64_e32 v[22:23], s[38:39]
	s_andn2_b64 exec, exec, s[18:19]
	s_cbranch_execz .LBB707_179
.LBB707_176:                            ; =>This Inner Loop Header: Depth=1
	s_or_b64 s[36:37], s[36:37], exec
	s_cmp_eq_u64 s[12:13], s[38:39]
	s_cbranch_scc0 .LBB707_174
; %bb.177:                              ;   in Loop: Header=BB707_176 Depth=1
                                        ; implicit-def: $vgpr18_vgpr19
                                        ; implicit-def: $vgpr20_vgpr21
	s_mov_b64 s[38:39], s[26:27]
	s_branch .LBB707_175
.LBB707_178:
                                        ; implicit-def: $sgpr18_sgpr19
                                        ; implicit-def: $vgpr34
                                        ; implicit-def: $vgpr33
                                        ; implicit-def: $vgpr32
                                        ; implicit-def: $vgpr20
                                        ; implicit-def: $vgpr16_vgpr17
	s_cbranch_execnz .LBB707_238
	s_branch .LBB707_318
.LBB707_179:
	s_or_b64 exec, exec, s[18:19]
	v_cmp_gt_i64_e32 vcc, s[26:27], v[22:23]
	s_orn2_b64 s[12:13], vcc, exec
.LBB707_180:
	s_or_b64 exec, exec, s[14:15]
.LBB707_181:
	v_mul_lo_u32 v20, v3, s26
	v_mul_lo_u32 v21, v2, s27
	v_mad_u64_u32 v[18:19], s[14:15], v2, s26, 0
	v_add3_u32 v19, v19, v21, v20
	s_mov_b64 s[14:15], 0
	s_and_b64 vcc, exec, s[4:5]
	v_lshl_add_u64 v[18:19], v[18:19], 1, s[28:29]
	s_mov_b64 s[18:19], 0
	s_cbranch_vccnz .LBB707_190
; %bb.182:
	global_load_ushort v20, v[18:19], off
	global_load_ushort v21, v[16:17], off
	s_mov_b64 s[18:19], -1
	s_waitcnt vmcnt(0)
	v_cmp_eq_u16_e32 vcc, v20, v21
	s_and_saveexec_b64 s[36:37], vcc
	s_cbranch_execz .LBB707_189
; %bb.183:
	s_add_u32 s18, s26, -1
	v_lshl_add_u64 v[16:17], v[16:17], 0, 2
	v_lshl_add_u64 v[20:21], v[18:19], 0, 2
	s_addc_u32 s19, s27, -1
	s_mov_b64 s[38:39], 0
	s_mov_b64 s[42:43], 0
                                        ; implicit-def: $sgpr40_sgpr41
	s_branch .LBB707_186
.LBB707_184:                            ;   in Loop: Header=BB707_186 Depth=1
	global_load_ushort v22, v[20:21], off
	global_load_ushort v23, v[16:17], off
	s_add_u32 s42, s42, 1
	s_addc_u32 s43, s43, 0
	s_andn2_b64 s[40:41], s[40:41], exec
	v_lshl_add_u64 v[16:17], v[16:17], 0, 2
	v_lshl_add_u64 v[20:21], v[20:21], 0, 2
	s_waitcnt vmcnt(0)
	v_cmp_ne_u16_e32 vcc, v22, v23
	s_and_b64 s[44:45], vcc, exec
	s_or_b64 s[40:41], s[40:41], s[44:45]
.LBB707_185:                            ;   in Loop: Header=BB707_186 Depth=1
	s_and_b64 s[44:45], exec, s[40:41]
	s_or_b64 s[38:39], s[44:45], s[38:39]
	v_mov_b64_e32 v[22:23], s[42:43]
	s_andn2_b64 exec, exec, s[38:39]
	s_cbranch_execz .LBB707_188
.LBB707_186:                            ; =>This Inner Loop Header: Depth=1
	s_or_b64 s[40:41], s[40:41], exec
	s_cmp_eq_u64 s[18:19], s[42:43]
	s_cbranch_scc0 .LBB707_184
; %bb.187:                              ;   in Loop: Header=BB707_186 Depth=1
                                        ; implicit-def: $vgpr16_vgpr17
                                        ; implicit-def: $vgpr20_vgpr21
	s_mov_b64 s[42:43], s[26:27]
	s_branch .LBB707_185
.LBB707_188:
	s_or_b64 exec, exec, s[38:39]
	v_cmp_gt_i64_e32 vcc, s[26:27], v[22:23]
	s_orn2_b64 s[18:19], vcc, exec
.LBB707_189:
	s_or_b64 exec, exec, s[36:37]
.LBB707_190:
	v_mul_lo_u32 v20, v9, s26
	v_mul_lo_u32 v21, v8, s27
	v_mad_u64_u32 v[16:17], s[36:37], v8, s26, 0
	v_add3_u32 v17, v17, v21, v20
	s_and_b64 vcc, exec, s[4:5]
	v_lshl_add_u64 v[16:17], v[16:17], 1, s[28:29]
	s_cbranch_vccnz .LBB707_199
; %bb.191:
	global_load_ushort v20, v[16:17], off
	global_load_ushort v21, v[18:19], off
	s_mov_b64 s[14:15], -1
	s_waitcnt vmcnt(0)
	v_cmp_eq_u16_e32 vcc, v20, v21
	s_and_saveexec_b64 s[36:37], vcc
	s_cbranch_execz .LBB707_198
; %bb.192:
	s_add_u32 s14, s26, -1
	v_lshl_add_u64 v[18:19], v[18:19], 0, 2
	v_lshl_add_u64 v[20:21], v[16:17], 0, 2
	s_addc_u32 s15, s27, -1
	s_mov_b64 s[38:39], 0
	s_mov_b64 s[42:43], 0
                                        ; implicit-def: $sgpr40_sgpr41
	s_branch .LBB707_195
.LBB707_193:                            ;   in Loop: Header=BB707_195 Depth=1
	global_load_ushort v22, v[20:21], off
	global_load_ushort v23, v[18:19], off
	s_add_u32 s42, s42, 1
	s_addc_u32 s43, s43, 0
	s_andn2_b64 s[40:41], s[40:41], exec
	v_lshl_add_u64 v[18:19], v[18:19], 0, 2
	v_lshl_add_u64 v[20:21], v[20:21], 0, 2
	s_waitcnt vmcnt(0)
	v_cmp_ne_u16_e32 vcc, v22, v23
	s_and_b64 s[44:45], vcc, exec
	s_or_b64 s[40:41], s[40:41], s[44:45]
.LBB707_194:                            ;   in Loop: Header=BB707_195 Depth=1
	s_and_b64 s[44:45], exec, s[40:41]
	s_or_b64 s[38:39], s[44:45], s[38:39]
	v_mov_b64_e32 v[22:23], s[42:43]
	s_andn2_b64 exec, exec, s[38:39]
	s_cbranch_execz .LBB707_197
.LBB707_195:                            ; =>This Inner Loop Header: Depth=1
	s_or_b64 s[40:41], s[40:41], exec
	s_cmp_eq_u64 s[14:15], s[42:43]
	s_cbranch_scc0 .LBB707_193
; %bb.196:                              ;   in Loop: Header=BB707_195 Depth=1
                                        ; implicit-def: $vgpr18_vgpr19
                                        ; implicit-def: $vgpr20_vgpr21
	s_mov_b64 s[42:43], s[26:27]
	s_branch .LBB707_194
.LBB707_197:
	s_or_b64 exec, exec, s[38:39]
	v_cmp_gt_i64_e32 vcc, s[26:27], v[22:23]
	s_orn2_b64 s[14:15], vcc, exec
.LBB707_198:
	s_or_b64 exec, exec, s[36:37]
.LBB707_199:
	v_mul_lo_u32 v20, v7, s26
	v_mul_lo_u32 v21, v6, s27
	v_mad_u64_u32 v[18:19], s[36:37], v6, s26, 0
	v_add3_u32 v19, v19, v21, v20
	s_mov_b64 s[36:37], 0
	s_and_b64 vcc, exec, s[4:5]
	v_lshl_add_u64 v[18:19], v[18:19], 1, s[28:29]
	s_mov_b64 s[38:39], 0
	s_cbranch_vccnz .LBB707_208
; %bb.200:
	global_load_ushort v20, v[18:19], off
	global_load_ushort v21, v[16:17], off
	s_mov_b64 s[38:39], -1
	s_waitcnt vmcnt(0)
	v_cmp_eq_u16_e32 vcc, v20, v21
	s_and_saveexec_b64 s[40:41], vcc
	s_cbranch_execz .LBB707_207
; %bb.201:
	s_add_u32 s38, s26, -1
	v_lshl_add_u64 v[16:17], v[16:17], 0, 2
	v_lshl_add_u64 v[20:21], v[18:19], 0, 2
	s_addc_u32 s39, s27, -1
	s_mov_b64 s[42:43], 0
	s_mov_b64 s[46:47], 0
                                        ; implicit-def: $sgpr44_sgpr45
	s_branch .LBB707_204
.LBB707_202:                            ;   in Loop: Header=BB707_204 Depth=1
	global_load_ushort v22, v[20:21], off
	global_load_ushort v23, v[16:17], off
	s_add_u32 s46, s46, 1
	s_addc_u32 s47, s47, 0
	s_andn2_b64 s[44:45], s[44:45], exec
	v_lshl_add_u64 v[16:17], v[16:17], 0, 2
	v_lshl_add_u64 v[20:21], v[20:21], 0, 2
	s_waitcnt vmcnt(0)
	v_cmp_ne_u16_e32 vcc, v22, v23
	s_and_b64 s[48:49], vcc, exec
	s_or_b64 s[44:45], s[44:45], s[48:49]
.LBB707_203:                            ;   in Loop: Header=BB707_204 Depth=1
	s_and_b64 s[48:49], exec, s[44:45]
	s_or_b64 s[42:43], s[48:49], s[42:43]
	v_mov_b64_e32 v[22:23], s[46:47]
	s_andn2_b64 exec, exec, s[42:43]
	s_cbranch_execz .LBB707_206
.LBB707_204:                            ; =>This Inner Loop Header: Depth=1
	s_or_b64 s[44:45], s[44:45], exec
	s_cmp_eq_u64 s[38:39], s[46:47]
	s_cbranch_scc0 .LBB707_202
; %bb.205:                              ;   in Loop: Header=BB707_204 Depth=1
                                        ; implicit-def: $vgpr16_vgpr17
                                        ; implicit-def: $vgpr20_vgpr21
	s_mov_b64 s[46:47], s[26:27]
	s_branch .LBB707_203
.LBB707_206:
	s_or_b64 exec, exec, s[42:43]
	v_cmp_gt_i64_e32 vcc, s[26:27], v[22:23]
	s_orn2_b64 s[38:39], vcc, exec
.LBB707_207:
	s_or_b64 exec, exec, s[40:41]
.LBB707_208:
	v_mul_lo_u32 v20, v13, s26
	v_mul_lo_u32 v21, v12, s27
	v_mad_u64_u32 v[16:17], s[40:41], v12, s26, 0
	v_add3_u32 v17, v17, v21, v20
	s_and_b64 vcc, exec, s[4:5]
	v_lshl_add_u64 v[16:17], v[16:17], 1, s[28:29]
	s_cbranch_vccnz .LBB707_217
; %bb.209:
	global_load_ushort v20, v[16:17], off
	global_load_ushort v21, v[18:19], off
	s_mov_b64 s[36:37], -1
	s_waitcnt vmcnt(0)
	v_cmp_eq_u16_e32 vcc, v20, v21
	s_and_saveexec_b64 s[40:41], vcc
	s_cbranch_execz .LBB707_216
; %bb.210:
	s_add_u32 s36, s26, -1
	v_lshl_add_u64 v[18:19], v[18:19], 0, 2
	v_lshl_add_u64 v[20:21], v[16:17], 0, 2
	s_addc_u32 s37, s27, -1
	s_mov_b64 s[42:43], 0
	s_mov_b64 s[46:47], 0
                                        ; implicit-def: $sgpr44_sgpr45
	s_branch .LBB707_213
.LBB707_211:                            ;   in Loop: Header=BB707_213 Depth=1
	global_load_ushort v22, v[20:21], off
	global_load_ushort v23, v[18:19], off
	s_add_u32 s46, s46, 1
	s_addc_u32 s47, s47, 0
	s_andn2_b64 s[44:45], s[44:45], exec
	v_lshl_add_u64 v[18:19], v[18:19], 0, 2
	v_lshl_add_u64 v[20:21], v[20:21], 0, 2
	s_waitcnt vmcnt(0)
	v_cmp_ne_u16_e32 vcc, v22, v23
	s_and_b64 s[48:49], vcc, exec
	s_or_b64 s[44:45], s[44:45], s[48:49]
.LBB707_212:                            ;   in Loop: Header=BB707_213 Depth=1
	s_and_b64 s[48:49], exec, s[44:45]
	s_or_b64 s[42:43], s[48:49], s[42:43]
	v_mov_b64_e32 v[22:23], s[46:47]
	s_andn2_b64 exec, exec, s[42:43]
	s_cbranch_execz .LBB707_215
.LBB707_213:                            ; =>This Inner Loop Header: Depth=1
	s_or_b64 s[44:45], s[44:45], exec
	s_cmp_eq_u64 s[36:37], s[46:47]
	s_cbranch_scc0 .LBB707_211
; %bb.214:                              ;   in Loop: Header=BB707_213 Depth=1
                                        ; implicit-def: $vgpr18_vgpr19
                                        ; implicit-def: $vgpr20_vgpr21
	s_mov_b64 s[46:47], s[26:27]
	s_branch .LBB707_212
.LBB707_215:
	s_or_b64 exec, exec, s[42:43]
	v_cmp_gt_i64_e32 vcc, s[26:27], v[22:23]
	s_orn2_b64 s[36:37], vcc, exec
.LBB707_216:
	s_or_b64 exec, exec, s[40:41]
.LBB707_217:
	v_mul_lo_u32 v20, v11, s26
	v_mul_lo_u32 v21, v10, s27
	v_mad_u64_u32 v[18:19], s[40:41], v10, s26, 0
	v_add3_u32 v19, v19, v21, v20
	s_and_b64 vcc, exec, s[4:5]
	s_mov_b64 s[42:43], 0
	s_cbranch_vccnz .LBB707_226
; %bb.218:
	v_lshl_add_u64 v[20:21], v[18:19], 1, s[28:29]
	global_load_ushort v22, v[20:21], off
	global_load_ushort v23, v[16:17], off
	s_mov_b64 s[42:43], -1
	s_waitcnt vmcnt(0)
	v_cmp_eq_u16_e32 vcc, v22, v23
	s_and_saveexec_b64 s[40:41], vcc
	s_cbranch_execz .LBB707_225
; %bb.219:
	s_add_u32 s42, s26, -1
	v_lshl_add_u64 v[16:17], v[16:17], 0, 2
	v_lshl_add_u64 v[20:21], v[20:21], 0, 2
	s_addc_u32 s43, s27, -1
	s_mov_b64 s[44:45], 0
	s_mov_b64 s[48:49], 0
                                        ; implicit-def: $sgpr46_sgpr47
	s_branch .LBB707_222
.LBB707_220:                            ;   in Loop: Header=BB707_222 Depth=1
	global_load_ushort v22, v[20:21], off
	global_load_ushort v23, v[16:17], off
	s_add_u32 s48, s48, 1
	s_addc_u32 s49, s49, 0
	s_andn2_b64 s[46:47], s[46:47], exec
	v_lshl_add_u64 v[16:17], v[16:17], 0, 2
	v_lshl_add_u64 v[20:21], v[20:21], 0, 2
	s_waitcnt vmcnt(0)
	v_cmp_ne_u16_e32 vcc, v22, v23
	s_and_b64 s[50:51], vcc, exec
	s_or_b64 s[46:47], s[46:47], s[50:51]
.LBB707_221:                            ;   in Loop: Header=BB707_222 Depth=1
	s_and_b64 s[50:51], exec, s[46:47]
	s_or_b64 s[44:45], s[50:51], s[44:45]
	v_mov_b64_e32 v[22:23], s[48:49]
	s_andn2_b64 exec, exec, s[44:45]
	s_cbranch_execz .LBB707_224
.LBB707_222:                            ; =>This Inner Loop Header: Depth=1
	s_or_b64 s[46:47], s[46:47], exec
	s_cmp_eq_u64 s[42:43], s[48:49]
	s_cbranch_scc0 .LBB707_220
; %bb.223:                              ;   in Loop: Header=BB707_222 Depth=1
                                        ; implicit-def: $vgpr16_vgpr17
                                        ; implicit-def: $vgpr20_vgpr21
	s_mov_b64 s[48:49], s[26:27]
	s_branch .LBB707_221
.LBB707_224:
	s_or_b64 exec, exec, s[44:45]
	v_cmp_gt_i64_e32 vcc, s[26:27], v[22:23]
	s_orn2_b64 s[42:43], vcc, exec
.LBB707_225:
	s_or_b64 exec, exec, s[40:41]
.LBB707_226:
	v_cndmask_b32_e64 v17, 0, 1, s[38:39]
	v_cndmask_b32_e64 v16, 0, 1, s[36:37]
	;; [unrolled: 1-line block ×3, first 2 shown]
	v_lshlrev_b16_e32 v17, 8, v17
	v_cndmask_b32_e64 v32, 0, 1, s[14:15]
	v_cndmask_b32_e64 v20, 0, 1, s[42:43]
	v_or_b32_sdwa v16, v16, v17 dst_sel:WORD_1 dst_unused:UNUSED_PAD src0_sel:DWORD src1_sel:DWORD
	v_lshlrev_b16_e32 v17, 8, v33
	v_lshlrev_b16_e32 v20, 8, v20
	v_or_b32_e32 v17, v32, v17
	v_or_b32_e32 v20, 1, v20
	v_and_b32_e32 v17, 0xffff, v17
	v_cndmask_b32_e64 v34, 0, 1, s[12:13]
	v_or_b32_sdwa v16, v20, v16 dst_sel:DWORD dst_unused:UNUSED_PAD src0_sel:WORD_0 src1_sel:DWORD
	v_lshl_or_b32 v17, v34, 16, v17
	v_cmp_ne_u32_e32 vcc, 0, v0
	s_waitcnt lgkmcnt(0)
	s_barrier
	s_waitcnt lgkmcnt(0)
                                        ; implicit-def: $sgpr18_sgpr19
                                        ; implicit-def: $vgpr20
	s_and_saveexec_b64 s[12:13], vcc
	s_xor_b64 s[12:13], exec, s[12:13]
	s_cbranch_execz .LBB707_237
; %bb.227:
	s_mov_b32 s33, 0x3020104
	s_and_b64 vcc, exec, s[4:5]
	s_mov_b64 s[14:15], 0
	s_cbranch_vccnz .LBB707_236
; %bb.228:
	v_add_u32_e32 v17, -8, v30
	ds_read_b64 v[20:21], v17
	v_lshl_add_u64 v[18:19], v[18:19], 1, s[28:29]
	s_mov_b64 s[14:15], -1
	s_waitcnt lgkmcnt(0)
	v_mul_lo_u32 v17, v21, s26
	v_mul_lo_u32 v22, v20, s27
	v_mad_u64_u32 v[20:21], s[4:5], v20, s26, 0
	v_add3_u32 v21, v21, v22, v17
	v_lshl_add_u64 v[20:21], v[20:21], 1, s[28:29]
	global_load_ushort v17, v[20:21], off
	global_load_ushort v22, v[18:19], off
	s_waitcnt vmcnt(0)
	v_cmp_eq_u16_e32 vcc, v17, v22
	s_and_saveexec_b64 s[4:5], vcc
	s_cbranch_execz .LBB707_235
; %bb.229:
	s_add_u32 s14, s26, -1
	v_lshl_add_u64 v[18:19], v[18:19], 0, 2
	v_lshl_add_u64 v[20:21], v[20:21], 0, 2
	s_addc_u32 s15, s27, -1
	s_mov_b64 s[18:19], 0
	s_mov_b64 s[38:39], 0
                                        ; implicit-def: $sgpr36_sgpr37
	s_branch .LBB707_232
.LBB707_230:                            ;   in Loop: Header=BB707_232 Depth=1
	global_load_ushort v17, v[20:21], off
	global_load_ushort v22, v[18:19], off
	s_add_u32 s38, s38, 1
	s_addc_u32 s39, s39, 0
	s_andn2_b64 s[36:37], s[36:37], exec
	v_lshl_add_u64 v[18:19], v[18:19], 0, 2
	v_lshl_add_u64 v[20:21], v[20:21], 0, 2
	s_waitcnt vmcnt(0)
	v_cmp_ne_u16_e32 vcc, v17, v22
	s_and_b64 s[40:41], vcc, exec
	s_or_b64 s[36:37], s[36:37], s[40:41]
.LBB707_231:                            ;   in Loop: Header=BB707_232 Depth=1
	s_and_b64 s[40:41], exec, s[36:37]
	s_or_b64 s[18:19], s[40:41], s[18:19]
	v_mov_b64_e32 v[22:23], s[38:39]
	s_andn2_b64 exec, exec, s[18:19]
	s_cbranch_execz .LBB707_234
.LBB707_232:                            ; =>This Inner Loop Header: Depth=1
	s_or_b64 s[36:37], s[36:37], exec
	s_cmp_eq_u64 s[14:15], s[38:39]
	s_cbranch_scc0 .LBB707_230
; %bb.233:                              ;   in Loop: Header=BB707_232 Depth=1
                                        ; implicit-def: $vgpr18_vgpr19
                                        ; implicit-def: $vgpr20_vgpr21
	s_mov_b64 s[38:39], s[26:27]
	s_branch .LBB707_231
.LBB707_234:
	s_or_b64 exec, exec, s[18:19]
	v_cmp_gt_i64_e32 vcc, s[26:27], v[22:23]
	s_orn2_b64 s[14:15], vcc, exec
.LBB707_235:
	s_or_b64 exec, exec, s[4:5]
.LBB707_236:
	v_perm_b32 v20, v16, v16, s33
	s_and_b64 s[18:19], s[14:15], exec
	s_or_b64 s[10:11], s[10:11], exec
                                        ; implicit-def: $vgpr16_vgpr17
.LBB707_237:
	s_or_b64 exec, exec, s[12:13]
	s_branch .LBB707_318
.LBB707_238:
	v_cmp_gt_u32_e32 vcc, s3, v27
	s_mov_b64 s[12:13], 0
	s_mov_b64 s[4:5], 0
	s_and_saveexec_b64 s[14:15], vcc
	s_cbranch_execz .LBB707_249
; %bb.239:
	s_andn2_b64 vcc, exec, s[6:7]
	s_mov_b64 s[18:19], 0
	s_cbranch_vccnz .LBB707_248
; %bb.240:
	v_mul_lo_u32 v18, v5, s26
	v_mul_lo_u32 v19, v4, s27
	v_mad_u64_u32 v[16:17], s[4:5], v4, s26, 0
	v_add3_u32 v17, v17, v19, v18
	v_mul_lo_u32 v18, v15, s26
	v_mul_lo_u32 v19, v14, s27
	v_mad_u64_u32 v[20:21], s[4:5], v14, s26, 0
	v_add3_u32 v21, v21, v19, v18
	v_lshl_add_u64 v[18:19], v[16:17], 1, s[28:29]
	v_lshl_add_u64 v[16:17], v[20:21], 1, s[28:29]
	global_load_ushort v20, v[18:19], off
	global_load_ushort v21, v[16:17], off
	s_mov_b64 s[18:19], -1
	s_waitcnt vmcnt(0)
	v_cmp_eq_u16_e32 vcc, v20, v21
	s_and_saveexec_b64 s[4:5], vcc
	s_cbranch_execz .LBB707_247
; %bb.241:
	s_add_u32 s18, s26, -1
	v_lshl_add_u64 v[16:17], v[16:17], 0, 2
	v_lshl_add_u64 v[18:19], v[18:19], 0, 2
	s_addc_u32 s19, s27, -1
	s_mov_b64 s[36:37], 0
	s_mov_b64 s[40:41], 0
                                        ; implicit-def: $sgpr38_sgpr39
	s_branch .LBB707_244
.LBB707_242:                            ;   in Loop: Header=BB707_244 Depth=1
	global_load_ushort v20, v[18:19], off
	global_load_ushort v21, v[16:17], off
	s_add_u32 s40, s40, 1
	s_addc_u32 s41, s41, 0
	s_andn2_b64 s[38:39], s[38:39], exec
	v_lshl_add_u64 v[16:17], v[16:17], 0, 2
	v_lshl_add_u64 v[18:19], v[18:19], 0, 2
	s_waitcnt vmcnt(0)
	v_cmp_ne_u16_e32 vcc, v20, v21
	s_and_b64 s[42:43], vcc, exec
	s_or_b64 s[38:39], s[38:39], s[42:43]
.LBB707_243:                            ;   in Loop: Header=BB707_244 Depth=1
	s_and_b64 s[42:43], exec, s[38:39]
	s_or_b64 s[36:37], s[42:43], s[36:37]
	v_mov_b64_e32 v[20:21], s[40:41]
	s_andn2_b64 exec, exec, s[36:37]
	s_cbranch_execz .LBB707_246
.LBB707_244:                            ; =>This Inner Loop Header: Depth=1
	s_or_b64 s[38:39], s[38:39], exec
	s_cmp_eq_u64 s[18:19], s[40:41]
	s_cbranch_scc0 .LBB707_242
; %bb.245:                              ;   in Loop: Header=BB707_244 Depth=1
                                        ; implicit-def: $vgpr16_vgpr17
                                        ; implicit-def: $vgpr18_vgpr19
	s_mov_b64 s[40:41], s[26:27]
	s_branch .LBB707_243
.LBB707_246:
	s_or_b64 exec, exec, s[36:37]
	v_cmp_gt_i64_e32 vcc, s[26:27], v[20:21]
	s_orn2_b64 s[18:19], vcc, exec
.LBB707_247:
	s_or_b64 exec, exec, s[4:5]
.LBB707_248:
	s_and_b64 s[4:5], s[18:19], exec
.LBB707_249:
	s_or_b64 exec, exec, s[14:15]
	v_cmp_gt_u32_e32 vcc, s3, v29
	s_and_saveexec_b64 s[14:15], vcc
	s_cbranch_execz .LBB707_260
; %bb.250:
	s_andn2_b64 vcc, exec, s[6:7]
	s_mov_b64 s[18:19], 0
	s_cbranch_vccnz .LBB707_259
; %bb.251:
	v_mul_lo_u32 v18, v3, s26
	v_mul_lo_u32 v19, v2, s27
	v_mad_u64_u32 v[16:17], s[12:13], v2, s26, 0
	v_add3_u32 v17, v17, v19, v18
	v_mul_lo_u32 v18, v5, s26
	v_mul_lo_u32 v19, v4, s27
	v_mad_u64_u32 v[20:21], s[12:13], v4, s26, 0
	v_add3_u32 v21, v21, v19, v18
	v_lshl_add_u64 v[18:19], v[16:17], 1, s[28:29]
	v_lshl_add_u64 v[16:17], v[20:21], 1, s[28:29]
	global_load_ushort v20, v[18:19], off
	global_load_ushort v21, v[16:17], off
	s_mov_b64 s[18:19], -1
	s_waitcnt vmcnt(0)
	v_cmp_eq_u16_e32 vcc, v20, v21
	s_and_saveexec_b64 s[12:13], vcc
	s_cbranch_execz .LBB707_258
; %bb.252:
	s_add_u32 s18, s26, -1
	v_lshl_add_u64 v[16:17], v[16:17], 0, 2
	v_lshl_add_u64 v[18:19], v[18:19], 0, 2
	s_addc_u32 s19, s27, -1
	s_mov_b64 s[36:37], 0
	s_mov_b64 s[40:41], 0
                                        ; implicit-def: $sgpr38_sgpr39
	s_branch .LBB707_255
.LBB707_253:                            ;   in Loop: Header=BB707_255 Depth=1
	global_load_ushort v20, v[18:19], off
	global_load_ushort v21, v[16:17], off
	s_add_u32 s40, s40, 1
	s_addc_u32 s41, s41, 0
	s_andn2_b64 s[38:39], s[38:39], exec
	v_lshl_add_u64 v[16:17], v[16:17], 0, 2
	v_lshl_add_u64 v[18:19], v[18:19], 0, 2
	s_waitcnt vmcnt(0)
	v_cmp_ne_u16_e32 vcc, v20, v21
	s_and_b64 s[42:43], vcc, exec
	s_or_b64 s[38:39], s[38:39], s[42:43]
.LBB707_254:                            ;   in Loop: Header=BB707_255 Depth=1
	s_and_b64 s[42:43], exec, s[38:39]
	s_or_b64 s[36:37], s[42:43], s[36:37]
	v_mov_b64_e32 v[20:21], s[40:41]
	s_andn2_b64 exec, exec, s[36:37]
	s_cbranch_execz .LBB707_257
.LBB707_255:                            ; =>This Inner Loop Header: Depth=1
	s_or_b64 s[38:39], s[38:39], exec
	s_cmp_eq_u64 s[18:19], s[40:41]
	s_cbranch_scc0 .LBB707_253
; %bb.256:                              ;   in Loop: Header=BB707_255 Depth=1
                                        ; implicit-def: $vgpr16_vgpr17
                                        ; implicit-def: $vgpr18_vgpr19
	s_mov_b64 s[40:41], s[26:27]
	s_branch .LBB707_254
.LBB707_257:
	s_or_b64 exec, exec, s[36:37]
	v_cmp_gt_i64_e32 vcc, s[26:27], v[20:21]
	s_orn2_b64 s[18:19], vcc, exec
.LBB707_258:
	s_or_b64 exec, exec, s[12:13]
.LBB707_259:
	s_and_b64 s[12:13], s[18:19], exec
.LBB707_260:
	s_or_b64 exec, exec, s[14:15]
	v_cmp_gt_u32_e32 vcc, s3, v26
	s_mov_b64 s[18:19], 0
	s_mov_b64 s[14:15], 0
	s_and_saveexec_b64 s[36:37], vcc
	s_cbranch_execz .LBB707_271
; %bb.261:
	s_andn2_b64 vcc, exec, s[6:7]
	s_mov_b64 s[38:39], 0
	s_cbranch_vccnz .LBB707_270
; %bb.262:
	v_mul_lo_u32 v18, v9, s26
	v_mul_lo_u32 v19, v8, s27
	v_mad_u64_u32 v[16:17], s[14:15], v8, s26, 0
	v_add3_u32 v17, v17, v19, v18
	v_mul_lo_u32 v18, v3, s26
	v_mul_lo_u32 v19, v2, s27
	v_mad_u64_u32 v[20:21], s[14:15], v2, s26, 0
	v_add3_u32 v21, v21, v19, v18
	v_lshl_add_u64 v[18:19], v[16:17], 1, s[28:29]
	v_lshl_add_u64 v[16:17], v[20:21], 1, s[28:29]
	global_load_ushort v20, v[18:19], off
	global_load_ushort v21, v[16:17], off
	s_mov_b64 s[38:39], -1
	s_waitcnt vmcnt(0)
	v_cmp_eq_u16_e32 vcc, v20, v21
	s_and_saveexec_b64 s[14:15], vcc
	s_cbranch_execz .LBB707_269
; %bb.263:
	s_add_u32 s38, s26, -1
	v_lshl_add_u64 v[16:17], v[16:17], 0, 2
	v_lshl_add_u64 v[18:19], v[18:19], 0, 2
	s_addc_u32 s39, s27, -1
	s_mov_b64 s[40:41], 0
	s_mov_b64 s[44:45], 0
                                        ; implicit-def: $sgpr42_sgpr43
	s_branch .LBB707_266
.LBB707_264:                            ;   in Loop: Header=BB707_266 Depth=1
	global_load_ushort v20, v[18:19], off
	global_load_ushort v21, v[16:17], off
	s_add_u32 s44, s44, 1
	s_addc_u32 s45, s45, 0
	s_andn2_b64 s[42:43], s[42:43], exec
	v_lshl_add_u64 v[16:17], v[16:17], 0, 2
	v_lshl_add_u64 v[18:19], v[18:19], 0, 2
	s_waitcnt vmcnt(0)
	v_cmp_ne_u16_e32 vcc, v20, v21
	s_and_b64 s[46:47], vcc, exec
	s_or_b64 s[42:43], s[42:43], s[46:47]
.LBB707_265:                            ;   in Loop: Header=BB707_266 Depth=1
	s_and_b64 s[46:47], exec, s[42:43]
	s_or_b64 s[40:41], s[46:47], s[40:41]
	v_mov_b64_e32 v[20:21], s[44:45]
	s_andn2_b64 exec, exec, s[40:41]
	s_cbranch_execz .LBB707_268
.LBB707_266:                            ; =>This Inner Loop Header: Depth=1
	s_or_b64 s[42:43], s[42:43], exec
	s_cmp_eq_u64 s[38:39], s[44:45]
	s_cbranch_scc0 .LBB707_264
; %bb.267:                              ;   in Loop: Header=BB707_266 Depth=1
                                        ; implicit-def: $vgpr16_vgpr17
                                        ; implicit-def: $vgpr18_vgpr19
	s_mov_b64 s[44:45], s[26:27]
	s_branch .LBB707_265
.LBB707_268:
	s_or_b64 exec, exec, s[40:41]
	v_cmp_gt_i64_e32 vcc, s[26:27], v[20:21]
	s_orn2_b64 s[38:39], vcc, exec
.LBB707_269:
	s_or_b64 exec, exec, s[14:15]
.LBB707_270:
	s_and_b64 s[14:15], s[38:39], exec
.LBB707_271:
	s_or_b64 exec, exec, s[36:37]
	v_cmp_gt_u32_e32 vcc, s3, v28
	s_and_saveexec_b64 s[36:37], vcc
	s_cbranch_execz .LBB707_282
; %bb.272:
	s_andn2_b64 vcc, exec, s[6:7]
	s_mov_b64 s[38:39], 0
	s_cbranch_vccnz .LBB707_281
; %bb.273:
	v_mul_lo_u32 v18, v7, s26
	v_mul_lo_u32 v19, v6, s27
	v_mad_u64_u32 v[16:17], s[18:19], v6, s26, 0
	v_add3_u32 v17, v17, v19, v18
	v_mul_lo_u32 v18, v9, s26
	v_mul_lo_u32 v19, v8, s27
	v_mad_u64_u32 v[20:21], s[18:19], v8, s26, 0
	v_add3_u32 v21, v21, v19, v18
	v_lshl_add_u64 v[18:19], v[16:17], 1, s[28:29]
	v_lshl_add_u64 v[16:17], v[20:21], 1, s[28:29]
	global_load_ushort v20, v[18:19], off
	global_load_ushort v21, v[16:17], off
	s_mov_b64 s[38:39], -1
	s_waitcnt vmcnt(0)
	v_cmp_eq_u16_e32 vcc, v20, v21
	s_and_saveexec_b64 s[18:19], vcc
	s_cbranch_execz .LBB707_280
; %bb.274:
	s_add_u32 s38, s26, -1
	v_lshl_add_u64 v[16:17], v[16:17], 0, 2
	v_lshl_add_u64 v[18:19], v[18:19], 0, 2
	s_addc_u32 s39, s27, -1
	s_mov_b64 s[40:41], 0
	s_mov_b64 s[44:45], 0
                                        ; implicit-def: $sgpr42_sgpr43
	s_branch .LBB707_277
.LBB707_275:                            ;   in Loop: Header=BB707_277 Depth=1
	global_load_ushort v20, v[18:19], off
	global_load_ushort v21, v[16:17], off
	s_add_u32 s44, s44, 1
	s_addc_u32 s45, s45, 0
	s_andn2_b64 s[42:43], s[42:43], exec
	v_lshl_add_u64 v[16:17], v[16:17], 0, 2
	v_lshl_add_u64 v[18:19], v[18:19], 0, 2
	s_waitcnt vmcnt(0)
	v_cmp_ne_u16_e32 vcc, v20, v21
	s_and_b64 s[46:47], vcc, exec
	s_or_b64 s[42:43], s[42:43], s[46:47]
.LBB707_276:                            ;   in Loop: Header=BB707_277 Depth=1
	s_and_b64 s[46:47], exec, s[42:43]
	s_or_b64 s[40:41], s[46:47], s[40:41]
	v_mov_b64_e32 v[20:21], s[44:45]
	s_andn2_b64 exec, exec, s[40:41]
	s_cbranch_execz .LBB707_279
.LBB707_277:                            ; =>This Inner Loop Header: Depth=1
	s_or_b64 s[42:43], s[42:43], exec
	s_cmp_eq_u64 s[38:39], s[44:45]
	s_cbranch_scc0 .LBB707_275
; %bb.278:                              ;   in Loop: Header=BB707_277 Depth=1
                                        ; implicit-def: $vgpr16_vgpr17
                                        ; implicit-def: $vgpr18_vgpr19
	s_mov_b64 s[44:45], s[26:27]
	s_branch .LBB707_276
.LBB707_279:
	s_or_b64 exec, exec, s[40:41]
	v_cmp_gt_i64_e32 vcc, s[26:27], v[20:21]
	s_orn2_b64 s[38:39], vcc, exec
.LBB707_280:
	s_or_b64 exec, exec, s[18:19]
.LBB707_281:
	s_and_b64 s[18:19], s[38:39], exec
.LBB707_282:
	s_or_b64 exec, exec, s[36:37]
	v_cmp_gt_u32_e32 vcc, s3, v24
	s_mov_b64 s[36:37], 0
	s_mov_b64 s[38:39], 0
	s_and_saveexec_b64 s[40:41], vcc
	s_cbranch_execz .LBB707_293
; %bb.283:
	s_andn2_b64 vcc, exec, s[6:7]
	s_mov_b64 s[42:43], 0
	s_cbranch_vccnz .LBB707_292
; %bb.284:
	v_mul_lo_u32 v18, v13, s26
	v_mul_lo_u32 v19, v12, s27
	v_mad_u64_u32 v[16:17], s[38:39], v12, s26, 0
	v_add3_u32 v17, v17, v19, v18
	v_mul_lo_u32 v18, v7, s26
	v_mul_lo_u32 v19, v6, s27
	v_mad_u64_u32 v[20:21], s[38:39], v6, s26, 0
	v_add3_u32 v21, v21, v19, v18
	v_lshl_add_u64 v[18:19], v[16:17], 1, s[28:29]
	v_lshl_add_u64 v[16:17], v[20:21], 1, s[28:29]
	global_load_ushort v20, v[18:19], off
	global_load_ushort v21, v[16:17], off
	s_mov_b64 s[42:43], -1
	s_waitcnt vmcnt(0)
	v_cmp_eq_u16_e32 vcc, v20, v21
	s_and_saveexec_b64 s[38:39], vcc
	s_cbranch_execz .LBB707_291
; %bb.285:
	s_add_u32 s42, s26, -1
	v_lshl_add_u64 v[16:17], v[16:17], 0, 2
	v_lshl_add_u64 v[18:19], v[18:19], 0, 2
	s_addc_u32 s43, s27, -1
	s_mov_b64 s[44:45], 0
	s_mov_b64 s[48:49], 0
                                        ; implicit-def: $sgpr46_sgpr47
	s_branch .LBB707_288
.LBB707_286:                            ;   in Loop: Header=BB707_288 Depth=1
	global_load_ushort v20, v[18:19], off
	global_load_ushort v21, v[16:17], off
	s_add_u32 s48, s48, 1
	s_addc_u32 s49, s49, 0
	s_andn2_b64 s[46:47], s[46:47], exec
	v_lshl_add_u64 v[16:17], v[16:17], 0, 2
	v_lshl_add_u64 v[18:19], v[18:19], 0, 2
	s_waitcnt vmcnt(0)
	v_cmp_ne_u16_e32 vcc, v20, v21
	s_and_b64 s[50:51], vcc, exec
	s_or_b64 s[46:47], s[46:47], s[50:51]
.LBB707_287:                            ;   in Loop: Header=BB707_288 Depth=1
	s_and_b64 s[50:51], exec, s[46:47]
	s_or_b64 s[44:45], s[50:51], s[44:45]
	v_mov_b64_e32 v[20:21], s[48:49]
	s_andn2_b64 exec, exec, s[44:45]
	s_cbranch_execz .LBB707_290
.LBB707_288:                            ; =>This Inner Loop Header: Depth=1
	s_or_b64 s[46:47], s[46:47], exec
	s_cmp_eq_u64 s[42:43], s[48:49]
	s_cbranch_scc0 .LBB707_286
; %bb.289:                              ;   in Loop: Header=BB707_288 Depth=1
                                        ; implicit-def: $vgpr16_vgpr17
                                        ; implicit-def: $vgpr18_vgpr19
	s_mov_b64 s[48:49], s[26:27]
	s_branch .LBB707_287
.LBB707_290:
	s_or_b64 exec, exec, s[44:45]
	v_cmp_gt_i64_e32 vcc, s[26:27], v[20:21]
	s_orn2_b64 s[42:43], vcc, exec
.LBB707_291:
	s_or_b64 exec, exec, s[38:39]
.LBB707_292:
	s_and_b64 s[38:39], s[42:43], exec
.LBB707_293:
	s_or_b64 exec, exec, s[40:41]
	v_cmp_gt_u32_e32 vcc, s3, v25
	s_and_saveexec_b64 s[40:41], vcc
	s_cbranch_execz .LBB707_304
; %bb.294:
	s_andn2_b64 vcc, exec, s[6:7]
	s_mov_b64 s[42:43], 0
	s_cbranch_vccnz .LBB707_303
; %bb.295:
	v_mul_lo_u32 v18, v11, s26
	v_mul_lo_u32 v19, v10, s27
	v_mad_u64_u32 v[16:17], s[36:37], v10, s26, 0
	v_add3_u32 v17, v17, v19, v18
	v_mul_lo_u32 v18, v13, s26
	v_mul_lo_u32 v19, v12, s27
	v_mad_u64_u32 v[20:21], s[36:37], v12, s26, 0
	v_add3_u32 v21, v21, v19, v18
	v_lshl_add_u64 v[18:19], v[16:17], 1, s[28:29]
	v_lshl_add_u64 v[16:17], v[20:21], 1, s[28:29]
	global_load_ushort v20, v[18:19], off
	global_load_ushort v21, v[16:17], off
	s_mov_b64 s[42:43], -1
	s_waitcnt vmcnt(0)
	v_cmp_eq_u16_e32 vcc, v20, v21
	s_and_saveexec_b64 s[36:37], vcc
	s_cbranch_execz .LBB707_302
; %bb.296:
	s_add_u32 s42, s26, -1
	v_lshl_add_u64 v[16:17], v[16:17], 0, 2
	v_lshl_add_u64 v[18:19], v[18:19], 0, 2
	s_addc_u32 s43, s27, -1
	s_mov_b64 s[44:45], 0
	s_mov_b64 s[48:49], 0
                                        ; implicit-def: $sgpr46_sgpr47
	s_branch .LBB707_299
.LBB707_297:                            ;   in Loop: Header=BB707_299 Depth=1
	global_load_ushort v20, v[18:19], off
	global_load_ushort v21, v[16:17], off
	s_add_u32 s48, s48, 1
	s_addc_u32 s49, s49, 0
	s_andn2_b64 s[46:47], s[46:47], exec
	v_lshl_add_u64 v[16:17], v[16:17], 0, 2
	v_lshl_add_u64 v[18:19], v[18:19], 0, 2
	s_waitcnt vmcnt(0)
	v_cmp_ne_u16_e32 vcc, v20, v21
	s_and_b64 s[50:51], vcc, exec
	s_or_b64 s[46:47], s[46:47], s[50:51]
.LBB707_298:                            ;   in Loop: Header=BB707_299 Depth=1
	s_and_b64 s[50:51], exec, s[46:47]
	s_or_b64 s[44:45], s[50:51], s[44:45]
	v_mov_b64_e32 v[20:21], s[48:49]
	s_andn2_b64 exec, exec, s[44:45]
	s_cbranch_execz .LBB707_301
.LBB707_299:                            ; =>This Inner Loop Header: Depth=1
	s_or_b64 s[46:47], s[46:47], exec
	s_cmp_eq_u64 s[42:43], s[48:49]
	s_cbranch_scc0 .LBB707_297
; %bb.300:                              ;   in Loop: Header=BB707_299 Depth=1
                                        ; implicit-def: $vgpr16_vgpr17
                                        ; implicit-def: $vgpr18_vgpr19
	s_mov_b64 s[48:49], s[26:27]
	s_branch .LBB707_298
.LBB707_301:
	s_or_b64 exec, exec, s[44:45]
	v_cmp_gt_i64_e32 vcc, s[26:27], v[20:21]
	s_orn2_b64 s[42:43], vcc, exec
.LBB707_302:
	s_or_b64 exec, exec, s[36:37]
.LBB707_303:
	s_and_b64 s[36:37], s[42:43], exec
.LBB707_304:
	s_or_b64 exec, exec, s[40:41]
	v_cndmask_b32_e64 v17, 0, 1, s[18:19]
	v_cndmask_b32_e64 v16, 0, 1, s[38:39]
	;; [unrolled: 1-line block ×3, first 2 shown]
	v_lshlrev_b16_e32 v17, 8, v17
	v_cndmask_b32_e64 v32, 0, 1, s[14:15]
	v_cndmask_b32_e64 v18, 0, 1, s[36:37]
	v_or_b32_sdwa v16, v16, v17 dst_sel:WORD_1 dst_unused:UNUSED_PAD src0_sel:DWORD src1_sel:DWORD
	v_lshlrev_b16_e32 v17, 8, v33
	v_lshlrev_b16_e32 v18, 8, v18
	v_or_b32_e32 v17, v32, v17
	v_or_b32_e32 v18, 1, v18
	v_and_b32_e32 v17, 0xffff, v17
	v_cndmask_b32_e64 v34, 0, 1, s[4:5]
	v_or_b32_sdwa v16, v18, v16 dst_sel:DWORD dst_unused:UNUSED_PAD src0_sel:WORD_0 src1_sel:DWORD
	v_lshl_or_b32 v17, v34, 16, v17
	v_cmp_ne_u32_e32 vcc, 0, v0
	s_waitcnt lgkmcnt(0)
	s_barrier
	s_waitcnt lgkmcnt(0)
                                        ; implicit-def: $sgpr18_sgpr19
                                        ; implicit-def: $vgpr20
	s_and_saveexec_b64 s[4:5], vcc
	s_cbranch_execz .LBB707_317
; %bb.305:
	v_cmp_gt_u32_e32 vcc, s3, v1
	s_mov_b32 s33, 0x3020104
	s_mov_b64 s[14:15], 0
	s_and_saveexec_b64 s[12:13], vcc
	s_cbranch_execz .LBB707_316
; %bb.306:
	s_andn2_b64 vcc, exec, s[6:7]
	s_cbranch_vccnz .LBB707_315
; %bb.307:
	v_add_u32_e32 v17, -8, v30
	ds_read_b64 v[18:19], v17
	v_mul_lo_u32 v17, v11, s26
	v_mad_u64_u32 v[22:23], s[6:7], v10, s26, 0
	s_mov_b64 s[14:15], -1
	s_waitcnt lgkmcnt(0)
	v_mul_lo_u32 v20, v19, s26
	v_mul_lo_u32 v21, v18, s27
	v_mad_u64_u32 v[18:19], s[6:7], v18, s26, 0
	v_add3_u32 v19, v19, v21, v20
	v_mul_lo_u32 v20, v10, s27
	v_add3_u32 v23, v23, v20, v17
	v_lshl_add_u64 v[20:21], v[18:19], 1, s[28:29]
	v_lshl_add_u64 v[18:19], v[22:23], 1, s[28:29]
	global_load_ushort v17, v[20:21], off
	global_load_ushort v22, v[18:19], off
	s_waitcnt vmcnt(0)
	v_cmp_eq_u16_e32 vcc, v17, v22
	s_and_saveexec_b64 s[6:7], vcc
	s_cbranch_execz .LBB707_314
; %bb.308:
	s_add_u32 s14, s26, -1
	v_lshl_add_u64 v[18:19], v[18:19], 0, 2
	v_lshl_add_u64 v[20:21], v[20:21], 0, 2
	s_addc_u32 s15, s27, -1
	s_mov_b64 s[18:19], 0
	s_mov_b64 s[36:37], 0
                                        ; implicit-def: $sgpr28_sgpr29
	s_branch .LBB707_311
.LBB707_309:                            ;   in Loop: Header=BB707_311 Depth=1
	global_load_ushort v17, v[20:21], off
	global_load_ushort v22, v[18:19], off
	s_add_u32 s36, s36, 1
	s_addc_u32 s37, s37, 0
	s_andn2_b64 s[28:29], s[28:29], exec
	v_lshl_add_u64 v[18:19], v[18:19], 0, 2
	v_lshl_add_u64 v[20:21], v[20:21], 0, 2
	s_waitcnt vmcnt(0)
	v_cmp_ne_u16_e32 vcc, v17, v22
	s_and_b64 s[38:39], vcc, exec
	s_or_b64 s[28:29], s[28:29], s[38:39]
.LBB707_310:                            ;   in Loop: Header=BB707_311 Depth=1
	s_and_b64 s[38:39], exec, s[28:29]
	s_or_b64 s[18:19], s[38:39], s[18:19]
	v_mov_b64_e32 v[22:23], s[36:37]
	s_andn2_b64 exec, exec, s[18:19]
	s_cbranch_execz .LBB707_313
.LBB707_311:                            ; =>This Inner Loop Header: Depth=1
	s_or_b64 s[28:29], s[28:29], exec
	s_cmp_eq_u64 s[14:15], s[36:37]
	s_cbranch_scc0 .LBB707_309
; %bb.312:                              ;   in Loop: Header=BB707_311 Depth=1
                                        ; implicit-def: $vgpr18_vgpr19
                                        ; implicit-def: $vgpr20_vgpr21
	s_mov_b64 s[36:37], s[26:27]
	s_branch .LBB707_310
.LBB707_313:
	s_or_b64 exec, exec, s[18:19]
	v_cmp_gt_i64_e32 vcc, s[26:27], v[22:23]
	s_orn2_b64 s[14:15], vcc, exec
.LBB707_314:
	s_or_b64 exec, exec, s[6:7]
.LBB707_315:
	s_and_b64 s[14:15], s[14:15], exec
.LBB707_316:
	s_or_b64 exec, exec, s[12:13]
	v_perm_b32 v20, v16, v16, s33
	s_and_b64 s[18:19], s[14:15], exec
	s_or_b64 s[10:11], s[10:11], exec
                                        ; implicit-def: $vgpr16_vgpr17
.LBB707_317:
	s_or_b64 exec, exec, s[4:5]
.LBB707_318:
	s_and_saveexec_b64 s[4:5], s[10:11]
	s_cbranch_execz .LBB707_320
; %bb.319:
	s_waitcnt lgkmcnt(0)
	v_lshlrev_b16_e32 v17, 8, v33
	v_and_b32_e32 v18, 0xff, v34
	v_or_b32_sdwa v17, v32, v17 dst_sel:DWORD dst_unused:UNUSED_PAD src0_sel:BYTE_0 src1_sel:DWORD
	v_lshlrev_b32_e32 v18, 16, v18
	s_movk_i32 s6, 0xff
	v_or_b32_sdwa v17, v17, v18 dst_sel:DWORD dst_unused:UNUSED_PAD src0_sel:WORD_0 src1_sel:DWORD
	v_lshrrev_b32_e32 v18, 24, v20
	v_lshlrev_b16_e32 v18, 8, v18
	v_and_b32_sdwa v19, v20, s6 dst_sel:DWORD dst_unused:UNUSED_PAD src0_sel:WORD_1 src1_sel:DWORD
	v_or_b32_sdwa v18, v19, v18 dst_sel:WORD_1 dst_unused:UNUSED_PAD src0_sel:DWORD src1_sel:DWORD
	v_mov_b32_e32 v19, 8
	v_cndmask_b32_e64 v16, 0, 1, s[18:19]
	v_lshrrev_b32_sdwa v19, v19, v20 dst_sel:BYTE_1 dst_unused:UNUSED_PAD src0_sel:DWORD src1_sel:DWORD
	s_nop 0
	v_or_b32_e32 v16, v16, v19
	v_or_b32_sdwa v16, v16, v18 dst_sel:DWORD dst_unused:UNUSED_PAD src0_sel:WORD_0 src1_sel:DWORD
.LBB707_320:
	s_or_b64 exec, exec, s[4:5]
	s_andn2_b64 vcc, exec, s[8:9]
	s_cbranch_vccnz .LBB707_322
; %bb.321:
	s_waitcnt lgkmcnt(0)
	v_and_b32_e32 v18, 0xffff0000, v16
	v_cmp_gt_u32_e32 vcc, s3, v1
	s_mov_b32 s4, 0x40c0100
	s_nop 0
	v_cndmask_b32_e32 v1, v18, v16, vcc
	v_and_b32_e32 v1, 0xffff00ff, v1
	v_cmp_gt_u32_e32 vcc, s3, v25
	s_nop 1
	v_cndmask_b32_e32 v1, v1, v16, vcc
	v_lshrrev_b32_e32 v18, 24, v1
	v_perm_b32 v1, v18, v1, s4
	v_cmp_gt_u32_e32 vcc, s3, v24
	v_and_b32_e32 v18, 0xffffff00, v17
	s_nop 0
	v_cndmask_b32_e32 v1, v1, v16, vcc
	v_and_b32_e32 v1, 0xffffff, v1
	v_cmp_gt_u32_e32 vcc, s3, v28
	s_nop 1
	v_cndmask_b32_e32 v1, v1, v16, vcc
	v_cmp_gt_u32_e32 vcc, s3, v26
	s_nop 1
	v_cndmask_b32_e32 v18, v18, v17, vcc
	v_and_b32_e32 v18, 0xffff00ff, v18
	v_cndmask_b32_e32 v1, v1, v16, vcc
	v_cmp_gt_u32_e32 vcc, s3, v29
	s_nop 1
	v_cndmask_b32_e32 v18, v18, v17, vcc
	v_lshrrev_b32_e32 v19, 24, v18
	v_cndmask_b32_e32 v1, v1, v16, vcc
	v_perm_b32 v18, v19, v18, s4
	v_cmp_gt_u32_e32 vcc, s3, v27
	s_mov_b32 s3, 0x3020104
	s_nop 0
	v_cndmask_b32_e32 v1, v1, v16, vcc
	v_cndmask_b32_e32 v16, v18, v17, vcc
	v_mov_b32_e32 v17, 8
	v_lshrrev_b32_sdwa v17, v17, v16 dst_sel:BYTE_1 dst_unused:UNUSED_PAD src0_sel:DWORD src1_sel:DWORD
	s_nop 0
	v_or_b32_sdwa v17, v16, v17 dst_sel:DWORD dst_unused:UNUSED_PAD src0_sel:BYTE_0 src1_sel:DWORD
	v_and_b32_e32 v17, 0xffff, v17
	v_bfe_u32 v16, v16, 16, 8
	v_lshl_or_b32 v17, v16, 16, v17
	v_perm_b32 v16, v1, v1, s3
.LBB707_322:
	s_waitcnt lgkmcnt(0)
	v_and_b32_e32 v1, 0xff, v16
	v_bfe_u32 v29, v16, 8, 8
	v_bfe_u32 v31, v16, 16, 8
	v_alignbit_b32 v18, v17, v16, 24
	v_and_b32_e32 v33, 0xff, v18
	v_and_b32_e32 v35, 0xff, v17
	v_add3_u32 v19, v29, v1, v31
	v_bfe_u32 v36, v17, 8, 8
	v_bfe_u32 v18, v17, 16, 8
	v_add3_u32 v19, v19, v33, v35
	v_add3_u32 v39, v19, v36, v18
	v_mbcnt_lo_u32_b32 v18, -1, 0
	v_mbcnt_hi_u32_b32 v37, -1, v18
	v_and_b32_e32 v18, 15, v37
	v_cmp_eq_u32_e64 s[14:15], 0, v18
	v_cmp_lt_u32_e64 s[12:13], 1, v18
	v_cmp_lt_u32_e64 s[10:11], 3, v18
	;; [unrolled: 1-line block ×3, first 2 shown]
	v_and_b32_e32 v18, 16, v37
	v_cmp_eq_u32_e64 s[6:7], 0, v18
	v_or_b32_e32 v18, 63, v0
	v_cmp_lt_u32_e64 s[18:19], 31, v37
	v_lshrrev_b32_e32 v38, 6, v0
	v_cmp_eq_u32_e64 s[4:5], v18, v0
	s_and_b64 vcc, exec, s[16:17]
	s_barrier
	s_cbranch_vccz .LBB707_353
; %bb.323:
	v_mov_b32_dpp v18, v39 row_shr:1 row_mask:0xf bank_mask:0xf
	v_cndmask_b32_e64 v18, v18, 0, s[14:15]
	v_add_u32_e32 v18, v18, v39
	s_nop 1
	v_mov_b32_dpp v19, v18 row_shr:2 row_mask:0xf bank_mask:0xf
	v_cndmask_b32_e64 v19, 0, v19, s[12:13]
	v_add_u32_e32 v18, v18, v19
	s_nop 1
	;; [unrolled: 4-line block ×4, first 2 shown]
	v_mov_b32_dpp v19, v18 row_bcast:15 row_mask:0xf bank_mask:0xf
	v_cndmask_b32_e64 v19, v19, 0, s[6:7]
	v_add_u32_e32 v18, v18, v19
	s_nop 1
	v_mov_b32_dpp v19, v18 row_bcast:31 row_mask:0xf bank_mask:0xf
	v_cndmask_b32_e64 v19, 0, v19, s[18:19]
	v_add_u32_e32 v18, v18, v19
	s_and_saveexec_b64 s[16:17], s[4:5]
	s_cbranch_execz .LBB707_325
; %bb.324:
	v_lshlrev_b32_e32 v19, 2, v38
	ds_write_b32 v19, v18
.LBB707_325:
	s_or_b64 exec, exec, s[16:17]
	v_cmp_gt_u32_e32 vcc, 8, v0
	s_waitcnt lgkmcnt(0)
	s_barrier
	s_and_saveexec_b64 s[16:17], vcc
	s_cbranch_execz .LBB707_327
; %bb.326:
	v_lshlrev_b32_e32 v19, 2, v0
	ds_read_b32 v20, v19
	v_and_b32_e32 v21, 7, v37
	v_cmp_ne_u32_e32 vcc, 0, v21
	s_waitcnt lgkmcnt(0)
	v_mov_b32_dpp v22, v20 row_shr:1 row_mask:0xf bank_mask:0xf
	v_cndmask_b32_e32 v22, 0, v22, vcc
	v_add_u32_e32 v20, v22, v20
	v_cmp_lt_u32_e32 vcc, 1, v21
	s_nop 0
	v_mov_b32_dpp v22, v20 row_shr:2 row_mask:0xf bank_mask:0xf
	v_cndmask_b32_e32 v22, 0, v22, vcc
	v_add_u32_e32 v20, v20, v22
	v_cmp_lt_u32_e32 vcc, 3, v21
	s_nop 0
	v_mov_b32_dpp v22, v20 row_shr:4 row_mask:0xf bank_mask:0xf
	v_cndmask_b32_e32 v21, 0, v22, vcc
	v_add_u32_e32 v20, v20, v21
	ds_write_b32 v19, v20
.LBB707_327:
	s_or_b64 exec, exec, s[16:17]
	v_cmp_gt_u32_e32 vcc, 64, v0
	v_cmp_lt_u32_e64 s[16:17], 63, v0
	s_waitcnt lgkmcnt(0)
	s_barrier
	s_waitcnt lgkmcnt(0)
                                        ; implicit-def: $vgpr28
	s_and_saveexec_b64 s[26:27], s[16:17]
	s_cbranch_execz .LBB707_329
; %bb.328:
	v_lshl_add_u32 v19, v38, 2, -4
	ds_read_b32 v28, v19
	s_waitcnt lgkmcnt(0)
	v_add_u32_e32 v18, v28, v18
.LBB707_329:
	s_or_b64 exec, exec, s[26:27]
	v_add_u32_e32 v19, -1, v37
	v_and_b32_e32 v20, 64, v37
	v_cmp_lt_i32_e64 s[16:17], v19, v20
	s_nop 1
	v_cndmask_b32_e64 v19, v19, v37, s[16:17]
	v_lshlrev_b32_e32 v19, 2, v19
	ds_bpermute_b32 v30, v19, v18
	v_cmp_eq_u32_e64 s[16:17], 0, v37
	s_and_saveexec_b64 s[26:27], vcc
	s_cbranch_execz .LBB707_352
; %bb.330:
	v_mov_b32_e32 v27, 0
	ds_read_b32 v18, v27 offset:28
	s_and_saveexec_b64 s[28:29], s[16:17]
	s_cbranch_execz .LBB707_332
; %bb.331:
	s_add_i32 s36, s2, 64
	s_mov_b32 s37, 0
	s_lshl_b64 s[36:37], s[36:37], 3
	s_add_u32 s36, s30, s36
	v_mov_b32_e32 v19, 1
	s_addc_u32 s37, s31, s37
	s_waitcnt lgkmcnt(0)
	global_store_dwordx2 v27, v[18:19], s[36:37] sc1
.LBB707_332:
	s_or_b64 exec, exec, s[28:29]
	v_xad_u32 v20, v37, -1, s2
	v_add_u32_e32 v26, 64, v20
	v_lshl_add_u64 v[22:23], v[26:27], 3, s[30:31]
	global_load_dwordx2 v[24:25], v[22:23], off sc1
	s_waitcnt vmcnt(0)
	v_cmp_eq_u16_sdwa s[36:37], v25, v27 src0_sel:BYTE_0 src1_sel:DWORD
	s_and_saveexec_b64 s[28:29], s[36:37]
	s_cbranch_execz .LBB707_338
; %bb.333:
	s_mov_b32 s3, 1
	s_mov_b64 s[36:37], 0
	v_mov_b32_e32 v19, 0
.LBB707_334:                            ; =>This Loop Header: Depth=1
                                        ;     Child Loop BB707_335 Depth 2
	s_max_u32 s33, s3, 1
.LBB707_335:                            ;   Parent Loop BB707_334 Depth=1
                                        ; =>  This Inner Loop Header: Depth=2
	s_add_i32 s33, s33, -1
	s_cmp_eq_u32 s33, 0
	s_sleep 1
	s_cbranch_scc0 .LBB707_335
; %bb.336:                              ;   in Loop: Header=BB707_334 Depth=1
	global_load_dwordx2 v[24:25], v[22:23], off sc1
	s_cmp_lt_u32 s3, 32
	s_cselect_b64 s[38:39], -1, 0
	s_cmp_lg_u64 s[38:39], 0
	s_addc_u32 s3, s3, 0
	s_waitcnt vmcnt(0)
	v_cmp_ne_u16_sdwa s[38:39], v25, v19 src0_sel:BYTE_0 src1_sel:DWORD
	s_or_b64 s[36:37], s[38:39], s[36:37]
	s_andn2_b64 exec, exec, s[36:37]
	s_cbranch_execnz .LBB707_334
; %bb.337:
	s_or_b64 exec, exec, s[36:37]
.LBB707_338:
	s_or_b64 exec, exec, s[28:29]
	v_and_b32_e32 v32, 63, v37
	v_mov_b32_e32 v19, 2
	v_cmp_ne_u32_e32 vcc, 63, v32
	v_cmp_eq_u16_sdwa s[28:29], v25, v19 src0_sel:BYTE_0 src1_sel:DWORD
	v_lshlrev_b64 v[22:23], v37, -1
	v_addc_co_u32_e32 v27, vcc, 0, v37, vcc
	v_and_b32_e32 v21, s29, v23
	v_lshlrev_b32_e32 v34, 2, v27
	v_or_b32_e32 v21, 0x80000000, v21
	ds_bpermute_b32 v27, v34, v24
	v_and_b32_e32 v26, s28, v22
	v_ffbl_b32_e32 v21, v21
	v_add_u32_e32 v21, 32, v21
	v_ffbl_b32_e32 v26, v26
	v_min_u32_e32 v21, v26, v21
	v_cmp_lt_u32_e32 vcc, v32, v21
	v_add_u32_e32 v41, 2, v32
	v_add_u32_e32 v43, 4, v32
	s_waitcnt lgkmcnt(0)
	v_cndmask_b32_e32 v26, 0, v27, vcc
	v_cmp_gt_u32_e32 vcc, 62, v32
	v_add_u32_e32 v24, v26, v24
	v_add_u32_e32 v45, 8, v32
	v_cndmask_b32_e64 v26, 0, 1, vcc
	v_lshlrev_b32_e32 v26, 1, v26
	v_add_lshl_u32 v40, v26, v37, 2
	ds_bpermute_b32 v26, v40, v24
	v_cmp_le_u32_e32 vcc, v41, v21
	v_add_u32_e32 v48, 16, v32
	v_add_u32_e32 v50, 32, v32
	s_waitcnt lgkmcnt(0)
	v_cndmask_b32_e32 v26, 0, v26, vcc
	v_cmp_gt_u32_e32 vcc, 60, v32
	v_add_u32_e32 v24, v24, v26
	s_nop 0
	v_cndmask_b32_e64 v26, 0, 1, vcc
	v_lshlrev_b32_e32 v26, 2, v26
	v_add_lshl_u32 v42, v26, v37, 2
	ds_bpermute_b32 v26, v42, v24
	v_cmp_le_u32_e32 vcc, v43, v21
	s_waitcnt lgkmcnt(0)
	s_nop 0
	v_cndmask_b32_e32 v26, 0, v26, vcc
	v_cmp_gt_u32_e32 vcc, 56, v32
	v_add_u32_e32 v24, v24, v26
	s_nop 0
	v_cndmask_b32_e64 v26, 0, 1, vcc
	v_lshlrev_b32_e32 v26, 3, v26
	v_add_lshl_u32 v44, v26, v37, 2
	ds_bpermute_b32 v26, v44, v24
	v_cmp_le_u32_e32 vcc, v45, v21
	s_waitcnt lgkmcnt(0)
	s_nop 0
	;; [unrolled: 11-line block ×4, first 2 shown]
	v_cndmask_b32_e32 v21, 0, v26, vcc
	v_add_u32_e32 v24, v24, v21
	v_mov_b32_e32 v21, 0
	s_branch .LBB707_340
.LBB707_339:                            ;   in Loop: Header=BB707_340 Depth=1
	s_or_b64 exec, exec, s[28:29]
	v_cmp_eq_u16_sdwa s[28:29], v25, v19 src0_sel:BYTE_0 src1_sel:DWORD
	ds_bpermute_b32 v51, v34, v24
	v_subrev_u32_e32 v20, 64, v20
	v_and_b32_e32 v26, s29, v23
	v_or_b32_e32 v26, 0x80000000, v26
	v_and_b32_e32 v27, s28, v22
	v_ffbl_b32_e32 v26, v26
	v_add_u32_e32 v26, 32, v26
	v_ffbl_b32_e32 v27, v27
	v_min_u32_e32 v26, v27, v26
	v_cmp_lt_u32_e32 vcc, v32, v26
	s_waitcnt lgkmcnt(0)
	s_nop 0
	v_cndmask_b32_e32 v27, 0, v51, vcc
	v_add_u32_e32 v24, v27, v24
	ds_bpermute_b32 v27, v40, v24
	v_cmp_le_u32_e32 vcc, v41, v26
	s_waitcnt lgkmcnt(0)
	s_nop 0
	v_cndmask_b32_e32 v27, 0, v27, vcc
	v_add_u32_e32 v24, v24, v27
	ds_bpermute_b32 v27, v42, v24
	v_cmp_le_u32_e32 vcc, v43, v26
	;; [unrolled: 6-line block ×5, first 2 shown]
	s_waitcnt lgkmcnt(0)
	s_nop 0
	v_cndmask_b32_e32 v26, 0, v27, vcc
	v_add3_u32 v24, v26, v46, v24
.LBB707_340:                            ; =>This Loop Header: Depth=1
                                        ;     Child Loop BB707_343 Depth 2
                                        ;       Child Loop BB707_344 Depth 3
	v_cmp_ne_u16_sdwa s[28:29], v25, v19 src0_sel:BYTE_0 src1_sel:DWORD
	v_mov_b32_e32 v46, v24
	s_nop 0
	v_cndmask_b32_e64 v25, 0, 1, s[28:29]
	;;#ASMSTART
	;;#ASMEND
	s_nop 0
	v_cmp_ne_u32_e32 vcc, 0, v25
	s_cmp_lg_u64 vcc, exec
	s_cbranch_scc1 .LBB707_347
; %bb.341:                              ;   in Loop: Header=BB707_340 Depth=1
	v_lshl_add_u64 v[26:27], v[20:21], 3, s[30:31]
	global_load_dwordx2 v[24:25], v[26:27], off sc1
	s_waitcnt vmcnt(0)
	v_cmp_eq_u16_sdwa s[36:37], v25, v21 src0_sel:BYTE_0 src1_sel:DWORD
	s_and_saveexec_b64 s[28:29], s[36:37]
	s_cbranch_execz .LBB707_339
; %bb.342:                              ;   in Loop: Header=BB707_340 Depth=1
	s_mov_b32 s3, 1
	s_mov_b64 s[36:37], 0
.LBB707_343:                            ;   Parent Loop BB707_340 Depth=1
                                        ; =>  This Loop Header: Depth=2
                                        ;       Child Loop BB707_344 Depth 3
	s_max_u32 s33, s3, 1
.LBB707_344:                            ;   Parent Loop BB707_340 Depth=1
                                        ;     Parent Loop BB707_343 Depth=2
                                        ; =>    This Inner Loop Header: Depth=3
	s_add_i32 s33, s33, -1
	s_cmp_eq_u32 s33, 0
	s_sleep 1
	s_cbranch_scc0 .LBB707_344
; %bb.345:                              ;   in Loop: Header=BB707_343 Depth=2
	global_load_dwordx2 v[24:25], v[26:27], off sc1
	s_cmp_lt_u32 s3, 32
	s_cselect_b64 s[38:39], -1, 0
	s_cmp_lg_u64 s[38:39], 0
	s_addc_u32 s3, s3, 0
	s_waitcnt vmcnt(0)
	v_cmp_ne_u16_sdwa s[38:39], v25, v21 src0_sel:BYTE_0 src1_sel:DWORD
	s_or_b64 s[36:37], s[38:39], s[36:37]
	s_andn2_b64 exec, exec, s[36:37]
	s_cbranch_execnz .LBB707_343
; %bb.346:                              ;   in Loop: Header=BB707_340 Depth=1
	s_or_b64 exec, exec, s[36:37]
	s_branch .LBB707_339
.LBB707_347:                            ;   in Loop: Header=BB707_340 Depth=1
                                        ; implicit-def: $vgpr24
                                        ; implicit-def: $vgpr25
	s_cbranch_execz .LBB707_340
; %bb.348:
	s_and_saveexec_b64 s[28:29], s[16:17]
	s_cbranch_execz .LBB707_350
; %bb.349:
	s_add_i32 s2, s2, 64
	s_mov_b32 s3, 0
	s_lshl_b64 s[2:3], s[2:3], 3
	s_add_u32 s2, s30, s2
	v_add_u32_e32 v20, v46, v18
	v_mov_b32_e32 v21, 2
	s_addc_u32 s3, s31, s3
	v_mov_b32_e32 v19, 0
	global_store_dwordx2 v19, v[20:21], s[2:3] sc1
	s_movk_i32 s2, 0x7000
	v_add_u32_e64 v19, s2, 0
	ds_write2_b32 v19, v18, v46 offset1:2
.LBB707_350:
	s_or_b64 exec, exec, s[28:29]
	v_cmp_eq_u32_e32 vcc, 0, v0
	s_and_b64 exec, exec, vcc
	s_cbranch_execz .LBB707_352
; %bb.351:
	v_mov_b32_e32 v18, 0
	ds_write_b32 v18, v46 offset:28
.LBB707_352:
	s_or_b64 exec, exec, s[26:27]
	v_mov_b32_e32 v18, 0
	s_waitcnt lgkmcnt(0)
	s_barrier
	ds_read_b32 v18, v18 offset:28
	v_cndmask_b32_e64 v19, v30, v28, s[16:17]
	v_cmp_ne_u32_e32 vcc, 0, v0
	s_movk_i32 s2, 0x7000
	s_waitcnt lgkmcnt(0)
	v_cndmask_b32_e32 v19, 0, v19, vcc
	v_add_u32_e32 v34, v18, v19
	v_add_u32_e32 v32, v34, v1
	v_add_u32_e64 v18, s2, 0
	v_add_u32_e32 v30, v32, v29
	s_barrier
	ds_read2_b32 v[18:19], v18 offset1:2
	v_add_u32_e32 v28, v30, v31
	v_add_u32_e32 v26, v28, v33
	;; [unrolled: 1-line block ×4, first 2 shown]
	s_load_dwordx2 s[2:3], s[0:1], 0x28
	v_lshrrev_b64 v[20:21], 24, v[16:17]
	s_branch .LBB707_363
.LBB707_353:
                                        ; implicit-def: $vgpr22
                                        ; implicit-def: $vgpr24
                                        ; implicit-def: $vgpr26
                                        ; implicit-def: $vgpr28
                                        ; implicit-def: $vgpr30
                                        ; implicit-def: $vgpr32
                                        ; implicit-def: $vgpr34
                                        ; implicit-def: $vgpr19
	s_load_dwordx2 s[2:3], s[0:1], 0x28
	v_lshrrev_b64 v[20:21], 24, v[16:17]
	s_cbranch_execz .LBB707_363
; %bb.354:
	s_waitcnt lgkmcnt(0)
	v_mov_b32_dpp v18, v39 row_shr:1 row_mask:0xf bank_mask:0xf
	v_cndmask_b32_e64 v18, v18, 0, s[14:15]
	v_add_u32_e32 v18, v18, v39
	s_nop 1
	v_mov_b32_dpp v19, v18 row_shr:2 row_mask:0xf bank_mask:0xf
	v_cndmask_b32_e64 v19, 0, v19, s[12:13]
	v_add_u32_e32 v18, v18, v19
	s_nop 1
	v_mov_b32_dpp v19, v18 row_shr:4 row_mask:0xf bank_mask:0xf
	v_cndmask_b32_e64 v19, 0, v19, s[10:11]
	v_add_u32_e32 v18, v18, v19
	s_nop 1
	v_mov_b32_dpp v19, v18 row_shr:8 row_mask:0xf bank_mask:0xf
	v_cndmask_b32_e64 v19, 0, v19, s[8:9]
	v_add_u32_e32 v18, v18, v19
	s_nop 1
	v_mov_b32_dpp v19, v18 row_bcast:15 row_mask:0xf bank_mask:0xf
	v_cndmask_b32_e64 v19, v19, 0, s[6:7]
	v_add_u32_e32 v18, v18, v19
	s_nop 1
	v_mov_b32_dpp v19, v18 row_bcast:31 row_mask:0xf bank_mask:0xf
	v_cndmask_b32_e64 v19, 0, v19, s[18:19]
	v_add_u32_e32 v18, v18, v19
	s_and_saveexec_b64 s[0:1], s[4:5]
	s_cbranch_execz .LBB707_356
; %bb.355:
	v_lshlrev_b32_e32 v19, 2, v38
	ds_write_b32 v19, v18
.LBB707_356:
	s_or_b64 exec, exec, s[0:1]
	v_cmp_gt_u32_e32 vcc, 8, v0
	s_waitcnt lgkmcnt(0)
	s_barrier
	s_and_saveexec_b64 s[0:1], vcc
	s_cbranch_execz .LBB707_358
; %bb.357:
	v_lshlrev_b32_e32 v19, 2, v0
	ds_read_b32 v21, v19
	v_and_b32_e32 v22, 7, v37
	v_cmp_ne_u32_e32 vcc, 0, v22
	s_waitcnt lgkmcnt(0)
	v_mov_b32_dpp v23, v21 row_shr:1 row_mask:0xf bank_mask:0xf
	v_cndmask_b32_e32 v23, 0, v23, vcc
	v_add_u32_e32 v21, v23, v21
	v_cmp_lt_u32_e32 vcc, 1, v22
	s_nop 0
	v_mov_b32_dpp v23, v21 row_shr:2 row_mask:0xf bank_mask:0xf
	v_cndmask_b32_e32 v23, 0, v23, vcc
	v_add_u32_e32 v21, v21, v23
	v_cmp_lt_u32_e32 vcc, 3, v22
	s_nop 0
	v_mov_b32_dpp v23, v21 row_shr:4 row_mask:0xf bank_mask:0xf
	v_cndmask_b32_e32 v22, 0, v23, vcc
	v_add_u32_e32 v21, v21, v22
	ds_write_b32 v19, v21
.LBB707_358:
	s_or_b64 exec, exec, s[0:1]
	v_cmp_lt_u32_e32 vcc, 63, v0
	v_mov_b32_e32 v19, 0
	v_mov_b32_e32 v21, 0
	s_waitcnt lgkmcnt(0)
	s_barrier
	s_and_saveexec_b64 s[0:1], vcc
	s_cbranch_execz .LBB707_360
; %bb.359:
	v_lshl_add_u32 v21, v38, 2, -4
	ds_read_b32 v21, v21
.LBB707_360:
	s_or_b64 exec, exec, s[0:1]
	v_add_u32_e32 v22, -1, v37
	v_and_b32_e32 v23, 64, v37
	v_cmp_lt_i32_e32 vcc, v22, v23
	s_waitcnt lgkmcnt(0)
	v_add_u32_e32 v18, v21, v18
	v_cndmask_b32_e32 v22, v22, v37, vcc
	v_lshlrev_b32_e32 v22, 2, v22
	ds_bpermute_b32 v22, v22, v18
	ds_read_b32 v18, v19 offset:28
	v_cmp_eq_u32_e32 vcc, 0, v0
	s_and_saveexec_b64 s[0:1], vcc
	s_cbranch_execz .LBB707_362
; %bb.361:
	v_mov_b32_e32 v23, 0
	v_mov_b32_e32 v19, 2
	s_waitcnt lgkmcnt(0)
	global_store_dwordx2 v23, v[18:19], s[30:31] offset:512 sc1
.LBB707_362:
	s_or_b64 exec, exec, s[0:1]
	v_cmp_eq_u32_e64 s[0:1], 0, v37
	v_mov_b32_e32 v19, 0
	s_waitcnt lgkmcnt(0)
	v_cndmask_b32_e64 v21, v22, v21, s[0:1]
	v_cndmask_b32_e64 v34, v21, 0, vcc
	v_add_u32_e32 v32, v34, v1
	v_add_u32_e32 v30, v32, v29
	v_add_u32_e32 v28, v30, v31
	v_add_u32_e32 v26, v28, v33
	v_add_u32_e32 v24, v26, v35
	v_add_u32_e32 v22, v24, v36
	s_barrier
.LBB707_363:
	s_movk_i32 s0, 0x201
	s_waitcnt lgkmcnt(0)
	v_cmp_gt_u32_e32 vcc, s0, v18
	v_lshrrev_b32_e32 v21, 8, v16
	v_lshrrev_b32_e32 v1, 8, v17
	s_mov_b64 s[0:1], -1
	s_cbranch_vccnz .LBB707_367
; %bb.364:
	s_and_b64 vcc, exec, s[0:1]
	s_cbranch_vccnz .LBB707_389
.LBB707_365:
	v_cmp_eq_u32_e32 vcc, 0, v0
	s_and_b64 s[0:1], vcc, s[24:25]
	s_and_saveexec_b64 s[2:3], s[0:1]
	s_cbranch_execnz .LBB707_407
.LBB707_366:
	s_endpgm
.LBB707_367:
	v_add_u32_e32 v23, v19, v18
	v_cmp_lt_u32_e32 vcc, v34, v23
	s_or_b64 s[4:5], s[34:35], vcc
	s_and_saveexec_b64 s[0:1], s[4:5]
	s_cbranch_execz .LBB707_370
; %bb.368:
	v_and_b32_e32 v25, 1, v16
	v_cmp_eq_u32_e32 vcc, 1, v25
	s_and_b64 exec, exec, vcc
	s_cbranch_execz .LBB707_370
; %bb.369:
	s_lshl_b64 s[4:5], s[22:23], 3
	s_add_u32 s4, s2, s4
	s_addc_u32 s5, s3, s5
	v_mov_b32_e32 v35, 0
	v_lshl_add_u64 v[36:37], v[34:35], 3, s[4:5]
	global_store_dwordx2 v[36:37], v[10:11], off
.LBB707_370:
	s_or_b64 exec, exec, s[0:1]
	v_cmp_lt_u32_e32 vcc, v32, v23
	s_or_b64 s[4:5], s[34:35], vcc
	s_and_saveexec_b64 s[0:1], s[4:5]
	s_cbranch_execz .LBB707_373
; %bb.371:
	v_and_b32_e32 v25, 1, v21
	v_cmp_eq_u32_e32 vcc, 1, v25
	s_and_b64 exec, exec, vcc
	s_cbranch_execz .LBB707_373
; %bb.372:
	s_lshl_b64 s[4:5], s[22:23], 3
	s_add_u32 s4, s2, s4
	s_addc_u32 s5, s3, s5
	v_mov_b32_e32 v33, 0
	v_lshl_add_u64 v[36:37], v[32:33], 3, s[4:5]
	global_store_dwordx2 v[36:37], v[12:13], off
.LBB707_373:
	s_or_b64 exec, exec, s[0:1]
	v_cmp_lt_u32_e32 vcc, v30, v23
	s_or_b64 s[4:5], s[34:35], vcc
	s_and_saveexec_b64 s[0:1], s[4:5]
	s_cbranch_execz .LBB707_376
; %bb.374:
	v_mov_b32_e32 v25, 1
	v_and_b32_sdwa v25, v25, v16 dst_sel:DWORD dst_unused:UNUSED_PAD src0_sel:DWORD src1_sel:WORD_1
	v_cmp_eq_u32_e32 vcc, 1, v25
	s_and_b64 exec, exec, vcc
	s_cbranch_execz .LBB707_376
; %bb.375:
	s_lshl_b64 s[4:5], s[22:23], 3
	s_add_u32 s4, s2, s4
	s_addc_u32 s5, s3, s5
	v_mov_b32_e32 v31, 0
	v_lshl_add_u64 v[36:37], v[30:31], 3, s[4:5]
	global_store_dwordx2 v[36:37], v[6:7], off
.LBB707_376:
	s_or_b64 exec, exec, s[0:1]
	v_cmp_lt_u32_e32 vcc, v28, v23
	s_or_b64 s[4:5], s[34:35], vcc
	s_and_saveexec_b64 s[0:1], s[4:5]
	s_cbranch_execz .LBB707_379
; %bb.377:
	v_and_b32_e32 v25, 1, v20
	v_cmp_eq_u32_e32 vcc, 1, v25
	s_and_b64 exec, exec, vcc
	s_cbranch_execz .LBB707_379
; %bb.378:
	s_lshl_b64 s[4:5], s[22:23], 3
	s_add_u32 s4, s2, s4
	s_addc_u32 s5, s3, s5
	v_mov_b32_e32 v29, 0
	v_lshl_add_u64 v[36:37], v[28:29], 3, s[4:5]
	global_store_dwordx2 v[36:37], v[8:9], off
.LBB707_379:
	s_or_b64 exec, exec, s[0:1]
	v_cmp_lt_u32_e32 vcc, v26, v23
	s_or_b64 s[4:5], s[34:35], vcc
	s_and_saveexec_b64 s[0:1], s[4:5]
	s_cbranch_execz .LBB707_382
; %bb.380:
	v_and_b32_e32 v25, 1, v17
	v_cmp_eq_u32_e32 vcc, 1, v25
	s_and_b64 exec, exec, vcc
	s_cbranch_execz .LBB707_382
; %bb.381:
	s_lshl_b64 s[4:5], s[22:23], 3
	s_add_u32 s4, s2, s4
	s_addc_u32 s5, s3, s5
	v_mov_b32_e32 v27, 0
	v_lshl_add_u64 v[36:37], v[26:27], 3, s[4:5]
	global_store_dwordx2 v[36:37], v[2:3], off
.LBB707_382:
	;; [unrolled: 18-line block ×3, first 2 shown]
	s_or_b64 exec, exec, s[0:1]
	v_cmp_lt_u32_e32 vcc, v22, v23
	s_or_b64 s[4:5], s[34:35], vcc
	s_and_saveexec_b64 s[0:1], s[4:5]
	s_cbranch_execz .LBB707_388
; %bb.386:
	v_mov_b32_e32 v23, 1
	v_and_b32_sdwa v23, v23, v17 dst_sel:DWORD dst_unused:UNUSED_PAD src0_sel:DWORD src1_sel:WORD_1
	v_cmp_eq_u32_e32 vcc, 1, v23
	s_and_b64 exec, exec, vcc
	s_cbranch_execz .LBB707_388
; %bb.387:
	s_lshl_b64 s[4:5], s[22:23], 3
	s_add_u32 s4, s2, s4
	s_addc_u32 s5, s3, s5
	v_mov_b32_e32 v23, 0
	v_lshl_add_u64 v[36:37], v[22:23], 3, s[4:5]
	global_store_dwordx2 v[36:37], v[14:15], off
.LBB707_388:
	s_or_b64 exec, exec, s[0:1]
	s_branch .LBB707_365
.LBB707_389:
	v_and_b32_e32 v23, 1, v16
	v_cmp_eq_u32_e32 vcc, 1, v23
	s_and_saveexec_b64 s[0:1], vcc
	s_cbranch_execz .LBB707_391
; %bb.390:
	v_sub_u32_e32 v23, v34, v19
	v_lshlrev_b32_e32 v23, 3, v23
	ds_write_b64 v23, v[10:11]
.LBB707_391:
	s_or_b64 exec, exec, s[0:1]
	v_and_b32_e32 v10, 1, v21
	v_cmp_eq_u32_e32 vcc, 1, v10
	s_and_saveexec_b64 s[0:1], vcc
	s_cbranch_execz .LBB707_393
; %bb.392:
	v_sub_u32_e32 v10, v32, v19
	v_lshlrev_b32_e32 v10, 3, v10
	ds_write_b64 v10, v[12:13]
.LBB707_393:
	s_or_b64 exec, exec, s[0:1]
	v_mov_b32_e32 v10, 1
	v_and_b32_sdwa v10, v10, v16 dst_sel:DWORD dst_unused:UNUSED_PAD src0_sel:DWORD src1_sel:WORD_1
	v_cmp_eq_u32_e32 vcc, 1, v10
	s_and_saveexec_b64 s[0:1], vcc
	s_cbranch_execz .LBB707_395
; %bb.394:
	v_sub_u32_e32 v10, v30, v19
	v_lshlrev_b32_e32 v10, 3, v10
	ds_write_b64 v10, v[6:7]
.LBB707_395:
	s_or_b64 exec, exec, s[0:1]
	v_and_b32_e32 v6, 1, v20
	v_cmp_eq_u32_e32 vcc, 1, v6
	s_and_saveexec_b64 s[0:1], vcc
	s_cbranch_execz .LBB707_397
; %bb.396:
	v_sub_u32_e32 v6, v28, v19
	v_lshlrev_b32_e32 v6, 3, v6
	ds_write_b64 v6, v[8:9]
.LBB707_397:
	s_or_b64 exec, exec, s[0:1]
	v_and_b32_e32 v6, 1, v17
	;; [unrolled: 10-line block ×3, first 2 shown]
	v_cmp_eq_u32_e32 vcc, 1, v1
	s_and_saveexec_b64 s[0:1], vcc
	s_cbranch_execz .LBB707_401
; %bb.400:
	v_sub_u32_e32 v1, v24, v19
	v_lshlrev_b32_e32 v1, 3, v1
	ds_write_b64 v1, v[4:5]
.LBB707_401:
	s_or_b64 exec, exec, s[0:1]
	v_mov_b32_e32 v1, 1
	v_and_b32_sdwa v1, v1, v17 dst_sel:DWORD dst_unused:UNUSED_PAD src0_sel:DWORD src1_sel:WORD_1
	v_cmp_eq_u32_e32 vcc, 1, v1
	s_and_saveexec_b64 s[0:1], vcc
	s_cbranch_execz .LBB707_403
; %bb.402:
	v_sub_u32_e32 v1, v22, v19
	v_lshlrev_b32_e32 v1, 3, v1
	ds_write_b64 v1, v[14:15]
.LBB707_403:
	s_or_b64 exec, exec, s[0:1]
	v_cmp_lt_u32_e32 vcc, v0, v18
	s_waitcnt lgkmcnt(0)
	s_barrier
	s_and_saveexec_b64 s[0:1], vcc
	s_cbranch_execz .LBB707_406
; %bb.404:
	v_mov_b32_e32 v5, 0
	v_mov_b32_e32 v4, v19
	s_lshl_b64 s[4:5], s[22:23], 3
	v_lshlrev_b64 v[6:7], 3, v[4:5]
	v_lshl_add_u64 v[6:7], s[4:5], 0, v[6:7]
	v_lshlrev_b32_e32 v2, 3, v0
	v_mov_b32_e32 v3, v5
	v_lshl_add_u64 v[4:5], s[2:3], 0, v[6:7]
	v_lshl_add_u64 v[4:5], v[4:5], 0, v[2:3]
	s_mov_b64 s[2:3], 0
	s_mov_b64 s[4:5], 0x1000
	v_mov_b32_e32 v1, v0
.LBB707_405:                            ; =>This Inner Loop Header: Depth=1
	ds_read_b64 v[6:7], v2
	v_add_u32_e32 v1, 0x200, v1
	v_cmp_ge_u32_e32 vcc, v1, v18
	v_add_u32_e32 v2, 0x1000, v2
	s_or_b64 s[2:3], vcc, s[2:3]
	s_waitcnt lgkmcnt(0)
	global_store_dwordx2 v[4:5], v[6:7], off
	v_lshl_add_u64 v[4:5], v[4:5], 0, s[4:5]
	s_andn2_b64 exec, exec, s[2:3]
	s_cbranch_execnz .LBB707_405
.LBB707_406:
	s_or_b64 exec, exec, s[0:1]
	v_cmp_eq_u32_e32 vcc, 0, v0
	s_and_b64 s[0:1], vcc, s[24:25]
	s_and_saveexec_b64 s[2:3], s[0:1]
	s_cbranch_execz .LBB707_366
.LBB707_407:
	v_mov_b32_e32 v1, 0
	v_mov_b32_e32 v0, v18
	v_lshl_add_u64 v[2:3], s[22:23], 0, v[0:1]
	v_mov_b32_e32 v0, v19
	v_lshl_add_u64 v[2:3], v[2:3], 0, v[0:1]
	global_store_dwordx2 v1, v[2:3], s[20:21]
	s_endpgm
	.section	.rodata,"a",@progbits
	.p2align	6, 0x0
	.amdhsa_kernel _ZN7rocprim17ROCPRIM_400000_NS6detail17trampoline_kernelINS0_14default_configENS1_25partition_config_selectorILNS1_17partition_subalgoE8ElNS0_10empty_typeEbEEZZNS1_14partition_implILS5_8ELb0ES3_jPlPS6_PKS6_NS0_5tupleIJS9_S6_EEENSD_IJSA_SA_EEENS0_18inequality_wrapperIZN2at6native12_GLOBAL__N_124unique_dim_cuda_templateIsEESt5tupleIJNSH_6TensorESM_SM_EERKSM_lbbbEUlllE0_EEPmJS6_EEE10hipError_tPvRmT3_T4_T5_T6_T7_T9_mT8_P12ihipStream_tbDpT10_ENKUlT_T0_E_clISt17integral_constantIbLb1EES1B_IbLb0EEEEDaS17_S18_EUlS17_E_NS1_11comp_targetILNS1_3genE5ELNS1_11target_archE942ELNS1_3gpuE9ELNS1_3repE0EEENS1_30default_config_static_selectorELNS0_4arch9wavefront6targetE1EEEvT1_
		.amdhsa_group_segment_fixed_size 28684
		.amdhsa_private_segment_fixed_size 0
		.amdhsa_kernarg_size 120
		.amdhsa_user_sgpr_count 2
		.amdhsa_user_sgpr_dispatch_ptr 0
		.amdhsa_user_sgpr_queue_ptr 0
		.amdhsa_user_sgpr_kernarg_segment_ptr 1
		.amdhsa_user_sgpr_dispatch_id 0
		.amdhsa_user_sgpr_kernarg_preload_length 0
		.amdhsa_user_sgpr_kernarg_preload_offset 0
		.amdhsa_user_sgpr_private_segment_size 0
		.amdhsa_uses_dynamic_stack 0
		.amdhsa_enable_private_segment 0
		.amdhsa_system_sgpr_workgroup_id_x 1
		.amdhsa_system_sgpr_workgroup_id_y 0
		.amdhsa_system_sgpr_workgroup_id_z 0
		.amdhsa_system_sgpr_workgroup_info 0
		.amdhsa_system_vgpr_workitem_id 0
		.amdhsa_next_free_vgpr 52
		.amdhsa_next_free_sgpr 52
		.amdhsa_accum_offset 52
		.amdhsa_reserve_vcc 1
		.amdhsa_float_round_mode_32 0
		.amdhsa_float_round_mode_16_64 0
		.amdhsa_float_denorm_mode_32 3
		.amdhsa_float_denorm_mode_16_64 3
		.amdhsa_dx10_clamp 1
		.amdhsa_ieee_mode 1
		.amdhsa_fp16_overflow 0
		.amdhsa_tg_split 0
		.amdhsa_exception_fp_ieee_invalid_op 0
		.amdhsa_exception_fp_denorm_src 0
		.amdhsa_exception_fp_ieee_div_zero 0
		.amdhsa_exception_fp_ieee_overflow 0
		.amdhsa_exception_fp_ieee_underflow 0
		.amdhsa_exception_fp_ieee_inexact 0
		.amdhsa_exception_int_div_zero 0
	.end_amdhsa_kernel
	.section	.text._ZN7rocprim17ROCPRIM_400000_NS6detail17trampoline_kernelINS0_14default_configENS1_25partition_config_selectorILNS1_17partition_subalgoE8ElNS0_10empty_typeEbEEZZNS1_14partition_implILS5_8ELb0ES3_jPlPS6_PKS6_NS0_5tupleIJS9_S6_EEENSD_IJSA_SA_EEENS0_18inequality_wrapperIZN2at6native12_GLOBAL__N_124unique_dim_cuda_templateIsEESt5tupleIJNSH_6TensorESM_SM_EERKSM_lbbbEUlllE0_EEPmJS6_EEE10hipError_tPvRmT3_T4_T5_T6_T7_T9_mT8_P12ihipStream_tbDpT10_ENKUlT_T0_E_clISt17integral_constantIbLb1EES1B_IbLb0EEEEDaS17_S18_EUlS17_E_NS1_11comp_targetILNS1_3genE5ELNS1_11target_archE942ELNS1_3gpuE9ELNS1_3repE0EEENS1_30default_config_static_selectorELNS0_4arch9wavefront6targetE1EEEvT1_,"axG",@progbits,_ZN7rocprim17ROCPRIM_400000_NS6detail17trampoline_kernelINS0_14default_configENS1_25partition_config_selectorILNS1_17partition_subalgoE8ElNS0_10empty_typeEbEEZZNS1_14partition_implILS5_8ELb0ES3_jPlPS6_PKS6_NS0_5tupleIJS9_S6_EEENSD_IJSA_SA_EEENS0_18inequality_wrapperIZN2at6native12_GLOBAL__N_124unique_dim_cuda_templateIsEESt5tupleIJNSH_6TensorESM_SM_EERKSM_lbbbEUlllE0_EEPmJS6_EEE10hipError_tPvRmT3_T4_T5_T6_T7_T9_mT8_P12ihipStream_tbDpT10_ENKUlT_T0_E_clISt17integral_constantIbLb1EES1B_IbLb0EEEEDaS17_S18_EUlS17_E_NS1_11comp_targetILNS1_3genE5ELNS1_11target_archE942ELNS1_3gpuE9ELNS1_3repE0EEENS1_30default_config_static_selectorELNS0_4arch9wavefront6targetE1EEEvT1_,comdat
.Lfunc_end707:
	.size	_ZN7rocprim17ROCPRIM_400000_NS6detail17trampoline_kernelINS0_14default_configENS1_25partition_config_selectorILNS1_17partition_subalgoE8ElNS0_10empty_typeEbEEZZNS1_14partition_implILS5_8ELb0ES3_jPlPS6_PKS6_NS0_5tupleIJS9_S6_EEENSD_IJSA_SA_EEENS0_18inequality_wrapperIZN2at6native12_GLOBAL__N_124unique_dim_cuda_templateIsEESt5tupleIJNSH_6TensorESM_SM_EERKSM_lbbbEUlllE0_EEPmJS6_EEE10hipError_tPvRmT3_T4_T5_T6_T7_T9_mT8_P12ihipStream_tbDpT10_ENKUlT_T0_E_clISt17integral_constantIbLb1EES1B_IbLb0EEEEDaS17_S18_EUlS17_E_NS1_11comp_targetILNS1_3genE5ELNS1_11target_archE942ELNS1_3gpuE9ELNS1_3repE0EEENS1_30default_config_static_selectorELNS0_4arch9wavefront6targetE1EEEvT1_, .Lfunc_end707-_ZN7rocprim17ROCPRIM_400000_NS6detail17trampoline_kernelINS0_14default_configENS1_25partition_config_selectorILNS1_17partition_subalgoE8ElNS0_10empty_typeEbEEZZNS1_14partition_implILS5_8ELb0ES3_jPlPS6_PKS6_NS0_5tupleIJS9_S6_EEENSD_IJSA_SA_EEENS0_18inequality_wrapperIZN2at6native12_GLOBAL__N_124unique_dim_cuda_templateIsEESt5tupleIJNSH_6TensorESM_SM_EERKSM_lbbbEUlllE0_EEPmJS6_EEE10hipError_tPvRmT3_T4_T5_T6_T7_T9_mT8_P12ihipStream_tbDpT10_ENKUlT_T0_E_clISt17integral_constantIbLb1EES1B_IbLb0EEEEDaS17_S18_EUlS17_E_NS1_11comp_targetILNS1_3genE5ELNS1_11target_archE942ELNS1_3gpuE9ELNS1_3repE0EEENS1_30default_config_static_selectorELNS0_4arch9wavefront6targetE1EEEvT1_
                                        ; -- End function
	.section	.AMDGPU.csdata,"",@progbits
; Kernel info:
; codeLenInByte = 12916
; NumSgprs: 58
; NumVgprs: 52
; NumAgprs: 0
; TotalNumVgprs: 52
; ScratchSize: 0
; MemoryBound: 0
; FloatMode: 240
; IeeeMode: 1
; LDSByteSize: 28684 bytes/workgroup (compile time only)
; SGPRBlocks: 7
; VGPRBlocks: 6
; NumSGPRsForWavesPerEU: 58
; NumVGPRsForWavesPerEU: 52
; AccumOffset: 52
; Occupancy: 4
; WaveLimiterHint : 1
; COMPUTE_PGM_RSRC2:SCRATCH_EN: 0
; COMPUTE_PGM_RSRC2:USER_SGPR: 2
; COMPUTE_PGM_RSRC2:TRAP_HANDLER: 0
; COMPUTE_PGM_RSRC2:TGID_X_EN: 1
; COMPUTE_PGM_RSRC2:TGID_Y_EN: 0
; COMPUTE_PGM_RSRC2:TGID_Z_EN: 0
; COMPUTE_PGM_RSRC2:TIDIG_COMP_CNT: 0
; COMPUTE_PGM_RSRC3_GFX90A:ACCUM_OFFSET: 12
; COMPUTE_PGM_RSRC3_GFX90A:TG_SPLIT: 0
	.section	.text._ZN7rocprim17ROCPRIM_400000_NS6detail17trampoline_kernelINS0_14default_configENS1_25partition_config_selectorILNS1_17partition_subalgoE8ElNS0_10empty_typeEbEEZZNS1_14partition_implILS5_8ELb0ES3_jPlPS6_PKS6_NS0_5tupleIJS9_S6_EEENSD_IJSA_SA_EEENS0_18inequality_wrapperIZN2at6native12_GLOBAL__N_124unique_dim_cuda_templateIsEESt5tupleIJNSH_6TensorESM_SM_EERKSM_lbbbEUlllE0_EEPmJS6_EEE10hipError_tPvRmT3_T4_T5_T6_T7_T9_mT8_P12ihipStream_tbDpT10_ENKUlT_T0_E_clISt17integral_constantIbLb1EES1B_IbLb0EEEEDaS17_S18_EUlS17_E_NS1_11comp_targetILNS1_3genE4ELNS1_11target_archE910ELNS1_3gpuE8ELNS1_3repE0EEENS1_30default_config_static_selectorELNS0_4arch9wavefront6targetE1EEEvT1_,"axG",@progbits,_ZN7rocprim17ROCPRIM_400000_NS6detail17trampoline_kernelINS0_14default_configENS1_25partition_config_selectorILNS1_17partition_subalgoE8ElNS0_10empty_typeEbEEZZNS1_14partition_implILS5_8ELb0ES3_jPlPS6_PKS6_NS0_5tupleIJS9_S6_EEENSD_IJSA_SA_EEENS0_18inequality_wrapperIZN2at6native12_GLOBAL__N_124unique_dim_cuda_templateIsEESt5tupleIJNSH_6TensorESM_SM_EERKSM_lbbbEUlllE0_EEPmJS6_EEE10hipError_tPvRmT3_T4_T5_T6_T7_T9_mT8_P12ihipStream_tbDpT10_ENKUlT_T0_E_clISt17integral_constantIbLb1EES1B_IbLb0EEEEDaS17_S18_EUlS17_E_NS1_11comp_targetILNS1_3genE4ELNS1_11target_archE910ELNS1_3gpuE8ELNS1_3repE0EEENS1_30default_config_static_selectorELNS0_4arch9wavefront6targetE1EEEvT1_,comdat
	.globl	_ZN7rocprim17ROCPRIM_400000_NS6detail17trampoline_kernelINS0_14default_configENS1_25partition_config_selectorILNS1_17partition_subalgoE8ElNS0_10empty_typeEbEEZZNS1_14partition_implILS5_8ELb0ES3_jPlPS6_PKS6_NS0_5tupleIJS9_S6_EEENSD_IJSA_SA_EEENS0_18inequality_wrapperIZN2at6native12_GLOBAL__N_124unique_dim_cuda_templateIsEESt5tupleIJNSH_6TensorESM_SM_EERKSM_lbbbEUlllE0_EEPmJS6_EEE10hipError_tPvRmT3_T4_T5_T6_T7_T9_mT8_P12ihipStream_tbDpT10_ENKUlT_T0_E_clISt17integral_constantIbLb1EES1B_IbLb0EEEEDaS17_S18_EUlS17_E_NS1_11comp_targetILNS1_3genE4ELNS1_11target_archE910ELNS1_3gpuE8ELNS1_3repE0EEENS1_30default_config_static_selectorELNS0_4arch9wavefront6targetE1EEEvT1_ ; -- Begin function _ZN7rocprim17ROCPRIM_400000_NS6detail17trampoline_kernelINS0_14default_configENS1_25partition_config_selectorILNS1_17partition_subalgoE8ElNS0_10empty_typeEbEEZZNS1_14partition_implILS5_8ELb0ES3_jPlPS6_PKS6_NS0_5tupleIJS9_S6_EEENSD_IJSA_SA_EEENS0_18inequality_wrapperIZN2at6native12_GLOBAL__N_124unique_dim_cuda_templateIsEESt5tupleIJNSH_6TensorESM_SM_EERKSM_lbbbEUlllE0_EEPmJS6_EEE10hipError_tPvRmT3_T4_T5_T6_T7_T9_mT8_P12ihipStream_tbDpT10_ENKUlT_T0_E_clISt17integral_constantIbLb1EES1B_IbLb0EEEEDaS17_S18_EUlS17_E_NS1_11comp_targetILNS1_3genE4ELNS1_11target_archE910ELNS1_3gpuE8ELNS1_3repE0EEENS1_30default_config_static_selectorELNS0_4arch9wavefront6targetE1EEEvT1_
	.p2align	8
	.type	_ZN7rocprim17ROCPRIM_400000_NS6detail17trampoline_kernelINS0_14default_configENS1_25partition_config_selectorILNS1_17partition_subalgoE8ElNS0_10empty_typeEbEEZZNS1_14partition_implILS5_8ELb0ES3_jPlPS6_PKS6_NS0_5tupleIJS9_S6_EEENSD_IJSA_SA_EEENS0_18inequality_wrapperIZN2at6native12_GLOBAL__N_124unique_dim_cuda_templateIsEESt5tupleIJNSH_6TensorESM_SM_EERKSM_lbbbEUlllE0_EEPmJS6_EEE10hipError_tPvRmT3_T4_T5_T6_T7_T9_mT8_P12ihipStream_tbDpT10_ENKUlT_T0_E_clISt17integral_constantIbLb1EES1B_IbLb0EEEEDaS17_S18_EUlS17_E_NS1_11comp_targetILNS1_3genE4ELNS1_11target_archE910ELNS1_3gpuE8ELNS1_3repE0EEENS1_30default_config_static_selectorELNS0_4arch9wavefront6targetE1EEEvT1_,@function
_ZN7rocprim17ROCPRIM_400000_NS6detail17trampoline_kernelINS0_14default_configENS1_25partition_config_selectorILNS1_17partition_subalgoE8ElNS0_10empty_typeEbEEZZNS1_14partition_implILS5_8ELb0ES3_jPlPS6_PKS6_NS0_5tupleIJS9_S6_EEENSD_IJSA_SA_EEENS0_18inequality_wrapperIZN2at6native12_GLOBAL__N_124unique_dim_cuda_templateIsEESt5tupleIJNSH_6TensorESM_SM_EERKSM_lbbbEUlllE0_EEPmJS6_EEE10hipError_tPvRmT3_T4_T5_T6_T7_T9_mT8_P12ihipStream_tbDpT10_ENKUlT_T0_E_clISt17integral_constantIbLb1EES1B_IbLb0EEEEDaS17_S18_EUlS17_E_NS1_11comp_targetILNS1_3genE4ELNS1_11target_archE910ELNS1_3gpuE8ELNS1_3repE0EEENS1_30default_config_static_selectorELNS0_4arch9wavefront6targetE1EEEvT1_: ; @_ZN7rocprim17ROCPRIM_400000_NS6detail17trampoline_kernelINS0_14default_configENS1_25partition_config_selectorILNS1_17partition_subalgoE8ElNS0_10empty_typeEbEEZZNS1_14partition_implILS5_8ELb0ES3_jPlPS6_PKS6_NS0_5tupleIJS9_S6_EEENSD_IJSA_SA_EEENS0_18inequality_wrapperIZN2at6native12_GLOBAL__N_124unique_dim_cuda_templateIsEESt5tupleIJNSH_6TensorESM_SM_EERKSM_lbbbEUlllE0_EEPmJS6_EEE10hipError_tPvRmT3_T4_T5_T6_T7_T9_mT8_P12ihipStream_tbDpT10_ENKUlT_T0_E_clISt17integral_constantIbLb1EES1B_IbLb0EEEEDaS17_S18_EUlS17_E_NS1_11comp_targetILNS1_3genE4ELNS1_11target_archE910ELNS1_3gpuE8ELNS1_3repE0EEENS1_30default_config_static_selectorELNS0_4arch9wavefront6targetE1EEEvT1_
; %bb.0:
	.section	.rodata,"a",@progbits
	.p2align	6, 0x0
	.amdhsa_kernel _ZN7rocprim17ROCPRIM_400000_NS6detail17trampoline_kernelINS0_14default_configENS1_25partition_config_selectorILNS1_17partition_subalgoE8ElNS0_10empty_typeEbEEZZNS1_14partition_implILS5_8ELb0ES3_jPlPS6_PKS6_NS0_5tupleIJS9_S6_EEENSD_IJSA_SA_EEENS0_18inequality_wrapperIZN2at6native12_GLOBAL__N_124unique_dim_cuda_templateIsEESt5tupleIJNSH_6TensorESM_SM_EERKSM_lbbbEUlllE0_EEPmJS6_EEE10hipError_tPvRmT3_T4_T5_T6_T7_T9_mT8_P12ihipStream_tbDpT10_ENKUlT_T0_E_clISt17integral_constantIbLb1EES1B_IbLb0EEEEDaS17_S18_EUlS17_E_NS1_11comp_targetILNS1_3genE4ELNS1_11target_archE910ELNS1_3gpuE8ELNS1_3repE0EEENS1_30default_config_static_selectorELNS0_4arch9wavefront6targetE1EEEvT1_
		.amdhsa_group_segment_fixed_size 0
		.amdhsa_private_segment_fixed_size 0
		.amdhsa_kernarg_size 120
		.amdhsa_user_sgpr_count 2
		.amdhsa_user_sgpr_dispatch_ptr 0
		.amdhsa_user_sgpr_queue_ptr 0
		.amdhsa_user_sgpr_kernarg_segment_ptr 1
		.amdhsa_user_sgpr_dispatch_id 0
		.amdhsa_user_sgpr_kernarg_preload_length 0
		.amdhsa_user_sgpr_kernarg_preload_offset 0
		.amdhsa_user_sgpr_private_segment_size 0
		.amdhsa_uses_dynamic_stack 0
		.amdhsa_enable_private_segment 0
		.amdhsa_system_sgpr_workgroup_id_x 1
		.amdhsa_system_sgpr_workgroup_id_y 0
		.amdhsa_system_sgpr_workgroup_id_z 0
		.amdhsa_system_sgpr_workgroup_info 0
		.amdhsa_system_vgpr_workitem_id 0
		.amdhsa_next_free_vgpr 1
		.amdhsa_next_free_sgpr 0
		.amdhsa_accum_offset 4
		.amdhsa_reserve_vcc 0
		.amdhsa_float_round_mode_32 0
		.amdhsa_float_round_mode_16_64 0
		.amdhsa_float_denorm_mode_32 3
		.amdhsa_float_denorm_mode_16_64 3
		.amdhsa_dx10_clamp 1
		.amdhsa_ieee_mode 1
		.amdhsa_fp16_overflow 0
		.amdhsa_tg_split 0
		.amdhsa_exception_fp_ieee_invalid_op 0
		.amdhsa_exception_fp_denorm_src 0
		.amdhsa_exception_fp_ieee_div_zero 0
		.amdhsa_exception_fp_ieee_overflow 0
		.amdhsa_exception_fp_ieee_underflow 0
		.amdhsa_exception_fp_ieee_inexact 0
		.amdhsa_exception_int_div_zero 0
	.end_amdhsa_kernel
	.section	.text._ZN7rocprim17ROCPRIM_400000_NS6detail17trampoline_kernelINS0_14default_configENS1_25partition_config_selectorILNS1_17partition_subalgoE8ElNS0_10empty_typeEbEEZZNS1_14partition_implILS5_8ELb0ES3_jPlPS6_PKS6_NS0_5tupleIJS9_S6_EEENSD_IJSA_SA_EEENS0_18inequality_wrapperIZN2at6native12_GLOBAL__N_124unique_dim_cuda_templateIsEESt5tupleIJNSH_6TensorESM_SM_EERKSM_lbbbEUlllE0_EEPmJS6_EEE10hipError_tPvRmT3_T4_T5_T6_T7_T9_mT8_P12ihipStream_tbDpT10_ENKUlT_T0_E_clISt17integral_constantIbLb1EES1B_IbLb0EEEEDaS17_S18_EUlS17_E_NS1_11comp_targetILNS1_3genE4ELNS1_11target_archE910ELNS1_3gpuE8ELNS1_3repE0EEENS1_30default_config_static_selectorELNS0_4arch9wavefront6targetE1EEEvT1_,"axG",@progbits,_ZN7rocprim17ROCPRIM_400000_NS6detail17trampoline_kernelINS0_14default_configENS1_25partition_config_selectorILNS1_17partition_subalgoE8ElNS0_10empty_typeEbEEZZNS1_14partition_implILS5_8ELb0ES3_jPlPS6_PKS6_NS0_5tupleIJS9_S6_EEENSD_IJSA_SA_EEENS0_18inequality_wrapperIZN2at6native12_GLOBAL__N_124unique_dim_cuda_templateIsEESt5tupleIJNSH_6TensorESM_SM_EERKSM_lbbbEUlllE0_EEPmJS6_EEE10hipError_tPvRmT3_T4_T5_T6_T7_T9_mT8_P12ihipStream_tbDpT10_ENKUlT_T0_E_clISt17integral_constantIbLb1EES1B_IbLb0EEEEDaS17_S18_EUlS17_E_NS1_11comp_targetILNS1_3genE4ELNS1_11target_archE910ELNS1_3gpuE8ELNS1_3repE0EEENS1_30default_config_static_selectorELNS0_4arch9wavefront6targetE1EEEvT1_,comdat
.Lfunc_end708:
	.size	_ZN7rocprim17ROCPRIM_400000_NS6detail17trampoline_kernelINS0_14default_configENS1_25partition_config_selectorILNS1_17partition_subalgoE8ElNS0_10empty_typeEbEEZZNS1_14partition_implILS5_8ELb0ES3_jPlPS6_PKS6_NS0_5tupleIJS9_S6_EEENSD_IJSA_SA_EEENS0_18inequality_wrapperIZN2at6native12_GLOBAL__N_124unique_dim_cuda_templateIsEESt5tupleIJNSH_6TensorESM_SM_EERKSM_lbbbEUlllE0_EEPmJS6_EEE10hipError_tPvRmT3_T4_T5_T6_T7_T9_mT8_P12ihipStream_tbDpT10_ENKUlT_T0_E_clISt17integral_constantIbLb1EES1B_IbLb0EEEEDaS17_S18_EUlS17_E_NS1_11comp_targetILNS1_3genE4ELNS1_11target_archE910ELNS1_3gpuE8ELNS1_3repE0EEENS1_30default_config_static_selectorELNS0_4arch9wavefront6targetE1EEEvT1_, .Lfunc_end708-_ZN7rocprim17ROCPRIM_400000_NS6detail17trampoline_kernelINS0_14default_configENS1_25partition_config_selectorILNS1_17partition_subalgoE8ElNS0_10empty_typeEbEEZZNS1_14partition_implILS5_8ELb0ES3_jPlPS6_PKS6_NS0_5tupleIJS9_S6_EEENSD_IJSA_SA_EEENS0_18inequality_wrapperIZN2at6native12_GLOBAL__N_124unique_dim_cuda_templateIsEESt5tupleIJNSH_6TensorESM_SM_EERKSM_lbbbEUlllE0_EEPmJS6_EEE10hipError_tPvRmT3_T4_T5_T6_T7_T9_mT8_P12ihipStream_tbDpT10_ENKUlT_T0_E_clISt17integral_constantIbLb1EES1B_IbLb0EEEEDaS17_S18_EUlS17_E_NS1_11comp_targetILNS1_3genE4ELNS1_11target_archE910ELNS1_3gpuE8ELNS1_3repE0EEENS1_30default_config_static_selectorELNS0_4arch9wavefront6targetE1EEEvT1_
                                        ; -- End function
	.section	.AMDGPU.csdata,"",@progbits
; Kernel info:
; codeLenInByte = 0
; NumSgprs: 6
; NumVgprs: 0
; NumAgprs: 0
; TotalNumVgprs: 0
; ScratchSize: 0
; MemoryBound: 0
; FloatMode: 240
; IeeeMode: 1
; LDSByteSize: 0 bytes/workgroup (compile time only)
; SGPRBlocks: 0
; VGPRBlocks: 0
; NumSGPRsForWavesPerEU: 6
; NumVGPRsForWavesPerEU: 1
; AccumOffset: 4
; Occupancy: 8
; WaveLimiterHint : 0
; COMPUTE_PGM_RSRC2:SCRATCH_EN: 0
; COMPUTE_PGM_RSRC2:USER_SGPR: 2
; COMPUTE_PGM_RSRC2:TRAP_HANDLER: 0
; COMPUTE_PGM_RSRC2:TGID_X_EN: 1
; COMPUTE_PGM_RSRC2:TGID_Y_EN: 0
; COMPUTE_PGM_RSRC2:TGID_Z_EN: 0
; COMPUTE_PGM_RSRC2:TIDIG_COMP_CNT: 0
; COMPUTE_PGM_RSRC3_GFX90A:ACCUM_OFFSET: 0
; COMPUTE_PGM_RSRC3_GFX90A:TG_SPLIT: 0
	.section	.text._ZN7rocprim17ROCPRIM_400000_NS6detail17trampoline_kernelINS0_14default_configENS1_25partition_config_selectorILNS1_17partition_subalgoE8ElNS0_10empty_typeEbEEZZNS1_14partition_implILS5_8ELb0ES3_jPlPS6_PKS6_NS0_5tupleIJS9_S6_EEENSD_IJSA_SA_EEENS0_18inequality_wrapperIZN2at6native12_GLOBAL__N_124unique_dim_cuda_templateIsEESt5tupleIJNSH_6TensorESM_SM_EERKSM_lbbbEUlllE0_EEPmJS6_EEE10hipError_tPvRmT3_T4_T5_T6_T7_T9_mT8_P12ihipStream_tbDpT10_ENKUlT_T0_E_clISt17integral_constantIbLb1EES1B_IbLb0EEEEDaS17_S18_EUlS17_E_NS1_11comp_targetILNS1_3genE3ELNS1_11target_archE908ELNS1_3gpuE7ELNS1_3repE0EEENS1_30default_config_static_selectorELNS0_4arch9wavefront6targetE1EEEvT1_,"axG",@progbits,_ZN7rocprim17ROCPRIM_400000_NS6detail17trampoline_kernelINS0_14default_configENS1_25partition_config_selectorILNS1_17partition_subalgoE8ElNS0_10empty_typeEbEEZZNS1_14partition_implILS5_8ELb0ES3_jPlPS6_PKS6_NS0_5tupleIJS9_S6_EEENSD_IJSA_SA_EEENS0_18inequality_wrapperIZN2at6native12_GLOBAL__N_124unique_dim_cuda_templateIsEESt5tupleIJNSH_6TensorESM_SM_EERKSM_lbbbEUlllE0_EEPmJS6_EEE10hipError_tPvRmT3_T4_T5_T6_T7_T9_mT8_P12ihipStream_tbDpT10_ENKUlT_T0_E_clISt17integral_constantIbLb1EES1B_IbLb0EEEEDaS17_S18_EUlS17_E_NS1_11comp_targetILNS1_3genE3ELNS1_11target_archE908ELNS1_3gpuE7ELNS1_3repE0EEENS1_30default_config_static_selectorELNS0_4arch9wavefront6targetE1EEEvT1_,comdat
	.globl	_ZN7rocprim17ROCPRIM_400000_NS6detail17trampoline_kernelINS0_14default_configENS1_25partition_config_selectorILNS1_17partition_subalgoE8ElNS0_10empty_typeEbEEZZNS1_14partition_implILS5_8ELb0ES3_jPlPS6_PKS6_NS0_5tupleIJS9_S6_EEENSD_IJSA_SA_EEENS0_18inequality_wrapperIZN2at6native12_GLOBAL__N_124unique_dim_cuda_templateIsEESt5tupleIJNSH_6TensorESM_SM_EERKSM_lbbbEUlllE0_EEPmJS6_EEE10hipError_tPvRmT3_T4_T5_T6_T7_T9_mT8_P12ihipStream_tbDpT10_ENKUlT_T0_E_clISt17integral_constantIbLb1EES1B_IbLb0EEEEDaS17_S18_EUlS17_E_NS1_11comp_targetILNS1_3genE3ELNS1_11target_archE908ELNS1_3gpuE7ELNS1_3repE0EEENS1_30default_config_static_selectorELNS0_4arch9wavefront6targetE1EEEvT1_ ; -- Begin function _ZN7rocprim17ROCPRIM_400000_NS6detail17trampoline_kernelINS0_14default_configENS1_25partition_config_selectorILNS1_17partition_subalgoE8ElNS0_10empty_typeEbEEZZNS1_14partition_implILS5_8ELb0ES3_jPlPS6_PKS6_NS0_5tupleIJS9_S6_EEENSD_IJSA_SA_EEENS0_18inequality_wrapperIZN2at6native12_GLOBAL__N_124unique_dim_cuda_templateIsEESt5tupleIJNSH_6TensorESM_SM_EERKSM_lbbbEUlllE0_EEPmJS6_EEE10hipError_tPvRmT3_T4_T5_T6_T7_T9_mT8_P12ihipStream_tbDpT10_ENKUlT_T0_E_clISt17integral_constantIbLb1EES1B_IbLb0EEEEDaS17_S18_EUlS17_E_NS1_11comp_targetILNS1_3genE3ELNS1_11target_archE908ELNS1_3gpuE7ELNS1_3repE0EEENS1_30default_config_static_selectorELNS0_4arch9wavefront6targetE1EEEvT1_
	.p2align	8
	.type	_ZN7rocprim17ROCPRIM_400000_NS6detail17trampoline_kernelINS0_14default_configENS1_25partition_config_selectorILNS1_17partition_subalgoE8ElNS0_10empty_typeEbEEZZNS1_14partition_implILS5_8ELb0ES3_jPlPS6_PKS6_NS0_5tupleIJS9_S6_EEENSD_IJSA_SA_EEENS0_18inequality_wrapperIZN2at6native12_GLOBAL__N_124unique_dim_cuda_templateIsEESt5tupleIJNSH_6TensorESM_SM_EERKSM_lbbbEUlllE0_EEPmJS6_EEE10hipError_tPvRmT3_T4_T5_T6_T7_T9_mT8_P12ihipStream_tbDpT10_ENKUlT_T0_E_clISt17integral_constantIbLb1EES1B_IbLb0EEEEDaS17_S18_EUlS17_E_NS1_11comp_targetILNS1_3genE3ELNS1_11target_archE908ELNS1_3gpuE7ELNS1_3repE0EEENS1_30default_config_static_selectorELNS0_4arch9wavefront6targetE1EEEvT1_,@function
_ZN7rocprim17ROCPRIM_400000_NS6detail17trampoline_kernelINS0_14default_configENS1_25partition_config_selectorILNS1_17partition_subalgoE8ElNS0_10empty_typeEbEEZZNS1_14partition_implILS5_8ELb0ES3_jPlPS6_PKS6_NS0_5tupleIJS9_S6_EEENSD_IJSA_SA_EEENS0_18inequality_wrapperIZN2at6native12_GLOBAL__N_124unique_dim_cuda_templateIsEESt5tupleIJNSH_6TensorESM_SM_EERKSM_lbbbEUlllE0_EEPmJS6_EEE10hipError_tPvRmT3_T4_T5_T6_T7_T9_mT8_P12ihipStream_tbDpT10_ENKUlT_T0_E_clISt17integral_constantIbLb1EES1B_IbLb0EEEEDaS17_S18_EUlS17_E_NS1_11comp_targetILNS1_3genE3ELNS1_11target_archE908ELNS1_3gpuE7ELNS1_3repE0EEENS1_30default_config_static_selectorELNS0_4arch9wavefront6targetE1EEEvT1_: ; @_ZN7rocprim17ROCPRIM_400000_NS6detail17trampoline_kernelINS0_14default_configENS1_25partition_config_selectorILNS1_17partition_subalgoE8ElNS0_10empty_typeEbEEZZNS1_14partition_implILS5_8ELb0ES3_jPlPS6_PKS6_NS0_5tupleIJS9_S6_EEENSD_IJSA_SA_EEENS0_18inequality_wrapperIZN2at6native12_GLOBAL__N_124unique_dim_cuda_templateIsEESt5tupleIJNSH_6TensorESM_SM_EERKSM_lbbbEUlllE0_EEPmJS6_EEE10hipError_tPvRmT3_T4_T5_T6_T7_T9_mT8_P12ihipStream_tbDpT10_ENKUlT_T0_E_clISt17integral_constantIbLb1EES1B_IbLb0EEEEDaS17_S18_EUlS17_E_NS1_11comp_targetILNS1_3genE3ELNS1_11target_archE908ELNS1_3gpuE7ELNS1_3repE0EEENS1_30default_config_static_selectorELNS0_4arch9wavefront6targetE1EEEvT1_
; %bb.0:
	.section	.rodata,"a",@progbits
	.p2align	6, 0x0
	.amdhsa_kernel _ZN7rocprim17ROCPRIM_400000_NS6detail17trampoline_kernelINS0_14default_configENS1_25partition_config_selectorILNS1_17partition_subalgoE8ElNS0_10empty_typeEbEEZZNS1_14partition_implILS5_8ELb0ES3_jPlPS6_PKS6_NS0_5tupleIJS9_S6_EEENSD_IJSA_SA_EEENS0_18inequality_wrapperIZN2at6native12_GLOBAL__N_124unique_dim_cuda_templateIsEESt5tupleIJNSH_6TensorESM_SM_EERKSM_lbbbEUlllE0_EEPmJS6_EEE10hipError_tPvRmT3_T4_T5_T6_T7_T9_mT8_P12ihipStream_tbDpT10_ENKUlT_T0_E_clISt17integral_constantIbLb1EES1B_IbLb0EEEEDaS17_S18_EUlS17_E_NS1_11comp_targetILNS1_3genE3ELNS1_11target_archE908ELNS1_3gpuE7ELNS1_3repE0EEENS1_30default_config_static_selectorELNS0_4arch9wavefront6targetE1EEEvT1_
		.amdhsa_group_segment_fixed_size 0
		.amdhsa_private_segment_fixed_size 0
		.amdhsa_kernarg_size 120
		.amdhsa_user_sgpr_count 2
		.amdhsa_user_sgpr_dispatch_ptr 0
		.amdhsa_user_sgpr_queue_ptr 0
		.amdhsa_user_sgpr_kernarg_segment_ptr 1
		.amdhsa_user_sgpr_dispatch_id 0
		.amdhsa_user_sgpr_kernarg_preload_length 0
		.amdhsa_user_sgpr_kernarg_preload_offset 0
		.amdhsa_user_sgpr_private_segment_size 0
		.amdhsa_uses_dynamic_stack 0
		.amdhsa_enable_private_segment 0
		.amdhsa_system_sgpr_workgroup_id_x 1
		.amdhsa_system_sgpr_workgroup_id_y 0
		.amdhsa_system_sgpr_workgroup_id_z 0
		.amdhsa_system_sgpr_workgroup_info 0
		.amdhsa_system_vgpr_workitem_id 0
		.amdhsa_next_free_vgpr 1
		.amdhsa_next_free_sgpr 0
		.amdhsa_accum_offset 4
		.amdhsa_reserve_vcc 0
		.amdhsa_float_round_mode_32 0
		.amdhsa_float_round_mode_16_64 0
		.amdhsa_float_denorm_mode_32 3
		.amdhsa_float_denorm_mode_16_64 3
		.amdhsa_dx10_clamp 1
		.amdhsa_ieee_mode 1
		.amdhsa_fp16_overflow 0
		.amdhsa_tg_split 0
		.amdhsa_exception_fp_ieee_invalid_op 0
		.amdhsa_exception_fp_denorm_src 0
		.amdhsa_exception_fp_ieee_div_zero 0
		.amdhsa_exception_fp_ieee_overflow 0
		.amdhsa_exception_fp_ieee_underflow 0
		.amdhsa_exception_fp_ieee_inexact 0
		.amdhsa_exception_int_div_zero 0
	.end_amdhsa_kernel
	.section	.text._ZN7rocprim17ROCPRIM_400000_NS6detail17trampoline_kernelINS0_14default_configENS1_25partition_config_selectorILNS1_17partition_subalgoE8ElNS0_10empty_typeEbEEZZNS1_14partition_implILS5_8ELb0ES3_jPlPS6_PKS6_NS0_5tupleIJS9_S6_EEENSD_IJSA_SA_EEENS0_18inequality_wrapperIZN2at6native12_GLOBAL__N_124unique_dim_cuda_templateIsEESt5tupleIJNSH_6TensorESM_SM_EERKSM_lbbbEUlllE0_EEPmJS6_EEE10hipError_tPvRmT3_T4_T5_T6_T7_T9_mT8_P12ihipStream_tbDpT10_ENKUlT_T0_E_clISt17integral_constantIbLb1EES1B_IbLb0EEEEDaS17_S18_EUlS17_E_NS1_11comp_targetILNS1_3genE3ELNS1_11target_archE908ELNS1_3gpuE7ELNS1_3repE0EEENS1_30default_config_static_selectorELNS0_4arch9wavefront6targetE1EEEvT1_,"axG",@progbits,_ZN7rocprim17ROCPRIM_400000_NS6detail17trampoline_kernelINS0_14default_configENS1_25partition_config_selectorILNS1_17partition_subalgoE8ElNS0_10empty_typeEbEEZZNS1_14partition_implILS5_8ELb0ES3_jPlPS6_PKS6_NS0_5tupleIJS9_S6_EEENSD_IJSA_SA_EEENS0_18inequality_wrapperIZN2at6native12_GLOBAL__N_124unique_dim_cuda_templateIsEESt5tupleIJNSH_6TensorESM_SM_EERKSM_lbbbEUlllE0_EEPmJS6_EEE10hipError_tPvRmT3_T4_T5_T6_T7_T9_mT8_P12ihipStream_tbDpT10_ENKUlT_T0_E_clISt17integral_constantIbLb1EES1B_IbLb0EEEEDaS17_S18_EUlS17_E_NS1_11comp_targetILNS1_3genE3ELNS1_11target_archE908ELNS1_3gpuE7ELNS1_3repE0EEENS1_30default_config_static_selectorELNS0_4arch9wavefront6targetE1EEEvT1_,comdat
.Lfunc_end709:
	.size	_ZN7rocprim17ROCPRIM_400000_NS6detail17trampoline_kernelINS0_14default_configENS1_25partition_config_selectorILNS1_17partition_subalgoE8ElNS0_10empty_typeEbEEZZNS1_14partition_implILS5_8ELb0ES3_jPlPS6_PKS6_NS0_5tupleIJS9_S6_EEENSD_IJSA_SA_EEENS0_18inequality_wrapperIZN2at6native12_GLOBAL__N_124unique_dim_cuda_templateIsEESt5tupleIJNSH_6TensorESM_SM_EERKSM_lbbbEUlllE0_EEPmJS6_EEE10hipError_tPvRmT3_T4_T5_T6_T7_T9_mT8_P12ihipStream_tbDpT10_ENKUlT_T0_E_clISt17integral_constantIbLb1EES1B_IbLb0EEEEDaS17_S18_EUlS17_E_NS1_11comp_targetILNS1_3genE3ELNS1_11target_archE908ELNS1_3gpuE7ELNS1_3repE0EEENS1_30default_config_static_selectorELNS0_4arch9wavefront6targetE1EEEvT1_, .Lfunc_end709-_ZN7rocprim17ROCPRIM_400000_NS6detail17trampoline_kernelINS0_14default_configENS1_25partition_config_selectorILNS1_17partition_subalgoE8ElNS0_10empty_typeEbEEZZNS1_14partition_implILS5_8ELb0ES3_jPlPS6_PKS6_NS0_5tupleIJS9_S6_EEENSD_IJSA_SA_EEENS0_18inequality_wrapperIZN2at6native12_GLOBAL__N_124unique_dim_cuda_templateIsEESt5tupleIJNSH_6TensorESM_SM_EERKSM_lbbbEUlllE0_EEPmJS6_EEE10hipError_tPvRmT3_T4_T5_T6_T7_T9_mT8_P12ihipStream_tbDpT10_ENKUlT_T0_E_clISt17integral_constantIbLb1EES1B_IbLb0EEEEDaS17_S18_EUlS17_E_NS1_11comp_targetILNS1_3genE3ELNS1_11target_archE908ELNS1_3gpuE7ELNS1_3repE0EEENS1_30default_config_static_selectorELNS0_4arch9wavefront6targetE1EEEvT1_
                                        ; -- End function
	.section	.AMDGPU.csdata,"",@progbits
; Kernel info:
; codeLenInByte = 0
; NumSgprs: 6
; NumVgprs: 0
; NumAgprs: 0
; TotalNumVgprs: 0
; ScratchSize: 0
; MemoryBound: 0
; FloatMode: 240
; IeeeMode: 1
; LDSByteSize: 0 bytes/workgroup (compile time only)
; SGPRBlocks: 0
; VGPRBlocks: 0
; NumSGPRsForWavesPerEU: 6
; NumVGPRsForWavesPerEU: 1
; AccumOffset: 4
; Occupancy: 8
; WaveLimiterHint : 0
; COMPUTE_PGM_RSRC2:SCRATCH_EN: 0
; COMPUTE_PGM_RSRC2:USER_SGPR: 2
; COMPUTE_PGM_RSRC2:TRAP_HANDLER: 0
; COMPUTE_PGM_RSRC2:TGID_X_EN: 1
; COMPUTE_PGM_RSRC2:TGID_Y_EN: 0
; COMPUTE_PGM_RSRC2:TGID_Z_EN: 0
; COMPUTE_PGM_RSRC2:TIDIG_COMP_CNT: 0
; COMPUTE_PGM_RSRC3_GFX90A:ACCUM_OFFSET: 0
; COMPUTE_PGM_RSRC3_GFX90A:TG_SPLIT: 0
	.section	.text._ZN7rocprim17ROCPRIM_400000_NS6detail17trampoline_kernelINS0_14default_configENS1_25partition_config_selectorILNS1_17partition_subalgoE8ElNS0_10empty_typeEbEEZZNS1_14partition_implILS5_8ELb0ES3_jPlPS6_PKS6_NS0_5tupleIJS9_S6_EEENSD_IJSA_SA_EEENS0_18inequality_wrapperIZN2at6native12_GLOBAL__N_124unique_dim_cuda_templateIsEESt5tupleIJNSH_6TensorESM_SM_EERKSM_lbbbEUlllE0_EEPmJS6_EEE10hipError_tPvRmT3_T4_T5_T6_T7_T9_mT8_P12ihipStream_tbDpT10_ENKUlT_T0_E_clISt17integral_constantIbLb1EES1B_IbLb0EEEEDaS17_S18_EUlS17_E_NS1_11comp_targetILNS1_3genE2ELNS1_11target_archE906ELNS1_3gpuE6ELNS1_3repE0EEENS1_30default_config_static_selectorELNS0_4arch9wavefront6targetE1EEEvT1_,"axG",@progbits,_ZN7rocprim17ROCPRIM_400000_NS6detail17trampoline_kernelINS0_14default_configENS1_25partition_config_selectorILNS1_17partition_subalgoE8ElNS0_10empty_typeEbEEZZNS1_14partition_implILS5_8ELb0ES3_jPlPS6_PKS6_NS0_5tupleIJS9_S6_EEENSD_IJSA_SA_EEENS0_18inequality_wrapperIZN2at6native12_GLOBAL__N_124unique_dim_cuda_templateIsEESt5tupleIJNSH_6TensorESM_SM_EERKSM_lbbbEUlllE0_EEPmJS6_EEE10hipError_tPvRmT3_T4_T5_T6_T7_T9_mT8_P12ihipStream_tbDpT10_ENKUlT_T0_E_clISt17integral_constantIbLb1EES1B_IbLb0EEEEDaS17_S18_EUlS17_E_NS1_11comp_targetILNS1_3genE2ELNS1_11target_archE906ELNS1_3gpuE6ELNS1_3repE0EEENS1_30default_config_static_selectorELNS0_4arch9wavefront6targetE1EEEvT1_,comdat
	.globl	_ZN7rocprim17ROCPRIM_400000_NS6detail17trampoline_kernelINS0_14default_configENS1_25partition_config_selectorILNS1_17partition_subalgoE8ElNS0_10empty_typeEbEEZZNS1_14partition_implILS5_8ELb0ES3_jPlPS6_PKS6_NS0_5tupleIJS9_S6_EEENSD_IJSA_SA_EEENS0_18inequality_wrapperIZN2at6native12_GLOBAL__N_124unique_dim_cuda_templateIsEESt5tupleIJNSH_6TensorESM_SM_EERKSM_lbbbEUlllE0_EEPmJS6_EEE10hipError_tPvRmT3_T4_T5_T6_T7_T9_mT8_P12ihipStream_tbDpT10_ENKUlT_T0_E_clISt17integral_constantIbLb1EES1B_IbLb0EEEEDaS17_S18_EUlS17_E_NS1_11comp_targetILNS1_3genE2ELNS1_11target_archE906ELNS1_3gpuE6ELNS1_3repE0EEENS1_30default_config_static_selectorELNS0_4arch9wavefront6targetE1EEEvT1_ ; -- Begin function _ZN7rocprim17ROCPRIM_400000_NS6detail17trampoline_kernelINS0_14default_configENS1_25partition_config_selectorILNS1_17partition_subalgoE8ElNS0_10empty_typeEbEEZZNS1_14partition_implILS5_8ELb0ES3_jPlPS6_PKS6_NS0_5tupleIJS9_S6_EEENSD_IJSA_SA_EEENS0_18inequality_wrapperIZN2at6native12_GLOBAL__N_124unique_dim_cuda_templateIsEESt5tupleIJNSH_6TensorESM_SM_EERKSM_lbbbEUlllE0_EEPmJS6_EEE10hipError_tPvRmT3_T4_T5_T6_T7_T9_mT8_P12ihipStream_tbDpT10_ENKUlT_T0_E_clISt17integral_constantIbLb1EES1B_IbLb0EEEEDaS17_S18_EUlS17_E_NS1_11comp_targetILNS1_3genE2ELNS1_11target_archE906ELNS1_3gpuE6ELNS1_3repE0EEENS1_30default_config_static_selectorELNS0_4arch9wavefront6targetE1EEEvT1_
	.p2align	8
	.type	_ZN7rocprim17ROCPRIM_400000_NS6detail17trampoline_kernelINS0_14default_configENS1_25partition_config_selectorILNS1_17partition_subalgoE8ElNS0_10empty_typeEbEEZZNS1_14partition_implILS5_8ELb0ES3_jPlPS6_PKS6_NS0_5tupleIJS9_S6_EEENSD_IJSA_SA_EEENS0_18inequality_wrapperIZN2at6native12_GLOBAL__N_124unique_dim_cuda_templateIsEESt5tupleIJNSH_6TensorESM_SM_EERKSM_lbbbEUlllE0_EEPmJS6_EEE10hipError_tPvRmT3_T4_T5_T6_T7_T9_mT8_P12ihipStream_tbDpT10_ENKUlT_T0_E_clISt17integral_constantIbLb1EES1B_IbLb0EEEEDaS17_S18_EUlS17_E_NS1_11comp_targetILNS1_3genE2ELNS1_11target_archE906ELNS1_3gpuE6ELNS1_3repE0EEENS1_30default_config_static_selectorELNS0_4arch9wavefront6targetE1EEEvT1_,@function
_ZN7rocprim17ROCPRIM_400000_NS6detail17trampoline_kernelINS0_14default_configENS1_25partition_config_selectorILNS1_17partition_subalgoE8ElNS0_10empty_typeEbEEZZNS1_14partition_implILS5_8ELb0ES3_jPlPS6_PKS6_NS0_5tupleIJS9_S6_EEENSD_IJSA_SA_EEENS0_18inequality_wrapperIZN2at6native12_GLOBAL__N_124unique_dim_cuda_templateIsEESt5tupleIJNSH_6TensorESM_SM_EERKSM_lbbbEUlllE0_EEPmJS6_EEE10hipError_tPvRmT3_T4_T5_T6_T7_T9_mT8_P12ihipStream_tbDpT10_ENKUlT_T0_E_clISt17integral_constantIbLb1EES1B_IbLb0EEEEDaS17_S18_EUlS17_E_NS1_11comp_targetILNS1_3genE2ELNS1_11target_archE906ELNS1_3gpuE6ELNS1_3repE0EEENS1_30default_config_static_selectorELNS0_4arch9wavefront6targetE1EEEvT1_: ; @_ZN7rocprim17ROCPRIM_400000_NS6detail17trampoline_kernelINS0_14default_configENS1_25partition_config_selectorILNS1_17partition_subalgoE8ElNS0_10empty_typeEbEEZZNS1_14partition_implILS5_8ELb0ES3_jPlPS6_PKS6_NS0_5tupleIJS9_S6_EEENSD_IJSA_SA_EEENS0_18inequality_wrapperIZN2at6native12_GLOBAL__N_124unique_dim_cuda_templateIsEESt5tupleIJNSH_6TensorESM_SM_EERKSM_lbbbEUlllE0_EEPmJS6_EEE10hipError_tPvRmT3_T4_T5_T6_T7_T9_mT8_P12ihipStream_tbDpT10_ENKUlT_T0_E_clISt17integral_constantIbLb1EES1B_IbLb0EEEEDaS17_S18_EUlS17_E_NS1_11comp_targetILNS1_3genE2ELNS1_11target_archE906ELNS1_3gpuE6ELNS1_3repE0EEENS1_30default_config_static_selectorELNS0_4arch9wavefront6targetE1EEEvT1_
; %bb.0:
	.section	.rodata,"a",@progbits
	.p2align	6, 0x0
	.amdhsa_kernel _ZN7rocprim17ROCPRIM_400000_NS6detail17trampoline_kernelINS0_14default_configENS1_25partition_config_selectorILNS1_17partition_subalgoE8ElNS0_10empty_typeEbEEZZNS1_14partition_implILS5_8ELb0ES3_jPlPS6_PKS6_NS0_5tupleIJS9_S6_EEENSD_IJSA_SA_EEENS0_18inequality_wrapperIZN2at6native12_GLOBAL__N_124unique_dim_cuda_templateIsEESt5tupleIJNSH_6TensorESM_SM_EERKSM_lbbbEUlllE0_EEPmJS6_EEE10hipError_tPvRmT3_T4_T5_T6_T7_T9_mT8_P12ihipStream_tbDpT10_ENKUlT_T0_E_clISt17integral_constantIbLb1EES1B_IbLb0EEEEDaS17_S18_EUlS17_E_NS1_11comp_targetILNS1_3genE2ELNS1_11target_archE906ELNS1_3gpuE6ELNS1_3repE0EEENS1_30default_config_static_selectorELNS0_4arch9wavefront6targetE1EEEvT1_
		.amdhsa_group_segment_fixed_size 0
		.amdhsa_private_segment_fixed_size 0
		.amdhsa_kernarg_size 120
		.amdhsa_user_sgpr_count 2
		.amdhsa_user_sgpr_dispatch_ptr 0
		.amdhsa_user_sgpr_queue_ptr 0
		.amdhsa_user_sgpr_kernarg_segment_ptr 1
		.amdhsa_user_sgpr_dispatch_id 0
		.amdhsa_user_sgpr_kernarg_preload_length 0
		.amdhsa_user_sgpr_kernarg_preload_offset 0
		.amdhsa_user_sgpr_private_segment_size 0
		.amdhsa_uses_dynamic_stack 0
		.amdhsa_enable_private_segment 0
		.amdhsa_system_sgpr_workgroup_id_x 1
		.amdhsa_system_sgpr_workgroup_id_y 0
		.amdhsa_system_sgpr_workgroup_id_z 0
		.amdhsa_system_sgpr_workgroup_info 0
		.amdhsa_system_vgpr_workitem_id 0
		.amdhsa_next_free_vgpr 1
		.amdhsa_next_free_sgpr 0
		.amdhsa_accum_offset 4
		.amdhsa_reserve_vcc 0
		.amdhsa_float_round_mode_32 0
		.amdhsa_float_round_mode_16_64 0
		.amdhsa_float_denorm_mode_32 3
		.amdhsa_float_denorm_mode_16_64 3
		.amdhsa_dx10_clamp 1
		.amdhsa_ieee_mode 1
		.amdhsa_fp16_overflow 0
		.amdhsa_tg_split 0
		.amdhsa_exception_fp_ieee_invalid_op 0
		.amdhsa_exception_fp_denorm_src 0
		.amdhsa_exception_fp_ieee_div_zero 0
		.amdhsa_exception_fp_ieee_overflow 0
		.amdhsa_exception_fp_ieee_underflow 0
		.amdhsa_exception_fp_ieee_inexact 0
		.amdhsa_exception_int_div_zero 0
	.end_amdhsa_kernel
	.section	.text._ZN7rocprim17ROCPRIM_400000_NS6detail17trampoline_kernelINS0_14default_configENS1_25partition_config_selectorILNS1_17partition_subalgoE8ElNS0_10empty_typeEbEEZZNS1_14partition_implILS5_8ELb0ES3_jPlPS6_PKS6_NS0_5tupleIJS9_S6_EEENSD_IJSA_SA_EEENS0_18inequality_wrapperIZN2at6native12_GLOBAL__N_124unique_dim_cuda_templateIsEESt5tupleIJNSH_6TensorESM_SM_EERKSM_lbbbEUlllE0_EEPmJS6_EEE10hipError_tPvRmT3_T4_T5_T6_T7_T9_mT8_P12ihipStream_tbDpT10_ENKUlT_T0_E_clISt17integral_constantIbLb1EES1B_IbLb0EEEEDaS17_S18_EUlS17_E_NS1_11comp_targetILNS1_3genE2ELNS1_11target_archE906ELNS1_3gpuE6ELNS1_3repE0EEENS1_30default_config_static_selectorELNS0_4arch9wavefront6targetE1EEEvT1_,"axG",@progbits,_ZN7rocprim17ROCPRIM_400000_NS6detail17trampoline_kernelINS0_14default_configENS1_25partition_config_selectorILNS1_17partition_subalgoE8ElNS0_10empty_typeEbEEZZNS1_14partition_implILS5_8ELb0ES3_jPlPS6_PKS6_NS0_5tupleIJS9_S6_EEENSD_IJSA_SA_EEENS0_18inequality_wrapperIZN2at6native12_GLOBAL__N_124unique_dim_cuda_templateIsEESt5tupleIJNSH_6TensorESM_SM_EERKSM_lbbbEUlllE0_EEPmJS6_EEE10hipError_tPvRmT3_T4_T5_T6_T7_T9_mT8_P12ihipStream_tbDpT10_ENKUlT_T0_E_clISt17integral_constantIbLb1EES1B_IbLb0EEEEDaS17_S18_EUlS17_E_NS1_11comp_targetILNS1_3genE2ELNS1_11target_archE906ELNS1_3gpuE6ELNS1_3repE0EEENS1_30default_config_static_selectorELNS0_4arch9wavefront6targetE1EEEvT1_,comdat
.Lfunc_end710:
	.size	_ZN7rocprim17ROCPRIM_400000_NS6detail17trampoline_kernelINS0_14default_configENS1_25partition_config_selectorILNS1_17partition_subalgoE8ElNS0_10empty_typeEbEEZZNS1_14partition_implILS5_8ELb0ES3_jPlPS6_PKS6_NS0_5tupleIJS9_S6_EEENSD_IJSA_SA_EEENS0_18inequality_wrapperIZN2at6native12_GLOBAL__N_124unique_dim_cuda_templateIsEESt5tupleIJNSH_6TensorESM_SM_EERKSM_lbbbEUlllE0_EEPmJS6_EEE10hipError_tPvRmT3_T4_T5_T6_T7_T9_mT8_P12ihipStream_tbDpT10_ENKUlT_T0_E_clISt17integral_constantIbLb1EES1B_IbLb0EEEEDaS17_S18_EUlS17_E_NS1_11comp_targetILNS1_3genE2ELNS1_11target_archE906ELNS1_3gpuE6ELNS1_3repE0EEENS1_30default_config_static_selectorELNS0_4arch9wavefront6targetE1EEEvT1_, .Lfunc_end710-_ZN7rocprim17ROCPRIM_400000_NS6detail17trampoline_kernelINS0_14default_configENS1_25partition_config_selectorILNS1_17partition_subalgoE8ElNS0_10empty_typeEbEEZZNS1_14partition_implILS5_8ELb0ES3_jPlPS6_PKS6_NS0_5tupleIJS9_S6_EEENSD_IJSA_SA_EEENS0_18inequality_wrapperIZN2at6native12_GLOBAL__N_124unique_dim_cuda_templateIsEESt5tupleIJNSH_6TensorESM_SM_EERKSM_lbbbEUlllE0_EEPmJS6_EEE10hipError_tPvRmT3_T4_T5_T6_T7_T9_mT8_P12ihipStream_tbDpT10_ENKUlT_T0_E_clISt17integral_constantIbLb1EES1B_IbLb0EEEEDaS17_S18_EUlS17_E_NS1_11comp_targetILNS1_3genE2ELNS1_11target_archE906ELNS1_3gpuE6ELNS1_3repE0EEENS1_30default_config_static_selectorELNS0_4arch9wavefront6targetE1EEEvT1_
                                        ; -- End function
	.section	.AMDGPU.csdata,"",@progbits
; Kernel info:
; codeLenInByte = 0
; NumSgprs: 6
; NumVgprs: 0
; NumAgprs: 0
; TotalNumVgprs: 0
; ScratchSize: 0
; MemoryBound: 0
; FloatMode: 240
; IeeeMode: 1
; LDSByteSize: 0 bytes/workgroup (compile time only)
; SGPRBlocks: 0
; VGPRBlocks: 0
; NumSGPRsForWavesPerEU: 6
; NumVGPRsForWavesPerEU: 1
; AccumOffset: 4
; Occupancy: 8
; WaveLimiterHint : 0
; COMPUTE_PGM_RSRC2:SCRATCH_EN: 0
; COMPUTE_PGM_RSRC2:USER_SGPR: 2
; COMPUTE_PGM_RSRC2:TRAP_HANDLER: 0
; COMPUTE_PGM_RSRC2:TGID_X_EN: 1
; COMPUTE_PGM_RSRC2:TGID_Y_EN: 0
; COMPUTE_PGM_RSRC2:TGID_Z_EN: 0
; COMPUTE_PGM_RSRC2:TIDIG_COMP_CNT: 0
; COMPUTE_PGM_RSRC3_GFX90A:ACCUM_OFFSET: 0
; COMPUTE_PGM_RSRC3_GFX90A:TG_SPLIT: 0
	.section	.text._ZN7rocprim17ROCPRIM_400000_NS6detail17trampoline_kernelINS0_14default_configENS1_25partition_config_selectorILNS1_17partition_subalgoE8ElNS0_10empty_typeEbEEZZNS1_14partition_implILS5_8ELb0ES3_jPlPS6_PKS6_NS0_5tupleIJS9_S6_EEENSD_IJSA_SA_EEENS0_18inequality_wrapperIZN2at6native12_GLOBAL__N_124unique_dim_cuda_templateIsEESt5tupleIJNSH_6TensorESM_SM_EERKSM_lbbbEUlllE0_EEPmJS6_EEE10hipError_tPvRmT3_T4_T5_T6_T7_T9_mT8_P12ihipStream_tbDpT10_ENKUlT_T0_E_clISt17integral_constantIbLb1EES1B_IbLb0EEEEDaS17_S18_EUlS17_E_NS1_11comp_targetILNS1_3genE10ELNS1_11target_archE1200ELNS1_3gpuE4ELNS1_3repE0EEENS1_30default_config_static_selectorELNS0_4arch9wavefront6targetE1EEEvT1_,"axG",@progbits,_ZN7rocprim17ROCPRIM_400000_NS6detail17trampoline_kernelINS0_14default_configENS1_25partition_config_selectorILNS1_17partition_subalgoE8ElNS0_10empty_typeEbEEZZNS1_14partition_implILS5_8ELb0ES3_jPlPS6_PKS6_NS0_5tupleIJS9_S6_EEENSD_IJSA_SA_EEENS0_18inequality_wrapperIZN2at6native12_GLOBAL__N_124unique_dim_cuda_templateIsEESt5tupleIJNSH_6TensorESM_SM_EERKSM_lbbbEUlllE0_EEPmJS6_EEE10hipError_tPvRmT3_T4_T5_T6_T7_T9_mT8_P12ihipStream_tbDpT10_ENKUlT_T0_E_clISt17integral_constantIbLb1EES1B_IbLb0EEEEDaS17_S18_EUlS17_E_NS1_11comp_targetILNS1_3genE10ELNS1_11target_archE1200ELNS1_3gpuE4ELNS1_3repE0EEENS1_30default_config_static_selectorELNS0_4arch9wavefront6targetE1EEEvT1_,comdat
	.globl	_ZN7rocprim17ROCPRIM_400000_NS6detail17trampoline_kernelINS0_14default_configENS1_25partition_config_selectorILNS1_17partition_subalgoE8ElNS0_10empty_typeEbEEZZNS1_14partition_implILS5_8ELb0ES3_jPlPS6_PKS6_NS0_5tupleIJS9_S6_EEENSD_IJSA_SA_EEENS0_18inequality_wrapperIZN2at6native12_GLOBAL__N_124unique_dim_cuda_templateIsEESt5tupleIJNSH_6TensorESM_SM_EERKSM_lbbbEUlllE0_EEPmJS6_EEE10hipError_tPvRmT3_T4_T5_T6_T7_T9_mT8_P12ihipStream_tbDpT10_ENKUlT_T0_E_clISt17integral_constantIbLb1EES1B_IbLb0EEEEDaS17_S18_EUlS17_E_NS1_11comp_targetILNS1_3genE10ELNS1_11target_archE1200ELNS1_3gpuE4ELNS1_3repE0EEENS1_30default_config_static_selectorELNS0_4arch9wavefront6targetE1EEEvT1_ ; -- Begin function _ZN7rocprim17ROCPRIM_400000_NS6detail17trampoline_kernelINS0_14default_configENS1_25partition_config_selectorILNS1_17partition_subalgoE8ElNS0_10empty_typeEbEEZZNS1_14partition_implILS5_8ELb0ES3_jPlPS6_PKS6_NS0_5tupleIJS9_S6_EEENSD_IJSA_SA_EEENS0_18inequality_wrapperIZN2at6native12_GLOBAL__N_124unique_dim_cuda_templateIsEESt5tupleIJNSH_6TensorESM_SM_EERKSM_lbbbEUlllE0_EEPmJS6_EEE10hipError_tPvRmT3_T4_T5_T6_T7_T9_mT8_P12ihipStream_tbDpT10_ENKUlT_T0_E_clISt17integral_constantIbLb1EES1B_IbLb0EEEEDaS17_S18_EUlS17_E_NS1_11comp_targetILNS1_3genE10ELNS1_11target_archE1200ELNS1_3gpuE4ELNS1_3repE0EEENS1_30default_config_static_selectorELNS0_4arch9wavefront6targetE1EEEvT1_
	.p2align	8
	.type	_ZN7rocprim17ROCPRIM_400000_NS6detail17trampoline_kernelINS0_14default_configENS1_25partition_config_selectorILNS1_17partition_subalgoE8ElNS0_10empty_typeEbEEZZNS1_14partition_implILS5_8ELb0ES3_jPlPS6_PKS6_NS0_5tupleIJS9_S6_EEENSD_IJSA_SA_EEENS0_18inequality_wrapperIZN2at6native12_GLOBAL__N_124unique_dim_cuda_templateIsEESt5tupleIJNSH_6TensorESM_SM_EERKSM_lbbbEUlllE0_EEPmJS6_EEE10hipError_tPvRmT3_T4_T5_T6_T7_T9_mT8_P12ihipStream_tbDpT10_ENKUlT_T0_E_clISt17integral_constantIbLb1EES1B_IbLb0EEEEDaS17_S18_EUlS17_E_NS1_11comp_targetILNS1_3genE10ELNS1_11target_archE1200ELNS1_3gpuE4ELNS1_3repE0EEENS1_30default_config_static_selectorELNS0_4arch9wavefront6targetE1EEEvT1_,@function
_ZN7rocprim17ROCPRIM_400000_NS6detail17trampoline_kernelINS0_14default_configENS1_25partition_config_selectorILNS1_17partition_subalgoE8ElNS0_10empty_typeEbEEZZNS1_14partition_implILS5_8ELb0ES3_jPlPS6_PKS6_NS0_5tupleIJS9_S6_EEENSD_IJSA_SA_EEENS0_18inequality_wrapperIZN2at6native12_GLOBAL__N_124unique_dim_cuda_templateIsEESt5tupleIJNSH_6TensorESM_SM_EERKSM_lbbbEUlllE0_EEPmJS6_EEE10hipError_tPvRmT3_T4_T5_T6_T7_T9_mT8_P12ihipStream_tbDpT10_ENKUlT_T0_E_clISt17integral_constantIbLb1EES1B_IbLb0EEEEDaS17_S18_EUlS17_E_NS1_11comp_targetILNS1_3genE10ELNS1_11target_archE1200ELNS1_3gpuE4ELNS1_3repE0EEENS1_30default_config_static_selectorELNS0_4arch9wavefront6targetE1EEEvT1_: ; @_ZN7rocprim17ROCPRIM_400000_NS6detail17trampoline_kernelINS0_14default_configENS1_25partition_config_selectorILNS1_17partition_subalgoE8ElNS0_10empty_typeEbEEZZNS1_14partition_implILS5_8ELb0ES3_jPlPS6_PKS6_NS0_5tupleIJS9_S6_EEENSD_IJSA_SA_EEENS0_18inequality_wrapperIZN2at6native12_GLOBAL__N_124unique_dim_cuda_templateIsEESt5tupleIJNSH_6TensorESM_SM_EERKSM_lbbbEUlllE0_EEPmJS6_EEE10hipError_tPvRmT3_T4_T5_T6_T7_T9_mT8_P12ihipStream_tbDpT10_ENKUlT_T0_E_clISt17integral_constantIbLb1EES1B_IbLb0EEEEDaS17_S18_EUlS17_E_NS1_11comp_targetILNS1_3genE10ELNS1_11target_archE1200ELNS1_3gpuE4ELNS1_3repE0EEENS1_30default_config_static_selectorELNS0_4arch9wavefront6targetE1EEEvT1_
; %bb.0:
	.section	.rodata,"a",@progbits
	.p2align	6, 0x0
	.amdhsa_kernel _ZN7rocprim17ROCPRIM_400000_NS6detail17trampoline_kernelINS0_14default_configENS1_25partition_config_selectorILNS1_17partition_subalgoE8ElNS0_10empty_typeEbEEZZNS1_14partition_implILS5_8ELb0ES3_jPlPS6_PKS6_NS0_5tupleIJS9_S6_EEENSD_IJSA_SA_EEENS0_18inequality_wrapperIZN2at6native12_GLOBAL__N_124unique_dim_cuda_templateIsEESt5tupleIJNSH_6TensorESM_SM_EERKSM_lbbbEUlllE0_EEPmJS6_EEE10hipError_tPvRmT3_T4_T5_T6_T7_T9_mT8_P12ihipStream_tbDpT10_ENKUlT_T0_E_clISt17integral_constantIbLb1EES1B_IbLb0EEEEDaS17_S18_EUlS17_E_NS1_11comp_targetILNS1_3genE10ELNS1_11target_archE1200ELNS1_3gpuE4ELNS1_3repE0EEENS1_30default_config_static_selectorELNS0_4arch9wavefront6targetE1EEEvT1_
		.amdhsa_group_segment_fixed_size 0
		.amdhsa_private_segment_fixed_size 0
		.amdhsa_kernarg_size 120
		.amdhsa_user_sgpr_count 2
		.amdhsa_user_sgpr_dispatch_ptr 0
		.amdhsa_user_sgpr_queue_ptr 0
		.amdhsa_user_sgpr_kernarg_segment_ptr 1
		.amdhsa_user_sgpr_dispatch_id 0
		.amdhsa_user_sgpr_kernarg_preload_length 0
		.amdhsa_user_sgpr_kernarg_preload_offset 0
		.amdhsa_user_sgpr_private_segment_size 0
		.amdhsa_uses_dynamic_stack 0
		.amdhsa_enable_private_segment 0
		.amdhsa_system_sgpr_workgroup_id_x 1
		.amdhsa_system_sgpr_workgroup_id_y 0
		.amdhsa_system_sgpr_workgroup_id_z 0
		.amdhsa_system_sgpr_workgroup_info 0
		.amdhsa_system_vgpr_workitem_id 0
		.amdhsa_next_free_vgpr 1
		.amdhsa_next_free_sgpr 0
		.amdhsa_accum_offset 4
		.amdhsa_reserve_vcc 0
		.amdhsa_float_round_mode_32 0
		.amdhsa_float_round_mode_16_64 0
		.amdhsa_float_denorm_mode_32 3
		.amdhsa_float_denorm_mode_16_64 3
		.amdhsa_dx10_clamp 1
		.amdhsa_ieee_mode 1
		.amdhsa_fp16_overflow 0
		.amdhsa_tg_split 0
		.amdhsa_exception_fp_ieee_invalid_op 0
		.amdhsa_exception_fp_denorm_src 0
		.amdhsa_exception_fp_ieee_div_zero 0
		.amdhsa_exception_fp_ieee_overflow 0
		.amdhsa_exception_fp_ieee_underflow 0
		.amdhsa_exception_fp_ieee_inexact 0
		.amdhsa_exception_int_div_zero 0
	.end_amdhsa_kernel
	.section	.text._ZN7rocprim17ROCPRIM_400000_NS6detail17trampoline_kernelINS0_14default_configENS1_25partition_config_selectorILNS1_17partition_subalgoE8ElNS0_10empty_typeEbEEZZNS1_14partition_implILS5_8ELb0ES3_jPlPS6_PKS6_NS0_5tupleIJS9_S6_EEENSD_IJSA_SA_EEENS0_18inequality_wrapperIZN2at6native12_GLOBAL__N_124unique_dim_cuda_templateIsEESt5tupleIJNSH_6TensorESM_SM_EERKSM_lbbbEUlllE0_EEPmJS6_EEE10hipError_tPvRmT3_T4_T5_T6_T7_T9_mT8_P12ihipStream_tbDpT10_ENKUlT_T0_E_clISt17integral_constantIbLb1EES1B_IbLb0EEEEDaS17_S18_EUlS17_E_NS1_11comp_targetILNS1_3genE10ELNS1_11target_archE1200ELNS1_3gpuE4ELNS1_3repE0EEENS1_30default_config_static_selectorELNS0_4arch9wavefront6targetE1EEEvT1_,"axG",@progbits,_ZN7rocprim17ROCPRIM_400000_NS6detail17trampoline_kernelINS0_14default_configENS1_25partition_config_selectorILNS1_17partition_subalgoE8ElNS0_10empty_typeEbEEZZNS1_14partition_implILS5_8ELb0ES3_jPlPS6_PKS6_NS0_5tupleIJS9_S6_EEENSD_IJSA_SA_EEENS0_18inequality_wrapperIZN2at6native12_GLOBAL__N_124unique_dim_cuda_templateIsEESt5tupleIJNSH_6TensorESM_SM_EERKSM_lbbbEUlllE0_EEPmJS6_EEE10hipError_tPvRmT3_T4_T5_T6_T7_T9_mT8_P12ihipStream_tbDpT10_ENKUlT_T0_E_clISt17integral_constantIbLb1EES1B_IbLb0EEEEDaS17_S18_EUlS17_E_NS1_11comp_targetILNS1_3genE10ELNS1_11target_archE1200ELNS1_3gpuE4ELNS1_3repE0EEENS1_30default_config_static_selectorELNS0_4arch9wavefront6targetE1EEEvT1_,comdat
.Lfunc_end711:
	.size	_ZN7rocprim17ROCPRIM_400000_NS6detail17trampoline_kernelINS0_14default_configENS1_25partition_config_selectorILNS1_17partition_subalgoE8ElNS0_10empty_typeEbEEZZNS1_14partition_implILS5_8ELb0ES3_jPlPS6_PKS6_NS0_5tupleIJS9_S6_EEENSD_IJSA_SA_EEENS0_18inequality_wrapperIZN2at6native12_GLOBAL__N_124unique_dim_cuda_templateIsEESt5tupleIJNSH_6TensorESM_SM_EERKSM_lbbbEUlllE0_EEPmJS6_EEE10hipError_tPvRmT3_T4_T5_T6_T7_T9_mT8_P12ihipStream_tbDpT10_ENKUlT_T0_E_clISt17integral_constantIbLb1EES1B_IbLb0EEEEDaS17_S18_EUlS17_E_NS1_11comp_targetILNS1_3genE10ELNS1_11target_archE1200ELNS1_3gpuE4ELNS1_3repE0EEENS1_30default_config_static_selectorELNS0_4arch9wavefront6targetE1EEEvT1_, .Lfunc_end711-_ZN7rocprim17ROCPRIM_400000_NS6detail17trampoline_kernelINS0_14default_configENS1_25partition_config_selectorILNS1_17partition_subalgoE8ElNS0_10empty_typeEbEEZZNS1_14partition_implILS5_8ELb0ES3_jPlPS6_PKS6_NS0_5tupleIJS9_S6_EEENSD_IJSA_SA_EEENS0_18inequality_wrapperIZN2at6native12_GLOBAL__N_124unique_dim_cuda_templateIsEESt5tupleIJNSH_6TensorESM_SM_EERKSM_lbbbEUlllE0_EEPmJS6_EEE10hipError_tPvRmT3_T4_T5_T6_T7_T9_mT8_P12ihipStream_tbDpT10_ENKUlT_T0_E_clISt17integral_constantIbLb1EES1B_IbLb0EEEEDaS17_S18_EUlS17_E_NS1_11comp_targetILNS1_3genE10ELNS1_11target_archE1200ELNS1_3gpuE4ELNS1_3repE0EEENS1_30default_config_static_selectorELNS0_4arch9wavefront6targetE1EEEvT1_
                                        ; -- End function
	.section	.AMDGPU.csdata,"",@progbits
; Kernel info:
; codeLenInByte = 0
; NumSgprs: 6
; NumVgprs: 0
; NumAgprs: 0
; TotalNumVgprs: 0
; ScratchSize: 0
; MemoryBound: 0
; FloatMode: 240
; IeeeMode: 1
; LDSByteSize: 0 bytes/workgroup (compile time only)
; SGPRBlocks: 0
; VGPRBlocks: 0
; NumSGPRsForWavesPerEU: 6
; NumVGPRsForWavesPerEU: 1
; AccumOffset: 4
; Occupancy: 8
; WaveLimiterHint : 0
; COMPUTE_PGM_RSRC2:SCRATCH_EN: 0
; COMPUTE_PGM_RSRC2:USER_SGPR: 2
; COMPUTE_PGM_RSRC2:TRAP_HANDLER: 0
; COMPUTE_PGM_RSRC2:TGID_X_EN: 1
; COMPUTE_PGM_RSRC2:TGID_Y_EN: 0
; COMPUTE_PGM_RSRC2:TGID_Z_EN: 0
; COMPUTE_PGM_RSRC2:TIDIG_COMP_CNT: 0
; COMPUTE_PGM_RSRC3_GFX90A:ACCUM_OFFSET: 0
; COMPUTE_PGM_RSRC3_GFX90A:TG_SPLIT: 0
	.section	.text._ZN7rocprim17ROCPRIM_400000_NS6detail17trampoline_kernelINS0_14default_configENS1_25partition_config_selectorILNS1_17partition_subalgoE8ElNS0_10empty_typeEbEEZZNS1_14partition_implILS5_8ELb0ES3_jPlPS6_PKS6_NS0_5tupleIJS9_S6_EEENSD_IJSA_SA_EEENS0_18inequality_wrapperIZN2at6native12_GLOBAL__N_124unique_dim_cuda_templateIsEESt5tupleIJNSH_6TensorESM_SM_EERKSM_lbbbEUlllE0_EEPmJS6_EEE10hipError_tPvRmT3_T4_T5_T6_T7_T9_mT8_P12ihipStream_tbDpT10_ENKUlT_T0_E_clISt17integral_constantIbLb1EES1B_IbLb0EEEEDaS17_S18_EUlS17_E_NS1_11comp_targetILNS1_3genE9ELNS1_11target_archE1100ELNS1_3gpuE3ELNS1_3repE0EEENS1_30default_config_static_selectorELNS0_4arch9wavefront6targetE1EEEvT1_,"axG",@progbits,_ZN7rocprim17ROCPRIM_400000_NS6detail17trampoline_kernelINS0_14default_configENS1_25partition_config_selectorILNS1_17partition_subalgoE8ElNS0_10empty_typeEbEEZZNS1_14partition_implILS5_8ELb0ES3_jPlPS6_PKS6_NS0_5tupleIJS9_S6_EEENSD_IJSA_SA_EEENS0_18inequality_wrapperIZN2at6native12_GLOBAL__N_124unique_dim_cuda_templateIsEESt5tupleIJNSH_6TensorESM_SM_EERKSM_lbbbEUlllE0_EEPmJS6_EEE10hipError_tPvRmT3_T4_T5_T6_T7_T9_mT8_P12ihipStream_tbDpT10_ENKUlT_T0_E_clISt17integral_constantIbLb1EES1B_IbLb0EEEEDaS17_S18_EUlS17_E_NS1_11comp_targetILNS1_3genE9ELNS1_11target_archE1100ELNS1_3gpuE3ELNS1_3repE0EEENS1_30default_config_static_selectorELNS0_4arch9wavefront6targetE1EEEvT1_,comdat
	.globl	_ZN7rocprim17ROCPRIM_400000_NS6detail17trampoline_kernelINS0_14default_configENS1_25partition_config_selectorILNS1_17partition_subalgoE8ElNS0_10empty_typeEbEEZZNS1_14partition_implILS5_8ELb0ES3_jPlPS6_PKS6_NS0_5tupleIJS9_S6_EEENSD_IJSA_SA_EEENS0_18inequality_wrapperIZN2at6native12_GLOBAL__N_124unique_dim_cuda_templateIsEESt5tupleIJNSH_6TensorESM_SM_EERKSM_lbbbEUlllE0_EEPmJS6_EEE10hipError_tPvRmT3_T4_T5_T6_T7_T9_mT8_P12ihipStream_tbDpT10_ENKUlT_T0_E_clISt17integral_constantIbLb1EES1B_IbLb0EEEEDaS17_S18_EUlS17_E_NS1_11comp_targetILNS1_3genE9ELNS1_11target_archE1100ELNS1_3gpuE3ELNS1_3repE0EEENS1_30default_config_static_selectorELNS0_4arch9wavefront6targetE1EEEvT1_ ; -- Begin function _ZN7rocprim17ROCPRIM_400000_NS6detail17trampoline_kernelINS0_14default_configENS1_25partition_config_selectorILNS1_17partition_subalgoE8ElNS0_10empty_typeEbEEZZNS1_14partition_implILS5_8ELb0ES3_jPlPS6_PKS6_NS0_5tupleIJS9_S6_EEENSD_IJSA_SA_EEENS0_18inequality_wrapperIZN2at6native12_GLOBAL__N_124unique_dim_cuda_templateIsEESt5tupleIJNSH_6TensorESM_SM_EERKSM_lbbbEUlllE0_EEPmJS6_EEE10hipError_tPvRmT3_T4_T5_T6_T7_T9_mT8_P12ihipStream_tbDpT10_ENKUlT_T0_E_clISt17integral_constantIbLb1EES1B_IbLb0EEEEDaS17_S18_EUlS17_E_NS1_11comp_targetILNS1_3genE9ELNS1_11target_archE1100ELNS1_3gpuE3ELNS1_3repE0EEENS1_30default_config_static_selectorELNS0_4arch9wavefront6targetE1EEEvT1_
	.p2align	8
	.type	_ZN7rocprim17ROCPRIM_400000_NS6detail17trampoline_kernelINS0_14default_configENS1_25partition_config_selectorILNS1_17partition_subalgoE8ElNS0_10empty_typeEbEEZZNS1_14partition_implILS5_8ELb0ES3_jPlPS6_PKS6_NS0_5tupleIJS9_S6_EEENSD_IJSA_SA_EEENS0_18inequality_wrapperIZN2at6native12_GLOBAL__N_124unique_dim_cuda_templateIsEESt5tupleIJNSH_6TensorESM_SM_EERKSM_lbbbEUlllE0_EEPmJS6_EEE10hipError_tPvRmT3_T4_T5_T6_T7_T9_mT8_P12ihipStream_tbDpT10_ENKUlT_T0_E_clISt17integral_constantIbLb1EES1B_IbLb0EEEEDaS17_S18_EUlS17_E_NS1_11comp_targetILNS1_3genE9ELNS1_11target_archE1100ELNS1_3gpuE3ELNS1_3repE0EEENS1_30default_config_static_selectorELNS0_4arch9wavefront6targetE1EEEvT1_,@function
_ZN7rocprim17ROCPRIM_400000_NS6detail17trampoline_kernelINS0_14default_configENS1_25partition_config_selectorILNS1_17partition_subalgoE8ElNS0_10empty_typeEbEEZZNS1_14partition_implILS5_8ELb0ES3_jPlPS6_PKS6_NS0_5tupleIJS9_S6_EEENSD_IJSA_SA_EEENS0_18inequality_wrapperIZN2at6native12_GLOBAL__N_124unique_dim_cuda_templateIsEESt5tupleIJNSH_6TensorESM_SM_EERKSM_lbbbEUlllE0_EEPmJS6_EEE10hipError_tPvRmT3_T4_T5_T6_T7_T9_mT8_P12ihipStream_tbDpT10_ENKUlT_T0_E_clISt17integral_constantIbLb1EES1B_IbLb0EEEEDaS17_S18_EUlS17_E_NS1_11comp_targetILNS1_3genE9ELNS1_11target_archE1100ELNS1_3gpuE3ELNS1_3repE0EEENS1_30default_config_static_selectorELNS0_4arch9wavefront6targetE1EEEvT1_: ; @_ZN7rocprim17ROCPRIM_400000_NS6detail17trampoline_kernelINS0_14default_configENS1_25partition_config_selectorILNS1_17partition_subalgoE8ElNS0_10empty_typeEbEEZZNS1_14partition_implILS5_8ELb0ES3_jPlPS6_PKS6_NS0_5tupleIJS9_S6_EEENSD_IJSA_SA_EEENS0_18inequality_wrapperIZN2at6native12_GLOBAL__N_124unique_dim_cuda_templateIsEESt5tupleIJNSH_6TensorESM_SM_EERKSM_lbbbEUlllE0_EEPmJS6_EEE10hipError_tPvRmT3_T4_T5_T6_T7_T9_mT8_P12ihipStream_tbDpT10_ENKUlT_T0_E_clISt17integral_constantIbLb1EES1B_IbLb0EEEEDaS17_S18_EUlS17_E_NS1_11comp_targetILNS1_3genE9ELNS1_11target_archE1100ELNS1_3gpuE3ELNS1_3repE0EEENS1_30default_config_static_selectorELNS0_4arch9wavefront6targetE1EEEvT1_
; %bb.0:
	.section	.rodata,"a",@progbits
	.p2align	6, 0x0
	.amdhsa_kernel _ZN7rocprim17ROCPRIM_400000_NS6detail17trampoline_kernelINS0_14default_configENS1_25partition_config_selectorILNS1_17partition_subalgoE8ElNS0_10empty_typeEbEEZZNS1_14partition_implILS5_8ELb0ES3_jPlPS6_PKS6_NS0_5tupleIJS9_S6_EEENSD_IJSA_SA_EEENS0_18inequality_wrapperIZN2at6native12_GLOBAL__N_124unique_dim_cuda_templateIsEESt5tupleIJNSH_6TensorESM_SM_EERKSM_lbbbEUlllE0_EEPmJS6_EEE10hipError_tPvRmT3_T4_T5_T6_T7_T9_mT8_P12ihipStream_tbDpT10_ENKUlT_T0_E_clISt17integral_constantIbLb1EES1B_IbLb0EEEEDaS17_S18_EUlS17_E_NS1_11comp_targetILNS1_3genE9ELNS1_11target_archE1100ELNS1_3gpuE3ELNS1_3repE0EEENS1_30default_config_static_selectorELNS0_4arch9wavefront6targetE1EEEvT1_
		.amdhsa_group_segment_fixed_size 0
		.amdhsa_private_segment_fixed_size 0
		.amdhsa_kernarg_size 120
		.amdhsa_user_sgpr_count 2
		.amdhsa_user_sgpr_dispatch_ptr 0
		.amdhsa_user_sgpr_queue_ptr 0
		.amdhsa_user_sgpr_kernarg_segment_ptr 1
		.amdhsa_user_sgpr_dispatch_id 0
		.amdhsa_user_sgpr_kernarg_preload_length 0
		.amdhsa_user_sgpr_kernarg_preload_offset 0
		.amdhsa_user_sgpr_private_segment_size 0
		.amdhsa_uses_dynamic_stack 0
		.amdhsa_enable_private_segment 0
		.amdhsa_system_sgpr_workgroup_id_x 1
		.amdhsa_system_sgpr_workgroup_id_y 0
		.amdhsa_system_sgpr_workgroup_id_z 0
		.amdhsa_system_sgpr_workgroup_info 0
		.amdhsa_system_vgpr_workitem_id 0
		.amdhsa_next_free_vgpr 1
		.amdhsa_next_free_sgpr 0
		.amdhsa_accum_offset 4
		.amdhsa_reserve_vcc 0
		.amdhsa_float_round_mode_32 0
		.amdhsa_float_round_mode_16_64 0
		.amdhsa_float_denorm_mode_32 3
		.amdhsa_float_denorm_mode_16_64 3
		.amdhsa_dx10_clamp 1
		.amdhsa_ieee_mode 1
		.amdhsa_fp16_overflow 0
		.amdhsa_tg_split 0
		.amdhsa_exception_fp_ieee_invalid_op 0
		.amdhsa_exception_fp_denorm_src 0
		.amdhsa_exception_fp_ieee_div_zero 0
		.amdhsa_exception_fp_ieee_overflow 0
		.amdhsa_exception_fp_ieee_underflow 0
		.amdhsa_exception_fp_ieee_inexact 0
		.amdhsa_exception_int_div_zero 0
	.end_amdhsa_kernel
	.section	.text._ZN7rocprim17ROCPRIM_400000_NS6detail17trampoline_kernelINS0_14default_configENS1_25partition_config_selectorILNS1_17partition_subalgoE8ElNS0_10empty_typeEbEEZZNS1_14partition_implILS5_8ELb0ES3_jPlPS6_PKS6_NS0_5tupleIJS9_S6_EEENSD_IJSA_SA_EEENS0_18inequality_wrapperIZN2at6native12_GLOBAL__N_124unique_dim_cuda_templateIsEESt5tupleIJNSH_6TensorESM_SM_EERKSM_lbbbEUlllE0_EEPmJS6_EEE10hipError_tPvRmT3_T4_T5_T6_T7_T9_mT8_P12ihipStream_tbDpT10_ENKUlT_T0_E_clISt17integral_constantIbLb1EES1B_IbLb0EEEEDaS17_S18_EUlS17_E_NS1_11comp_targetILNS1_3genE9ELNS1_11target_archE1100ELNS1_3gpuE3ELNS1_3repE0EEENS1_30default_config_static_selectorELNS0_4arch9wavefront6targetE1EEEvT1_,"axG",@progbits,_ZN7rocprim17ROCPRIM_400000_NS6detail17trampoline_kernelINS0_14default_configENS1_25partition_config_selectorILNS1_17partition_subalgoE8ElNS0_10empty_typeEbEEZZNS1_14partition_implILS5_8ELb0ES3_jPlPS6_PKS6_NS0_5tupleIJS9_S6_EEENSD_IJSA_SA_EEENS0_18inequality_wrapperIZN2at6native12_GLOBAL__N_124unique_dim_cuda_templateIsEESt5tupleIJNSH_6TensorESM_SM_EERKSM_lbbbEUlllE0_EEPmJS6_EEE10hipError_tPvRmT3_T4_T5_T6_T7_T9_mT8_P12ihipStream_tbDpT10_ENKUlT_T0_E_clISt17integral_constantIbLb1EES1B_IbLb0EEEEDaS17_S18_EUlS17_E_NS1_11comp_targetILNS1_3genE9ELNS1_11target_archE1100ELNS1_3gpuE3ELNS1_3repE0EEENS1_30default_config_static_selectorELNS0_4arch9wavefront6targetE1EEEvT1_,comdat
.Lfunc_end712:
	.size	_ZN7rocprim17ROCPRIM_400000_NS6detail17trampoline_kernelINS0_14default_configENS1_25partition_config_selectorILNS1_17partition_subalgoE8ElNS0_10empty_typeEbEEZZNS1_14partition_implILS5_8ELb0ES3_jPlPS6_PKS6_NS0_5tupleIJS9_S6_EEENSD_IJSA_SA_EEENS0_18inequality_wrapperIZN2at6native12_GLOBAL__N_124unique_dim_cuda_templateIsEESt5tupleIJNSH_6TensorESM_SM_EERKSM_lbbbEUlllE0_EEPmJS6_EEE10hipError_tPvRmT3_T4_T5_T6_T7_T9_mT8_P12ihipStream_tbDpT10_ENKUlT_T0_E_clISt17integral_constantIbLb1EES1B_IbLb0EEEEDaS17_S18_EUlS17_E_NS1_11comp_targetILNS1_3genE9ELNS1_11target_archE1100ELNS1_3gpuE3ELNS1_3repE0EEENS1_30default_config_static_selectorELNS0_4arch9wavefront6targetE1EEEvT1_, .Lfunc_end712-_ZN7rocprim17ROCPRIM_400000_NS6detail17trampoline_kernelINS0_14default_configENS1_25partition_config_selectorILNS1_17partition_subalgoE8ElNS0_10empty_typeEbEEZZNS1_14partition_implILS5_8ELb0ES3_jPlPS6_PKS6_NS0_5tupleIJS9_S6_EEENSD_IJSA_SA_EEENS0_18inequality_wrapperIZN2at6native12_GLOBAL__N_124unique_dim_cuda_templateIsEESt5tupleIJNSH_6TensorESM_SM_EERKSM_lbbbEUlllE0_EEPmJS6_EEE10hipError_tPvRmT3_T4_T5_T6_T7_T9_mT8_P12ihipStream_tbDpT10_ENKUlT_T0_E_clISt17integral_constantIbLb1EES1B_IbLb0EEEEDaS17_S18_EUlS17_E_NS1_11comp_targetILNS1_3genE9ELNS1_11target_archE1100ELNS1_3gpuE3ELNS1_3repE0EEENS1_30default_config_static_selectorELNS0_4arch9wavefront6targetE1EEEvT1_
                                        ; -- End function
	.section	.AMDGPU.csdata,"",@progbits
; Kernel info:
; codeLenInByte = 0
; NumSgprs: 6
; NumVgprs: 0
; NumAgprs: 0
; TotalNumVgprs: 0
; ScratchSize: 0
; MemoryBound: 0
; FloatMode: 240
; IeeeMode: 1
; LDSByteSize: 0 bytes/workgroup (compile time only)
; SGPRBlocks: 0
; VGPRBlocks: 0
; NumSGPRsForWavesPerEU: 6
; NumVGPRsForWavesPerEU: 1
; AccumOffset: 4
; Occupancy: 8
; WaveLimiterHint : 0
; COMPUTE_PGM_RSRC2:SCRATCH_EN: 0
; COMPUTE_PGM_RSRC2:USER_SGPR: 2
; COMPUTE_PGM_RSRC2:TRAP_HANDLER: 0
; COMPUTE_PGM_RSRC2:TGID_X_EN: 1
; COMPUTE_PGM_RSRC2:TGID_Y_EN: 0
; COMPUTE_PGM_RSRC2:TGID_Z_EN: 0
; COMPUTE_PGM_RSRC2:TIDIG_COMP_CNT: 0
; COMPUTE_PGM_RSRC3_GFX90A:ACCUM_OFFSET: 0
; COMPUTE_PGM_RSRC3_GFX90A:TG_SPLIT: 0
	.section	.text._ZN7rocprim17ROCPRIM_400000_NS6detail17trampoline_kernelINS0_14default_configENS1_25partition_config_selectorILNS1_17partition_subalgoE8ElNS0_10empty_typeEbEEZZNS1_14partition_implILS5_8ELb0ES3_jPlPS6_PKS6_NS0_5tupleIJS9_S6_EEENSD_IJSA_SA_EEENS0_18inequality_wrapperIZN2at6native12_GLOBAL__N_124unique_dim_cuda_templateIsEESt5tupleIJNSH_6TensorESM_SM_EERKSM_lbbbEUlllE0_EEPmJS6_EEE10hipError_tPvRmT3_T4_T5_T6_T7_T9_mT8_P12ihipStream_tbDpT10_ENKUlT_T0_E_clISt17integral_constantIbLb1EES1B_IbLb0EEEEDaS17_S18_EUlS17_E_NS1_11comp_targetILNS1_3genE8ELNS1_11target_archE1030ELNS1_3gpuE2ELNS1_3repE0EEENS1_30default_config_static_selectorELNS0_4arch9wavefront6targetE1EEEvT1_,"axG",@progbits,_ZN7rocprim17ROCPRIM_400000_NS6detail17trampoline_kernelINS0_14default_configENS1_25partition_config_selectorILNS1_17partition_subalgoE8ElNS0_10empty_typeEbEEZZNS1_14partition_implILS5_8ELb0ES3_jPlPS6_PKS6_NS0_5tupleIJS9_S6_EEENSD_IJSA_SA_EEENS0_18inequality_wrapperIZN2at6native12_GLOBAL__N_124unique_dim_cuda_templateIsEESt5tupleIJNSH_6TensorESM_SM_EERKSM_lbbbEUlllE0_EEPmJS6_EEE10hipError_tPvRmT3_T4_T5_T6_T7_T9_mT8_P12ihipStream_tbDpT10_ENKUlT_T0_E_clISt17integral_constantIbLb1EES1B_IbLb0EEEEDaS17_S18_EUlS17_E_NS1_11comp_targetILNS1_3genE8ELNS1_11target_archE1030ELNS1_3gpuE2ELNS1_3repE0EEENS1_30default_config_static_selectorELNS0_4arch9wavefront6targetE1EEEvT1_,comdat
	.globl	_ZN7rocprim17ROCPRIM_400000_NS6detail17trampoline_kernelINS0_14default_configENS1_25partition_config_selectorILNS1_17partition_subalgoE8ElNS0_10empty_typeEbEEZZNS1_14partition_implILS5_8ELb0ES3_jPlPS6_PKS6_NS0_5tupleIJS9_S6_EEENSD_IJSA_SA_EEENS0_18inequality_wrapperIZN2at6native12_GLOBAL__N_124unique_dim_cuda_templateIsEESt5tupleIJNSH_6TensorESM_SM_EERKSM_lbbbEUlllE0_EEPmJS6_EEE10hipError_tPvRmT3_T4_T5_T6_T7_T9_mT8_P12ihipStream_tbDpT10_ENKUlT_T0_E_clISt17integral_constantIbLb1EES1B_IbLb0EEEEDaS17_S18_EUlS17_E_NS1_11comp_targetILNS1_3genE8ELNS1_11target_archE1030ELNS1_3gpuE2ELNS1_3repE0EEENS1_30default_config_static_selectorELNS0_4arch9wavefront6targetE1EEEvT1_ ; -- Begin function _ZN7rocprim17ROCPRIM_400000_NS6detail17trampoline_kernelINS0_14default_configENS1_25partition_config_selectorILNS1_17partition_subalgoE8ElNS0_10empty_typeEbEEZZNS1_14partition_implILS5_8ELb0ES3_jPlPS6_PKS6_NS0_5tupleIJS9_S6_EEENSD_IJSA_SA_EEENS0_18inequality_wrapperIZN2at6native12_GLOBAL__N_124unique_dim_cuda_templateIsEESt5tupleIJNSH_6TensorESM_SM_EERKSM_lbbbEUlllE0_EEPmJS6_EEE10hipError_tPvRmT3_T4_T5_T6_T7_T9_mT8_P12ihipStream_tbDpT10_ENKUlT_T0_E_clISt17integral_constantIbLb1EES1B_IbLb0EEEEDaS17_S18_EUlS17_E_NS1_11comp_targetILNS1_3genE8ELNS1_11target_archE1030ELNS1_3gpuE2ELNS1_3repE0EEENS1_30default_config_static_selectorELNS0_4arch9wavefront6targetE1EEEvT1_
	.p2align	8
	.type	_ZN7rocprim17ROCPRIM_400000_NS6detail17trampoline_kernelINS0_14default_configENS1_25partition_config_selectorILNS1_17partition_subalgoE8ElNS0_10empty_typeEbEEZZNS1_14partition_implILS5_8ELb0ES3_jPlPS6_PKS6_NS0_5tupleIJS9_S6_EEENSD_IJSA_SA_EEENS0_18inequality_wrapperIZN2at6native12_GLOBAL__N_124unique_dim_cuda_templateIsEESt5tupleIJNSH_6TensorESM_SM_EERKSM_lbbbEUlllE0_EEPmJS6_EEE10hipError_tPvRmT3_T4_T5_T6_T7_T9_mT8_P12ihipStream_tbDpT10_ENKUlT_T0_E_clISt17integral_constantIbLb1EES1B_IbLb0EEEEDaS17_S18_EUlS17_E_NS1_11comp_targetILNS1_3genE8ELNS1_11target_archE1030ELNS1_3gpuE2ELNS1_3repE0EEENS1_30default_config_static_selectorELNS0_4arch9wavefront6targetE1EEEvT1_,@function
_ZN7rocprim17ROCPRIM_400000_NS6detail17trampoline_kernelINS0_14default_configENS1_25partition_config_selectorILNS1_17partition_subalgoE8ElNS0_10empty_typeEbEEZZNS1_14partition_implILS5_8ELb0ES3_jPlPS6_PKS6_NS0_5tupleIJS9_S6_EEENSD_IJSA_SA_EEENS0_18inequality_wrapperIZN2at6native12_GLOBAL__N_124unique_dim_cuda_templateIsEESt5tupleIJNSH_6TensorESM_SM_EERKSM_lbbbEUlllE0_EEPmJS6_EEE10hipError_tPvRmT3_T4_T5_T6_T7_T9_mT8_P12ihipStream_tbDpT10_ENKUlT_T0_E_clISt17integral_constantIbLb1EES1B_IbLb0EEEEDaS17_S18_EUlS17_E_NS1_11comp_targetILNS1_3genE8ELNS1_11target_archE1030ELNS1_3gpuE2ELNS1_3repE0EEENS1_30default_config_static_selectorELNS0_4arch9wavefront6targetE1EEEvT1_: ; @_ZN7rocprim17ROCPRIM_400000_NS6detail17trampoline_kernelINS0_14default_configENS1_25partition_config_selectorILNS1_17partition_subalgoE8ElNS0_10empty_typeEbEEZZNS1_14partition_implILS5_8ELb0ES3_jPlPS6_PKS6_NS0_5tupleIJS9_S6_EEENSD_IJSA_SA_EEENS0_18inequality_wrapperIZN2at6native12_GLOBAL__N_124unique_dim_cuda_templateIsEESt5tupleIJNSH_6TensorESM_SM_EERKSM_lbbbEUlllE0_EEPmJS6_EEE10hipError_tPvRmT3_T4_T5_T6_T7_T9_mT8_P12ihipStream_tbDpT10_ENKUlT_T0_E_clISt17integral_constantIbLb1EES1B_IbLb0EEEEDaS17_S18_EUlS17_E_NS1_11comp_targetILNS1_3genE8ELNS1_11target_archE1030ELNS1_3gpuE2ELNS1_3repE0EEENS1_30default_config_static_selectorELNS0_4arch9wavefront6targetE1EEEvT1_
; %bb.0:
	.section	.rodata,"a",@progbits
	.p2align	6, 0x0
	.amdhsa_kernel _ZN7rocprim17ROCPRIM_400000_NS6detail17trampoline_kernelINS0_14default_configENS1_25partition_config_selectorILNS1_17partition_subalgoE8ElNS0_10empty_typeEbEEZZNS1_14partition_implILS5_8ELb0ES3_jPlPS6_PKS6_NS0_5tupleIJS9_S6_EEENSD_IJSA_SA_EEENS0_18inequality_wrapperIZN2at6native12_GLOBAL__N_124unique_dim_cuda_templateIsEESt5tupleIJNSH_6TensorESM_SM_EERKSM_lbbbEUlllE0_EEPmJS6_EEE10hipError_tPvRmT3_T4_T5_T6_T7_T9_mT8_P12ihipStream_tbDpT10_ENKUlT_T0_E_clISt17integral_constantIbLb1EES1B_IbLb0EEEEDaS17_S18_EUlS17_E_NS1_11comp_targetILNS1_3genE8ELNS1_11target_archE1030ELNS1_3gpuE2ELNS1_3repE0EEENS1_30default_config_static_selectorELNS0_4arch9wavefront6targetE1EEEvT1_
		.amdhsa_group_segment_fixed_size 0
		.amdhsa_private_segment_fixed_size 0
		.amdhsa_kernarg_size 120
		.amdhsa_user_sgpr_count 2
		.amdhsa_user_sgpr_dispatch_ptr 0
		.amdhsa_user_sgpr_queue_ptr 0
		.amdhsa_user_sgpr_kernarg_segment_ptr 1
		.amdhsa_user_sgpr_dispatch_id 0
		.amdhsa_user_sgpr_kernarg_preload_length 0
		.amdhsa_user_sgpr_kernarg_preload_offset 0
		.amdhsa_user_sgpr_private_segment_size 0
		.amdhsa_uses_dynamic_stack 0
		.amdhsa_enable_private_segment 0
		.amdhsa_system_sgpr_workgroup_id_x 1
		.amdhsa_system_sgpr_workgroup_id_y 0
		.amdhsa_system_sgpr_workgroup_id_z 0
		.amdhsa_system_sgpr_workgroup_info 0
		.amdhsa_system_vgpr_workitem_id 0
		.amdhsa_next_free_vgpr 1
		.amdhsa_next_free_sgpr 0
		.amdhsa_accum_offset 4
		.amdhsa_reserve_vcc 0
		.amdhsa_float_round_mode_32 0
		.amdhsa_float_round_mode_16_64 0
		.amdhsa_float_denorm_mode_32 3
		.amdhsa_float_denorm_mode_16_64 3
		.amdhsa_dx10_clamp 1
		.amdhsa_ieee_mode 1
		.amdhsa_fp16_overflow 0
		.amdhsa_tg_split 0
		.amdhsa_exception_fp_ieee_invalid_op 0
		.amdhsa_exception_fp_denorm_src 0
		.amdhsa_exception_fp_ieee_div_zero 0
		.amdhsa_exception_fp_ieee_overflow 0
		.amdhsa_exception_fp_ieee_underflow 0
		.amdhsa_exception_fp_ieee_inexact 0
		.amdhsa_exception_int_div_zero 0
	.end_amdhsa_kernel
	.section	.text._ZN7rocprim17ROCPRIM_400000_NS6detail17trampoline_kernelINS0_14default_configENS1_25partition_config_selectorILNS1_17partition_subalgoE8ElNS0_10empty_typeEbEEZZNS1_14partition_implILS5_8ELb0ES3_jPlPS6_PKS6_NS0_5tupleIJS9_S6_EEENSD_IJSA_SA_EEENS0_18inequality_wrapperIZN2at6native12_GLOBAL__N_124unique_dim_cuda_templateIsEESt5tupleIJNSH_6TensorESM_SM_EERKSM_lbbbEUlllE0_EEPmJS6_EEE10hipError_tPvRmT3_T4_T5_T6_T7_T9_mT8_P12ihipStream_tbDpT10_ENKUlT_T0_E_clISt17integral_constantIbLb1EES1B_IbLb0EEEEDaS17_S18_EUlS17_E_NS1_11comp_targetILNS1_3genE8ELNS1_11target_archE1030ELNS1_3gpuE2ELNS1_3repE0EEENS1_30default_config_static_selectorELNS0_4arch9wavefront6targetE1EEEvT1_,"axG",@progbits,_ZN7rocprim17ROCPRIM_400000_NS6detail17trampoline_kernelINS0_14default_configENS1_25partition_config_selectorILNS1_17partition_subalgoE8ElNS0_10empty_typeEbEEZZNS1_14partition_implILS5_8ELb0ES3_jPlPS6_PKS6_NS0_5tupleIJS9_S6_EEENSD_IJSA_SA_EEENS0_18inequality_wrapperIZN2at6native12_GLOBAL__N_124unique_dim_cuda_templateIsEESt5tupleIJNSH_6TensorESM_SM_EERKSM_lbbbEUlllE0_EEPmJS6_EEE10hipError_tPvRmT3_T4_T5_T6_T7_T9_mT8_P12ihipStream_tbDpT10_ENKUlT_T0_E_clISt17integral_constantIbLb1EES1B_IbLb0EEEEDaS17_S18_EUlS17_E_NS1_11comp_targetILNS1_3genE8ELNS1_11target_archE1030ELNS1_3gpuE2ELNS1_3repE0EEENS1_30default_config_static_selectorELNS0_4arch9wavefront6targetE1EEEvT1_,comdat
.Lfunc_end713:
	.size	_ZN7rocprim17ROCPRIM_400000_NS6detail17trampoline_kernelINS0_14default_configENS1_25partition_config_selectorILNS1_17partition_subalgoE8ElNS0_10empty_typeEbEEZZNS1_14partition_implILS5_8ELb0ES3_jPlPS6_PKS6_NS0_5tupleIJS9_S6_EEENSD_IJSA_SA_EEENS0_18inequality_wrapperIZN2at6native12_GLOBAL__N_124unique_dim_cuda_templateIsEESt5tupleIJNSH_6TensorESM_SM_EERKSM_lbbbEUlllE0_EEPmJS6_EEE10hipError_tPvRmT3_T4_T5_T6_T7_T9_mT8_P12ihipStream_tbDpT10_ENKUlT_T0_E_clISt17integral_constantIbLb1EES1B_IbLb0EEEEDaS17_S18_EUlS17_E_NS1_11comp_targetILNS1_3genE8ELNS1_11target_archE1030ELNS1_3gpuE2ELNS1_3repE0EEENS1_30default_config_static_selectorELNS0_4arch9wavefront6targetE1EEEvT1_, .Lfunc_end713-_ZN7rocprim17ROCPRIM_400000_NS6detail17trampoline_kernelINS0_14default_configENS1_25partition_config_selectorILNS1_17partition_subalgoE8ElNS0_10empty_typeEbEEZZNS1_14partition_implILS5_8ELb0ES3_jPlPS6_PKS6_NS0_5tupleIJS9_S6_EEENSD_IJSA_SA_EEENS0_18inequality_wrapperIZN2at6native12_GLOBAL__N_124unique_dim_cuda_templateIsEESt5tupleIJNSH_6TensorESM_SM_EERKSM_lbbbEUlllE0_EEPmJS6_EEE10hipError_tPvRmT3_T4_T5_T6_T7_T9_mT8_P12ihipStream_tbDpT10_ENKUlT_T0_E_clISt17integral_constantIbLb1EES1B_IbLb0EEEEDaS17_S18_EUlS17_E_NS1_11comp_targetILNS1_3genE8ELNS1_11target_archE1030ELNS1_3gpuE2ELNS1_3repE0EEENS1_30default_config_static_selectorELNS0_4arch9wavefront6targetE1EEEvT1_
                                        ; -- End function
	.section	.AMDGPU.csdata,"",@progbits
; Kernel info:
; codeLenInByte = 0
; NumSgprs: 6
; NumVgprs: 0
; NumAgprs: 0
; TotalNumVgprs: 0
; ScratchSize: 0
; MemoryBound: 0
; FloatMode: 240
; IeeeMode: 1
; LDSByteSize: 0 bytes/workgroup (compile time only)
; SGPRBlocks: 0
; VGPRBlocks: 0
; NumSGPRsForWavesPerEU: 6
; NumVGPRsForWavesPerEU: 1
; AccumOffset: 4
; Occupancy: 8
; WaveLimiterHint : 0
; COMPUTE_PGM_RSRC2:SCRATCH_EN: 0
; COMPUTE_PGM_RSRC2:USER_SGPR: 2
; COMPUTE_PGM_RSRC2:TRAP_HANDLER: 0
; COMPUTE_PGM_RSRC2:TGID_X_EN: 1
; COMPUTE_PGM_RSRC2:TGID_Y_EN: 0
; COMPUTE_PGM_RSRC2:TGID_Z_EN: 0
; COMPUTE_PGM_RSRC2:TIDIG_COMP_CNT: 0
; COMPUTE_PGM_RSRC3_GFX90A:ACCUM_OFFSET: 0
; COMPUTE_PGM_RSRC3_GFX90A:TG_SPLIT: 0
	.section	.text._ZN7rocprim17ROCPRIM_400000_NS6detail17trampoline_kernelINS0_14default_configENS1_25partition_config_selectorILNS1_17partition_subalgoE8ElNS0_10empty_typeEbEEZZNS1_14partition_implILS5_8ELb0ES3_jPlPS6_PKS6_NS0_5tupleIJS9_S6_EEENSD_IJSA_SA_EEENS0_18inequality_wrapperIZN2at6native12_GLOBAL__N_124unique_dim_cuda_templateIsEESt5tupleIJNSH_6TensorESM_SM_EERKSM_lbbbEUlllE0_EEPmJS6_EEE10hipError_tPvRmT3_T4_T5_T6_T7_T9_mT8_P12ihipStream_tbDpT10_ENKUlT_T0_E_clISt17integral_constantIbLb0EES1B_IbLb1EEEEDaS17_S18_EUlS17_E_NS1_11comp_targetILNS1_3genE0ELNS1_11target_archE4294967295ELNS1_3gpuE0ELNS1_3repE0EEENS1_30default_config_static_selectorELNS0_4arch9wavefront6targetE1EEEvT1_,"axG",@progbits,_ZN7rocprim17ROCPRIM_400000_NS6detail17trampoline_kernelINS0_14default_configENS1_25partition_config_selectorILNS1_17partition_subalgoE8ElNS0_10empty_typeEbEEZZNS1_14partition_implILS5_8ELb0ES3_jPlPS6_PKS6_NS0_5tupleIJS9_S6_EEENSD_IJSA_SA_EEENS0_18inequality_wrapperIZN2at6native12_GLOBAL__N_124unique_dim_cuda_templateIsEESt5tupleIJNSH_6TensorESM_SM_EERKSM_lbbbEUlllE0_EEPmJS6_EEE10hipError_tPvRmT3_T4_T5_T6_T7_T9_mT8_P12ihipStream_tbDpT10_ENKUlT_T0_E_clISt17integral_constantIbLb0EES1B_IbLb1EEEEDaS17_S18_EUlS17_E_NS1_11comp_targetILNS1_3genE0ELNS1_11target_archE4294967295ELNS1_3gpuE0ELNS1_3repE0EEENS1_30default_config_static_selectorELNS0_4arch9wavefront6targetE1EEEvT1_,comdat
	.globl	_ZN7rocprim17ROCPRIM_400000_NS6detail17trampoline_kernelINS0_14default_configENS1_25partition_config_selectorILNS1_17partition_subalgoE8ElNS0_10empty_typeEbEEZZNS1_14partition_implILS5_8ELb0ES3_jPlPS6_PKS6_NS0_5tupleIJS9_S6_EEENSD_IJSA_SA_EEENS0_18inequality_wrapperIZN2at6native12_GLOBAL__N_124unique_dim_cuda_templateIsEESt5tupleIJNSH_6TensorESM_SM_EERKSM_lbbbEUlllE0_EEPmJS6_EEE10hipError_tPvRmT3_T4_T5_T6_T7_T9_mT8_P12ihipStream_tbDpT10_ENKUlT_T0_E_clISt17integral_constantIbLb0EES1B_IbLb1EEEEDaS17_S18_EUlS17_E_NS1_11comp_targetILNS1_3genE0ELNS1_11target_archE4294967295ELNS1_3gpuE0ELNS1_3repE0EEENS1_30default_config_static_selectorELNS0_4arch9wavefront6targetE1EEEvT1_ ; -- Begin function _ZN7rocprim17ROCPRIM_400000_NS6detail17trampoline_kernelINS0_14default_configENS1_25partition_config_selectorILNS1_17partition_subalgoE8ElNS0_10empty_typeEbEEZZNS1_14partition_implILS5_8ELb0ES3_jPlPS6_PKS6_NS0_5tupleIJS9_S6_EEENSD_IJSA_SA_EEENS0_18inequality_wrapperIZN2at6native12_GLOBAL__N_124unique_dim_cuda_templateIsEESt5tupleIJNSH_6TensorESM_SM_EERKSM_lbbbEUlllE0_EEPmJS6_EEE10hipError_tPvRmT3_T4_T5_T6_T7_T9_mT8_P12ihipStream_tbDpT10_ENKUlT_T0_E_clISt17integral_constantIbLb0EES1B_IbLb1EEEEDaS17_S18_EUlS17_E_NS1_11comp_targetILNS1_3genE0ELNS1_11target_archE4294967295ELNS1_3gpuE0ELNS1_3repE0EEENS1_30default_config_static_selectorELNS0_4arch9wavefront6targetE1EEEvT1_
	.p2align	8
	.type	_ZN7rocprim17ROCPRIM_400000_NS6detail17trampoline_kernelINS0_14default_configENS1_25partition_config_selectorILNS1_17partition_subalgoE8ElNS0_10empty_typeEbEEZZNS1_14partition_implILS5_8ELb0ES3_jPlPS6_PKS6_NS0_5tupleIJS9_S6_EEENSD_IJSA_SA_EEENS0_18inequality_wrapperIZN2at6native12_GLOBAL__N_124unique_dim_cuda_templateIsEESt5tupleIJNSH_6TensorESM_SM_EERKSM_lbbbEUlllE0_EEPmJS6_EEE10hipError_tPvRmT3_T4_T5_T6_T7_T9_mT8_P12ihipStream_tbDpT10_ENKUlT_T0_E_clISt17integral_constantIbLb0EES1B_IbLb1EEEEDaS17_S18_EUlS17_E_NS1_11comp_targetILNS1_3genE0ELNS1_11target_archE4294967295ELNS1_3gpuE0ELNS1_3repE0EEENS1_30default_config_static_selectorELNS0_4arch9wavefront6targetE1EEEvT1_,@function
_ZN7rocprim17ROCPRIM_400000_NS6detail17trampoline_kernelINS0_14default_configENS1_25partition_config_selectorILNS1_17partition_subalgoE8ElNS0_10empty_typeEbEEZZNS1_14partition_implILS5_8ELb0ES3_jPlPS6_PKS6_NS0_5tupleIJS9_S6_EEENSD_IJSA_SA_EEENS0_18inequality_wrapperIZN2at6native12_GLOBAL__N_124unique_dim_cuda_templateIsEESt5tupleIJNSH_6TensorESM_SM_EERKSM_lbbbEUlllE0_EEPmJS6_EEE10hipError_tPvRmT3_T4_T5_T6_T7_T9_mT8_P12ihipStream_tbDpT10_ENKUlT_T0_E_clISt17integral_constantIbLb0EES1B_IbLb1EEEEDaS17_S18_EUlS17_E_NS1_11comp_targetILNS1_3genE0ELNS1_11target_archE4294967295ELNS1_3gpuE0ELNS1_3repE0EEENS1_30default_config_static_selectorELNS0_4arch9wavefront6targetE1EEEvT1_: ; @_ZN7rocprim17ROCPRIM_400000_NS6detail17trampoline_kernelINS0_14default_configENS1_25partition_config_selectorILNS1_17partition_subalgoE8ElNS0_10empty_typeEbEEZZNS1_14partition_implILS5_8ELb0ES3_jPlPS6_PKS6_NS0_5tupleIJS9_S6_EEENSD_IJSA_SA_EEENS0_18inequality_wrapperIZN2at6native12_GLOBAL__N_124unique_dim_cuda_templateIsEESt5tupleIJNSH_6TensorESM_SM_EERKSM_lbbbEUlllE0_EEPmJS6_EEE10hipError_tPvRmT3_T4_T5_T6_T7_T9_mT8_P12ihipStream_tbDpT10_ENKUlT_T0_E_clISt17integral_constantIbLb0EES1B_IbLb1EEEEDaS17_S18_EUlS17_E_NS1_11comp_targetILNS1_3genE0ELNS1_11target_archE4294967295ELNS1_3gpuE0ELNS1_3repE0EEENS1_30default_config_static_selectorELNS0_4arch9wavefront6targetE1EEEvT1_
; %bb.0:
	.section	.rodata,"a",@progbits
	.p2align	6, 0x0
	.amdhsa_kernel _ZN7rocprim17ROCPRIM_400000_NS6detail17trampoline_kernelINS0_14default_configENS1_25partition_config_selectorILNS1_17partition_subalgoE8ElNS0_10empty_typeEbEEZZNS1_14partition_implILS5_8ELb0ES3_jPlPS6_PKS6_NS0_5tupleIJS9_S6_EEENSD_IJSA_SA_EEENS0_18inequality_wrapperIZN2at6native12_GLOBAL__N_124unique_dim_cuda_templateIsEESt5tupleIJNSH_6TensorESM_SM_EERKSM_lbbbEUlllE0_EEPmJS6_EEE10hipError_tPvRmT3_T4_T5_T6_T7_T9_mT8_P12ihipStream_tbDpT10_ENKUlT_T0_E_clISt17integral_constantIbLb0EES1B_IbLb1EEEEDaS17_S18_EUlS17_E_NS1_11comp_targetILNS1_3genE0ELNS1_11target_archE4294967295ELNS1_3gpuE0ELNS1_3repE0EEENS1_30default_config_static_selectorELNS0_4arch9wavefront6targetE1EEEvT1_
		.amdhsa_group_segment_fixed_size 0
		.amdhsa_private_segment_fixed_size 0
		.amdhsa_kernarg_size 136
		.amdhsa_user_sgpr_count 2
		.amdhsa_user_sgpr_dispatch_ptr 0
		.amdhsa_user_sgpr_queue_ptr 0
		.amdhsa_user_sgpr_kernarg_segment_ptr 1
		.amdhsa_user_sgpr_dispatch_id 0
		.amdhsa_user_sgpr_kernarg_preload_length 0
		.amdhsa_user_sgpr_kernarg_preload_offset 0
		.amdhsa_user_sgpr_private_segment_size 0
		.amdhsa_uses_dynamic_stack 0
		.amdhsa_enable_private_segment 0
		.amdhsa_system_sgpr_workgroup_id_x 1
		.amdhsa_system_sgpr_workgroup_id_y 0
		.amdhsa_system_sgpr_workgroup_id_z 0
		.amdhsa_system_sgpr_workgroup_info 0
		.amdhsa_system_vgpr_workitem_id 0
		.amdhsa_next_free_vgpr 1
		.amdhsa_next_free_sgpr 0
		.amdhsa_accum_offset 4
		.amdhsa_reserve_vcc 0
		.amdhsa_float_round_mode_32 0
		.amdhsa_float_round_mode_16_64 0
		.amdhsa_float_denorm_mode_32 3
		.amdhsa_float_denorm_mode_16_64 3
		.amdhsa_dx10_clamp 1
		.amdhsa_ieee_mode 1
		.amdhsa_fp16_overflow 0
		.amdhsa_tg_split 0
		.amdhsa_exception_fp_ieee_invalid_op 0
		.amdhsa_exception_fp_denorm_src 0
		.amdhsa_exception_fp_ieee_div_zero 0
		.amdhsa_exception_fp_ieee_overflow 0
		.amdhsa_exception_fp_ieee_underflow 0
		.amdhsa_exception_fp_ieee_inexact 0
		.amdhsa_exception_int_div_zero 0
	.end_amdhsa_kernel
	.section	.text._ZN7rocprim17ROCPRIM_400000_NS6detail17trampoline_kernelINS0_14default_configENS1_25partition_config_selectorILNS1_17partition_subalgoE8ElNS0_10empty_typeEbEEZZNS1_14partition_implILS5_8ELb0ES3_jPlPS6_PKS6_NS0_5tupleIJS9_S6_EEENSD_IJSA_SA_EEENS0_18inequality_wrapperIZN2at6native12_GLOBAL__N_124unique_dim_cuda_templateIsEESt5tupleIJNSH_6TensorESM_SM_EERKSM_lbbbEUlllE0_EEPmJS6_EEE10hipError_tPvRmT3_T4_T5_T6_T7_T9_mT8_P12ihipStream_tbDpT10_ENKUlT_T0_E_clISt17integral_constantIbLb0EES1B_IbLb1EEEEDaS17_S18_EUlS17_E_NS1_11comp_targetILNS1_3genE0ELNS1_11target_archE4294967295ELNS1_3gpuE0ELNS1_3repE0EEENS1_30default_config_static_selectorELNS0_4arch9wavefront6targetE1EEEvT1_,"axG",@progbits,_ZN7rocprim17ROCPRIM_400000_NS6detail17trampoline_kernelINS0_14default_configENS1_25partition_config_selectorILNS1_17partition_subalgoE8ElNS0_10empty_typeEbEEZZNS1_14partition_implILS5_8ELb0ES3_jPlPS6_PKS6_NS0_5tupleIJS9_S6_EEENSD_IJSA_SA_EEENS0_18inequality_wrapperIZN2at6native12_GLOBAL__N_124unique_dim_cuda_templateIsEESt5tupleIJNSH_6TensorESM_SM_EERKSM_lbbbEUlllE0_EEPmJS6_EEE10hipError_tPvRmT3_T4_T5_T6_T7_T9_mT8_P12ihipStream_tbDpT10_ENKUlT_T0_E_clISt17integral_constantIbLb0EES1B_IbLb1EEEEDaS17_S18_EUlS17_E_NS1_11comp_targetILNS1_3genE0ELNS1_11target_archE4294967295ELNS1_3gpuE0ELNS1_3repE0EEENS1_30default_config_static_selectorELNS0_4arch9wavefront6targetE1EEEvT1_,comdat
.Lfunc_end714:
	.size	_ZN7rocprim17ROCPRIM_400000_NS6detail17trampoline_kernelINS0_14default_configENS1_25partition_config_selectorILNS1_17partition_subalgoE8ElNS0_10empty_typeEbEEZZNS1_14partition_implILS5_8ELb0ES3_jPlPS6_PKS6_NS0_5tupleIJS9_S6_EEENSD_IJSA_SA_EEENS0_18inequality_wrapperIZN2at6native12_GLOBAL__N_124unique_dim_cuda_templateIsEESt5tupleIJNSH_6TensorESM_SM_EERKSM_lbbbEUlllE0_EEPmJS6_EEE10hipError_tPvRmT3_T4_T5_T6_T7_T9_mT8_P12ihipStream_tbDpT10_ENKUlT_T0_E_clISt17integral_constantIbLb0EES1B_IbLb1EEEEDaS17_S18_EUlS17_E_NS1_11comp_targetILNS1_3genE0ELNS1_11target_archE4294967295ELNS1_3gpuE0ELNS1_3repE0EEENS1_30default_config_static_selectorELNS0_4arch9wavefront6targetE1EEEvT1_, .Lfunc_end714-_ZN7rocprim17ROCPRIM_400000_NS6detail17trampoline_kernelINS0_14default_configENS1_25partition_config_selectorILNS1_17partition_subalgoE8ElNS0_10empty_typeEbEEZZNS1_14partition_implILS5_8ELb0ES3_jPlPS6_PKS6_NS0_5tupleIJS9_S6_EEENSD_IJSA_SA_EEENS0_18inequality_wrapperIZN2at6native12_GLOBAL__N_124unique_dim_cuda_templateIsEESt5tupleIJNSH_6TensorESM_SM_EERKSM_lbbbEUlllE0_EEPmJS6_EEE10hipError_tPvRmT3_T4_T5_T6_T7_T9_mT8_P12ihipStream_tbDpT10_ENKUlT_T0_E_clISt17integral_constantIbLb0EES1B_IbLb1EEEEDaS17_S18_EUlS17_E_NS1_11comp_targetILNS1_3genE0ELNS1_11target_archE4294967295ELNS1_3gpuE0ELNS1_3repE0EEENS1_30default_config_static_selectorELNS0_4arch9wavefront6targetE1EEEvT1_
                                        ; -- End function
	.section	.AMDGPU.csdata,"",@progbits
; Kernel info:
; codeLenInByte = 0
; NumSgprs: 6
; NumVgprs: 0
; NumAgprs: 0
; TotalNumVgprs: 0
; ScratchSize: 0
; MemoryBound: 0
; FloatMode: 240
; IeeeMode: 1
; LDSByteSize: 0 bytes/workgroup (compile time only)
; SGPRBlocks: 0
; VGPRBlocks: 0
; NumSGPRsForWavesPerEU: 6
; NumVGPRsForWavesPerEU: 1
; AccumOffset: 4
; Occupancy: 8
; WaveLimiterHint : 0
; COMPUTE_PGM_RSRC2:SCRATCH_EN: 0
; COMPUTE_PGM_RSRC2:USER_SGPR: 2
; COMPUTE_PGM_RSRC2:TRAP_HANDLER: 0
; COMPUTE_PGM_RSRC2:TGID_X_EN: 1
; COMPUTE_PGM_RSRC2:TGID_Y_EN: 0
; COMPUTE_PGM_RSRC2:TGID_Z_EN: 0
; COMPUTE_PGM_RSRC2:TIDIG_COMP_CNT: 0
; COMPUTE_PGM_RSRC3_GFX90A:ACCUM_OFFSET: 0
; COMPUTE_PGM_RSRC3_GFX90A:TG_SPLIT: 0
	.section	.text._ZN7rocprim17ROCPRIM_400000_NS6detail17trampoline_kernelINS0_14default_configENS1_25partition_config_selectorILNS1_17partition_subalgoE8ElNS0_10empty_typeEbEEZZNS1_14partition_implILS5_8ELb0ES3_jPlPS6_PKS6_NS0_5tupleIJS9_S6_EEENSD_IJSA_SA_EEENS0_18inequality_wrapperIZN2at6native12_GLOBAL__N_124unique_dim_cuda_templateIsEESt5tupleIJNSH_6TensorESM_SM_EERKSM_lbbbEUlllE0_EEPmJS6_EEE10hipError_tPvRmT3_T4_T5_T6_T7_T9_mT8_P12ihipStream_tbDpT10_ENKUlT_T0_E_clISt17integral_constantIbLb0EES1B_IbLb1EEEEDaS17_S18_EUlS17_E_NS1_11comp_targetILNS1_3genE5ELNS1_11target_archE942ELNS1_3gpuE9ELNS1_3repE0EEENS1_30default_config_static_selectorELNS0_4arch9wavefront6targetE1EEEvT1_,"axG",@progbits,_ZN7rocprim17ROCPRIM_400000_NS6detail17trampoline_kernelINS0_14default_configENS1_25partition_config_selectorILNS1_17partition_subalgoE8ElNS0_10empty_typeEbEEZZNS1_14partition_implILS5_8ELb0ES3_jPlPS6_PKS6_NS0_5tupleIJS9_S6_EEENSD_IJSA_SA_EEENS0_18inequality_wrapperIZN2at6native12_GLOBAL__N_124unique_dim_cuda_templateIsEESt5tupleIJNSH_6TensorESM_SM_EERKSM_lbbbEUlllE0_EEPmJS6_EEE10hipError_tPvRmT3_T4_T5_T6_T7_T9_mT8_P12ihipStream_tbDpT10_ENKUlT_T0_E_clISt17integral_constantIbLb0EES1B_IbLb1EEEEDaS17_S18_EUlS17_E_NS1_11comp_targetILNS1_3genE5ELNS1_11target_archE942ELNS1_3gpuE9ELNS1_3repE0EEENS1_30default_config_static_selectorELNS0_4arch9wavefront6targetE1EEEvT1_,comdat
	.globl	_ZN7rocprim17ROCPRIM_400000_NS6detail17trampoline_kernelINS0_14default_configENS1_25partition_config_selectorILNS1_17partition_subalgoE8ElNS0_10empty_typeEbEEZZNS1_14partition_implILS5_8ELb0ES3_jPlPS6_PKS6_NS0_5tupleIJS9_S6_EEENSD_IJSA_SA_EEENS0_18inequality_wrapperIZN2at6native12_GLOBAL__N_124unique_dim_cuda_templateIsEESt5tupleIJNSH_6TensorESM_SM_EERKSM_lbbbEUlllE0_EEPmJS6_EEE10hipError_tPvRmT3_T4_T5_T6_T7_T9_mT8_P12ihipStream_tbDpT10_ENKUlT_T0_E_clISt17integral_constantIbLb0EES1B_IbLb1EEEEDaS17_S18_EUlS17_E_NS1_11comp_targetILNS1_3genE5ELNS1_11target_archE942ELNS1_3gpuE9ELNS1_3repE0EEENS1_30default_config_static_selectorELNS0_4arch9wavefront6targetE1EEEvT1_ ; -- Begin function _ZN7rocprim17ROCPRIM_400000_NS6detail17trampoline_kernelINS0_14default_configENS1_25partition_config_selectorILNS1_17partition_subalgoE8ElNS0_10empty_typeEbEEZZNS1_14partition_implILS5_8ELb0ES3_jPlPS6_PKS6_NS0_5tupleIJS9_S6_EEENSD_IJSA_SA_EEENS0_18inequality_wrapperIZN2at6native12_GLOBAL__N_124unique_dim_cuda_templateIsEESt5tupleIJNSH_6TensorESM_SM_EERKSM_lbbbEUlllE0_EEPmJS6_EEE10hipError_tPvRmT3_T4_T5_T6_T7_T9_mT8_P12ihipStream_tbDpT10_ENKUlT_T0_E_clISt17integral_constantIbLb0EES1B_IbLb1EEEEDaS17_S18_EUlS17_E_NS1_11comp_targetILNS1_3genE5ELNS1_11target_archE942ELNS1_3gpuE9ELNS1_3repE0EEENS1_30default_config_static_selectorELNS0_4arch9wavefront6targetE1EEEvT1_
	.p2align	8
	.type	_ZN7rocprim17ROCPRIM_400000_NS6detail17trampoline_kernelINS0_14default_configENS1_25partition_config_selectorILNS1_17partition_subalgoE8ElNS0_10empty_typeEbEEZZNS1_14partition_implILS5_8ELb0ES3_jPlPS6_PKS6_NS0_5tupleIJS9_S6_EEENSD_IJSA_SA_EEENS0_18inequality_wrapperIZN2at6native12_GLOBAL__N_124unique_dim_cuda_templateIsEESt5tupleIJNSH_6TensorESM_SM_EERKSM_lbbbEUlllE0_EEPmJS6_EEE10hipError_tPvRmT3_T4_T5_T6_T7_T9_mT8_P12ihipStream_tbDpT10_ENKUlT_T0_E_clISt17integral_constantIbLb0EES1B_IbLb1EEEEDaS17_S18_EUlS17_E_NS1_11comp_targetILNS1_3genE5ELNS1_11target_archE942ELNS1_3gpuE9ELNS1_3repE0EEENS1_30default_config_static_selectorELNS0_4arch9wavefront6targetE1EEEvT1_,@function
_ZN7rocprim17ROCPRIM_400000_NS6detail17trampoline_kernelINS0_14default_configENS1_25partition_config_selectorILNS1_17partition_subalgoE8ElNS0_10empty_typeEbEEZZNS1_14partition_implILS5_8ELb0ES3_jPlPS6_PKS6_NS0_5tupleIJS9_S6_EEENSD_IJSA_SA_EEENS0_18inequality_wrapperIZN2at6native12_GLOBAL__N_124unique_dim_cuda_templateIsEESt5tupleIJNSH_6TensorESM_SM_EERKSM_lbbbEUlllE0_EEPmJS6_EEE10hipError_tPvRmT3_T4_T5_T6_T7_T9_mT8_P12ihipStream_tbDpT10_ENKUlT_T0_E_clISt17integral_constantIbLb0EES1B_IbLb1EEEEDaS17_S18_EUlS17_E_NS1_11comp_targetILNS1_3genE5ELNS1_11target_archE942ELNS1_3gpuE9ELNS1_3repE0EEENS1_30default_config_static_selectorELNS0_4arch9wavefront6targetE1EEEvT1_: ; @_ZN7rocprim17ROCPRIM_400000_NS6detail17trampoline_kernelINS0_14default_configENS1_25partition_config_selectorILNS1_17partition_subalgoE8ElNS0_10empty_typeEbEEZZNS1_14partition_implILS5_8ELb0ES3_jPlPS6_PKS6_NS0_5tupleIJS9_S6_EEENSD_IJSA_SA_EEENS0_18inequality_wrapperIZN2at6native12_GLOBAL__N_124unique_dim_cuda_templateIsEESt5tupleIJNSH_6TensorESM_SM_EERKSM_lbbbEUlllE0_EEPmJS6_EEE10hipError_tPvRmT3_T4_T5_T6_T7_T9_mT8_P12ihipStream_tbDpT10_ENKUlT_T0_E_clISt17integral_constantIbLb0EES1B_IbLb1EEEEDaS17_S18_EUlS17_E_NS1_11comp_targetILNS1_3genE5ELNS1_11target_archE942ELNS1_3gpuE9ELNS1_3repE0EEENS1_30default_config_static_selectorELNS0_4arch9wavefront6targetE1EEEvT1_
; %bb.0:
	s_load_dwordx2 s[34:35], s[0:1], 0x28
	s_load_dwordx8 s[20:27], s[0:1], 0x40
	s_load_dwordx4 s[28:31], s[0:1], 0x60
	v_cmp_ne_u32_e64 s[2:3], 0, v0
	v_cmp_eq_u32_e64 s[18:19], 0, v0
	s_and_saveexec_b64 s[4:5], s[18:19]
	s_cbranch_execz .LBB715_4
; %bb.1:
	s_mov_b64 s[8:9], exec
	v_mbcnt_lo_u32_b32 v1, s8, 0
	v_mbcnt_hi_u32_b32 v1, s9, v1
	v_cmp_eq_u32_e32 vcc, 0, v1
                                        ; implicit-def: $vgpr2
	s_and_saveexec_b64 s[6:7], vcc
	s_cbranch_execz .LBB715_3
; %bb.2:
	s_load_dwordx2 s[10:11], s[0:1], 0x78
	s_bcnt1_i32_b64 s8, s[8:9]
	v_mov_b32_e32 v2, 0
	v_mov_b32_e32 v3, s8
	s_waitcnt lgkmcnt(0)
	global_atomic_add v2, v2, v3, s[10:11] sc0
.LBB715_3:
	s_or_b64 exec, exec, s[6:7]
	s_waitcnt vmcnt(0)
	v_readfirstlane_b32 s6, v2
	v_mov_b32_e32 v2, 0
	s_nop 0
	v_add_u32_e32 v1, s6, v1
	ds_write_b32 v2, v1
.LBB715_4:
	s_or_b64 exec, exec, s[4:5]
	v_mov_b32_e32 v3, 0
	s_load_dwordx4 s[4:7], s[0:1], 0x8
	s_load_dword s10, s[0:1], 0x70
	s_waitcnt lgkmcnt(0)
	s_barrier
	ds_read_b32 v1, v3
	s_waitcnt lgkmcnt(0)
	s_barrier
	global_load_dwordx2 v[4:5], v3, s[22:23]
	s_lshl_b64 s[0:1], s[6:7], 3
	s_mul_i32 s12, s10, 0xe00
	s_add_u32 s0, s4, s0
	s_addc_u32 s1, s5, s1
	s_add_i32 s4, s12, s6
	s_add_i32 s10, s10, -1
	s_sub_i32 s52, s24, s4
	s_add_u32 s4, s6, s12
	s_movk_i32 s11, 0xe00
	s_addc_u32 s5, s7, 0
	v_readfirstlane_b32 s33, v1
	v_mov_b32_e32 v6, s24
	v_mov_b32_e32 v7, s25
	v_mul_lo_u32 v2, v1, s11
	s_cmp_eq_u32 s33, s10
	v_cmp_ge_u64_e32 vcc, s[4:5], v[6:7]
	v_lshlrev_b64 v[6:7], 3, v[2:3]
	s_cselect_b64 s[24:25], -1, 0
	v_lshl_add_u64 v[18:19], s[0:1], 0, v[6:7]
	s_and_b64 s[0:1], vcc, s[24:25]
	s_xor_b64 s[36:37], s[0:1], -1
	s_mov_b64 s[8:9], -1
	s_and_b64 vcc, exec, s[36:37]
	s_waitcnt vmcnt(0)
	v_readfirstlane_b32 s22, v4
	v_readfirstlane_b32 s23, v5
	s_cbranch_vccz .LBB715_6
; %bb.5:
	v_lshlrev_b32_e32 v2, 3, v0
	v_lshl_add_u64 v[4:5], v[18:19], 0, v[2:3]
	v_add_co_u32_e32 v8, vcc, 0x1000, v4
	v_readfirstlane_b32 s4, v18
	s_nop 0
	v_addc_co_u32_e32 v9, vcc, 0, v5, vcc
	v_add_co_u32_e32 v10, vcc, 0x2000, v4
	v_readfirstlane_b32 s5, v19
	s_nop 0
	v_addc_co_u32_e32 v11, vcc, 0, v5, vcc
	v_add_co_u32_e32 v12, vcc, 0x3000, v4
	s_mov_b64 s[8:9], 0
	s_nop 0
	v_addc_co_u32_e32 v13, vcc, 0, v5, vcc
	v_add_co_u32_e32 v14, vcc, 0x4000, v4
	global_load_dwordx2 v[6:7], v2, s[4:5]
	s_nop 0
	v_addc_co_u32_e32 v15, vcc, 0, v5, vcc
	global_load_dwordx2 v[16:17], v[8:9], off
	global_load_dwordx2 v[20:21], v[10:11], off
	;; [unrolled: 1-line block ×4, first 2 shown]
	v_add_co_u32_e32 v8, vcc, 0x5000, v4
	s_nop 1
	v_addc_co_u32_e32 v9, vcc, 0, v5, vcc
	v_add_co_u32_e32 v4, vcc, 0x6000, v4
	global_load_dwordx2 v[8:9], v[8:9], off
	s_nop 0
	v_addc_co_u32_e32 v5, vcc, 0, v5, vcc
	global_load_dwordx2 v[4:5], v[4:5], off
	s_waitcnt vmcnt(5)
	ds_write2st64_b64 v2, v[6:7], v[16:17] offset1:8
	s_waitcnt vmcnt(3)
	ds_write2st64_b64 v2, v[20:21], v[22:23] offset0:16 offset1:24
	s_waitcnt vmcnt(1)
	ds_write2st64_b64 v2, v[24:25], v[8:9] offset0:32 offset1:40
	s_waitcnt vmcnt(0)
	ds_write_b64 v2, v[4:5] offset:24576
	s_waitcnt lgkmcnt(0)
	s_barrier
.LBB715_6:
	s_andn2_b64 vcc, exec, s[8:9]
	s_addk_i32 s52, 0xe00
	s_cbranch_vccnz .LBB715_22
; %bb.7:
	v_cmp_gt_u32_e32 vcc, s52, v0
                                        ; implicit-def: $vgpr2_vgpr3_vgpr4_vgpr5_vgpr6_vgpr7_vgpr8_vgpr9_vgpr10_vgpr11_vgpr12_vgpr13_vgpr14_vgpr15_vgpr16_vgpr17
	s_and_saveexec_b64 s[4:5], vcc
	s_cbranch_execz .LBB715_9
; %bb.8:
	v_lshlrev_b32_e32 v1, 3, v0
	v_readfirstlane_b32 s8, v18
	v_readfirstlane_b32 s9, v19
	s_nop 4
	global_load_dwordx2 v[2:3], v1, s[8:9]
.LBB715_9:
	s_or_b64 exec, exec, s[4:5]
	v_or_b32_e32 v1, 0x200, v0
	v_cmp_gt_u32_e32 vcc, s52, v1
	s_and_saveexec_b64 s[4:5], vcc
	s_cbranch_execz .LBB715_11
; %bb.10:
	v_lshlrev_b32_e32 v1, 3, v1
	v_readfirstlane_b32 s8, v18
	v_readfirstlane_b32 s9, v19
	s_nop 4
	global_load_dwordx2 v[4:5], v1, s[8:9]
.LBB715_11:
	s_or_b64 exec, exec, s[4:5]
	v_or_b32_e32 v1, 0x400, v0
	v_cmp_gt_u32_e32 vcc, s52, v1
	;; [unrolled: 12-line block ×6, first 2 shown]
	s_and_saveexec_b64 s[4:5], vcc
	s_cbranch_execz .LBB715_21
; %bb.20:
	v_lshlrev_b32_e32 v1, 3, v1
	v_readfirstlane_b32 s8, v18
	v_readfirstlane_b32 s9, v19
	s_nop 4
	global_load_dwordx2 v[14:15], v1, s[8:9]
.LBB715_21:
	s_or_b64 exec, exec, s[4:5]
	v_lshlrev_b32_e32 v1, 3, v0
	s_waitcnt vmcnt(0)
	ds_write2st64_b64 v1, v[2:3], v[4:5] offset1:8
	ds_write2st64_b64 v1, v[6:7], v[8:9] offset0:16 offset1:24
	ds_write2st64_b64 v1, v[10:11], v[12:13] offset0:32 offset1:40
	ds_write_b64 v1, v[14:15] offset:24576
	s_waitcnt lgkmcnt(0)
	s_barrier
.LBB715_22:
	v_mul_u32_u24_e32 v1, 7, v0
	v_lshlrev_b32_e32 v32, 3, v1
	ds_read2_b64 v[10:13], v32 offset1:1
	ds_read2_b64 v[6:9], v32 offset0:2 offset1:3
	ds_read2_b64 v[2:5], v32 offset0:4 offset1:5
	ds_read_b64 v[14:15], v32 offset:48
	s_cmp_lg_u32 s33, 0
	s_cselect_b64 s[16:17], -1, 0
	s_cmp_lg_u64 s[6:7], 0
	s_cselect_b64 s[4:5], -1, 0
	s_or_b64 s[4:5], s[4:5], s[16:17]
	v_mad_u32_u24 v27, v0, 7, 1
	v_mad_u32_u24 v26, v0, 7, 2
	;; [unrolled: 1-line block ×6, first 2 shown]
	s_mov_b64 s[8:9], 0
	s_and_b64 vcc, exec, s[4:5]
	v_cmp_gt_i64_e64 s[4:5], s[26:27], 0
	s_waitcnt lgkmcnt(0)
	s_barrier
	s_cbranch_vccz .LBB715_31
; %bb.23:
	global_load_dwordx2 v[16:17], v[18:19], off offset:-8
	v_cndmask_b32_e64 v18, 0, 1, s[4:5]
	v_lshlrev_b32_e32 v33, 3, v0
	s_mov_b64 s[6:7], 0
	s_and_b64 vcc, exec, s[36:37]
	v_cmp_ne_u32_e64 s[4:5], 1, v18
	ds_write_b64 v33, v[14:15]
	s_cbranch_vccz .LBB715_33
; %bb.24:
	v_mul_lo_u32 v20, v5, s26
	v_mul_lo_u32 v21, v4, s27
	v_mad_u64_u32 v[18:19], s[8:9], v4, s26, 0
	v_add3_u32 v19, v19, v21, v20
	s_and_b64 vcc, exec, s[4:5]
	v_lshl_add_u64 v[18:19], v[18:19], 1, s[28:29]
	s_cbranch_vccnz .LBB715_36
; %bb.25:
	v_mul_lo_u32 v22, v15, s26
	v_mul_lo_u32 v23, v14, s27
	v_mad_u64_u32 v[20:21], s[6:7], v14, s26, 0
	v_add3_u32 v21, v21, v23, v22
	v_lshl_add_u64 v[20:21], v[20:21], 1, s[28:29]
	global_load_ushort v22, v[18:19], off
	global_load_ushort v23, v[20:21], off
	s_mov_b64 s[6:7], -1
	s_waitcnt vmcnt(0)
	v_cmp_eq_u16_e32 vcc, v22, v23
	s_and_saveexec_b64 s[8:9], vcc
	s_cbranch_execz .LBB715_35
; %bb.26:
	s_add_u32 s6, s26, -1
	v_lshl_add_u64 v[20:21], v[20:21], 0, 2
	v_lshl_add_u64 v[22:23], v[18:19], 0, 2
	s_addc_u32 s7, s27, -1
	s_mov_b64 s[10:11], 0
	s_mov_b64 s[14:15], 0
                                        ; implicit-def: $sgpr12_sgpr13
	s_branch .LBB715_29
.LBB715_27:                             ;   in Loop: Header=BB715_29 Depth=1
	global_load_ushort v24, v[22:23], off
	global_load_ushort v25, v[20:21], off
	s_add_u32 s14, s14, 1
	s_addc_u32 s15, s15, 0
	s_andn2_b64 s[12:13], s[12:13], exec
	v_lshl_add_u64 v[20:21], v[20:21], 0, 2
	v_lshl_add_u64 v[22:23], v[22:23], 0, 2
	s_waitcnt vmcnt(0)
	v_cmp_ne_u16_e32 vcc, v24, v25
	s_and_b64 s[38:39], vcc, exec
	s_or_b64 s[12:13], s[12:13], s[38:39]
.LBB715_28:                             ;   in Loop: Header=BB715_29 Depth=1
	s_and_b64 s[38:39], exec, s[12:13]
	s_or_b64 s[10:11], s[38:39], s[10:11]
	v_mov_b64_e32 v[24:25], s[14:15]
	s_andn2_b64 exec, exec, s[10:11]
	s_cbranch_execz .LBB715_34
.LBB715_29:                             ; =>This Inner Loop Header: Depth=1
	s_or_b64 s[12:13], s[12:13], exec
	s_cmp_eq_u64 s[6:7], s[14:15]
	s_cbranch_scc0 .LBB715_27
; %bb.30:                               ;   in Loop: Header=BB715_29 Depth=1
                                        ; implicit-def: $vgpr20_vgpr21
                                        ; implicit-def: $vgpr22_vgpr23
	s_mov_b64 s[14:15], s[26:27]
	s_branch .LBB715_28
.LBB715_31:
                                        ; implicit-def: $sgpr12_sgpr13
                                        ; implicit-def: $vgpr35
                                        ; implicit-def: $vgpr34
                                        ; implicit-def: $vgpr25
                                        ; implicit-def: $vgpr20
	s_branch .LBB715_174
.LBB715_32:
                                        ; implicit-def: $vgpr16_vgpr17
	s_branch .LBB715_322
.LBB715_33:
                                        ; implicit-def: $sgpr12_sgpr13
                                        ; implicit-def: $vgpr35
                                        ; implicit-def: $vgpr34
                                        ; implicit-def: $vgpr25
                                        ; implicit-def: $vgpr20
	s_cbranch_execnz .LBB715_93
	s_branch .LBB715_173
.LBB715_34:
	s_or_b64 exec, exec, s[10:11]
	v_cmp_gt_i64_e32 vcc, s[26:27], v[24:25]
	s_orn2_b64 s[6:7], vcc, exec
.LBB715_35:
	s_or_b64 exec, exec, s[8:9]
.LBB715_36:
	v_mul_lo_u32 v22, v3, s26
	v_mul_lo_u32 v23, v2, s27
	v_mad_u64_u32 v[20:21], s[8:9], v2, s26, 0
	v_add3_u32 v21, v21, v23, v22
	s_mov_b64 s[8:9], 0
	s_and_b64 vcc, exec, s[4:5]
	v_lshl_add_u64 v[20:21], v[20:21], 1, s[28:29]
	s_mov_b64 s[10:11], 0
	s_cbranch_vccnz .LBB715_45
; %bb.37:
	global_load_ushort v22, v[20:21], off
	global_load_ushort v23, v[18:19], off
	s_mov_b64 s[10:11], -1
	s_waitcnt vmcnt(0)
	v_cmp_eq_u16_e32 vcc, v22, v23
	s_and_saveexec_b64 s[12:13], vcc
	s_cbranch_execz .LBB715_44
; %bb.38:
	s_add_u32 s10, s26, -1
	v_lshl_add_u64 v[18:19], v[18:19], 0, 2
	v_lshl_add_u64 v[22:23], v[20:21], 0, 2
	s_addc_u32 s11, s27, -1
	s_mov_b64 s[14:15], 0
	s_mov_b64 s[40:41], 0
                                        ; implicit-def: $sgpr38_sgpr39
	s_branch .LBB715_41
.LBB715_39:                             ;   in Loop: Header=BB715_41 Depth=1
	global_load_ushort v24, v[22:23], off
	global_load_ushort v25, v[18:19], off
	s_add_u32 s40, s40, 1
	s_addc_u32 s41, s41, 0
	s_andn2_b64 s[38:39], s[38:39], exec
	v_lshl_add_u64 v[18:19], v[18:19], 0, 2
	v_lshl_add_u64 v[22:23], v[22:23], 0, 2
	s_waitcnt vmcnt(0)
	v_cmp_ne_u16_e32 vcc, v24, v25
	s_and_b64 s[42:43], vcc, exec
	s_or_b64 s[38:39], s[38:39], s[42:43]
.LBB715_40:                             ;   in Loop: Header=BB715_41 Depth=1
	s_and_b64 s[42:43], exec, s[38:39]
	s_or_b64 s[14:15], s[42:43], s[14:15]
	v_mov_b64_e32 v[24:25], s[40:41]
	s_andn2_b64 exec, exec, s[14:15]
	s_cbranch_execz .LBB715_43
.LBB715_41:                             ; =>This Inner Loop Header: Depth=1
	s_or_b64 s[38:39], s[38:39], exec
	s_cmp_eq_u64 s[10:11], s[40:41]
	s_cbranch_scc0 .LBB715_39
; %bb.42:                               ;   in Loop: Header=BB715_41 Depth=1
                                        ; implicit-def: $vgpr18_vgpr19
                                        ; implicit-def: $vgpr22_vgpr23
	s_mov_b64 s[40:41], s[26:27]
	s_branch .LBB715_40
.LBB715_43:
	s_or_b64 exec, exec, s[14:15]
	v_cmp_gt_i64_e32 vcc, s[26:27], v[24:25]
	s_orn2_b64 s[10:11], vcc, exec
.LBB715_44:
	s_or_b64 exec, exec, s[12:13]
.LBB715_45:
	v_mul_lo_u32 v22, v9, s26
	v_mul_lo_u32 v23, v8, s27
	v_mad_u64_u32 v[18:19], s[12:13], v8, s26, 0
	v_add3_u32 v19, v19, v23, v22
	s_and_b64 vcc, exec, s[4:5]
	v_lshl_add_u64 v[18:19], v[18:19], 1, s[28:29]
	s_cbranch_vccnz .LBB715_54
; %bb.46:
	global_load_ushort v22, v[18:19], off
	global_load_ushort v23, v[20:21], off
	s_mov_b64 s[8:9], -1
	s_waitcnt vmcnt(0)
	v_cmp_eq_u16_e32 vcc, v22, v23
	s_and_saveexec_b64 s[12:13], vcc
	s_cbranch_execz .LBB715_53
; %bb.47:
	s_add_u32 s8, s26, -1
	v_lshl_add_u64 v[20:21], v[20:21], 0, 2
	v_lshl_add_u64 v[22:23], v[18:19], 0, 2
	s_addc_u32 s9, s27, -1
	s_mov_b64 s[14:15], 0
	s_mov_b64 s[40:41], 0
                                        ; implicit-def: $sgpr38_sgpr39
	s_branch .LBB715_50
.LBB715_48:                             ;   in Loop: Header=BB715_50 Depth=1
	global_load_ushort v24, v[22:23], off
	global_load_ushort v25, v[20:21], off
	s_add_u32 s40, s40, 1
	s_addc_u32 s41, s41, 0
	s_andn2_b64 s[38:39], s[38:39], exec
	v_lshl_add_u64 v[20:21], v[20:21], 0, 2
	v_lshl_add_u64 v[22:23], v[22:23], 0, 2
	s_waitcnt vmcnt(0)
	v_cmp_ne_u16_e32 vcc, v24, v25
	s_and_b64 s[42:43], vcc, exec
	s_or_b64 s[38:39], s[38:39], s[42:43]
.LBB715_49:                             ;   in Loop: Header=BB715_50 Depth=1
	s_and_b64 s[42:43], exec, s[38:39]
	s_or_b64 s[14:15], s[42:43], s[14:15]
	v_mov_b64_e32 v[24:25], s[40:41]
	s_andn2_b64 exec, exec, s[14:15]
	s_cbranch_execz .LBB715_52
.LBB715_50:                             ; =>This Inner Loop Header: Depth=1
	s_or_b64 s[38:39], s[38:39], exec
	s_cmp_eq_u64 s[8:9], s[40:41]
	s_cbranch_scc0 .LBB715_48
; %bb.51:                               ;   in Loop: Header=BB715_50 Depth=1
                                        ; implicit-def: $vgpr20_vgpr21
                                        ; implicit-def: $vgpr22_vgpr23
	s_mov_b64 s[40:41], s[26:27]
	s_branch .LBB715_49
.LBB715_52:
	s_or_b64 exec, exec, s[14:15]
	v_cmp_gt_i64_e32 vcc, s[26:27], v[24:25]
	s_orn2_b64 s[8:9], vcc, exec
.LBB715_53:
	s_or_b64 exec, exec, s[12:13]
.LBB715_54:
	v_mul_lo_u32 v22, v7, s26
	v_mul_lo_u32 v23, v6, s27
	v_mad_u64_u32 v[20:21], s[12:13], v6, s26, 0
	v_add3_u32 v21, v21, v23, v22
	s_mov_b64 s[12:13], 0
	s_and_b64 vcc, exec, s[4:5]
	v_lshl_add_u64 v[22:23], v[20:21], 1, s[28:29]
	s_mov_b64 s[14:15], 0
	s_cbranch_vccnz .LBB715_63
; %bb.55:
	global_load_ushort v20, v[22:23], off
	global_load_ushort v21, v[18:19], off
	s_mov_b64 s[14:15], -1
	s_waitcnt vmcnt(0)
	v_cmp_eq_u16_e32 vcc, v20, v21
	s_and_saveexec_b64 s[38:39], vcc
	s_cbranch_execz .LBB715_62
; %bb.56:
	s_add_u32 s14, s26, -1
	v_lshl_add_u64 v[18:19], v[18:19], 0, 2
	v_lshl_add_u64 v[20:21], v[22:23], 0, 2
	s_addc_u32 s15, s27, -1
	s_mov_b64 s[40:41], 0
	s_mov_b64 s[44:45], 0
                                        ; implicit-def: $sgpr42_sgpr43
	s_branch .LBB715_59
.LBB715_57:                             ;   in Loop: Header=BB715_59 Depth=1
	global_load_ushort v24, v[20:21], off
	global_load_ushort v25, v[18:19], off
	s_add_u32 s44, s44, 1
	s_addc_u32 s45, s45, 0
	s_andn2_b64 s[42:43], s[42:43], exec
	v_lshl_add_u64 v[18:19], v[18:19], 0, 2
	v_lshl_add_u64 v[20:21], v[20:21], 0, 2
	s_waitcnt vmcnt(0)
	v_cmp_ne_u16_e32 vcc, v24, v25
	s_and_b64 s[46:47], vcc, exec
	s_or_b64 s[42:43], s[42:43], s[46:47]
.LBB715_58:                             ;   in Loop: Header=BB715_59 Depth=1
	s_and_b64 s[46:47], exec, s[42:43]
	s_or_b64 s[40:41], s[46:47], s[40:41]
	v_mov_b64_e32 v[24:25], s[44:45]
	s_andn2_b64 exec, exec, s[40:41]
	s_cbranch_execz .LBB715_61
.LBB715_59:                             ; =>This Inner Loop Header: Depth=1
	s_or_b64 s[42:43], s[42:43], exec
	s_cmp_eq_u64 s[14:15], s[44:45]
	s_cbranch_scc0 .LBB715_57
; %bb.60:                               ;   in Loop: Header=BB715_59 Depth=1
                                        ; implicit-def: $vgpr18_vgpr19
                                        ; implicit-def: $vgpr20_vgpr21
	s_mov_b64 s[44:45], s[26:27]
	s_branch .LBB715_58
.LBB715_61:
	s_or_b64 exec, exec, s[40:41]
	v_cmp_gt_i64_e32 vcc, s[26:27], v[24:25]
	s_orn2_b64 s[14:15], vcc, exec
.LBB715_62:
	s_or_b64 exec, exec, s[38:39]
.LBB715_63:
	v_mul_lo_u32 v20, v13, s26
	v_mul_lo_u32 v21, v12, s27
	v_mad_u64_u32 v[18:19], s[38:39], v12, s26, 0
	v_add3_u32 v19, v19, v21, v20
	s_and_b64 vcc, exec, s[4:5]
	v_lshl_add_u64 v[20:21], v[18:19], 1, s[28:29]
	s_cbranch_vccnz .LBB715_72
; %bb.64:
	global_load_ushort v18, v[20:21], off
	global_load_ushort v19, v[22:23], off
	s_mov_b64 s[12:13], -1
	s_waitcnt vmcnt(0)
	v_cmp_eq_u16_e32 vcc, v18, v19
	s_and_saveexec_b64 s[38:39], vcc
	s_cbranch_execz .LBB715_71
; %bb.65:
	s_add_u32 s12, s26, -1
	v_lshl_add_u64 v[18:19], v[22:23], 0, 2
	v_lshl_add_u64 v[22:23], v[20:21], 0, 2
	s_addc_u32 s13, s27, -1
	s_mov_b64 s[40:41], 0
	s_mov_b64 s[44:45], 0
                                        ; implicit-def: $sgpr42_sgpr43
	s_branch .LBB715_68
.LBB715_66:                             ;   in Loop: Header=BB715_68 Depth=1
	global_load_ushort v24, v[22:23], off
	global_load_ushort v25, v[18:19], off
	s_add_u32 s44, s44, 1
	s_addc_u32 s45, s45, 0
	s_andn2_b64 s[42:43], s[42:43], exec
	v_lshl_add_u64 v[18:19], v[18:19], 0, 2
	v_lshl_add_u64 v[22:23], v[22:23], 0, 2
	s_waitcnt vmcnt(0)
	v_cmp_ne_u16_e32 vcc, v24, v25
	s_and_b64 s[46:47], vcc, exec
	s_or_b64 s[42:43], s[42:43], s[46:47]
.LBB715_67:                             ;   in Loop: Header=BB715_68 Depth=1
	s_and_b64 s[46:47], exec, s[42:43]
	s_or_b64 s[40:41], s[46:47], s[40:41]
	v_mov_b64_e32 v[24:25], s[44:45]
	s_andn2_b64 exec, exec, s[40:41]
	s_cbranch_execz .LBB715_70
.LBB715_68:                             ; =>This Inner Loop Header: Depth=1
	s_or_b64 s[42:43], s[42:43], exec
	s_cmp_eq_u64 s[12:13], s[44:45]
	s_cbranch_scc0 .LBB715_66
; %bb.69:                               ;   in Loop: Header=BB715_68 Depth=1
                                        ; implicit-def: $vgpr18_vgpr19
                                        ; implicit-def: $vgpr22_vgpr23
	s_mov_b64 s[44:45], s[26:27]
	s_branch .LBB715_67
.LBB715_70:
	s_or_b64 exec, exec, s[40:41]
	v_cmp_gt_i64_e32 vcc, s[26:27], v[24:25]
	s_orn2_b64 s[12:13], vcc, exec
.LBB715_71:
	s_or_b64 exec, exec, s[38:39]
.LBB715_72:
	v_mul_lo_u32 v22, v11, s26
	v_mul_lo_u32 v23, v10, s27
	v_mad_u64_u32 v[18:19], s[38:39], v10, s26, 0
	v_add3_u32 v19, v19, v23, v22
	s_mov_b64 s[40:41], 0
	s_and_b64 vcc, exec, s[4:5]
	v_lshl_add_u64 v[18:19], v[18:19], 1, s[28:29]
	s_cbranch_vccnz .LBB715_81
; %bb.73:
	global_load_ushort v22, v[18:19], off
	global_load_ushort v23, v[20:21], off
	s_mov_b64 s[40:41], -1
	s_waitcnt vmcnt(0)
	v_cmp_eq_u16_e32 vcc, v22, v23
	s_and_saveexec_b64 s[38:39], vcc
	s_cbranch_execz .LBB715_80
; %bb.74:
	s_add_u32 s40, s26, -1
	v_lshl_add_u64 v[20:21], v[20:21], 0, 2
	v_lshl_add_u64 v[22:23], v[18:19], 0, 2
	s_addc_u32 s41, s27, -1
	s_mov_b64 s[42:43], 0
	s_mov_b64 s[46:47], 0
                                        ; implicit-def: $sgpr44_sgpr45
	s_branch .LBB715_77
.LBB715_75:                             ;   in Loop: Header=BB715_77 Depth=1
	global_load_ushort v24, v[22:23], off
	global_load_ushort v25, v[20:21], off
	s_add_u32 s46, s46, 1
	s_addc_u32 s47, s47, 0
	s_andn2_b64 s[44:45], s[44:45], exec
	v_lshl_add_u64 v[20:21], v[20:21], 0, 2
	v_lshl_add_u64 v[22:23], v[22:23], 0, 2
	s_waitcnt vmcnt(0)
	v_cmp_ne_u16_e32 vcc, v24, v25
	s_and_b64 s[48:49], vcc, exec
	s_or_b64 s[44:45], s[44:45], s[48:49]
.LBB715_76:                             ;   in Loop: Header=BB715_77 Depth=1
	s_and_b64 s[48:49], exec, s[44:45]
	s_or_b64 s[42:43], s[48:49], s[42:43]
	v_mov_b64_e32 v[24:25], s[46:47]
	s_andn2_b64 exec, exec, s[42:43]
	s_cbranch_execz .LBB715_79
.LBB715_77:                             ; =>This Inner Loop Header: Depth=1
	s_or_b64 s[44:45], s[44:45], exec
	s_cmp_eq_u64 s[40:41], s[46:47]
	s_cbranch_scc0 .LBB715_75
; %bb.78:                               ;   in Loop: Header=BB715_77 Depth=1
                                        ; implicit-def: $vgpr20_vgpr21
                                        ; implicit-def: $vgpr22_vgpr23
	s_mov_b64 s[46:47], s[26:27]
	s_branch .LBB715_76
.LBB715_79:
	s_or_b64 exec, exec, s[42:43]
	v_cmp_gt_i64_e32 vcc, s[26:27], v[24:25]
	s_orn2_b64 s[40:41], vcc, exec
.LBB715_80:
	s_or_b64 exec, exec, s[38:39]
.LBB715_81:
	s_waitcnt vmcnt(0)
	v_mov_b64_e32 v[20:21], v[16:17]
	s_waitcnt lgkmcnt(0)
	s_barrier
	s_and_saveexec_b64 s[38:39], s[2:3]
	s_cbranch_execz .LBB715_83
; %bb.82:
	v_add_u32_e32 v20, -8, v33
	ds_read_b64 v[20:21], v20
.LBB715_83:
	s_or_b64 exec, exec, s[38:39]
	v_cndmask_b32_e64 v23, 0, 1, s[14:15]
	v_cndmask_b32_e64 v22, 0, 1, s[12:13]
	v_cndmask_b32_e64 v24, 0, 1, s[40:41]
	v_lshlrev_b16_e32 v23, 8, v23
	v_lshlrev_b16_e32 v24, 8, v24
	v_or_b32_sdwa v36, v22, v23 dst_sel:WORD_1 dst_unused:UNUSED_PAD src0_sel:DWORD src1_sel:DWORD
	s_mov_b64 s[14:15], 0
	s_and_b64 vcc, exec, s[4:5]
	s_mov_b64 s[12:13], 0
	s_cbranch_vccnz .LBB715_92
; %bb.84:
	s_waitcnt lgkmcnt(0)
	v_mul_lo_u32 v22, v21, s26
	v_mul_lo_u32 v23, v20, s27
	v_mad_u64_u32 v[20:21], s[12:13], v20, s26, 0
	v_add3_u32 v21, v21, v23, v22
	v_lshl_add_u64 v[20:21], v[20:21], 1, s[28:29]
	global_load_ushort v22, v[20:21], off
	global_load_ushort v23, v[18:19], off
	s_mov_b64 s[12:13], -1
	s_waitcnt vmcnt(0)
	v_cmp_eq_u16_e32 vcc, v22, v23
	s_and_saveexec_b64 s[38:39], vcc
	s_cbranch_execz .LBB715_91
; %bb.85:
	s_add_u32 s12, s26, -1
	v_lshl_add_u64 v[18:19], v[18:19], 0, 2
	v_lshl_add_u64 v[20:21], v[20:21], 0, 2
	s_addc_u32 s13, s27, -1
	s_mov_b64 s[40:41], 0
	s_mov_b64 s[44:45], 0
                                        ; implicit-def: $sgpr42_sgpr43
	s_branch .LBB715_88
.LBB715_86:                             ;   in Loop: Header=BB715_88 Depth=1
	global_load_ushort v22, v[20:21], off
	global_load_ushort v23, v[18:19], off
	s_add_u32 s44, s44, 1
	s_addc_u32 s45, s45, 0
	s_andn2_b64 s[42:43], s[42:43], exec
	v_lshl_add_u64 v[18:19], v[18:19], 0, 2
	v_lshl_add_u64 v[20:21], v[20:21], 0, 2
	s_waitcnt vmcnt(0)
	v_cmp_ne_u16_e32 vcc, v22, v23
	s_and_b64 s[46:47], vcc, exec
	s_or_b64 s[42:43], s[42:43], s[46:47]
.LBB715_87:                             ;   in Loop: Header=BB715_88 Depth=1
	s_and_b64 s[46:47], exec, s[42:43]
	s_or_b64 s[40:41], s[46:47], s[40:41]
	v_mov_b64_e32 v[22:23], s[44:45]
	s_andn2_b64 exec, exec, s[40:41]
	s_cbranch_execz .LBB715_90
.LBB715_88:                             ; =>This Inner Loop Header: Depth=1
	s_or_b64 s[42:43], s[42:43], exec
	s_cmp_eq_u64 s[12:13], s[44:45]
	s_cbranch_scc0 .LBB715_86
; %bb.89:                               ;   in Loop: Header=BB715_88 Depth=1
                                        ; implicit-def: $vgpr18_vgpr19
                                        ; implicit-def: $vgpr20_vgpr21
	s_mov_b64 s[44:45], s[26:27]
	s_branch .LBB715_87
.LBB715_90:
	s_or_b64 exec, exec, s[40:41]
	v_cmp_gt_i64_e32 vcc, s[26:27], v[22:23]
	s_orn2_b64 s[12:13], vcc, exec
.LBB715_91:
	s_or_b64 exec, exec, s[38:39]
.LBB715_92:
	v_cndmask_b32_e64 v25, 0, 1, s[8:9]
	v_cndmask_b32_e64 v34, 0, 1, s[10:11]
	;; [unrolled: 1-line block ×3, first 2 shown]
	s_waitcnt lgkmcnt(0)
	v_or_b32_e32 v20, v24, v36
	s_and_b64 vcc, exec, s[14:15]
	s_cbranch_vccz .LBB715_173
.LBB715_93:
	v_cmp_gt_u32_e32 vcc, s52, v29
	s_mov_b64 s[8:9], 0
	s_mov_b64 s[6:7], 0
	s_and_saveexec_b64 s[10:11], vcc
	s_cbranch_execz .LBB715_104
; %bb.94:
	s_and_b64 vcc, exec, s[4:5]
	s_mov_b64 s[12:13], 0
	s_cbranch_vccnz .LBB715_103
; %bb.95:
	v_mul_lo_u32 v20, v5, s26
	v_mul_lo_u32 v21, v4, s27
	v_mad_u64_u32 v[18:19], s[6:7], v4, s26, 0
	v_add3_u32 v19, v19, v21, v20
	v_mul_lo_u32 v20, v15, s26
	v_mul_lo_u32 v21, v14, s27
	v_mad_u64_u32 v[22:23], s[6:7], v14, s26, 0
	v_add3_u32 v23, v23, v21, v20
	v_lshl_add_u64 v[20:21], v[18:19], 1, s[28:29]
	v_lshl_add_u64 v[18:19], v[22:23], 1, s[28:29]
	global_load_ushort v22, v[20:21], off
	global_load_ushort v23, v[18:19], off
	s_mov_b64 s[12:13], -1
	s_waitcnt vmcnt(0)
	v_cmp_eq_u16_e32 vcc, v22, v23
	s_and_saveexec_b64 s[6:7], vcc
	s_cbranch_execz .LBB715_102
; %bb.96:
	s_add_u32 s12, s26, -1
	v_lshl_add_u64 v[18:19], v[18:19], 0, 2
	v_lshl_add_u64 v[20:21], v[20:21], 0, 2
	s_addc_u32 s13, s27, -1
	s_mov_b64 s[14:15], 0
	s_mov_b64 s[40:41], 0
                                        ; implicit-def: $sgpr38_sgpr39
	s_branch .LBB715_99
.LBB715_97:                             ;   in Loop: Header=BB715_99 Depth=1
	global_load_ushort v22, v[20:21], off
	global_load_ushort v23, v[18:19], off
	s_add_u32 s40, s40, 1
	s_addc_u32 s41, s41, 0
	s_andn2_b64 s[38:39], s[38:39], exec
	v_lshl_add_u64 v[18:19], v[18:19], 0, 2
	v_lshl_add_u64 v[20:21], v[20:21], 0, 2
	s_waitcnt vmcnt(0)
	v_cmp_ne_u16_e32 vcc, v22, v23
	s_and_b64 s[42:43], vcc, exec
	s_or_b64 s[38:39], s[38:39], s[42:43]
.LBB715_98:                             ;   in Loop: Header=BB715_99 Depth=1
	s_and_b64 s[42:43], exec, s[38:39]
	s_or_b64 s[14:15], s[42:43], s[14:15]
	v_mov_b64_e32 v[22:23], s[40:41]
	s_andn2_b64 exec, exec, s[14:15]
	s_cbranch_execz .LBB715_101
.LBB715_99:                             ; =>This Inner Loop Header: Depth=1
	s_or_b64 s[38:39], s[38:39], exec
	s_cmp_eq_u64 s[12:13], s[40:41]
	s_cbranch_scc0 .LBB715_97
; %bb.100:                              ;   in Loop: Header=BB715_99 Depth=1
                                        ; implicit-def: $vgpr18_vgpr19
                                        ; implicit-def: $vgpr20_vgpr21
	s_mov_b64 s[40:41], s[26:27]
	s_branch .LBB715_98
.LBB715_101:
	s_or_b64 exec, exec, s[14:15]
	v_cmp_gt_i64_e32 vcc, s[26:27], v[22:23]
	s_orn2_b64 s[12:13], vcc, exec
.LBB715_102:
	s_or_b64 exec, exec, s[6:7]
.LBB715_103:
	s_and_b64 s[6:7], s[12:13], exec
.LBB715_104:
	s_or_b64 exec, exec, s[10:11]
	v_cmp_gt_u32_e32 vcc, s52, v31
	s_and_saveexec_b64 s[10:11], vcc
	s_cbranch_execz .LBB715_115
; %bb.105:
	s_and_b64 vcc, exec, s[4:5]
	s_mov_b64 s[12:13], 0
	s_cbranch_vccnz .LBB715_114
; %bb.106:
	v_mul_lo_u32 v20, v3, s26
	v_mul_lo_u32 v21, v2, s27
	v_mad_u64_u32 v[18:19], s[8:9], v2, s26, 0
	v_add3_u32 v19, v19, v21, v20
	v_mul_lo_u32 v20, v5, s26
	v_mul_lo_u32 v21, v4, s27
	v_mad_u64_u32 v[22:23], s[8:9], v4, s26, 0
	v_add3_u32 v23, v23, v21, v20
	v_lshl_add_u64 v[20:21], v[18:19], 1, s[28:29]
	v_lshl_add_u64 v[18:19], v[22:23], 1, s[28:29]
	global_load_ushort v22, v[20:21], off
	global_load_ushort v23, v[18:19], off
	s_mov_b64 s[12:13], -1
	s_waitcnt vmcnt(0)
	v_cmp_eq_u16_e32 vcc, v22, v23
	s_and_saveexec_b64 s[8:9], vcc
	s_cbranch_execz .LBB715_113
; %bb.107:
	s_add_u32 s12, s26, -1
	v_lshl_add_u64 v[18:19], v[18:19], 0, 2
	v_lshl_add_u64 v[20:21], v[20:21], 0, 2
	s_addc_u32 s13, s27, -1
	s_mov_b64 s[14:15], 0
	s_mov_b64 s[40:41], 0
                                        ; implicit-def: $sgpr38_sgpr39
	s_branch .LBB715_110
.LBB715_108:                            ;   in Loop: Header=BB715_110 Depth=1
	global_load_ushort v22, v[20:21], off
	global_load_ushort v23, v[18:19], off
	s_add_u32 s40, s40, 1
	s_addc_u32 s41, s41, 0
	s_andn2_b64 s[38:39], s[38:39], exec
	v_lshl_add_u64 v[18:19], v[18:19], 0, 2
	v_lshl_add_u64 v[20:21], v[20:21], 0, 2
	s_waitcnt vmcnt(0)
	v_cmp_ne_u16_e32 vcc, v22, v23
	s_and_b64 s[42:43], vcc, exec
	s_or_b64 s[38:39], s[38:39], s[42:43]
.LBB715_109:                            ;   in Loop: Header=BB715_110 Depth=1
	s_and_b64 s[42:43], exec, s[38:39]
	s_or_b64 s[14:15], s[42:43], s[14:15]
	v_mov_b64_e32 v[22:23], s[40:41]
	s_andn2_b64 exec, exec, s[14:15]
	s_cbranch_execz .LBB715_112
.LBB715_110:                            ; =>This Inner Loop Header: Depth=1
	s_or_b64 s[38:39], s[38:39], exec
	s_cmp_eq_u64 s[12:13], s[40:41]
	s_cbranch_scc0 .LBB715_108
; %bb.111:                              ;   in Loop: Header=BB715_110 Depth=1
                                        ; implicit-def: $vgpr18_vgpr19
                                        ; implicit-def: $vgpr20_vgpr21
	s_mov_b64 s[40:41], s[26:27]
	s_branch .LBB715_109
.LBB715_112:
	s_or_b64 exec, exec, s[14:15]
	v_cmp_gt_i64_e32 vcc, s[26:27], v[22:23]
	s_orn2_b64 s[12:13], vcc, exec
.LBB715_113:
	s_or_b64 exec, exec, s[8:9]
.LBB715_114:
	s_and_b64 s[8:9], s[12:13], exec
.LBB715_115:
	s_or_b64 exec, exec, s[10:11]
	v_cmp_gt_u32_e32 vcc, s52, v28
	s_mov_b64 s[12:13], 0
	s_mov_b64 s[10:11], 0
	s_and_saveexec_b64 s[14:15], vcc
	s_cbranch_execz .LBB715_126
; %bb.116:
	s_and_b64 vcc, exec, s[4:5]
	s_mov_b64 s[38:39], 0
	s_cbranch_vccnz .LBB715_125
; %bb.117:
	v_mul_lo_u32 v20, v9, s26
	v_mul_lo_u32 v21, v8, s27
	v_mad_u64_u32 v[18:19], s[10:11], v8, s26, 0
	v_add3_u32 v19, v19, v21, v20
	v_mul_lo_u32 v20, v3, s26
	v_mul_lo_u32 v21, v2, s27
	v_mad_u64_u32 v[22:23], s[10:11], v2, s26, 0
	v_add3_u32 v23, v23, v21, v20
	v_lshl_add_u64 v[20:21], v[18:19], 1, s[28:29]
	v_lshl_add_u64 v[18:19], v[22:23], 1, s[28:29]
	global_load_ushort v22, v[20:21], off
	global_load_ushort v23, v[18:19], off
	s_mov_b64 s[38:39], -1
	s_waitcnt vmcnt(0)
	v_cmp_eq_u16_e32 vcc, v22, v23
	s_and_saveexec_b64 s[10:11], vcc
	s_cbranch_execz .LBB715_124
; %bb.118:
	s_add_u32 s38, s26, -1
	v_lshl_add_u64 v[18:19], v[18:19], 0, 2
	v_lshl_add_u64 v[20:21], v[20:21], 0, 2
	s_addc_u32 s39, s27, -1
	s_mov_b64 s[40:41], 0
	s_mov_b64 s[44:45], 0
                                        ; implicit-def: $sgpr42_sgpr43
	s_branch .LBB715_121
.LBB715_119:                            ;   in Loop: Header=BB715_121 Depth=1
	global_load_ushort v22, v[20:21], off
	global_load_ushort v23, v[18:19], off
	s_add_u32 s44, s44, 1
	s_addc_u32 s45, s45, 0
	s_andn2_b64 s[42:43], s[42:43], exec
	v_lshl_add_u64 v[18:19], v[18:19], 0, 2
	v_lshl_add_u64 v[20:21], v[20:21], 0, 2
	s_waitcnt vmcnt(0)
	v_cmp_ne_u16_e32 vcc, v22, v23
	s_and_b64 s[46:47], vcc, exec
	s_or_b64 s[42:43], s[42:43], s[46:47]
.LBB715_120:                            ;   in Loop: Header=BB715_121 Depth=1
	s_and_b64 s[46:47], exec, s[42:43]
	s_or_b64 s[40:41], s[46:47], s[40:41]
	v_mov_b64_e32 v[22:23], s[44:45]
	s_andn2_b64 exec, exec, s[40:41]
	s_cbranch_execz .LBB715_123
.LBB715_121:                            ; =>This Inner Loop Header: Depth=1
	s_or_b64 s[42:43], s[42:43], exec
	s_cmp_eq_u64 s[38:39], s[44:45]
	s_cbranch_scc0 .LBB715_119
; %bb.122:                              ;   in Loop: Header=BB715_121 Depth=1
                                        ; implicit-def: $vgpr18_vgpr19
                                        ; implicit-def: $vgpr20_vgpr21
	s_mov_b64 s[44:45], s[26:27]
	s_branch .LBB715_120
.LBB715_123:
	s_or_b64 exec, exec, s[40:41]
	v_cmp_gt_i64_e32 vcc, s[26:27], v[22:23]
	s_orn2_b64 s[38:39], vcc, exec
.LBB715_124:
	s_or_b64 exec, exec, s[10:11]
.LBB715_125:
	s_and_b64 s[10:11], s[38:39], exec
.LBB715_126:
	s_or_b64 exec, exec, s[14:15]
	v_cmp_gt_u32_e32 vcc, s52, v30
	s_and_saveexec_b64 s[14:15], vcc
	s_cbranch_execz .LBB715_137
; %bb.127:
	s_and_b64 vcc, exec, s[4:5]
	s_mov_b64 s[38:39], 0
	s_cbranch_vccnz .LBB715_136
; %bb.128:
	v_mul_lo_u32 v20, v7, s26
	v_mul_lo_u32 v21, v6, s27
	v_mad_u64_u32 v[18:19], s[12:13], v6, s26, 0
	v_add3_u32 v19, v19, v21, v20
	v_mul_lo_u32 v20, v9, s26
	v_mul_lo_u32 v21, v8, s27
	v_mad_u64_u32 v[22:23], s[12:13], v8, s26, 0
	v_add3_u32 v23, v23, v21, v20
	v_lshl_add_u64 v[20:21], v[18:19], 1, s[28:29]
	v_lshl_add_u64 v[18:19], v[22:23], 1, s[28:29]
	global_load_ushort v22, v[20:21], off
	global_load_ushort v23, v[18:19], off
	s_mov_b64 s[38:39], -1
	s_waitcnt vmcnt(0)
	v_cmp_eq_u16_e32 vcc, v22, v23
	s_and_saveexec_b64 s[12:13], vcc
	s_cbranch_execz .LBB715_135
; %bb.129:
	s_add_u32 s38, s26, -1
	v_lshl_add_u64 v[18:19], v[18:19], 0, 2
	v_lshl_add_u64 v[20:21], v[20:21], 0, 2
	s_addc_u32 s39, s27, -1
	s_mov_b64 s[40:41], 0
	s_mov_b64 s[44:45], 0
                                        ; implicit-def: $sgpr42_sgpr43
	s_branch .LBB715_132
.LBB715_130:                            ;   in Loop: Header=BB715_132 Depth=1
	global_load_ushort v22, v[20:21], off
	global_load_ushort v23, v[18:19], off
	s_add_u32 s44, s44, 1
	s_addc_u32 s45, s45, 0
	s_andn2_b64 s[42:43], s[42:43], exec
	v_lshl_add_u64 v[18:19], v[18:19], 0, 2
	v_lshl_add_u64 v[20:21], v[20:21], 0, 2
	s_waitcnt vmcnt(0)
	v_cmp_ne_u16_e32 vcc, v22, v23
	s_and_b64 s[46:47], vcc, exec
	s_or_b64 s[42:43], s[42:43], s[46:47]
.LBB715_131:                            ;   in Loop: Header=BB715_132 Depth=1
	s_and_b64 s[46:47], exec, s[42:43]
	s_or_b64 s[40:41], s[46:47], s[40:41]
	v_mov_b64_e32 v[22:23], s[44:45]
	s_andn2_b64 exec, exec, s[40:41]
	s_cbranch_execz .LBB715_134
.LBB715_132:                            ; =>This Inner Loop Header: Depth=1
	s_or_b64 s[42:43], s[42:43], exec
	s_cmp_eq_u64 s[38:39], s[44:45]
	s_cbranch_scc0 .LBB715_130
; %bb.133:                              ;   in Loop: Header=BB715_132 Depth=1
                                        ; implicit-def: $vgpr18_vgpr19
                                        ; implicit-def: $vgpr20_vgpr21
	s_mov_b64 s[44:45], s[26:27]
	s_branch .LBB715_131
.LBB715_134:
	s_or_b64 exec, exec, s[40:41]
	v_cmp_gt_i64_e32 vcc, s[26:27], v[22:23]
	s_orn2_b64 s[38:39], vcc, exec
.LBB715_135:
	s_or_b64 exec, exec, s[12:13]
.LBB715_136:
	s_and_b64 s[12:13], s[38:39], exec
.LBB715_137:
	s_or_b64 exec, exec, s[14:15]
	v_cmp_gt_u32_e32 vcc, s52, v26
	s_mov_b64 s[14:15], 0
	s_mov_b64 s[38:39], 0
	s_and_saveexec_b64 s[40:41], vcc
	s_cbranch_execz .LBB715_148
; %bb.138:
	s_and_b64 vcc, exec, s[4:5]
	s_mov_b64 s[42:43], 0
	s_cbranch_vccnz .LBB715_147
; %bb.139:
	v_mul_lo_u32 v20, v13, s26
	v_mul_lo_u32 v21, v12, s27
	v_mad_u64_u32 v[18:19], s[38:39], v12, s26, 0
	v_add3_u32 v19, v19, v21, v20
	v_mul_lo_u32 v20, v7, s26
	v_mul_lo_u32 v21, v6, s27
	v_mad_u64_u32 v[22:23], s[38:39], v6, s26, 0
	v_add3_u32 v23, v23, v21, v20
	v_lshl_add_u64 v[20:21], v[18:19], 1, s[28:29]
	v_lshl_add_u64 v[18:19], v[22:23], 1, s[28:29]
	global_load_ushort v22, v[20:21], off
	global_load_ushort v23, v[18:19], off
	s_mov_b64 s[42:43], -1
	s_waitcnt vmcnt(0)
	v_cmp_eq_u16_e32 vcc, v22, v23
	s_and_saveexec_b64 s[38:39], vcc
	s_cbranch_execz .LBB715_146
; %bb.140:
	s_add_u32 s42, s26, -1
	v_lshl_add_u64 v[18:19], v[18:19], 0, 2
	v_lshl_add_u64 v[20:21], v[20:21], 0, 2
	s_addc_u32 s43, s27, -1
	s_mov_b64 s[44:45], 0
	s_mov_b64 s[48:49], 0
                                        ; implicit-def: $sgpr46_sgpr47
	s_branch .LBB715_143
.LBB715_141:                            ;   in Loop: Header=BB715_143 Depth=1
	global_load_ushort v22, v[20:21], off
	global_load_ushort v23, v[18:19], off
	s_add_u32 s48, s48, 1
	s_addc_u32 s49, s49, 0
	s_andn2_b64 s[46:47], s[46:47], exec
	v_lshl_add_u64 v[18:19], v[18:19], 0, 2
	v_lshl_add_u64 v[20:21], v[20:21], 0, 2
	s_waitcnt vmcnt(0)
	v_cmp_ne_u16_e32 vcc, v22, v23
	s_and_b64 s[50:51], vcc, exec
	s_or_b64 s[46:47], s[46:47], s[50:51]
.LBB715_142:                            ;   in Loop: Header=BB715_143 Depth=1
	s_and_b64 s[50:51], exec, s[46:47]
	s_or_b64 s[44:45], s[50:51], s[44:45]
	v_mov_b64_e32 v[22:23], s[48:49]
	s_andn2_b64 exec, exec, s[44:45]
	s_cbranch_execz .LBB715_145
.LBB715_143:                            ; =>This Inner Loop Header: Depth=1
	s_or_b64 s[46:47], s[46:47], exec
	s_cmp_eq_u64 s[42:43], s[48:49]
	s_cbranch_scc0 .LBB715_141
; %bb.144:                              ;   in Loop: Header=BB715_143 Depth=1
                                        ; implicit-def: $vgpr18_vgpr19
                                        ; implicit-def: $vgpr20_vgpr21
	s_mov_b64 s[48:49], s[26:27]
	s_branch .LBB715_142
.LBB715_145:
	s_or_b64 exec, exec, s[44:45]
	v_cmp_gt_i64_e32 vcc, s[26:27], v[22:23]
	s_orn2_b64 s[42:43], vcc, exec
.LBB715_146:
	s_or_b64 exec, exec, s[38:39]
.LBB715_147:
	s_and_b64 s[38:39], s[42:43], exec
.LBB715_148:
	s_or_b64 exec, exec, s[40:41]
	v_cmp_gt_u32_e32 vcc, s52, v27
	s_and_saveexec_b64 s[40:41], vcc
	s_cbranch_execz .LBB715_159
; %bb.149:
	s_and_b64 vcc, exec, s[4:5]
	s_mov_b64 s[42:43], 0
	s_cbranch_vccnz .LBB715_158
; %bb.150:
	v_mul_lo_u32 v20, v11, s26
	v_mul_lo_u32 v21, v10, s27
	v_mad_u64_u32 v[18:19], s[14:15], v10, s26, 0
	v_add3_u32 v19, v19, v21, v20
	v_mul_lo_u32 v20, v13, s26
	v_mul_lo_u32 v21, v12, s27
	v_mad_u64_u32 v[22:23], s[14:15], v12, s26, 0
	v_add3_u32 v23, v23, v21, v20
	v_lshl_add_u64 v[20:21], v[18:19], 1, s[28:29]
	v_lshl_add_u64 v[18:19], v[22:23], 1, s[28:29]
	global_load_ushort v22, v[20:21], off
	global_load_ushort v23, v[18:19], off
	s_mov_b64 s[42:43], -1
	s_waitcnt vmcnt(0)
	v_cmp_eq_u16_e32 vcc, v22, v23
	s_and_saveexec_b64 s[14:15], vcc
	s_cbranch_execz .LBB715_157
; %bb.151:
	s_add_u32 s42, s26, -1
	v_lshl_add_u64 v[18:19], v[18:19], 0, 2
	v_lshl_add_u64 v[20:21], v[20:21], 0, 2
	s_addc_u32 s43, s27, -1
	s_mov_b64 s[44:45], 0
	s_mov_b64 s[48:49], 0
                                        ; implicit-def: $sgpr46_sgpr47
	s_branch .LBB715_154
.LBB715_152:                            ;   in Loop: Header=BB715_154 Depth=1
	global_load_ushort v22, v[20:21], off
	global_load_ushort v23, v[18:19], off
	s_add_u32 s48, s48, 1
	s_addc_u32 s49, s49, 0
	s_andn2_b64 s[46:47], s[46:47], exec
	v_lshl_add_u64 v[18:19], v[18:19], 0, 2
	v_lshl_add_u64 v[20:21], v[20:21], 0, 2
	s_waitcnt vmcnt(0)
	v_cmp_ne_u16_e32 vcc, v22, v23
	s_and_b64 s[50:51], vcc, exec
	s_or_b64 s[46:47], s[46:47], s[50:51]
.LBB715_153:                            ;   in Loop: Header=BB715_154 Depth=1
	s_and_b64 s[50:51], exec, s[46:47]
	s_or_b64 s[44:45], s[50:51], s[44:45]
	v_mov_b64_e32 v[22:23], s[48:49]
	s_andn2_b64 exec, exec, s[44:45]
	s_cbranch_execz .LBB715_156
.LBB715_154:                            ; =>This Inner Loop Header: Depth=1
	s_or_b64 s[46:47], s[46:47], exec
	s_cmp_eq_u64 s[42:43], s[48:49]
	s_cbranch_scc0 .LBB715_152
; %bb.155:                              ;   in Loop: Header=BB715_154 Depth=1
                                        ; implicit-def: $vgpr18_vgpr19
                                        ; implicit-def: $vgpr20_vgpr21
	s_mov_b64 s[48:49], s[26:27]
	s_branch .LBB715_153
.LBB715_156:
	s_or_b64 exec, exec, s[44:45]
	v_cmp_gt_i64_e32 vcc, s[26:27], v[22:23]
	s_orn2_b64 s[42:43], vcc, exec
.LBB715_157:
	s_or_b64 exec, exec, s[14:15]
.LBB715_158:
	s_and_b64 s[14:15], s[42:43], exec
.LBB715_159:
	s_or_b64 exec, exec, s[40:41]
	s_waitcnt lgkmcnt(0)
	s_barrier
	s_and_saveexec_b64 s[40:41], s[2:3]
	s_cbranch_execz .LBB715_161
; %bb.160:
	s_waitcnt vmcnt(0)
	v_add_u32_e32 v16, -8, v33
	ds_read_b64 v[16:17], v16
.LBB715_161:
	s_or_b64 exec, exec, s[40:41]
	v_cndmask_b32_e64 v19, 0, 1, s[12:13]
	v_cndmask_b32_e64 v18, 0, 1, s[38:39]
	;; [unrolled: 1-line block ×3, first 2 shown]
	v_lshlrev_b16_e32 v19, 8, v19
	v_cmp_gt_u32_e32 vcc, s52, v1
	v_lshlrev_b16_e32 v22, 8, v20
	v_or_b32_sdwa v23, v18, v19 dst_sel:WORD_1 dst_unused:UNUSED_PAD src0_sel:DWORD src1_sel:DWORD
	s_mov_b64 s[12:13], 0
	s_and_saveexec_b64 s[14:15], vcc
	s_cbranch_execz .LBB715_172
; %bb.162:
	s_and_b64 vcc, exec, s[4:5]
	s_cbranch_vccnz .LBB715_171
; %bb.163:
	s_waitcnt vmcnt(0) lgkmcnt(0)
	v_mul_lo_u32 v18, v17, s26
	v_mul_lo_u32 v19, v16, s27
	v_mad_u64_u32 v[16:17], s[4:5], v16, s26, 0
	v_add3_u32 v17, v17, v19, v18
	v_mul_lo_u32 v18, v11, s26
	v_mul_lo_u32 v19, v10, s27
	v_mad_u64_u32 v[20:21], s[4:5], v10, s26, 0
	v_add3_u32 v21, v21, v19, v18
	v_lshl_add_u64 v[18:19], v[16:17], 1, s[28:29]
	v_lshl_add_u64 v[16:17], v[20:21], 1, s[28:29]
	global_load_ushort v20, v[18:19], off
	global_load_ushort v21, v[16:17], off
	s_mov_b64 s[12:13], -1
	s_waitcnt vmcnt(0)
	v_cmp_eq_u16_e32 vcc, v20, v21
	s_and_saveexec_b64 s[4:5], vcc
	s_cbranch_execz .LBB715_170
; %bb.164:
	s_add_u32 s12, s26, -1
	v_lshl_add_u64 v[16:17], v[16:17], 0, 2
	v_lshl_add_u64 v[18:19], v[18:19], 0, 2
	s_addc_u32 s13, s27, -1
	s_mov_b64 s[38:39], 0
	s_mov_b64 s[42:43], 0
                                        ; implicit-def: $sgpr40_sgpr41
	s_branch .LBB715_167
.LBB715_165:                            ;   in Loop: Header=BB715_167 Depth=1
	global_load_ushort v20, v[18:19], off
	global_load_ushort v21, v[16:17], off
	s_add_u32 s42, s42, 1
	s_addc_u32 s43, s43, 0
	s_andn2_b64 s[40:41], s[40:41], exec
	v_lshl_add_u64 v[16:17], v[16:17], 0, 2
	v_lshl_add_u64 v[18:19], v[18:19], 0, 2
	s_waitcnt vmcnt(0)
	v_cmp_ne_u16_e32 vcc, v20, v21
	s_and_b64 s[44:45], vcc, exec
	s_or_b64 s[40:41], s[40:41], s[44:45]
.LBB715_166:                            ;   in Loop: Header=BB715_167 Depth=1
	s_and_b64 s[44:45], exec, s[40:41]
	s_or_b64 s[38:39], s[44:45], s[38:39]
	v_mov_b64_e32 v[20:21], s[42:43]
	s_andn2_b64 exec, exec, s[38:39]
	s_cbranch_execz .LBB715_169
.LBB715_167:                            ; =>This Inner Loop Header: Depth=1
	s_or_b64 s[40:41], s[40:41], exec
	s_cmp_eq_u64 s[12:13], s[42:43]
	s_cbranch_scc0 .LBB715_165
; %bb.168:                              ;   in Loop: Header=BB715_167 Depth=1
                                        ; implicit-def: $vgpr16_vgpr17
                                        ; implicit-def: $vgpr18_vgpr19
	s_mov_b64 s[42:43], s[26:27]
	s_branch .LBB715_166
.LBB715_169:
	s_or_b64 exec, exec, s[38:39]
	v_cmp_gt_i64_e32 vcc, s[26:27], v[20:21]
	s_orn2_b64 s[12:13], vcc, exec
.LBB715_170:
	s_or_b64 exec, exec, s[4:5]
.LBB715_171:
	s_and_b64 s[12:13], s[12:13], exec
.LBB715_172:
	s_or_b64 exec, exec, s[14:15]
	v_cndmask_b32_e64 v25, 0, 1, s[10:11]
	v_cndmask_b32_e64 v34, 0, 1, s[8:9]
	;; [unrolled: 1-line block ×3, first 2 shown]
	v_or_b32_e32 v20, v22, v23
.LBB715_173:
	s_mov_b64 s[8:9], -1
	s_cbranch_execnz .LBB715_32
.LBB715_174:
	s_movk_i32 s4, 0xffd0
	v_mad_i32_i24 v24, v0, s4, v32
	s_mov_b64 s[10:11], 0
	v_cmp_gt_i64_e64 s[6:7], s[26:27], 0
	s_and_b64 vcc, exec, s[36:37]
	ds_write_b64 v24, v[14:15]
	s_cbranch_vccz .LBB715_182
; %bb.175:
	v_mul_lo_u32 v18, v5, s26
	v_mul_lo_u32 v19, v4, s27
	s_waitcnt vmcnt(0) lgkmcnt(1)
	v_mad_u64_u32 v[16:17], s[4:5], v4, s26, 0
	v_add3_u32 v17, v17, v19, v18
	v_cndmask_b32_e64 v18, 0, 1, s[6:7]
	v_cmp_ne_u32_e64 s[4:5], 1, v18
	s_andn2_b64 vcc, exec, s[6:7]
	v_lshl_add_u64 v[16:17], v[16:17], 1, s[28:29]
	s_cbranch_vccnz .LBB715_185
; %bb.176:
	v_mul_lo_u32 v20, v15, s26
	v_mul_lo_u32 v21, v14, s27
	v_mad_u64_u32 v[18:19], s[10:11], v14, s26, 0
	v_add3_u32 v19, v19, v21, v20
	v_lshl_add_u64 v[18:19], v[18:19], 1, s[28:29]
	global_load_ushort v20, v[16:17], off
	global_load_ushort v21, v[18:19], off
	s_mov_b64 s[10:11], -1
	s_waitcnt vmcnt(0)
	v_cmp_eq_u16_e32 vcc, v20, v21
	s_and_saveexec_b64 s[12:13], vcc
	s_cbranch_execz .LBB715_184
; %bb.177:
	s_add_u32 s10, s26, -1
	v_lshl_add_u64 v[18:19], v[18:19], 0, 2
	v_lshl_add_u64 v[20:21], v[16:17], 0, 2
	s_addc_u32 s11, s27, -1
	s_mov_b64 s[14:15], 0
	s_mov_b64 s[40:41], 0
                                        ; implicit-def: $sgpr38_sgpr39
	s_branch .LBB715_180
.LBB715_178:                            ;   in Loop: Header=BB715_180 Depth=1
	global_load_ushort v22, v[20:21], off
	global_load_ushort v23, v[18:19], off
	s_add_u32 s40, s40, 1
	s_addc_u32 s41, s41, 0
	s_andn2_b64 s[38:39], s[38:39], exec
	v_lshl_add_u64 v[18:19], v[18:19], 0, 2
	v_lshl_add_u64 v[20:21], v[20:21], 0, 2
	s_waitcnt vmcnt(0)
	v_cmp_ne_u16_e32 vcc, v22, v23
	s_and_b64 s[42:43], vcc, exec
	s_or_b64 s[38:39], s[38:39], s[42:43]
.LBB715_179:                            ;   in Loop: Header=BB715_180 Depth=1
	s_and_b64 s[42:43], exec, s[38:39]
	s_or_b64 s[14:15], s[42:43], s[14:15]
	v_mov_b64_e32 v[22:23], s[40:41]
	s_andn2_b64 exec, exec, s[14:15]
	s_cbranch_execz .LBB715_183
.LBB715_180:                            ; =>This Inner Loop Header: Depth=1
	s_or_b64 s[38:39], s[38:39], exec
	s_cmp_eq_u64 s[10:11], s[40:41]
	s_cbranch_scc0 .LBB715_178
; %bb.181:                              ;   in Loop: Header=BB715_180 Depth=1
                                        ; implicit-def: $vgpr18_vgpr19
                                        ; implicit-def: $vgpr20_vgpr21
	s_mov_b64 s[40:41], s[26:27]
	s_branch .LBB715_179
.LBB715_182:
                                        ; implicit-def: $sgpr12_sgpr13
                                        ; implicit-def: $vgpr35
                                        ; implicit-def: $vgpr34
                                        ; implicit-def: $vgpr25
                                        ; implicit-def: $vgpr20
                                        ; implicit-def: $vgpr16_vgpr17
	s_cbranch_execnz .LBB715_242
	s_branch .LBB715_322
.LBB715_183:
	s_or_b64 exec, exec, s[14:15]
	v_cmp_gt_i64_e32 vcc, s[26:27], v[22:23]
	s_orn2_b64 s[10:11], vcc, exec
.LBB715_184:
	s_or_b64 exec, exec, s[12:13]
.LBB715_185:
	v_mul_lo_u32 v20, v3, s26
	v_mul_lo_u32 v21, v2, s27
	v_mad_u64_u32 v[18:19], s[12:13], v2, s26, 0
	v_add3_u32 v19, v19, v21, v20
	s_mov_b64 s[12:13], 0
	s_and_b64 vcc, exec, s[4:5]
	v_lshl_add_u64 v[18:19], v[18:19], 1, s[28:29]
	s_mov_b64 s[14:15], 0
	s_cbranch_vccnz .LBB715_194
; %bb.186:
	global_load_ushort v20, v[18:19], off
	global_load_ushort v21, v[16:17], off
	s_mov_b64 s[14:15], -1
	s_waitcnt vmcnt(0)
	v_cmp_eq_u16_e32 vcc, v20, v21
	s_and_saveexec_b64 s[38:39], vcc
	s_cbranch_execz .LBB715_193
; %bb.187:
	s_add_u32 s14, s26, -1
	v_lshl_add_u64 v[16:17], v[16:17], 0, 2
	v_lshl_add_u64 v[20:21], v[18:19], 0, 2
	s_addc_u32 s15, s27, -1
	s_mov_b64 s[40:41], 0
	s_mov_b64 s[44:45], 0
                                        ; implicit-def: $sgpr42_sgpr43
	s_branch .LBB715_190
.LBB715_188:                            ;   in Loop: Header=BB715_190 Depth=1
	global_load_ushort v22, v[20:21], off
	global_load_ushort v23, v[16:17], off
	s_add_u32 s44, s44, 1
	s_addc_u32 s45, s45, 0
	s_andn2_b64 s[42:43], s[42:43], exec
	v_lshl_add_u64 v[16:17], v[16:17], 0, 2
	v_lshl_add_u64 v[20:21], v[20:21], 0, 2
	s_waitcnt vmcnt(0)
	v_cmp_ne_u16_e32 vcc, v22, v23
	s_and_b64 s[46:47], vcc, exec
	s_or_b64 s[42:43], s[42:43], s[46:47]
.LBB715_189:                            ;   in Loop: Header=BB715_190 Depth=1
	s_and_b64 s[46:47], exec, s[42:43]
	s_or_b64 s[40:41], s[46:47], s[40:41]
	v_mov_b64_e32 v[22:23], s[44:45]
	s_andn2_b64 exec, exec, s[40:41]
	s_cbranch_execz .LBB715_192
.LBB715_190:                            ; =>This Inner Loop Header: Depth=1
	s_or_b64 s[42:43], s[42:43], exec
	s_cmp_eq_u64 s[14:15], s[44:45]
	s_cbranch_scc0 .LBB715_188
; %bb.191:                              ;   in Loop: Header=BB715_190 Depth=1
                                        ; implicit-def: $vgpr16_vgpr17
                                        ; implicit-def: $vgpr20_vgpr21
	s_mov_b64 s[44:45], s[26:27]
	s_branch .LBB715_189
.LBB715_192:
	s_or_b64 exec, exec, s[40:41]
	v_cmp_gt_i64_e32 vcc, s[26:27], v[22:23]
	s_orn2_b64 s[14:15], vcc, exec
.LBB715_193:
	s_or_b64 exec, exec, s[38:39]
.LBB715_194:
	v_mul_lo_u32 v20, v9, s26
	v_mul_lo_u32 v21, v8, s27
	v_mad_u64_u32 v[16:17], s[38:39], v8, s26, 0
	v_add3_u32 v17, v17, v21, v20
	s_and_b64 vcc, exec, s[4:5]
	v_lshl_add_u64 v[16:17], v[16:17], 1, s[28:29]
	s_cbranch_vccnz .LBB715_203
; %bb.195:
	global_load_ushort v20, v[16:17], off
	global_load_ushort v21, v[18:19], off
	s_mov_b64 s[12:13], -1
	s_waitcnt vmcnt(0)
	v_cmp_eq_u16_e32 vcc, v20, v21
	s_and_saveexec_b64 s[38:39], vcc
	s_cbranch_execz .LBB715_202
; %bb.196:
	s_add_u32 s12, s26, -1
	v_lshl_add_u64 v[18:19], v[18:19], 0, 2
	v_lshl_add_u64 v[20:21], v[16:17], 0, 2
	s_addc_u32 s13, s27, -1
	s_mov_b64 s[40:41], 0
	s_mov_b64 s[44:45], 0
                                        ; implicit-def: $sgpr42_sgpr43
	s_branch .LBB715_199
.LBB715_197:                            ;   in Loop: Header=BB715_199 Depth=1
	global_load_ushort v22, v[20:21], off
	global_load_ushort v23, v[18:19], off
	s_add_u32 s44, s44, 1
	s_addc_u32 s45, s45, 0
	s_andn2_b64 s[42:43], s[42:43], exec
	v_lshl_add_u64 v[18:19], v[18:19], 0, 2
	v_lshl_add_u64 v[20:21], v[20:21], 0, 2
	s_waitcnt vmcnt(0)
	v_cmp_ne_u16_e32 vcc, v22, v23
	s_and_b64 s[46:47], vcc, exec
	s_or_b64 s[42:43], s[42:43], s[46:47]
.LBB715_198:                            ;   in Loop: Header=BB715_199 Depth=1
	s_and_b64 s[46:47], exec, s[42:43]
	s_or_b64 s[40:41], s[46:47], s[40:41]
	v_mov_b64_e32 v[22:23], s[44:45]
	s_andn2_b64 exec, exec, s[40:41]
	s_cbranch_execz .LBB715_201
.LBB715_199:                            ; =>This Inner Loop Header: Depth=1
	s_or_b64 s[42:43], s[42:43], exec
	s_cmp_eq_u64 s[12:13], s[44:45]
	s_cbranch_scc0 .LBB715_197
; %bb.200:                              ;   in Loop: Header=BB715_199 Depth=1
                                        ; implicit-def: $vgpr18_vgpr19
                                        ; implicit-def: $vgpr20_vgpr21
	s_mov_b64 s[44:45], s[26:27]
	s_branch .LBB715_198
.LBB715_201:
	s_or_b64 exec, exec, s[40:41]
	v_cmp_gt_i64_e32 vcc, s[26:27], v[22:23]
	s_orn2_b64 s[12:13], vcc, exec
.LBB715_202:
	s_or_b64 exec, exec, s[38:39]
.LBB715_203:
	v_mul_lo_u32 v20, v7, s26
	v_mul_lo_u32 v21, v6, s27
	v_mad_u64_u32 v[18:19], s[38:39], v6, s26, 0
	v_add3_u32 v19, v19, v21, v20
	s_mov_b64 s[38:39], 0
	s_and_b64 vcc, exec, s[4:5]
	v_lshl_add_u64 v[18:19], v[18:19], 1, s[28:29]
	s_mov_b64 s[40:41], 0
	s_cbranch_vccnz .LBB715_212
; %bb.204:
	global_load_ushort v20, v[18:19], off
	global_load_ushort v21, v[16:17], off
	s_mov_b64 s[40:41], -1
	s_waitcnt vmcnt(0)
	v_cmp_eq_u16_e32 vcc, v20, v21
	s_and_saveexec_b64 s[42:43], vcc
	s_cbranch_execz .LBB715_211
; %bb.205:
	s_add_u32 s40, s26, -1
	v_lshl_add_u64 v[16:17], v[16:17], 0, 2
	v_lshl_add_u64 v[20:21], v[18:19], 0, 2
	s_addc_u32 s41, s27, -1
	s_mov_b64 s[44:45], 0
	s_mov_b64 s[48:49], 0
                                        ; implicit-def: $sgpr46_sgpr47
	s_branch .LBB715_208
.LBB715_206:                            ;   in Loop: Header=BB715_208 Depth=1
	global_load_ushort v22, v[20:21], off
	global_load_ushort v23, v[16:17], off
	s_add_u32 s48, s48, 1
	s_addc_u32 s49, s49, 0
	s_andn2_b64 s[46:47], s[46:47], exec
	v_lshl_add_u64 v[16:17], v[16:17], 0, 2
	v_lshl_add_u64 v[20:21], v[20:21], 0, 2
	s_waitcnt vmcnt(0)
	v_cmp_ne_u16_e32 vcc, v22, v23
	s_and_b64 s[50:51], vcc, exec
	s_or_b64 s[46:47], s[46:47], s[50:51]
.LBB715_207:                            ;   in Loop: Header=BB715_208 Depth=1
	s_and_b64 s[50:51], exec, s[46:47]
	s_or_b64 s[44:45], s[50:51], s[44:45]
	v_mov_b64_e32 v[22:23], s[48:49]
	s_andn2_b64 exec, exec, s[44:45]
	s_cbranch_execz .LBB715_210
.LBB715_208:                            ; =>This Inner Loop Header: Depth=1
	s_or_b64 s[46:47], s[46:47], exec
	s_cmp_eq_u64 s[40:41], s[48:49]
	s_cbranch_scc0 .LBB715_206
; %bb.209:                              ;   in Loop: Header=BB715_208 Depth=1
                                        ; implicit-def: $vgpr16_vgpr17
                                        ; implicit-def: $vgpr20_vgpr21
	s_mov_b64 s[48:49], s[26:27]
	s_branch .LBB715_207
.LBB715_210:
	s_or_b64 exec, exec, s[44:45]
	v_cmp_gt_i64_e32 vcc, s[26:27], v[22:23]
	s_orn2_b64 s[40:41], vcc, exec
.LBB715_211:
	s_or_b64 exec, exec, s[42:43]
.LBB715_212:
	v_mul_lo_u32 v20, v13, s26
	v_mul_lo_u32 v21, v12, s27
	v_mad_u64_u32 v[16:17], s[42:43], v12, s26, 0
	v_add3_u32 v17, v17, v21, v20
	s_and_b64 vcc, exec, s[4:5]
	v_lshl_add_u64 v[16:17], v[16:17], 1, s[28:29]
	s_cbranch_vccnz .LBB715_221
; %bb.213:
	global_load_ushort v20, v[16:17], off
	global_load_ushort v21, v[18:19], off
	s_mov_b64 s[38:39], -1
	s_waitcnt vmcnt(0)
	v_cmp_eq_u16_e32 vcc, v20, v21
	s_and_saveexec_b64 s[42:43], vcc
	s_cbranch_execz .LBB715_220
; %bb.214:
	s_add_u32 s38, s26, -1
	v_lshl_add_u64 v[18:19], v[18:19], 0, 2
	v_lshl_add_u64 v[20:21], v[16:17], 0, 2
	s_addc_u32 s39, s27, -1
	s_mov_b64 s[44:45], 0
	s_mov_b64 s[48:49], 0
                                        ; implicit-def: $sgpr46_sgpr47
	s_branch .LBB715_217
.LBB715_215:                            ;   in Loop: Header=BB715_217 Depth=1
	global_load_ushort v22, v[20:21], off
	global_load_ushort v23, v[18:19], off
	s_add_u32 s48, s48, 1
	s_addc_u32 s49, s49, 0
	s_andn2_b64 s[46:47], s[46:47], exec
	v_lshl_add_u64 v[18:19], v[18:19], 0, 2
	v_lshl_add_u64 v[20:21], v[20:21], 0, 2
	s_waitcnt vmcnt(0)
	v_cmp_ne_u16_e32 vcc, v22, v23
	s_and_b64 s[50:51], vcc, exec
	s_or_b64 s[46:47], s[46:47], s[50:51]
.LBB715_216:                            ;   in Loop: Header=BB715_217 Depth=1
	s_and_b64 s[50:51], exec, s[46:47]
	s_or_b64 s[44:45], s[50:51], s[44:45]
	v_mov_b64_e32 v[22:23], s[48:49]
	s_andn2_b64 exec, exec, s[44:45]
	s_cbranch_execz .LBB715_219
.LBB715_217:                            ; =>This Inner Loop Header: Depth=1
	s_or_b64 s[46:47], s[46:47], exec
	s_cmp_eq_u64 s[38:39], s[48:49]
	s_cbranch_scc0 .LBB715_215
; %bb.218:                              ;   in Loop: Header=BB715_217 Depth=1
                                        ; implicit-def: $vgpr18_vgpr19
                                        ; implicit-def: $vgpr20_vgpr21
	s_mov_b64 s[48:49], s[26:27]
	s_branch .LBB715_216
.LBB715_219:
	s_or_b64 exec, exec, s[44:45]
	v_cmp_gt_i64_e32 vcc, s[26:27], v[22:23]
	s_orn2_b64 s[38:39], vcc, exec
.LBB715_220:
	s_or_b64 exec, exec, s[42:43]
.LBB715_221:
	v_mul_lo_u32 v20, v11, s26
	v_mul_lo_u32 v21, v10, s27
	v_mad_u64_u32 v[18:19], s[42:43], v10, s26, 0
	v_add3_u32 v19, v19, v21, v20
	s_and_b64 vcc, exec, s[4:5]
	s_mov_b64 s[44:45], 0
	s_cbranch_vccnz .LBB715_230
; %bb.222:
	v_lshl_add_u64 v[20:21], v[18:19], 1, s[28:29]
	global_load_ushort v22, v[20:21], off
	global_load_ushort v23, v[16:17], off
	s_mov_b64 s[44:45], -1
	s_waitcnt vmcnt(0)
	v_cmp_eq_u16_e32 vcc, v22, v23
	s_and_saveexec_b64 s[42:43], vcc
	s_cbranch_execz .LBB715_229
; %bb.223:
	s_add_u32 s44, s26, -1
	v_lshl_add_u64 v[16:17], v[16:17], 0, 2
	v_lshl_add_u64 v[20:21], v[20:21], 0, 2
	s_addc_u32 s45, s27, -1
	s_mov_b64 s[46:47], 0
	s_mov_b64 s[50:51], 0
                                        ; implicit-def: $sgpr48_sgpr49
	s_branch .LBB715_226
.LBB715_224:                            ;   in Loop: Header=BB715_226 Depth=1
	global_load_ushort v22, v[20:21], off
	global_load_ushort v23, v[16:17], off
	s_add_u32 s50, s50, 1
	s_addc_u32 s51, s51, 0
	s_andn2_b64 s[48:49], s[48:49], exec
	v_lshl_add_u64 v[16:17], v[16:17], 0, 2
	v_lshl_add_u64 v[20:21], v[20:21], 0, 2
	s_waitcnt vmcnt(0)
	v_cmp_ne_u16_e32 vcc, v22, v23
	s_and_b64 s[54:55], vcc, exec
	s_or_b64 s[48:49], s[48:49], s[54:55]
.LBB715_225:                            ;   in Loop: Header=BB715_226 Depth=1
	s_and_b64 s[54:55], exec, s[48:49]
	s_or_b64 s[46:47], s[54:55], s[46:47]
	v_mov_b64_e32 v[22:23], s[50:51]
	s_andn2_b64 exec, exec, s[46:47]
	s_cbranch_execz .LBB715_228
.LBB715_226:                            ; =>This Inner Loop Header: Depth=1
	s_or_b64 s[48:49], s[48:49], exec
	s_cmp_eq_u64 s[44:45], s[50:51]
	s_cbranch_scc0 .LBB715_224
; %bb.227:                              ;   in Loop: Header=BB715_226 Depth=1
                                        ; implicit-def: $vgpr16_vgpr17
                                        ; implicit-def: $vgpr20_vgpr21
	s_mov_b64 s[50:51], s[26:27]
	s_branch .LBB715_225
.LBB715_228:
	s_or_b64 exec, exec, s[46:47]
	v_cmp_gt_i64_e32 vcc, s[26:27], v[22:23]
	s_orn2_b64 s[44:45], vcc, exec
.LBB715_229:
	s_or_b64 exec, exec, s[42:43]
.LBB715_230:
	v_cndmask_b32_e64 v17, 0, 1, s[40:41]
	v_cndmask_b32_e64 v16, 0, 1, s[38:39]
	;; [unrolled: 1-line block ×3, first 2 shown]
	v_lshlrev_b16_e32 v17, 8, v17
	v_cndmask_b32_e64 v25, 0, 1, s[12:13]
	v_cndmask_b32_e64 v20, 0, 1, s[44:45]
	v_or_b32_sdwa v16, v16, v17 dst_sel:WORD_1 dst_unused:UNUSED_PAD src0_sel:DWORD src1_sel:DWORD
	v_lshlrev_b16_e32 v17, 8, v34
	v_lshlrev_b16_e32 v20, 8, v20
	v_or_b32_e32 v17, v25, v17
	v_or_b32_e32 v20, 1, v20
	v_and_b32_e32 v17, 0xffff, v17
	v_cndmask_b32_e64 v35, 0, 1, s[10:11]
	v_or_b32_sdwa v16, v20, v16 dst_sel:DWORD dst_unused:UNUSED_PAD src0_sel:WORD_0 src1_sel:DWORD
	v_lshl_or_b32 v17, v35, 16, v17
	s_waitcnt lgkmcnt(0)
	s_barrier
	s_waitcnt lgkmcnt(0)
                                        ; implicit-def: $sgpr12_sgpr13
                                        ; implicit-def: $vgpr20
	s_and_saveexec_b64 s[10:11], s[2:3]
	s_xor_b64 s[10:11], exec, s[10:11]
	s_cbranch_execz .LBB715_241
; %bb.231:
	s_mov_b32 s42, 0x3020104
	s_and_b64 vcc, exec, s[4:5]
	s_mov_b64 s[12:13], 0
	s_cbranch_vccnz .LBB715_240
; %bb.232:
	v_add_u32_e32 v17, -8, v24
	ds_read_b64 v[20:21], v17
	v_lshl_add_u64 v[18:19], v[18:19], 1, s[28:29]
	s_mov_b64 s[12:13], -1
	s_waitcnt lgkmcnt(0)
	v_mul_lo_u32 v17, v21, s26
	v_mul_lo_u32 v22, v20, s27
	v_mad_u64_u32 v[20:21], s[4:5], v20, s26, 0
	v_add3_u32 v21, v21, v22, v17
	v_lshl_add_u64 v[20:21], v[20:21], 1, s[28:29]
	global_load_ushort v17, v[20:21], off
	global_load_ushort v22, v[18:19], off
	s_waitcnt vmcnt(0)
	v_cmp_eq_u16_e32 vcc, v17, v22
	s_and_saveexec_b64 s[4:5], vcc
	s_cbranch_execz .LBB715_239
; %bb.233:
	s_add_u32 s12, s26, -1
	v_lshl_add_u64 v[18:19], v[18:19], 0, 2
	v_lshl_add_u64 v[20:21], v[20:21], 0, 2
	s_addc_u32 s13, s27, -1
	s_mov_b64 s[14:15], 0
	s_mov_b64 s[40:41], 0
                                        ; implicit-def: $sgpr38_sgpr39
	s_branch .LBB715_236
.LBB715_234:                            ;   in Loop: Header=BB715_236 Depth=1
	global_load_ushort v17, v[20:21], off
	global_load_ushort v22, v[18:19], off
	s_add_u32 s40, s40, 1
	s_addc_u32 s41, s41, 0
	s_andn2_b64 s[38:39], s[38:39], exec
	v_lshl_add_u64 v[18:19], v[18:19], 0, 2
	v_lshl_add_u64 v[20:21], v[20:21], 0, 2
	s_waitcnt vmcnt(0)
	v_cmp_ne_u16_e32 vcc, v17, v22
	s_and_b64 s[44:45], vcc, exec
	s_or_b64 s[38:39], s[38:39], s[44:45]
.LBB715_235:                            ;   in Loop: Header=BB715_236 Depth=1
	s_and_b64 s[44:45], exec, s[38:39]
	s_or_b64 s[14:15], s[44:45], s[14:15]
	v_mov_b64_e32 v[22:23], s[40:41]
	s_andn2_b64 exec, exec, s[14:15]
	s_cbranch_execz .LBB715_238
.LBB715_236:                            ; =>This Inner Loop Header: Depth=1
	s_or_b64 s[38:39], s[38:39], exec
	s_cmp_eq_u64 s[12:13], s[40:41]
	s_cbranch_scc0 .LBB715_234
; %bb.237:                              ;   in Loop: Header=BB715_236 Depth=1
                                        ; implicit-def: $vgpr18_vgpr19
                                        ; implicit-def: $vgpr20_vgpr21
	s_mov_b64 s[40:41], s[26:27]
	s_branch .LBB715_235
.LBB715_238:
	s_or_b64 exec, exec, s[14:15]
	v_cmp_gt_i64_e32 vcc, s[26:27], v[22:23]
	s_orn2_b64 s[12:13], vcc, exec
.LBB715_239:
	s_or_b64 exec, exec, s[4:5]
.LBB715_240:
	v_perm_b32 v20, v16, v16, s42
	s_and_b64 s[12:13], s[12:13], exec
	s_or_b64 s[8:9], s[8:9], exec
                                        ; implicit-def: $vgpr16_vgpr17
.LBB715_241:
	s_or_b64 exec, exec, s[10:11]
	s_branch .LBB715_322
.LBB715_242:
	v_cmp_gt_u32_e32 vcc, s52, v29
	s_mov_b64 s[10:11], 0
	s_mov_b64 s[4:5], 0
	s_and_saveexec_b64 s[12:13], vcc
	s_cbranch_execz .LBB715_253
; %bb.243:
	s_andn2_b64 vcc, exec, s[6:7]
	s_mov_b64 s[14:15], 0
	s_cbranch_vccnz .LBB715_252
; %bb.244:
	v_mul_lo_u32 v18, v5, s26
	v_mul_lo_u32 v19, v4, s27
	s_waitcnt vmcnt(0) lgkmcnt(1)
	v_mad_u64_u32 v[16:17], s[4:5], v4, s26, 0
	v_add3_u32 v17, v17, v19, v18
	v_mul_lo_u32 v18, v15, s26
	v_mul_lo_u32 v19, v14, s27
	v_mad_u64_u32 v[20:21], s[4:5], v14, s26, 0
	v_add3_u32 v21, v21, v19, v18
	v_lshl_add_u64 v[18:19], v[16:17], 1, s[28:29]
	v_lshl_add_u64 v[16:17], v[20:21], 1, s[28:29]
	global_load_ushort v20, v[18:19], off
	global_load_ushort v21, v[16:17], off
	s_mov_b64 s[14:15], -1
	s_waitcnt vmcnt(0)
	v_cmp_eq_u16_e32 vcc, v20, v21
	s_and_saveexec_b64 s[4:5], vcc
	s_cbranch_execz .LBB715_251
; %bb.245:
	s_add_u32 s14, s26, -1
	v_lshl_add_u64 v[16:17], v[16:17], 0, 2
	v_lshl_add_u64 v[18:19], v[18:19], 0, 2
	s_addc_u32 s15, s27, -1
	s_mov_b64 s[38:39], 0
	s_mov_b64 s[42:43], 0
                                        ; implicit-def: $sgpr40_sgpr41
	s_branch .LBB715_248
.LBB715_246:                            ;   in Loop: Header=BB715_248 Depth=1
	global_load_ushort v20, v[18:19], off
	global_load_ushort v21, v[16:17], off
	s_add_u32 s42, s42, 1
	s_addc_u32 s43, s43, 0
	s_andn2_b64 s[40:41], s[40:41], exec
	v_lshl_add_u64 v[16:17], v[16:17], 0, 2
	v_lshl_add_u64 v[18:19], v[18:19], 0, 2
	s_waitcnt vmcnt(0)
	v_cmp_ne_u16_e32 vcc, v20, v21
	s_and_b64 s[44:45], vcc, exec
	s_or_b64 s[40:41], s[40:41], s[44:45]
.LBB715_247:                            ;   in Loop: Header=BB715_248 Depth=1
	s_and_b64 s[44:45], exec, s[40:41]
	s_or_b64 s[38:39], s[44:45], s[38:39]
	v_mov_b64_e32 v[20:21], s[42:43]
	s_andn2_b64 exec, exec, s[38:39]
	s_cbranch_execz .LBB715_250
.LBB715_248:                            ; =>This Inner Loop Header: Depth=1
	s_or_b64 s[40:41], s[40:41], exec
	s_cmp_eq_u64 s[14:15], s[42:43]
	s_cbranch_scc0 .LBB715_246
; %bb.249:                              ;   in Loop: Header=BB715_248 Depth=1
                                        ; implicit-def: $vgpr16_vgpr17
                                        ; implicit-def: $vgpr18_vgpr19
	s_mov_b64 s[42:43], s[26:27]
	s_branch .LBB715_247
.LBB715_250:
	s_or_b64 exec, exec, s[38:39]
	v_cmp_gt_i64_e32 vcc, s[26:27], v[20:21]
	s_orn2_b64 s[14:15], vcc, exec
.LBB715_251:
	s_or_b64 exec, exec, s[4:5]
.LBB715_252:
	s_and_b64 s[4:5], s[14:15], exec
.LBB715_253:
	s_or_b64 exec, exec, s[12:13]
	v_cmp_gt_u32_e32 vcc, s52, v31
	s_and_saveexec_b64 s[12:13], vcc
	s_cbranch_execz .LBB715_264
; %bb.254:
	s_andn2_b64 vcc, exec, s[6:7]
	s_mov_b64 s[14:15], 0
	s_cbranch_vccnz .LBB715_263
; %bb.255:
	v_mul_lo_u32 v18, v3, s26
	v_mul_lo_u32 v19, v2, s27
	s_waitcnt vmcnt(0) lgkmcnt(1)
	v_mad_u64_u32 v[16:17], s[10:11], v2, s26, 0
	v_add3_u32 v17, v17, v19, v18
	v_mul_lo_u32 v18, v5, s26
	v_mul_lo_u32 v19, v4, s27
	v_mad_u64_u32 v[20:21], s[10:11], v4, s26, 0
	v_add3_u32 v21, v21, v19, v18
	v_lshl_add_u64 v[18:19], v[16:17], 1, s[28:29]
	v_lshl_add_u64 v[16:17], v[20:21], 1, s[28:29]
	global_load_ushort v20, v[18:19], off
	global_load_ushort v21, v[16:17], off
	s_mov_b64 s[14:15], -1
	s_waitcnt vmcnt(0)
	v_cmp_eq_u16_e32 vcc, v20, v21
	s_and_saveexec_b64 s[10:11], vcc
	s_cbranch_execz .LBB715_262
; %bb.256:
	s_add_u32 s14, s26, -1
	v_lshl_add_u64 v[16:17], v[16:17], 0, 2
	v_lshl_add_u64 v[18:19], v[18:19], 0, 2
	s_addc_u32 s15, s27, -1
	s_mov_b64 s[38:39], 0
	s_mov_b64 s[42:43], 0
                                        ; implicit-def: $sgpr40_sgpr41
	s_branch .LBB715_259
.LBB715_257:                            ;   in Loop: Header=BB715_259 Depth=1
	global_load_ushort v20, v[18:19], off
	global_load_ushort v21, v[16:17], off
	s_add_u32 s42, s42, 1
	s_addc_u32 s43, s43, 0
	s_andn2_b64 s[40:41], s[40:41], exec
	v_lshl_add_u64 v[16:17], v[16:17], 0, 2
	v_lshl_add_u64 v[18:19], v[18:19], 0, 2
	s_waitcnt vmcnt(0)
	v_cmp_ne_u16_e32 vcc, v20, v21
	s_and_b64 s[44:45], vcc, exec
	s_or_b64 s[40:41], s[40:41], s[44:45]
.LBB715_258:                            ;   in Loop: Header=BB715_259 Depth=1
	s_and_b64 s[44:45], exec, s[40:41]
	s_or_b64 s[38:39], s[44:45], s[38:39]
	v_mov_b64_e32 v[20:21], s[42:43]
	s_andn2_b64 exec, exec, s[38:39]
	s_cbranch_execz .LBB715_261
.LBB715_259:                            ; =>This Inner Loop Header: Depth=1
	s_or_b64 s[40:41], s[40:41], exec
	s_cmp_eq_u64 s[14:15], s[42:43]
	s_cbranch_scc0 .LBB715_257
; %bb.260:                              ;   in Loop: Header=BB715_259 Depth=1
                                        ; implicit-def: $vgpr16_vgpr17
                                        ; implicit-def: $vgpr18_vgpr19
	s_mov_b64 s[42:43], s[26:27]
	s_branch .LBB715_258
.LBB715_261:
	s_or_b64 exec, exec, s[38:39]
	v_cmp_gt_i64_e32 vcc, s[26:27], v[20:21]
	s_orn2_b64 s[14:15], vcc, exec
.LBB715_262:
	s_or_b64 exec, exec, s[10:11]
.LBB715_263:
	s_and_b64 s[10:11], s[14:15], exec
.LBB715_264:
	s_or_b64 exec, exec, s[12:13]
	v_cmp_gt_u32_e32 vcc, s52, v28
	s_mov_b64 s[14:15], 0
	s_mov_b64 s[12:13], 0
	s_and_saveexec_b64 s[38:39], vcc
	s_cbranch_execz .LBB715_275
; %bb.265:
	s_andn2_b64 vcc, exec, s[6:7]
	s_mov_b64 s[40:41], 0
	s_cbranch_vccnz .LBB715_274
; %bb.266:
	v_mul_lo_u32 v18, v9, s26
	v_mul_lo_u32 v19, v8, s27
	s_waitcnt vmcnt(0) lgkmcnt(1)
	v_mad_u64_u32 v[16:17], s[12:13], v8, s26, 0
	v_add3_u32 v17, v17, v19, v18
	v_mul_lo_u32 v18, v3, s26
	v_mul_lo_u32 v19, v2, s27
	v_mad_u64_u32 v[20:21], s[12:13], v2, s26, 0
	v_add3_u32 v21, v21, v19, v18
	v_lshl_add_u64 v[18:19], v[16:17], 1, s[28:29]
	v_lshl_add_u64 v[16:17], v[20:21], 1, s[28:29]
	global_load_ushort v20, v[18:19], off
	global_load_ushort v21, v[16:17], off
	s_mov_b64 s[40:41], -1
	s_waitcnt vmcnt(0)
	v_cmp_eq_u16_e32 vcc, v20, v21
	s_and_saveexec_b64 s[12:13], vcc
	s_cbranch_execz .LBB715_273
; %bb.267:
	s_add_u32 s40, s26, -1
	v_lshl_add_u64 v[16:17], v[16:17], 0, 2
	v_lshl_add_u64 v[18:19], v[18:19], 0, 2
	s_addc_u32 s41, s27, -1
	s_mov_b64 s[42:43], 0
	s_mov_b64 s[46:47], 0
                                        ; implicit-def: $sgpr44_sgpr45
	s_branch .LBB715_270
.LBB715_268:                            ;   in Loop: Header=BB715_270 Depth=1
	global_load_ushort v20, v[18:19], off
	global_load_ushort v21, v[16:17], off
	s_add_u32 s46, s46, 1
	s_addc_u32 s47, s47, 0
	s_andn2_b64 s[44:45], s[44:45], exec
	v_lshl_add_u64 v[16:17], v[16:17], 0, 2
	v_lshl_add_u64 v[18:19], v[18:19], 0, 2
	s_waitcnt vmcnt(0)
	v_cmp_ne_u16_e32 vcc, v20, v21
	s_and_b64 s[48:49], vcc, exec
	s_or_b64 s[44:45], s[44:45], s[48:49]
.LBB715_269:                            ;   in Loop: Header=BB715_270 Depth=1
	s_and_b64 s[48:49], exec, s[44:45]
	s_or_b64 s[42:43], s[48:49], s[42:43]
	v_mov_b64_e32 v[20:21], s[46:47]
	s_andn2_b64 exec, exec, s[42:43]
	s_cbranch_execz .LBB715_272
.LBB715_270:                            ; =>This Inner Loop Header: Depth=1
	s_or_b64 s[44:45], s[44:45], exec
	s_cmp_eq_u64 s[40:41], s[46:47]
	s_cbranch_scc0 .LBB715_268
; %bb.271:                              ;   in Loop: Header=BB715_270 Depth=1
                                        ; implicit-def: $vgpr16_vgpr17
                                        ; implicit-def: $vgpr18_vgpr19
	s_mov_b64 s[46:47], s[26:27]
	s_branch .LBB715_269
.LBB715_272:
	s_or_b64 exec, exec, s[42:43]
	v_cmp_gt_i64_e32 vcc, s[26:27], v[20:21]
	s_orn2_b64 s[40:41], vcc, exec
.LBB715_273:
	s_or_b64 exec, exec, s[12:13]
.LBB715_274:
	s_and_b64 s[12:13], s[40:41], exec
.LBB715_275:
	s_or_b64 exec, exec, s[38:39]
	v_cmp_gt_u32_e32 vcc, s52, v30
	s_and_saveexec_b64 s[38:39], vcc
	s_cbranch_execz .LBB715_286
; %bb.276:
	s_andn2_b64 vcc, exec, s[6:7]
	s_mov_b64 s[40:41], 0
	s_cbranch_vccnz .LBB715_285
; %bb.277:
	v_mul_lo_u32 v18, v7, s26
	v_mul_lo_u32 v19, v6, s27
	s_waitcnt vmcnt(0) lgkmcnt(1)
	v_mad_u64_u32 v[16:17], s[14:15], v6, s26, 0
	v_add3_u32 v17, v17, v19, v18
	v_mul_lo_u32 v18, v9, s26
	v_mul_lo_u32 v19, v8, s27
	v_mad_u64_u32 v[20:21], s[14:15], v8, s26, 0
	v_add3_u32 v21, v21, v19, v18
	v_lshl_add_u64 v[18:19], v[16:17], 1, s[28:29]
	v_lshl_add_u64 v[16:17], v[20:21], 1, s[28:29]
	global_load_ushort v20, v[18:19], off
	global_load_ushort v21, v[16:17], off
	s_mov_b64 s[40:41], -1
	s_waitcnt vmcnt(0)
	v_cmp_eq_u16_e32 vcc, v20, v21
	s_and_saveexec_b64 s[14:15], vcc
	s_cbranch_execz .LBB715_284
; %bb.278:
	s_add_u32 s40, s26, -1
	v_lshl_add_u64 v[16:17], v[16:17], 0, 2
	v_lshl_add_u64 v[18:19], v[18:19], 0, 2
	s_addc_u32 s41, s27, -1
	s_mov_b64 s[42:43], 0
	s_mov_b64 s[46:47], 0
                                        ; implicit-def: $sgpr44_sgpr45
	s_branch .LBB715_281
.LBB715_279:                            ;   in Loop: Header=BB715_281 Depth=1
	global_load_ushort v20, v[18:19], off
	global_load_ushort v21, v[16:17], off
	s_add_u32 s46, s46, 1
	s_addc_u32 s47, s47, 0
	s_andn2_b64 s[44:45], s[44:45], exec
	v_lshl_add_u64 v[16:17], v[16:17], 0, 2
	v_lshl_add_u64 v[18:19], v[18:19], 0, 2
	s_waitcnt vmcnt(0)
	v_cmp_ne_u16_e32 vcc, v20, v21
	s_and_b64 s[48:49], vcc, exec
	s_or_b64 s[44:45], s[44:45], s[48:49]
.LBB715_280:                            ;   in Loop: Header=BB715_281 Depth=1
	s_and_b64 s[48:49], exec, s[44:45]
	s_or_b64 s[42:43], s[48:49], s[42:43]
	v_mov_b64_e32 v[20:21], s[46:47]
	s_andn2_b64 exec, exec, s[42:43]
	s_cbranch_execz .LBB715_283
.LBB715_281:                            ; =>This Inner Loop Header: Depth=1
	s_or_b64 s[44:45], s[44:45], exec
	s_cmp_eq_u64 s[40:41], s[46:47]
	s_cbranch_scc0 .LBB715_279
; %bb.282:                              ;   in Loop: Header=BB715_281 Depth=1
                                        ; implicit-def: $vgpr16_vgpr17
                                        ; implicit-def: $vgpr18_vgpr19
	s_mov_b64 s[46:47], s[26:27]
	s_branch .LBB715_280
.LBB715_283:
	s_or_b64 exec, exec, s[42:43]
	v_cmp_gt_i64_e32 vcc, s[26:27], v[20:21]
	s_orn2_b64 s[40:41], vcc, exec
.LBB715_284:
	s_or_b64 exec, exec, s[14:15]
.LBB715_285:
	s_and_b64 s[14:15], s[40:41], exec
.LBB715_286:
	s_or_b64 exec, exec, s[38:39]
	v_cmp_gt_u32_e32 vcc, s52, v26
	s_mov_b64 s[38:39], 0
	s_mov_b64 s[40:41], 0
	s_and_saveexec_b64 s[42:43], vcc
	s_cbranch_execz .LBB715_297
; %bb.287:
	s_andn2_b64 vcc, exec, s[6:7]
	s_mov_b64 s[44:45], 0
	s_cbranch_vccnz .LBB715_296
; %bb.288:
	v_mul_lo_u32 v18, v13, s26
	v_mul_lo_u32 v19, v12, s27
	s_waitcnt vmcnt(0) lgkmcnt(1)
	v_mad_u64_u32 v[16:17], s[40:41], v12, s26, 0
	v_add3_u32 v17, v17, v19, v18
	v_mul_lo_u32 v18, v7, s26
	v_mul_lo_u32 v19, v6, s27
	v_mad_u64_u32 v[20:21], s[40:41], v6, s26, 0
	v_add3_u32 v21, v21, v19, v18
	v_lshl_add_u64 v[18:19], v[16:17], 1, s[28:29]
	v_lshl_add_u64 v[16:17], v[20:21], 1, s[28:29]
	global_load_ushort v20, v[18:19], off
	global_load_ushort v21, v[16:17], off
	s_mov_b64 s[44:45], -1
	s_waitcnt vmcnt(0)
	v_cmp_eq_u16_e32 vcc, v20, v21
	s_and_saveexec_b64 s[40:41], vcc
	s_cbranch_execz .LBB715_295
; %bb.289:
	s_add_u32 s44, s26, -1
	v_lshl_add_u64 v[16:17], v[16:17], 0, 2
	v_lshl_add_u64 v[18:19], v[18:19], 0, 2
	s_addc_u32 s45, s27, -1
	s_mov_b64 s[46:47], 0
	s_mov_b64 s[50:51], 0
                                        ; implicit-def: $sgpr48_sgpr49
	s_branch .LBB715_292
.LBB715_290:                            ;   in Loop: Header=BB715_292 Depth=1
	global_load_ushort v20, v[18:19], off
	global_load_ushort v21, v[16:17], off
	s_add_u32 s50, s50, 1
	s_addc_u32 s51, s51, 0
	s_andn2_b64 s[48:49], s[48:49], exec
	v_lshl_add_u64 v[16:17], v[16:17], 0, 2
	v_lshl_add_u64 v[18:19], v[18:19], 0, 2
	s_waitcnt vmcnt(0)
	v_cmp_ne_u16_e32 vcc, v20, v21
	s_and_b64 s[54:55], vcc, exec
	s_or_b64 s[48:49], s[48:49], s[54:55]
.LBB715_291:                            ;   in Loop: Header=BB715_292 Depth=1
	s_and_b64 s[54:55], exec, s[48:49]
	s_or_b64 s[46:47], s[54:55], s[46:47]
	v_mov_b64_e32 v[20:21], s[50:51]
	s_andn2_b64 exec, exec, s[46:47]
	s_cbranch_execz .LBB715_294
.LBB715_292:                            ; =>This Inner Loop Header: Depth=1
	s_or_b64 s[48:49], s[48:49], exec
	s_cmp_eq_u64 s[44:45], s[50:51]
	s_cbranch_scc0 .LBB715_290
; %bb.293:                              ;   in Loop: Header=BB715_292 Depth=1
                                        ; implicit-def: $vgpr16_vgpr17
                                        ; implicit-def: $vgpr18_vgpr19
	s_mov_b64 s[50:51], s[26:27]
	s_branch .LBB715_291
.LBB715_294:
	s_or_b64 exec, exec, s[46:47]
	v_cmp_gt_i64_e32 vcc, s[26:27], v[20:21]
	s_orn2_b64 s[44:45], vcc, exec
.LBB715_295:
	s_or_b64 exec, exec, s[40:41]
.LBB715_296:
	s_and_b64 s[40:41], s[44:45], exec
.LBB715_297:
	s_or_b64 exec, exec, s[42:43]
	v_cmp_gt_u32_e32 vcc, s52, v27
	s_and_saveexec_b64 s[42:43], vcc
	s_cbranch_execz .LBB715_308
; %bb.298:
	s_andn2_b64 vcc, exec, s[6:7]
	s_mov_b64 s[44:45], 0
	s_cbranch_vccnz .LBB715_307
; %bb.299:
	v_mul_lo_u32 v18, v11, s26
	v_mul_lo_u32 v19, v10, s27
	s_waitcnt vmcnt(0) lgkmcnt(1)
	v_mad_u64_u32 v[16:17], s[38:39], v10, s26, 0
	v_add3_u32 v17, v17, v19, v18
	v_mul_lo_u32 v18, v13, s26
	v_mul_lo_u32 v19, v12, s27
	v_mad_u64_u32 v[20:21], s[38:39], v12, s26, 0
	v_add3_u32 v21, v21, v19, v18
	v_lshl_add_u64 v[18:19], v[16:17], 1, s[28:29]
	v_lshl_add_u64 v[16:17], v[20:21], 1, s[28:29]
	global_load_ushort v20, v[18:19], off
	global_load_ushort v21, v[16:17], off
	s_mov_b64 s[44:45], -1
	s_waitcnt vmcnt(0)
	v_cmp_eq_u16_e32 vcc, v20, v21
	s_and_saveexec_b64 s[38:39], vcc
	s_cbranch_execz .LBB715_306
; %bb.300:
	s_add_u32 s44, s26, -1
	v_lshl_add_u64 v[16:17], v[16:17], 0, 2
	v_lshl_add_u64 v[18:19], v[18:19], 0, 2
	s_addc_u32 s45, s27, -1
	s_mov_b64 s[46:47], 0
	s_mov_b64 s[50:51], 0
                                        ; implicit-def: $sgpr48_sgpr49
	s_branch .LBB715_303
.LBB715_301:                            ;   in Loop: Header=BB715_303 Depth=1
	global_load_ushort v20, v[18:19], off
	global_load_ushort v21, v[16:17], off
	s_add_u32 s50, s50, 1
	s_addc_u32 s51, s51, 0
	s_andn2_b64 s[48:49], s[48:49], exec
	v_lshl_add_u64 v[16:17], v[16:17], 0, 2
	v_lshl_add_u64 v[18:19], v[18:19], 0, 2
	s_waitcnt vmcnt(0)
	v_cmp_ne_u16_e32 vcc, v20, v21
	s_and_b64 s[54:55], vcc, exec
	s_or_b64 s[48:49], s[48:49], s[54:55]
.LBB715_302:                            ;   in Loop: Header=BB715_303 Depth=1
	s_and_b64 s[54:55], exec, s[48:49]
	s_or_b64 s[46:47], s[54:55], s[46:47]
	v_mov_b64_e32 v[20:21], s[50:51]
	s_andn2_b64 exec, exec, s[46:47]
	s_cbranch_execz .LBB715_305
.LBB715_303:                            ; =>This Inner Loop Header: Depth=1
	s_or_b64 s[48:49], s[48:49], exec
	s_cmp_eq_u64 s[44:45], s[50:51]
	s_cbranch_scc0 .LBB715_301
; %bb.304:                              ;   in Loop: Header=BB715_303 Depth=1
                                        ; implicit-def: $vgpr16_vgpr17
                                        ; implicit-def: $vgpr18_vgpr19
	s_mov_b64 s[50:51], s[26:27]
	s_branch .LBB715_302
.LBB715_305:
	s_or_b64 exec, exec, s[46:47]
	v_cmp_gt_i64_e32 vcc, s[26:27], v[20:21]
	s_orn2_b64 s[44:45], vcc, exec
.LBB715_306:
	s_or_b64 exec, exec, s[38:39]
.LBB715_307:
	s_and_b64 s[38:39], s[44:45], exec
.LBB715_308:
	s_or_b64 exec, exec, s[42:43]
	s_waitcnt vmcnt(0) lgkmcnt(1)
	v_cndmask_b32_e64 v17, 0, 1, s[14:15]
	v_cndmask_b32_e64 v16, 0, 1, s[40:41]
	;; [unrolled: 1-line block ×3, first 2 shown]
	v_lshlrev_b16_e32 v17, 8, v17
	v_cndmask_b32_e64 v25, 0, 1, s[12:13]
	v_cndmask_b32_e64 v18, 0, 1, s[38:39]
	v_or_b32_sdwa v16, v16, v17 dst_sel:WORD_1 dst_unused:UNUSED_PAD src0_sel:DWORD src1_sel:DWORD
	v_lshlrev_b16_e32 v17, 8, v34
	v_lshlrev_b16_e32 v18, 8, v18
	v_or_b32_e32 v17, v25, v17
	v_or_b32_e32 v18, 1, v18
	v_and_b32_e32 v17, 0xffff, v17
	v_cndmask_b32_e64 v35, 0, 1, s[4:5]
	v_or_b32_sdwa v16, v18, v16 dst_sel:DWORD dst_unused:UNUSED_PAD src0_sel:WORD_0 src1_sel:DWORD
	v_lshl_or_b32 v17, v35, 16, v17
	s_waitcnt lgkmcnt(0)
	s_barrier
	s_waitcnt lgkmcnt(0)
                                        ; implicit-def: $sgpr12_sgpr13
                                        ; implicit-def: $vgpr20
	s_and_saveexec_b64 s[4:5], s[2:3]
	s_cbranch_execz .LBB715_321
; %bb.309:
	v_cmp_gt_u32_e32 vcc, s52, v1
	s_mov_b32 s38, 0x3020104
	s_mov_b64 s[10:11], 0
	s_and_saveexec_b64 s[2:3], vcc
	s_cbranch_execz .LBB715_320
; %bb.310:
	s_andn2_b64 vcc, exec, s[6:7]
	s_cbranch_vccnz .LBB715_319
; %bb.311:
	v_add_u32_e32 v17, -8, v24
	ds_read_b64 v[18:19], v17
	v_mul_lo_u32 v17, v11, s26
	v_mad_u64_u32 v[22:23], s[6:7], v10, s26, 0
	s_mov_b64 s[10:11], -1
	s_waitcnt lgkmcnt(0)
	v_mul_lo_u32 v20, v19, s26
	v_mul_lo_u32 v21, v18, s27
	v_mad_u64_u32 v[18:19], s[6:7], v18, s26, 0
	v_add3_u32 v19, v19, v21, v20
	v_mul_lo_u32 v20, v10, s27
	v_add3_u32 v23, v23, v20, v17
	v_lshl_add_u64 v[20:21], v[18:19], 1, s[28:29]
	v_lshl_add_u64 v[18:19], v[22:23], 1, s[28:29]
	global_load_ushort v17, v[20:21], off
	global_load_ushort v22, v[18:19], off
	s_waitcnt vmcnt(0)
	v_cmp_eq_u16_e32 vcc, v17, v22
	s_and_saveexec_b64 s[6:7], vcc
	s_cbranch_execz .LBB715_318
; %bb.312:
	s_add_u32 s10, s26, -1
	v_lshl_add_u64 v[18:19], v[18:19], 0, 2
	v_lshl_add_u64 v[20:21], v[20:21], 0, 2
	s_addc_u32 s11, s27, -1
	s_mov_b64 s[12:13], 0
	s_mov_b64 s[28:29], 0
                                        ; implicit-def: $sgpr14_sgpr15
	s_branch .LBB715_315
.LBB715_313:                            ;   in Loop: Header=BB715_315 Depth=1
	global_load_ushort v17, v[20:21], off
	global_load_ushort v22, v[18:19], off
	s_add_u32 s28, s28, 1
	s_addc_u32 s29, s29, 0
	s_andn2_b64 s[14:15], s[14:15], exec
	v_lshl_add_u64 v[18:19], v[18:19], 0, 2
	v_lshl_add_u64 v[20:21], v[20:21], 0, 2
	s_waitcnt vmcnt(0)
	v_cmp_ne_u16_e32 vcc, v17, v22
	s_and_b64 s[40:41], vcc, exec
	s_or_b64 s[14:15], s[14:15], s[40:41]
.LBB715_314:                            ;   in Loop: Header=BB715_315 Depth=1
	s_and_b64 s[40:41], exec, s[14:15]
	s_or_b64 s[12:13], s[40:41], s[12:13]
	v_mov_b64_e32 v[22:23], s[28:29]
	s_andn2_b64 exec, exec, s[12:13]
	s_cbranch_execz .LBB715_317
.LBB715_315:                            ; =>This Inner Loop Header: Depth=1
	s_or_b64 s[14:15], s[14:15], exec
	s_cmp_eq_u64 s[10:11], s[28:29]
	s_cbranch_scc0 .LBB715_313
; %bb.316:                              ;   in Loop: Header=BB715_315 Depth=1
                                        ; implicit-def: $vgpr18_vgpr19
                                        ; implicit-def: $vgpr20_vgpr21
	s_mov_b64 s[28:29], s[26:27]
	s_branch .LBB715_314
.LBB715_317:
	s_or_b64 exec, exec, s[12:13]
	v_cmp_gt_i64_e32 vcc, s[26:27], v[22:23]
	s_orn2_b64 s[10:11], vcc, exec
.LBB715_318:
	s_or_b64 exec, exec, s[6:7]
.LBB715_319:
	s_and_b64 s[10:11], s[10:11], exec
.LBB715_320:
	s_or_b64 exec, exec, s[2:3]
	v_perm_b32 v20, v16, v16, s38
	s_and_b64 s[12:13], s[10:11], exec
	s_or_b64 s[8:9], s[8:9], exec
                                        ; implicit-def: $vgpr16_vgpr17
.LBB715_321:
	s_or_b64 exec, exec, s[4:5]
.LBB715_322:
	s_and_saveexec_b64 s[2:3], s[8:9]
	s_cbranch_execz .LBB715_324
; %bb.323:
	s_waitcnt vmcnt(0) lgkmcnt(0)
	v_lshlrev_b16_e32 v17, 8, v34
	v_and_b32_e32 v18, 0xff, v35
	v_or_b32_sdwa v17, v25, v17 dst_sel:DWORD dst_unused:UNUSED_PAD src0_sel:BYTE_0 src1_sel:DWORD
	v_lshlrev_b32_e32 v18, 16, v18
	s_movk_i32 s4, 0xff
	v_or_b32_sdwa v17, v17, v18 dst_sel:DWORD dst_unused:UNUSED_PAD src0_sel:WORD_0 src1_sel:DWORD
	v_lshrrev_b32_e32 v18, 24, v20
	v_lshlrev_b16_e32 v18, 8, v18
	v_and_b32_sdwa v19, v20, s4 dst_sel:DWORD dst_unused:UNUSED_PAD src0_sel:WORD_1 src1_sel:DWORD
	v_or_b32_sdwa v18, v19, v18 dst_sel:WORD_1 dst_unused:UNUSED_PAD src0_sel:DWORD src1_sel:DWORD
	v_mov_b32_e32 v19, 8
	v_cndmask_b32_e64 v16, 0, 1, s[12:13]
	v_lshrrev_b32_sdwa v19, v19, v20 dst_sel:BYTE_1 dst_unused:UNUSED_PAD src0_sel:DWORD src1_sel:DWORD
	s_nop 0
	v_or_b32_e32 v16, v16, v19
	v_or_b32_sdwa v16, v16, v18 dst_sel:DWORD dst_unused:UNUSED_PAD src0_sel:WORD_0 src1_sel:DWORD
.LBB715_324:
	s_or_b64 exec, exec, s[2:3]
	s_andn2_b64 vcc, exec, s[0:1]
	s_cbranch_vccnz .LBB715_326
; %bb.325:
	s_waitcnt vmcnt(0) lgkmcnt(0)
	v_and_b32_e32 v18, 0xffff0000, v16
	v_cmp_gt_u32_e32 vcc, s52, v1
	s_mov_b32 s0, 0x40c0100
	s_nop 0
	v_cndmask_b32_e32 v1, v18, v16, vcc
	v_and_b32_e32 v1, 0xffff00ff, v1
	v_cmp_gt_u32_e32 vcc, s52, v27
	s_nop 1
	v_cndmask_b32_e32 v1, v1, v16, vcc
	v_lshrrev_b32_e32 v18, 24, v1
	v_perm_b32 v1, v18, v1, s0
	v_cmp_gt_u32_e32 vcc, s52, v26
	v_and_b32_e32 v18, 0xffffff00, v17
	s_nop 0
	v_cndmask_b32_e32 v1, v1, v16, vcc
	v_and_b32_e32 v1, 0xffffff, v1
	v_cmp_gt_u32_e32 vcc, s52, v30
	s_nop 1
	v_cndmask_b32_e32 v1, v1, v16, vcc
	v_cmp_gt_u32_e32 vcc, s52, v28
	s_nop 1
	v_cndmask_b32_e32 v18, v18, v17, vcc
	v_and_b32_e32 v18, 0xffff00ff, v18
	v_cndmask_b32_e32 v1, v1, v16, vcc
	v_cmp_gt_u32_e32 vcc, s52, v31
	s_nop 1
	v_cndmask_b32_e32 v18, v18, v17, vcc
	v_lshrrev_b32_e32 v19, 24, v18
	v_cndmask_b32_e32 v1, v1, v16, vcc
	v_perm_b32 v18, v19, v18, s0
	v_cmp_gt_u32_e32 vcc, s52, v29
	s_mov_b32 s0, 0x3020104
	s_nop 0
	v_cndmask_b32_e32 v1, v1, v16, vcc
	v_cndmask_b32_e32 v16, v18, v17, vcc
	v_mov_b32_e32 v17, 8
	v_lshrrev_b32_sdwa v17, v17, v16 dst_sel:BYTE_1 dst_unused:UNUSED_PAD src0_sel:DWORD src1_sel:DWORD
	s_nop 0
	v_or_b32_sdwa v17, v16, v17 dst_sel:DWORD dst_unused:UNUSED_PAD src0_sel:BYTE_0 src1_sel:DWORD
	v_and_b32_e32 v17, 0xffff, v17
	v_bfe_u32 v16, v16, 16, 8
	v_lshl_or_b32 v17, v16, 16, v17
	v_perm_b32 v16, v1, v1, s0
.LBB715_326:
	s_waitcnt vmcnt(0) lgkmcnt(0)
	v_and_b32_e32 v1, 0xff, v16
	v_bfe_u32 v29, v16, 8, 8
	v_bfe_u32 v31, v16, 16, 8
	v_alignbit_b32 v18, v17, v16, 24
	v_and_b32_e32 v33, 0xff, v18
	v_and_b32_e32 v35, 0xff, v17
	v_add3_u32 v19, v29, v1, v31
	v_bfe_u32 v36, v17, 8, 8
	v_bfe_u32 v18, v17, 16, 8
	v_add3_u32 v19, v19, v33, v35
	v_add3_u32 v39, v19, v36, v18
	v_mbcnt_lo_u32_b32 v18, -1, 0
	v_mbcnt_hi_u32_b32 v37, -1, v18
	v_and_b32_e32 v18, 15, v37
	v_cmp_eq_u32_e64 s[14:15], 0, v18
	v_cmp_lt_u32_e64 s[12:13], 1, v18
	v_cmp_lt_u32_e64 s[10:11], 3, v18
	;; [unrolled: 1-line block ×3, first 2 shown]
	v_and_b32_e32 v18, 16, v37
	v_cmp_eq_u32_e64 s[6:7], 0, v18
	v_or_b32_e32 v18, 63, v0
	v_cmp_lt_u32_e64 s[2:3], 31, v37
	v_lshrrev_b32_e32 v38, 6, v0
	v_cmp_eq_u32_e64 s[4:5], v18, v0
	s_and_b64 vcc, exec, s[16:17]
	s_barrier
	s_cbranch_vccz .LBB715_353
; %bb.327:
	v_mov_b32_dpp v18, v39 row_shr:1 row_mask:0xf bank_mask:0xf
	v_cndmask_b32_e64 v18, v18, 0, s[14:15]
	v_add_u32_e32 v18, v18, v39
	s_nop 1
	v_mov_b32_dpp v19, v18 row_shr:2 row_mask:0xf bank_mask:0xf
	v_cndmask_b32_e64 v19, 0, v19, s[12:13]
	v_add_u32_e32 v18, v18, v19
	s_nop 1
	;; [unrolled: 4-line block ×4, first 2 shown]
	v_mov_b32_dpp v19, v18 row_bcast:15 row_mask:0xf bank_mask:0xf
	v_cndmask_b32_e64 v19, v19, 0, s[6:7]
	v_add_u32_e32 v18, v18, v19
	s_nop 1
	v_mov_b32_dpp v19, v18 row_bcast:31 row_mask:0xf bank_mask:0xf
	v_cndmask_b32_e64 v19, 0, v19, s[2:3]
	v_add_u32_e32 v18, v18, v19
	s_and_saveexec_b64 s[0:1], s[4:5]
	s_cbranch_execz .LBB715_329
; %bb.328:
	v_lshlrev_b32_e32 v19, 2, v38
	ds_write_b32 v19, v18
.LBB715_329:
	s_or_b64 exec, exec, s[0:1]
	v_cmp_gt_u32_e32 vcc, 8, v0
	s_waitcnt lgkmcnt(0)
	s_barrier
	s_and_saveexec_b64 s[0:1], vcc
	s_cbranch_execz .LBB715_331
; %bb.330:
	v_lshlrev_b32_e32 v19, 2, v0
	ds_read_b32 v20, v19
	v_and_b32_e32 v21, 7, v37
	v_cmp_ne_u32_e32 vcc, 0, v21
	s_waitcnt lgkmcnt(0)
	v_mov_b32_dpp v22, v20 row_shr:1 row_mask:0xf bank_mask:0xf
	v_cndmask_b32_e32 v22, 0, v22, vcc
	v_add_u32_e32 v20, v22, v20
	v_cmp_lt_u32_e32 vcc, 1, v21
	s_nop 0
	v_mov_b32_dpp v22, v20 row_shr:2 row_mask:0xf bank_mask:0xf
	v_cndmask_b32_e32 v22, 0, v22, vcc
	v_add_u32_e32 v20, v20, v22
	v_cmp_lt_u32_e32 vcc, 3, v21
	s_nop 0
	v_mov_b32_dpp v22, v20 row_shr:4 row_mask:0xf bank_mask:0xf
	v_cndmask_b32_e32 v21, 0, v22, vcc
	v_add_u32_e32 v20, v20, v21
	ds_write_b32 v19, v20
.LBB715_331:
	s_or_b64 exec, exec, s[0:1]
	v_cmp_gt_u32_e32 vcc, 64, v0
	v_cmp_lt_u32_e64 s[0:1], 63, v0
	s_waitcnt lgkmcnt(0)
	s_barrier
	s_waitcnt lgkmcnt(0)
                                        ; implicit-def: $vgpr28
	s_and_saveexec_b64 s[16:17], s[0:1]
	s_cbranch_execz .LBB715_333
; %bb.332:
	v_lshl_add_u32 v19, v38, 2, -4
	ds_read_b32 v28, v19
	s_waitcnt lgkmcnt(0)
	v_add_u32_e32 v18, v28, v18
.LBB715_333:
	s_or_b64 exec, exec, s[16:17]
	v_add_u32_e32 v19, -1, v37
	v_and_b32_e32 v20, 64, v37
	v_cmp_lt_i32_e64 s[0:1], v19, v20
	v_cmp_eq_u32_e64 s[16:17], 0, v37
	s_nop 0
	v_cndmask_b32_e64 v19, v19, v37, s[0:1]
	v_lshlrev_b32_e32 v19, 2, v19
	ds_bpermute_b32 v30, v19, v18
	s_and_saveexec_b64 s[0:1], vcc
	s_cbranch_execz .LBB715_352
; %bb.334:
	v_mov_b32_e32 v25, 0
	ds_read_b32 v18, v25 offset:28
	s_and_saveexec_b64 s[26:27], s[16:17]
	s_cbranch_execz .LBB715_336
; %bb.335:
	s_add_i32 s28, s33, 64
	s_mov_b32 s29, 0
	s_lshl_b64 s[28:29], s[28:29], 3
	s_add_u32 s28, s30, s28
	v_mov_b32_e32 v19, 1
	s_addc_u32 s29, s31, s29
	s_waitcnt lgkmcnt(0)
	global_store_dwordx2 v25, v[18:19], s[28:29] sc1
.LBB715_336:
	s_or_b64 exec, exec, s[26:27]
	v_xad_u32 v20, v37, -1, s33
	v_add_u32_e32 v24, 64, v20
	v_lshl_add_u64 v[26:27], v[24:25], 3, s[30:31]
	global_load_dwordx2 v[22:23], v[26:27], off sc1
	s_waitcnt vmcnt(0)
	v_cmp_eq_u16_sdwa s[28:29], v23, v25 src0_sel:BYTE_0 src1_sel:DWORD
	s_and_saveexec_b64 s[26:27], s[28:29]
	s_cbranch_execz .LBB715_340
; %bb.337:
	s_mov_b64 s[28:29], 0
	v_mov_b32_e32 v19, 0
.LBB715_338:                            ; =>This Inner Loop Header: Depth=1
	global_load_dwordx2 v[22:23], v[26:27], off sc1
	s_waitcnt vmcnt(0)
	v_cmp_ne_u16_sdwa s[38:39], v23, v19 src0_sel:BYTE_0 src1_sel:DWORD
	s_or_b64 s[28:29], s[38:39], s[28:29]
	s_andn2_b64 exec, exec, s[28:29]
	s_cbranch_execnz .LBB715_338
; %bb.339:
	s_or_b64 exec, exec, s[28:29]
.LBB715_340:
	s_or_b64 exec, exec, s[26:27]
	v_and_b32_e32 v32, 63, v37
	v_mov_b32_e32 v19, 2
	v_cmp_ne_u32_e32 vcc, 63, v32
	v_cmp_eq_u16_sdwa s[26:27], v23, v19 src0_sel:BYTE_0 src1_sel:DWORD
	v_lshlrev_b64 v[24:25], v37, -1
	v_addc_co_u32_e32 v27, vcc, 0, v37, vcc
	v_and_b32_e32 v21, s27, v25
	v_lshlrev_b32_e32 v34, 2, v27
	v_or_b32_e32 v21, 0x80000000, v21
	ds_bpermute_b32 v27, v34, v22
	v_and_b32_e32 v26, s26, v24
	v_ffbl_b32_e32 v21, v21
	v_add_u32_e32 v21, 32, v21
	v_ffbl_b32_e32 v26, v26
	v_min_u32_e32 v21, v26, v21
	v_cmp_lt_u32_e32 vcc, v32, v21
	v_add_u32_e32 v41, 2, v32
	v_add_u32_e32 v43, 4, v32
	s_waitcnt lgkmcnt(0)
	v_cndmask_b32_e32 v26, 0, v27, vcc
	v_cmp_gt_u32_e32 vcc, 62, v32
	v_add_u32_e32 v22, v26, v22
	v_add_u32_e32 v45, 8, v32
	v_cndmask_b32_e64 v26, 0, 1, vcc
	v_lshlrev_b32_e32 v26, 1, v26
	v_add_lshl_u32 v40, v26, v37, 2
	ds_bpermute_b32 v26, v40, v22
	v_cmp_le_u32_e32 vcc, v41, v21
	v_add_u32_e32 v48, 16, v32
	v_add_u32_e32 v50, 32, v32
	s_waitcnt lgkmcnt(0)
	v_cndmask_b32_e32 v26, 0, v26, vcc
	v_cmp_gt_u32_e32 vcc, 60, v32
	v_add_u32_e32 v22, v22, v26
	s_nop 0
	v_cndmask_b32_e64 v26, 0, 1, vcc
	v_lshlrev_b32_e32 v26, 2, v26
	v_add_lshl_u32 v42, v26, v37, 2
	ds_bpermute_b32 v26, v42, v22
	v_cmp_le_u32_e32 vcc, v43, v21
	s_waitcnt lgkmcnt(0)
	s_nop 0
	v_cndmask_b32_e32 v26, 0, v26, vcc
	v_cmp_gt_u32_e32 vcc, 56, v32
	v_add_u32_e32 v22, v22, v26
	s_nop 0
	v_cndmask_b32_e64 v26, 0, 1, vcc
	v_lshlrev_b32_e32 v26, 3, v26
	v_add_lshl_u32 v44, v26, v37, 2
	ds_bpermute_b32 v26, v44, v22
	v_cmp_le_u32_e32 vcc, v45, v21
	s_waitcnt lgkmcnt(0)
	s_nop 0
	v_cndmask_b32_e32 v26, 0, v26, vcc
	v_cmp_gt_u32_e32 vcc, 48, v32
	v_add_u32_e32 v22, v22, v26
	s_nop 0
	v_cndmask_b32_e64 v26, 0, 1, vcc
	v_lshlrev_b32_e32 v26, 4, v26
	v_add_lshl_u32 v47, v26, v37, 2
	ds_bpermute_b32 v26, v47, v22
	v_cmp_le_u32_e32 vcc, v48, v21
	s_waitcnt lgkmcnt(0)
	s_nop 0
	v_cndmask_b32_e32 v26, 0, v26, vcc
	v_cmp_gt_u32_e32 vcc, 32, v32
	v_add_u32_e32 v22, v22, v26
	s_nop 0
	v_cndmask_b32_e64 v26, 0, 1, vcc
	v_lshlrev_b32_e32 v26, 5, v26
	v_add_lshl_u32 v49, v26, v37, 2
	ds_bpermute_b32 v26, v49, v22
	v_cmp_le_u32_e32 vcc, v50, v21
	s_waitcnt lgkmcnt(0)
	s_nop 0
	v_cndmask_b32_e32 v21, 0, v26, vcc
	v_add_u32_e32 v22, v22, v21
	v_mov_b32_e32 v21, 0
	s_branch .LBB715_342
.LBB715_341:                            ;   in Loop: Header=BB715_342 Depth=1
	s_or_b64 exec, exec, s[26:27]
	v_cmp_eq_u16_sdwa s[26:27], v23, v19 src0_sel:BYTE_0 src1_sel:DWORD
	ds_bpermute_b32 v51, v34, v22
	v_subrev_u32_e32 v20, 64, v20
	v_and_b32_e32 v26, s27, v25
	v_or_b32_e32 v26, 0x80000000, v26
	v_and_b32_e32 v27, s26, v24
	v_ffbl_b32_e32 v26, v26
	v_add_u32_e32 v26, 32, v26
	v_ffbl_b32_e32 v27, v27
	v_min_u32_e32 v26, v27, v26
	v_cmp_lt_u32_e32 vcc, v32, v26
	s_waitcnt lgkmcnt(0)
	s_nop 0
	v_cndmask_b32_e32 v27, 0, v51, vcc
	v_add_u32_e32 v22, v27, v22
	ds_bpermute_b32 v27, v40, v22
	v_cmp_le_u32_e32 vcc, v41, v26
	s_waitcnt lgkmcnt(0)
	s_nop 0
	v_cndmask_b32_e32 v27, 0, v27, vcc
	v_add_u32_e32 v22, v22, v27
	ds_bpermute_b32 v27, v42, v22
	v_cmp_le_u32_e32 vcc, v43, v26
	;; [unrolled: 6-line block ×5, first 2 shown]
	s_waitcnt lgkmcnt(0)
	s_nop 0
	v_cndmask_b32_e32 v26, 0, v27, vcc
	v_add3_u32 v22, v26, v46, v22
.LBB715_342:                            ; =>This Loop Header: Depth=1
                                        ;     Child Loop BB715_345 Depth 2
	v_cmp_ne_u16_sdwa s[26:27], v23, v19 src0_sel:BYTE_0 src1_sel:DWORD
	v_mov_b32_e32 v46, v22
	s_nop 0
	v_cndmask_b32_e64 v23, 0, 1, s[26:27]
	;;#ASMSTART
	;;#ASMEND
	s_nop 0
	v_cmp_ne_u32_e32 vcc, 0, v23
	s_cmp_lg_u64 vcc, exec
	s_cbranch_scc1 .LBB715_347
; %bb.343:                              ;   in Loop: Header=BB715_342 Depth=1
	v_lshl_add_u64 v[26:27], v[20:21], 3, s[30:31]
	global_load_dwordx2 v[22:23], v[26:27], off sc1
	s_waitcnt vmcnt(0)
	v_cmp_eq_u16_sdwa s[28:29], v23, v21 src0_sel:BYTE_0 src1_sel:DWORD
	s_and_saveexec_b64 s[26:27], s[28:29]
	s_cbranch_execz .LBB715_341
; %bb.344:                              ;   in Loop: Header=BB715_342 Depth=1
	s_mov_b64 s[28:29], 0
.LBB715_345:                            ;   Parent Loop BB715_342 Depth=1
                                        ; =>  This Inner Loop Header: Depth=2
	global_load_dwordx2 v[22:23], v[26:27], off sc1
	s_waitcnt vmcnt(0)
	v_cmp_ne_u16_sdwa s[38:39], v23, v21 src0_sel:BYTE_0 src1_sel:DWORD
	s_or_b64 s[28:29], s[38:39], s[28:29]
	s_andn2_b64 exec, exec, s[28:29]
	s_cbranch_execnz .LBB715_345
; %bb.346:                              ;   in Loop: Header=BB715_342 Depth=1
	s_or_b64 exec, exec, s[28:29]
	s_branch .LBB715_341
.LBB715_347:                            ;   in Loop: Header=BB715_342 Depth=1
                                        ; implicit-def: $vgpr22
                                        ; implicit-def: $vgpr23
	s_cbranch_execz .LBB715_342
; %bb.348:
	s_and_saveexec_b64 s[26:27], s[16:17]
	s_cbranch_execz .LBB715_350
; %bb.349:
	s_add_i32 s28, s33, 64
	s_mov_b32 s29, 0
	s_lshl_b64 s[28:29], s[28:29], 3
	s_add_u32 s28, s30, s28
	v_add_u32_e32 v20, v46, v18
	v_mov_b32_e32 v21, 2
	s_addc_u32 s29, s31, s29
	v_mov_b32_e32 v19, 0
	global_store_dwordx2 v19, v[20:21], s[28:29] sc1
	s_movk_i32 s28, 0x7000
	v_add_u32_e64 v19, s28, 0
	ds_write2_b32 v19, v18, v46 offset1:2
.LBB715_350:
	s_or_b64 exec, exec, s[26:27]
	s_and_b64 exec, exec, s[18:19]
	s_cbranch_execz .LBB715_352
; %bb.351:
	v_mov_b32_e32 v18, 0
	ds_write_b32 v18, v46 offset:28
.LBB715_352:
	s_or_b64 exec, exec, s[0:1]
	v_mov_b32_e32 v18, 0
	s_waitcnt lgkmcnt(0)
	s_barrier
	ds_read_b32 v18, v18 offset:28
	v_cndmask_b32_e64 v19, v30, v28, s[16:17]
	v_cndmask_b32_e64 v19, v19, 0, s[18:19]
	s_movk_i32 s0, 0x7000
	s_waitcnt lgkmcnt(0)
	v_add_u32_e32 v34, v18, v19
	v_add_u32_e32 v32, v34, v1
	v_add_u32_e64 v18, s0, 0
	v_add_u32_e32 v30, v32, v29
	s_barrier
	ds_read2_b32 v[18:19], v18 offset1:2
	v_add_u32_e32 v28, v30, v31
	v_add_u32_e32 v26, v28, v33
	;; [unrolled: 1-line block ×4, first 2 shown]
	v_lshrrev_b64 v[20:21], 24, v[16:17]
	s_branch .LBB715_363
.LBB715_353:
                                        ; implicit-def: $vgpr22
                                        ; implicit-def: $vgpr24
                                        ; implicit-def: $vgpr26
                                        ; implicit-def: $vgpr28
                                        ; implicit-def: $vgpr30
                                        ; implicit-def: $vgpr32
                                        ; implicit-def: $vgpr34
                                        ; implicit-def: $vgpr19
	v_lshrrev_b64 v[20:21], 24, v[16:17]
	s_cbranch_execz .LBB715_363
; %bb.354:
	s_waitcnt lgkmcnt(0)
	v_mov_b32_dpp v18, v39 row_shr:1 row_mask:0xf bank_mask:0xf
	v_cndmask_b32_e64 v18, v18, 0, s[14:15]
	v_add_u32_e32 v18, v18, v39
	s_nop 1
	v_mov_b32_dpp v19, v18 row_shr:2 row_mask:0xf bank_mask:0xf
	v_cndmask_b32_e64 v19, 0, v19, s[12:13]
	v_add_u32_e32 v18, v18, v19
	s_nop 1
	;; [unrolled: 4-line block ×4, first 2 shown]
	v_mov_b32_dpp v19, v18 row_bcast:15 row_mask:0xf bank_mask:0xf
	v_cndmask_b32_e64 v19, v19, 0, s[6:7]
	v_add_u32_e32 v18, v18, v19
	s_nop 1
	v_mov_b32_dpp v19, v18 row_bcast:31 row_mask:0xf bank_mask:0xf
	v_cndmask_b32_e64 v19, 0, v19, s[2:3]
	v_add_u32_e32 v18, v18, v19
	s_and_saveexec_b64 s[0:1], s[4:5]
	s_cbranch_execz .LBB715_356
; %bb.355:
	v_lshlrev_b32_e32 v19, 2, v38
	ds_write_b32 v19, v18
.LBB715_356:
	s_or_b64 exec, exec, s[0:1]
	v_cmp_gt_u32_e32 vcc, 8, v0
	s_waitcnt lgkmcnt(0)
	s_barrier
	s_and_saveexec_b64 s[0:1], vcc
	s_cbranch_execz .LBB715_358
; %bb.357:
	v_lshlrev_b32_e32 v19, 2, v0
	ds_read_b32 v21, v19
	v_and_b32_e32 v22, 7, v37
	v_cmp_ne_u32_e32 vcc, 0, v22
	s_waitcnt lgkmcnt(0)
	v_mov_b32_dpp v23, v21 row_shr:1 row_mask:0xf bank_mask:0xf
	v_cndmask_b32_e32 v23, 0, v23, vcc
	v_add_u32_e32 v21, v23, v21
	v_cmp_lt_u32_e32 vcc, 1, v22
	s_nop 0
	v_mov_b32_dpp v23, v21 row_shr:2 row_mask:0xf bank_mask:0xf
	v_cndmask_b32_e32 v23, 0, v23, vcc
	v_add_u32_e32 v21, v21, v23
	v_cmp_lt_u32_e32 vcc, 3, v22
	s_nop 0
	v_mov_b32_dpp v23, v21 row_shr:4 row_mask:0xf bank_mask:0xf
	v_cndmask_b32_e32 v22, 0, v23, vcc
	v_add_u32_e32 v21, v21, v22
	ds_write_b32 v19, v21
.LBB715_358:
	s_or_b64 exec, exec, s[0:1]
	v_cmp_lt_u32_e32 vcc, 63, v0
	v_mov_b32_e32 v19, 0
	v_mov_b32_e32 v21, 0
	s_waitcnt lgkmcnt(0)
	s_barrier
	s_and_saveexec_b64 s[0:1], vcc
	s_cbranch_execz .LBB715_360
; %bb.359:
	v_lshl_add_u32 v21, v38, 2, -4
	ds_read_b32 v21, v21
.LBB715_360:
	s_or_b64 exec, exec, s[0:1]
	v_add_u32_e32 v22, -1, v37
	v_and_b32_e32 v23, 64, v37
	v_cmp_lt_i32_e32 vcc, v22, v23
	s_waitcnt lgkmcnt(0)
	v_add_u32_e32 v18, v21, v18
	v_cndmask_b32_e32 v22, v22, v37, vcc
	v_lshlrev_b32_e32 v22, 2, v22
	ds_bpermute_b32 v22, v22, v18
	ds_read_b32 v18, v19 offset:28
	s_and_saveexec_b64 s[0:1], s[18:19]
	s_cbranch_execz .LBB715_362
; %bb.361:
	v_mov_b32_e32 v23, 0
	v_mov_b32_e32 v19, 2
	s_waitcnt lgkmcnt(0)
	global_store_dwordx2 v23, v[18:19], s[30:31] offset:512 sc1
.LBB715_362:
	s_or_b64 exec, exec, s[0:1]
	v_cmp_eq_u32_e32 vcc, 0, v37
	v_mov_b32_e32 v19, 0
	s_waitcnt lgkmcnt(0)
	v_cndmask_b32_e32 v21, v22, v21, vcc
	v_cndmask_b32_e64 v34, v21, 0, s[18:19]
	v_add_u32_e32 v32, v34, v1
	v_add_u32_e32 v30, v32, v29
	;; [unrolled: 1-line block ×6, first 2 shown]
	s_barrier
.LBB715_363:
	s_movk_i32 s0, 0x201
	s_waitcnt lgkmcnt(0)
	v_cmp_gt_u32_e32 vcc, s0, v18
	v_lshrrev_b32_e32 v21, 8, v16
	v_lshrrev_b32_e32 v1, 8, v17
	s_mov_b64 s[0:1], -1
	s_cbranch_vccnz .LBB715_367
; %bb.364:
	s_and_b64 vcc, exec, s[0:1]
	s_cbranch_vccnz .LBB715_389
.LBB715_365:
	s_and_b64 s[0:1], s[18:19], s[24:25]
	s_and_saveexec_b64 s[2:3], s[0:1]
	s_cbranch_execnz .LBB715_407
.LBB715_366:
	s_endpgm
.LBB715_367:
	v_add_u32_e32 v23, v19, v18
	v_cmp_lt_u32_e32 vcc, v34, v23
	s_or_b64 s[2:3], s[36:37], vcc
	s_and_saveexec_b64 s[0:1], s[2:3]
	s_cbranch_execz .LBB715_370
; %bb.368:
	v_and_b32_e32 v25, 1, v16
	v_cmp_eq_u32_e32 vcc, 1, v25
	s_and_b64 exec, exec, vcc
	s_cbranch_execz .LBB715_370
; %bb.369:
	s_lshl_b64 s[2:3], s[22:23], 3
	s_add_u32 s2, s34, s2
	s_addc_u32 s3, s35, s3
	v_mov_b32_e32 v35, 0
	v_lshl_add_u64 v[36:37], v[34:35], 3, s[2:3]
	global_store_dwordx2 v[36:37], v[10:11], off
.LBB715_370:
	s_or_b64 exec, exec, s[0:1]
	v_cmp_lt_u32_e32 vcc, v32, v23
	s_or_b64 s[2:3], s[36:37], vcc
	s_and_saveexec_b64 s[0:1], s[2:3]
	s_cbranch_execz .LBB715_373
; %bb.371:
	v_and_b32_e32 v25, 1, v21
	v_cmp_eq_u32_e32 vcc, 1, v25
	s_and_b64 exec, exec, vcc
	s_cbranch_execz .LBB715_373
; %bb.372:
	s_lshl_b64 s[2:3], s[22:23], 3
	s_add_u32 s2, s34, s2
	s_addc_u32 s3, s35, s3
	v_mov_b32_e32 v33, 0
	v_lshl_add_u64 v[36:37], v[32:33], 3, s[2:3]
	global_store_dwordx2 v[36:37], v[12:13], off
.LBB715_373:
	s_or_b64 exec, exec, s[0:1]
	v_cmp_lt_u32_e32 vcc, v30, v23
	s_or_b64 s[2:3], s[36:37], vcc
	s_and_saveexec_b64 s[0:1], s[2:3]
	s_cbranch_execz .LBB715_376
; %bb.374:
	v_mov_b32_e32 v25, 1
	v_and_b32_sdwa v25, v25, v16 dst_sel:DWORD dst_unused:UNUSED_PAD src0_sel:DWORD src1_sel:WORD_1
	v_cmp_eq_u32_e32 vcc, 1, v25
	s_and_b64 exec, exec, vcc
	s_cbranch_execz .LBB715_376
; %bb.375:
	s_lshl_b64 s[2:3], s[22:23], 3
	s_add_u32 s2, s34, s2
	s_addc_u32 s3, s35, s3
	v_mov_b32_e32 v31, 0
	v_lshl_add_u64 v[36:37], v[30:31], 3, s[2:3]
	global_store_dwordx2 v[36:37], v[6:7], off
.LBB715_376:
	s_or_b64 exec, exec, s[0:1]
	v_cmp_lt_u32_e32 vcc, v28, v23
	s_or_b64 s[2:3], s[36:37], vcc
	s_and_saveexec_b64 s[0:1], s[2:3]
	s_cbranch_execz .LBB715_379
; %bb.377:
	v_and_b32_e32 v25, 1, v20
	v_cmp_eq_u32_e32 vcc, 1, v25
	s_and_b64 exec, exec, vcc
	s_cbranch_execz .LBB715_379
; %bb.378:
	s_lshl_b64 s[2:3], s[22:23], 3
	s_add_u32 s2, s34, s2
	s_addc_u32 s3, s35, s3
	v_mov_b32_e32 v29, 0
	v_lshl_add_u64 v[36:37], v[28:29], 3, s[2:3]
	global_store_dwordx2 v[36:37], v[8:9], off
.LBB715_379:
	s_or_b64 exec, exec, s[0:1]
	v_cmp_lt_u32_e32 vcc, v26, v23
	s_or_b64 s[2:3], s[36:37], vcc
	s_and_saveexec_b64 s[0:1], s[2:3]
	s_cbranch_execz .LBB715_382
; %bb.380:
	v_and_b32_e32 v25, 1, v17
	v_cmp_eq_u32_e32 vcc, 1, v25
	s_and_b64 exec, exec, vcc
	s_cbranch_execz .LBB715_382
; %bb.381:
	s_lshl_b64 s[2:3], s[22:23], 3
	s_add_u32 s2, s34, s2
	s_addc_u32 s3, s35, s3
	v_mov_b32_e32 v27, 0
	v_lshl_add_u64 v[36:37], v[26:27], 3, s[2:3]
	global_store_dwordx2 v[36:37], v[2:3], off
.LBB715_382:
	;; [unrolled: 18-line block ×3, first 2 shown]
	s_or_b64 exec, exec, s[0:1]
	v_cmp_lt_u32_e32 vcc, v22, v23
	s_or_b64 s[2:3], s[36:37], vcc
	s_and_saveexec_b64 s[0:1], s[2:3]
	s_cbranch_execz .LBB715_388
; %bb.386:
	v_mov_b32_e32 v23, 1
	v_and_b32_sdwa v23, v23, v17 dst_sel:DWORD dst_unused:UNUSED_PAD src0_sel:DWORD src1_sel:WORD_1
	v_cmp_eq_u32_e32 vcc, 1, v23
	s_and_b64 exec, exec, vcc
	s_cbranch_execz .LBB715_388
; %bb.387:
	s_lshl_b64 s[2:3], s[22:23], 3
	s_add_u32 s2, s34, s2
	s_addc_u32 s3, s35, s3
	v_mov_b32_e32 v23, 0
	v_lshl_add_u64 v[36:37], v[22:23], 3, s[2:3]
	global_store_dwordx2 v[36:37], v[14:15], off
.LBB715_388:
	s_or_b64 exec, exec, s[0:1]
	s_branch .LBB715_365
.LBB715_389:
	v_and_b32_e32 v23, 1, v16
	v_cmp_eq_u32_e32 vcc, 1, v23
	s_and_saveexec_b64 s[0:1], vcc
	s_cbranch_execz .LBB715_391
; %bb.390:
	v_sub_u32_e32 v23, v34, v19
	v_lshlrev_b32_e32 v23, 3, v23
	ds_write_b64 v23, v[10:11]
.LBB715_391:
	s_or_b64 exec, exec, s[0:1]
	v_and_b32_e32 v10, 1, v21
	v_cmp_eq_u32_e32 vcc, 1, v10
	s_and_saveexec_b64 s[0:1], vcc
	s_cbranch_execz .LBB715_393
; %bb.392:
	v_sub_u32_e32 v10, v32, v19
	v_lshlrev_b32_e32 v10, 3, v10
	ds_write_b64 v10, v[12:13]
.LBB715_393:
	s_or_b64 exec, exec, s[0:1]
	v_mov_b32_e32 v10, 1
	v_and_b32_sdwa v10, v10, v16 dst_sel:DWORD dst_unused:UNUSED_PAD src0_sel:DWORD src1_sel:WORD_1
	v_cmp_eq_u32_e32 vcc, 1, v10
	s_and_saveexec_b64 s[0:1], vcc
	s_cbranch_execz .LBB715_395
; %bb.394:
	v_sub_u32_e32 v10, v30, v19
	v_lshlrev_b32_e32 v10, 3, v10
	ds_write_b64 v10, v[6:7]
.LBB715_395:
	s_or_b64 exec, exec, s[0:1]
	v_and_b32_e32 v6, 1, v20
	v_cmp_eq_u32_e32 vcc, 1, v6
	s_and_saveexec_b64 s[0:1], vcc
	s_cbranch_execz .LBB715_397
; %bb.396:
	v_sub_u32_e32 v6, v28, v19
	v_lshlrev_b32_e32 v6, 3, v6
	ds_write_b64 v6, v[8:9]
.LBB715_397:
	s_or_b64 exec, exec, s[0:1]
	v_and_b32_e32 v6, 1, v17
	;; [unrolled: 10-line block ×3, first 2 shown]
	v_cmp_eq_u32_e32 vcc, 1, v1
	s_and_saveexec_b64 s[0:1], vcc
	s_cbranch_execz .LBB715_401
; %bb.400:
	v_sub_u32_e32 v1, v24, v19
	v_lshlrev_b32_e32 v1, 3, v1
	ds_write_b64 v1, v[4:5]
.LBB715_401:
	s_or_b64 exec, exec, s[0:1]
	v_mov_b32_e32 v1, 1
	v_and_b32_sdwa v1, v1, v17 dst_sel:DWORD dst_unused:UNUSED_PAD src0_sel:DWORD src1_sel:WORD_1
	v_cmp_eq_u32_e32 vcc, 1, v1
	s_and_saveexec_b64 s[0:1], vcc
	s_cbranch_execz .LBB715_403
; %bb.402:
	v_sub_u32_e32 v1, v22, v19
	v_lshlrev_b32_e32 v1, 3, v1
	ds_write_b64 v1, v[14:15]
.LBB715_403:
	s_or_b64 exec, exec, s[0:1]
	v_cmp_lt_u32_e32 vcc, v0, v18
	s_waitcnt lgkmcnt(0)
	s_barrier
	s_and_saveexec_b64 s[0:1], vcc
	s_cbranch_execz .LBB715_406
; %bb.404:
	v_mov_b32_e32 v5, 0
	v_mov_b32_e32 v4, v19
	s_lshl_b64 s[2:3], s[22:23], 3
	v_lshlrev_b64 v[6:7], 3, v[4:5]
	v_lshl_add_u64 v[6:7], s[2:3], 0, v[6:7]
	v_lshlrev_b32_e32 v2, 3, v0
	v_mov_b32_e32 v3, v5
	v_lshl_add_u64 v[4:5], s[34:35], 0, v[6:7]
	v_lshl_add_u64 v[4:5], v[4:5], 0, v[2:3]
	s_mov_b64 s[2:3], 0
	s_mov_b64 s[4:5], 0x1000
.LBB715_405:                            ; =>This Inner Loop Header: Depth=1
	ds_read_b64 v[6:7], v2
	v_add_u32_e32 v0, 0x200, v0
	v_cmp_ge_u32_e32 vcc, v0, v18
	v_add_u32_e32 v2, 0x1000, v2
	s_or_b64 s[2:3], vcc, s[2:3]
	s_waitcnt lgkmcnt(0)
	global_store_dwordx2 v[4:5], v[6:7], off
	v_lshl_add_u64 v[4:5], v[4:5], 0, s[4:5]
	s_andn2_b64 exec, exec, s[2:3]
	s_cbranch_execnz .LBB715_405
.LBB715_406:
	s_or_b64 exec, exec, s[0:1]
	s_and_b64 s[0:1], s[18:19], s[24:25]
	s_and_saveexec_b64 s[2:3], s[0:1]
	s_cbranch_execz .LBB715_366
.LBB715_407:
	v_mov_b32_e32 v1, 0
	v_mov_b32_e32 v0, v18
	v_lshl_add_u64 v[2:3], s[22:23], 0, v[0:1]
	v_mov_b32_e32 v0, v19
	v_lshl_add_u64 v[2:3], v[2:3], 0, v[0:1]
	global_store_dwordx2 v1, v[2:3], s[20:21]
	s_endpgm
	.section	.rodata,"a",@progbits
	.p2align	6, 0x0
	.amdhsa_kernel _ZN7rocprim17ROCPRIM_400000_NS6detail17trampoline_kernelINS0_14default_configENS1_25partition_config_selectorILNS1_17partition_subalgoE8ElNS0_10empty_typeEbEEZZNS1_14partition_implILS5_8ELb0ES3_jPlPS6_PKS6_NS0_5tupleIJS9_S6_EEENSD_IJSA_SA_EEENS0_18inequality_wrapperIZN2at6native12_GLOBAL__N_124unique_dim_cuda_templateIsEESt5tupleIJNSH_6TensorESM_SM_EERKSM_lbbbEUlllE0_EEPmJS6_EEE10hipError_tPvRmT3_T4_T5_T6_T7_T9_mT8_P12ihipStream_tbDpT10_ENKUlT_T0_E_clISt17integral_constantIbLb0EES1B_IbLb1EEEEDaS17_S18_EUlS17_E_NS1_11comp_targetILNS1_3genE5ELNS1_11target_archE942ELNS1_3gpuE9ELNS1_3repE0EEENS1_30default_config_static_selectorELNS0_4arch9wavefront6targetE1EEEvT1_
		.amdhsa_group_segment_fixed_size 28684
		.amdhsa_private_segment_fixed_size 0
		.amdhsa_kernarg_size 136
		.amdhsa_user_sgpr_count 2
		.amdhsa_user_sgpr_dispatch_ptr 0
		.amdhsa_user_sgpr_queue_ptr 0
		.amdhsa_user_sgpr_kernarg_segment_ptr 1
		.amdhsa_user_sgpr_dispatch_id 0
		.amdhsa_user_sgpr_kernarg_preload_length 0
		.amdhsa_user_sgpr_kernarg_preload_offset 0
		.amdhsa_user_sgpr_private_segment_size 0
		.amdhsa_uses_dynamic_stack 0
		.amdhsa_enable_private_segment 0
		.amdhsa_system_sgpr_workgroup_id_x 1
		.amdhsa_system_sgpr_workgroup_id_y 0
		.amdhsa_system_sgpr_workgroup_id_z 0
		.amdhsa_system_sgpr_workgroup_info 0
		.amdhsa_system_vgpr_workitem_id 0
		.amdhsa_next_free_vgpr 52
		.amdhsa_next_free_sgpr 56
		.amdhsa_accum_offset 52
		.amdhsa_reserve_vcc 1
		.amdhsa_float_round_mode_32 0
		.amdhsa_float_round_mode_16_64 0
		.amdhsa_float_denorm_mode_32 3
		.amdhsa_float_denorm_mode_16_64 3
		.amdhsa_dx10_clamp 1
		.amdhsa_ieee_mode 1
		.amdhsa_fp16_overflow 0
		.amdhsa_tg_split 0
		.amdhsa_exception_fp_ieee_invalid_op 0
		.amdhsa_exception_fp_denorm_src 0
		.amdhsa_exception_fp_ieee_div_zero 0
		.amdhsa_exception_fp_ieee_overflow 0
		.amdhsa_exception_fp_ieee_underflow 0
		.amdhsa_exception_fp_ieee_inexact 0
		.amdhsa_exception_int_div_zero 0
	.end_amdhsa_kernel
	.section	.text._ZN7rocprim17ROCPRIM_400000_NS6detail17trampoline_kernelINS0_14default_configENS1_25partition_config_selectorILNS1_17partition_subalgoE8ElNS0_10empty_typeEbEEZZNS1_14partition_implILS5_8ELb0ES3_jPlPS6_PKS6_NS0_5tupleIJS9_S6_EEENSD_IJSA_SA_EEENS0_18inequality_wrapperIZN2at6native12_GLOBAL__N_124unique_dim_cuda_templateIsEESt5tupleIJNSH_6TensorESM_SM_EERKSM_lbbbEUlllE0_EEPmJS6_EEE10hipError_tPvRmT3_T4_T5_T6_T7_T9_mT8_P12ihipStream_tbDpT10_ENKUlT_T0_E_clISt17integral_constantIbLb0EES1B_IbLb1EEEEDaS17_S18_EUlS17_E_NS1_11comp_targetILNS1_3genE5ELNS1_11target_archE942ELNS1_3gpuE9ELNS1_3repE0EEENS1_30default_config_static_selectorELNS0_4arch9wavefront6targetE1EEEvT1_,"axG",@progbits,_ZN7rocprim17ROCPRIM_400000_NS6detail17trampoline_kernelINS0_14default_configENS1_25partition_config_selectorILNS1_17partition_subalgoE8ElNS0_10empty_typeEbEEZZNS1_14partition_implILS5_8ELb0ES3_jPlPS6_PKS6_NS0_5tupleIJS9_S6_EEENSD_IJSA_SA_EEENS0_18inequality_wrapperIZN2at6native12_GLOBAL__N_124unique_dim_cuda_templateIsEESt5tupleIJNSH_6TensorESM_SM_EERKSM_lbbbEUlllE0_EEPmJS6_EEE10hipError_tPvRmT3_T4_T5_T6_T7_T9_mT8_P12ihipStream_tbDpT10_ENKUlT_T0_E_clISt17integral_constantIbLb0EES1B_IbLb1EEEEDaS17_S18_EUlS17_E_NS1_11comp_targetILNS1_3genE5ELNS1_11target_archE942ELNS1_3gpuE9ELNS1_3repE0EEENS1_30default_config_static_selectorELNS0_4arch9wavefront6targetE1EEEvT1_,comdat
.Lfunc_end715:
	.size	_ZN7rocprim17ROCPRIM_400000_NS6detail17trampoline_kernelINS0_14default_configENS1_25partition_config_selectorILNS1_17partition_subalgoE8ElNS0_10empty_typeEbEEZZNS1_14partition_implILS5_8ELb0ES3_jPlPS6_PKS6_NS0_5tupleIJS9_S6_EEENSD_IJSA_SA_EEENS0_18inequality_wrapperIZN2at6native12_GLOBAL__N_124unique_dim_cuda_templateIsEESt5tupleIJNSH_6TensorESM_SM_EERKSM_lbbbEUlllE0_EEPmJS6_EEE10hipError_tPvRmT3_T4_T5_T6_T7_T9_mT8_P12ihipStream_tbDpT10_ENKUlT_T0_E_clISt17integral_constantIbLb0EES1B_IbLb1EEEEDaS17_S18_EUlS17_E_NS1_11comp_targetILNS1_3genE5ELNS1_11target_archE942ELNS1_3gpuE9ELNS1_3repE0EEENS1_30default_config_static_selectorELNS0_4arch9wavefront6targetE1EEEvT1_, .Lfunc_end715-_ZN7rocprim17ROCPRIM_400000_NS6detail17trampoline_kernelINS0_14default_configENS1_25partition_config_selectorILNS1_17partition_subalgoE8ElNS0_10empty_typeEbEEZZNS1_14partition_implILS5_8ELb0ES3_jPlPS6_PKS6_NS0_5tupleIJS9_S6_EEENSD_IJSA_SA_EEENS0_18inequality_wrapperIZN2at6native12_GLOBAL__N_124unique_dim_cuda_templateIsEESt5tupleIJNSH_6TensorESM_SM_EERKSM_lbbbEUlllE0_EEPmJS6_EEE10hipError_tPvRmT3_T4_T5_T6_T7_T9_mT8_P12ihipStream_tbDpT10_ENKUlT_T0_E_clISt17integral_constantIbLb0EES1B_IbLb1EEEEDaS17_S18_EUlS17_E_NS1_11comp_targetILNS1_3genE5ELNS1_11target_archE942ELNS1_3gpuE9ELNS1_3repE0EEENS1_30default_config_static_selectorELNS0_4arch9wavefront6targetE1EEEvT1_
                                        ; -- End function
	.section	.AMDGPU.csdata,"",@progbits
; Kernel info:
; codeLenInByte = 13044
; NumSgprs: 62
; NumVgprs: 52
; NumAgprs: 0
; TotalNumVgprs: 52
; ScratchSize: 0
; MemoryBound: 0
; FloatMode: 240
; IeeeMode: 1
; LDSByteSize: 28684 bytes/workgroup (compile time only)
; SGPRBlocks: 7
; VGPRBlocks: 6
; NumSGPRsForWavesPerEU: 62
; NumVGPRsForWavesPerEU: 52
; AccumOffset: 52
; Occupancy: 4
; WaveLimiterHint : 1
; COMPUTE_PGM_RSRC2:SCRATCH_EN: 0
; COMPUTE_PGM_RSRC2:USER_SGPR: 2
; COMPUTE_PGM_RSRC2:TRAP_HANDLER: 0
; COMPUTE_PGM_RSRC2:TGID_X_EN: 1
; COMPUTE_PGM_RSRC2:TGID_Y_EN: 0
; COMPUTE_PGM_RSRC2:TGID_Z_EN: 0
; COMPUTE_PGM_RSRC2:TIDIG_COMP_CNT: 0
; COMPUTE_PGM_RSRC3_GFX90A:ACCUM_OFFSET: 12
; COMPUTE_PGM_RSRC3_GFX90A:TG_SPLIT: 0
	.section	.text._ZN7rocprim17ROCPRIM_400000_NS6detail17trampoline_kernelINS0_14default_configENS1_25partition_config_selectorILNS1_17partition_subalgoE8ElNS0_10empty_typeEbEEZZNS1_14partition_implILS5_8ELb0ES3_jPlPS6_PKS6_NS0_5tupleIJS9_S6_EEENSD_IJSA_SA_EEENS0_18inequality_wrapperIZN2at6native12_GLOBAL__N_124unique_dim_cuda_templateIsEESt5tupleIJNSH_6TensorESM_SM_EERKSM_lbbbEUlllE0_EEPmJS6_EEE10hipError_tPvRmT3_T4_T5_T6_T7_T9_mT8_P12ihipStream_tbDpT10_ENKUlT_T0_E_clISt17integral_constantIbLb0EES1B_IbLb1EEEEDaS17_S18_EUlS17_E_NS1_11comp_targetILNS1_3genE4ELNS1_11target_archE910ELNS1_3gpuE8ELNS1_3repE0EEENS1_30default_config_static_selectorELNS0_4arch9wavefront6targetE1EEEvT1_,"axG",@progbits,_ZN7rocprim17ROCPRIM_400000_NS6detail17trampoline_kernelINS0_14default_configENS1_25partition_config_selectorILNS1_17partition_subalgoE8ElNS0_10empty_typeEbEEZZNS1_14partition_implILS5_8ELb0ES3_jPlPS6_PKS6_NS0_5tupleIJS9_S6_EEENSD_IJSA_SA_EEENS0_18inequality_wrapperIZN2at6native12_GLOBAL__N_124unique_dim_cuda_templateIsEESt5tupleIJNSH_6TensorESM_SM_EERKSM_lbbbEUlllE0_EEPmJS6_EEE10hipError_tPvRmT3_T4_T5_T6_T7_T9_mT8_P12ihipStream_tbDpT10_ENKUlT_T0_E_clISt17integral_constantIbLb0EES1B_IbLb1EEEEDaS17_S18_EUlS17_E_NS1_11comp_targetILNS1_3genE4ELNS1_11target_archE910ELNS1_3gpuE8ELNS1_3repE0EEENS1_30default_config_static_selectorELNS0_4arch9wavefront6targetE1EEEvT1_,comdat
	.globl	_ZN7rocprim17ROCPRIM_400000_NS6detail17trampoline_kernelINS0_14default_configENS1_25partition_config_selectorILNS1_17partition_subalgoE8ElNS0_10empty_typeEbEEZZNS1_14partition_implILS5_8ELb0ES3_jPlPS6_PKS6_NS0_5tupleIJS9_S6_EEENSD_IJSA_SA_EEENS0_18inequality_wrapperIZN2at6native12_GLOBAL__N_124unique_dim_cuda_templateIsEESt5tupleIJNSH_6TensorESM_SM_EERKSM_lbbbEUlllE0_EEPmJS6_EEE10hipError_tPvRmT3_T4_T5_T6_T7_T9_mT8_P12ihipStream_tbDpT10_ENKUlT_T0_E_clISt17integral_constantIbLb0EES1B_IbLb1EEEEDaS17_S18_EUlS17_E_NS1_11comp_targetILNS1_3genE4ELNS1_11target_archE910ELNS1_3gpuE8ELNS1_3repE0EEENS1_30default_config_static_selectorELNS0_4arch9wavefront6targetE1EEEvT1_ ; -- Begin function _ZN7rocprim17ROCPRIM_400000_NS6detail17trampoline_kernelINS0_14default_configENS1_25partition_config_selectorILNS1_17partition_subalgoE8ElNS0_10empty_typeEbEEZZNS1_14partition_implILS5_8ELb0ES3_jPlPS6_PKS6_NS0_5tupleIJS9_S6_EEENSD_IJSA_SA_EEENS0_18inequality_wrapperIZN2at6native12_GLOBAL__N_124unique_dim_cuda_templateIsEESt5tupleIJNSH_6TensorESM_SM_EERKSM_lbbbEUlllE0_EEPmJS6_EEE10hipError_tPvRmT3_T4_T5_T6_T7_T9_mT8_P12ihipStream_tbDpT10_ENKUlT_T0_E_clISt17integral_constantIbLb0EES1B_IbLb1EEEEDaS17_S18_EUlS17_E_NS1_11comp_targetILNS1_3genE4ELNS1_11target_archE910ELNS1_3gpuE8ELNS1_3repE0EEENS1_30default_config_static_selectorELNS0_4arch9wavefront6targetE1EEEvT1_
	.p2align	8
	.type	_ZN7rocprim17ROCPRIM_400000_NS6detail17trampoline_kernelINS0_14default_configENS1_25partition_config_selectorILNS1_17partition_subalgoE8ElNS0_10empty_typeEbEEZZNS1_14partition_implILS5_8ELb0ES3_jPlPS6_PKS6_NS0_5tupleIJS9_S6_EEENSD_IJSA_SA_EEENS0_18inequality_wrapperIZN2at6native12_GLOBAL__N_124unique_dim_cuda_templateIsEESt5tupleIJNSH_6TensorESM_SM_EERKSM_lbbbEUlllE0_EEPmJS6_EEE10hipError_tPvRmT3_T4_T5_T6_T7_T9_mT8_P12ihipStream_tbDpT10_ENKUlT_T0_E_clISt17integral_constantIbLb0EES1B_IbLb1EEEEDaS17_S18_EUlS17_E_NS1_11comp_targetILNS1_3genE4ELNS1_11target_archE910ELNS1_3gpuE8ELNS1_3repE0EEENS1_30default_config_static_selectorELNS0_4arch9wavefront6targetE1EEEvT1_,@function
_ZN7rocprim17ROCPRIM_400000_NS6detail17trampoline_kernelINS0_14default_configENS1_25partition_config_selectorILNS1_17partition_subalgoE8ElNS0_10empty_typeEbEEZZNS1_14partition_implILS5_8ELb0ES3_jPlPS6_PKS6_NS0_5tupleIJS9_S6_EEENSD_IJSA_SA_EEENS0_18inequality_wrapperIZN2at6native12_GLOBAL__N_124unique_dim_cuda_templateIsEESt5tupleIJNSH_6TensorESM_SM_EERKSM_lbbbEUlllE0_EEPmJS6_EEE10hipError_tPvRmT3_T4_T5_T6_T7_T9_mT8_P12ihipStream_tbDpT10_ENKUlT_T0_E_clISt17integral_constantIbLb0EES1B_IbLb1EEEEDaS17_S18_EUlS17_E_NS1_11comp_targetILNS1_3genE4ELNS1_11target_archE910ELNS1_3gpuE8ELNS1_3repE0EEENS1_30default_config_static_selectorELNS0_4arch9wavefront6targetE1EEEvT1_: ; @_ZN7rocprim17ROCPRIM_400000_NS6detail17trampoline_kernelINS0_14default_configENS1_25partition_config_selectorILNS1_17partition_subalgoE8ElNS0_10empty_typeEbEEZZNS1_14partition_implILS5_8ELb0ES3_jPlPS6_PKS6_NS0_5tupleIJS9_S6_EEENSD_IJSA_SA_EEENS0_18inequality_wrapperIZN2at6native12_GLOBAL__N_124unique_dim_cuda_templateIsEESt5tupleIJNSH_6TensorESM_SM_EERKSM_lbbbEUlllE0_EEPmJS6_EEE10hipError_tPvRmT3_T4_T5_T6_T7_T9_mT8_P12ihipStream_tbDpT10_ENKUlT_T0_E_clISt17integral_constantIbLb0EES1B_IbLb1EEEEDaS17_S18_EUlS17_E_NS1_11comp_targetILNS1_3genE4ELNS1_11target_archE910ELNS1_3gpuE8ELNS1_3repE0EEENS1_30default_config_static_selectorELNS0_4arch9wavefront6targetE1EEEvT1_
; %bb.0:
	.section	.rodata,"a",@progbits
	.p2align	6, 0x0
	.amdhsa_kernel _ZN7rocprim17ROCPRIM_400000_NS6detail17trampoline_kernelINS0_14default_configENS1_25partition_config_selectorILNS1_17partition_subalgoE8ElNS0_10empty_typeEbEEZZNS1_14partition_implILS5_8ELb0ES3_jPlPS6_PKS6_NS0_5tupleIJS9_S6_EEENSD_IJSA_SA_EEENS0_18inequality_wrapperIZN2at6native12_GLOBAL__N_124unique_dim_cuda_templateIsEESt5tupleIJNSH_6TensorESM_SM_EERKSM_lbbbEUlllE0_EEPmJS6_EEE10hipError_tPvRmT3_T4_T5_T6_T7_T9_mT8_P12ihipStream_tbDpT10_ENKUlT_T0_E_clISt17integral_constantIbLb0EES1B_IbLb1EEEEDaS17_S18_EUlS17_E_NS1_11comp_targetILNS1_3genE4ELNS1_11target_archE910ELNS1_3gpuE8ELNS1_3repE0EEENS1_30default_config_static_selectorELNS0_4arch9wavefront6targetE1EEEvT1_
		.amdhsa_group_segment_fixed_size 0
		.amdhsa_private_segment_fixed_size 0
		.amdhsa_kernarg_size 136
		.amdhsa_user_sgpr_count 2
		.amdhsa_user_sgpr_dispatch_ptr 0
		.amdhsa_user_sgpr_queue_ptr 0
		.amdhsa_user_sgpr_kernarg_segment_ptr 1
		.amdhsa_user_sgpr_dispatch_id 0
		.amdhsa_user_sgpr_kernarg_preload_length 0
		.amdhsa_user_sgpr_kernarg_preload_offset 0
		.amdhsa_user_sgpr_private_segment_size 0
		.amdhsa_uses_dynamic_stack 0
		.amdhsa_enable_private_segment 0
		.amdhsa_system_sgpr_workgroup_id_x 1
		.amdhsa_system_sgpr_workgroup_id_y 0
		.amdhsa_system_sgpr_workgroup_id_z 0
		.amdhsa_system_sgpr_workgroup_info 0
		.amdhsa_system_vgpr_workitem_id 0
		.amdhsa_next_free_vgpr 1
		.amdhsa_next_free_sgpr 0
		.amdhsa_accum_offset 4
		.amdhsa_reserve_vcc 0
		.amdhsa_float_round_mode_32 0
		.amdhsa_float_round_mode_16_64 0
		.amdhsa_float_denorm_mode_32 3
		.amdhsa_float_denorm_mode_16_64 3
		.amdhsa_dx10_clamp 1
		.amdhsa_ieee_mode 1
		.amdhsa_fp16_overflow 0
		.amdhsa_tg_split 0
		.amdhsa_exception_fp_ieee_invalid_op 0
		.amdhsa_exception_fp_denorm_src 0
		.amdhsa_exception_fp_ieee_div_zero 0
		.amdhsa_exception_fp_ieee_overflow 0
		.amdhsa_exception_fp_ieee_underflow 0
		.amdhsa_exception_fp_ieee_inexact 0
		.amdhsa_exception_int_div_zero 0
	.end_amdhsa_kernel
	.section	.text._ZN7rocprim17ROCPRIM_400000_NS6detail17trampoline_kernelINS0_14default_configENS1_25partition_config_selectorILNS1_17partition_subalgoE8ElNS0_10empty_typeEbEEZZNS1_14partition_implILS5_8ELb0ES3_jPlPS6_PKS6_NS0_5tupleIJS9_S6_EEENSD_IJSA_SA_EEENS0_18inequality_wrapperIZN2at6native12_GLOBAL__N_124unique_dim_cuda_templateIsEESt5tupleIJNSH_6TensorESM_SM_EERKSM_lbbbEUlllE0_EEPmJS6_EEE10hipError_tPvRmT3_T4_T5_T6_T7_T9_mT8_P12ihipStream_tbDpT10_ENKUlT_T0_E_clISt17integral_constantIbLb0EES1B_IbLb1EEEEDaS17_S18_EUlS17_E_NS1_11comp_targetILNS1_3genE4ELNS1_11target_archE910ELNS1_3gpuE8ELNS1_3repE0EEENS1_30default_config_static_selectorELNS0_4arch9wavefront6targetE1EEEvT1_,"axG",@progbits,_ZN7rocprim17ROCPRIM_400000_NS6detail17trampoline_kernelINS0_14default_configENS1_25partition_config_selectorILNS1_17partition_subalgoE8ElNS0_10empty_typeEbEEZZNS1_14partition_implILS5_8ELb0ES3_jPlPS6_PKS6_NS0_5tupleIJS9_S6_EEENSD_IJSA_SA_EEENS0_18inequality_wrapperIZN2at6native12_GLOBAL__N_124unique_dim_cuda_templateIsEESt5tupleIJNSH_6TensorESM_SM_EERKSM_lbbbEUlllE0_EEPmJS6_EEE10hipError_tPvRmT3_T4_T5_T6_T7_T9_mT8_P12ihipStream_tbDpT10_ENKUlT_T0_E_clISt17integral_constantIbLb0EES1B_IbLb1EEEEDaS17_S18_EUlS17_E_NS1_11comp_targetILNS1_3genE4ELNS1_11target_archE910ELNS1_3gpuE8ELNS1_3repE0EEENS1_30default_config_static_selectorELNS0_4arch9wavefront6targetE1EEEvT1_,comdat
.Lfunc_end716:
	.size	_ZN7rocprim17ROCPRIM_400000_NS6detail17trampoline_kernelINS0_14default_configENS1_25partition_config_selectorILNS1_17partition_subalgoE8ElNS0_10empty_typeEbEEZZNS1_14partition_implILS5_8ELb0ES3_jPlPS6_PKS6_NS0_5tupleIJS9_S6_EEENSD_IJSA_SA_EEENS0_18inequality_wrapperIZN2at6native12_GLOBAL__N_124unique_dim_cuda_templateIsEESt5tupleIJNSH_6TensorESM_SM_EERKSM_lbbbEUlllE0_EEPmJS6_EEE10hipError_tPvRmT3_T4_T5_T6_T7_T9_mT8_P12ihipStream_tbDpT10_ENKUlT_T0_E_clISt17integral_constantIbLb0EES1B_IbLb1EEEEDaS17_S18_EUlS17_E_NS1_11comp_targetILNS1_3genE4ELNS1_11target_archE910ELNS1_3gpuE8ELNS1_3repE0EEENS1_30default_config_static_selectorELNS0_4arch9wavefront6targetE1EEEvT1_, .Lfunc_end716-_ZN7rocprim17ROCPRIM_400000_NS6detail17trampoline_kernelINS0_14default_configENS1_25partition_config_selectorILNS1_17partition_subalgoE8ElNS0_10empty_typeEbEEZZNS1_14partition_implILS5_8ELb0ES3_jPlPS6_PKS6_NS0_5tupleIJS9_S6_EEENSD_IJSA_SA_EEENS0_18inequality_wrapperIZN2at6native12_GLOBAL__N_124unique_dim_cuda_templateIsEESt5tupleIJNSH_6TensorESM_SM_EERKSM_lbbbEUlllE0_EEPmJS6_EEE10hipError_tPvRmT3_T4_T5_T6_T7_T9_mT8_P12ihipStream_tbDpT10_ENKUlT_T0_E_clISt17integral_constantIbLb0EES1B_IbLb1EEEEDaS17_S18_EUlS17_E_NS1_11comp_targetILNS1_3genE4ELNS1_11target_archE910ELNS1_3gpuE8ELNS1_3repE0EEENS1_30default_config_static_selectorELNS0_4arch9wavefront6targetE1EEEvT1_
                                        ; -- End function
	.section	.AMDGPU.csdata,"",@progbits
; Kernel info:
; codeLenInByte = 0
; NumSgprs: 6
; NumVgprs: 0
; NumAgprs: 0
; TotalNumVgprs: 0
; ScratchSize: 0
; MemoryBound: 0
; FloatMode: 240
; IeeeMode: 1
; LDSByteSize: 0 bytes/workgroup (compile time only)
; SGPRBlocks: 0
; VGPRBlocks: 0
; NumSGPRsForWavesPerEU: 6
; NumVGPRsForWavesPerEU: 1
; AccumOffset: 4
; Occupancy: 8
; WaveLimiterHint : 0
; COMPUTE_PGM_RSRC2:SCRATCH_EN: 0
; COMPUTE_PGM_RSRC2:USER_SGPR: 2
; COMPUTE_PGM_RSRC2:TRAP_HANDLER: 0
; COMPUTE_PGM_RSRC2:TGID_X_EN: 1
; COMPUTE_PGM_RSRC2:TGID_Y_EN: 0
; COMPUTE_PGM_RSRC2:TGID_Z_EN: 0
; COMPUTE_PGM_RSRC2:TIDIG_COMP_CNT: 0
; COMPUTE_PGM_RSRC3_GFX90A:ACCUM_OFFSET: 0
; COMPUTE_PGM_RSRC3_GFX90A:TG_SPLIT: 0
	.section	.text._ZN7rocprim17ROCPRIM_400000_NS6detail17trampoline_kernelINS0_14default_configENS1_25partition_config_selectorILNS1_17partition_subalgoE8ElNS0_10empty_typeEbEEZZNS1_14partition_implILS5_8ELb0ES3_jPlPS6_PKS6_NS0_5tupleIJS9_S6_EEENSD_IJSA_SA_EEENS0_18inequality_wrapperIZN2at6native12_GLOBAL__N_124unique_dim_cuda_templateIsEESt5tupleIJNSH_6TensorESM_SM_EERKSM_lbbbEUlllE0_EEPmJS6_EEE10hipError_tPvRmT3_T4_T5_T6_T7_T9_mT8_P12ihipStream_tbDpT10_ENKUlT_T0_E_clISt17integral_constantIbLb0EES1B_IbLb1EEEEDaS17_S18_EUlS17_E_NS1_11comp_targetILNS1_3genE3ELNS1_11target_archE908ELNS1_3gpuE7ELNS1_3repE0EEENS1_30default_config_static_selectorELNS0_4arch9wavefront6targetE1EEEvT1_,"axG",@progbits,_ZN7rocprim17ROCPRIM_400000_NS6detail17trampoline_kernelINS0_14default_configENS1_25partition_config_selectorILNS1_17partition_subalgoE8ElNS0_10empty_typeEbEEZZNS1_14partition_implILS5_8ELb0ES3_jPlPS6_PKS6_NS0_5tupleIJS9_S6_EEENSD_IJSA_SA_EEENS0_18inequality_wrapperIZN2at6native12_GLOBAL__N_124unique_dim_cuda_templateIsEESt5tupleIJNSH_6TensorESM_SM_EERKSM_lbbbEUlllE0_EEPmJS6_EEE10hipError_tPvRmT3_T4_T5_T6_T7_T9_mT8_P12ihipStream_tbDpT10_ENKUlT_T0_E_clISt17integral_constantIbLb0EES1B_IbLb1EEEEDaS17_S18_EUlS17_E_NS1_11comp_targetILNS1_3genE3ELNS1_11target_archE908ELNS1_3gpuE7ELNS1_3repE0EEENS1_30default_config_static_selectorELNS0_4arch9wavefront6targetE1EEEvT1_,comdat
	.globl	_ZN7rocprim17ROCPRIM_400000_NS6detail17trampoline_kernelINS0_14default_configENS1_25partition_config_selectorILNS1_17partition_subalgoE8ElNS0_10empty_typeEbEEZZNS1_14partition_implILS5_8ELb0ES3_jPlPS6_PKS6_NS0_5tupleIJS9_S6_EEENSD_IJSA_SA_EEENS0_18inequality_wrapperIZN2at6native12_GLOBAL__N_124unique_dim_cuda_templateIsEESt5tupleIJNSH_6TensorESM_SM_EERKSM_lbbbEUlllE0_EEPmJS6_EEE10hipError_tPvRmT3_T4_T5_T6_T7_T9_mT8_P12ihipStream_tbDpT10_ENKUlT_T0_E_clISt17integral_constantIbLb0EES1B_IbLb1EEEEDaS17_S18_EUlS17_E_NS1_11comp_targetILNS1_3genE3ELNS1_11target_archE908ELNS1_3gpuE7ELNS1_3repE0EEENS1_30default_config_static_selectorELNS0_4arch9wavefront6targetE1EEEvT1_ ; -- Begin function _ZN7rocprim17ROCPRIM_400000_NS6detail17trampoline_kernelINS0_14default_configENS1_25partition_config_selectorILNS1_17partition_subalgoE8ElNS0_10empty_typeEbEEZZNS1_14partition_implILS5_8ELb0ES3_jPlPS6_PKS6_NS0_5tupleIJS9_S6_EEENSD_IJSA_SA_EEENS0_18inequality_wrapperIZN2at6native12_GLOBAL__N_124unique_dim_cuda_templateIsEESt5tupleIJNSH_6TensorESM_SM_EERKSM_lbbbEUlllE0_EEPmJS6_EEE10hipError_tPvRmT3_T4_T5_T6_T7_T9_mT8_P12ihipStream_tbDpT10_ENKUlT_T0_E_clISt17integral_constantIbLb0EES1B_IbLb1EEEEDaS17_S18_EUlS17_E_NS1_11comp_targetILNS1_3genE3ELNS1_11target_archE908ELNS1_3gpuE7ELNS1_3repE0EEENS1_30default_config_static_selectorELNS0_4arch9wavefront6targetE1EEEvT1_
	.p2align	8
	.type	_ZN7rocprim17ROCPRIM_400000_NS6detail17trampoline_kernelINS0_14default_configENS1_25partition_config_selectorILNS1_17partition_subalgoE8ElNS0_10empty_typeEbEEZZNS1_14partition_implILS5_8ELb0ES3_jPlPS6_PKS6_NS0_5tupleIJS9_S6_EEENSD_IJSA_SA_EEENS0_18inequality_wrapperIZN2at6native12_GLOBAL__N_124unique_dim_cuda_templateIsEESt5tupleIJNSH_6TensorESM_SM_EERKSM_lbbbEUlllE0_EEPmJS6_EEE10hipError_tPvRmT3_T4_T5_T6_T7_T9_mT8_P12ihipStream_tbDpT10_ENKUlT_T0_E_clISt17integral_constantIbLb0EES1B_IbLb1EEEEDaS17_S18_EUlS17_E_NS1_11comp_targetILNS1_3genE3ELNS1_11target_archE908ELNS1_3gpuE7ELNS1_3repE0EEENS1_30default_config_static_selectorELNS0_4arch9wavefront6targetE1EEEvT1_,@function
_ZN7rocprim17ROCPRIM_400000_NS6detail17trampoline_kernelINS0_14default_configENS1_25partition_config_selectorILNS1_17partition_subalgoE8ElNS0_10empty_typeEbEEZZNS1_14partition_implILS5_8ELb0ES3_jPlPS6_PKS6_NS0_5tupleIJS9_S6_EEENSD_IJSA_SA_EEENS0_18inequality_wrapperIZN2at6native12_GLOBAL__N_124unique_dim_cuda_templateIsEESt5tupleIJNSH_6TensorESM_SM_EERKSM_lbbbEUlllE0_EEPmJS6_EEE10hipError_tPvRmT3_T4_T5_T6_T7_T9_mT8_P12ihipStream_tbDpT10_ENKUlT_T0_E_clISt17integral_constantIbLb0EES1B_IbLb1EEEEDaS17_S18_EUlS17_E_NS1_11comp_targetILNS1_3genE3ELNS1_11target_archE908ELNS1_3gpuE7ELNS1_3repE0EEENS1_30default_config_static_selectorELNS0_4arch9wavefront6targetE1EEEvT1_: ; @_ZN7rocprim17ROCPRIM_400000_NS6detail17trampoline_kernelINS0_14default_configENS1_25partition_config_selectorILNS1_17partition_subalgoE8ElNS0_10empty_typeEbEEZZNS1_14partition_implILS5_8ELb0ES3_jPlPS6_PKS6_NS0_5tupleIJS9_S6_EEENSD_IJSA_SA_EEENS0_18inequality_wrapperIZN2at6native12_GLOBAL__N_124unique_dim_cuda_templateIsEESt5tupleIJNSH_6TensorESM_SM_EERKSM_lbbbEUlllE0_EEPmJS6_EEE10hipError_tPvRmT3_T4_T5_T6_T7_T9_mT8_P12ihipStream_tbDpT10_ENKUlT_T0_E_clISt17integral_constantIbLb0EES1B_IbLb1EEEEDaS17_S18_EUlS17_E_NS1_11comp_targetILNS1_3genE3ELNS1_11target_archE908ELNS1_3gpuE7ELNS1_3repE0EEENS1_30default_config_static_selectorELNS0_4arch9wavefront6targetE1EEEvT1_
; %bb.0:
	.section	.rodata,"a",@progbits
	.p2align	6, 0x0
	.amdhsa_kernel _ZN7rocprim17ROCPRIM_400000_NS6detail17trampoline_kernelINS0_14default_configENS1_25partition_config_selectorILNS1_17partition_subalgoE8ElNS0_10empty_typeEbEEZZNS1_14partition_implILS5_8ELb0ES3_jPlPS6_PKS6_NS0_5tupleIJS9_S6_EEENSD_IJSA_SA_EEENS0_18inequality_wrapperIZN2at6native12_GLOBAL__N_124unique_dim_cuda_templateIsEESt5tupleIJNSH_6TensorESM_SM_EERKSM_lbbbEUlllE0_EEPmJS6_EEE10hipError_tPvRmT3_T4_T5_T6_T7_T9_mT8_P12ihipStream_tbDpT10_ENKUlT_T0_E_clISt17integral_constantIbLb0EES1B_IbLb1EEEEDaS17_S18_EUlS17_E_NS1_11comp_targetILNS1_3genE3ELNS1_11target_archE908ELNS1_3gpuE7ELNS1_3repE0EEENS1_30default_config_static_selectorELNS0_4arch9wavefront6targetE1EEEvT1_
		.amdhsa_group_segment_fixed_size 0
		.amdhsa_private_segment_fixed_size 0
		.amdhsa_kernarg_size 136
		.amdhsa_user_sgpr_count 2
		.amdhsa_user_sgpr_dispatch_ptr 0
		.amdhsa_user_sgpr_queue_ptr 0
		.amdhsa_user_sgpr_kernarg_segment_ptr 1
		.amdhsa_user_sgpr_dispatch_id 0
		.amdhsa_user_sgpr_kernarg_preload_length 0
		.amdhsa_user_sgpr_kernarg_preload_offset 0
		.amdhsa_user_sgpr_private_segment_size 0
		.amdhsa_uses_dynamic_stack 0
		.amdhsa_enable_private_segment 0
		.amdhsa_system_sgpr_workgroup_id_x 1
		.amdhsa_system_sgpr_workgroup_id_y 0
		.amdhsa_system_sgpr_workgroup_id_z 0
		.amdhsa_system_sgpr_workgroup_info 0
		.amdhsa_system_vgpr_workitem_id 0
		.amdhsa_next_free_vgpr 1
		.amdhsa_next_free_sgpr 0
		.amdhsa_accum_offset 4
		.amdhsa_reserve_vcc 0
		.amdhsa_float_round_mode_32 0
		.amdhsa_float_round_mode_16_64 0
		.amdhsa_float_denorm_mode_32 3
		.amdhsa_float_denorm_mode_16_64 3
		.amdhsa_dx10_clamp 1
		.amdhsa_ieee_mode 1
		.amdhsa_fp16_overflow 0
		.amdhsa_tg_split 0
		.amdhsa_exception_fp_ieee_invalid_op 0
		.amdhsa_exception_fp_denorm_src 0
		.amdhsa_exception_fp_ieee_div_zero 0
		.amdhsa_exception_fp_ieee_overflow 0
		.amdhsa_exception_fp_ieee_underflow 0
		.amdhsa_exception_fp_ieee_inexact 0
		.amdhsa_exception_int_div_zero 0
	.end_amdhsa_kernel
	.section	.text._ZN7rocprim17ROCPRIM_400000_NS6detail17trampoline_kernelINS0_14default_configENS1_25partition_config_selectorILNS1_17partition_subalgoE8ElNS0_10empty_typeEbEEZZNS1_14partition_implILS5_8ELb0ES3_jPlPS6_PKS6_NS0_5tupleIJS9_S6_EEENSD_IJSA_SA_EEENS0_18inequality_wrapperIZN2at6native12_GLOBAL__N_124unique_dim_cuda_templateIsEESt5tupleIJNSH_6TensorESM_SM_EERKSM_lbbbEUlllE0_EEPmJS6_EEE10hipError_tPvRmT3_T4_T5_T6_T7_T9_mT8_P12ihipStream_tbDpT10_ENKUlT_T0_E_clISt17integral_constantIbLb0EES1B_IbLb1EEEEDaS17_S18_EUlS17_E_NS1_11comp_targetILNS1_3genE3ELNS1_11target_archE908ELNS1_3gpuE7ELNS1_3repE0EEENS1_30default_config_static_selectorELNS0_4arch9wavefront6targetE1EEEvT1_,"axG",@progbits,_ZN7rocprim17ROCPRIM_400000_NS6detail17trampoline_kernelINS0_14default_configENS1_25partition_config_selectorILNS1_17partition_subalgoE8ElNS0_10empty_typeEbEEZZNS1_14partition_implILS5_8ELb0ES3_jPlPS6_PKS6_NS0_5tupleIJS9_S6_EEENSD_IJSA_SA_EEENS0_18inequality_wrapperIZN2at6native12_GLOBAL__N_124unique_dim_cuda_templateIsEESt5tupleIJNSH_6TensorESM_SM_EERKSM_lbbbEUlllE0_EEPmJS6_EEE10hipError_tPvRmT3_T4_T5_T6_T7_T9_mT8_P12ihipStream_tbDpT10_ENKUlT_T0_E_clISt17integral_constantIbLb0EES1B_IbLb1EEEEDaS17_S18_EUlS17_E_NS1_11comp_targetILNS1_3genE3ELNS1_11target_archE908ELNS1_3gpuE7ELNS1_3repE0EEENS1_30default_config_static_selectorELNS0_4arch9wavefront6targetE1EEEvT1_,comdat
.Lfunc_end717:
	.size	_ZN7rocprim17ROCPRIM_400000_NS6detail17trampoline_kernelINS0_14default_configENS1_25partition_config_selectorILNS1_17partition_subalgoE8ElNS0_10empty_typeEbEEZZNS1_14partition_implILS5_8ELb0ES3_jPlPS6_PKS6_NS0_5tupleIJS9_S6_EEENSD_IJSA_SA_EEENS0_18inequality_wrapperIZN2at6native12_GLOBAL__N_124unique_dim_cuda_templateIsEESt5tupleIJNSH_6TensorESM_SM_EERKSM_lbbbEUlllE0_EEPmJS6_EEE10hipError_tPvRmT3_T4_T5_T6_T7_T9_mT8_P12ihipStream_tbDpT10_ENKUlT_T0_E_clISt17integral_constantIbLb0EES1B_IbLb1EEEEDaS17_S18_EUlS17_E_NS1_11comp_targetILNS1_3genE3ELNS1_11target_archE908ELNS1_3gpuE7ELNS1_3repE0EEENS1_30default_config_static_selectorELNS0_4arch9wavefront6targetE1EEEvT1_, .Lfunc_end717-_ZN7rocprim17ROCPRIM_400000_NS6detail17trampoline_kernelINS0_14default_configENS1_25partition_config_selectorILNS1_17partition_subalgoE8ElNS0_10empty_typeEbEEZZNS1_14partition_implILS5_8ELb0ES3_jPlPS6_PKS6_NS0_5tupleIJS9_S6_EEENSD_IJSA_SA_EEENS0_18inequality_wrapperIZN2at6native12_GLOBAL__N_124unique_dim_cuda_templateIsEESt5tupleIJNSH_6TensorESM_SM_EERKSM_lbbbEUlllE0_EEPmJS6_EEE10hipError_tPvRmT3_T4_T5_T6_T7_T9_mT8_P12ihipStream_tbDpT10_ENKUlT_T0_E_clISt17integral_constantIbLb0EES1B_IbLb1EEEEDaS17_S18_EUlS17_E_NS1_11comp_targetILNS1_3genE3ELNS1_11target_archE908ELNS1_3gpuE7ELNS1_3repE0EEENS1_30default_config_static_selectorELNS0_4arch9wavefront6targetE1EEEvT1_
                                        ; -- End function
	.section	.AMDGPU.csdata,"",@progbits
; Kernel info:
; codeLenInByte = 0
; NumSgprs: 6
; NumVgprs: 0
; NumAgprs: 0
; TotalNumVgprs: 0
; ScratchSize: 0
; MemoryBound: 0
; FloatMode: 240
; IeeeMode: 1
; LDSByteSize: 0 bytes/workgroup (compile time only)
; SGPRBlocks: 0
; VGPRBlocks: 0
; NumSGPRsForWavesPerEU: 6
; NumVGPRsForWavesPerEU: 1
; AccumOffset: 4
; Occupancy: 8
; WaveLimiterHint : 0
; COMPUTE_PGM_RSRC2:SCRATCH_EN: 0
; COMPUTE_PGM_RSRC2:USER_SGPR: 2
; COMPUTE_PGM_RSRC2:TRAP_HANDLER: 0
; COMPUTE_PGM_RSRC2:TGID_X_EN: 1
; COMPUTE_PGM_RSRC2:TGID_Y_EN: 0
; COMPUTE_PGM_RSRC2:TGID_Z_EN: 0
; COMPUTE_PGM_RSRC2:TIDIG_COMP_CNT: 0
; COMPUTE_PGM_RSRC3_GFX90A:ACCUM_OFFSET: 0
; COMPUTE_PGM_RSRC3_GFX90A:TG_SPLIT: 0
	.section	.text._ZN7rocprim17ROCPRIM_400000_NS6detail17trampoline_kernelINS0_14default_configENS1_25partition_config_selectorILNS1_17partition_subalgoE8ElNS0_10empty_typeEbEEZZNS1_14partition_implILS5_8ELb0ES3_jPlPS6_PKS6_NS0_5tupleIJS9_S6_EEENSD_IJSA_SA_EEENS0_18inequality_wrapperIZN2at6native12_GLOBAL__N_124unique_dim_cuda_templateIsEESt5tupleIJNSH_6TensorESM_SM_EERKSM_lbbbEUlllE0_EEPmJS6_EEE10hipError_tPvRmT3_T4_T5_T6_T7_T9_mT8_P12ihipStream_tbDpT10_ENKUlT_T0_E_clISt17integral_constantIbLb0EES1B_IbLb1EEEEDaS17_S18_EUlS17_E_NS1_11comp_targetILNS1_3genE2ELNS1_11target_archE906ELNS1_3gpuE6ELNS1_3repE0EEENS1_30default_config_static_selectorELNS0_4arch9wavefront6targetE1EEEvT1_,"axG",@progbits,_ZN7rocprim17ROCPRIM_400000_NS6detail17trampoline_kernelINS0_14default_configENS1_25partition_config_selectorILNS1_17partition_subalgoE8ElNS0_10empty_typeEbEEZZNS1_14partition_implILS5_8ELb0ES3_jPlPS6_PKS6_NS0_5tupleIJS9_S6_EEENSD_IJSA_SA_EEENS0_18inequality_wrapperIZN2at6native12_GLOBAL__N_124unique_dim_cuda_templateIsEESt5tupleIJNSH_6TensorESM_SM_EERKSM_lbbbEUlllE0_EEPmJS6_EEE10hipError_tPvRmT3_T4_T5_T6_T7_T9_mT8_P12ihipStream_tbDpT10_ENKUlT_T0_E_clISt17integral_constantIbLb0EES1B_IbLb1EEEEDaS17_S18_EUlS17_E_NS1_11comp_targetILNS1_3genE2ELNS1_11target_archE906ELNS1_3gpuE6ELNS1_3repE0EEENS1_30default_config_static_selectorELNS0_4arch9wavefront6targetE1EEEvT1_,comdat
	.globl	_ZN7rocprim17ROCPRIM_400000_NS6detail17trampoline_kernelINS0_14default_configENS1_25partition_config_selectorILNS1_17partition_subalgoE8ElNS0_10empty_typeEbEEZZNS1_14partition_implILS5_8ELb0ES3_jPlPS6_PKS6_NS0_5tupleIJS9_S6_EEENSD_IJSA_SA_EEENS0_18inequality_wrapperIZN2at6native12_GLOBAL__N_124unique_dim_cuda_templateIsEESt5tupleIJNSH_6TensorESM_SM_EERKSM_lbbbEUlllE0_EEPmJS6_EEE10hipError_tPvRmT3_T4_T5_T6_T7_T9_mT8_P12ihipStream_tbDpT10_ENKUlT_T0_E_clISt17integral_constantIbLb0EES1B_IbLb1EEEEDaS17_S18_EUlS17_E_NS1_11comp_targetILNS1_3genE2ELNS1_11target_archE906ELNS1_3gpuE6ELNS1_3repE0EEENS1_30default_config_static_selectorELNS0_4arch9wavefront6targetE1EEEvT1_ ; -- Begin function _ZN7rocprim17ROCPRIM_400000_NS6detail17trampoline_kernelINS0_14default_configENS1_25partition_config_selectorILNS1_17partition_subalgoE8ElNS0_10empty_typeEbEEZZNS1_14partition_implILS5_8ELb0ES3_jPlPS6_PKS6_NS0_5tupleIJS9_S6_EEENSD_IJSA_SA_EEENS0_18inequality_wrapperIZN2at6native12_GLOBAL__N_124unique_dim_cuda_templateIsEESt5tupleIJNSH_6TensorESM_SM_EERKSM_lbbbEUlllE0_EEPmJS6_EEE10hipError_tPvRmT3_T4_T5_T6_T7_T9_mT8_P12ihipStream_tbDpT10_ENKUlT_T0_E_clISt17integral_constantIbLb0EES1B_IbLb1EEEEDaS17_S18_EUlS17_E_NS1_11comp_targetILNS1_3genE2ELNS1_11target_archE906ELNS1_3gpuE6ELNS1_3repE0EEENS1_30default_config_static_selectorELNS0_4arch9wavefront6targetE1EEEvT1_
	.p2align	8
	.type	_ZN7rocprim17ROCPRIM_400000_NS6detail17trampoline_kernelINS0_14default_configENS1_25partition_config_selectorILNS1_17partition_subalgoE8ElNS0_10empty_typeEbEEZZNS1_14partition_implILS5_8ELb0ES3_jPlPS6_PKS6_NS0_5tupleIJS9_S6_EEENSD_IJSA_SA_EEENS0_18inequality_wrapperIZN2at6native12_GLOBAL__N_124unique_dim_cuda_templateIsEESt5tupleIJNSH_6TensorESM_SM_EERKSM_lbbbEUlllE0_EEPmJS6_EEE10hipError_tPvRmT3_T4_T5_T6_T7_T9_mT8_P12ihipStream_tbDpT10_ENKUlT_T0_E_clISt17integral_constantIbLb0EES1B_IbLb1EEEEDaS17_S18_EUlS17_E_NS1_11comp_targetILNS1_3genE2ELNS1_11target_archE906ELNS1_3gpuE6ELNS1_3repE0EEENS1_30default_config_static_selectorELNS0_4arch9wavefront6targetE1EEEvT1_,@function
_ZN7rocprim17ROCPRIM_400000_NS6detail17trampoline_kernelINS0_14default_configENS1_25partition_config_selectorILNS1_17partition_subalgoE8ElNS0_10empty_typeEbEEZZNS1_14partition_implILS5_8ELb0ES3_jPlPS6_PKS6_NS0_5tupleIJS9_S6_EEENSD_IJSA_SA_EEENS0_18inequality_wrapperIZN2at6native12_GLOBAL__N_124unique_dim_cuda_templateIsEESt5tupleIJNSH_6TensorESM_SM_EERKSM_lbbbEUlllE0_EEPmJS6_EEE10hipError_tPvRmT3_T4_T5_T6_T7_T9_mT8_P12ihipStream_tbDpT10_ENKUlT_T0_E_clISt17integral_constantIbLb0EES1B_IbLb1EEEEDaS17_S18_EUlS17_E_NS1_11comp_targetILNS1_3genE2ELNS1_11target_archE906ELNS1_3gpuE6ELNS1_3repE0EEENS1_30default_config_static_selectorELNS0_4arch9wavefront6targetE1EEEvT1_: ; @_ZN7rocprim17ROCPRIM_400000_NS6detail17trampoline_kernelINS0_14default_configENS1_25partition_config_selectorILNS1_17partition_subalgoE8ElNS0_10empty_typeEbEEZZNS1_14partition_implILS5_8ELb0ES3_jPlPS6_PKS6_NS0_5tupleIJS9_S6_EEENSD_IJSA_SA_EEENS0_18inequality_wrapperIZN2at6native12_GLOBAL__N_124unique_dim_cuda_templateIsEESt5tupleIJNSH_6TensorESM_SM_EERKSM_lbbbEUlllE0_EEPmJS6_EEE10hipError_tPvRmT3_T4_T5_T6_T7_T9_mT8_P12ihipStream_tbDpT10_ENKUlT_T0_E_clISt17integral_constantIbLb0EES1B_IbLb1EEEEDaS17_S18_EUlS17_E_NS1_11comp_targetILNS1_3genE2ELNS1_11target_archE906ELNS1_3gpuE6ELNS1_3repE0EEENS1_30default_config_static_selectorELNS0_4arch9wavefront6targetE1EEEvT1_
; %bb.0:
	.section	.rodata,"a",@progbits
	.p2align	6, 0x0
	.amdhsa_kernel _ZN7rocprim17ROCPRIM_400000_NS6detail17trampoline_kernelINS0_14default_configENS1_25partition_config_selectorILNS1_17partition_subalgoE8ElNS0_10empty_typeEbEEZZNS1_14partition_implILS5_8ELb0ES3_jPlPS6_PKS6_NS0_5tupleIJS9_S6_EEENSD_IJSA_SA_EEENS0_18inequality_wrapperIZN2at6native12_GLOBAL__N_124unique_dim_cuda_templateIsEESt5tupleIJNSH_6TensorESM_SM_EERKSM_lbbbEUlllE0_EEPmJS6_EEE10hipError_tPvRmT3_T4_T5_T6_T7_T9_mT8_P12ihipStream_tbDpT10_ENKUlT_T0_E_clISt17integral_constantIbLb0EES1B_IbLb1EEEEDaS17_S18_EUlS17_E_NS1_11comp_targetILNS1_3genE2ELNS1_11target_archE906ELNS1_3gpuE6ELNS1_3repE0EEENS1_30default_config_static_selectorELNS0_4arch9wavefront6targetE1EEEvT1_
		.amdhsa_group_segment_fixed_size 0
		.amdhsa_private_segment_fixed_size 0
		.amdhsa_kernarg_size 136
		.amdhsa_user_sgpr_count 2
		.amdhsa_user_sgpr_dispatch_ptr 0
		.amdhsa_user_sgpr_queue_ptr 0
		.amdhsa_user_sgpr_kernarg_segment_ptr 1
		.amdhsa_user_sgpr_dispatch_id 0
		.amdhsa_user_sgpr_kernarg_preload_length 0
		.amdhsa_user_sgpr_kernarg_preload_offset 0
		.amdhsa_user_sgpr_private_segment_size 0
		.amdhsa_uses_dynamic_stack 0
		.amdhsa_enable_private_segment 0
		.amdhsa_system_sgpr_workgroup_id_x 1
		.amdhsa_system_sgpr_workgroup_id_y 0
		.amdhsa_system_sgpr_workgroup_id_z 0
		.amdhsa_system_sgpr_workgroup_info 0
		.amdhsa_system_vgpr_workitem_id 0
		.amdhsa_next_free_vgpr 1
		.amdhsa_next_free_sgpr 0
		.amdhsa_accum_offset 4
		.amdhsa_reserve_vcc 0
		.amdhsa_float_round_mode_32 0
		.amdhsa_float_round_mode_16_64 0
		.amdhsa_float_denorm_mode_32 3
		.amdhsa_float_denorm_mode_16_64 3
		.amdhsa_dx10_clamp 1
		.amdhsa_ieee_mode 1
		.amdhsa_fp16_overflow 0
		.amdhsa_tg_split 0
		.amdhsa_exception_fp_ieee_invalid_op 0
		.amdhsa_exception_fp_denorm_src 0
		.amdhsa_exception_fp_ieee_div_zero 0
		.amdhsa_exception_fp_ieee_overflow 0
		.amdhsa_exception_fp_ieee_underflow 0
		.amdhsa_exception_fp_ieee_inexact 0
		.amdhsa_exception_int_div_zero 0
	.end_amdhsa_kernel
	.section	.text._ZN7rocprim17ROCPRIM_400000_NS6detail17trampoline_kernelINS0_14default_configENS1_25partition_config_selectorILNS1_17partition_subalgoE8ElNS0_10empty_typeEbEEZZNS1_14partition_implILS5_8ELb0ES3_jPlPS6_PKS6_NS0_5tupleIJS9_S6_EEENSD_IJSA_SA_EEENS0_18inequality_wrapperIZN2at6native12_GLOBAL__N_124unique_dim_cuda_templateIsEESt5tupleIJNSH_6TensorESM_SM_EERKSM_lbbbEUlllE0_EEPmJS6_EEE10hipError_tPvRmT3_T4_T5_T6_T7_T9_mT8_P12ihipStream_tbDpT10_ENKUlT_T0_E_clISt17integral_constantIbLb0EES1B_IbLb1EEEEDaS17_S18_EUlS17_E_NS1_11comp_targetILNS1_3genE2ELNS1_11target_archE906ELNS1_3gpuE6ELNS1_3repE0EEENS1_30default_config_static_selectorELNS0_4arch9wavefront6targetE1EEEvT1_,"axG",@progbits,_ZN7rocprim17ROCPRIM_400000_NS6detail17trampoline_kernelINS0_14default_configENS1_25partition_config_selectorILNS1_17partition_subalgoE8ElNS0_10empty_typeEbEEZZNS1_14partition_implILS5_8ELb0ES3_jPlPS6_PKS6_NS0_5tupleIJS9_S6_EEENSD_IJSA_SA_EEENS0_18inequality_wrapperIZN2at6native12_GLOBAL__N_124unique_dim_cuda_templateIsEESt5tupleIJNSH_6TensorESM_SM_EERKSM_lbbbEUlllE0_EEPmJS6_EEE10hipError_tPvRmT3_T4_T5_T6_T7_T9_mT8_P12ihipStream_tbDpT10_ENKUlT_T0_E_clISt17integral_constantIbLb0EES1B_IbLb1EEEEDaS17_S18_EUlS17_E_NS1_11comp_targetILNS1_3genE2ELNS1_11target_archE906ELNS1_3gpuE6ELNS1_3repE0EEENS1_30default_config_static_selectorELNS0_4arch9wavefront6targetE1EEEvT1_,comdat
.Lfunc_end718:
	.size	_ZN7rocprim17ROCPRIM_400000_NS6detail17trampoline_kernelINS0_14default_configENS1_25partition_config_selectorILNS1_17partition_subalgoE8ElNS0_10empty_typeEbEEZZNS1_14partition_implILS5_8ELb0ES3_jPlPS6_PKS6_NS0_5tupleIJS9_S6_EEENSD_IJSA_SA_EEENS0_18inequality_wrapperIZN2at6native12_GLOBAL__N_124unique_dim_cuda_templateIsEESt5tupleIJNSH_6TensorESM_SM_EERKSM_lbbbEUlllE0_EEPmJS6_EEE10hipError_tPvRmT3_T4_T5_T6_T7_T9_mT8_P12ihipStream_tbDpT10_ENKUlT_T0_E_clISt17integral_constantIbLb0EES1B_IbLb1EEEEDaS17_S18_EUlS17_E_NS1_11comp_targetILNS1_3genE2ELNS1_11target_archE906ELNS1_3gpuE6ELNS1_3repE0EEENS1_30default_config_static_selectorELNS0_4arch9wavefront6targetE1EEEvT1_, .Lfunc_end718-_ZN7rocprim17ROCPRIM_400000_NS6detail17trampoline_kernelINS0_14default_configENS1_25partition_config_selectorILNS1_17partition_subalgoE8ElNS0_10empty_typeEbEEZZNS1_14partition_implILS5_8ELb0ES3_jPlPS6_PKS6_NS0_5tupleIJS9_S6_EEENSD_IJSA_SA_EEENS0_18inequality_wrapperIZN2at6native12_GLOBAL__N_124unique_dim_cuda_templateIsEESt5tupleIJNSH_6TensorESM_SM_EERKSM_lbbbEUlllE0_EEPmJS6_EEE10hipError_tPvRmT3_T4_T5_T6_T7_T9_mT8_P12ihipStream_tbDpT10_ENKUlT_T0_E_clISt17integral_constantIbLb0EES1B_IbLb1EEEEDaS17_S18_EUlS17_E_NS1_11comp_targetILNS1_3genE2ELNS1_11target_archE906ELNS1_3gpuE6ELNS1_3repE0EEENS1_30default_config_static_selectorELNS0_4arch9wavefront6targetE1EEEvT1_
                                        ; -- End function
	.section	.AMDGPU.csdata,"",@progbits
; Kernel info:
; codeLenInByte = 0
; NumSgprs: 6
; NumVgprs: 0
; NumAgprs: 0
; TotalNumVgprs: 0
; ScratchSize: 0
; MemoryBound: 0
; FloatMode: 240
; IeeeMode: 1
; LDSByteSize: 0 bytes/workgroup (compile time only)
; SGPRBlocks: 0
; VGPRBlocks: 0
; NumSGPRsForWavesPerEU: 6
; NumVGPRsForWavesPerEU: 1
; AccumOffset: 4
; Occupancy: 8
; WaveLimiterHint : 0
; COMPUTE_PGM_RSRC2:SCRATCH_EN: 0
; COMPUTE_PGM_RSRC2:USER_SGPR: 2
; COMPUTE_PGM_RSRC2:TRAP_HANDLER: 0
; COMPUTE_PGM_RSRC2:TGID_X_EN: 1
; COMPUTE_PGM_RSRC2:TGID_Y_EN: 0
; COMPUTE_PGM_RSRC2:TGID_Z_EN: 0
; COMPUTE_PGM_RSRC2:TIDIG_COMP_CNT: 0
; COMPUTE_PGM_RSRC3_GFX90A:ACCUM_OFFSET: 0
; COMPUTE_PGM_RSRC3_GFX90A:TG_SPLIT: 0
	.section	.text._ZN7rocprim17ROCPRIM_400000_NS6detail17trampoline_kernelINS0_14default_configENS1_25partition_config_selectorILNS1_17partition_subalgoE8ElNS0_10empty_typeEbEEZZNS1_14partition_implILS5_8ELb0ES3_jPlPS6_PKS6_NS0_5tupleIJS9_S6_EEENSD_IJSA_SA_EEENS0_18inequality_wrapperIZN2at6native12_GLOBAL__N_124unique_dim_cuda_templateIsEESt5tupleIJNSH_6TensorESM_SM_EERKSM_lbbbEUlllE0_EEPmJS6_EEE10hipError_tPvRmT3_T4_T5_T6_T7_T9_mT8_P12ihipStream_tbDpT10_ENKUlT_T0_E_clISt17integral_constantIbLb0EES1B_IbLb1EEEEDaS17_S18_EUlS17_E_NS1_11comp_targetILNS1_3genE10ELNS1_11target_archE1200ELNS1_3gpuE4ELNS1_3repE0EEENS1_30default_config_static_selectorELNS0_4arch9wavefront6targetE1EEEvT1_,"axG",@progbits,_ZN7rocprim17ROCPRIM_400000_NS6detail17trampoline_kernelINS0_14default_configENS1_25partition_config_selectorILNS1_17partition_subalgoE8ElNS0_10empty_typeEbEEZZNS1_14partition_implILS5_8ELb0ES3_jPlPS6_PKS6_NS0_5tupleIJS9_S6_EEENSD_IJSA_SA_EEENS0_18inequality_wrapperIZN2at6native12_GLOBAL__N_124unique_dim_cuda_templateIsEESt5tupleIJNSH_6TensorESM_SM_EERKSM_lbbbEUlllE0_EEPmJS6_EEE10hipError_tPvRmT3_T4_T5_T6_T7_T9_mT8_P12ihipStream_tbDpT10_ENKUlT_T0_E_clISt17integral_constantIbLb0EES1B_IbLb1EEEEDaS17_S18_EUlS17_E_NS1_11comp_targetILNS1_3genE10ELNS1_11target_archE1200ELNS1_3gpuE4ELNS1_3repE0EEENS1_30default_config_static_selectorELNS0_4arch9wavefront6targetE1EEEvT1_,comdat
	.globl	_ZN7rocprim17ROCPRIM_400000_NS6detail17trampoline_kernelINS0_14default_configENS1_25partition_config_selectorILNS1_17partition_subalgoE8ElNS0_10empty_typeEbEEZZNS1_14partition_implILS5_8ELb0ES3_jPlPS6_PKS6_NS0_5tupleIJS9_S6_EEENSD_IJSA_SA_EEENS0_18inequality_wrapperIZN2at6native12_GLOBAL__N_124unique_dim_cuda_templateIsEESt5tupleIJNSH_6TensorESM_SM_EERKSM_lbbbEUlllE0_EEPmJS6_EEE10hipError_tPvRmT3_T4_T5_T6_T7_T9_mT8_P12ihipStream_tbDpT10_ENKUlT_T0_E_clISt17integral_constantIbLb0EES1B_IbLb1EEEEDaS17_S18_EUlS17_E_NS1_11comp_targetILNS1_3genE10ELNS1_11target_archE1200ELNS1_3gpuE4ELNS1_3repE0EEENS1_30default_config_static_selectorELNS0_4arch9wavefront6targetE1EEEvT1_ ; -- Begin function _ZN7rocprim17ROCPRIM_400000_NS6detail17trampoline_kernelINS0_14default_configENS1_25partition_config_selectorILNS1_17partition_subalgoE8ElNS0_10empty_typeEbEEZZNS1_14partition_implILS5_8ELb0ES3_jPlPS6_PKS6_NS0_5tupleIJS9_S6_EEENSD_IJSA_SA_EEENS0_18inequality_wrapperIZN2at6native12_GLOBAL__N_124unique_dim_cuda_templateIsEESt5tupleIJNSH_6TensorESM_SM_EERKSM_lbbbEUlllE0_EEPmJS6_EEE10hipError_tPvRmT3_T4_T5_T6_T7_T9_mT8_P12ihipStream_tbDpT10_ENKUlT_T0_E_clISt17integral_constantIbLb0EES1B_IbLb1EEEEDaS17_S18_EUlS17_E_NS1_11comp_targetILNS1_3genE10ELNS1_11target_archE1200ELNS1_3gpuE4ELNS1_3repE0EEENS1_30default_config_static_selectorELNS0_4arch9wavefront6targetE1EEEvT1_
	.p2align	8
	.type	_ZN7rocprim17ROCPRIM_400000_NS6detail17trampoline_kernelINS0_14default_configENS1_25partition_config_selectorILNS1_17partition_subalgoE8ElNS0_10empty_typeEbEEZZNS1_14partition_implILS5_8ELb0ES3_jPlPS6_PKS6_NS0_5tupleIJS9_S6_EEENSD_IJSA_SA_EEENS0_18inequality_wrapperIZN2at6native12_GLOBAL__N_124unique_dim_cuda_templateIsEESt5tupleIJNSH_6TensorESM_SM_EERKSM_lbbbEUlllE0_EEPmJS6_EEE10hipError_tPvRmT3_T4_T5_T6_T7_T9_mT8_P12ihipStream_tbDpT10_ENKUlT_T0_E_clISt17integral_constantIbLb0EES1B_IbLb1EEEEDaS17_S18_EUlS17_E_NS1_11comp_targetILNS1_3genE10ELNS1_11target_archE1200ELNS1_3gpuE4ELNS1_3repE0EEENS1_30default_config_static_selectorELNS0_4arch9wavefront6targetE1EEEvT1_,@function
_ZN7rocprim17ROCPRIM_400000_NS6detail17trampoline_kernelINS0_14default_configENS1_25partition_config_selectorILNS1_17partition_subalgoE8ElNS0_10empty_typeEbEEZZNS1_14partition_implILS5_8ELb0ES3_jPlPS6_PKS6_NS0_5tupleIJS9_S6_EEENSD_IJSA_SA_EEENS0_18inequality_wrapperIZN2at6native12_GLOBAL__N_124unique_dim_cuda_templateIsEESt5tupleIJNSH_6TensorESM_SM_EERKSM_lbbbEUlllE0_EEPmJS6_EEE10hipError_tPvRmT3_T4_T5_T6_T7_T9_mT8_P12ihipStream_tbDpT10_ENKUlT_T0_E_clISt17integral_constantIbLb0EES1B_IbLb1EEEEDaS17_S18_EUlS17_E_NS1_11comp_targetILNS1_3genE10ELNS1_11target_archE1200ELNS1_3gpuE4ELNS1_3repE0EEENS1_30default_config_static_selectorELNS0_4arch9wavefront6targetE1EEEvT1_: ; @_ZN7rocprim17ROCPRIM_400000_NS6detail17trampoline_kernelINS0_14default_configENS1_25partition_config_selectorILNS1_17partition_subalgoE8ElNS0_10empty_typeEbEEZZNS1_14partition_implILS5_8ELb0ES3_jPlPS6_PKS6_NS0_5tupleIJS9_S6_EEENSD_IJSA_SA_EEENS0_18inequality_wrapperIZN2at6native12_GLOBAL__N_124unique_dim_cuda_templateIsEESt5tupleIJNSH_6TensorESM_SM_EERKSM_lbbbEUlllE0_EEPmJS6_EEE10hipError_tPvRmT3_T4_T5_T6_T7_T9_mT8_P12ihipStream_tbDpT10_ENKUlT_T0_E_clISt17integral_constantIbLb0EES1B_IbLb1EEEEDaS17_S18_EUlS17_E_NS1_11comp_targetILNS1_3genE10ELNS1_11target_archE1200ELNS1_3gpuE4ELNS1_3repE0EEENS1_30default_config_static_selectorELNS0_4arch9wavefront6targetE1EEEvT1_
; %bb.0:
	.section	.rodata,"a",@progbits
	.p2align	6, 0x0
	.amdhsa_kernel _ZN7rocprim17ROCPRIM_400000_NS6detail17trampoline_kernelINS0_14default_configENS1_25partition_config_selectorILNS1_17partition_subalgoE8ElNS0_10empty_typeEbEEZZNS1_14partition_implILS5_8ELb0ES3_jPlPS6_PKS6_NS0_5tupleIJS9_S6_EEENSD_IJSA_SA_EEENS0_18inequality_wrapperIZN2at6native12_GLOBAL__N_124unique_dim_cuda_templateIsEESt5tupleIJNSH_6TensorESM_SM_EERKSM_lbbbEUlllE0_EEPmJS6_EEE10hipError_tPvRmT3_T4_T5_T6_T7_T9_mT8_P12ihipStream_tbDpT10_ENKUlT_T0_E_clISt17integral_constantIbLb0EES1B_IbLb1EEEEDaS17_S18_EUlS17_E_NS1_11comp_targetILNS1_3genE10ELNS1_11target_archE1200ELNS1_3gpuE4ELNS1_3repE0EEENS1_30default_config_static_selectorELNS0_4arch9wavefront6targetE1EEEvT1_
		.amdhsa_group_segment_fixed_size 0
		.amdhsa_private_segment_fixed_size 0
		.amdhsa_kernarg_size 136
		.amdhsa_user_sgpr_count 2
		.amdhsa_user_sgpr_dispatch_ptr 0
		.amdhsa_user_sgpr_queue_ptr 0
		.amdhsa_user_sgpr_kernarg_segment_ptr 1
		.amdhsa_user_sgpr_dispatch_id 0
		.amdhsa_user_sgpr_kernarg_preload_length 0
		.amdhsa_user_sgpr_kernarg_preload_offset 0
		.amdhsa_user_sgpr_private_segment_size 0
		.amdhsa_uses_dynamic_stack 0
		.amdhsa_enable_private_segment 0
		.amdhsa_system_sgpr_workgroup_id_x 1
		.amdhsa_system_sgpr_workgroup_id_y 0
		.amdhsa_system_sgpr_workgroup_id_z 0
		.amdhsa_system_sgpr_workgroup_info 0
		.amdhsa_system_vgpr_workitem_id 0
		.amdhsa_next_free_vgpr 1
		.amdhsa_next_free_sgpr 0
		.amdhsa_accum_offset 4
		.amdhsa_reserve_vcc 0
		.amdhsa_float_round_mode_32 0
		.amdhsa_float_round_mode_16_64 0
		.amdhsa_float_denorm_mode_32 3
		.amdhsa_float_denorm_mode_16_64 3
		.amdhsa_dx10_clamp 1
		.amdhsa_ieee_mode 1
		.amdhsa_fp16_overflow 0
		.amdhsa_tg_split 0
		.amdhsa_exception_fp_ieee_invalid_op 0
		.amdhsa_exception_fp_denorm_src 0
		.amdhsa_exception_fp_ieee_div_zero 0
		.amdhsa_exception_fp_ieee_overflow 0
		.amdhsa_exception_fp_ieee_underflow 0
		.amdhsa_exception_fp_ieee_inexact 0
		.amdhsa_exception_int_div_zero 0
	.end_amdhsa_kernel
	.section	.text._ZN7rocprim17ROCPRIM_400000_NS6detail17trampoline_kernelINS0_14default_configENS1_25partition_config_selectorILNS1_17partition_subalgoE8ElNS0_10empty_typeEbEEZZNS1_14partition_implILS5_8ELb0ES3_jPlPS6_PKS6_NS0_5tupleIJS9_S6_EEENSD_IJSA_SA_EEENS0_18inequality_wrapperIZN2at6native12_GLOBAL__N_124unique_dim_cuda_templateIsEESt5tupleIJNSH_6TensorESM_SM_EERKSM_lbbbEUlllE0_EEPmJS6_EEE10hipError_tPvRmT3_T4_T5_T6_T7_T9_mT8_P12ihipStream_tbDpT10_ENKUlT_T0_E_clISt17integral_constantIbLb0EES1B_IbLb1EEEEDaS17_S18_EUlS17_E_NS1_11comp_targetILNS1_3genE10ELNS1_11target_archE1200ELNS1_3gpuE4ELNS1_3repE0EEENS1_30default_config_static_selectorELNS0_4arch9wavefront6targetE1EEEvT1_,"axG",@progbits,_ZN7rocprim17ROCPRIM_400000_NS6detail17trampoline_kernelINS0_14default_configENS1_25partition_config_selectorILNS1_17partition_subalgoE8ElNS0_10empty_typeEbEEZZNS1_14partition_implILS5_8ELb0ES3_jPlPS6_PKS6_NS0_5tupleIJS9_S6_EEENSD_IJSA_SA_EEENS0_18inequality_wrapperIZN2at6native12_GLOBAL__N_124unique_dim_cuda_templateIsEESt5tupleIJNSH_6TensorESM_SM_EERKSM_lbbbEUlllE0_EEPmJS6_EEE10hipError_tPvRmT3_T4_T5_T6_T7_T9_mT8_P12ihipStream_tbDpT10_ENKUlT_T0_E_clISt17integral_constantIbLb0EES1B_IbLb1EEEEDaS17_S18_EUlS17_E_NS1_11comp_targetILNS1_3genE10ELNS1_11target_archE1200ELNS1_3gpuE4ELNS1_3repE0EEENS1_30default_config_static_selectorELNS0_4arch9wavefront6targetE1EEEvT1_,comdat
.Lfunc_end719:
	.size	_ZN7rocprim17ROCPRIM_400000_NS6detail17trampoline_kernelINS0_14default_configENS1_25partition_config_selectorILNS1_17partition_subalgoE8ElNS0_10empty_typeEbEEZZNS1_14partition_implILS5_8ELb0ES3_jPlPS6_PKS6_NS0_5tupleIJS9_S6_EEENSD_IJSA_SA_EEENS0_18inequality_wrapperIZN2at6native12_GLOBAL__N_124unique_dim_cuda_templateIsEESt5tupleIJNSH_6TensorESM_SM_EERKSM_lbbbEUlllE0_EEPmJS6_EEE10hipError_tPvRmT3_T4_T5_T6_T7_T9_mT8_P12ihipStream_tbDpT10_ENKUlT_T0_E_clISt17integral_constantIbLb0EES1B_IbLb1EEEEDaS17_S18_EUlS17_E_NS1_11comp_targetILNS1_3genE10ELNS1_11target_archE1200ELNS1_3gpuE4ELNS1_3repE0EEENS1_30default_config_static_selectorELNS0_4arch9wavefront6targetE1EEEvT1_, .Lfunc_end719-_ZN7rocprim17ROCPRIM_400000_NS6detail17trampoline_kernelINS0_14default_configENS1_25partition_config_selectorILNS1_17partition_subalgoE8ElNS0_10empty_typeEbEEZZNS1_14partition_implILS5_8ELb0ES3_jPlPS6_PKS6_NS0_5tupleIJS9_S6_EEENSD_IJSA_SA_EEENS0_18inequality_wrapperIZN2at6native12_GLOBAL__N_124unique_dim_cuda_templateIsEESt5tupleIJNSH_6TensorESM_SM_EERKSM_lbbbEUlllE0_EEPmJS6_EEE10hipError_tPvRmT3_T4_T5_T6_T7_T9_mT8_P12ihipStream_tbDpT10_ENKUlT_T0_E_clISt17integral_constantIbLb0EES1B_IbLb1EEEEDaS17_S18_EUlS17_E_NS1_11comp_targetILNS1_3genE10ELNS1_11target_archE1200ELNS1_3gpuE4ELNS1_3repE0EEENS1_30default_config_static_selectorELNS0_4arch9wavefront6targetE1EEEvT1_
                                        ; -- End function
	.section	.AMDGPU.csdata,"",@progbits
; Kernel info:
; codeLenInByte = 0
; NumSgprs: 6
; NumVgprs: 0
; NumAgprs: 0
; TotalNumVgprs: 0
; ScratchSize: 0
; MemoryBound: 0
; FloatMode: 240
; IeeeMode: 1
; LDSByteSize: 0 bytes/workgroup (compile time only)
; SGPRBlocks: 0
; VGPRBlocks: 0
; NumSGPRsForWavesPerEU: 6
; NumVGPRsForWavesPerEU: 1
; AccumOffset: 4
; Occupancy: 8
; WaveLimiterHint : 0
; COMPUTE_PGM_RSRC2:SCRATCH_EN: 0
; COMPUTE_PGM_RSRC2:USER_SGPR: 2
; COMPUTE_PGM_RSRC2:TRAP_HANDLER: 0
; COMPUTE_PGM_RSRC2:TGID_X_EN: 1
; COMPUTE_PGM_RSRC2:TGID_Y_EN: 0
; COMPUTE_PGM_RSRC2:TGID_Z_EN: 0
; COMPUTE_PGM_RSRC2:TIDIG_COMP_CNT: 0
; COMPUTE_PGM_RSRC3_GFX90A:ACCUM_OFFSET: 0
; COMPUTE_PGM_RSRC3_GFX90A:TG_SPLIT: 0
	.section	.text._ZN7rocprim17ROCPRIM_400000_NS6detail17trampoline_kernelINS0_14default_configENS1_25partition_config_selectorILNS1_17partition_subalgoE8ElNS0_10empty_typeEbEEZZNS1_14partition_implILS5_8ELb0ES3_jPlPS6_PKS6_NS0_5tupleIJS9_S6_EEENSD_IJSA_SA_EEENS0_18inequality_wrapperIZN2at6native12_GLOBAL__N_124unique_dim_cuda_templateIsEESt5tupleIJNSH_6TensorESM_SM_EERKSM_lbbbEUlllE0_EEPmJS6_EEE10hipError_tPvRmT3_T4_T5_T6_T7_T9_mT8_P12ihipStream_tbDpT10_ENKUlT_T0_E_clISt17integral_constantIbLb0EES1B_IbLb1EEEEDaS17_S18_EUlS17_E_NS1_11comp_targetILNS1_3genE9ELNS1_11target_archE1100ELNS1_3gpuE3ELNS1_3repE0EEENS1_30default_config_static_selectorELNS0_4arch9wavefront6targetE1EEEvT1_,"axG",@progbits,_ZN7rocprim17ROCPRIM_400000_NS6detail17trampoline_kernelINS0_14default_configENS1_25partition_config_selectorILNS1_17partition_subalgoE8ElNS0_10empty_typeEbEEZZNS1_14partition_implILS5_8ELb0ES3_jPlPS6_PKS6_NS0_5tupleIJS9_S6_EEENSD_IJSA_SA_EEENS0_18inequality_wrapperIZN2at6native12_GLOBAL__N_124unique_dim_cuda_templateIsEESt5tupleIJNSH_6TensorESM_SM_EERKSM_lbbbEUlllE0_EEPmJS6_EEE10hipError_tPvRmT3_T4_T5_T6_T7_T9_mT8_P12ihipStream_tbDpT10_ENKUlT_T0_E_clISt17integral_constantIbLb0EES1B_IbLb1EEEEDaS17_S18_EUlS17_E_NS1_11comp_targetILNS1_3genE9ELNS1_11target_archE1100ELNS1_3gpuE3ELNS1_3repE0EEENS1_30default_config_static_selectorELNS0_4arch9wavefront6targetE1EEEvT1_,comdat
	.globl	_ZN7rocprim17ROCPRIM_400000_NS6detail17trampoline_kernelINS0_14default_configENS1_25partition_config_selectorILNS1_17partition_subalgoE8ElNS0_10empty_typeEbEEZZNS1_14partition_implILS5_8ELb0ES3_jPlPS6_PKS6_NS0_5tupleIJS9_S6_EEENSD_IJSA_SA_EEENS0_18inequality_wrapperIZN2at6native12_GLOBAL__N_124unique_dim_cuda_templateIsEESt5tupleIJNSH_6TensorESM_SM_EERKSM_lbbbEUlllE0_EEPmJS6_EEE10hipError_tPvRmT3_T4_T5_T6_T7_T9_mT8_P12ihipStream_tbDpT10_ENKUlT_T0_E_clISt17integral_constantIbLb0EES1B_IbLb1EEEEDaS17_S18_EUlS17_E_NS1_11comp_targetILNS1_3genE9ELNS1_11target_archE1100ELNS1_3gpuE3ELNS1_3repE0EEENS1_30default_config_static_selectorELNS0_4arch9wavefront6targetE1EEEvT1_ ; -- Begin function _ZN7rocprim17ROCPRIM_400000_NS6detail17trampoline_kernelINS0_14default_configENS1_25partition_config_selectorILNS1_17partition_subalgoE8ElNS0_10empty_typeEbEEZZNS1_14partition_implILS5_8ELb0ES3_jPlPS6_PKS6_NS0_5tupleIJS9_S6_EEENSD_IJSA_SA_EEENS0_18inequality_wrapperIZN2at6native12_GLOBAL__N_124unique_dim_cuda_templateIsEESt5tupleIJNSH_6TensorESM_SM_EERKSM_lbbbEUlllE0_EEPmJS6_EEE10hipError_tPvRmT3_T4_T5_T6_T7_T9_mT8_P12ihipStream_tbDpT10_ENKUlT_T0_E_clISt17integral_constantIbLb0EES1B_IbLb1EEEEDaS17_S18_EUlS17_E_NS1_11comp_targetILNS1_3genE9ELNS1_11target_archE1100ELNS1_3gpuE3ELNS1_3repE0EEENS1_30default_config_static_selectorELNS0_4arch9wavefront6targetE1EEEvT1_
	.p2align	8
	.type	_ZN7rocprim17ROCPRIM_400000_NS6detail17trampoline_kernelINS0_14default_configENS1_25partition_config_selectorILNS1_17partition_subalgoE8ElNS0_10empty_typeEbEEZZNS1_14partition_implILS5_8ELb0ES3_jPlPS6_PKS6_NS0_5tupleIJS9_S6_EEENSD_IJSA_SA_EEENS0_18inequality_wrapperIZN2at6native12_GLOBAL__N_124unique_dim_cuda_templateIsEESt5tupleIJNSH_6TensorESM_SM_EERKSM_lbbbEUlllE0_EEPmJS6_EEE10hipError_tPvRmT3_T4_T5_T6_T7_T9_mT8_P12ihipStream_tbDpT10_ENKUlT_T0_E_clISt17integral_constantIbLb0EES1B_IbLb1EEEEDaS17_S18_EUlS17_E_NS1_11comp_targetILNS1_3genE9ELNS1_11target_archE1100ELNS1_3gpuE3ELNS1_3repE0EEENS1_30default_config_static_selectorELNS0_4arch9wavefront6targetE1EEEvT1_,@function
_ZN7rocprim17ROCPRIM_400000_NS6detail17trampoline_kernelINS0_14default_configENS1_25partition_config_selectorILNS1_17partition_subalgoE8ElNS0_10empty_typeEbEEZZNS1_14partition_implILS5_8ELb0ES3_jPlPS6_PKS6_NS0_5tupleIJS9_S6_EEENSD_IJSA_SA_EEENS0_18inequality_wrapperIZN2at6native12_GLOBAL__N_124unique_dim_cuda_templateIsEESt5tupleIJNSH_6TensorESM_SM_EERKSM_lbbbEUlllE0_EEPmJS6_EEE10hipError_tPvRmT3_T4_T5_T6_T7_T9_mT8_P12ihipStream_tbDpT10_ENKUlT_T0_E_clISt17integral_constantIbLb0EES1B_IbLb1EEEEDaS17_S18_EUlS17_E_NS1_11comp_targetILNS1_3genE9ELNS1_11target_archE1100ELNS1_3gpuE3ELNS1_3repE0EEENS1_30default_config_static_selectorELNS0_4arch9wavefront6targetE1EEEvT1_: ; @_ZN7rocprim17ROCPRIM_400000_NS6detail17trampoline_kernelINS0_14default_configENS1_25partition_config_selectorILNS1_17partition_subalgoE8ElNS0_10empty_typeEbEEZZNS1_14partition_implILS5_8ELb0ES3_jPlPS6_PKS6_NS0_5tupleIJS9_S6_EEENSD_IJSA_SA_EEENS0_18inequality_wrapperIZN2at6native12_GLOBAL__N_124unique_dim_cuda_templateIsEESt5tupleIJNSH_6TensorESM_SM_EERKSM_lbbbEUlllE0_EEPmJS6_EEE10hipError_tPvRmT3_T4_T5_T6_T7_T9_mT8_P12ihipStream_tbDpT10_ENKUlT_T0_E_clISt17integral_constantIbLb0EES1B_IbLb1EEEEDaS17_S18_EUlS17_E_NS1_11comp_targetILNS1_3genE9ELNS1_11target_archE1100ELNS1_3gpuE3ELNS1_3repE0EEENS1_30default_config_static_selectorELNS0_4arch9wavefront6targetE1EEEvT1_
; %bb.0:
	.section	.rodata,"a",@progbits
	.p2align	6, 0x0
	.amdhsa_kernel _ZN7rocprim17ROCPRIM_400000_NS6detail17trampoline_kernelINS0_14default_configENS1_25partition_config_selectorILNS1_17partition_subalgoE8ElNS0_10empty_typeEbEEZZNS1_14partition_implILS5_8ELb0ES3_jPlPS6_PKS6_NS0_5tupleIJS9_S6_EEENSD_IJSA_SA_EEENS0_18inequality_wrapperIZN2at6native12_GLOBAL__N_124unique_dim_cuda_templateIsEESt5tupleIJNSH_6TensorESM_SM_EERKSM_lbbbEUlllE0_EEPmJS6_EEE10hipError_tPvRmT3_T4_T5_T6_T7_T9_mT8_P12ihipStream_tbDpT10_ENKUlT_T0_E_clISt17integral_constantIbLb0EES1B_IbLb1EEEEDaS17_S18_EUlS17_E_NS1_11comp_targetILNS1_3genE9ELNS1_11target_archE1100ELNS1_3gpuE3ELNS1_3repE0EEENS1_30default_config_static_selectorELNS0_4arch9wavefront6targetE1EEEvT1_
		.amdhsa_group_segment_fixed_size 0
		.amdhsa_private_segment_fixed_size 0
		.amdhsa_kernarg_size 136
		.amdhsa_user_sgpr_count 2
		.amdhsa_user_sgpr_dispatch_ptr 0
		.amdhsa_user_sgpr_queue_ptr 0
		.amdhsa_user_sgpr_kernarg_segment_ptr 1
		.amdhsa_user_sgpr_dispatch_id 0
		.amdhsa_user_sgpr_kernarg_preload_length 0
		.amdhsa_user_sgpr_kernarg_preload_offset 0
		.amdhsa_user_sgpr_private_segment_size 0
		.amdhsa_uses_dynamic_stack 0
		.amdhsa_enable_private_segment 0
		.amdhsa_system_sgpr_workgroup_id_x 1
		.amdhsa_system_sgpr_workgroup_id_y 0
		.amdhsa_system_sgpr_workgroup_id_z 0
		.amdhsa_system_sgpr_workgroup_info 0
		.amdhsa_system_vgpr_workitem_id 0
		.amdhsa_next_free_vgpr 1
		.amdhsa_next_free_sgpr 0
		.amdhsa_accum_offset 4
		.amdhsa_reserve_vcc 0
		.amdhsa_float_round_mode_32 0
		.amdhsa_float_round_mode_16_64 0
		.amdhsa_float_denorm_mode_32 3
		.amdhsa_float_denorm_mode_16_64 3
		.amdhsa_dx10_clamp 1
		.amdhsa_ieee_mode 1
		.amdhsa_fp16_overflow 0
		.amdhsa_tg_split 0
		.amdhsa_exception_fp_ieee_invalid_op 0
		.amdhsa_exception_fp_denorm_src 0
		.amdhsa_exception_fp_ieee_div_zero 0
		.amdhsa_exception_fp_ieee_overflow 0
		.amdhsa_exception_fp_ieee_underflow 0
		.amdhsa_exception_fp_ieee_inexact 0
		.amdhsa_exception_int_div_zero 0
	.end_amdhsa_kernel
	.section	.text._ZN7rocprim17ROCPRIM_400000_NS6detail17trampoline_kernelINS0_14default_configENS1_25partition_config_selectorILNS1_17partition_subalgoE8ElNS0_10empty_typeEbEEZZNS1_14partition_implILS5_8ELb0ES3_jPlPS6_PKS6_NS0_5tupleIJS9_S6_EEENSD_IJSA_SA_EEENS0_18inequality_wrapperIZN2at6native12_GLOBAL__N_124unique_dim_cuda_templateIsEESt5tupleIJNSH_6TensorESM_SM_EERKSM_lbbbEUlllE0_EEPmJS6_EEE10hipError_tPvRmT3_T4_T5_T6_T7_T9_mT8_P12ihipStream_tbDpT10_ENKUlT_T0_E_clISt17integral_constantIbLb0EES1B_IbLb1EEEEDaS17_S18_EUlS17_E_NS1_11comp_targetILNS1_3genE9ELNS1_11target_archE1100ELNS1_3gpuE3ELNS1_3repE0EEENS1_30default_config_static_selectorELNS0_4arch9wavefront6targetE1EEEvT1_,"axG",@progbits,_ZN7rocprim17ROCPRIM_400000_NS6detail17trampoline_kernelINS0_14default_configENS1_25partition_config_selectorILNS1_17partition_subalgoE8ElNS0_10empty_typeEbEEZZNS1_14partition_implILS5_8ELb0ES3_jPlPS6_PKS6_NS0_5tupleIJS9_S6_EEENSD_IJSA_SA_EEENS0_18inequality_wrapperIZN2at6native12_GLOBAL__N_124unique_dim_cuda_templateIsEESt5tupleIJNSH_6TensorESM_SM_EERKSM_lbbbEUlllE0_EEPmJS6_EEE10hipError_tPvRmT3_T4_T5_T6_T7_T9_mT8_P12ihipStream_tbDpT10_ENKUlT_T0_E_clISt17integral_constantIbLb0EES1B_IbLb1EEEEDaS17_S18_EUlS17_E_NS1_11comp_targetILNS1_3genE9ELNS1_11target_archE1100ELNS1_3gpuE3ELNS1_3repE0EEENS1_30default_config_static_selectorELNS0_4arch9wavefront6targetE1EEEvT1_,comdat
.Lfunc_end720:
	.size	_ZN7rocprim17ROCPRIM_400000_NS6detail17trampoline_kernelINS0_14default_configENS1_25partition_config_selectorILNS1_17partition_subalgoE8ElNS0_10empty_typeEbEEZZNS1_14partition_implILS5_8ELb0ES3_jPlPS6_PKS6_NS0_5tupleIJS9_S6_EEENSD_IJSA_SA_EEENS0_18inequality_wrapperIZN2at6native12_GLOBAL__N_124unique_dim_cuda_templateIsEESt5tupleIJNSH_6TensorESM_SM_EERKSM_lbbbEUlllE0_EEPmJS6_EEE10hipError_tPvRmT3_T4_T5_T6_T7_T9_mT8_P12ihipStream_tbDpT10_ENKUlT_T0_E_clISt17integral_constantIbLb0EES1B_IbLb1EEEEDaS17_S18_EUlS17_E_NS1_11comp_targetILNS1_3genE9ELNS1_11target_archE1100ELNS1_3gpuE3ELNS1_3repE0EEENS1_30default_config_static_selectorELNS0_4arch9wavefront6targetE1EEEvT1_, .Lfunc_end720-_ZN7rocprim17ROCPRIM_400000_NS6detail17trampoline_kernelINS0_14default_configENS1_25partition_config_selectorILNS1_17partition_subalgoE8ElNS0_10empty_typeEbEEZZNS1_14partition_implILS5_8ELb0ES3_jPlPS6_PKS6_NS0_5tupleIJS9_S6_EEENSD_IJSA_SA_EEENS0_18inequality_wrapperIZN2at6native12_GLOBAL__N_124unique_dim_cuda_templateIsEESt5tupleIJNSH_6TensorESM_SM_EERKSM_lbbbEUlllE0_EEPmJS6_EEE10hipError_tPvRmT3_T4_T5_T6_T7_T9_mT8_P12ihipStream_tbDpT10_ENKUlT_T0_E_clISt17integral_constantIbLb0EES1B_IbLb1EEEEDaS17_S18_EUlS17_E_NS1_11comp_targetILNS1_3genE9ELNS1_11target_archE1100ELNS1_3gpuE3ELNS1_3repE0EEENS1_30default_config_static_selectorELNS0_4arch9wavefront6targetE1EEEvT1_
                                        ; -- End function
	.section	.AMDGPU.csdata,"",@progbits
; Kernel info:
; codeLenInByte = 0
; NumSgprs: 6
; NumVgprs: 0
; NumAgprs: 0
; TotalNumVgprs: 0
; ScratchSize: 0
; MemoryBound: 0
; FloatMode: 240
; IeeeMode: 1
; LDSByteSize: 0 bytes/workgroup (compile time only)
; SGPRBlocks: 0
; VGPRBlocks: 0
; NumSGPRsForWavesPerEU: 6
; NumVGPRsForWavesPerEU: 1
; AccumOffset: 4
; Occupancy: 8
; WaveLimiterHint : 0
; COMPUTE_PGM_RSRC2:SCRATCH_EN: 0
; COMPUTE_PGM_RSRC2:USER_SGPR: 2
; COMPUTE_PGM_RSRC2:TRAP_HANDLER: 0
; COMPUTE_PGM_RSRC2:TGID_X_EN: 1
; COMPUTE_PGM_RSRC2:TGID_Y_EN: 0
; COMPUTE_PGM_RSRC2:TGID_Z_EN: 0
; COMPUTE_PGM_RSRC2:TIDIG_COMP_CNT: 0
; COMPUTE_PGM_RSRC3_GFX90A:ACCUM_OFFSET: 0
; COMPUTE_PGM_RSRC3_GFX90A:TG_SPLIT: 0
	.section	.text._ZN7rocprim17ROCPRIM_400000_NS6detail17trampoline_kernelINS0_14default_configENS1_25partition_config_selectorILNS1_17partition_subalgoE8ElNS0_10empty_typeEbEEZZNS1_14partition_implILS5_8ELb0ES3_jPlPS6_PKS6_NS0_5tupleIJS9_S6_EEENSD_IJSA_SA_EEENS0_18inequality_wrapperIZN2at6native12_GLOBAL__N_124unique_dim_cuda_templateIsEESt5tupleIJNSH_6TensorESM_SM_EERKSM_lbbbEUlllE0_EEPmJS6_EEE10hipError_tPvRmT3_T4_T5_T6_T7_T9_mT8_P12ihipStream_tbDpT10_ENKUlT_T0_E_clISt17integral_constantIbLb0EES1B_IbLb1EEEEDaS17_S18_EUlS17_E_NS1_11comp_targetILNS1_3genE8ELNS1_11target_archE1030ELNS1_3gpuE2ELNS1_3repE0EEENS1_30default_config_static_selectorELNS0_4arch9wavefront6targetE1EEEvT1_,"axG",@progbits,_ZN7rocprim17ROCPRIM_400000_NS6detail17trampoline_kernelINS0_14default_configENS1_25partition_config_selectorILNS1_17partition_subalgoE8ElNS0_10empty_typeEbEEZZNS1_14partition_implILS5_8ELb0ES3_jPlPS6_PKS6_NS0_5tupleIJS9_S6_EEENSD_IJSA_SA_EEENS0_18inequality_wrapperIZN2at6native12_GLOBAL__N_124unique_dim_cuda_templateIsEESt5tupleIJNSH_6TensorESM_SM_EERKSM_lbbbEUlllE0_EEPmJS6_EEE10hipError_tPvRmT3_T4_T5_T6_T7_T9_mT8_P12ihipStream_tbDpT10_ENKUlT_T0_E_clISt17integral_constantIbLb0EES1B_IbLb1EEEEDaS17_S18_EUlS17_E_NS1_11comp_targetILNS1_3genE8ELNS1_11target_archE1030ELNS1_3gpuE2ELNS1_3repE0EEENS1_30default_config_static_selectorELNS0_4arch9wavefront6targetE1EEEvT1_,comdat
	.globl	_ZN7rocprim17ROCPRIM_400000_NS6detail17trampoline_kernelINS0_14default_configENS1_25partition_config_selectorILNS1_17partition_subalgoE8ElNS0_10empty_typeEbEEZZNS1_14partition_implILS5_8ELb0ES3_jPlPS6_PKS6_NS0_5tupleIJS9_S6_EEENSD_IJSA_SA_EEENS0_18inequality_wrapperIZN2at6native12_GLOBAL__N_124unique_dim_cuda_templateIsEESt5tupleIJNSH_6TensorESM_SM_EERKSM_lbbbEUlllE0_EEPmJS6_EEE10hipError_tPvRmT3_T4_T5_T6_T7_T9_mT8_P12ihipStream_tbDpT10_ENKUlT_T0_E_clISt17integral_constantIbLb0EES1B_IbLb1EEEEDaS17_S18_EUlS17_E_NS1_11comp_targetILNS1_3genE8ELNS1_11target_archE1030ELNS1_3gpuE2ELNS1_3repE0EEENS1_30default_config_static_selectorELNS0_4arch9wavefront6targetE1EEEvT1_ ; -- Begin function _ZN7rocprim17ROCPRIM_400000_NS6detail17trampoline_kernelINS0_14default_configENS1_25partition_config_selectorILNS1_17partition_subalgoE8ElNS0_10empty_typeEbEEZZNS1_14partition_implILS5_8ELb0ES3_jPlPS6_PKS6_NS0_5tupleIJS9_S6_EEENSD_IJSA_SA_EEENS0_18inequality_wrapperIZN2at6native12_GLOBAL__N_124unique_dim_cuda_templateIsEESt5tupleIJNSH_6TensorESM_SM_EERKSM_lbbbEUlllE0_EEPmJS6_EEE10hipError_tPvRmT3_T4_T5_T6_T7_T9_mT8_P12ihipStream_tbDpT10_ENKUlT_T0_E_clISt17integral_constantIbLb0EES1B_IbLb1EEEEDaS17_S18_EUlS17_E_NS1_11comp_targetILNS1_3genE8ELNS1_11target_archE1030ELNS1_3gpuE2ELNS1_3repE0EEENS1_30default_config_static_selectorELNS0_4arch9wavefront6targetE1EEEvT1_
	.p2align	8
	.type	_ZN7rocprim17ROCPRIM_400000_NS6detail17trampoline_kernelINS0_14default_configENS1_25partition_config_selectorILNS1_17partition_subalgoE8ElNS0_10empty_typeEbEEZZNS1_14partition_implILS5_8ELb0ES3_jPlPS6_PKS6_NS0_5tupleIJS9_S6_EEENSD_IJSA_SA_EEENS0_18inequality_wrapperIZN2at6native12_GLOBAL__N_124unique_dim_cuda_templateIsEESt5tupleIJNSH_6TensorESM_SM_EERKSM_lbbbEUlllE0_EEPmJS6_EEE10hipError_tPvRmT3_T4_T5_T6_T7_T9_mT8_P12ihipStream_tbDpT10_ENKUlT_T0_E_clISt17integral_constantIbLb0EES1B_IbLb1EEEEDaS17_S18_EUlS17_E_NS1_11comp_targetILNS1_3genE8ELNS1_11target_archE1030ELNS1_3gpuE2ELNS1_3repE0EEENS1_30default_config_static_selectorELNS0_4arch9wavefront6targetE1EEEvT1_,@function
_ZN7rocprim17ROCPRIM_400000_NS6detail17trampoline_kernelINS0_14default_configENS1_25partition_config_selectorILNS1_17partition_subalgoE8ElNS0_10empty_typeEbEEZZNS1_14partition_implILS5_8ELb0ES3_jPlPS6_PKS6_NS0_5tupleIJS9_S6_EEENSD_IJSA_SA_EEENS0_18inequality_wrapperIZN2at6native12_GLOBAL__N_124unique_dim_cuda_templateIsEESt5tupleIJNSH_6TensorESM_SM_EERKSM_lbbbEUlllE0_EEPmJS6_EEE10hipError_tPvRmT3_T4_T5_T6_T7_T9_mT8_P12ihipStream_tbDpT10_ENKUlT_T0_E_clISt17integral_constantIbLb0EES1B_IbLb1EEEEDaS17_S18_EUlS17_E_NS1_11comp_targetILNS1_3genE8ELNS1_11target_archE1030ELNS1_3gpuE2ELNS1_3repE0EEENS1_30default_config_static_selectorELNS0_4arch9wavefront6targetE1EEEvT1_: ; @_ZN7rocprim17ROCPRIM_400000_NS6detail17trampoline_kernelINS0_14default_configENS1_25partition_config_selectorILNS1_17partition_subalgoE8ElNS0_10empty_typeEbEEZZNS1_14partition_implILS5_8ELb0ES3_jPlPS6_PKS6_NS0_5tupleIJS9_S6_EEENSD_IJSA_SA_EEENS0_18inequality_wrapperIZN2at6native12_GLOBAL__N_124unique_dim_cuda_templateIsEESt5tupleIJNSH_6TensorESM_SM_EERKSM_lbbbEUlllE0_EEPmJS6_EEE10hipError_tPvRmT3_T4_T5_T6_T7_T9_mT8_P12ihipStream_tbDpT10_ENKUlT_T0_E_clISt17integral_constantIbLb0EES1B_IbLb1EEEEDaS17_S18_EUlS17_E_NS1_11comp_targetILNS1_3genE8ELNS1_11target_archE1030ELNS1_3gpuE2ELNS1_3repE0EEENS1_30default_config_static_selectorELNS0_4arch9wavefront6targetE1EEEvT1_
; %bb.0:
	.section	.rodata,"a",@progbits
	.p2align	6, 0x0
	.amdhsa_kernel _ZN7rocprim17ROCPRIM_400000_NS6detail17trampoline_kernelINS0_14default_configENS1_25partition_config_selectorILNS1_17partition_subalgoE8ElNS0_10empty_typeEbEEZZNS1_14partition_implILS5_8ELb0ES3_jPlPS6_PKS6_NS0_5tupleIJS9_S6_EEENSD_IJSA_SA_EEENS0_18inequality_wrapperIZN2at6native12_GLOBAL__N_124unique_dim_cuda_templateIsEESt5tupleIJNSH_6TensorESM_SM_EERKSM_lbbbEUlllE0_EEPmJS6_EEE10hipError_tPvRmT3_T4_T5_T6_T7_T9_mT8_P12ihipStream_tbDpT10_ENKUlT_T0_E_clISt17integral_constantIbLb0EES1B_IbLb1EEEEDaS17_S18_EUlS17_E_NS1_11comp_targetILNS1_3genE8ELNS1_11target_archE1030ELNS1_3gpuE2ELNS1_3repE0EEENS1_30default_config_static_selectorELNS0_4arch9wavefront6targetE1EEEvT1_
		.amdhsa_group_segment_fixed_size 0
		.amdhsa_private_segment_fixed_size 0
		.amdhsa_kernarg_size 136
		.amdhsa_user_sgpr_count 2
		.amdhsa_user_sgpr_dispatch_ptr 0
		.amdhsa_user_sgpr_queue_ptr 0
		.amdhsa_user_sgpr_kernarg_segment_ptr 1
		.amdhsa_user_sgpr_dispatch_id 0
		.amdhsa_user_sgpr_kernarg_preload_length 0
		.amdhsa_user_sgpr_kernarg_preload_offset 0
		.amdhsa_user_sgpr_private_segment_size 0
		.amdhsa_uses_dynamic_stack 0
		.amdhsa_enable_private_segment 0
		.amdhsa_system_sgpr_workgroup_id_x 1
		.amdhsa_system_sgpr_workgroup_id_y 0
		.amdhsa_system_sgpr_workgroup_id_z 0
		.amdhsa_system_sgpr_workgroup_info 0
		.amdhsa_system_vgpr_workitem_id 0
		.amdhsa_next_free_vgpr 1
		.amdhsa_next_free_sgpr 0
		.amdhsa_accum_offset 4
		.amdhsa_reserve_vcc 0
		.amdhsa_float_round_mode_32 0
		.amdhsa_float_round_mode_16_64 0
		.amdhsa_float_denorm_mode_32 3
		.amdhsa_float_denorm_mode_16_64 3
		.amdhsa_dx10_clamp 1
		.amdhsa_ieee_mode 1
		.amdhsa_fp16_overflow 0
		.amdhsa_tg_split 0
		.amdhsa_exception_fp_ieee_invalid_op 0
		.amdhsa_exception_fp_denorm_src 0
		.amdhsa_exception_fp_ieee_div_zero 0
		.amdhsa_exception_fp_ieee_overflow 0
		.amdhsa_exception_fp_ieee_underflow 0
		.amdhsa_exception_fp_ieee_inexact 0
		.amdhsa_exception_int_div_zero 0
	.end_amdhsa_kernel
	.section	.text._ZN7rocprim17ROCPRIM_400000_NS6detail17trampoline_kernelINS0_14default_configENS1_25partition_config_selectorILNS1_17partition_subalgoE8ElNS0_10empty_typeEbEEZZNS1_14partition_implILS5_8ELb0ES3_jPlPS6_PKS6_NS0_5tupleIJS9_S6_EEENSD_IJSA_SA_EEENS0_18inequality_wrapperIZN2at6native12_GLOBAL__N_124unique_dim_cuda_templateIsEESt5tupleIJNSH_6TensorESM_SM_EERKSM_lbbbEUlllE0_EEPmJS6_EEE10hipError_tPvRmT3_T4_T5_T6_T7_T9_mT8_P12ihipStream_tbDpT10_ENKUlT_T0_E_clISt17integral_constantIbLb0EES1B_IbLb1EEEEDaS17_S18_EUlS17_E_NS1_11comp_targetILNS1_3genE8ELNS1_11target_archE1030ELNS1_3gpuE2ELNS1_3repE0EEENS1_30default_config_static_selectorELNS0_4arch9wavefront6targetE1EEEvT1_,"axG",@progbits,_ZN7rocprim17ROCPRIM_400000_NS6detail17trampoline_kernelINS0_14default_configENS1_25partition_config_selectorILNS1_17partition_subalgoE8ElNS0_10empty_typeEbEEZZNS1_14partition_implILS5_8ELb0ES3_jPlPS6_PKS6_NS0_5tupleIJS9_S6_EEENSD_IJSA_SA_EEENS0_18inequality_wrapperIZN2at6native12_GLOBAL__N_124unique_dim_cuda_templateIsEESt5tupleIJNSH_6TensorESM_SM_EERKSM_lbbbEUlllE0_EEPmJS6_EEE10hipError_tPvRmT3_T4_T5_T6_T7_T9_mT8_P12ihipStream_tbDpT10_ENKUlT_T0_E_clISt17integral_constantIbLb0EES1B_IbLb1EEEEDaS17_S18_EUlS17_E_NS1_11comp_targetILNS1_3genE8ELNS1_11target_archE1030ELNS1_3gpuE2ELNS1_3repE0EEENS1_30default_config_static_selectorELNS0_4arch9wavefront6targetE1EEEvT1_,comdat
.Lfunc_end721:
	.size	_ZN7rocprim17ROCPRIM_400000_NS6detail17trampoline_kernelINS0_14default_configENS1_25partition_config_selectorILNS1_17partition_subalgoE8ElNS0_10empty_typeEbEEZZNS1_14partition_implILS5_8ELb0ES3_jPlPS6_PKS6_NS0_5tupleIJS9_S6_EEENSD_IJSA_SA_EEENS0_18inequality_wrapperIZN2at6native12_GLOBAL__N_124unique_dim_cuda_templateIsEESt5tupleIJNSH_6TensorESM_SM_EERKSM_lbbbEUlllE0_EEPmJS6_EEE10hipError_tPvRmT3_T4_T5_T6_T7_T9_mT8_P12ihipStream_tbDpT10_ENKUlT_T0_E_clISt17integral_constantIbLb0EES1B_IbLb1EEEEDaS17_S18_EUlS17_E_NS1_11comp_targetILNS1_3genE8ELNS1_11target_archE1030ELNS1_3gpuE2ELNS1_3repE0EEENS1_30default_config_static_selectorELNS0_4arch9wavefront6targetE1EEEvT1_, .Lfunc_end721-_ZN7rocprim17ROCPRIM_400000_NS6detail17trampoline_kernelINS0_14default_configENS1_25partition_config_selectorILNS1_17partition_subalgoE8ElNS0_10empty_typeEbEEZZNS1_14partition_implILS5_8ELb0ES3_jPlPS6_PKS6_NS0_5tupleIJS9_S6_EEENSD_IJSA_SA_EEENS0_18inequality_wrapperIZN2at6native12_GLOBAL__N_124unique_dim_cuda_templateIsEESt5tupleIJNSH_6TensorESM_SM_EERKSM_lbbbEUlllE0_EEPmJS6_EEE10hipError_tPvRmT3_T4_T5_T6_T7_T9_mT8_P12ihipStream_tbDpT10_ENKUlT_T0_E_clISt17integral_constantIbLb0EES1B_IbLb1EEEEDaS17_S18_EUlS17_E_NS1_11comp_targetILNS1_3genE8ELNS1_11target_archE1030ELNS1_3gpuE2ELNS1_3repE0EEENS1_30default_config_static_selectorELNS0_4arch9wavefront6targetE1EEEvT1_
                                        ; -- End function
	.section	.AMDGPU.csdata,"",@progbits
; Kernel info:
; codeLenInByte = 0
; NumSgprs: 6
; NumVgprs: 0
; NumAgprs: 0
; TotalNumVgprs: 0
; ScratchSize: 0
; MemoryBound: 0
; FloatMode: 240
; IeeeMode: 1
; LDSByteSize: 0 bytes/workgroup (compile time only)
; SGPRBlocks: 0
; VGPRBlocks: 0
; NumSGPRsForWavesPerEU: 6
; NumVGPRsForWavesPerEU: 1
; AccumOffset: 4
; Occupancy: 8
; WaveLimiterHint : 0
; COMPUTE_PGM_RSRC2:SCRATCH_EN: 0
; COMPUTE_PGM_RSRC2:USER_SGPR: 2
; COMPUTE_PGM_RSRC2:TRAP_HANDLER: 0
; COMPUTE_PGM_RSRC2:TGID_X_EN: 1
; COMPUTE_PGM_RSRC2:TGID_Y_EN: 0
; COMPUTE_PGM_RSRC2:TGID_Z_EN: 0
; COMPUTE_PGM_RSRC2:TIDIG_COMP_CNT: 0
; COMPUTE_PGM_RSRC3_GFX90A:ACCUM_OFFSET: 0
; COMPUTE_PGM_RSRC3_GFX90A:TG_SPLIT: 0
	.section	.text._ZN7rocprim17ROCPRIM_400000_NS6detail17trampoline_kernelINS0_14default_configENS1_25partition_config_selectorILNS1_17partition_subalgoE9EllbEEZZNS1_14partition_implILS5_9ELb0ES3_jPlS8_PNS0_10empty_typeENS0_5tupleIJS8_S9_EEENSB_IJS8_SA_EEENS0_18inequality_wrapperIZN2at6native12_GLOBAL__N_124unique_dim_cuda_templateIsEESt5tupleIJNSF_6TensorESK_SK_EERKSK_lbbbEUlllE0_EEPmJS9_EEE10hipError_tPvRmT3_T4_T5_T6_T7_T9_mT8_P12ihipStream_tbDpT10_ENKUlT_T0_E_clISt17integral_constantIbLb0EES1A_EEDaS15_S16_EUlS15_E_NS1_11comp_targetILNS1_3genE0ELNS1_11target_archE4294967295ELNS1_3gpuE0ELNS1_3repE0EEENS1_30default_config_static_selectorELNS0_4arch9wavefront6targetE1EEEvT1_,"axG",@progbits,_ZN7rocprim17ROCPRIM_400000_NS6detail17trampoline_kernelINS0_14default_configENS1_25partition_config_selectorILNS1_17partition_subalgoE9EllbEEZZNS1_14partition_implILS5_9ELb0ES3_jPlS8_PNS0_10empty_typeENS0_5tupleIJS8_S9_EEENSB_IJS8_SA_EEENS0_18inequality_wrapperIZN2at6native12_GLOBAL__N_124unique_dim_cuda_templateIsEESt5tupleIJNSF_6TensorESK_SK_EERKSK_lbbbEUlllE0_EEPmJS9_EEE10hipError_tPvRmT3_T4_T5_T6_T7_T9_mT8_P12ihipStream_tbDpT10_ENKUlT_T0_E_clISt17integral_constantIbLb0EES1A_EEDaS15_S16_EUlS15_E_NS1_11comp_targetILNS1_3genE0ELNS1_11target_archE4294967295ELNS1_3gpuE0ELNS1_3repE0EEENS1_30default_config_static_selectorELNS0_4arch9wavefront6targetE1EEEvT1_,comdat
	.globl	_ZN7rocprim17ROCPRIM_400000_NS6detail17trampoline_kernelINS0_14default_configENS1_25partition_config_selectorILNS1_17partition_subalgoE9EllbEEZZNS1_14partition_implILS5_9ELb0ES3_jPlS8_PNS0_10empty_typeENS0_5tupleIJS8_S9_EEENSB_IJS8_SA_EEENS0_18inequality_wrapperIZN2at6native12_GLOBAL__N_124unique_dim_cuda_templateIsEESt5tupleIJNSF_6TensorESK_SK_EERKSK_lbbbEUlllE0_EEPmJS9_EEE10hipError_tPvRmT3_T4_T5_T6_T7_T9_mT8_P12ihipStream_tbDpT10_ENKUlT_T0_E_clISt17integral_constantIbLb0EES1A_EEDaS15_S16_EUlS15_E_NS1_11comp_targetILNS1_3genE0ELNS1_11target_archE4294967295ELNS1_3gpuE0ELNS1_3repE0EEENS1_30default_config_static_selectorELNS0_4arch9wavefront6targetE1EEEvT1_ ; -- Begin function _ZN7rocprim17ROCPRIM_400000_NS6detail17trampoline_kernelINS0_14default_configENS1_25partition_config_selectorILNS1_17partition_subalgoE9EllbEEZZNS1_14partition_implILS5_9ELb0ES3_jPlS8_PNS0_10empty_typeENS0_5tupleIJS8_S9_EEENSB_IJS8_SA_EEENS0_18inequality_wrapperIZN2at6native12_GLOBAL__N_124unique_dim_cuda_templateIsEESt5tupleIJNSF_6TensorESK_SK_EERKSK_lbbbEUlllE0_EEPmJS9_EEE10hipError_tPvRmT3_T4_T5_T6_T7_T9_mT8_P12ihipStream_tbDpT10_ENKUlT_T0_E_clISt17integral_constantIbLb0EES1A_EEDaS15_S16_EUlS15_E_NS1_11comp_targetILNS1_3genE0ELNS1_11target_archE4294967295ELNS1_3gpuE0ELNS1_3repE0EEENS1_30default_config_static_selectorELNS0_4arch9wavefront6targetE1EEEvT1_
	.p2align	8
	.type	_ZN7rocprim17ROCPRIM_400000_NS6detail17trampoline_kernelINS0_14default_configENS1_25partition_config_selectorILNS1_17partition_subalgoE9EllbEEZZNS1_14partition_implILS5_9ELb0ES3_jPlS8_PNS0_10empty_typeENS0_5tupleIJS8_S9_EEENSB_IJS8_SA_EEENS0_18inequality_wrapperIZN2at6native12_GLOBAL__N_124unique_dim_cuda_templateIsEESt5tupleIJNSF_6TensorESK_SK_EERKSK_lbbbEUlllE0_EEPmJS9_EEE10hipError_tPvRmT3_T4_T5_T6_T7_T9_mT8_P12ihipStream_tbDpT10_ENKUlT_T0_E_clISt17integral_constantIbLb0EES1A_EEDaS15_S16_EUlS15_E_NS1_11comp_targetILNS1_3genE0ELNS1_11target_archE4294967295ELNS1_3gpuE0ELNS1_3repE0EEENS1_30default_config_static_selectorELNS0_4arch9wavefront6targetE1EEEvT1_,@function
_ZN7rocprim17ROCPRIM_400000_NS6detail17trampoline_kernelINS0_14default_configENS1_25partition_config_selectorILNS1_17partition_subalgoE9EllbEEZZNS1_14partition_implILS5_9ELb0ES3_jPlS8_PNS0_10empty_typeENS0_5tupleIJS8_S9_EEENSB_IJS8_SA_EEENS0_18inequality_wrapperIZN2at6native12_GLOBAL__N_124unique_dim_cuda_templateIsEESt5tupleIJNSF_6TensorESK_SK_EERKSK_lbbbEUlllE0_EEPmJS9_EEE10hipError_tPvRmT3_T4_T5_T6_T7_T9_mT8_P12ihipStream_tbDpT10_ENKUlT_T0_E_clISt17integral_constantIbLb0EES1A_EEDaS15_S16_EUlS15_E_NS1_11comp_targetILNS1_3genE0ELNS1_11target_archE4294967295ELNS1_3gpuE0ELNS1_3repE0EEENS1_30default_config_static_selectorELNS0_4arch9wavefront6targetE1EEEvT1_: ; @_ZN7rocprim17ROCPRIM_400000_NS6detail17trampoline_kernelINS0_14default_configENS1_25partition_config_selectorILNS1_17partition_subalgoE9EllbEEZZNS1_14partition_implILS5_9ELb0ES3_jPlS8_PNS0_10empty_typeENS0_5tupleIJS8_S9_EEENSB_IJS8_SA_EEENS0_18inequality_wrapperIZN2at6native12_GLOBAL__N_124unique_dim_cuda_templateIsEESt5tupleIJNSF_6TensorESK_SK_EERKSK_lbbbEUlllE0_EEPmJS9_EEE10hipError_tPvRmT3_T4_T5_T6_T7_T9_mT8_P12ihipStream_tbDpT10_ENKUlT_T0_E_clISt17integral_constantIbLb0EES1A_EEDaS15_S16_EUlS15_E_NS1_11comp_targetILNS1_3genE0ELNS1_11target_archE4294967295ELNS1_3gpuE0ELNS1_3repE0EEENS1_30default_config_static_selectorELNS0_4arch9wavefront6targetE1EEEvT1_
; %bb.0:
	.section	.rodata,"a",@progbits
	.p2align	6, 0x0
	.amdhsa_kernel _ZN7rocprim17ROCPRIM_400000_NS6detail17trampoline_kernelINS0_14default_configENS1_25partition_config_selectorILNS1_17partition_subalgoE9EllbEEZZNS1_14partition_implILS5_9ELb0ES3_jPlS8_PNS0_10empty_typeENS0_5tupleIJS8_S9_EEENSB_IJS8_SA_EEENS0_18inequality_wrapperIZN2at6native12_GLOBAL__N_124unique_dim_cuda_templateIsEESt5tupleIJNSF_6TensorESK_SK_EERKSK_lbbbEUlllE0_EEPmJS9_EEE10hipError_tPvRmT3_T4_T5_T6_T7_T9_mT8_P12ihipStream_tbDpT10_ENKUlT_T0_E_clISt17integral_constantIbLb0EES1A_EEDaS15_S16_EUlS15_E_NS1_11comp_targetILNS1_3genE0ELNS1_11target_archE4294967295ELNS1_3gpuE0ELNS1_3repE0EEENS1_30default_config_static_selectorELNS0_4arch9wavefront6targetE1EEEvT1_
		.amdhsa_group_segment_fixed_size 0
		.amdhsa_private_segment_fixed_size 0
		.amdhsa_kernarg_size 120
		.amdhsa_user_sgpr_count 2
		.amdhsa_user_sgpr_dispatch_ptr 0
		.amdhsa_user_sgpr_queue_ptr 0
		.amdhsa_user_sgpr_kernarg_segment_ptr 1
		.amdhsa_user_sgpr_dispatch_id 0
		.amdhsa_user_sgpr_kernarg_preload_length 0
		.amdhsa_user_sgpr_kernarg_preload_offset 0
		.amdhsa_user_sgpr_private_segment_size 0
		.amdhsa_uses_dynamic_stack 0
		.amdhsa_enable_private_segment 0
		.amdhsa_system_sgpr_workgroup_id_x 1
		.amdhsa_system_sgpr_workgroup_id_y 0
		.amdhsa_system_sgpr_workgroup_id_z 0
		.amdhsa_system_sgpr_workgroup_info 0
		.amdhsa_system_vgpr_workitem_id 0
		.amdhsa_next_free_vgpr 1
		.amdhsa_next_free_sgpr 0
		.amdhsa_accum_offset 4
		.amdhsa_reserve_vcc 0
		.amdhsa_float_round_mode_32 0
		.amdhsa_float_round_mode_16_64 0
		.amdhsa_float_denorm_mode_32 3
		.amdhsa_float_denorm_mode_16_64 3
		.amdhsa_dx10_clamp 1
		.amdhsa_ieee_mode 1
		.amdhsa_fp16_overflow 0
		.amdhsa_tg_split 0
		.amdhsa_exception_fp_ieee_invalid_op 0
		.amdhsa_exception_fp_denorm_src 0
		.amdhsa_exception_fp_ieee_div_zero 0
		.amdhsa_exception_fp_ieee_overflow 0
		.amdhsa_exception_fp_ieee_underflow 0
		.amdhsa_exception_fp_ieee_inexact 0
		.amdhsa_exception_int_div_zero 0
	.end_amdhsa_kernel
	.section	.text._ZN7rocprim17ROCPRIM_400000_NS6detail17trampoline_kernelINS0_14default_configENS1_25partition_config_selectorILNS1_17partition_subalgoE9EllbEEZZNS1_14partition_implILS5_9ELb0ES3_jPlS8_PNS0_10empty_typeENS0_5tupleIJS8_S9_EEENSB_IJS8_SA_EEENS0_18inequality_wrapperIZN2at6native12_GLOBAL__N_124unique_dim_cuda_templateIsEESt5tupleIJNSF_6TensorESK_SK_EERKSK_lbbbEUlllE0_EEPmJS9_EEE10hipError_tPvRmT3_T4_T5_T6_T7_T9_mT8_P12ihipStream_tbDpT10_ENKUlT_T0_E_clISt17integral_constantIbLb0EES1A_EEDaS15_S16_EUlS15_E_NS1_11comp_targetILNS1_3genE0ELNS1_11target_archE4294967295ELNS1_3gpuE0ELNS1_3repE0EEENS1_30default_config_static_selectorELNS0_4arch9wavefront6targetE1EEEvT1_,"axG",@progbits,_ZN7rocprim17ROCPRIM_400000_NS6detail17trampoline_kernelINS0_14default_configENS1_25partition_config_selectorILNS1_17partition_subalgoE9EllbEEZZNS1_14partition_implILS5_9ELb0ES3_jPlS8_PNS0_10empty_typeENS0_5tupleIJS8_S9_EEENSB_IJS8_SA_EEENS0_18inequality_wrapperIZN2at6native12_GLOBAL__N_124unique_dim_cuda_templateIsEESt5tupleIJNSF_6TensorESK_SK_EERKSK_lbbbEUlllE0_EEPmJS9_EEE10hipError_tPvRmT3_T4_T5_T6_T7_T9_mT8_P12ihipStream_tbDpT10_ENKUlT_T0_E_clISt17integral_constantIbLb0EES1A_EEDaS15_S16_EUlS15_E_NS1_11comp_targetILNS1_3genE0ELNS1_11target_archE4294967295ELNS1_3gpuE0ELNS1_3repE0EEENS1_30default_config_static_selectorELNS0_4arch9wavefront6targetE1EEEvT1_,comdat
.Lfunc_end722:
	.size	_ZN7rocprim17ROCPRIM_400000_NS6detail17trampoline_kernelINS0_14default_configENS1_25partition_config_selectorILNS1_17partition_subalgoE9EllbEEZZNS1_14partition_implILS5_9ELb0ES3_jPlS8_PNS0_10empty_typeENS0_5tupleIJS8_S9_EEENSB_IJS8_SA_EEENS0_18inequality_wrapperIZN2at6native12_GLOBAL__N_124unique_dim_cuda_templateIsEESt5tupleIJNSF_6TensorESK_SK_EERKSK_lbbbEUlllE0_EEPmJS9_EEE10hipError_tPvRmT3_T4_T5_T6_T7_T9_mT8_P12ihipStream_tbDpT10_ENKUlT_T0_E_clISt17integral_constantIbLb0EES1A_EEDaS15_S16_EUlS15_E_NS1_11comp_targetILNS1_3genE0ELNS1_11target_archE4294967295ELNS1_3gpuE0ELNS1_3repE0EEENS1_30default_config_static_selectorELNS0_4arch9wavefront6targetE1EEEvT1_, .Lfunc_end722-_ZN7rocprim17ROCPRIM_400000_NS6detail17trampoline_kernelINS0_14default_configENS1_25partition_config_selectorILNS1_17partition_subalgoE9EllbEEZZNS1_14partition_implILS5_9ELb0ES3_jPlS8_PNS0_10empty_typeENS0_5tupleIJS8_S9_EEENSB_IJS8_SA_EEENS0_18inequality_wrapperIZN2at6native12_GLOBAL__N_124unique_dim_cuda_templateIsEESt5tupleIJNSF_6TensorESK_SK_EERKSK_lbbbEUlllE0_EEPmJS9_EEE10hipError_tPvRmT3_T4_T5_T6_T7_T9_mT8_P12ihipStream_tbDpT10_ENKUlT_T0_E_clISt17integral_constantIbLb0EES1A_EEDaS15_S16_EUlS15_E_NS1_11comp_targetILNS1_3genE0ELNS1_11target_archE4294967295ELNS1_3gpuE0ELNS1_3repE0EEENS1_30default_config_static_selectorELNS0_4arch9wavefront6targetE1EEEvT1_
                                        ; -- End function
	.section	.AMDGPU.csdata,"",@progbits
; Kernel info:
; codeLenInByte = 0
; NumSgprs: 6
; NumVgprs: 0
; NumAgprs: 0
; TotalNumVgprs: 0
; ScratchSize: 0
; MemoryBound: 0
; FloatMode: 240
; IeeeMode: 1
; LDSByteSize: 0 bytes/workgroup (compile time only)
; SGPRBlocks: 0
; VGPRBlocks: 0
; NumSGPRsForWavesPerEU: 6
; NumVGPRsForWavesPerEU: 1
; AccumOffset: 4
; Occupancy: 8
; WaveLimiterHint : 0
; COMPUTE_PGM_RSRC2:SCRATCH_EN: 0
; COMPUTE_PGM_RSRC2:USER_SGPR: 2
; COMPUTE_PGM_RSRC2:TRAP_HANDLER: 0
; COMPUTE_PGM_RSRC2:TGID_X_EN: 1
; COMPUTE_PGM_RSRC2:TGID_Y_EN: 0
; COMPUTE_PGM_RSRC2:TGID_Z_EN: 0
; COMPUTE_PGM_RSRC2:TIDIG_COMP_CNT: 0
; COMPUTE_PGM_RSRC3_GFX90A:ACCUM_OFFSET: 0
; COMPUTE_PGM_RSRC3_GFX90A:TG_SPLIT: 0
	.section	.text._ZN7rocprim17ROCPRIM_400000_NS6detail17trampoline_kernelINS0_14default_configENS1_25partition_config_selectorILNS1_17partition_subalgoE9EllbEEZZNS1_14partition_implILS5_9ELb0ES3_jPlS8_PNS0_10empty_typeENS0_5tupleIJS8_S9_EEENSB_IJS8_SA_EEENS0_18inequality_wrapperIZN2at6native12_GLOBAL__N_124unique_dim_cuda_templateIsEESt5tupleIJNSF_6TensorESK_SK_EERKSK_lbbbEUlllE0_EEPmJS9_EEE10hipError_tPvRmT3_T4_T5_T6_T7_T9_mT8_P12ihipStream_tbDpT10_ENKUlT_T0_E_clISt17integral_constantIbLb0EES1A_EEDaS15_S16_EUlS15_E_NS1_11comp_targetILNS1_3genE5ELNS1_11target_archE942ELNS1_3gpuE9ELNS1_3repE0EEENS1_30default_config_static_selectorELNS0_4arch9wavefront6targetE1EEEvT1_,"axG",@progbits,_ZN7rocprim17ROCPRIM_400000_NS6detail17trampoline_kernelINS0_14default_configENS1_25partition_config_selectorILNS1_17partition_subalgoE9EllbEEZZNS1_14partition_implILS5_9ELb0ES3_jPlS8_PNS0_10empty_typeENS0_5tupleIJS8_S9_EEENSB_IJS8_SA_EEENS0_18inequality_wrapperIZN2at6native12_GLOBAL__N_124unique_dim_cuda_templateIsEESt5tupleIJNSF_6TensorESK_SK_EERKSK_lbbbEUlllE0_EEPmJS9_EEE10hipError_tPvRmT3_T4_T5_T6_T7_T9_mT8_P12ihipStream_tbDpT10_ENKUlT_T0_E_clISt17integral_constantIbLb0EES1A_EEDaS15_S16_EUlS15_E_NS1_11comp_targetILNS1_3genE5ELNS1_11target_archE942ELNS1_3gpuE9ELNS1_3repE0EEENS1_30default_config_static_selectorELNS0_4arch9wavefront6targetE1EEEvT1_,comdat
	.globl	_ZN7rocprim17ROCPRIM_400000_NS6detail17trampoline_kernelINS0_14default_configENS1_25partition_config_selectorILNS1_17partition_subalgoE9EllbEEZZNS1_14partition_implILS5_9ELb0ES3_jPlS8_PNS0_10empty_typeENS0_5tupleIJS8_S9_EEENSB_IJS8_SA_EEENS0_18inequality_wrapperIZN2at6native12_GLOBAL__N_124unique_dim_cuda_templateIsEESt5tupleIJNSF_6TensorESK_SK_EERKSK_lbbbEUlllE0_EEPmJS9_EEE10hipError_tPvRmT3_T4_T5_T6_T7_T9_mT8_P12ihipStream_tbDpT10_ENKUlT_T0_E_clISt17integral_constantIbLb0EES1A_EEDaS15_S16_EUlS15_E_NS1_11comp_targetILNS1_3genE5ELNS1_11target_archE942ELNS1_3gpuE9ELNS1_3repE0EEENS1_30default_config_static_selectorELNS0_4arch9wavefront6targetE1EEEvT1_ ; -- Begin function _ZN7rocprim17ROCPRIM_400000_NS6detail17trampoline_kernelINS0_14default_configENS1_25partition_config_selectorILNS1_17partition_subalgoE9EllbEEZZNS1_14partition_implILS5_9ELb0ES3_jPlS8_PNS0_10empty_typeENS0_5tupleIJS8_S9_EEENSB_IJS8_SA_EEENS0_18inequality_wrapperIZN2at6native12_GLOBAL__N_124unique_dim_cuda_templateIsEESt5tupleIJNSF_6TensorESK_SK_EERKSK_lbbbEUlllE0_EEPmJS9_EEE10hipError_tPvRmT3_T4_T5_T6_T7_T9_mT8_P12ihipStream_tbDpT10_ENKUlT_T0_E_clISt17integral_constantIbLb0EES1A_EEDaS15_S16_EUlS15_E_NS1_11comp_targetILNS1_3genE5ELNS1_11target_archE942ELNS1_3gpuE9ELNS1_3repE0EEENS1_30default_config_static_selectorELNS0_4arch9wavefront6targetE1EEEvT1_
	.p2align	8
	.type	_ZN7rocprim17ROCPRIM_400000_NS6detail17trampoline_kernelINS0_14default_configENS1_25partition_config_selectorILNS1_17partition_subalgoE9EllbEEZZNS1_14partition_implILS5_9ELb0ES3_jPlS8_PNS0_10empty_typeENS0_5tupleIJS8_S9_EEENSB_IJS8_SA_EEENS0_18inequality_wrapperIZN2at6native12_GLOBAL__N_124unique_dim_cuda_templateIsEESt5tupleIJNSF_6TensorESK_SK_EERKSK_lbbbEUlllE0_EEPmJS9_EEE10hipError_tPvRmT3_T4_T5_T6_T7_T9_mT8_P12ihipStream_tbDpT10_ENKUlT_T0_E_clISt17integral_constantIbLb0EES1A_EEDaS15_S16_EUlS15_E_NS1_11comp_targetILNS1_3genE5ELNS1_11target_archE942ELNS1_3gpuE9ELNS1_3repE0EEENS1_30default_config_static_selectorELNS0_4arch9wavefront6targetE1EEEvT1_,@function
_ZN7rocprim17ROCPRIM_400000_NS6detail17trampoline_kernelINS0_14default_configENS1_25partition_config_selectorILNS1_17partition_subalgoE9EllbEEZZNS1_14partition_implILS5_9ELb0ES3_jPlS8_PNS0_10empty_typeENS0_5tupleIJS8_S9_EEENSB_IJS8_SA_EEENS0_18inequality_wrapperIZN2at6native12_GLOBAL__N_124unique_dim_cuda_templateIsEESt5tupleIJNSF_6TensorESK_SK_EERKSK_lbbbEUlllE0_EEPmJS9_EEE10hipError_tPvRmT3_T4_T5_T6_T7_T9_mT8_P12ihipStream_tbDpT10_ENKUlT_T0_E_clISt17integral_constantIbLb0EES1A_EEDaS15_S16_EUlS15_E_NS1_11comp_targetILNS1_3genE5ELNS1_11target_archE942ELNS1_3gpuE9ELNS1_3repE0EEENS1_30default_config_static_selectorELNS0_4arch9wavefront6targetE1EEEvT1_: ; @_ZN7rocprim17ROCPRIM_400000_NS6detail17trampoline_kernelINS0_14default_configENS1_25partition_config_selectorILNS1_17partition_subalgoE9EllbEEZZNS1_14partition_implILS5_9ELb0ES3_jPlS8_PNS0_10empty_typeENS0_5tupleIJS8_S9_EEENSB_IJS8_SA_EEENS0_18inequality_wrapperIZN2at6native12_GLOBAL__N_124unique_dim_cuda_templateIsEESt5tupleIJNSF_6TensorESK_SK_EERKSK_lbbbEUlllE0_EEPmJS9_EEE10hipError_tPvRmT3_T4_T5_T6_T7_T9_mT8_P12ihipStream_tbDpT10_ENKUlT_T0_E_clISt17integral_constantIbLb0EES1A_EEDaS15_S16_EUlS15_E_NS1_11comp_targetILNS1_3genE5ELNS1_11target_archE942ELNS1_3gpuE9ELNS1_3repE0EEENS1_30default_config_static_selectorELNS0_4arch9wavefront6targetE1EEEvT1_
; %bb.0:
	s_load_dwordx8 s[20:27], s[0:1], 0x40
	s_load_dwordx4 s[4:7], s[0:1], 0x8
	s_load_dwordx2 s[10:11], s[0:1], 0x18
	s_load_dword s3, s[0:1], 0x70
	s_mul_i32 s12, s2, 0xe00
	s_waitcnt lgkmcnt(0)
	v_mov_b32_e32 v2, s24
	s_lshl_b64 s[14:15], s[6:7], 3
	s_add_u32 s18, s4, s14
	s_mul_i32 s4, s3, 0xe00
	s_addc_u32 s19, s5, s15
	s_add_i32 s8, s3, -1
	s_add_i32 s3, s4, s6
	s_sub_i32 s3, s24, s3
	s_addk_i32 s3, 0xe00
	s_add_u32 s4, s6, s4
	s_addc_u32 s5, s7, 0
	v_mov_b32_e32 v3, s25
	s_cmp_eq_u32 s2, s8
	s_load_dwordx2 s[22:23], s[22:23], 0x0
	v_cmp_ge_u64_e32 vcc, s[4:5], v[2:3]
	s_cselect_b64 s[24:25], -1, 0
	s_mov_b32 s13, 0
	s_and_b64 s[8:9], s[24:25], vcc
	s_xor_b64 s[34:35], s[8:9], -1
	s_lshl_b64 s[16:17], s[12:13], 3
	s_add_u32 s12, s18, s16
	s_mov_b64 s[4:5], -1
	s_addc_u32 s13, s19, s17
	s_and_b64 vcc, exec, s[34:35]
	s_cbranch_vccz .LBB723_2
; %bb.1:
	v_lshlrev_b32_e32 v2, 3, v0
	v_mov_b32_e32 v3, 0
	v_lshl_add_u64 v[4:5], s[12:13], 0, v[2:3]
	v_add_co_u32_e32 v8, vcc, 0x1000, v4
	global_load_dwordx2 v[6:7], v2, s[12:13]
	s_nop 0
	v_addc_co_u32_e32 v9, vcc, 0, v5, vcc
	v_add_co_u32_e32 v10, vcc, 0x2000, v4
	s_mov_b64 s[4:5], 0
	s_nop 0
	v_addc_co_u32_e32 v11, vcc, 0, v5, vcc
	v_add_co_u32_e32 v12, vcc, 0x3000, v4
	s_nop 1
	v_addc_co_u32_e32 v13, vcc, 0, v5, vcc
	v_add_co_u32_e32 v14, vcc, 0x4000, v4
	s_nop 1
	v_addc_co_u32_e32 v15, vcc, 0, v5, vcc
	global_load_dwordx2 v[16:17], v[8:9], off
	global_load_dwordx2 v[18:19], v[10:11], off
	;; [unrolled: 1-line block ×4, first 2 shown]
	v_add_co_u32_e32 v8, vcc, 0x5000, v4
	s_nop 1
	v_addc_co_u32_e32 v9, vcc, 0, v5, vcc
	v_add_co_u32_e32 v4, vcc, 0x6000, v4
	global_load_dwordx2 v[8:9], v[8:9], off
	s_nop 0
	v_addc_co_u32_e32 v5, vcc, 0, v5, vcc
	global_load_dwordx2 v[4:5], v[4:5], off
	s_waitcnt vmcnt(5)
	ds_write2st64_b64 v2, v[6:7], v[16:17] offset1:8
	s_waitcnt vmcnt(3)
	ds_write2st64_b64 v2, v[18:19], v[20:21] offset0:16 offset1:24
	s_waitcnt vmcnt(1)
	ds_write2st64_b64 v2, v[22:23], v[8:9] offset0:32 offset1:40
	s_waitcnt vmcnt(0)
	ds_write_b64 v2, v[4:5] offset:24576
	s_waitcnt lgkmcnt(0)
	s_barrier
.LBB723_2:
	s_load_dwordx4 s[28:31], s[0:1], 0x60
	s_andn2_b64 vcc, exec, s[4:5]
	v_cmp_gt_u32_e64 s[4:5], s3, v0
	s_cbranch_vccnz .LBB723_18
; %bb.3:
                                        ; implicit-def: $vgpr2_vgpr3_vgpr4_vgpr5_vgpr6_vgpr7_vgpr8_vgpr9_vgpr10_vgpr11_vgpr12_vgpr13_vgpr14_vgpr15_vgpr16_vgpr17
	s_and_saveexec_b64 s[18:19], s[4:5]
	s_cbranch_execz .LBB723_5
; %bb.4:
	v_lshlrev_b32_e32 v1, 3, v0
	global_load_dwordx2 v[2:3], v1, s[12:13]
.LBB723_5:
	s_or_b64 exec, exec, s[18:19]
	v_or_b32_e32 v1, 0x200, v0
	v_cmp_gt_u32_e32 vcc, s3, v1
	s_and_saveexec_b64 s[4:5], vcc
	s_cbranch_execz .LBB723_7
; %bb.6:
	v_lshlrev_b32_e32 v1, 3, v1
	global_load_dwordx2 v[4:5], v1, s[12:13]
.LBB723_7:
	s_or_b64 exec, exec, s[4:5]
	v_or_b32_e32 v1, 0x400, v0
	v_cmp_gt_u32_e32 vcc, s3, v1
	s_and_saveexec_b64 s[4:5], vcc
	;; [unrolled: 9-line block ×6, first 2 shown]
	s_cbranch_execz .LBB723_17
; %bb.16:
	v_lshlrev_b32_e32 v1, 3, v1
	global_load_dwordx2 v[14:15], v1, s[12:13]
.LBB723_17:
	s_or_b64 exec, exec, s[4:5]
	v_lshlrev_b32_e32 v1, 3, v0
	s_waitcnt vmcnt(0)
	ds_write2st64_b64 v1, v[2:3], v[4:5] offset1:8
	ds_write2st64_b64 v1, v[6:7], v[8:9] offset0:16 offset1:24
	ds_write2st64_b64 v1, v[10:11], v[12:13] offset0:32 offset1:40
	ds_write_b64 v1, v[14:15] offset:24576
	s_waitcnt lgkmcnt(0)
	s_barrier
.LBB723_18:
	v_mul_u32_u24_e32 v1, 7, v0
	v_lshlrev_b32_e32 v44, 3, v1
	s_waitcnt lgkmcnt(0)
	ds_read2_b64 v[22:25], v44 offset1:1
	ds_read2_b64 v[18:21], v44 offset0:2 offset1:3
	ds_read2_b64 v[14:17], v44 offset0:4 offset1:5
	ds_read_b64 v[28:29], v44 offset:48
	s_add_u32 s4, s10, s14
	s_addc_u32 s5, s11, s15
	s_add_u32 s4, s4, s16
	s_addc_u32 s5, s5, s17
	s_mov_b64 s[10:11], -1
	s_and_b64 vcc, exec, s[34:35]
	s_waitcnt lgkmcnt(0)
	s_barrier
	s_cbranch_vccz .LBB723_20
; %bb.19:
	v_lshlrev_b32_e32 v2, 3, v0
	v_mov_b32_e32 v3, 0
	v_lshl_add_u64 v[4:5], s[4:5], 0, v[2:3]
	v_add_co_u32_e32 v8, vcc, 0x1000, v4
	global_load_dwordx2 v[6:7], v2, s[4:5]
	s_nop 0
	v_addc_co_u32_e32 v9, vcc, 0, v5, vcc
	v_add_co_u32_e32 v10, vcc, 0x2000, v4
	s_mov_b64 s[10:11], 0
	s_nop 0
	v_addc_co_u32_e32 v11, vcc, 0, v5, vcc
	v_add_co_u32_e32 v12, vcc, 0x3000, v4
	s_nop 1
	v_addc_co_u32_e32 v13, vcc, 0, v5, vcc
	v_add_co_u32_e32 v26, vcc, 0x4000, v4
	s_nop 1
	v_addc_co_u32_e32 v27, vcc, 0, v5, vcc
	global_load_dwordx2 v[30:31], v[8:9], off
	global_load_dwordx2 v[32:33], v[10:11], off
	;; [unrolled: 1-line block ×4, first 2 shown]
	v_add_co_u32_e32 v8, vcc, 0x5000, v4
	s_nop 1
	v_addc_co_u32_e32 v9, vcc, 0, v5, vcc
	v_add_co_u32_e32 v4, vcc, 0x6000, v4
	global_load_dwordx2 v[8:9], v[8:9], off
	s_nop 0
	v_addc_co_u32_e32 v5, vcc, 0, v5, vcc
	global_load_dwordx2 v[4:5], v[4:5], off
	s_waitcnt vmcnt(5)
	ds_write2st64_b64 v2, v[6:7], v[30:31] offset1:8
	s_waitcnt vmcnt(3)
	ds_write2st64_b64 v2, v[32:33], v[34:35] offset0:16 offset1:24
	s_waitcnt vmcnt(1)
	ds_write2st64_b64 v2, v[36:37], v[8:9] offset0:32 offset1:40
	s_waitcnt vmcnt(0)
	ds_write_b64 v2, v[4:5] offset:24576
	s_waitcnt lgkmcnt(0)
	s_barrier
.LBB723_20:
	s_andn2_b64 vcc, exec, s[10:11]
	s_cbranch_vccnz .LBB723_36
; %bb.21:
	v_cmp_gt_u32_e32 vcc, s3, v0
                                        ; implicit-def: $vgpr2_vgpr3
	s_and_saveexec_b64 s[10:11], vcc
	s_cbranch_execz .LBB723_23
; %bb.22:
	v_lshlrev_b32_e32 v2, 3, v0
	global_load_dwordx2 v[2:3], v2, s[4:5]
.LBB723_23:
	s_or_b64 exec, exec, s[10:11]
	v_or_b32_e32 v6, 0x200, v0
	v_cmp_gt_u32_e32 vcc, s3, v6
                                        ; implicit-def: $vgpr4_vgpr5
	s_and_saveexec_b64 s[10:11], vcc
	s_cbranch_execz .LBB723_25
; %bb.24:
	v_lshlrev_b32_e32 v4, 3, v6
	global_load_dwordx2 v[4:5], v4, s[4:5]
.LBB723_25:
	s_or_b64 exec, exec, s[10:11]
	v_or_b32_e32 v8, 0x400, v0
	v_cmp_gt_u32_e32 vcc, s3, v8
                                        ; implicit-def: $vgpr6_vgpr7
	s_and_saveexec_b64 s[10:11], vcc
	s_cbranch_execz .LBB723_27
; %bb.26:
	v_lshlrev_b32_e32 v6, 3, v8
	global_load_dwordx2 v[6:7], v6, s[4:5]
.LBB723_27:
	s_or_b64 exec, exec, s[10:11]
	v_or_b32_e32 v10, 0x600, v0
	v_cmp_gt_u32_e32 vcc, s3, v10
                                        ; implicit-def: $vgpr8_vgpr9
	s_and_saveexec_b64 s[10:11], vcc
	s_cbranch_execz .LBB723_29
; %bb.28:
	v_lshlrev_b32_e32 v8, 3, v10
	global_load_dwordx2 v[8:9], v8, s[4:5]
.LBB723_29:
	s_or_b64 exec, exec, s[10:11]
	v_or_b32_e32 v12, 0x800, v0
	v_cmp_gt_u32_e32 vcc, s3, v12
                                        ; implicit-def: $vgpr10_vgpr11
	s_and_saveexec_b64 s[10:11], vcc
	s_cbranch_execz .LBB723_31
; %bb.30:
	v_lshlrev_b32_e32 v10, 3, v12
	global_load_dwordx2 v[10:11], v10, s[4:5]
.LBB723_31:
	s_or_b64 exec, exec, s[10:11]
	v_or_b32_e32 v26, 0xa00, v0
	v_cmp_gt_u32_e32 vcc, s3, v26
                                        ; implicit-def: $vgpr12_vgpr13
	s_and_saveexec_b64 s[10:11], vcc
	s_cbranch_execz .LBB723_33
; %bb.32:
	v_lshlrev_b32_e32 v12, 3, v26
	global_load_dwordx2 v[12:13], v12, s[4:5]
.LBB723_33:
	s_or_b64 exec, exec, s[10:11]
	v_or_b32_e32 v30, 0xc00, v0
	v_cmp_gt_u32_e32 vcc, s3, v30
                                        ; implicit-def: $vgpr26_vgpr27
	s_and_saveexec_b64 s[10:11], vcc
	s_cbranch_execz .LBB723_35
; %bb.34:
	v_lshlrev_b32_e32 v26, 3, v30
	global_load_dwordx2 v[26:27], v26, s[4:5]
.LBB723_35:
	s_or_b64 exec, exec, s[10:11]
	s_movk_i32 s4, 0xffd0
	v_mad_i32_i24 v30, v0, s4, v44
	s_waitcnt vmcnt(0)
	ds_write2st64_b64 v30, v[2:3], v[4:5] offset1:8
	ds_write2st64_b64 v30, v[6:7], v[8:9] offset0:16 offset1:24
	ds_write2st64_b64 v30, v[10:11], v[12:13] offset0:32 offset1:40
	ds_write_b64 v30, v[26:27] offset:24576
	s_waitcnt lgkmcnt(0)
	s_barrier
.LBB723_36:
	ds_read2_b64 v[10:13], v44 offset1:1
	ds_read2_b64 v[6:9], v44 offset0:2 offset1:3
	ds_read2_b64 v[2:5], v44 offset0:4 offset1:5
	ds_read_b64 v[26:27], v44 offset:48
	s_cmp_lg_u32 s2, 0
	s_cselect_b64 s[16:17], -1, 0
	s_cmp_lg_u64 s[6:7], 0
	s_cselect_b64 s[4:5], -1, 0
	s_or_b64 s[4:5], s[16:17], s[4:5]
	v_add_u32_e32 v41, 1, v1
	v_add_u32_e32 v38, 2, v1
	;; [unrolled: 1-line block ×6, first 2 shown]
	s_mov_b64 s[10:11], 0
	s_and_b64 vcc, exec, s[4:5]
	v_cmp_gt_i64_e64 s[4:5], s[26:27], 0
	s_waitcnt lgkmcnt(0)
	s_barrier
	s_cbranch_vccz .LBB723_45
; %bb.37:
	s_add_u32 s6, s12, -8
	s_addc_u32 s7, s13, -1
	s_load_dwordx2 s[6:7], s[6:7], 0x0
	v_cndmask_b32_e64 v30, 0, 1, s[4:5]
	v_lshlrev_b32_e32 v45, 3, v0
	s_and_b64 vcc, exec, s[34:35]
	v_cmp_ne_u32_e64 s[4:5], 1, v30
	ds_write_b64 v45, v[28:29]
	s_cbranch_vccz .LBB723_47
; %bb.38:
	v_mul_lo_u32 v32, v17, s26
	v_mul_lo_u32 v33, v16, s27
	v_mad_u64_u32 v[30:31], s[12:13], v16, s26, 0
	v_add3_u32 v31, v31, v33, v32
	s_and_b64 vcc, exec, s[4:5]
	v_lshl_add_u64 v[30:31], v[30:31], 1, s[28:29]
	s_cbranch_vccnz .LBB723_50
; %bb.39:
	v_mul_lo_u32 v34, v29, s26
	v_mul_lo_u32 v35, v28, s27
	v_mad_u64_u32 v[32:33], s[10:11], v28, s26, 0
	v_add3_u32 v33, v33, v35, v34
	v_lshl_add_u64 v[32:33], v[32:33], 1, s[28:29]
	global_load_ushort v34, v[30:31], off
	global_load_ushort v35, v[32:33], off
	s_mov_b64 s[10:11], -1
	s_waitcnt vmcnt(0)
	v_cmp_eq_u16_e32 vcc, v34, v35
	s_and_saveexec_b64 s[12:13], vcc
	s_cbranch_execz .LBB723_49
; %bb.40:
	s_add_u32 s10, s26, -1
	v_lshl_add_u64 v[32:33], v[32:33], 0, 2
	v_lshl_add_u64 v[34:35], v[30:31], 0, 2
	s_addc_u32 s11, s27, -1
	s_mov_b64 s[14:15], 0
	s_mov_b64 s[36:37], 0
                                        ; implicit-def: $sgpr18_sgpr19
	s_branch .LBB723_43
.LBB723_41:                             ;   in Loop: Header=BB723_43 Depth=1
	global_load_ushort v36, v[34:35], off
	global_load_ushort v37, v[32:33], off
	s_add_u32 s36, s36, 1
	s_addc_u32 s37, s37, 0
	s_andn2_b64 s[18:19], s[18:19], exec
	v_lshl_add_u64 v[32:33], v[32:33], 0, 2
	v_lshl_add_u64 v[34:35], v[34:35], 0, 2
	s_waitcnt vmcnt(0)
	v_cmp_ne_u16_e32 vcc, v36, v37
	s_and_b64 s[38:39], vcc, exec
	s_or_b64 s[18:19], s[18:19], s[38:39]
.LBB723_42:                             ;   in Loop: Header=BB723_43 Depth=1
	s_and_b64 s[38:39], exec, s[18:19]
	s_or_b64 s[14:15], s[38:39], s[14:15]
	v_mov_b64_e32 v[36:37], s[36:37]
	s_andn2_b64 exec, exec, s[14:15]
	s_cbranch_execz .LBB723_48
.LBB723_43:                             ; =>This Inner Loop Header: Depth=1
	s_or_b64 s[18:19], s[18:19], exec
	s_cmp_eq_u64 s[10:11], s[36:37]
	s_cbranch_scc0 .LBB723_41
; %bb.44:                               ;   in Loop: Header=BB723_43 Depth=1
                                        ; implicit-def: $vgpr32_vgpr33
                                        ; implicit-def: $vgpr34_vgpr35
	s_mov_b64 s[36:37], s[26:27]
	s_branch .LBB723_42
.LBB723_45:
                                        ; implicit-def: $sgpr18_sgpr19
                                        ; implicit-def: $vgpr48
                                        ; implicit-def: $vgpr47
                                        ; implicit-def: $vgpr46
                                        ; implicit-def: $vgpr34
	s_branch .LBB723_188
.LBB723_46:
                                        ; implicit-def: $vgpr30_vgpr31
	s_branch .LBB723_336
.LBB723_47:
                                        ; implicit-def: $sgpr18_sgpr19
                                        ; implicit-def: $vgpr48
                                        ; implicit-def: $vgpr47
                                        ; implicit-def: $vgpr46
                                        ; implicit-def: $vgpr34
	s_cbranch_execnz .LBB723_107
	s_branch .LBB723_187
.LBB723_48:
	s_or_b64 exec, exec, s[14:15]
	v_cmp_gt_i64_e32 vcc, s[26:27], v[36:37]
	s_orn2_b64 s[10:11], vcc, exec
.LBB723_49:
	s_or_b64 exec, exec, s[12:13]
.LBB723_50:
	v_mul_lo_u32 v34, v15, s26
	v_mul_lo_u32 v35, v14, s27
	v_mad_u64_u32 v[32:33], s[12:13], v14, s26, 0
	v_add3_u32 v33, v33, v35, v34
	s_mov_b64 s[12:13], 0
	s_and_b64 vcc, exec, s[4:5]
	v_lshl_add_u64 v[32:33], v[32:33], 1, s[28:29]
	s_mov_b64 s[14:15], 0
	s_cbranch_vccnz .LBB723_59
; %bb.51:
	global_load_ushort v34, v[32:33], off
	global_load_ushort v35, v[30:31], off
	s_mov_b64 s[14:15], -1
	s_waitcnt vmcnt(0)
	v_cmp_eq_u16_e32 vcc, v34, v35
	s_and_saveexec_b64 s[18:19], vcc
	s_cbranch_execz .LBB723_58
; %bb.52:
	s_add_u32 s14, s26, -1
	v_lshl_add_u64 v[30:31], v[30:31], 0, 2
	v_lshl_add_u64 v[34:35], v[32:33], 0, 2
	s_addc_u32 s15, s27, -1
	s_mov_b64 s[36:37], 0
	s_mov_b64 s[40:41], 0
                                        ; implicit-def: $sgpr38_sgpr39
	s_branch .LBB723_55
.LBB723_53:                             ;   in Loop: Header=BB723_55 Depth=1
	global_load_ushort v36, v[34:35], off
	global_load_ushort v37, v[30:31], off
	s_add_u32 s40, s40, 1
	s_addc_u32 s41, s41, 0
	s_andn2_b64 s[38:39], s[38:39], exec
	v_lshl_add_u64 v[30:31], v[30:31], 0, 2
	v_lshl_add_u64 v[34:35], v[34:35], 0, 2
	s_waitcnt vmcnt(0)
	v_cmp_ne_u16_e32 vcc, v36, v37
	s_and_b64 s[42:43], vcc, exec
	s_or_b64 s[38:39], s[38:39], s[42:43]
.LBB723_54:                             ;   in Loop: Header=BB723_55 Depth=1
	s_and_b64 s[42:43], exec, s[38:39]
	s_or_b64 s[36:37], s[42:43], s[36:37]
	v_mov_b64_e32 v[36:37], s[40:41]
	s_andn2_b64 exec, exec, s[36:37]
	s_cbranch_execz .LBB723_57
.LBB723_55:                             ; =>This Inner Loop Header: Depth=1
	s_or_b64 s[38:39], s[38:39], exec
	s_cmp_eq_u64 s[14:15], s[40:41]
	s_cbranch_scc0 .LBB723_53
; %bb.56:                               ;   in Loop: Header=BB723_55 Depth=1
                                        ; implicit-def: $vgpr30_vgpr31
                                        ; implicit-def: $vgpr34_vgpr35
	s_mov_b64 s[40:41], s[26:27]
	s_branch .LBB723_54
.LBB723_57:
	s_or_b64 exec, exec, s[36:37]
	v_cmp_gt_i64_e32 vcc, s[26:27], v[36:37]
	s_orn2_b64 s[14:15], vcc, exec
.LBB723_58:
	s_or_b64 exec, exec, s[18:19]
.LBB723_59:
	v_mul_lo_u32 v34, v21, s26
	v_mul_lo_u32 v35, v20, s27
	v_mad_u64_u32 v[30:31], s[18:19], v20, s26, 0
	v_add3_u32 v31, v31, v35, v34
	s_and_b64 vcc, exec, s[4:5]
	v_lshl_add_u64 v[30:31], v[30:31], 1, s[28:29]
	s_cbranch_vccnz .LBB723_68
; %bb.60:
	global_load_ushort v34, v[30:31], off
	global_load_ushort v35, v[32:33], off
	s_mov_b64 s[12:13], -1
	s_waitcnt vmcnt(0)
	v_cmp_eq_u16_e32 vcc, v34, v35
	s_and_saveexec_b64 s[18:19], vcc
	s_cbranch_execz .LBB723_67
; %bb.61:
	s_add_u32 s12, s26, -1
	v_lshl_add_u64 v[32:33], v[32:33], 0, 2
	v_lshl_add_u64 v[34:35], v[30:31], 0, 2
	s_addc_u32 s13, s27, -1
	s_mov_b64 s[36:37], 0
	s_mov_b64 s[40:41], 0
                                        ; implicit-def: $sgpr38_sgpr39
	s_branch .LBB723_64
.LBB723_62:                             ;   in Loop: Header=BB723_64 Depth=1
	global_load_ushort v36, v[34:35], off
	global_load_ushort v37, v[32:33], off
	s_add_u32 s40, s40, 1
	s_addc_u32 s41, s41, 0
	s_andn2_b64 s[38:39], s[38:39], exec
	v_lshl_add_u64 v[32:33], v[32:33], 0, 2
	v_lshl_add_u64 v[34:35], v[34:35], 0, 2
	s_waitcnt vmcnt(0)
	v_cmp_ne_u16_e32 vcc, v36, v37
	s_and_b64 s[42:43], vcc, exec
	s_or_b64 s[38:39], s[38:39], s[42:43]
.LBB723_63:                             ;   in Loop: Header=BB723_64 Depth=1
	s_and_b64 s[42:43], exec, s[38:39]
	s_or_b64 s[36:37], s[42:43], s[36:37]
	v_mov_b64_e32 v[36:37], s[40:41]
	s_andn2_b64 exec, exec, s[36:37]
	s_cbranch_execz .LBB723_66
.LBB723_64:                             ; =>This Inner Loop Header: Depth=1
	s_or_b64 s[38:39], s[38:39], exec
	s_cmp_eq_u64 s[12:13], s[40:41]
	s_cbranch_scc0 .LBB723_62
; %bb.65:                               ;   in Loop: Header=BB723_64 Depth=1
                                        ; implicit-def: $vgpr32_vgpr33
                                        ; implicit-def: $vgpr34_vgpr35
	s_mov_b64 s[40:41], s[26:27]
	s_branch .LBB723_63
.LBB723_66:
	s_or_b64 exec, exec, s[36:37]
	v_cmp_gt_i64_e32 vcc, s[26:27], v[36:37]
	s_orn2_b64 s[12:13], vcc, exec
.LBB723_67:
	s_or_b64 exec, exec, s[18:19]
.LBB723_68:
	v_mul_lo_u32 v34, v19, s26
	v_mul_lo_u32 v35, v18, s27
	v_mad_u64_u32 v[32:33], s[18:19], v18, s26, 0
	v_add3_u32 v33, v33, v35, v34
	s_mov_b64 s[18:19], 0
	s_and_b64 vcc, exec, s[4:5]
	v_lshl_add_u64 v[34:35], v[32:33], 1, s[28:29]
	s_mov_b64 s[36:37], 0
	s_cbranch_vccnz .LBB723_77
; %bb.69:
	global_load_ushort v32, v[34:35], off
	global_load_ushort v33, v[30:31], off
	s_mov_b64 s[36:37], -1
	s_waitcnt vmcnt(0)
	v_cmp_eq_u16_e32 vcc, v32, v33
	s_and_saveexec_b64 s[38:39], vcc
	s_cbranch_execz .LBB723_76
; %bb.70:
	s_add_u32 s36, s26, -1
	v_lshl_add_u64 v[30:31], v[30:31], 0, 2
	v_lshl_add_u64 v[32:33], v[34:35], 0, 2
	s_addc_u32 s37, s27, -1
	s_mov_b64 s[40:41], 0
	s_mov_b64 s[44:45], 0
                                        ; implicit-def: $sgpr42_sgpr43
	s_branch .LBB723_73
.LBB723_71:                             ;   in Loop: Header=BB723_73 Depth=1
	global_load_ushort v36, v[32:33], off
	global_load_ushort v37, v[30:31], off
	s_add_u32 s44, s44, 1
	s_addc_u32 s45, s45, 0
	s_andn2_b64 s[42:43], s[42:43], exec
	v_lshl_add_u64 v[30:31], v[30:31], 0, 2
	v_lshl_add_u64 v[32:33], v[32:33], 0, 2
	s_waitcnt vmcnt(0)
	v_cmp_ne_u16_e32 vcc, v36, v37
	s_and_b64 s[46:47], vcc, exec
	s_or_b64 s[42:43], s[42:43], s[46:47]
.LBB723_72:                             ;   in Loop: Header=BB723_73 Depth=1
	s_and_b64 s[46:47], exec, s[42:43]
	s_or_b64 s[40:41], s[46:47], s[40:41]
	v_mov_b64_e32 v[36:37], s[44:45]
	s_andn2_b64 exec, exec, s[40:41]
	s_cbranch_execz .LBB723_75
.LBB723_73:                             ; =>This Inner Loop Header: Depth=1
	s_or_b64 s[42:43], s[42:43], exec
	s_cmp_eq_u64 s[36:37], s[44:45]
	s_cbranch_scc0 .LBB723_71
; %bb.74:                               ;   in Loop: Header=BB723_73 Depth=1
                                        ; implicit-def: $vgpr30_vgpr31
                                        ; implicit-def: $vgpr32_vgpr33
	s_mov_b64 s[44:45], s[26:27]
	s_branch .LBB723_72
.LBB723_75:
	s_or_b64 exec, exec, s[40:41]
	v_cmp_gt_i64_e32 vcc, s[26:27], v[36:37]
	s_orn2_b64 s[36:37], vcc, exec
.LBB723_76:
	s_or_b64 exec, exec, s[38:39]
.LBB723_77:
	v_mul_lo_u32 v32, v25, s26
	v_mul_lo_u32 v33, v24, s27
	v_mad_u64_u32 v[30:31], s[38:39], v24, s26, 0
	v_add3_u32 v31, v31, v33, v32
	s_and_b64 vcc, exec, s[4:5]
	v_lshl_add_u64 v[32:33], v[30:31], 1, s[28:29]
	s_cbranch_vccnz .LBB723_86
; %bb.78:
	global_load_ushort v30, v[32:33], off
	global_load_ushort v31, v[34:35], off
	s_mov_b64 s[18:19], -1
	s_waitcnt vmcnt(0)
	v_cmp_eq_u16_e32 vcc, v30, v31
	s_and_saveexec_b64 s[38:39], vcc
	s_cbranch_execz .LBB723_85
; %bb.79:
	s_add_u32 s18, s26, -1
	v_lshl_add_u64 v[30:31], v[34:35], 0, 2
	v_lshl_add_u64 v[34:35], v[32:33], 0, 2
	s_addc_u32 s19, s27, -1
	s_mov_b64 s[40:41], 0
	s_mov_b64 s[44:45], 0
                                        ; implicit-def: $sgpr42_sgpr43
	s_branch .LBB723_82
.LBB723_80:                             ;   in Loop: Header=BB723_82 Depth=1
	global_load_ushort v36, v[34:35], off
	global_load_ushort v37, v[30:31], off
	s_add_u32 s44, s44, 1
	s_addc_u32 s45, s45, 0
	s_andn2_b64 s[42:43], s[42:43], exec
	v_lshl_add_u64 v[30:31], v[30:31], 0, 2
	v_lshl_add_u64 v[34:35], v[34:35], 0, 2
	s_waitcnt vmcnt(0)
	v_cmp_ne_u16_e32 vcc, v36, v37
	s_and_b64 s[46:47], vcc, exec
	s_or_b64 s[42:43], s[42:43], s[46:47]
.LBB723_81:                             ;   in Loop: Header=BB723_82 Depth=1
	s_and_b64 s[46:47], exec, s[42:43]
	s_or_b64 s[40:41], s[46:47], s[40:41]
	v_mov_b64_e32 v[36:37], s[44:45]
	s_andn2_b64 exec, exec, s[40:41]
	s_cbranch_execz .LBB723_84
.LBB723_82:                             ; =>This Inner Loop Header: Depth=1
	s_or_b64 s[42:43], s[42:43], exec
	s_cmp_eq_u64 s[18:19], s[44:45]
	s_cbranch_scc0 .LBB723_80
; %bb.83:                               ;   in Loop: Header=BB723_82 Depth=1
                                        ; implicit-def: $vgpr30_vgpr31
                                        ; implicit-def: $vgpr34_vgpr35
	s_mov_b64 s[44:45], s[26:27]
	s_branch .LBB723_81
.LBB723_84:
	s_or_b64 exec, exec, s[40:41]
	v_cmp_gt_i64_e32 vcc, s[26:27], v[36:37]
	s_orn2_b64 s[18:19], vcc, exec
.LBB723_85:
	s_or_b64 exec, exec, s[38:39]
.LBB723_86:
	v_mul_lo_u32 v34, v23, s26
	v_mul_lo_u32 v35, v22, s27
	v_mad_u64_u32 v[30:31], s[38:39], v22, s26, 0
	v_add3_u32 v31, v31, v35, v34
	s_mov_b64 s[40:41], 0
	s_and_b64 vcc, exec, s[4:5]
	v_lshl_add_u64 v[30:31], v[30:31], 1, s[28:29]
	s_cbranch_vccnz .LBB723_95
; %bb.87:
	global_load_ushort v34, v[30:31], off
	global_load_ushort v35, v[32:33], off
	s_mov_b64 s[40:41], -1
	s_waitcnt vmcnt(0)
	v_cmp_eq_u16_e32 vcc, v34, v35
	s_and_saveexec_b64 s[38:39], vcc
	s_cbranch_execz .LBB723_94
; %bb.88:
	s_add_u32 s40, s26, -1
	v_lshl_add_u64 v[32:33], v[32:33], 0, 2
	v_lshl_add_u64 v[34:35], v[30:31], 0, 2
	s_addc_u32 s41, s27, -1
	s_mov_b64 s[42:43], 0
	s_mov_b64 s[46:47], 0
                                        ; implicit-def: $sgpr44_sgpr45
	s_branch .LBB723_91
.LBB723_89:                             ;   in Loop: Header=BB723_91 Depth=1
	global_load_ushort v36, v[34:35], off
	global_load_ushort v37, v[32:33], off
	s_add_u32 s46, s46, 1
	s_addc_u32 s47, s47, 0
	s_andn2_b64 s[44:45], s[44:45], exec
	v_lshl_add_u64 v[32:33], v[32:33], 0, 2
	v_lshl_add_u64 v[34:35], v[34:35], 0, 2
	s_waitcnt vmcnt(0)
	v_cmp_ne_u16_e32 vcc, v36, v37
	s_and_b64 s[48:49], vcc, exec
	s_or_b64 s[44:45], s[44:45], s[48:49]
.LBB723_90:                             ;   in Loop: Header=BB723_91 Depth=1
	s_and_b64 s[48:49], exec, s[44:45]
	s_or_b64 s[42:43], s[48:49], s[42:43]
	v_mov_b64_e32 v[36:37], s[46:47]
	s_andn2_b64 exec, exec, s[42:43]
	s_cbranch_execz .LBB723_93
.LBB723_91:                             ; =>This Inner Loop Header: Depth=1
	s_or_b64 s[44:45], s[44:45], exec
	s_cmp_eq_u64 s[40:41], s[46:47]
	s_cbranch_scc0 .LBB723_89
; %bb.92:                               ;   in Loop: Header=BB723_91 Depth=1
                                        ; implicit-def: $vgpr32_vgpr33
                                        ; implicit-def: $vgpr34_vgpr35
	s_mov_b64 s[46:47], s[26:27]
	s_branch .LBB723_90
.LBB723_93:
	s_or_b64 exec, exec, s[42:43]
	v_cmp_gt_i64_e32 vcc, s[26:27], v[36:37]
	s_orn2_b64 s[40:41], vcc, exec
.LBB723_94:
	s_or_b64 exec, exec, s[38:39]
.LBB723_95:
	v_cmp_ne_u32_e32 vcc, 0, v0
	s_waitcnt lgkmcnt(0)
	v_mov_b64_e32 v[32:33], s[6:7]
	s_barrier
	s_and_saveexec_b64 s[38:39], vcc
	s_cbranch_execz .LBB723_97
; %bb.96:
	v_add_u32_e32 v32, -8, v45
	ds_read_b64 v[32:33], v32
.LBB723_97:
	s_or_b64 exec, exec, s[38:39]
	v_cndmask_b32_e64 v35, 0, 1, s[36:37]
	v_cndmask_b32_e64 v34, 0, 1, s[18:19]
	;; [unrolled: 1-line block ×3, first 2 shown]
	v_lshlrev_b16_e32 v35, 8, v35
	v_lshlrev_b16_e32 v36, 8, v36
	v_or_b32_sdwa v37, v34, v35 dst_sel:WORD_1 dst_unused:UNUSED_PAD src0_sel:DWORD src1_sel:DWORD
	s_mov_b64 s[36:37], 0
	s_and_b64 vcc, exec, s[4:5]
	s_mov_b64 s[18:19], 0
	s_cbranch_vccnz .LBB723_106
; %bb.98:
	s_waitcnt lgkmcnt(0)
	v_mul_lo_u32 v34, v33, s26
	v_mul_lo_u32 v35, v32, s27
	v_mad_u64_u32 v[32:33], s[18:19], v32, s26, 0
	v_add3_u32 v33, v33, v35, v34
	v_lshl_add_u64 v[32:33], v[32:33], 1, s[28:29]
	global_load_ushort v34, v[32:33], off
	global_load_ushort v35, v[30:31], off
	s_mov_b64 s[18:19], -1
	s_waitcnt vmcnt(0)
	v_cmp_eq_u16_e32 vcc, v34, v35
	s_and_saveexec_b64 s[38:39], vcc
	s_cbranch_execz .LBB723_105
; %bb.99:
	s_add_u32 s18, s26, -1
	v_lshl_add_u64 v[30:31], v[30:31], 0, 2
	v_lshl_add_u64 v[32:33], v[32:33], 0, 2
	s_addc_u32 s19, s27, -1
	s_mov_b64 s[40:41], 0
	s_mov_b64 s[44:45], 0
                                        ; implicit-def: $sgpr42_sgpr43
	s_branch .LBB723_102
.LBB723_100:                            ;   in Loop: Header=BB723_102 Depth=1
	global_load_ushort v34, v[32:33], off
	global_load_ushort v35, v[30:31], off
	s_add_u32 s44, s44, 1
	s_addc_u32 s45, s45, 0
	s_andn2_b64 s[42:43], s[42:43], exec
	v_lshl_add_u64 v[30:31], v[30:31], 0, 2
	v_lshl_add_u64 v[32:33], v[32:33], 0, 2
	s_waitcnt vmcnt(0)
	v_cmp_ne_u16_e32 vcc, v34, v35
	s_and_b64 s[46:47], vcc, exec
	s_or_b64 s[42:43], s[42:43], s[46:47]
.LBB723_101:                            ;   in Loop: Header=BB723_102 Depth=1
	s_and_b64 s[46:47], exec, s[42:43]
	s_or_b64 s[40:41], s[46:47], s[40:41]
	v_mov_b64_e32 v[34:35], s[44:45]
	s_andn2_b64 exec, exec, s[40:41]
	s_cbranch_execz .LBB723_104
.LBB723_102:                            ; =>This Inner Loop Header: Depth=1
	s_or_b64 s[42:43], s[42:43], exec
	s_cmp_eq_u64 s[18:19], s[44:45]
	s_cbranch_scc0 .LBB723_100
; %bb.103:                              ;   in Loop: Header=BB723_102 Depth=1
                                        ; implicit-def: $vgpr30_vgpr31
                                        ; implicit-def: $vgpr32_vgpr33
	s_mov_b64 s[44:45], s[26:27]
	s_branch .LBB723_101
.LBB723_104:
	s_or_b64 exec, exec, s[40:41]
	v_cmp_gt_i64_e32 vcc, s[26:27], v[34:35]
	s_orn2_b64 s[18:19], vcc, exec
.LBB723_105:
	s_or_b64 exec, exec, s[38:39]
.LBB723_106:
	v_cndmask_b32_e64 v46, 0, 1, s[12:13]
	v_cndmask_b32_e64 v47, 0, 1, s[14:15]
	;; [unrolled: 1-line block ×3, first 2 shown]
	v_or_b32_e32 v34, v36, v37
	s_and_b64 vcc, exec, s[36:37]
	s_cbranch_vccz .LBB723_187
.LBB723_107:
	v_cmp_gt_u32_e32 vcc, s3, v40
	s_mov_b64 s[12:13], 0
	s_mov_b64 s[10:11], 0
	s_and_saveexec_b64 s[14:15], vcc
	s_cbranch_execz .LBB723_118
; %bb.108:
	s_and_b64 vcc, exec, s[4:5]
	s_mov_b64 s[18:19], 0
	s_cbranch_vccnz .LBB723_117
; %bb.109:
	s_waitcnt lgkmcnt(0)
	v_mul_lo_u32 v32, v17, s26
	v_mul_lo_u32 v33, v16, s27
	v_mad_u64_u32 v[30:31], s[10:11], v16, s26, 0
	v_add3_u32 v31, v31, v33, v32
	v_mul_lo_u32 v32, v29, s26
	v_mul_lo_u32 v33, v28, s27
	v_mad_u64_u32 v[34:35], s[10:11], v28, s26, 0
	v_add3_u32 v35, v35, v33, v32
	v_lshl_add_u64 v[32:33], v[30:31], 1, s[28:29]
	v_lshl_add_u64 v[30:31], v[34:35], 1, s[28:29]
	global_load_ushort v34, v[32:33], off
	global_load_ushort v35, v[30:31], off
	s_mov_b64 s[18:19], -1
	s_waitcnt vmcnt(0)
	v_cmp_eq_u16_e32 vcc, v34, v35
	s_and_saveexec_b64 s[10:11], vcc
	s_cbranch_execz .LBB723_116
; %bb.110:
	s_add_u32 s18, s26, -1
	v_lshl_add_u64 v[30:31], v[30:31], 0, 2
	v_lshl_add_u64 v[32:33], v[32:33], 0, 2
	s_addc_u32 s19, s27, -1
	s_mov_b64 s[36:37], 0
	s_mov_b64 s[40:41], 0
                                        ; implicit-def: $sgpr38_sgpr39
	s_branch .LBB723_113
.LBB723_111:                            ;   in Loop: Header=BB723_113 Depth=1
	global_load_ushort v34, v[32:33], off
	global_load_ushort v35, v[30:31], off
	s_add_u32 s40, s40, 1
	s_addc_u32 s41, s41, 0
	s_andn2_b64 s[38:39], s[38:39], exec
	v_lshl_add_u64 v[30:31], v[30:31], 0, 2
	v_lshl_add_u64 v[32:33], v[32:33], 0, 2
	s_waitcnt vmcnt(0)
	v_cmp_ne_u16_e32 vcc, v34, v35
	s_and_b64 s[42:43], vcc, exec
	s_or_b64 s[38:39], s[38:39], s[42:43]
.LBB723_112:                            ;   in Loop: Header=BB723_113 Depth=1
	s_and_b64 s[42:43], exec, s[38:39]
	s_or_b64 s[36:37], s[42:43], s[36:37]
	v_mov_b64_e32 v[34:35], s[40:41]
	s_andn2_b64 exec, exec, s[36:37]
	s_cbranch_execz .LBB723_115
.LBB723_113:                            ; =>This Inner Loop Header: Depth=1
	s_or_b64 s[38:39], s[38:39], exec
	s_cmp_eq_u64 s[18:19], s[40:41]
	s_cbranch_scc0 .LBB723_111
; %bb.114:                              ;   in Loop: Header=BB723_113 Depth=1
                                        ; implicit-def: $vgpr30_vgpr31
                                        ; implicit-def: $vgpr32_vgpr33
	s_mov_b64 s[40:41], s[26:27]
	s_branch .LBB723_112
.LBB723_115:
	s_or_b64 exec, exec, s[36:37]
	v_cmp_gt_i64_e32 vcc, s[26:27], v[34:35]
	s_orn2_b64 s[18:19], vcc, exec
.LBB723_116:
	s_or_b64 exec, exec, s[10:11]
.LBB723_117:
	s_and_b64 s[10:11], s[18:19], exec
.LBB723_118:
	s_or_b64 exec, exec, s[14:15]
	v_cmp_gt_u32_e32 vcc, s3, v43
	s_and_saveexec_b64 s[14:15], vcc
	s_cbranch_execz .LBB723_129
; %bb.119:
	s_and_b64 vcc, exec, s[4:5]
	s_mov_b64 s[18:19], 0
	s_cbranch_vccnz .LBB723_128
; %bb.120:
	s_waitcnt lgkmcnt(0)
	v_mul_lo_u32 v32, v15, s26
	v_mul_lo_u32 v33, v14, s27
	v_mad_u64_u32 v[30:31], s[12:13], v14, s26, 0
	v_add3_u32 v31, v31, v33, v32
	v_mul_lo_u32 v32, v17, s26
	v_mul_lo_u32 v33, v16, s27
	v_mad_u64_u32 v[34:35], s[12:13], v16, s26, 0
	v_add3_u32 v35, v35, v33, v32
	v_lshl_add_u64 v[32:33], v[30:31], 1, s[28:29]
	v_lshl_add_u64 v[30:31], v[34:35], 1, s[28:29]
	global_load_ushort v34, v[32:33], off
	global_load_ushort v35, v[30:31], off
	s_mov_b64 s[18:19], -1
	s_waitcnt vmcnt(0)
	v_cmp_eq_u16_e32 vcc, v34, v35
	s_and_saveexec_b64 s[12:13], vcc
	s_cbranch_execz .LBB723_127
; %bb.121:
	s_add_u32 s18, s26, -1
	v_lshl_add_u64 v[30:31], v[30:31], 0, 2
	v_lshl_add_u64 v[32:33], v[32:33], 0, 2
	s_addc_u32 s19, s27, -1
	s_mov_b64 s[36:37], 0
	s_mov_b64 s[40:41], 0
                                        ; implicit-def: $sgpr38_sgpr39
	s_branch .LBB723_124
.LBB723_122:                            ;   in Loop: Header=BB723_124 Depth=1
	global_load_ushort v34, v[32:33], off
	global_load_ushort v35, v[30:31], off
	s_add_u32 s40, s40, 1
	s_addc_u32 s41, s41, 0
	s_andn2_b64 s[38:39], s[38:39], exec
	v_lshl_add_u64 v[30:31], v[30:31], 0, 2
	v_lshl_add_u64 v[32:33], v[32:33], 0, 2
	s_waitcnt vmcnt(0)
	v_cmp_ne_u16_e32 vcc, v34, v35
	s_and_b64 s[42:43], vcc, exec
	s_or_b64 s[38:39], s[38:39], s[42:43]
.LBB723_123:                            ;   in Loop: Header=BB723_124 Depth=1
	s_and_b64 s[42:43], exec, s[38:39]
	s_or_b64 s[36:37], s[42:43], s[36:37]
	v_mov_b64_e32 v[34:35], s[40:41]
	s_andn2_b64 exec, exec, s[36:37]
	s_cbranch_execz .LBB723_126
.LBB723_124:                            ; =>This Inner Loop Header: Depth=1
	s_or_b64 s[38:39], s[38:39], exec
	s_cmp_eq_u64 s[18:19], s[40:41]
	s_cbranch_scc0 .LBB723_122
; %bb.125:                              ;   in Loop: Header=BB723_124 Depth=1
                                        ; implicit-def: $vgpr30_vgpr31
                                        ; implicit-def: $vgpr32_vgpr33
	s_mov_b64 s[40:41], s[26:27]
	s_branch .LBB723_123
.LBB723_126:
	s_or_b64 exec, exec, s[36:37]
	v_cmp_gt_i64_e32 vcc, s[26:27], v[34:35]
	s_orn2_b64 s[18:19], vcc, exec
.LBB723_127:
	s_or_b64 exec, exec, s[12:13]
.LBB723_128:
	s_and_b64 s[12:13], s[18:19], exec
.LBB723_129:
	s_or_b64 exec, exec, s[14:15]
	v_cmp_gt_u32_e32 vcc, s3, v39
	s_mov_b64 s[18:19], 0
	s_mov_b64 s[14:15], 0
	s_and_saveexec_b64 s[36:37], vcc
	s_cbranch_execz .LBB723_140
; %bb.130:
	s_and_b64 vcc, exec, s[4:5]
	s_mov_b64 s[38:39], 0
	s_cbranch_vccnz .LBB723_139
; %bb.131:
	s_waitcnt lgkmcnt(0)
	v_mul_lo_u32 v32, v21, s26
	v_mul_lo_u32 v33, v20, s27
	v_mad_u64_u32 v[30:31], s[14:15], v20, s26, 0
	v_add3_u32 v31, v31, v33, v32
	v_mul_lo_u32 v32, v15, s26
	v_mul_lo_u32 v33, v14, s27
	v_mad_u64_u32 v[34:35], s[14:15], v14, s26, 0
	v_add3_u32 v35, v35, v33, v32
	v_lshl_add_u64 v[32:33], v[30:31], 1, s[28:29]
	v_lshl_add_u64 v[30:31], v[34:35], 1, s[28:29]
	global_load_ushort v34, v[32:33], off
	global_load_ushort v35, v[30:31], off
	s_mov_b64 s[38:39], -1
	s_waitcnt vmcnt(0)
	v_cmp_eq_u16_e32 vcc, v34, v35
	s_and_saveexec_b64 s[14:15], vcc
	s_cbranch_execz .LBB723_138
; %bb.132:
	s_add_u32 s38, s26, -1
	v_lshl_add_u64 v[30:31], v[30:31], 0, 2
	v_lshl_add_u64 v[32:33], v[32:33], 0, 2
	s_addc_u32 s39, s27, -1
	s_mov_b64 s[40:41], 0
	s_mov_b64 s[44:45], 0
                                        ; implicit-def: $sgpr42_sgpr43
	s_branch .LBB723_135
.LBB723_133:                            ;   in Loop: Header=BB723_135 Depth=1
	global_load_ushort v34, v[32:33], off
	global_load_ushort v35, v[30:31], off
	s_add_u32 s44, s44, 1
	s_addc_u32 s45, s45, 0
	s_andn2_b64 s[42:43], s[42:43], exec
	v_lshl_add_u64 v[30:31], v[30:31], 0, 2
	v_lshl_add_u64 v[32:33], v[32:33], 0, 2
	s_waitcnt vmcnt(0)
	v_cmp_ne_u16_e32 vcc, v34, v35
	s_and_b64 s[46:47], vcc, exec
	s_or_b64 s[42:43], s[42:43], s[46:47]
.LBB723_134:                            ;   in Loop: Header=BB723_135 Depth=1
	s_and_b64 s[46:47], exec, s[42:43]
	s_or_b64 s[40:41], s[46:47], s[40:41]
	v_mov_b64_e32 v[34:35], s[44:45]
	s_andn2_b64 exec, exec, s[40:41]
	s_cbranch_execz .LBB723_137
.LBB723_135:                            ; =>This Inner Loop Header: Depth=1
	s_or_b64 s[42:43], s[42:43], exec
	s_cmp_eq_u64 s[38:39], s[44:45]
	s_cbranch_scc0 .LBB723_133
; %bb.136:                              ;   in Loop: Header=BB723_135 Depth=1
                                        ; implicit-def: $vgpr30_vgpr31
                                        ; implicit-def: $vgpr32_vgpr33
	s_mov_b64 s[44:45], s[26:27]
	s_branch .LBB723_134
.LBB723_137:
	s_or_b64 exec, exec, s[40:41]
	v_cmp_gt_i64_e32 vcc, s[26:27], v[34:35]
	s_orn2_b64 s[38:39], vcc, exec
.LBB723_138:
	s_or_b64 exec, exec, s[14:15]
.LBB723_139:
	s_and_b64 s[14:15], s[38:39], exec
.LBB723_140:
	s_or_b64 exec, exec, s[36:37]
	v_cmp_gt_u32_e32 vcc, s3, v42
	s_and_saveexec_b64 s[36:37], vcc
	s_cbranch_execz .LBB723_151
; %bb.141:
	s_and_b64 vcc, exec, s[4:5]
	s_mov_b64 s[38:39], 0
	s_cbranch_vccnz .LBB723_150
; %bb.142:
	s_waitcnt lgkmcnt(0)
	v_mul_lo_u32 v32, v19, s26
	v_mul_lo_u32 v33, v18, s27
	v_mad_u64_u32 v[30:31], s[18:19], v18, s26, 0
	v_add3_u32 v31, v31, v33, v32
	v_mul_lo_u32 v32, v21, s26
	v_mul_lo_u32 v33, v20, s27
	v_mad_u64_u32 v[34:35], s[18:19], v20, s26, 0
	v_add3_u32 v35, v35, v33, v32
	v_lshl_add_u64 v[32:33], v[30:31], 1, s[28:29]
	v_lshl_add_u64 v[30:31], v[34:35], 1, s[28:29]
	global_load_ushort v34, v[32:33], off
	global_load_ushort v35, v[30:31], off
	s_mov_b64 s[38:39], -1
	s_waitcnt vmcnt(0)
	v_cmp_eq_u16_e32 vcc, v34, v35
	s_and_saveexec_b64 s[18:19], vcc
	s_cbranch_execz .LBB723_149
; %bb.143:
	s_add_u32 s38, s26, -1
	v_lshl_add_u64 v[30:31], v[30:31], 0, 2
	v_lshl_add_u64 v[32:33], v[32:33], 0, 2
	s_addc_u32 s39, s27, -1
	s_mov_b64 s[40:41], 0
	s_mov_b64 s[44:45], 0
                                        ; implicit-def: $sgpr42_sgpr43
	s_branch .LBB723_146
.LBB723_144:                            ;   in Loop: Header=BB723_146 Depth=1
	global_load_ushort v34, v[32:33], off
	global_load_ushort v35, v[30:31], off
	s_add_u32 s44, s44, 1
	s_addc_u32 s45, s45, 0
	s_andn2_b64 s[42:43], s[42:43], exec
	v_lshl_add_u64 v[30:31], v[30:31], 0, 2
	v_lshl_add_u64 v[32:33], v[32:33], 0, 2
	s_waitcnt vmcnt(0)
	v_cmp_ne_u16_e32 vcc, v34, v35
	s_and_b64 s[46:47], vcc, exec
	s_or_b64 s[42:43], s[42:43], s[46:47]
.LBB723_145:                            ;   in Loop: Header=BB723_146 Depth=1
	s_and_b64 s[46:47], exec, s[42:43]
	s_or_b64 s[40:41], s[46:47], s[40:41]
	v_mov_b64_e32 v[34:35], s[44:45]
	s_andn2_b64 exec, exec, s[40:41]
	s_cbranch_execz .LBB723_148
.LBB723_146:                            ; =>This Inner Loop Header: Depth=1
	s_or_b64 s[42:43], s[42:43], exec
	s_cmp_eq_u64 s[38:39], s[44:45]
	s_cbranch_scc0 .LBB723_144
; %bb.147:                              ;   in Loop: Header=BB723_146 Depth=1
                                        ; implicit-def: $vgpr30_vgpr31
                                        ; implicit-def: $vgpr32_vgpr33
	s_mov_b64 s[44:45], s[26:27]
	s_branch .LBB723_145
.LBB723_148:
	s_or_b64 exec, exec, s[40:41]
	v_cmp_gt_i64_e32 vcc, s[26:27], v[34:35]
	s_orn2_b64 s[38:39], vcc, exec
.LBB723_149:
	s_or_b64 exec, exec, s[18:19]
.LBB723_150:
	s_and_b64 s[18:19], s[38:39], exec
.LBB723_151:
	s_or_b64 exec, exec, s[36:37]
	v_cmp_gt_u32_e32 vcc, s3, v38
	s_mov_b64 s[36:37], 0
	s_mov_b64 s[38:39], 0
	s_and_saveexec_b64 s[40:41], vcc
	s_cbranch_execz .LBB723_162
; %bb.152:
	s_and_b64 vcc, exec, s[4:5]
	s_mov_b64 s[42:43], 0
	s_cbranch_vccnz .LBB723_161
; %bb.153:
	s_waitcnt lgkmcnt(0)
	v_mul_lo_u32 v32, v25, s26
	v_mul_lo_u32 v33, v24, s27
	v_mad_u64_u32 v[30:31], s[38:39], v24, s26, 0
	v_add3_u32 v31, v31, v33, v32
	v_mul_lo_u32 v32, v19, s26
	v_mul_lo_u32 v33, v18, s27
	v_mad_u64_u32 v[34:35], s[38:39], v18, s26, 0
	v_add3_u32 v35, v35, v33, v32
	v_lshl_add_u64 v[32:33], v[30:31], 1, s[28:29]
	v_lshl_add_u64 v[30:31], v[34:35], 1, s[28:29]
	global_load_ushort v34, v[32:33], off
	global_load_ushort v35, v[30:31], off
	s_mov_b64 s[42:43], -1
	s_waitcnt vmcnt(0)
	v_cmp_eq_u16_e32 vcc, v34, v35
	s_and_saveexec_b64 s[38:39], vcc
	s_cbranch_execz .LBB723_160
; %bb.154:
	s_add_u32 s42, s26, -1
	v_lshl_add_u64 v[30:31], v[30:31], 0, 2
	v_lshl_add_u64 v[32:33], v[32:33], 0, 2
	s_addc_u32 s43, s27, -1
	s_mov_b64 s[44:45], 0
	s_mov_b64 s[48:49], 0
                                        ; implicit-def: $sgpr46_sgpr47
	s_branch .LBB723_157
.LBB723_155:                            ;   in Loop: Header=BB723_157 Depth=1
	global_load_ushort v34, v[32:33], off
	global_load_ushort v35, v[30:31], off
	s_add_u32 s48, s48, 1
	s_addc_u32 s49, s49, 0
	s_andn2_b64 s[46:47], s[46:47], exec
	v_lshl_add_u64 v[30:31], v[30:31], 0, 2
	v_lshl_add_u64 v[32:33], v[32:33], 0, 2
	s_waitcnt vmcnt(0)
	v_cmp_ne_u16_e32 vcc, v34, v35
	s_and_b64 s[50:51], vcc, exec
	s_or_b64 s[46:47], s[46:47], s[50:51]
.LBB723_156:                            ;   in Loop: Header=BB723_157 Depth=1
	s_and_b64 s[50:51], exec, s[46:47]
	s_or_b64 s[44:45], s[50:51], s[44:45]
	v_mov_b64_e32 v[34:35], s[48:49]
	s_andn2_b64 exec, exec, s[44:45]
	s_cbranch_execz .LBB723_159
.LBB723_157:                            ; =>This Inner Loop Header: Depth=1
	s_or_b64 s[46:47], s[46:47], exec
	s_cmp_eq_u64 s[42:43], s[48:49]
	s_cbranch_scc0 .LBB723_155
; %bb.158:                              ;   in Loop: Header=BB723_157 Depth=1
                                        ; implicit-def: $vgpr30_vgpr31
                                        ; implicit-def: $vgpr32_vgpr33
	s_mov_b64 s[48:49], s[26:27]
	s_branch .LBB723_156
.LBB723_159:
	s_or_b64 exec, exec, s[44:45]
	v_cmp_gt_i64_e32 vcc, s[26:27], v[34:35]
	s_orn2_b64 s[42:43], vcc, exec
.LBB723_160:
	s_or_b64 exec, exec, s[38:39]
.LBB723_161:
	s_and_b64 s[38:39], s[42:43], exec
.LBB723_162:
	s_or_b64 exec, exec, s[40:41]
	v_cmp_gt_u32_e32 vcc, s3, v41
	s_and_saveexec_b64 s[40:41], vcc
	s_cbranch_execz .LBB723_173
; %bb.163:
	s_and_b64 vcc, exec, s[4:5]
	s_mov_b64 s[42:43], 0
	s_cbranch_vccnz .LBB723_172
; %bb.164:
	s_waitcnt lgkmcnt(0)
	v_mul_lo_u32 v32, v23, s26
	v_mul_lo_u32 v33, v22, s27
	v_mad_u64_u32 v[30:31], s[36:37], v22, s26, 0
	v_add3_u32 v31, v31, v33, v32
	v_mul_lo_u32 v32, v25, s26
	v_mul_lo_u32 v33, v24, s27
	v_mad_u64_u32 v[34:35], s[36:37], v24, s26, 0
	v_add3_u32 v35, v35, v33, v32
	v_lshl_add_u64 v[32:33], v[30:31], 1, s[28:29]
	v_lshl_add_u64 v[30:31], v[34:35], 1, s[28:29]
	global_load_ushort v34, v[32:33], off
	global_load_ushort v35, v[30:31], off
	s_mov_b64 s[42:43], -1
	s_waitcnt vmcnt(0)
	v_cmp_eq_u16_e32 vcc, v34, v35
	s_and_saveexec_b64 s[36:37], vcc
	s_cbranch_execz .LBB723_171
; %bb.165:
	s_add_u32 s42, s26, -1
	v_lshl_add_u64 v[30:31], v[30:31], 0, 2
	v_lshl_add_u64 v[32:33], v[32:33], 0, 2
	s_addc_u32 s43, s27, -1
	s_mov_b64 s[44:45], 0
	s_mov_b64 s[48:49], 0
                                        ; implicit-def: $sgpr46_sgpr47
	s_branch .LBB723_168
.LBB723_166:                            ;   in Loop: Header=BB723_168 Depth=1
	global_load_ushort v34, v[32:33], off
	global_load_ushort v35, v[30:31], off
	s_add_u32 s48, s48, 1
	s_addc_u32 s49, s49, 0
	s_andn2_b64 s[46:47], s[46:47], exec
	v_lshl_add_u64 v[30:31], v[30:31], 0, 2
	v_lshl_add_u64 v[32:33], v[32:33], 0, 2
	s_waitcnt vmcnt(0)
	v_cmp_ne_u16_e32 vcc, v34, v35
	s_and_b64 s[50:51], vcc, exec
	s_or_b64 s[46:47], s[46:47], s[50:51]
.LBB723_167:                            ;   in Loop: Header=BB723_168 Depth=1
	s_and_b64 s[50:51], exec, s[46:47]
	s_or_b64 s[44:45], s[50:51], s[44:45]
	v_mov_b64_e32 v[34:35], s[48:49]
	s_andn2_b64 exec, exec, s[44:45]
	s_cbranch_execz .LBB723_170
.LBB723_168:                            ; =>This Inner Loop Header: Depth=1
	s_or_b64 s[46:47], s[46:47], exec
	s_cmp_eq_u64 s[42:43], s[48:49]
	s_cbranch_scc0 .LBB723_166
; %bb.169:                              ;   in Loop: Header=BB723_168 Depth=1
                                        ; implicit-def: $vgpr30_vgpr31
                                        ; implicit-def: $vgpr32_vgpr33
	s_mov_b64 s[48:49], s[26:27]
	s_branch .LBB723_167
.LBB723_170:
	s_or_b64 exec, exec, s[44:45]
	v_cmp_gt_i64_e32 vcc, s[26:27], v[34:35]
	s_orn2_b64 s[42:43], vcc, exec
.LBB723_171:
	s_or_b64 exec, exec, s[36:37]
.LBB723_172:
	s_and_b64 s[36:37], s[42:43], exec
.LBB723_173:
	s_or_b64 exec, exec, s[40:41]
	v_cmp_ne_u32_e32 vcc, 0, v0
	s_waitcnt lgkmcnt(0)
	v_mov_b64_e32 v[30:31], s[6:7]
	s_barrier
	s_and_saveexec_b64 s[6:7], vcc
	s_cbranch_execz .LBB723_175
; %bb.174:
	v_add_u32_e32 v30, -8, v45
	ds_read_b64 v[30:31], v30
.LBB723_175:
	s_or_b64 exec, exec, s[6:7]
	v_cndmask_b32_e64 v33, 0, 1, s[18:19]
	v_cndmask_b32_e64 v32, 0, 1, s[38:39]
	v_cndmask_b32_e64 v34, 0, 1, s[36:37]
	v_lshlrev_b16_e32 v33, 8, v33
	v_cmp_gt_u32_e32 vcc, s3, v1
	v_lshlrev_b16_e32 v36, 8, v34
	v_or_b32_sdwa v37, v32, v33 dst_sel:WORD_1 dst_unused:UNUSED_PAD src0_sel:DWORD src1_sel:DWORD
	s_mov_b64 s[18:19], 0
	s_and_saveexec_b64 s[6:7], vcc
	s_cbranch_execz .LBB723_186
; %bb.176:
	s_and_b64 vcc, exec, s[4:5]
	s_cbranch_vccnz .LBB723_185
; %bb.177:
	s_waitcnt lgkmcnt(0)
	v_mul_lo_u32 v32, v31, s26
	v_mul_lo_u32 v33, v30, s27
	v_mad_u64_u32 v[30:31], s[4:5], v30, s26, 0
	v_add3_u32 v31, v31, v33, v32
	v_mul_lo_u32 v32, v23, s26
	v_mul_lo_u32 v33, v22, s27
	v_mad_u64_u32 v[34:35], s[4:5], v22, s26, 0
	v_add3_u32 v35, v35, v33, v32
	v_lshl_add_u64 v[32:33], v[30:31], 1, s[28:29]
	v_lshl_add_u64 v[30:31], v[34:35], 1, s[28:29]
	global_load_ushort v34, v[32:33], off
	global_load_ushort v35, v[30:31], off
	s_mov_b64 s[18:19], -1
	s_waitcnt vmcnt(0)
	v_cmp_eq_u16_e32 vcc, v34, v35
	s_and_saveexec_b64 s[4:5], vcc
	s_cbranch_execz .LBB723_184
; %bb.178:
	s_add_u32 s18, s26, -1
	v_lshl_add_u64 v[30:31], v[30:31], 0, 2
	v_lshl_add_u64 v[32:33], v[32:33], 0, 2
	s_addc_u32 s19, s27, -1
	s_mov_b64 s[36:37], 0
	s_mov_b64 s[40:41], 0
                                        ; implicit-def: $sgpr38_sgpr39
	s_branch .LBB723_181
.LBB723_179:                            ;   in Loop: Header=BB723_181 Depth=1
	global_load_ushort v34, v[32:33], off
	global_load_ushort v35, v[30:31], off
	s_add_u32 s40, s40, 1
	s_addc_u32 s41, s41, 0
	s_andn2_b64 s[38:39], s[38:39], exec
	v_lshl_add_u64 v[30:31], v[30:31], 0, 2
	v_lshl_add_u64 v[32:33], v[32:33], 0, 2
	s_waitcnt vmcnt(0)
	v_cmp_ne_u16_e32 vcc, v34, v35
	s_and_b64 s[42:43], vcc, exec
	s_or_b64 s[38:39], s[38:39], s[42:43]
.LBB723_180:                            ;   in Loop: Header=BB723_181 Depth=1
	s_and_b64 s[42:43], exec, s[38:39]
	s_or_b64 s[36:37], s[42:43], s[36:37]
	v_mov_b64_e32 v[34:35], s[40:41]
	s_andn2_b64 exec, exec, s[36:37]
	s_cbranch_execz .LBB723_183
.LBB723_181:                            ; =>This Inner Loop Header: Depth=1
	s_or_b64 s[38:39], s[38:39], exec
	s_cmp_eq_u64 s[18:19], s[40:41]
	s_cbranch_scc0 .LBB723_179
; %bb.182:                              ;   in Loop: Header=BB723_181 Depth=1
                                        ; implicit-def: $vgpr30_vgpr31
                                        ; implicit-def: $vgpr32_vgpr33
	s_mov_b64 s[40:41], s[26:27]
	s_branch .LBB723_180
.LBB723_183:
	s_or_b64 exec, exec, s[36:37]
	v_cmp_gt_i64_e32 vcc, s[26:27], v[34:35]
	s_orn2_b64 s[18:19], vcc, exec
.LBB723_184:
	s_or_b64 exec, exec, s[4:5]
.LBB723_185:
	s_and_b64 s[18:19], s[18:19], exec
.LBB723_186:
	s_or_b64 exec, exec, s[6:7]
	v_cndmask_b32_e64 v46, 0, 1, s[14:15]
	v_cndmask_b32_e64 v47, 0, 1, s[12:13]
	;; [unrolled: 1-line block ×3, first 2 shown]
	v_or_b32_e32 v34, v36, v37
.LBB723_187:
	s_mov_b64 s[10:11], -1
	s_cbranch_execnz .LBB723_46
.LBB723_188:
	s_movk_i32 s4, 0xffd0
	v_mad_i32_i24 v44, v0, s4, v44
	s_mov_b64 s[12:13], 0
	s_waitcnt lgkmcnt(0)
	v_cmp_gt_i64_e64 s[6:7], s[26:27], 0
	s_and_b64 vcc, exec, s[34:35]
	ds_write_b64 v44, v[28:29]
	s_cbranch_vccz .LBB723_196
; %bb.189:
	v_mul_lo_u32 v32, v17, s26
	v_mul_lo_u32 v33, v16, s27
	v_mad_u64_u32 v[30:31], s[4:5], v16, s26, 0
	v_add3_u32 v31, v31, v33, v32
	v_cndmask_b32_e64 v32, 0, 1, s[6:7]
	v_cmp_ne_u32_e64 s[4:5], 1, v32
	s_andn2_b64 vcc, exec, s[6:7]
	v_lshl_add_u64 v[30:31], v[30:31], 1, s[28:29]
	s_cbranch_vccnz .LBB723_199
; %bb.190:
	v_mul_lo_u32 v34, v29, s26
	v_mul_lo_u32 v35, v28, s27
	v_mad_u64_u32 v[32:33], s[12:13], v28, s26, 0
	v_add3_u32 v33, v33, v35, v34
	v_lshl_add_u64 v[32:33], v[32:33], 1, s[28:29]
	global_load_ushort v34, v[30:31], off
	global_load_ushort v35, v[32:33], off
	s_mov_b64 s[12:13], -1
	s_waitcnt vmcnt(0)
	v_cmp_eq_u16_e32 vcc, v34, v35
	s_and_saveexec_b64 s[14:15], vcc
	s_cbranch_execz .LBB723_198
; %bb.191:
	s_add_u32 s12, s26, -1
	v_lshl_add_u64 v[32:33], v[32:33], 0, 2
	v_lshl_add_u64 v[34:35], v[30:31], 0, 2
	s_addc_u32 s13, s27, -1
	s_mov_b64 s[18:19], 0
	s_mov_b64 s[38:39], 0
                                        ; implicit-def: $sgpr36_sgpr37
	s_branch .LBB723_194
.LBB723_192:                            ;   in Loop: Header=BB723_194 Depth=1
	global_load_ushort v36, v[34:35], off
	global_load_ushort v37, v[32:33], off
	s_add_u32 s38, s38, 1
	s_addc_u32 s39, s39, 0
	s_andn2_b64 s[36:37], s[36:37], exec
	v_lshl_add_u64 v[32:33], v[32:33], 0, 2
	v_lshl_add_u64 v[34:35], v[34:35], 0, 2
	s_waitcnt vmcnt(0)
	v_cmp_ne_u16_e32 vcc, v36, v37
	s_and_b64 s[40:41], vcc, exec
	s_or_b64 s[36:37], s[36:37], s[40:41]
.LBB723_193:                            ;   in Loop: Header=BB723_194 Depth=1
	s_and_b64 s[40:41], exec, s[36:37]
	s_or_b64 s[18:19], s[40:41], s[18:19]
	v_mov_b64_e32 v[36:37], s[38:39]
	s_andn2_b64 exec, exec, s[18:19]
	s_cbranch_execz .LBB723_197
.LBB723_194:                            ; =>This Inner Loop Header: Depth=1
	s_or_b64 s[36:37], s[36:37], exec
	s_cmp_eq_u64 s[12:13], s[38:39]
	s_cbranch_scc0 .LBB723_192
; %bb.195:                              ;   in Loop: Header=BB723_194 Depth=1
                                        ; implicit-def: $vgpr32_vgpr33
                                        ; implicit-def: $vgpr34_vgpr35
	s_mov_b64 s[38:39], s[26:27]
	s_branch .LBB723_193
.LBB723_196:
                                        ; implicit-def: $sgpr18_sgpr19
                                        ; implicit-def: $vgpr48
                                        ; implicit-def: $vgpr47
                                        ; implicit-def: $vgpr46
                                        ; implicit-def: $vgpr34
                                        ; implicit-def: $vgpr30_vgpr31
	s_cbranch_execnz .LBB723_256
	s_branch .LBB723_336
.LBB723_197:
	s_or_b64 exec, exec, s[18:19]
	v_cmp_gt_i64_e32 vcc, s[26:27], v[36:37]
	s_orn2_b64 s[12:13], vcc, exec
.LBB723_198:
	s_or_b64 exec, exec, s[14:15]
.LBB723_199:
	v_mul_lo_u32 v34, v15, s26
	v_mul_lo_u32 v35, v14, s27
	v_mad_u64_u32 v[32:33], s[14:15], v14, s26, 0
	v_add3_u32 v33, v33, v35, v34
	s_mov_b64 s[14:15], 0
	s_and_b64 vcc, exec, s[4:5]
	v_lshl_add_u64 v[32:33], v[32:33], 1, s[28:29]
	s_mov_b64 s[18:19], 0
	s_cbranch_vccnz .LBB723_208
; %bb.200:
	global_load_ushort v34, v[32:33], off
	global_load_ushort v35, v[30:31], off
	s_mov_b64 s[18:19], -1
	s_waitcnt vmcnt(0)
	v_cmp_eq_u16_e32 vcc, v34, v35
	s_and_saveexec_b64 s[36:37], vcc
	s_cbranch_execz .LBB723_207
; %bb.201:
	s_add_u32 s18, s26, -1
	v_lshl_add_u64 v[30:31], v[30:31], 0, 2
	v_lshl_add_u64 v[34:35], v[32:33], 0, 2
	s_addc_u32 s19, s27, -1
	s_mov_b64 s[38:39], 0
	s_mov_b64 s[42:43], 0
                                        ; implicit-def: $sgpr40_sgpr41
	s_branch .LBB723_204
.LBB723_202:                            ;   in Loop: Header=BB723_204 Depth=1
	global_load_ushort v36, v[34:35], off
	global_load_ushort v37, v[30:31], off
	s_add_u32 s42, s42, 1
	s_addc_u32 s43, s43, 0
	s_andn2_b64 s[40:41], s[40:41], exec
	v_lshl_add_u64 v[30:31], v[30:31], 0, 2
	v_lshl_add_u64 v[34:35], v[34:35], 0, 2
	s_waitcnt vmcnt(0)
	v_cmp_ne_u16_e32 vcc, v36, v37
	s_and_b64 s[44:45], vcc, exec
	s_or_b64 s[40:41], s[40:41], s[44:45]
.LBB723_203:                            ;   in Loop: Header=BB723_204 Depth=1
	s_and_b64 s[44:45], exec, s[40:41]
	s_or_b64 s[38:39], s[44:45], s[38:39]
	v_mov_b64_e32 v[36:37], s[42:43]
	s_andn2_b64 exec, exec, s[38:39]
	s_cbranch_execz .LBB723_206
.LBB723_204:                            ; =>This Inner Loop Header: Depth=1
	s_or_b64 s[40:41], s[40:41], exec
	s_cmp_eq_u64 s[18:19], s[42:43]
	s_cbranch_scc0 .LBB723_202
; %bb.205:                              ;   in Loop: Header=BB723_204 Depth=1
                                        ; implicit-def: $vgpr30_vgpr31
                                        ; implicit-def: $vgpr34_vgpr35
	s_mov_b64 s[42:43], s[26:27]
	s_branch .LBB723_203
.LBB723_206:
	s_or_b64 exec, exec, s[38:39]
	v_cmp_gt_i64_e32 vcc, s[26:27], v[36:37]
	s_orn2_b64 s[18:19], vcc, exec
.LBB723_207:
	s_or_b64 exec, exec, s[36:37]
.LBB723_208:
	v_mul_lo_u32 v34, v21, s26
	v_mul_lo_u32 v35, v20, s27
	v_mad_u64_u32 v[30:31], s[36:37], v20, s26, 0
	v_add3_u32 v31, v31, v35, v34
	s_and_b64 vcc, exec, s[4:5]
	v_lshl_add_u64 v[30:31], v[30:31], 1, s[28:29]
	s_cbranch_vccnz .LBB723_217
; %bb.209:
	global_load_ushort v34, v[30:31], off
	global_load_ushort v35, v[32:33], off
	s_mov_b64 s[14:15], -1
	s_waitcnt vmcnt(0)
	v_cmp_eq_u16_e32 vcc, v34, v35
	s_and_saveexec_b64 s[36:37], vcc
	s_cbranch_execz .LBB723_216
; %bb.210:
	s_add_u32 s14, s26, -1
	v_lshl_add_u64 v[32:33], v[32:33], 0, 2
	v_lshl_add_u64 v[34:35], v[30:31], 0, 2
	s_addc_u32 s15, s27, -1
	s_mov_b64 s[38:39], 0
	s_mov_b64 s[42:43], 0
                                        ; implicit-def: $sgpr40_sgpr41
	s_branch .LBB723_213
.LBB723_211:                            ;   in Loop: Header=BB723_213 Depth=1
	global_load_ushort v36, v[34:35], off
	global_load_ushort v37, v[32:33], off
	s_add_u32 s42, s42, 1
	s_addc_u32 s43, s43, 0
	s_andn2_b64 s[40:41], s[40:41], exec
	v_lshl_add_u64 v[32:33], v[32:33], 0, 2
	v_lshl_add_u64 v[34:35], v[34:35], 0, 2
	s_waitcnt vmcnt(0)
	v_cmp_ne_u16_e32 vcc, v36, v37
	s_and_b64 s[44:45], vcc, exec
	s_or_b64 s[40:41], s[40:41], s[44:45]
.LBB723_212:                            ;   in Loop: Header=BB723_213 Depth=1
	s_and_b64 s[44:45], exec, s[40:41]
	s_or_b64 s[38:39], s[44:45], s[38:39]
	v_mov_b64_e32 v[36:37], s[42:43]
	s_andn2_b64 exec, exec, s[38:39]
	s_cbranch_execz .LBB723_215
.LBB723_213:                            ; =>This Inner Loop Header: Depth=1
	s_or_b64 s[40:41], s[40:41], exec
	s_cmp_eq_u64 s[14:15], s[42:43]
	s_cbranch_scc0 .LBB723_211
; %bb.214:                              ;   in Loop: Header=BB723_213 Depth=1
                                        ; implicit-def: $vgpr32_vgpr33
                                        ; implicit-def: $vgpr34_vgpr35
	s_mov_b64 s[42:43], s[26:27]
	s_branch .LBB723_212
.LBB723_215:
	s_or_b64 exec, exec, s[38:39]
	v_cmp_gt_i64_e32 vcc, s[26:27], v[36:37]
	s_orn2_b64 s[14:15], vcc, exec
.LBB723_216:
	s_or_b64 exec, exec, s[36:37]
.LBB723_217:
	v_mul_lo_u32 v34, v19, s26
	v_mul_lo_u32 v35, v18, s27
	v_mad_u64_u32 v[32:33], s[36:37], v18, s26, 0
	v_add3_u32 v33, v33, v35, v34
	s_mov_b64 s[36:37], 0
	s_and_b64 vcc, exec, s[4:5]
	v_lshl_add_u64 v[32:33], v[32:33], 1, s[28:29]
	s_mov_b64 s[38:39], 0
	s_cbranch_vccnz .LBB723_226
; %bb.218:
	global_load_ushort v34, v[32:33], off
	global_load_ushort v35, v[30:31], off
	s_mov_b64 s[38:39], -1
	s_waitcnt vmcnt(0)
	v_cmp_eq_u16_e32 vcc, v34, v35
	s_and_saveexec_b64 s[40:41], vcc
	s_cbranch_execz .LBB723_225
; %bb.219:
	s_add_u32 s38, s26, -1
	v_lshl_add_u64 v[30:31], v[30:31], 0, 2
	v_lshl_add_u64 v[34:35], v[32:33], 0, 2
	s_addc_u32 s39, s27, -1
	s_mov_b64 s[42:43], 0
	s_mov_b64 s[46:47], 0
                                        ; implicit-def: $sgpr44_sgpr45
	s_branch .LBB723_222
.LBB723_220:                            ;   in Loop: Header=BB723_222 Depth=1
	global_load_ushort v36, v[34:35], off
	global_load_ushort v37, v[30:31], off
	s_add_u32 s46, s46, 1
	s_addc_u32 s47, s47, 0
	s_andn2_b64 s[44:45], s[44:45], exec
	v_lshl_add_u64 v[30:31], v[30:31], 0, 2
	v_lshl_add_u64 v[34:35], v[34:35], 0, 2
	s_waitcnt vmcnt(0)
	v_cmp_ne_u16_e32 vcc, v36, v37
	s_and_b64 s[48:49], vcc, exec
	s_or_b64 s[44:45], s[44:45], s[48:49]
.LBB723_221:                            ;   in Loop: Header=BB723_222 Depth=1
	s_and_b64 s[48:49], exec, s[44:45]
	s_or_b64 s[42:43], s[48:49], s[42:43]
	v_mov_b64_e32 v[36:37], s[46:47]
	s_andn2_b64 exec, exec, s[42:43]
	s_cbranch_execz .LBB723_224
.LBB723_222:                            ; =>This Inner Loop Header: Depth=1
	s_or_b64 s[44:45], s[44:45], exec
	s_cmp_eq_u64 s[38:39], s[46:47]
	s_cbranch_scc0 .LBB723_220
; %bb.223:                              ;   in Loop: Header=BB723_222 Depth=1
                                        ; implicit-def: $vgpr30_vgpr31
                                        ; implicit-def: $vgpr34_vgpr35
	s_mov_b64 s[46:47], s[26:27]
	s_branch .LBB723_221
.LBB723_224:
	s_or_b64 exec, exec, s[42:43]
	v_cmp_gt_i64_e32 vcc, s[26:27], v[36:37]
	s_orn2_b64 s[38:39], vcc, exec
.LBB723_225:
	s_or_b64 exec, exec, s[40:41]
.LBB723_226:
	v_mul_lo_u32 v34, v25, s26
	v_mul_lo_u32 v35, v24, s27
	v_mad_u64_u32 v[30:31], s[40:41], v24, s26, 0
	v_add3_u32 v31, v31, v35, v34
	s_and_b64 vcc, exec, s[4:5]
	v_lshl_add_u64 v[30:31], v[30:31], 1, s[28:29]
	s_cbranch_vccnz .LBB723_235
; %bb.227:
	global_load_ushort v34, v[30:31], off
	global_load_ushort v35, v[32:33], off
	s_mov_b64 s[36:37], -1
	s_waitcnt vmcnt(0)
	v_cmp_eq_u16_e32 vcc, v34, v35
	s_and_saveexec_b64 s[40:41], vcc
	s_cbranch_execz .LBB723_234
; %bb.228:
	s_add_u32 s36, s26, -1
	v_lshl_add_u64 v[32:33], v[32:33], 0, 2
	v_lshl_add_u64 v[34:35], v[30:31], 0, 2
	s_addc_u32 s37, s27, -1
	s_mov_b64 s[42:43], 0
	s_mov_b64 s[46:47], 0
                                        ; implicit-def: $sgpr44_sgpr45
	s_branch .LBB723_231
.LBB723_229:                            ;   in Loop: Header=BB723_231 Depth=1
	global_load_ushort v36, v[34:35], off
	global_load_ushort v37, v[32:33], off
	s_add_u32 s46, s46, 1
	s_addc_u32 s47, s47, 0
	s_andn2_b64 s[44:45], s[44:45], exec
	v_lshl_add_u64 v[32:33], v[32:33], 0, 2
	v_lshl_add_u64 v[34:35], v[34:35], 0, 2
	s_waitcnt vmcnt(0)
	v_cmp_ne_u16_e32 vcc, v36, v37
	s_and_b64 s[48:49], vcc, exec
	s_or_b64 s[44:45], s[44:45], s[48:49]
.LBB723_230:                            ;   in Loop: Header=BB723_231 Depth=1
	s_and_b64 s[48:49], exec, s[44:45]
	s_or_b64 s[42:43], s[48:49], s[42:43]
	v_mov_b64_e32 v[36:37], s[46:47]
	s_andn2_b64 exec, exec, s[42:43]
	s_cbranch_execz .LBB723_233
.LBB723_231:                            ; =>This Inner Loop Header: Depth=1
	s_or_b64 s[44:45], s[44:45], exec
	s_cmp_eq_u64 s[36:37], s[46:47]
	s_cbranch_scc0 .LBB723_229
; %bb.232:                              ;   in Loop: Header=BB723_231 Depth=1
                                        ; implicit-def: $vgpr32_vgpr33
                                        ; implicit-def: $vgpr34_vgpr35
	s_mov_b64 s[46:47], s[26:27]
	s_branch .LBB723_230
.LBB723_233:
	s_or_b64 exec, exec, s[42:43]
	v_cmp_gt_i64_e32 vcc, s[26:27], v[36:37]
	s_orn2_b64 s[36:37], vcc, exec
.LBB723_234:
	s_or_b64 exec, exec, s[40:41]
.LBB723_235:
	v_mul_lo_u32 v34, v23, s26
	v_mul_lo_u32 v35, v22, s27
	v_mad_u64_u32 v[32:33], s[40:41], v22, s26, 0
	v_add3_u32 v33, v33, v35, v34
	s_and_b64 vcc, exec, s[4:5]
	s_mov_b64 s[42:43], 0
	s_cbranch_vccnz .LBB723_244
; %bb.236:
	v_lshl_add_u64 v[34:35], v[32:33], 1, s[28:29]
	global_load_ushort v36, v[34:35], off
	global_load_ushort v37, v[30:31], off
	s_mov_b64 s[42:43], -1
	s_waitcnt vmcnt(0)
	v_cmp_eq_u16_e32 vcc, v36, v37
	s_and_saveexec_b64 s[40:41], vcc
	s_cbranch_execz .LBB723_243
; %bb.237:
	s_add_u32 s42, s26, -1
	v_lshl_add_u64 v[30:31], v[30:31], 0, 2
	v_lshl_add_u64 v[34:35], v[34:35], 0, 2
	s_addc_u32 s43, s27, -1
	s_mov_b64 s[44:45], 0
	s_mov_b64 s[48:49], 0
                                        ; implicit-def: $sgpr46_sgpr47
	s_branch .LBB723_240
.LBB723_238:                            ;   in Loop: Header=BB723_240 Depth=1
	global_load_ushort v36, v[34:35], off
	global_load_ushort v37, v[30:31], off
	s_add_u32 s48, s48, 1
	s_addc_u32 s49, s49, 0
	s_andn2_b64 s[46:47], s[46:47], exec
	v_lshl_add_u64 v[30:31], v[30:31], 0, 2
	v_lshl_add_u64 v[34:35], v[34:35], 0, 2
	s_waitcnt vmcnt(0)
	v_cmp_ne_u16_e32 vcc, v36, v37
	s_and_b64 s[50:51], vcc, exec
	s_or_b64 s[46:47], s[46:47], s[50:51]
.LBB723_239:                            ;   in Loop: Header=BB723_240 Depth=1
	s_and_b64 s[50:51], exec, s[46:47]
	s_or_b64 s[44:45], s[50:51], s[44:45]
	v_mov_b64_e32 v[36:37], s[48:49]
	s_andn2_b64 exec, exec, s[44:45]
	s_cbranch_execz .LBB723_242
.LBB723_240:                            ; =>This Inner Loop Header: Depth=1
	s_or_b64 s[46:47], s[46:47], exec
	s_cmp_eq_u64 s[42:43], s[48:49]
	s_cbranch_scc0 .LBB723_238
; %bb.241:                              ;   in Loop: Header=BB723_240 Depth=1
                                        ; implicit-def: $vgpr30_vgpr31
                                        ; implicit-def: $vgpr34_vgpr35
	s_mov_b64 s[48:49], s[26:27]
	s_branch .LBB723_239
.LBB723_242:
	s_or_b64 exec, exec, s[44:45]
	v_cmp_gt_i64_e32 vcc, s[26:27], v[36:37]
	s_orn2_b64 s[42:43], vcc, exec
.LBB723_243:
	s_or_b64 exec, exec, s[40:41]
.LBB723_244:
	v_cndmask_b32_e64 v31, 0, 1, s[38:39]
	v_cndmask_b32_e64 v30, 0, 1, s[36:37]
	;; [unrolled: 1-line block ×3, first 2 shown]
	v_lshlrev_b16_e32 v31, 8, v31
	v_cndmask_b32_e64 v46, 0, 1, s[14:15]
	v_cndmask_b32_e64 v34, 0, 1, s[42:43]
	v_or_b32_sdwa v30, v30, v31 dst_sel:WORD_1 dst_unused:UNUSED_PAD src0_sel:DWORD src1_sel:DWORD
	v_lshlrev_b16_e32 v31, 8, v47
	v_lshlrev_b16_e32 v34, 8, v34
	v_or_b32_e32 v31, v46, v31
	v_or_b32_e32 v34, 1, v34
	v_and_b32_e32 v31, 0xffff, v31
	v_cndmask_b32_e64 v48, 0, 1, s[12:13]
	v_or_b32_sdwa v30, v34, v30 dst_sel:DWORD dst_unused:UNUSED_PAD src0_sel:WORD_0 src1_sel:DWORD
	v_lshl_or_b32 v31, v48, 16, v31
	v_cmp_ne_u32_e32 vcc, 0, v0
	s_waitcnt lgkmcnt(0)
	s_barrier
	s_waitcnt lgkmcnt(0)
                                        ; implicit-def: $sgpr18_sgpr19
                                        ; implicit-def: $vgpr34
	s_and_saveexec_b64 s[12:13], vcc
	s_xor_b64 s[12:13], exec, s[12:13]
	s_cbranch_execz .LBB723_255
; %bb.245:
	s_mov_b32 s33, 0x3020104
	s_and_b64 vcc, exec, s[4:5]
	s_mov_b64 s[14:15], 0
	s_cbranch_vccnz .LBB723_254
; %bb.246:
	v_add_u32_e32 v31, -8, v44
	ds_read_b64 v[34:35], v31
	v_lshl_add_u64 v[32:33], v[32:33], 1, s[28:29]
	s_mov_b64 s[14:15], -1
	s_waitcnt lgkmcnt(0)
	v_mul_lo_u32 v31, v35, s26
	v_mul_lo_u32 v36, v34, s27
	v_mad_u64_u32 v[34:35], s[4:5], v34, s26, 0
	v_add3_u32 v35, v35, v36, v31
	v_lshl_add_u64 v[34:35], v[34:35], 1, s[28:29]
	global_load_ushort v31, v[34:35], off
	global_load_ushort v36, v[32:33], off
	s_waitcnt vmcnt(0)
	v_cmp_eq_u16_e32 vcc, v31, v36
	s_and_saveexec_b64 s[4:5], vcc
	s_cbranch_execz .LBB723_253
; %bb.247:
	s_add_u32 s14, s26, -1
	v_lshl_add_u64 v[32:33], v[32:33], 0, 2
	v_lshl_add_u64 v[34:35], v[34:35], 0, 2
	s_addc_u32 s15, s27, -1
	s_mov_b64 s[18:19], 0
	s_mov_b64 s[38:39], 0
                                        ; implicit-def: $sgpr36_sgpr37
	s_branch .LBB723_250
.LBB723_248:                            ;   in Loop: Header=BB723_250 Depth=1
	global_load_ushort v31, v[34:35], off
	global_load_ushort v36, v[32:33], off
	s_add_u32 s38, s38, 1
	s_addc_u32 s39, s39, 0
	s_andn2_b64 s[36:37], s[36:37], exec
	v_lshl_add_u64 v[32:33], v[32:33], 0, 2
	v_lshl_add_u64 v[34:35], v[34:35], 0, 2
	s_waitcnt vmcnt(0)
	v_cmp_ne_u16_e32 vcc, v31, v36
	s_and_b64 s[40:41], vcc, exec
	s_or_b64 s[36:37], s[36:37], s[40:41]
.LBB723_249:                            ;   in Loop: Header=BB723_250 Depth=1
	s_and_b64 s[40:41], exec, s[36:37]
	s_or_b64 s[18:19], s[40:41], s[18:19]
	v_mov_b64_e32 v[36:37], s[38:39]
	s_andn2_b64 exec, exec, s[18:19]
	s_cbranch_execz .LBB723_252
.LBB723_250:                            ; =>This Inner Loop Header: Depth=1
	s_or_b64 s[36:37], s[36:37], exec
	s_cmp_eq_u64 s[14:15], s[38:39]
	s_cbranch_scc0 .LBB723_248
; %bb.251:                              ;   in Loop: Header=BB723_250 Depth=1
                                        ; implicit-def: $vgpr32_vgpr33
                                        ; implicit-def: $vgpr34_vgpr35
	s_mov_b64 s[38:39], s[26:27]
	s_branch .LBB723_249
.LBB723_252:
	s_or_b64 exec, exec, s[18:19]
	v_cmp_gt_i64_e32 vcc, s[26:27], v[36:37]
	s_orn2_b64 s[14:15], vcc, exec
.LBB723_253:
	s_or_b64 exec, exec, s[4:5]
.LBB723_254:
	v_perm_b32 v34, v30, v30, s33
	s_and_b64 s[18:19], s[14:15], exec
	s_or_b64 s[10:11], s[10:11], exec
                                        ; implicit-def: $vgpr30_vgpr31
.LBB723_255:
	s_or_b64 exec, exec, s[12:13]
	s_branch .LBB723_336
.LBB723_256:
	v_cmp_gt_u32_e32 vcc, s3, v40
	s_mov_b64 s[12:13], 0
	s_mov_b64 s[4:5], 0
	s_and_saveexec_b64 s[14:15], vcc
	s_cbranch_execz .LBB723_267
; %bb.257:
	s_andn2_b64 vcc, exec, s[6:7]
	s_mov_b64 s[18:19], 0
	s_cbranch_vccnz .LBB723_266
; %bb.258:
	v_mul_lo_u32 v32, v17, s26
	v_mul_lo_u32 v33, v16, s27
	v_mad_u64_u32 v[30:31], s[4:5], v16, s26, 0
	v_add3_u32 v31, v31, v33, v32
	v_mul_lo_u32 v32, v29, s26
	v_mul_lo_u32 v33, v28, s27
	v_mad_u64_u32 v[34:35], s[4:5], v28, s26, 0
	v_add3_u32 v35, v35, v33, v32
	v_lshl_add_u64 v[32:33], v[30:31], 1, s[28:29]
	v_lshl_add_u64 v[30:31], v[34:35], 1, s[28:29]
	global_load_ushort v34, v[32:33], off
	global_load_ushort v35, v[30:31], off
	s_mov_b64 s[18:19], -1
	s_waitcnt vmcnt(0)
	v_cmp_eq_u16_e32 vcc, v34, v35
	s_and_saveexec_b64 s[4:5], vcc
	s_cbranch_execz .LBB723_265
; %bb.259:
	s_add_u32 s18, s26, -1
	v_lshl_add_u64 v[30:31], v[30:31], 0, 2
	v_lshl_add_u64 v[32:33], v[32:33], 0, 2
	s_addc_u32 s19, s27, -1
	s_mov_b64 s[36:37], 0
	s_mov_b64 s[40:41], 0
                                        ; implicit-def: $sgpr38_sgpr39
	s_branch .LBB723_262
.LBB723_260:                            ;   in Loop: Header=BB723_262 Depth=1
	global_load_ushort v34, v[32:33], off
	global_load_ushort v35, v[30:31], off
	s_add_u32 s40, s40, 1
	s_addc_u32 s41, s41, 0
	s_andn2_b64 s[38:39], s[38:39], exec
	v_lshl_add_u64 v[30:31], v[30:31], 0, 2
	v_lshl_add_u64 v[32:33], v[32:33], 0, 2
	s_waitcnt vmcnt(0)
	v_cmp_ne_u16_e32 vcc, v34, v35
	s_and_b64 s[42:43], vcc, exec
	s_or_b64 s[38:39], s[38:39], s[42:43]
.LBB723_261:                            ;   in Loop: Header=BB723_262 Depth=1
	s_and_b64 s[42:43], exec, s[38:39]
	s_or_b64 s[36:37], s[42:43], s[36:37]
	v_mov_b64_e32 v[34:35], s[40:41]
	s_andn2_b64 exec, exec, s[36:37]
	s_cbranch_execz .LBB723_264
.LBB723_262:                            ; =>This Inner Loop Header: Depth=1
	s_or_b64 s[38:39], s[38:39], exec
	s_cmp_eq_u64 s[18:19], s[40:41]
	s_cbranch_scc0 .LBB723_260
; %bb.263:                              ;   in Loop: Header=BB723_262 Depth=1
                                        ; implicit-def: $vgpr30_vgpr31
                                        ; implicit-def: $vgpr32_vgpr33
	s_mov_b64 s[40:41], s[26:27]
	s_branch .LBB723_261
.LBB723_264:
	s_or_b64 exec, exec, s[36:37]
	v_cmp_gt_i64_e32 vcc, s[26:27], v[34:35]
	s_orn2_b64 s[18:19], vcc, exec
.LBB723_265:
	s_or_b64 exec, exec, s[4:5]
.LBB723_266:
	s_and_b64 s[4:5], s[18:19], exec
.LBB723_267:
	s_or_b64 exec, exec, s[14:15]
	v_cmp_gt_u32_e32 vcc, s3, v43
	s_and_saveexec_b64 s[14:15], vcc
	s_cbranch_execz .LBB723_278
; %bb.268:
	s_andn2_b64 vcc, exec, s[6:7]
	s_mov_b64 s[18:19], 0
	s_cbranch_vccnz .LBB723_277
; %bb.269:
	v_mul_lo_u32 v32, v15, s26
	v_mul_lo_u32 v33, v14, s27
	v_mad_u64_u32 v[30:31], s[12:13], v14, s26, 0
	v_add3_u32 v31, v31, v33, v32
	v_mul_lo_u32 v32, v17, s26
	v_mul_lo_u32 v33, v16, s27
	v_mad_u64_u32 v[34:35], s[12:13], v16, s26, 0
	v_add3_u32 v35, v35, v33, v32
	v_lshl_add_u64 v[32:33], v[30:31], 1, s[28:29]
	v_lshl_add_u64 v[30:31], v[34:35], 1, s[28:29]
	global_load_ushort v34, v[32:33], off
	global_load_ushort v35, v[30:31], off
	s_mov_b64 s[18:19], -1
	s_waitcnt vmcnt(0)
	v_cmp_eq_u16_e32 vcc, v34, v35
	s_and_saveexec_b64 s[12:13], vcc
	s_cbranch_execz .LBB723_276
; %bb.270:
	s_add_u32 s18, s26, -1
	v_lshl_add_u64 v[30:31], v[30:31], 0, 2
	v_lshl_add_u64 v[32:33], v[32:33], 0, 2
	s_addc_u32 s19, s27, -1
	s_mov_b64 s[36:37], 0
	s_mov_b64 s[40:41], 0
                                        ; implicit-def: $sgpr38_sgpr39
	s_branch .LBB723_273
.LBB723_271:                            ;   in Loop: Header=BB723_273 Depth=1
	global_load_ushort v34, v[32:33], off
	global_load_ushort v35, v[30:31], off
	s_add_u32 s40, s40, 1
	s_addc_u32 s41, s41, 0
	s_andn2_b64 s[38:39], s[38:39], exec
	v_lshl_add_u64 v[30:31], v[30:31], 0, 2
	v_lshl_add_u64 v[32:33], v[32:33], 0, 2
	s_waitcnt vmcnt(0)
	v_cmp_ne_u16_e32 vcc, v34, v35
	s_and_b64 s[42:43], vcc, exec
	s_or_b64 s[38:39], s[38:39], s[42:43]
.LBB723_272:                            ;   in Loop: Header=BB723_273 Depth=1
	s_and_b64 s[42:43], exec, s[38:39]
	s_or_b64 s[36:37], s[42:43], s[36:37]
	v_mov_b64_e32 v[34:35], s[40:41]
	s_andn2_b64 exec, exec, s[36:37]
	s_cbranch_execz .LBB723_275
.LBB723_273:                            ; =>This Inner Loop Header: Depth=1
	s_or_b64 s[38:39], s[38:39], exec
	s_cmp_eq_u64 s[18:19], s[40:41]
	s_cbranch_scc0 .LBB723_271
; %bb.274:                              ;   in Loop: Header=BB723_273 Depth=1
                                        ; implicit-def: $vgpr30_vgpr31
                                        ; implicit-def: $vgpr32_vgpr33
	s_mov_b64 s[40:41], s[26:27]
	s_branch .LBB723_272
.LBB723_275:
	s_or_b64 exec, exec, s[36:37]
	v_cmp_gt_i64_e32 vcc, s[26:27], v[34:35]
	s_orn2_b64 s[18:19], vcc, exec
.LBB723_276:
	s_or_b64 exec, exec, s[12:13]
.LBB723_277:
	s_and_b64 s[12:13], s[18:19], exec
.LBB723_278:
	s_or_b64 exec, exec, s[14:15]
	v_cmp_gt_u32_e32 vcc, s3, v39
	s_mov_b64 s[18:19], 0
	s_mov_b64 s[14:15], 0
	s_and_saveexec_b64 s[36:37], vcc
	s_cbranch_execz .LBB723_289
; %bb.279:
	s_andn2_b64 vcc, exec, s[6:7]
	s_mov_b64 s[38:39], 0
	s_cbranch_vccnz .LBB723_288
; %bb.280:
	v_mul_lo_u32 v32, v21, s26
	v_mul_lo_u32 v33, v20, s27
	v_mad_u64_u32 v[30:31], s[14:15], v20, s26, 0
	v_add3_u32 v31, v31, v33, v32
	v_mul_lo_u32 v32, v15, s26
	v_mul_lo_u32 v33, v14, s27
	v_mad_u64_u32 v[34:35], s[14:15], v14, s26, 0
	v_add3_u32 v35, v35, v33, v32
	v_lshl_add_u64 v[32:33], v[30:31], 1, s[28:29]
	v_lshl_add_u64 v[30:31], v[34:35], 1, s[28:29]
	global_load_ushort v34, v[32:33], off
	global_load_ushort v35, v[30:31], off
	s_mov_b64 s[38:39], -1
	s_waitcnt vmcnt(0)
	v_cmp_eq_u16_e32 vcc, v34, v35
	s_and_saveexec_b64 s[14:15], vcc
	s_cbranch_execz .LBB723_287
; %bb.281:
	s_add_u32 s38, s26, -1
	v_lshl_add_u64 v[30:31], v[30:31], 0, 2
	v_lshl_add_u64 v[32:33], v[32:33], 0, 2
	s_addc_u32 s39, s27, -1
	s_mov_b64 s[40:41], 0
	s_mov_b64 s[44:45], 0
                                        ; implicit-def: $sgpr42_sgpr43
	s_branch .LBB723_284
.LBB723_282:                            ;   in Loop: Header=BB723_284 Depth=1
	global_load_ushort v34, v[32:33], off
	global_load_ushort v35, v[30:31], off
	s_add_u32 s44, s44, 1
	s_addc_u32 s45, s45, 0
	s_andn2_b64 s[42:43], s[42:43], exec
	v_lshl_add_u64 v[30:31], v[30:31], 0, 2
	v_lshl_add_u64 v[32:33], v[32:33], 0, 2
	s_waitcnt vmcnt(0)
	v_cmp_ne_u16_e32 vcc, v34, v35
	s_and_b64 s[46:47], vcc, exec
	s_or_b64 s[42:43], s[42:43], s[46:47]
.LBB723_283:                            ;   in Loop: Header=BB723_284 Depth=1
	s_and_b64 s[46:47], exec, s[42:43]
	s_or_b64 s[40:41], s[46:47], s[40:41]
	v_mov_b64_e32 v[34:35], s[44:45]
	s_andn2_b64 exec, exec, s[40:41]
	s_cbranch_execz .LBB723_286
.LBB723_284:                            ; =>This Inner Loop Header: Depth=1
	s_or_b64 s[42:43], s[42:43], exec
	s_cmp_eq_u64 s[38:39], s[44:45]
	s_cbranch_scc0 .LBB723_282
; %bb.285:                              ;   in Loop: Header=BB723_284 Depth=1
                                        ; implicit-def: $vgpr30_vgpr31
                                        ; implicit-def: $vgpr32_vgpr33
	s_mov_b64 s[44:45], s[26:27]
	s_branch .LBB723_283
.LBB723_286:
	s_or_b64 exec, exec, s[40:41]
	v_cmp_gt_i64_e32 vcc, s[26:27], v[34:35]
	s_orn2_b64 s[38:39], vcc, exec
.LBB723_287:
	s_or_b64 exec, exec, s[14:15]
.LBB723_288:
	s_and_b64 s[14:15], s[38:39], exec
.LBB723_289:
	s_or_b64 exec, exec, s[36:37]
	v_cmp_gt_u32_e32 vcc, s3, v42
	s_and_saveexec_b64 s[36:37], vcc
	s_cbranch_execz .LBB723_300
; %bb.290:
	s_andn2_b64 vcc, exec, s[6:7]
	s_mov_b64 s[38:39], 0
	s_cbranch_vccnz .LBB723_299
; %bb.291:
	v_mul_lo_u32 v32, v19, s26
	v_mul_lo_u32 v33, v18, s27
	v_mad_u64_u32 v[30:31], s[18:19], v18, s26, 0
	v_add3_u32 v31, v31, v33, v32
	v_mul_lo_u32 v32, v21, s26
	v_mul_lo_u32 v33, v20, s27
	v_mad_u64_u32 v[34:35], s[18:19], v20, s26, 0
	v_add3_u32 v35, v35, v33, v32
	v_lshl_add_u64 v[32:33], v[30:31], 1, s[28:29]
	v_lshl_add_u64 v[30:31], v[34:35], 1, s[28:29]
	global_load_ushort v34, v[32:33], off
	global_load_ushort v35, v[30:31], off
	s_mov_b64 s[38:39], -1
	s_waitcnt vmcnt(0)
	v_cmp_eq_u16_e32 vcc, v34, v35
	s_and_saveexec_b64 s[18:19], vcc
	s_cbranch_execz .LBB723_298
; %bb.292:
	s_add_u32 s38, s26, -1
	v_lshl_add_u64 v[30:31], v[30:31], 0, 2
	v_lshl_add_u64 v[32:33], v[32:33], 0, 2
	s_addc_u32 s39, s27, -1
	s_mov_b64 s[40:41], 0
	s_mov_b64 s[44:45], 0
                                        ; implicit-def: $sgpr42_sgpr43
	s_branch .LBB723_295
.LBB723_293:                            ;   in Loop: Header=BB723_295 Depth=1
	global_load_ushort v34, v[32:33], off
	global_load_ushort v35, v[30:31], off
	s_add_u32 s44, s44, 1
	s_addc_u32 s45, s45, 0
	s_andn2_b64 s[42:43], s[42:43], exec
	v_lshl_add_u64 v[30:31], v[30:31], 0, 2
	v_lshl_add_u64 v[32:33], v[32:33], 0, 2
	s_waitcnt vmcnt(0)
	v_cmp_ne_u16_e32 vcc, v34, v35
	s_and_b64 s[46:47], vcc, exec
	s_or_b64 s[42:43], s[42:43], s[46:47]
.LBB723_294:                            ;   in Loop: Header=BB723_295 Depth=1
	s_and_b64 s[46:47], exec, s[42:43]
	s_or_b64 s[40:41], s[46:47], s[40:41]
	v_mov_b64_e32 v[34:35], s[44:45]
	s_andn2_b64 exec, exec, s[40:41]
	s_cbranch_execz .LBB723_297
.LBB723_295:                            ; =>This Inner Loop Header: Depth=1
	s_or_b64 s[42:43], s[42:43], exec
	s_cmp_eq_u64 s[38:39], s[44:45]
	s_cbranch_scc0 .LBB723_293
; %bb.296:                              ;   in Loop: Header=BB723_295 Depth=1
                                        ; implicit-def: $vgpr30_vgpr31
                                        ; implicit-def: $vgpr32_vgpr33
	s_mov_b64 s[44:45], s[26:27]
	s_branch .LBB723_294
.LBB723_297:
	s_or_b64 exec, exec, s[40:41]
	v_cmp_gt_i64_e32 vcc, s[26:27], v[34:35]
	s_orn2_b64 s[38:39], vcc, exec
.LBB723_298:
	s_or_b64 exec, exec, s[18:19]
.LBB723_299:
	s_and_b64 s[18:19], s[38:39], exec
.LBB723_300:
	s_or_b64 exec, exec, s[36:37]
	v_cmp_gt_u32_e32 vcc, s3, v38
	s_mov_b64 s[36:37], 0
	s_mov_b64 s[38:39], 0
	s_and_saveexec_b64 s[40:41], vcc
	s_cbranch_execz .LBB723_311
; %bb.301:
	s_andn2_b64 vcc, exec, s[6:7]
	s_mov_b64 s[42:43], 0
	s_cbranch_vccnz .LBB723_310
; %bb.302:
	v_mul_lo_u32 v32, v25, s26
	v_mul_lo_u32 v33, v24, s27
	v_mad_u64_u32 v[30:31], s[38:39], v24, s26, 0
	v_add3_u32 v31, v31, v33, v32
	v_mul_lo_u32 v32, v19, s26
	v_mul_lo_u32 v33, v18, s27
	v_mad_u64_u32 v[34:35], s[38:39], v18, s26, 0
	v_add3_u32 v35, v35, v33, v32
	v_lshl_add_u64 v[32:33], v[30:31], 1, s[28:29]
	v_lshl_add_u64 v[30:31], v[34:35], 1, s[28:29]
	global_load_ushort v34, v[32:33], off
	global_load_ushort v35, v[30:31], off
	s_mov_b64 s[42:43], -1
	s_waitcnt vmcnt(0)
	v_cmp_eq_u16_e32 vcc, v34, v35
	s_and_saveexec_b64 s[38:39], vcc
	s_cbranch_execz .LBB723_309
; %bb.303:
	s_add_u32 s42, s26, -1
	v_lshl_add_u64 v[30:31], v[30:31], 0, 2
	v_lshl_add_u64 v[32:33], v[32:33], 0, 2
	s_addc_u32 s43, s27, -1
	s_mov_b64 s[44:45], 0
	s_mov_b64 s[48:49], 0
                                        ; implicit-def: $sgpr46_sgpr47
	s_branch .LBB723_306
.LBB723_304:                            ;   in Loop: Header=BB723_306 Depth=1
	global_load_ushort v34, v[32:33], off
	global_load_ushort v35, v[30:31], off
	s_add_u32 s48, s48, 1
	s_addc_u32 s49, s49, 0
	s_andn2_b64 s[46:47], s[46:47], exec
	v_lshl_add_u64 v[30:31], v[30:31], 0, 2
	v_lshl_add_u64 v[32:33], v[32:33], 0, 2
	s_waitcnt vmcnt(0)
	v_cmp_ne_u16_e32 vcc, v34, v35
	s_and_b64 s[50:51], vcc, exec
	s_or_b64 s[46:47], s[46:47], s[50:51]
.LBB723_305:                            ;   in Loop: Header=BB723_306 Depth=1
	s_and_b64 s[50:51], exec, s[46:47]
	s_or_b64 s[44:45], s[50:51], s[44:45]
	v_mov_b64_e32 v[34:35], s[48:49]
	s_andn2_b64 exec, exec, s[44:45]
	s_cbranch_execz .LBB723_308
.LBB723_306:                            ; =>This Inner Loop Header: Depth=1
	s_or_b64 s[46:47], s[46:47], exec
	s_cmp_eq_u64 s[42:43], s[48:49]
	s_cbranch_scc0 .LBB723_304
; %bb.307:                              ;   in Loop: Header=BB723_306 Depth=1
                                        ; implicit-def: $vgpr30_vgpr31
                                        ; implicit-def: $vgpr32_vgpr33
	s_mov_b64 s[48:49], s[26:27]
	s_branch .LBB723_305
.LBB723_308:
	s_or_b64 exec, exec, s[44:45]
	v_cmp_gt_i64_e32 vcc, s[26:27], v[34:35]
	s_orn2_b64 s[42:43], vcc, exec
.LBB723_309:
	s_or_b64 exec, exec, s[38:39]
.LBB723_310:
	s_and_b64 s[38:39], s[42:43], exec
.LBB723_311:
	s_or_b64 exec, exec, s[40:41]
	v_cmp_gt_u32_e32 vcc, s3, v41
	s_and_saveexec_b64 s[40:41], vcc
	s_cbranch_execz .LBB723_322
; %bb.312:
	s_andn2_b64 vcc, exec, s[6:7]
	s_mov_b64 s[42:43], 0
	s_cbranch_vccnz .LBB723_321
; %bb.313:
	v_mul_lo_u32 v32, v23, s26
	v_mul_lo_u32 v33, v22, s27
	v_mad_u64_u32 v[30:31], s[36:37], v22, s26, 0
	v_add3_u32 v31, v31, v33, v32
	v_mul_lo_u32 v32, v25, s26
	v_mul_lo_u32 v33, v24, s27
	v_mad_u64_u32 v[34:35], s[36:37], v24, s26, 0
	v_add3_u32 v35, v35, v33, v32
	v_lshl_add_u64 v[32:33], v[30:31], 1, s[28:29]
	v_lshl_add_u64 v[30:31], v[34:35], 1, s[28:29]
	global_load_ushort v34, v[32:33], off
	global_load_ushort v35, v[30:31], off
	s_mov_b64 s[42:43], -1
	s_waitcnt vmcnt(0)
	v_cmp_eq_u16_e32 vcc, v34, v35
	s_and_saveexec_b64 s[36:37], vcc
	s_cbranch_execz .LBB723_320
; %bb.314:
	s_add_u32 s42, s26, -1
	v_lshl_add_u64 v[30:31], v[30:31], 0, 2
	v_lshl_add_u64 v[32:33], v[32:33], 0, 2
	s_addc_u32 s43, s27, -1
	s_mov_b64 s[44:45], 0
	s_mov_b64 s[48:49], 0
                                        ; implicit-def: $sgpr46_sgpr47
	s_branch .LBB723_317
.LBB723_315:                            ;   in Loop: Header=BB723_317 Depth=1
	global_load_ushort v34, v[32:33], off
	global_load_ushort v35, v[30:31], off
	s_add_u32 s48, s48, 1
	s_addc_u32 s49, s49, 0
	s_andn2_b64 s[46:47], s[46:47], exec
	v_lshl_add_u64 v[30:31], v[30:31], 0, 2
	v_lshl_add_u64 v[32:33], v[32:33], 0, 2
	s_waitcnt vmcnt(0)
	v_cmp_ne_u16_e32 vcc, v34, v35
	s_and_b64 s[50:51], vcc, exec
	s_or_b64 s[46:47], s[46:47], s[50:51]
.LBB723_316:                            ;   in Loop: Header=BB723_317 Depth=1
	s_and_b64 s[50:51], exec, s[46:47]
	s_or_b64 s[44:45], s[50:51], s[44:45]
	v_mov_b64_e32 v[34:35], s[48:49]
	s_andn2_b64 exec, exec, s[44:45]
	s_cbranch_execz .LBB723_319
.LBB723_317:                            ; =>This Inner Loop Header: Depth=1
	s_or_b64 s[46:47], s[46:47], exec
	s_cmp_eq_u64 s[42:43], s[48:49]
	s_cbranch_scc0 .LBB723_315
; %bb.318:                              ;   in Loop: Header=BB723_317 Depth=1
                                        ; implicit-def: $vgpr30_vgpr31
                                        ; implicit-def: $vgpr32_vgpr33
	s_mov_b64 s[48:49], s[26:27]
	s_branch .LBB723_316
.LBB723_319:
	s_or_b64 exec, exec, s[44:45]
	v_cmp_gt_i64_e32 vcc, s[26:27], v[34:35]
	s_orn2_b64 s[42:43], vcc, exec
.LBB723_320:
	s_or_b64 exec, exec, s[36:37]
.LBB723_321:
	s_and_b64 s[36:37], s[42:43], exec
.LBB723_322:
	s_or_b64 exec, exec, s[40:41]
	v_cndmask_b32_e64 v31, 0, 1, s[18:19]
	v_cndmask_b32_e64 v30, 0, 1, s[38:39]
	;; [unrolled: 1-line block ×3, first 2 shown]
	v_lshlrev_b16_e32 v31, 8, v31
	v_cndmask_b32_e64 v46, 0, 1, s[14:15]
	v_cndmask_b32_e64 v32, 0, 1, s[36:37]
	v_or_b32_sdwa v30, v30, v31 dst_sel:WORD_1 dst_unused:UNUSED_PAD src0_sel:DWORD src1_sel:DWORD
	v_lshlrev_b16_e32 v31, 8, v47
	v_lshlrev_b16_e32 v32, 8, v32
	v_or_b32_e32 v31, v46, v31
	v_or_b32_e32 v32, 1, v32
	v_and_b32_e32 v31, 0xffff, v31
	v_cndmask_b32_e64 v48, 0, 1, s[4:5]
	v_or_b32_sdwa v30, v32, v30 dst_sel:DWORD dst_unused:UNUSED_PAD src0_sel:WORD_0 src1_sel:DWORD
	v_lshl_or_b32 v31, v48, 16, v31
	v_cmp_ne_u32_e32 vcc, 0, v0
	s_waitcnt lgkmcnt(0)
	s_barrier
	s_waitcnt lgkmcnt(0)
                                        ; implicit-def: $sgpr18_sgpr19
                                        ; implicit-def: $vgpr34
	s_and_saveexec_b64 s[4:5], vcc
	s_cbranch_execz .LBB723_335
; %bb.323:
	v_cmp_gt_u32_e32 vcc, s3, v1
	s_mov_b32 s33, 0x3020104
	s_mov_b64 s[14:15], 0
	s_and_saveexec_b64 s[12:13], vcc
	s_cbranch_execz .LBB723_334
; %bb.324:
	s_andn2_b64 vcc, exec, s[6:7]
	s_cbranch_vccnz .LBB723_333
; %bb.325:
	v_add_u32_e32 v31, -8, v44
	ds_read_b64 v[32:33], v31
	v_mul_lo_u32 v31, v23, s26
	v_mad_u64_u32 v[36:37], s[6:7], v22, s26, 0
	s_mov_b64 s[14:15], -1
	s_waitcnt lgkmcnt(0)
	v_mul_lo_u32 v34, v33, s26
	v_mul_lo_u32 v35, v32, s27
	v_mad_u64_u32 v[32:33], s[6:7], v32, s26, 0
	v_add3_u32 v33, v33, v35, v34
	v_mul_lo_u32 v34, v22, s27
	v_add3_u32 v37, v37, v34, v31
	v_lshl_add_u64 v[34:35], v[32:33], 1, s[28:29]
	v_lshl_add_u64 v[32:33], v[36:37], 1, s[28:29]
	global_load_ushort v31, v[34:35], off
	global_load_ushort v36, v[32:33], off
	s_waitcnt vmcnt(0)
	v_cmp_eq_u16_e32 vcc, v31, v36
	s_and_saveexec_b64 s[6:7], vcc
	s_cbranch_execz .LBB723_332
; %bb.326:
	s_add_u32 s14, s26, -1
	v_lshl_add_u64 v[32:33], v[32:33], 0, 2
	v_lshl_add_u64 v[34:35], v[34:35], 0, 2
	s_addc_u32 s15, s27, -1
	s_mov_b64 s[18:19], 0
	s_mov_b64 s[36:37], 0
                                        ; implicit-def: $sgpr28_sgpr29
	s_branch .LBB723_329
.LBB723_327:                            ;   in Loop: Header=BB723_329 Depth=1
	global_load_ushort v31, v[34:35], off
	global_load_ushort v36, v[32:33], off
	s_add_u32 s36, s36, 1
	s_addc_u32 s37, s37, 0
	s_andn2_b64 s[28:29], s[28:29], exec
	v_lshl_add_u64 v[32:33], v[32:33], 0, 2
	v_lshl_add_u64 v[34:35], v[34:35], 0, 2
	s_waitcnt vmcnt(0)
	v_cmp_ne_u16_e32 vcc, v31, v36
	s_and_b64 s[38:39], vcc, exec
	s_or_b64 s[28:29], s[28:29], s[38:39]
.LBB723_328:                            ;   in Loop: Header=BB723_329 Depth=1
	s_and_b64 s[38:39], exec, s[28:29]
	s_or_b64 s[18:19], s[38:39], s[18:19]
	v_mov_b64_e32 v[36:37], s[36:37]
	s_andn2_b64 exec, exec, s[18:19]
	s_cbranch_execz .LBB723_331
.LBB723_329:                            ; =>This Inner Loop Header: Depth=1
	s_or_b64 s[28:29], s[28:29], exec
	s_cmp_eq_u64 s[14:15], s[36:37]
	s_cbranch_scc0 .LBB723_327
; %bb.330:                              ;   in Loop: Header=BB723_329 Depth=1
                                        ; implicit-def: $vgpr32_vgpr33
                                        ; implicit-def: $vgpr34_vgpr35
	s_mov_b64 s[36:37], s[26:27]
	s_branch .LBB723_328
.LBB723_331:
	s_or_b64 exec, exec, s[18:19]
	v_cmp_gt_i64_e32 vcc, s[26:27], v[36:37]
	s_orn2_b64 s[14:15], vcc, exec
.LBB723_332:
	s_or_b64 exec, exec, s[6:7]
.LBB723_333:
	s_and_b64 s[14:15], s[14:15], exec
.LBB723_334:
	s_or_b64 exec, exec, s[12:13]
	v_perm_b32 v34, v30, v30, s33
	s_and_b64 s[18:19], s[14:15], exec
	s_or_b64 s[10:11], s[10:11], exec
                                        ; implicit-def: $vgpr30_vgpr31
.LBB723_335:
	s_or_b64 exec, exec, s[4:5]
.LBB723_336:
	s_and_saveexec_b64 s[4:5], s[10:11]
	s_cbranch_execz .LBB723_338
; %bb.337:
	s_waitcnt lgkmcnt(0)
	v_lshlrev_b16_e32 v31, 8, v47
	v_and_b32_e32 v32, 0xff, v48
	v_or_b32_sdwa v31, v46, v31 dst_sel:DWORD dst_unused:UNUSED_PAD src0_sel:BYTE_0 src1_sel:DWORD
	v_lshlrev_b32_e32 v32, 16, v32
	s_movk_i32 s6, 0xff
	v_or_b32_sdwa v31, v31, v32 dst_sel:DWORD dst_unused:UNUSED_PAD src0_sel:WORD_0 src1_sel:DWORD
	v_lshrrev_b32_e32 v32, 24, v34
	v_lshlrev_b16_e32 v32, 8, v32
	v_and_b32_sdwa v33, v34, s6 dst_sel:DWORD dst_unused:UNUSED_PAD src0_sel:WORD_1 src1_sel:DWORD
	v_or_b32_sdwa v32, v33, v32 dst_sel:WORD_1 dst_unused:UNUSED_PAD src0_sel:DWORD src1_sel:DWORD
	v_mov_b32_e32 v33, 8
	v_cndmask_b32_e64 v30, 0, 1, s[18:19]
	v_lshrrev_b32_sdwa v33, v33, v34 dst_sel:BYTE_1 dst_unused:UNUSED_PAD src0_sel:DWORD src1_sel:DWORD
	s_nop 0
	v_or_b32_e32 v30, v30, v33
	v_or_b32_sdwa v30, v30, v32 dst_sel:DWORD dst_unused:UNUSED_PAD src0_sel:WORD_0 src1_sel:DWORD
.LBB723_338:
	s_or_b64 exec, exec, s[4:5]
	s_andn2_b64 vcc, exec, s[8:9]
	s_cbranch_vccnz .LBB723_340
; %bb.339:
	s_waitcnt lgkmcnt(0)
	v_and_b32_e32 v32, 0xffff0000, v30
	v_cmp_gt_u32_e32 vcc, s3, v1
	s_mov_b32 s4, 0x40c0100
	s_nop 0
	v_cndmask_b32_e32 v1, v32, v30, vcc
	v_and_b32_e32 v1, 0xffff00ff, v1
	v_cmp_gt_u32_e32 vcc, s3, v41
	s_nop 1
	v_cndmask_b32_e32 v1, v1, v30, vcc
	v_lshrrev_b32_e32 v32, 24, v1
	v_perm_b32 v1, v32, v1, s4
	v_cmp_gt_u32_e32 vcc, s3, v38
	v_and_b32_e32 v32, 0xffffff00, v31
	s_nop 0
	v_cndmask_b32_e32 v1, v1, v30, vcc
	v_and_b32_e32 v1, 0xffffff, v1
	v_cmp_gt_u32_e32 vcc, s3, v42
	s_nop 1
	v_cndmask_b32_e32 v1, v1, v30, vcc
	v_cmp_gt_u32_e32 vcc, s3, v39
	s_nop 1
	v_cndmask_b32_e32 v32, v32, v31, vcc
	v_and_b32_e32 v32, 0xffff00ff, v32
	v_cndmask_b32_e32 v1, v1, v30, vcc
	v_cmp_gt_u32_e32 vcc, s3, v43
	s_nop 1
	v_cndmask_b32_e32 v32, v32, v31, vcc
	v_lshrrev_b32_e32 v33, 24, v32
	v_cndmask_b32_e32 v1, v1, v30, vcc
	v_perm_b32 v32, v33, v32, s4
	v_cmp_gt_u32_e32 vcc, s3, v40
	s_mov_b32 s3, 0x3020104
	s_nop 0
	v_cndmask_b32_e32 v1, v1, v30, vcc
	v_cndmask_b32_e32 v30, v32, v31, vcc
	v_mov_b32_e32 v31, 8
	v_lshrrev_b32_sdwa v31, v31, v30 dst_sel:BYTE_1 dst_unused:UNUSED_PAD src0_sel:DWORD src1_sel:DWORD
	s_nop 0
	v_or_b32_sdwa v31, v30, v31 dst_sel:DWORD dst_unused:UNUSED_PAD src0_sel:BYTE_0 src1_sel:DWORD
	v_and_b32_e32 v31, 0xffff, v31
	v_bfe_u32 v30, v30, 16, 8
	v_lshl_or_b32 v31, v30, 16, v31
	v_perm_b32 v30, v1, v1, s3
.LBB723_340:
	s_waitcnt lgkmcnt(0)
	v_and_b32_e32 v1, 0xff, v30
	v_bfe_u32 v43, v30, 8, 8
	v_bfe_u32 v45, v30, 16, 8
	v_alignbit_b32 v32, v31, v30, 24
	v_and_b32_e32 v47, 0xff, v32
	v_and_b32_e32 v48, 0xff, v31
	v_add3_u32 v33, v43, v1, v45
	v_bfe_u32 v49, v31, 8, 8
	v_bfe_u32 v32, v31, 16, 8
	v_add3_u32 v33, v33, v47, v48
	v_add3_u32 v52, v33, v49, v32
	v_mbcnt_lo_u32_b32 v32, -1, 0
	v_mbcnt_hi_u32_b32 v50, -1, v32
	v_and_b32_e32 v32, 15, v50
	v_cmp_eq_u32_e64 s[14:15], 0, v32
	v_cmp_lt_u32_e64 s[12:13], 1, v32
	v_cmp_lt_u32_e64 s[10:11], 3, v32
	;; [unrolled: 1-line block ×3, first 2 shown]
	v_and_b32_e32 v32, 16, v50
	v_cmp_eq_u32_e64 s[6:7], 0, v32
	v_or_b32_e32 v32, 63, v0
	v_cmp_lt_u32_e64 s[18:19], 31, v50
	v_lshrrev_b32_e32 v51, 6, v0
	v_cmp_eq_u32_e64 s[4:5], v32, v0
	s_and_b64 vcc, exec, s[16:17]
	s_barrier
	s_cbranch_vccz .LBB723_367
; %bb.341:
	v_mov_b32_dpp v32, v52 row_shr:1 row_mask:0xf bank_mask:0xf
	v_cndmask_b32_e64 v32, v32, 0, s[14:15]
	v_add_u32_e32 v32, v32, v52
	s_nop 1
	v_mov_b32_dpp v33, v32 row_shr:2 row_mask:0xf bank_mask:0xf
	v_cndmask_b32_e64 v33, 0, v33, s[12:13]
	v_add_u32_e32 v32, v32, v33
	s_nop 1
	;; [unrolled: 4-line block ×4, first 2 shown]
	v_mov_b32_dpp v33, v32 row_bcast:15 row_mask:0xf bank_mask:0xf
	v_cndmask_b32_e64 v33, v33, 0, s[6:7]
	v_add_u32_e32 v32, v32, v33
	s_nop 1
	v_mov_b32_dpp v33, v32 row_bcast:31 row_mask:0xf bank_mask:0xf
	v_cndmask_b32_e64 v33, 0, v33, s[18:19]
	v_add_u32_e32 v32, v32, v33
	s_and_saveexec_b64 s[16:17], s[4:5]
	s_cbranch_execz .LBB723_343
; %bb.342:
	v_lshlrev_b32_e32 v33, 2, v51
	ds_write_b32 v33, v32
.LBB723_343:
	s_or_b64 exec, exec, s[16:17]
	v_cmp_gt_u32_e32 vcc, 8, v0
	s_waitcnt lgkmcnt(0)
	s_barrier
	s_and_saveexec_b64 s[16:17], vcc
	s_cbranch_execz .LBB723_345
; %bb.344:
	v_lshlrev_b32_e32 v33, 2, v0
	ds_read_b32 v34, v33
	v_and_b32_e32 v35, 7, v50
	v_cmp_ne_u32_e32 vcc, 0, v35
	s_waitcnt lgkmcnt(0)
	v_mov_b32_dpp v36, v34 row_shr:1 row_mask:0xf bank_mask:0xf
	v_cndmask_b32_e32 v36, 0, v36, vcc
	v_add_u32_e32 v34, v36, v34
	v_cmp_lt_u32_e32 vcc, 1, v35
	s_nop 0
	v_mov_b32_dpp v36, v34 row_shr:2 row_mask:0xf bank_mask:0xf
	v_cndmask_b32_e32 v36, 0, v36, vcc
	v_add_u32_e32 v34, v34, v36
	v_cmp_lt_u32_e32 vcc, 3, v35
	s_nop 0
	v_mov_b32_dpp v36, v34 row_shr:4 row_mask:0xf bank_mask:0xf
	v_cndmask_b32_e32 v35, 0, v36, vcc
	v_add_u32_e32 v34, v34, v35
	ds_write_b32 v33, v34
.LBB723_345:
	s_or_b64 exec, exec, s[16:17]
	v_cmp_gt_u32_e32 vcc, 64, v0
	v_cmp_lt_u32_e64 s[16:17], 63, v0
	s_waitcnt lgkmcnt(0)
	s_barrier
	s_waitcnt lgkmcnt(0)
                                        ; implicit-def: $vgpr42
	s_and_saveexec_b64 s[26:27], s[16:17]
	s_cbranch_execz .LBB723_347
; %bb.346:
	v_lshl_add_u32 v33, v51, 2, -4
	ds_read_b32 v42, v33
	s_waitcnt lgkmcnt(0)
	v_add_u32_e32 v32, v42, v32
.LBB723_347:
	s_or_b64 exec, exec, s[26:27]
	v_add_u32_e32 v33, -1, v50
	v_and_b32_e32 v34, 64, v50
	v_cmp_lt_i32_e64 s[16:17], v33, v34
	s_nop 1
	v_cndmask_b32_e64 v33, v33, v50, s[16:17]
	v_lshlrev_b32_e32 v33, 2, v33
	ds_bpermute_b32 v44, v33, v32
	v_cmp_eq_u32_e64 s[16:17], 0, v50
	s_and_saveexec_b64 s[26:27], vcc
	s_cbranch_execz .LBB723_366
; %bb.348:
	v_mov_b32_e32 v39, 0
	ds_read_b32 v32, v39 offset:28
	s_and_saveexec_b64 s[28:29], s[16:17]
	s_cbranch_execz .LBB723_350
; %bb.349:
	s_add_i32 s36, s2, 64
	s_mov_b32 s37, 0
	s_lshl_b64 s[36:37], s[36:37], 3
	s_add_u32 s36, s30, s36
	v_mov_b32_e32 v33, 1
	s_addc_u32 s37, s31, s37
	s_waitcnt lgkmcnt(0)
	global_store_dwordx2 v39, v[32:33], s[36:37] sc1
.LBB723_350:
	s_or_b64 exec, exec, s[28:29]
	v_xad_u32 v34, v50, -1, s2
	v_add_u32_e32 v38, 64, v34
	v_lshl_add_u64 v[40:41], v[38:39], 3, s[30:31]
	global_load_dwordx2 v[36:37], v[40:41], off sc1
	s_waitcnt vmcnt(0)
	v_cmp_eq_u16_sdwa s[36:37], v37, v39 src0_sel:BYTE_0 src1_sel:DWORD
	s_and_saveexec_b64 s[28:29], s[36:37]
	s_cbranch_execz .LBB723_354
; %bb.351:
	s_mov_b64 s[36:37], 0
	v_mov_b32_e32 v33, 0
.LBB723_352:                            ; =>This Inner Loop Header: Depth=1
	global_load_dwordx2 v[36:37], v[40:41], off sc1
	s_waitcnt vmcnt(0)
	v_cmp_ne_u16_sdwa s[38:39], v37, v33 src0_sel:BYTE_0 src1_sel:DWORD
	s_or_b64 s[36:37], s[38:39], s[36:37]
	s_andn2_b64 exec, exec, s[36:37]
	s_cbranch_execnz .LBB723_352
; %bb.353:
	s_or_b64 exec, exec, s[36:37]
.LBB723_354:
	s_or_b64 exec, exec, s[28:29]
	v_and_b32_e32 v46, 63, v50
	v_mov_b32_e32 v33, 2
	v_cmp_ne_u32_e32 vcc, 63, v46
	v_cmp_eq_u16_sdwa s[28:29], v37, v33 src0_sel:BYTE_0 src1_sel:DWORD
	v_lshlrev_b64 v[38:39], v50, -1
	v_addc_co_u32_e32 v41, vcc, 0, v50, vcc
	v_and_b32_e32 v35, s29, v39
	v_lshlrev_b32_e32 v53, 2, v41
	v_or_b32_e32 v35, 0x80000000, v35
	ds_bpermute_b32 v41, v53, v36
	v_and_b32_e32 v40, s28, v38
	v_ffbl_b32_e32 v35, v35
	v_add_u32_e32 v35, 32, v35
	v_ffbl_b32_e32 v40, v40
	v_min_u32_e32 v35, v40, v35
	v_cmp_lt_u32_e32 vcc, v46, v35
	v_add_u32_e32 v55, 2, v46
	v_add_u32_e32 v57, 4, v46
	s_waitcnt lgkmcnt(0)
	v_cndmask_b32_e32 v40, 0, v41, vcc
	v_cmp_gt_u32_e32 vcc, 62, v46
	v_add_u32_e32 v36, v40, v36
	v_add_u32_e32 v59, 8, v46
	v_cndmask_b32_e64 v40, 0, 1, vcc
	v_lshlrev_b32_e32 v40, 1, v40
	v_add_lshl_u32 v54, v40, v50, 2
	ds_bpermute_b32 v40, v54, v36
	v_cmp_le_u32_e32 vcc, v55, v35
	v_add_u32_e32 v62, 16, v46
	v_add_u32_e32 v64, 32, v46
	s_waitcnt lgkmcnt(0)
	v_cndmask_b32_e32 v40, 0, v40, vcc
	v_cmp_gt_u32_e32 vcc, 60, v46
	v_add_u32_e32 v36, v36, v40
	s_nop 0
	v_cndmask_b32_e64 v40, 0, 1, vcc
	v_lshlrev_b32_e32 v40, 2, v40
	v_add_lshl_u32 v56, v40, v50, 2
	ds_bpermute_b32 v40, v56, v36
	v_cmp_le_u32_e32 vcc, v57, v35
	s_waitcnt lgkmcnt(0)
	s_nop 0
	v_cndmask_b32_e32 v40, 0, v40, vcc
	v_cmp_gt_u32_e32 vcc, 56, v46
	v_add_u32_e32 v36, v36, v40
	s_nop 0
	v_cndmask_b32_e64 v40, 0, 1, vcc
	v_lshlrev_b32_e32 v40, 3, v40
	v_add_lshl_u32 v58, v40, v50, 2
	ds_bpermute_b32 v40, v58, v36
	v_cmp_le_u32_e32 vcc, v59, v35
	s_waitcnt lgkmcnt(0)
	s_nop 0
	;; [unrolled: 11-line block ×4, first 2 shown]
	v_cndmask_b32_e32 v35, 0, v40, vcc
	v_add_u32_e32 v36, v36, v35
	v_mov_b32_e32 v35, 0
	s_branch .LBB723_356
.LBB723_355:                            ;   in Loop: Header=BB723_356 Depth=1
	s_or_b64 exec, exec, s[28:29]
	v_cmp_eq_u16_sdwa s[28:29], v37, v33 src0_sel:BYTE_0 src1_sel:DWORD
	ds_bpermute_b32 v65, v53, v36
	v_subrev_u32_e32 v34, 64, v34
	v_and_b32_e32 v40, s29, v39
	v_or_b32_e32 v40, 0x80000000, v40
	v_and_b32_e32 v41, s28, v38
	v_ffbl_b32_e32 v40, v40
	v_add_u32_e32 v40, 32, v40
	v_ffbl_b32_e32 v41, v41
	v_min_u32_e32 v40, v41, v40
	v_cmp_lt_u32_e32 vcc, v46, v40
	s_waitcnt lgkmcnt(0)
	s_nop 0
	v_cndmask_b32_e32 v41, 0, v65, vcc
	v_add_u32_e32 v36, v41, v36
	ds_bpermute_b32 v41, v54, v36
	v_cmp_le_u32_e32 vcc, v55, v40
	s_waitcnt lgkmcnt(0)
	s_nop 0
	v_cndmask_b32_e32 v41, 0, v41, vcc
	v_add_u32_e32 v36, v36, v41
	ds_bpermute_b32 v41, v56, v36
	v_cmp_le_u32_e32 vcc, v57, v40
	;; [unrolled: 6-line block ×5, first 2 shown]
	s_waitcnt lgkmcnt(0)
	s_nop 0
	v_cndmask_b32_e32 v40, 0, v41, vcc
	v_add3_u32 v36, v40, v60, v36
.LBB723_356:                            ; =>This Loop Header: Depth=1
                                        ;     Child Loop BB723_359 Depth 2
	v_cmp_ne_u16_sdwa s[28:29], v37, v33 src0_sel:BYTE_0 src1_sel:DWORD
	v_mov_b32_e32 v60, v36
	s_nop 0
	v_cndmask_b32_e64 v37, 0, 1, s[28:29]
	;;#ASMSTART
	;;#ASMEND
	s_nop 0
	v_cmp_ne_u32_e32 vcc, 0, v37
	s_cmp_lg_u64 vcc, exec
	s_cbranch_scc1 .LBB723_361
; %bb.357:                              ;   in Loop: Header=BB723_356 Depth=1
	v_lshl_add_u64 v[40:41], v[34:35], 3, s[30:31]
	global_load_dwordx2 v[36:37], v[40:41], off sc1
	s_waitcnt vmcnt(0)
	v_cmp_eq_u16_sdwa s[36:37], v37, v35 src0_sel:BYTE_0 src1_sel:DWORD
	s_and_saveexec_b64 s[28:29], s[36:37]
	s_cbranch_execz .LBB723_355
; %bb.358:                              ;   in Loop: Header=BB723_356 Depth=1
	s_mov_b64 s[36:37], 0
.LBB723_359:                            ;   Parent Loop BB723_356 Depth=1
                                        ; =>  This Inner Loop Header: Depth=2
	global_load_dwordx2 v[36:37], v[40:41], off sc1
	s_waitcnt vmcnt(0)
	v_cmp_ne_u16_sdwa s[38:39], v37, v35 src0_sel:BYTE_0 src1_sel:DWORD
	s_or_b64 s[36:37], s[38:39], s[36:37]
	s_andn2_b64 exec, exec, s[36:37]
	s_cbranch_execnz .LBB723_359
; %bb.360:                              ;   in Loop: Header=BB723_356 Depth=1
	s_or_b64 exec, exec, s[36:37]
	s_branch .LBB723_355
.LBB723_361:                            ;   in Loop: Header=BB723_356 Depth=1
                                        ; implicit-def: $vgpr36
                                        ; implicit-def: $vgpr37
	s_cbranch_execz .LBB723_356
; %bb.362:
	s_and_saveexec_b64 s[28:29], s[16:17]
	s_cbranch_execz .LBB723_364
; %bb.363:
	s_add_i32 s2, s2, 64
	s_mov_b32 s3, 0
	s_lshl_b64 s[2:3], s[2:3], 3
	s_add_u32 s2, s30, s2
	v_add_u32_e32 v34, v60, v32
	v_mov_b32_e32 v35, 2
	s_addc_u32 s3, s31, s3
	v_mov_b32_e32 v33, 0
	global_store_dwordx2 v33, v[34:35], s[2:3] sc1
	s_movk_i32 s2, 0x7000
	v_add_u32_e64 v33, s2, 0
	ds_write2_b32 v33, v32, v60 offset1:2
.LBB723_364:
	s_or_b64 exec, exec, s[28:29]
	v_cmp_eq_u32_e32 vcc, 0, v0
	s_and_b64 exec, exec, vcc
	s_cbranch_execz .LBB723_366
; %bb.365:
	v_mov_b32_e32 v32, 0
	ds_write_b32 v32, v60 offset:28
.LBB723_366:
	s_or_b64 exec, exec, s[26:27]
	v_mov_b32_e32 v32, 0
	s_waitcnt lgkmcnt(0)
	s_barrier
	ds_read_b32 v32, v32 offset:28
	v_cndmask_b32_e64 v33, v44, v42, s[16:17]
	v_cmp_ne_u32_e32 vcc, 0, v0
	s_movk_i32 s2, 0x7000
	s_waitcnt lgkmcnt(0)
	v_cndmask_b32_e32 v33, 0, v33, vcc
	v_add_u32_e32 v46, v32, v33
	v_add_u32_e64 v32, s2, 0
	v_add_u32_e32 v44, v46, v1
	s_barrier
	ds_read2_b32 v[32:33], v32 offset1:2
	v_add_u32_e32 v42, v44, v43
	v_add_u32_e32 v40, v42, v45
	;; [unrolled: 1-line block ×5, first 2 shown]
	s_waitcnt lgkmcnt(0)
	v_readfirstlane_b32 s26, v32
	v_readfirstlane_b32 s16, v33
	v_lshrrev_b64 v[32:33], 24, v[30:31]
	s_branch .LBB723_377
.LBB723_367:
                                        ; implicit-def: $vgpr34
                                        ; implicit-def: $vgpr36
                                        ; implicit-def: $vgpr38
                                        ; implicit-def: $vgpr40
                                        ; implicit-def: $vgpr42
                                        ; implicit-def: $vgpr44
                                        ; implicit-def: $vgpr46
                                        ; implicit-def: $sgpr16
                                        ; implicit-def: $sgpr26
	v_lshrrev_b64 v[32:33], 24, v[30:31]
	s_cbranch_execz .LBB723_377
; %bb.368:
	s_nop 0
	v_mov_b32_dpp v33, v52 row_shr:1 row_mask:0xf bank_mask:0xf
	v_cndmask_b32_e64 v33, v33, 0, s[14:15]
	v_add_u32_e32 v33, v33, v52
	s_nop 1
	v_mov_b32_dpp v34, v33 row_shr:2 row_mask:0xf bank_mask:0xf
	v_cndmask_b32_e64 v34, 0, v34, s[12:13]
	v_add_u32_e32 v33, v33, v34
	;; [unrolled: 4-line block ×4, first 2 shown]
	s_nop 1
	v_mov_b32_dpp v34, v33 row_bcast:15 row_mask:0xf bank_mask:0xf
	v_cndmask_b32_e64 v34, v34, 0, s[6:7]
	v_add_u32_e32 v33, v33, v34
	s_nop 1
	v_mov_b32_dpp v34, v33 row_bcast:31 row_mask:0xf bank_mask:0xf
	v_cndmask_b32_e64 v34, 0, v34, s[18:19]
	v_add_u32_e32 v33, v33, v34
	s_and_saveexec_b64 s[2:3], s[4:5]
	s_cbranch_execz .LBB723_370
; %bb.369:
	v_lshlrev_b32_e32 v34, 2, v51
	ds_write_b32 v34, v33
.LBB723_370:
	s_or_b64 exec, exec, s[2:3]
	v_cmp_gt_u32_e32 vcc, 8, v0
	s_waitcnt lgkmcnt(0)
	s_barrier
	s_and_saveexec_b64 s[2:3], vcc
	s_cbranch_execz .LBB723_372
; %bb.371:
	v_lshlrev_b32_e32 v34, 2, v0
	ds_read_b32 v35, v34
	v_and_b32_e32 v36, 7, v50
	v_cmp_ne_u32_e32 vcc, 0, v36
	s_waitcnt lgkmcnt(0)
	v_mov_b32_dpp v37, v35 row_shr:1 row_mask:0xf bank_mask:0xf
	v_cndmask_b32_e32 v37, 0, v37, vcc
	v_add_u32_e32 v35, v37, v35
	v_cmp_lt_u32_e32 vcc, 1, v36
	s_nop 0
	v_mov_b32_dpp v37, v35 row_shr:2 row_mask:0xf bank_mask:0xf
	v_cndmask_b32_e32 v37, 0, v37, vcc
	v_add_u32_e32 v35, v35, v37
	v_cmp_lt_u32_e32 vcc, 3, v36
	s_nop 0
	v_mov_b32_dpp v37, v35 row_shr:4 row_mask:0xf bank_mask:0xf
	v_cndmask_b32_e32 v36, 0, v37, vcc
	v_add_u32_e32 v35, v35, v36
	ds_write_b32 v34, v35
.LBB723_372:
	s_or_b64 exec, exec, s[2:3]
	v_cmp_lt_u32_e32 vcc, 63, v0
	v_mov_b32_e32 v35, 0
	v_mov_b32_e32 v34, 0
	s_waitcnt lgkmcnt(0)
	s_barrier
	s_and_saveexec_b64 s[2:3], vcc
	s_cbranch_execz .LBB723_374
; %bb.373:
	v_lshl_add_u32 v34, v51, 2, -4
	ds_read_b32 v34, v34
.LBB723_374:
	s_or_b64 exec, exec, s[2:3]
	v_add_u32_e32 v36, -1, v50
	v_and_b32_e32 v37, 64, v50
	v_cmp_lt_i32_e32 vcc, v36, v37
	s_waitcnt lgkmcnt(0)
	v_add_u32_e32 v33, v34, v33
	ds_read_b32 v35, v35 offset:28
	v_cndmask_b32_e32 v36, v36, v50, vcc
	v_lshlrev_b32_e32 v36, 2, v36
	ds_bpermute_b32 v33, v36, v33
	s_mov_b32 s16, 0
	v_cmp_eq_u32_e32 vcc, 0, v0
	s_waitcnt lgkmcnt(1)
	v_readfirstlane_b32 s26, v35
	s_and_saveexec_b64 s[2:3], vcc
	s_cbranch_execz .LBB723_376
; %bb.375:
	v_mov_b32_e32 v35, 0
	v_mov_b32_e32 v36, s26
	;; [unrolled: 1-line block ×3, first 2 shown]
	global_store_dwordx2 v35, v[36:37], s[30:31] offset:512 sc1
.LBB723_376:
	s_or_b64 exec, exec, s[2:3]
	v_cmp_eq_u32_e64 s[2:3], 0, v50
	s_waitcnt lgkmcnt(0)
	s_barrier
	v_cndmask_b32_e64 v33, v33, v34, s[2:3]
	v_cndmask_b32_e64 v46, v33, 0, vcc
	v_add_u32_e32 v44, v46, v1
	v_add_u32_e32 v42, v44, v43
	;; [unrolled: 1-line block ×6, first 2 shown]
.LBB723_377:
	s_load_dwordx4 s[4:7], s[0:1], 0x28
	s_cmpk_lt_u32 s26, 0x201
	s_cselect_b64 s[2:3], -1, 0
	v_lshrrev_b32_e32 v33, 8, v30
	v_lshrrev_b32_e32 v1, 8, v31
	s_mov_b64 s[0:1], -1
	s_and_b64 vcc, exec, s[2:3]
	s_cbranch_vccz .LBB723_400
; %bb.378:
	s_add_i32 s8, s16, s26
	v_cmp_gt_u32_e32 vcc, s8, v46
	s_or_b64 s[10:11], s[34:35], vcc
	s_and_saveexec_b64 s[0:1], s[10:11]
	s_cbranch_execz .LBB723_381
; %bb.379:
	v_and_b32_e32 v35, 1, v30
	v_cmp_eq_u32_e32 vcc, 1, v35
	s_and_b64 exec, exec, vcc
	s_cbranch_execz .LBB723_381
; %bb.380:
	s_lshl_b64 s[10:11], s[22:23], 3
	s_waitcnt lgkmcnt(0)
	s_add_u32 s10, s4, s10
	s_addc_u32 s11, s5, s11
	v_mov_b32_e32 v47, 0
	v_lshl_add_u64 v[48:49], v[46:47], 3, s[10:11]
	global_store_dwordx2 v[48:49], v[22:23], off
.LBB723_381:
	s_or_b64 exec, exec, s[0:1]
	v_cmp_gt_u32_e32 vcc, s8, v44
	s_or_b64 s[10:11], s[34:35], vcc
	s_and_saveexec_b64 s[0:1], s[10:11]
	s_cbranch_execz .LBB723_384
; %bb.382:
	v_and_b32_e32 v35, 1, v33
	v_cmp_eq_u32_e32 vcc, 1, v35
	s_and_b64 exec, exec, vcc
	s_cbranch_execz .LBB723_384
; %bb.383:
	s_lshl_b64 s[10:11], s[22:23], 3
	s_waitcnt lgkmcnt(0)
	s_add_u32 s10, s4, s10
	s_addc_u32 s11, s5, s11
	v_mov_b32_e32 v45, 0
	v_lshl_add_u64 v[48:49], v[44:45], 3, s[10:11]
	global_store_dwordx2 v[48:49], v[24:25], off
.LBB723_384:
	s_or_b64 exec, exec, s[0:1]
	v_cmp_gt_u32_e32 vcc, s8, v42
	s_or_b64 s[10:11], s[34:35], vcc
	s_and_saveexec_b64 s[0:1], s[10:11]
	s_cbranch_execz .LBB723_387
; %bb.385:
	v_mov_b32_e32 v35, 1
	v_and_b32_sdwa v35, v35, v30 dst_sel:DWORD dst_unused:UNUSED_PAD src0_sel:DWORD src1_sel:WORD_1
	v_cmp_eq_u32_e32 vcc, 1, v35
	s_and_b64 exec, exec, vcc
	s_cbranch_execz .LBB723_387
; %bb.386:
	s_lshl_b64 s[10:11], s[22:23], 3
	s_waitcnt lgkmcnt(0)
	s_add_u32 s10, s4, s10
	s_addc_u32 s11, s5, s11
	v_mov_b32_e32 v43, 0
	v_lshl_add_u64 v[48:49], v[42:43], 3, s[10:11]
	global_store_dwordx2 v[48:49], v[18:19], off
.LBB723_387:
	s_or_b64 exec, exec, s[0:1]
	v_cmp_gt_u32_e32 vcc, s8, v40
	s_or_b64 s[10:11], s[34:35], vcc
	s_and_saveexec_b64 s[0:1], s[10:11]
	s_cbranch_execz .LBB723_390
; %bb.388:
	v_and_b32_e32 v35, 1, v32
	v_cmp_eq_u32_e32 vcc, 1, v35
	s_and_b64 exec, exec, vcc
	s_cbranch_execz .LBB723_390
; %bb.389:
	s_lshl_b64 s[10:11], s[22:23], 3
	s_waitcnt lgkmcnt(0)
	s_add_u32 s10, s4, s10
	s_addc_u32 s11, s5, s11
	v_mov_b32_e32 v41, 0
	v_lshl_add_u64 v[48:49], v[40:41], 3, s[10:11]
	global_store_dwordx2 v[48:49], v[20:21], off
.LBB723_390:
	s_or_b64 exec, exec, s[0:1]
	v_cmp_gt_u32_e32 vcc, s8, v38
	s_or_b64 s[10:11], s[34:35], vcc
	s_and_saveexec_b64 s[0:1], s[10:11]
	s_cbranch_execz .LBB723_393
; %bb.391:
	v_and_b32_e32 v35, 1, v31
	v_cmp_eq_u32_e32 vcc, 1, v35
	s_and_b64 exec, exec, vcc
	s_cbranch_execz .LBB723_393
; %bb.392:
	s_lshl_b64 s[10:11], s[22:23], 3
	s_waitcnt lgkmcnt(0)
	s_add_u32 s10, s4, s10
	s_addc_u32 s11, s5, s11
	v_mov_b32_e32 v39, 0
	v_lshl_add_u64 v[48:49], v[38:39], 3, s[10:11]
	global_store_dwordx2 v[48:49], v[14:15], off
.LBB723_393:
	;; [unrolled: 19-line block ×3, first 2 shown]
	s_or_b64 exec, exec, s[0:1]
	v_cmp_gt_u32_e32 vcc, s8, v34
	s_or_b64 s[8:9], s[34:35], vcc
	s_and_saveexec_b64 s[0:1], s[8:9]
	s_cbranch_execz .LBB723_399
; %bb.397:
	v_mov_b32_e32 v35, 1
	v_and_b32_sdwa v35, v35, v31 dst_sel:DWORD dst_unused:UNUSED_PAD src0_sel:DWORD src1_sel:WORD_1
	v_cmp_eq_u32_e32 vcc, 1, v35
	s_and_b64 exec, exec, vcc
	s_cbranch_execz .LBB723_399
; %bb.398:
	s_lshl_b64 s[8:9], s[22:23], 3
	s_waitcnt lgkmcnt(0)
	s_add_u32 s8, s4, s8
	s_addc_u32 s9, s5, s9
	v_mov_b32_e32 v35, 0
	v_lshl_add_u64 v[48:49], v[34:35], 3, s[8:9]
	global_store_dwordx2 v[48:49], v[28:29], off
.LBB723_399:
	s_or_b64 exec, exec, s[0:1]
	s_mov_b64 s[0:1], 0
.LBB723_400:
	v_and_b32_e32 v48, 1, v30
	s_and_b64 vcc, exec, s[0:1]
	v_cmp_eq_u32_e64 s[0:1], 1, v48
	s_cbranch_vccz .LBB723_419
; %bb.401:
	s_and_saveexec_b64 s[8:9], s[0:1]
	s_cbranch_execz .LBB723_403
; %bb.402:
	v_subrev_u32_e32 v35, s16, v46
	v_lshlrev_b32_e32 v35, 3, v35
	ds_write_b64 v35, v[22:23]
.LBB723_403:
	s_or_b64 exec, exec, s[8:9]
	v_and_b32_e32 v22, 1, v33
	v_cmp_eq_u32_e32 vcc, 1, v22
	s_and_saveexec_b64 s[0:1], vcc
	s_cbranch_execz .LBB723_405
; %bb.404:
	v_subrev_u32_e32 v22, s16, v44
	v_lshlrev_b32_e32 v22, 3, v22
	ds_write_b64 v22, v[24:25]
.LBB723_405:
	s_or_b64 exec, exec, s[0:1]
	v_mov_b32_e32 v22, 1
	v_and_b32_sdwa v22, v22, v30 dst_sel:DWORD dst_unused:UNUSED_PAD src0_sel:DWORD src1_sel:WORD_1
	v_cmp_eq_u32_e32 vcc, 1, v22
	s_and_saveexec_b64 s[0:1], vcc
	s_cbranch_execz .LBB723_407
; %bb.406:
	v_subrev_u32_e32 v22, s16, v42
	v_lshlrev_b32_e32 v22, 3, v22
	ds_write_b64 v22, v[18:19]
.LBB723_407:
	s_or_b64 exec, exec, s[0:1]
	v_and_b32_e32 v18, 1, v32
	v_cmp_eq_u32_e32 vcc, 1, v18
	s_and_saveexec_b64 s[0:1], vcc
	s_cbranch_execz .LBB723_409
; %bb.408:
	v_subrev_u32_e32 v18, s16, v40
	v_lshlrev_b32_e32 v18, 3, v18
	ds_write_b64 v18, v[20:21]
.LBB723_409:
	s_or_b64 exec, exec, s[0:1]
	v_and_b32_e32 v18, 1, v31
	;; [unrolled: 10-line block ×3, first 2 shown]
	v_cmp_eq_u32_e32 vcc, 1, v14
	s_and_saveexec_b64 s[0:1], vcc
	s_cbranch_execz .LBB723_413
; %bb.412:
	v_subrev_u32_e32 v14, s16, v36
	v_lshlrev_b32_e32 v14, 3, v14
	ds_write_b64 v14, v[16:17]
.LBB723_413:
	s_or_b64 exec, exec, s[0:1]
	v_mov_b32_e32 v14, 1
	v_and_b32_sdwa v14, v14, v31 dst_sel:DWORD dst_unused:UNUSED_PAD src0_sel:DWORD src1_sel:WORD_1
	v_cmp_eq_u32_e32 vcc, 1, v14
	s_and_saveexec_b64 s[0:1], vcc
	s_cbranch_execz .LBB723_415
; %bb.414:
	v_subrev_u32_e32 v14, s16, v34
	v_lshlrev_b32_e32 v14, 3, v14
	ds_write_b64 v14, v[28:29]
.LBB723_415:
	s_or_b64 exec, exec, s[0:1]
	v_cmp_gt_u32_e32 vcc, s26, v0
	s_waitcnt lgkmcnt(0)
	s_barrier
	s_and_saveexec_b64 s[0:1], vcc
	s_cbranch_execz .LBB723_418
; %bb.416:
	s_mov_b32 s17, 0
	s_lshl_b64 s[8:9], s[22:23], 3
	s_lshl_b64 s[10:11], s[16:17], 3
	s_add_u32 s8, s8, s10
	s_addc_u32 s9, s9, s11
	s_add_u32 s4, s4, s8
	v_lshlrev_b32_e32 v14, 3, v0
	v_mov_b32_e32 v15, 0
	s_addc_u32 s5, s5, s9
	v_lshl_add_u64 v[16:17], s[4:5], 0, v[14:15]
	s_mov_b64 s[4:5], 0
	s_mov_b64 s[8:9], 0x1000
	v_mov_b32_e32 v15, v0
.LBB723_417:                            ; =>This Inner Loop Header: Depth=1
	ds_read_b64 v[18:19], v14
	v_add_u32_e32 v15, 0x200, v15
	v_cmp_le_u32_e32 vcc, s26, v15
	v_add_u32_e32 v14, 0x1000, v14
	s_or_b64 s[4:5], vcc, s[4:5]
	s_waitcnt lgkmcnt(0)
	global_store_dwordx2 v[16:17], v[18:19], off
	v_lshl_add_u64 v[16:17], v[16:17], 0, s[8:9]
	s_andn2_b64 exec, exec, s[4:5]
	s_cbranch_execnz .LBB723_417
.LBB723_418:
	s_or_b64 exec, exec, s[0:1]
.LBB723_419:
	s_mov_b64 s[0:1], -1
	s_and_b64 vcc, exec, s[2:3]
	s_waitcnt lgkmcnt(0)
	s_barrier
	s_cbranch_vccnz .LBB723_423
; %bb.420:
	s_and_b64 vcc, exec, s[0:1]
	s_cbranch_vccnz .LBB723_445
.LBB723_421:
	v_cmp_eq_u32_e32 vcc, 0, v0
	s_and_b64 s[0:1], vcc, s[24:25]
	s_and_saveexec_b64 s[2:3], s[0:1]
	s_cbranch_execnz .LBB723_463
.LBB723_422:
	s_endpgm
.LBB723_423:
	s_add_i32 s2, s16, s26
	v_cmp_gt_u32_e32 vcc, s2, v46
	s_or_b64 s[4:5], s[34:35], vcc
	s_and_saveexec_b64 s[0:1], s[4:5]
	s_cbranch_execz .LBB723_426
; %bb.424:
	v_cmp_eq_u32_e32 vcc, 1, v48
	s_and_b64 exec, exec, vcc
	s_cbranch_execz .LBB723_426
; %bb.425:
	s_lshl_b64 s[4:5], s[22:23], 3
	s_add_u32 s4, s6, s4
	s_addc_u32 s5, s7, s5
	v_mov_b32_e32 v47, 0
	v_lshl_add_u64 v[14:15], v[46:47], 3, s[4:5]
	global_store_dwordx2 v[14:15], v[10:11], off
.LBB723_426:
	s_or_b64 exec, exec, s[0:1]
	v_cmp_gt_u32_e32 vcc, s2, v44
	s_or_b64 s[4:5], s[34:35], vcc
	s_and_saveexec_b64 s[0:1], s[4:5]
	s_cbranch_execz .LBB723_429
; %bb.427:
	v_and_b32_e32 v14, 1, v33
	v_cmp_eq_u32_e32 vcc, 1, v14
	s_and_b64 exec, exec, vcc
	s_cbranch_execz .LBB723_429
; %bb.428:
	s_lshl_b64 s[4:5], s[22:23], 3
	s_add_u32 s4, s6, s4
	s_addc_u32 s5, s7, s5
	v_mov_b32_e32 v45, 0
	v_lshl_add_u64 v[14:15], v[44:45], 3, s[4:5]
	global_store_dwordx2 v[14:15], v[12:13], off
.LBB723_429:
	s_or_b64 exec, exec, s[0:1]
	v_cmp_gt_u32_e32 vcc, s2, v42
	s_or_b64 s[4:5], s[34:35], vcc
	s_and_saveexec_b64 s[0:1], s[4:5]
	s_cbranch_execz .LBB723_432
; %bb.430:
	v_mov_b32_e32 v14, 1
	v_and_b32_sdwa v14, v14, v30 dst_sel:DWORD dst_unused:UNUSED_PAD src0_sel:DWORD src1_sel:WORD_1
	v_cmp_eq_u32_e32 vcc, 1, v14
	s_and_b64 exec, exec, vcc
	s_cbranch_execz .LBB723_432
; %bb.431:
	s_lshl_b64 s[4:5], s[22:23], 3
	s_add_u32 s4, s6, s4
	s_addc_u32 s5, s7, s5
	v_mov_b32_e32 v43, 0
	v_lshl_add_u64 v[14:15], v[42:43], 3, s[4:5]
	global_store_dwordx2 v[14:15], v[6:7], off
.LBB723_432:
	s_or_b64 exec, exec, s[0:1]
	v_cmp_gt_u32_e32 vcc, s2, v40
	s_or_b64 s[4:5], s[34:35], vcc
	s_and_saveexec_b64 s[0:1], s[4:5]
	s_cbranch_execz .LBB723_435
; %bb.433:
	v_and_b32_e32 v14, 1, v32
	v_cmp_eq_u32_e32 vcc, 1, v14
	s_and_b64 exec, exec, vcc
	s_cbranch_execz .LBB723_435
; %bb.434:
	s_lshl_b64 s[4:5], s[22:23], 3
	s_add_u32 s4, s6, s4
	s_addc_u32 s5, s7, s5
	v_mov_b32_e32 v41, 0
	v_lshl_add_u64 v[14:15], v[40:41], 3, s[4:5]
	global_store_dwordx2 v[14:15], v[8:9], off
.LBB723_435:
	s_or_b64 exec, exec, s[0:1]
	v_cmp_gt_u32_e32 vcc, s2, v38
	s_or_b64 s[4:5], s[34:35], vcc
	s_and_saveexec_b64 s[0:1], s[4:5]
	s_cbranch_execz .LBB723_438
; %bb.436:
	v_and_b32_e32 v14, 1, v31
	v_cmp_eq_u32_e32 vcc, 1, v14
	s_and_b64 exec, exec, vcc
	s_cbranch_execz .LBB723_438
; %bb.437:
	s_lshl_b64 s[4:5], s[22:23], 3
	s_add_u32 s4, s6, s4
	s_addc_u32 s5, s7, s5
	v_mov_b32_e32 v39, 0
	v_lshl_add_u64 v[14:15], v[38:39], 3, s[4:5]
	global_store_dwordx2 v[14:15], v[2:3], off
.LBB723_438:
	;; [unrolled: 18-line block ×3, first 2 shown]
	s_or_b64 exec, exec, s[0:1]
	v_cmp_gt_u32_e32 vcc, s2, v34
	s_or_b64 s[2:3], s[34:35], vcc
	s_and_saveexec_b64 s[0:1], s[2:3]
	s_cbranch_execz .LBB723_444
; %bb.442:
	v_mov_b32_e32 v14, 1
	v_and_b32_sdwa v14, v14, v31 dst_sel:DWORD dst_unused:UNUSED_PAD src0_sel:DWORD src1_sel:WORD_1
	v_cmp_eq_u32_e32 vcc, 1, v14
	s_and_b64 exec, exec, vcc
	s_cbranch_execz .LBB723_444
; %bb.443:
	s_lshl_b64 s[2:3], s[22:23], 3
	s_add_u32 s2, s6, s2
	s_addc_u32 s3, s7, s3
	v_mov_b32_e32 v35, 0
	v_lshl_add_u64 v[14:15], v[34:35], 3, s[2:3]
	global_store_dwordx2 v[14:15], v[26:27], off
.LBB723_444:
	s_or_b64 exec, exec, s[0:1]
	s_branch .LBB723_421
.LBB723_445:
	v_cmp_eq_u32_e32 vcc, 1, v48
	s_and_saveexec_b64 s[0:1], vcc
	s_cbranch_execz .LBB723_447
; %bb.446:
	v_subrev_u32_e32 v14, s16, v46
	v_lshlrev_b32_e32 v14, 3, v14
	ds_write_b64 v14, v[10:11]
.LBB723_447:
	s_or_b64 exec, exec, s[0:1]
	v_and_b32_e32 v10, 1, v33
	v_cmp_eq_u32_e32 vcc, 1, v10
	s_and_saveexec_b64 s[0:1], vcc
	s_cbranch_execz .LBB723_449
; %bb.448:
	v_subrev_u32_e32 v10, s16, v44
	v_lshlrev_b32_e32 v10, 3, v10
	ds_write_b64 v10, v[12:13]
.LBB723_449:
	s_or_b64 exec, exec, s[0:1]
	v_mov_b32_e32 v10, 1
	v_and_b32_sdwa v10, v10, v30 dst_sel:DWORD dst_unused:UNUSED_PAD src0_sel:DWORD src1_sel:WORD_1
	v_cmp_eq_u32_e32 vcc, 1, v10
	s_and_saveexec_b64 s[0:1], vcc
	s_cbranch_execz .LBB723_451
; %bb.450:
	v_subrev_u32_e32 v10, s16, v42
	v_lshlrev_b32_e32 v10, 3, v10
	ds_write_b64 v10, v[6:7]
.LBB723_451:
	s_or_b64 exec, exec, s[0:1]
	v_and_b32_e32 v6, 1, v32
	v_cmp_eq_u32_e32 vcc, 1, v6
	s_and_saveexec_b64 s[0:1], vcc
	s_cbranch_execz .LBB723_453
; %bb.452:
	v_subrev_u32_e32 v6, s16, v40
	v_lshlrev_b32_e32 v6, 3, v6
	ds_write_b64 v6, v[8:9]
.LBB723_453:
	s_or_b64 exec, exec, s[0:1]
	v_and_b32_e32 v6, 1, v31
	;; [unrolled: 10-line block ×3, first 2 shown]
	v_cmp_eq_u32_e32 vcc, 1, v1
	s_and_saveexec_b64 s[0:1], vcc
	s_cbranch_execz .LBB723_457
; %bb.456:
	v_subrev_u32_e32 v1, s16, v36
	v_lshlrev_b32_e32 v1, 3, v1
	ds_write_b64 v1, v[4:5]
.LBB723_457:
	s_or_b64 exec, exec, s[0:1]
	v_mov_b32_e32 v1, 1
	v_and_b32_sdwa v1, v1, v31 dst_sel:DWORD dst_unused:UNUSED_PAD src0_sel:DWORD src1_sel:WORD_1
	v_cmp_eq_u32_e32 vcc, 1, v1
	s_and_saveexec_b64 s[0:1], vcc
	s_cbranch_execz .LBB723_459
; %bb.458:
	v_subrev_u32_e32 v1, s16, v34
	v_lshlrev_b32_e32 v1, 3, v1
	ds_write_b64 v1, v[26:27]
.LBB723_459:
	s_or_b64 exec, exec, s[0:1]
	v_cmp_gt_u32_e32 vcc, s26, v0
	s_waitcnt lgkmcnt(0)
	s_barrier
	s_and_saveexec_b64 s[0:1], vcc
	s_cbranch_execz .LBB723_462
; %bb.460:
	s_mov_b32 s17, 0
	s_lshl_b64 s[2:3], s[22:23], 3
	s_lshl_b64 s[4:5], s[16:17], 3
	s_add_u32 s2, s2, s4
	s_addc_u32 s3, s3, s5
	s_add_u32 s2, s6, s2
	v_lshlrev_b32_e32 v2, 3, v0
	v_mov_b32_e32 v3, 0
	s_addc_u32 s3, s7, s3
	v_lshl_add_u64 v[4:5], s[2:3], 0, v[2:3]
	s_mov_b64 s[2:3], 0
	s_mov_b64 s[4:5], 0x1000
	v_mov_b32_e32 v1, v0
.LBB723_461:                            ; =>This Inner Loop Header: Depth=1
	ds_read_b64 v[6:7], v2
	v_add_u32_e32 v1, 0x200, v1
	v_cmp_le_u32_e32 vcc, s26, v1
	v_add_u32_e32 v2, 0x1000, v2
	s_or_b64 s[2:3], vcc, s[2:3]
	s_waitcnt lgkmcnt(0)
	global_store_dwordx2 v[4:5], v[6:7], off
	v_lshl_add_u64 v[4:5], v[4:5], 0, s[4:5]
	s_andn2_b64 exec, exec, s[2:3]
	s_cbranch_execnz .LBB723_461
.LBB723_462:
	s_or_b64 exec, exec, s[0:1]
	v_cmp_eq_u32_e32 vcc, 0, v0
	s_and_b64 s[0:1], vcc, s[24:25]
	s_and_saveexec_b64 s[2:3], s[0:1]
	s_cbranch_execz .LBB723_422
.LBB723_463:
	s_add_u32 s0, s22, s26
	s_addc_u32 s1, s23, 0
	s_add_u32 s0, s0, s16
	s_addc_u32 s1, s1, 0
	v_mov_b32_e32 v2, 0
	v_mov_b64_e32 v[0:1], s[0:1]
	global_store_dwordx2 v2, v[0:1], s[20:21]
	s_endpgm
	.section	.rodata,"a",@progbits
	.p2align	6, 0x0
	.amdhsa_kernel _ZN7rocprim17ROCPRIM_400000_NS6detail17trampoline_kernelINS0_14default_configENS1_25partition_config_selectorILNS1_17partition_subalgoE9EllbEEZZNS1_14partition_implILS5_9ELb0ES3_jPlS8_PNS0_10empty_typeENS0_5tupleIJS8_S9_EEENSB_IJS8_SA_EEENS0_18inequality_wrapperIZN2at6native12_GLOBAL__N_124unique_dim_cuda_templateIsEESt5tupleIJNSF_6TensorESK_SK_EERKSK_lbbbEUlllE0_EEPmJS9_EEE10hipError_tPvRmT3_T4_T5_T6_T7_T9_mT8_P12ihipStream_tbDpT10_ENKUlT_T0_E_clISt17integral_constantIbLb0EES1A_EEDaS15_S16_EUlS15_E_NS1_11comp_targetILNS1_3genE5ELNS1_11target_archE942ELNS1_3gpuE9ELNS1_3repE0EEENS1_30default_config_static_selectorELNS0_4arch9wavefront6targetE1EEEvT1_
		.amdhsa_group_segment_fixed_size 28684
		.amdhsa_private_segment_fixed_size 0
		.amdhsa_kernarg_size 120
		.amdhsa_user_sgpr_count 2
		.amdhsa_user_sgpr_dispatch_ptr 0
		.amdhsa_user_sgpr_queue_ptr 0
		.amdhsa_user_sgpr_kernarg_segment_ptr 1
		.amdhsa_user_sgpr_dispatch_id 0
		.amdhsa_user_sgpr_kernarg_preload_length 0
		.amdhsa_user_sgpr_kernarg_preload_offset 0
		.amdhsa_user_sgpr_private_segment_size 0
		.amdhsa_uses_dynamic_stack 0
		.amdhsa_enable_private_segment 0
		.amdhsa_system_sgpr_workgroup_id_x 1
		.amdhsa_system_sgpr_workgroup_id_y 0
		.amdhsa_system_sgpr_workgroup_id_z 0
		.amdhsa_system_sgpr_workgroup_info 0
		.amdhsa_system_vgpr_workitem_id 0
		.amdhsa_next_free_vgpr 66
		.amdhsa_next_free_sgpr 52
		.amdhsa_accum_offset 68
		.amdhsa_reserve_vcc 1
		.amdhsa_float_round_mode_32 0
		.amdhsa_float_round_mode_16_64 0
		.amdhsa_float_denorm_mode_32 3
		.amdhsa_float_denorm_mode_16_64 3
		.amdhsa_dx10_clamp 1
		.amdhsa_ieee_mode 1
		.amdhsa_fp16_overflow 0
		.amdhsa_tg_split 0
		.amdhsa_exception_fp_ieee_invalid_op 0
		.amdhsa_exception_fp_denorm_src 0
		.amdhsa_exception_fp_ieee_div_zero 0
		.amdhsa_exception_fp_ieee_overflow 0
		.amdhsa_exception_fp_ieee_underflow 0
		.amdhsa_exception_fp_ieee_inexact 0
		.amdhsa_exception_int_div_zero 0
	.end_amdhsa_kernel
	.section	.text._ZN7rocprim17ROCPRIM_400000_NS6detail17trampoline_kernelINS0_14default_configENS1_25partition_config_selectorILNS1_17partition_subalgoE9EllbEEZZNS1_14partition_implILS5_9ELb0ES3_jPlS8_PNS0_10empty_typeENS0_5tupleIJS8_S9_EEENSB_IJS8_SA_EEENS0_18inequality_wrapperIZN2at6native12_GLOBAL__N_124unique_dim_cuda_templateIsEESt5tupleIJNSF_6TensorESK_SK_EERKSK_lbbbEUlllE0_EEPmJS9_EEE10hipError_tPvRmT3_T4_T5_T6_T7_T9_mT8_P12ihipStream_tbDpT10_ENKUlT_T0_E_clISt17integral_constantIbLb0EES1A_EEDaS15_S16_EUlS15_E_NS1_11comp_targetILNS1_3genE5ELNS1_11target_archE942ELNS1_3gpuE9ELNS1_3repE0EEENS1_30default_config_static_selectorELNS0_4arch9wavefront6targetE1EEEvT1_,"axG",@progbits,_ZN7rocprim17ROCPRIM_400000_NS6detail17trampoline_kernelINS0_14default_configENS1_25partition_config_selectorILNS1_17partition_subalgoE9EllbEEZZNS1_14partition_implILS5_9ELb0ES3_jPlS8_PNS0_10empty_typeENS0_5tupleIJS8_S9_EEENSB_IJS8_SA_EEENS0_18inequality_wrapperIZN2at6native12_GLOBAL__N_124unique_dim_cuda_templateIsEESt5tupleIJNSF_6TensorESK_SK_EERKSK_lbbbEUlllE0_EEPmJS9_EEE10hipError_tPvRmT3_T4_T5_T6_T7_T9_mT8_P12ihipStream_tbDpT10_ENKUlT_T0_E_clISt17integral_constantIbLb0EES1A_EEDaS15_S16_EUlS15_E_NS1_11comp_targetILNS1_3genE5ELNS1_11target_archE942ELNS1_3gpuE9ELNS1_3repE0EEENS1_30default_config_static_selectorELNS0_4arch9wavefront6targetE1EEEvT1_,comdat
.Lfunc_end723:
	.size	_ZN7rocprim17ROCPRIM_400000_NS6detail17trampoline_kernelINS0_14default_configENS1_25partition_config_selectorILNS1_17partition_subalgoE9EllbEEZZNS1_14partition_implILS5_9ELb0ES3_jPlS8_PNS0_10empty_typeENS0_5tupleIJS8_S9_EEENSB_IJS8_SA_EEENS0_18inequality_wrapperIZN2at6native12_GLOBAL__N_124unique_dim_cuda_templateIsEESt5tupleIJNSF_6TensorESK_SK_EERKSK_lbbbEUlllE0_EEPmJS9_EEE10hipError_tPvRmT3_T4_T5_T6_T7_T9_mT8_P12ihipStream_tbDpT10_ENKUlT_T0_E_clISt17integral_constantIbLb0EES1A_EEDaS15_S16_EUlS15_E_NS1_11comp_targetILNS1_3genE5ELNS1_11target_archE942ELNS1_3gpuE9ELNS1_3repE0EEENS1_30default_config_static_selectorELNS0_4arch9wavefront6targetE1EEEvT1_, .Lfunc_end723-_ZN7rocprim17ROCPRIM_400000_NS6detail17trampoline_kernelINS0_14default_configENS1_25partition_config_selectorILNS1_17partition_subalgoE9EllbEEZZNS1_14partition_implILS5_9ELb0ES3_jPlS8_PNS0_10empty_typeENS0_5tupleIJS8_S9_EEENSB_IJS8_SA_EEENS0_18inequality_wrapperIZN2at6native12_GLOBAL__N_124unique_dim_cuda_templateIsEESt5tupleIJNSF_6TensorESK_SK_EERKSK_lbbbEUlllE0_EEPmJS9_EEE10hipError_tPvRmT3_T4_T5_T6_T7_T9_mT8_P12ihipStream_tbDpT10_ENKUlT_T0_E_clISt17integral_constantIbLb0EES1A_EEDaS15_S16_EUlS15_E_NS1_11comp_targetILNS1_3genE5ELNS1_11target_archE942ELNS1_3gpuE9ELNS1_3repE0EEENS1_30default_config_static_selectorELNS0_4arch9wavefront6targetE1EEEvT1_
                                        ; -- End function
	.section	.AMDGPU.csdata,"",@progbits
; Kernel info:
; codeLenInByte = 14392
; NumSgprs: 58
; NumVgprs: 66
; NumAgprs: 0
; TotalNumVgprs: 66
; ScratchSize: 0
; MemoryBound: 0
; FloatMode: 240
; IeeeMode: 1
; LDSByteSize: 28684 bytes/workgroup (compile time only)
; SGPRBlocks: 7
; VGPRBlocks: 8
; NumSGPRsForWavesPerEU: 58
; NumVGPRsForWavesPerEU: 66
; AccumOffset: 68
; Occupancy: 4
; WaveLimiterHint : 1
; COMPUTE_PGM_RSRC2:SCRATCH_EN: 0
; COMPUTE_PGM_RSRC2:USER_SGPR: 2
; COMPUTE_PGM_RSRC2:TRAP_HANDLER: 0
; COMPUTE_PGM_RSRC2:TGID_X_EN: 1
; COMPUTE_PGM_RSRC2:TGID_Y_EN: 0
; COMPUTE_PGM_RSRC2:TGID_Z_EN: 0
; COMPUTE_PGM_RSRC2:TIDIG_COMP_CNT: 0
; COMPUTE_PGM_RSRC3_GFX90A:ACCUM_OFFSET: 16
; COMPUTE_PGM_RSRC3_GFX90A:TG_SPLIT: 0
	.section	.text._ZN7rocprim17ROCPRIM_400000_NS6detail17trampoline_kernelINS0_14default_configENS1_25partition_config_selectorILNS1_17partition_subalgoE9EllbEEZZNS1_14partition_implILS5_9ELb0ES3_jPlS8_PNS0_10empty_typeENS0_5tupleIJS8_S9_EEENSB_IJS8_SA_EEENS0_18inequality_wrapperIZN2at6native12_GLOBAL__N_124unique_dim_cuda_templateIsEESt5tupleIJNSF_6TensorESK_SK_EERKSK_lbbbEUlllE0_EEPmJS9_EEE10hipError_tPvRmT3_T4_T5_T6_T7_T9_mT8_P12ihipStream_tbDpT10_ENKUlT_T0_E_clISt17integral_constantIbLb0EES1A_EEDaS15_S16_EUlS15_E_NS1_11comp_targetILNS1_3genE4ELNS1_11target_archE910ELNS1_3gpuE8ELNS1_3repE0EEENS1_30default_config_static_selectorELNS0_4arch9wavefront6targetE1EEEvT1_,"axG",@progbits,_ZN7rocprim17ROCPRIM_400000_NS6detail17trampoline_kernelINS0_14default_configENS1_25partition_config_selectorILNS1_17partition_subalgoE9EllbEEZZNS1_14partition_implILS5_9ELb0ES3_jPlS8_PNS0_10empty_typeENS0_5tupleIJS8_S9_EEENSB_IJS8_SA_EEENS0_18inequality_wrapperIZN2at6native12_GLOBAL__N_124unique_dim_cuda_templateIsEESt5tupleIJNSF_6TensorESK_SK_EERKSK_lbbbEUlllE0_EEPmJS9_EEE10hipError_tPvRmT3_T4_T5_T6_T7_T9_mT8_P12ihipStream_tbDpT10_ENKUlT_T0_E_clISt17integral_constantIbLb0EES1A_EEDaS15_S16_EUlS15_E_NS1_11comp_targetILNS1_3genE4ELNS1_11target_archE910ELNS1_3gpuE8ELNS1_3repE0EEENS1_30default_config_static_selectorELNS0_4arch9wavefront6targetE1EEEvT1_,comdat
	.globl	_ZN7rocprim17ROCPRIM_400000_NS6detail17trampoline_kernelINS0_14default_configENS1_25partition_config_selectorILNS1_17partition_subalgoE9EllbEEZZNS1_14partition_implILS5_9ELb0ES3_jPlS8_PNS0_10empty_typeENS0_5tupleIJS8_S9_EEENSB_IJS8_SA_EEENS0_18inequality_wrapperIZN2at6native12_GLOBAL__N_124unique_dim_cuda_templateIsEESt5tupleIJNSF_6TensorESK_SK_EERKSK_lbbbEUlllE0_EEPmJS9_EEE10hipError_tPvRmT3_T4_T5_T6_T7_T9_mT8_P12ihipStream_tbDpT10_ENKUlT_T0_E_clISt17integral_constantIbLb0EES1A_EEDaS15_S16_EUlS15_E_NS1_11comp_targetILNS1_3genE4ELNS1_11target_archE910ELNS1_3gpuE8ELNS1_3repE0EEENS1_30default_config_static_selectorELNS0_4arch9wavefront6targetE1EEEvT1_ ; -- Begin function _ZN7rocprim17ROCPRIM_400000_NS6detail17trampoline_kernelINS0_14default_configENS1_25partition_config_selectorILNS1_17partition_subalgoE9EllbEEZZNS1_14partition_implILS5_9ELb0ES3_jPlS8_PNS0_10empty_typeENS0_5tupleIJS8_S9_EEENSB_IJS8_SA_EEENS0_18inequality_wrapperIZN2at6native12_GLOBAL__N_124unique_dim_cuda_templateIsEESt5tupleIJNSF_6TensorESK_SK_EERKSK_lbbbEUlllE0_EEPmJS9_EEE10hipError_tPvRmT3_T4_T5_T6_T7_T9_mT8_P12ihipStream_tbDpT10_ENKUlT_T0_E_clISt17integral_constantIbLb0EES1A_EEDaS15_S16_EUlS15_E_NS1_11comp_targetILNS1_3genE4ELNS1_11target_archE910ELNS1_3gpuE8ELNS1_3repE0EEENS1_30default_config_static_selectorELNS0_4arch9wavefront6targetE1EEEvT1_
	.p2align	8
	.type	_ZN7rocprim17ROCPRIM_400000_NS6detail17trampoline_kernelINS0_14default_configENS1_25partition_config_selectorILNS1_17partition_subalgoE9EllbEEZZNS1_14partition_implILS5_9ELb0ES3_jPlS8_PNS0_10empty_typeENS0_5tupleIJS8_S9_EEENSB_IJS8_SA_EEENS0_18inequality_wrapperIZN2at6native12_GLOBAL__N_124unique_dim_cuda_templateIsEESt5tupleIJNSF_6TensorESK_SK_EERKSK_lbbbEUlllE0_EEPmJS9_EEE10hipError_tPvRmT3_T4_T5_T6_T7_T9_mT8_P12ihipStream_tbDpT10_ENKUlT_T0_E_clISt17integral_constantIbLb0EES1A_EEDaS15_S16_EUlS15_E_NS1_11comp_targetILNS1_3genE4ELNS1_11target_archE910ELNS1_3gpuE8ELNS1_3repE0EEENS1_30default_config_static_selectorELNS0_4arch9wavefront6targetE1EEEvT1_,@function
_ZN7rocprim17ROCPRIM_400000_NS6detail17trampoline_kernelINS0_14default_configENS1_25partition_config_selectorILNS1_17partition_subalgoE9EllbEEZZNS1_14partition_implILS5_9ELb0ES3_jPlS8_PNS0_10empty_typeENS0_5tupleIJS8_S9_EEENSB_IJS8_SA_EEENS0_18inequality_wrapperIZN2at6native12_GLOBAL__N_124unique_dim_cuda_templateIsEESt5tupleIJNSF_6TensorESK_SK_EERKSK_lbbbEUlllE0_EEPmJS9_EEE10hipError_tPvRmT3_T4_T5_T6_T7_T9_mT8_P12ihipStream_tbDpT10_ENKUlT_T0_E_clISt17integral_constantIbLb0EES1A_EEDaS15_S16_EUlS15_E_NS1_11comp_targetILNS1_3genE4ELNS1_11target_archE910ELNS1_3gpuE8ELNS1_3repE0EEENS1_30default_config_static_selectorELNS0_4arch9wavefront6targetE1EEEvT1_: ; @_ZN7rocprim17ROCPRIM_400000_NS6detail17trampoline_kernelINS0_14default_configENS1_25partition_config_selectorILNS1_17partition_subalgoE9EllbEEZZNS1_14partition_implILS5_9ELb0ES3_jPlS8_PNS0_10empty_typeENS0_5tupleIJS8_S9_EEENSB_IJS8_SA_EEENS0_18inequality_wrapperIZN2at6native12_GLOBAL__N_124unique_dim_cuda_templateIsEESt5tupleIJNSF_6TensorESK_SK_EERKSK_lbbbEUlllE0_EEPmJS9_EEE10hipError_tPvRmT3_T4_T5_T6_T7_T9_mT8_P12ihipStream_tbDpT10_ENKUlT_T0_E_clISt17integral_constantIbLb0EES1A_EEDaS15_S16_EUlS15_E_NS1_11comp_targetILNS1_3genE4ELNS1_11target_archE910ELNS1_3gpuE8ELNS1_3repE0EEENS1_30default_config_static_selectorELNS0_4arch9wavefront6targetE1EEEvT1_
; %bb.0:
	.section	.rodata,"a",@progbits
	.p2align	6, 0x0
	.amdhsa_kernel _ZN7rocprim17ROCPRIM_400000_NS6detail17trampoline_kernelINS0_14default_configENS1_25partition_config_selectorILNS1_17partition_subalgoE9EllbEEZZNS1_14partition_implILS5_9ELb0ES3_jPlS8_PNS0_10empty_typeENS0_5tupleIJS8_S9_EEENSB_IJS8_SA_EEENS0_18inequality_wrapperIZN2at6native12_GLOBAL__N_124unique_dim_cuda_templateIsEESt5tupleIJNSF_6TensorESK_SK_EERKSK_lbbbEUlllE0_EEPmJS9_EEE10hipError_tPvRmT3_T4_T5_T6_T7_T9_mT8_P12ihipStream_tbDpT10_ENKUlT_T0_E_clISt17integral_constantIbLb0EES1A_EEDaS15_S16_EUlS15_E_NS1_11comp_targetILNS1_3genE4ELNS1_11target_archE910ELNS1_3gpuE8ELNS1_3repE0EEENS1_30default_config_static_selectorELNS0_4arch9wavefront6targetE1EEEvT1_
		.amdhsa_group_segment_fixed_size 0
		.amdhsa_private_segment_fixed_size 0
		.amdhsa_kernarg_size 120
		.amdhsa_user_sgpr_count 2
		.amdhsa_user_sgpr_dispatch_ptr 0
		.amdhsa_user_sgpr_queue_ptr 0
		.amdhsa_user_sgpr_kernarg_segment_ptr 1
		.amdhsa_user_sgpr_dispatch_id 0
		.amdhsa_user_sgpr_kernarg_preload_length 0
		.amdhsa_user_sgpr_kernarg_preload_offset 0
		.amdhsa_user_sgpr_private_segment_size 0
		.amdhsa_uses_dynamic_stack 0
		.amdhsa_enable_private_segment 0
		.amdhsa_system_sgpr_workgroup_id_x 1
		.amdhsa_system_sgpr_workgroup_id_y 0
		.amdhsa_system_sgpr_workgroup_id_z 0
		.amdhsa_system_sgpr_workgroup_info 0
		.amdhsa_system_vgpr_workitem_id 0
		.amdhsa_next_free_vgpr 1
		.amdhsa_next_free_sgpr 0
		.amdhsa_accum_offset 4
		.amdhsa_reserve_vcc 0
		.amdhsa_float_round_mode_32 0
		.amdhsa_float_round_mode_16_64 0
		.amdhsa_float_denorm_mode_32 3
		.amdhsa_float_denorm_mode_16_64 3
		.amdhsa_dx10_clamp 1
		.amdhsa_ieee_mode 1
		.amdhsa_fp16_overflow 0
		.amdhsa_tg_split 0
		.amdhsa_exception_fp_ieee_invalid_op 0
		.amdhsa_exception_fp_denorm_src 0
		.amdhsa_exception_fp_ieee_div_zero 0
		.amdhsa_exception_fp_ieee_overflow 0
		.amdhsa_exception_fp_ieee_underflow 0
		.amdhsa_exception_fp_ieee_inexact 0
		.amdhsa_exception_int_div_zero 0
	.end_amdhsa_kernel
	.section	.text._ZN7rocprim17ROCPRIM_400000_NS6detail17trampoline_kernelINS0_14default_configENS1_25partition_config_selectorILNS1_17partition_subalgoE9EllbEEZZNS1_14partition_implILS5_9ELb0ES3_jPlS8_PNS0_10empty_typeENS0_5tupleIJS8_S9_EEENSB_IJS8_SA_EEENS0_18inequality_wrapperIZN2at6native12_GLOBAL__N_124unique_dim_cuda_templateIsEESt5tupleIJNSF_6TensorESK_SK_EERKSK_lbbbEUlllE0_EEPmJS9_EEE10hipError_tPvRmT3_T4_T5_T6_T7_T9_mT8_P12ihipStream_tbDpT10_ENKUlT_T0_E_clISt17integral_constantIbLb0EES1A_EEDaS15_S16_EUlS15_E_NS1_11comp_targetILNS1_3genE4ELNS1_11target_archE910ELNS1_3gpuE8ELNS1_3repE0EEENS1_30default_config_static_selectorELNS0_4arch9wavefront6targetE1EEEvT1_,"axG",@progbits,_ZN7rocprim17ROCPRIM_400000_NS6detail17trampoline_kernelINS0_14default_configENS1_25partition_config_selectorILNS1_17partition_subalgoE9EllbEEZZNS1_14partition_implILS5_9ELb0ES3_jPlS8_PNS0_10empty_typeENS0_5tupleIJS8_S9_EEENSB_IJS8_SA_EEENS0_18inequality_wrapperIZN2at6native12_GLOBAL__N_124unique_dim_cuda_templateIsEESt5tupleIJNSF_6TensorESK_SK_EERKSK_lbbbEUlllE0_EEPmJS9_EEE10hipError_tPvRmT3_T4_T5_T6_T7_T9_mT8_P12ihipStream_tbDpT10_ENKUlT_T0_E_clISt17integral_constantIbLb0EES1A_EEDaS15_S16_EUlS15_E_NS1_11comp_targetILNS1_3genE4ELNS1_11target_archE910ELNS1_3gpuE8ELNS1_3repE0EEENS1_30default_config_static_selectorELNS0_4arch9wavefront6targetE1EEEvT1_,comdat
.Lfunc_end724:
	.size	_ZN7rocprim17ROCPRIM_400000_NS6detail17trampoline_kernelINS0_14default_configENS1_25partition_config_selectorILNS1_17partition_subalgoE9EllbEEZZNS1_14partition_implILS5_9ELb0ES3_jPlS8_PNS0_10empty_typeENS0_5tupleIJS8_S9_EEENSB_IJS8_SA_EEENS0_18inequality_wrapperIZN2at6native12_GLOBAL__N_124unique_dim_cuda_templateIsEESt5tupleIJNSF_6TensorESK_SK_EERKSK_lbbbEUlllE0_EEPmJS9_EEE10hipError_tPvRmT3_T4_T5_T6_T7_T9_mT8_P12ihipStream_tbDpT10_ENKUlT_T0_E_clISt17integral_constantIbLb0EES1A_EEDaS15_S16_EUlS15_E_NS1_11comp_targetILNS1_3genE4ELNS1_11target_archE910ELNS1_3gpuE8ELNS1_3repE0EEENS1_30default_config_static_selectorELNS0_4arch9wavefront6targetE1EEEvT1_, .Lfunc_end724-_ZN7rocprim17ROCPRIM_400000_NS6detail17trampoline_kernelINS0_14default_configENS1_25partition_config_selectorILNS1_17partition_subalgoE9EllbEEZZNS1_14partition_implILS5_9ELb0ES3_jPlS8_PNS0_10empty_typeENS0_5tupleIJS8_S9_EEENSB_IJS8_SA_EEENS0_18inequality_wrapperIZN2at6native12_GLOBAL__N_124unique_dim_cuda_templateIsEESt5tupleIJNSF_6TensorESK_SK_EERKSK_lbbbEUlllE0_EEPmJS9_EEE10hipError_tPvRmT3_T4_T5_T6_T7_T9_mT8_P12ihipStream_tbDpT10_ENKUlT_T0_E_clISt17integral_constantIbLb0EES1A_EEDaS15_S16_EUlS15_E_NS1_11comp_targetILNS1_3genE4ELNS1_11target_archE910ELNS1_3gpuE8ELNS1_3repE0EEENS1_30default_config_static_selectorELNS0_4arch9wavefront6targetE1EEEvT1_
                                        ; -- End function
	.section	.AMDGPU.csdata,"",@progbits
; Kernel info:
; codeLenInByte = 0
; NumSgprs: 6
; NumVgprs: 0
; NumAgprs: 0
; TotalNumVgprs: 0
; ScratchSize: 0
; MemoryBound: 0
; FloatMode: 240
; IeeeMode: 1
; LDSByteSize: 0 bytes/workgroup (compile time only)
; SGPRBlocks: 0
; VGPRBlocks: 0
; NumSGPRsForWavesPerEU: 6
; NumVGPRsForWavesPerEU: 1
; AccumOffset: 4
; Occupancy: 8
; WaveLimiterHint : 0
; COMPUTE_PGM_RSRC2:SCRATCH_EN: 0
; COMPUTE_PGM_RSRC2:USER_SGPR: 2
; COMPUTE_PGM_RSRC2:TRAP_HANDLER: 0
; COMPUTE_PGM_RSRC2:TGID_X_EN: 1
; COMPUTE_PGM_RSRC2:TGID_Y_EN: 0
; COMPUTE_PGM_RSRC2:TGID_Z_EN: 0
; COMPUTE_PGM_RSRC2:TIDIG_COMP_CNT: 0
; COMPUTE_PGM_RSRC3_GFX90A:ACCUM_OFFSET: 0
; COMPUTE_PGM_RSRC3_GFX90A:TG_SPLIT: 0
	.section	.text._ZN7rocprim17ROCPRIM_400000_NS6detail17trampoline_kernelINS0_14default_configENS1_25partition_config_selectorILNS1_17partition_subalgoE9EllbEEZZNS1_14partition_implILS5_9ELb0ES3_jPlS8_PNS0_10empty_typeENS0_5tupleIJS8_S9_EEENSB_IJS8_SA_EEENS0_18inequality_wrapperIZN2at6native12_GLOBAL__N_124unique_dim_cuda_templateIsEESt5tupleIJNSF_6TensorESK_SK_EERKSK_lbbbEUlllE0_EEPmJS9_EEE10hipError_tPvRmT3_T4_T5_T6_T7_T9_mT8_P12ihipStream_tbDpT10_ENKUlT_T0_E_clISt17integral_constantIbLb0EES1A_EEDaS15_S16_EUlS15_E_NS1_11comp_targetILNS1_3genE3ELNS1_11target_archE908ELNS1_3gpuE7ELNS1_3repE0EEENS1_30default_config_static_selectorELNS0_4arch9wavefront6targetE1EEEvT1_,"axG",@progbits,_ZN7rocprim17ROCPRIM_400000_NS6detail17trampoline_kernelINS0_14default_configENS1_25partition_config_selectorILNS1_17partition_subalgoE9EllbEEZZNS1_14partition_implILS5_9ELb0ES3_jPlS8_PNS0_10empty_typeENS0_5tupleIJS8_S9_EEENSB_IJS8_SA_EEENS0_18inequality_wrapperIZN2at6native12_GLOBAL__N_124unique_dim_cuda_templateIsEESt5tupleIJNSF_6TensorESK_SK_EERKSK_lbbbEUlllE0_EEPmJS9_EEE10hipError_tPvRmT3_T4_T5_T6_T7_T9_mT8_P12ihipStream_tbDpT10_ENKUlT_T0_E_clISt17integral_constantIbLb0EES1A_EEDaS15_S16_EUlS15_E_NS1_11comp_targetILNS1_3genE3ELNS1_11target_archE908ELNS1_3gpuE7ELNS1_3repE0EEENS1_30default_config_static_selectorELNS0_4arch9wavefront6targetE1EEEvT1_,comdat
	.globl	_ZN7rocprim17ROCPRIM_400000_NS6detail17trampoline_kernelINS0_14default_configENS1_25partition_config_selectorILNS1_17partition_subalgoE9EllbEEZZNS1_14partition_implILS5_9ELb0ES3_jPlS8_PNS0_10empty_typeENS0_5tupleIJS8_S9_EEENSB_IJS8_SA_EEENS0_18inequality_wrapperIZN2at6native12_GLOBAL__N_124unique_dim_cuda_templateIsEESt5tupleIJNSF_6TensorESK_SK_EERKSK_lbbbEUlllE0_EEPmJS9_EEE10hipError_tPvRmT3_T4_T5_T6_T7_T9_mT8_P12ihipStream_tbDpT10_ENKUlT_T0_E_clISt17integral_constantIbLb0EES1A_EEDaS15_S16_EUlS15_E_NS1_11comp_targetILNS1_3genE3ELNS1_11target_archE908ELNS1_3gpuE7ELNS1_3repE0EEENS1_30default_config_static_selectorELNS0_4arch9wavefront6targetE1EEEvT1_ ; -- Begin function _ZN7rocprim17ROCPRIM_400000_NS6detail17trampoline_kernelINS0_14default_configENS1_25partition_config_selectorILNS1_17partition_subalgoE9EllbEEZZNS1_14partition_implILS5_9ELb0ES3_jPlS8_PNS0_10empty_typeENS0_5tupleIJS8_S9_EEENSB_IJS8_SA_EEENS0_18inequality_wrapperIZN2at6native12_GLOBAL__N_124unique_dim_cuda_templateIsEESt5tupleIJNSF_6TensorESK_SK_EERKSK_lbbbEUlllE0_EEPmJS9_EEE10hipError_tPvRmT3_T4_T5_T6_T7_T9_mT8_P12ihipStream_tbDpT10_ENKUlT_T0_E_clISt17integral_constantIbLb0EES1A_EEDaS15_S16_EUlS15_E_NS1_11comp_targetILNS1_3genE3ELNS1_11target_archE908ELNS1_3gpuE7ELNS1_3repE0EEENS1_30default_config_static_selectorELNS0_4arch9wavefront6targetE1EEEvT1_
	.p2align	8
	.type	_ZN7rocprim17ROCPRIM_400000_NS6detail17trampoline_kernelINS0_14default_configENS1_25partition_config_selectorILNS1_17partition_subalgoE9EllbEEZZNS1_14partition_implILS5_9ELb0ES3_jPlS8_PNS0_10empty_typeENS0_5tupleIJS8_S9_EEENSB_IJS8_SA_EEENS0_18inequality_wrapperIZN2at6native12_GLOBAL__N_124unique_dim_cuda_templateIsEESt5tupleIJNSF_6TensorESK_SK_EERKSK_lbbbEUlllE0_EEPmJS9_EEE10hipError_tPvRmT3_T4_T5_T6_T7_T9_mT8_P12ihipStream_tbDpT10_ENKUlT_T0_E_clISt17integral_constantIbLb0EES1A_EEDaS15_S16_EUlS15_E_NS1_11comp_targetILNS1_3genE3ELNS1_11target_archE908ELNS1_3gpuE7ELNS1_3repE0EEENS1_30default_config_static_selectorELNS0_4arch9wavefront6targetE1EEEvT1_,@function
_ZN7rocprim17ROCPRIM_400000_NS6detail17trampoline_kernelINS0_14default_configENS1_25partition_config_selectorILNS1_17partition_subalgoE9EllbEEZZNS1_14partition_implILS5_9ELb0ES3_jPlS8_PNS0_10empty_typeENS0_5tupleIJS8_S9_EEENSB_IJS8_SA_EEENS0_18inequality_wrapperIZN2at6native12_GLOBAL__N_124unique_dim_cuda_templateIsEESt5tupleIJNSF_6TensorESK_SK_EERKSK_lbbbEUlllE0_EEPmJS9_EEE10hipError_tPvRmT3_T4_T5_T6_T7_T9_mT8_P12ihipStream_tbDpT10_ENKUlT_T0_E_clISt17integral_constantIbLb0EES1A_EEDaS15_S16_EUlS15_E_NS1_11comp_targetILNS1_3genE3ELNS1_11target_archE908ELNS1_3gpuE7ELNS1_3repE0EEENS1_30default_config_static_selectorELNS0_4arch9wavefront6targetE1EEEvT1_: ; @_ZN7rocprim17ROCPRIM_400000_NS6detail17trampoline_kernelINS0_14default_configENS1_25partition_config_selectorILNS1_17partition_subalgoE9EllbEEZZNS1_14partition_implILS5_9ELb0ES3_jPlS8_PNS0_10empty_typeENS0_5tupleIJS8_S9_EEENSB_IJS8_SA_EEENS0_18inequality_wrapperIZN2at6native12_GLOBAL__N_124unique_dim_cuda_templateIsEESt5tupleIJNSF_6TensorESK_SK_EERKSK_lbbbEUlllE0_EEPmJS9_EEE10hipError_tPvRmT3_T4_T5_T6_T7_T9_mT8_P12ihipStream_tbDpT10_ENKUlT_T0_E_clISt17integral_constantIbLb0EES1A_EEDaS15_S16_EUlS15_E_NS1_11comp_targetILNS1_3genE3ELNS1_11target_archE908ELNS1_3gpuE7ELNS1_3repE0EEENS1_30default_config_static_selectorELNS0_4arch9wavefront6targetE1EEEvT1_
; %bb.0:
	.section	.rodata,"a",@progbits
	.p2align	6, 0x0
	.amdhsa_kernel _ZN7rocprim17ROCPRIM_400000_NS6detail17trampoline_kernelINS0_14default_configENS1_25partition_config_selectorILNS1_17partition_subalgoE9EllbEEZZNS1_14partition_implILS5_9ELb0ES3_jPlS8_PNS0_10empty_typeENS0_5tupleIJS8_S9_EEENSB_IJS8_SA_EEENS0_18inequality_wrapperIZN2at6native12_GLOBAL__N_124unique_dim_cuda_templateIsEESt5tupleIJNSF_6TensorESK_SK_EERKSK_lbbbEUlllE0_EEPmJS9_EEE10hipError_tPvRmT3_T4_T5_T6_T7_T9_mT8_P12ihipStream_tbDpT10_ENKUlT_T0_E_clISt17integral_constantIbLb0EES1A_EEDaS15_S16_EUlS15_E_NS1_11comp_targetILNS1_3genE3ELNS1_11target_archE908ELNS1_3gpuE7ELNS1_3repE0EEENS1_30default_config_static_selectorELNS0_4arch9wavefront6targetE1EEEvT1_
		.amdhsa_group_segment_fixed_size 0
		.amdhsa_private_segment_fixed_size 0
		.amdhsa_kernarg_size 120
		.amdhsa_user_sgpr_count 2
		.amdhsa_user_sgpr_dispatch_ptr 0
		.amdhsa_user_sgpr_queue_ptr 0
		.amdhsa_user_sgpr_kernarg_segment_ptr 1
		.amdhsa_user_sgpr_dispatch_id 0
		.amdhsa_user_sgpr_kernarg_preload_length 0
		.amdhsa_user_sgpr_kernarg_preload_offset 0
		.amdhsa_user_sgpr_private_segment_size 0
		.amdhsa_uses_dynamic_stack 0
		.amdhsa_enable_private_segment 0
		.amdhsa_system_sgpr_workgroup_id_x 1
		.amdhsa_system_sgpr_workgroup_id_y 0
		.amdhsa_system_sgpr_workgroup_id_z 0
		.amdhsa_system_sgpr_workgroup_info 0
		.amdhsa_system_vgpr_workitem_id 0
		.amdhsa_next_free_vgpr 1
		.amdhsa_next_free_sgpr 0
		.amdhsa_accum_offset 4
		.amdhsa_reserve_vcc 0
		.amdhsa_float_round_mode_32 0
		.amdhsa_float_round_mode_16_64 0
		.amdhsa_float_denorm_mode_32 3
		.amdhsa_float_denorm_mode_16_64 3
		.amdhsa_dx10_clamp 1
		.amdhsa_ieee_mode 1
		.amdhsa_fp16_overflow 0
		.amdhsa_tg_split 0
		.amdhsa_exception_fp_ieee_invalid_op 0
		.amdhsa_exception_fp_denorm_src 0
		.amdhsa_exception_fp_ieee_div_zero 0
		.amdhsa_exception_fp_ieee_overflow 0
		.amdhsa_exception_fp_ieee_underflow 0
		.amdhsa_exception_fp_ieee_inexact 0
		.amdhsa_exception_int_div_zero 0
	.end_amdhsa_kernel
	.section	.text._ZN7rocprim17ROCPRIM_400000_NS6detail17trampoline_kernelINS0_14default_configENS1_25partition_config_selectorILNS1_17partition_subalgoE9EllbEEZZNS1_14partition_implILS5_9ELb0ES3_jPlS8_PNS0_10empty_typeENS0_5tupleIJS8_S9_EEENSB_IJS8_SA_EEENS0_18inequality_wrapperIZN2at6native12_GLOBAL__N_124unique_dim_cuda_templateIsEESt5tupleIJNSF_6TensorESK_SK_EERKSK_lbbbEUlllE0_EEPmJS9_EEE10hipError_tPvRmT3_T4_T5_T6_T7_T9_mT8_P12ihipStream_tbDpT10_ENKUlT_T0_E_clISt17integral_constantIbLb0EES1A_EEDaS15_S16_EUlS15_E_NS1_11comp_targetILNS1_3genE3ELNS1_11target_archE908ELNS1_3gpuE7ELNS1_3repE0EEENS1_30default_config_static_selectorELNS0_4arch9wavefront6targetE1EEEvT1_,"axG",@progbits,_ZN7rocprim17ROCPRIM_400000_NS6detail17trampoline_kernelINS0_14default_configENS1_25partition_config_selectorILNS1_17partition_subalgoE9EllbEEZZNS1_14partition_implILS5_9ELb0ES3_jPlS8_PNS0_10empty_typeENS0_5tupleIJS8_S9_EEENSB_IJS8_SA_EEENS0_18inequality_wrapperIZN2at6native12_GLOBAL__N_124unique_dim_cuda_templateIsEESt5tupleIJNSF_6TensorESK_SK_EERKSK_lbbbEUlllE0_EEPmJS9_EEE10hipError_tPvRmT3_T4_T5_T6_T7_T9_mT8_P12ihipStream_tbDpT10_ENKUlT_T0_E_clISt17integral_constantIbLb0EES1A_EEDaS15_S16_EUlS15_E_NS1_11comp_targetILNS1_3genE3ELNS1_11target_archE908ELNS1_3gpuE7ELNS1_3repE0EEENS1_30default_config_static_selectorELNS0_4arch9wavefront6targetE1EEEvT1_,comdat
.Lfunc_end725:
	.size	_ZN7rocprim17ROCPRIM_400000_NS6detail17trampoline_kernelINS0_14default_configENS1_25partition_config_selectorILNS1_17partition_subalgoE9EllbEEZZNS1_14partition_implILS5_9ELb0ES3_jPlS8_PNS0_10empty_typeENS0_5tupleIJS8_S9_EEENSB_IJS8_SA_EEENS0_18inequality_wrapperIZN2at6native12_GLOBAL__N_124unique_dim_cuda_templateIsEESt5tupleIJNSF_6TensorESK_SK_EERKSK_lbbbEUlllE0_EEPmJS9_EEE10hipError_tPvRmT3_T4_T5_T6_T7_T9_mT8_P12ihipStream_tbDpT10_ENKUlT_T0_E_clISt17integral_constantIbLb0EES1A_EEDaS15_S16_EUlS15_E_NS1_11comp_targetILNS1_3genE3ELNS1_11target_archE908ELNS1_3gpuE7ELNS1_3repE0EEENS1_30default_config_static_selectorELNS0_4arch9wavefront6targetE1EEEvT1_, .Lfunc_end725-_ZN7rocprim17ROCPRIM_400000_NS6detail17trampoline_kernelINS0_14default_configENS1_25partition_config_selectorILNS1_17partition_subalgoE9EllbEEZZNS1_14partition_implILS5_9ELb0ES3_jPlS8_PNS0_10empty_typeENS0_5tupleIJS8_S9_EEENSB_IJS8_SA_EEENS0_18inequality_wrapperIZN2at6native12_GLOBAL__N_124unique_dim_cuda_templateIsEESt5tupleIJNSF_6TensorESK_SK_EERKSK_lbbbEUlllE0_EEPmJS9_EEE10hipError_tPvRmT3_T4_T5_T6_T7_T9_mT8_P12ihipStream_tbDpT10_ENKUlT_T0_E_clISt17integral_constantIbLb0EES1A_EEDaS15_S16_EUlS15_E_NS1_11comp_targetILNS1_3genE3ELNS1_11target_archE908ELNS1_3gpuE7ELNS1_3repE0EEENS1_30default_config_static_selectorELNS0_4arch9wavefront6targetE1EEEvT1_
                                        ; -- End function
	.section	.AMDGPU.csdata,"",@progbits
; Kernel info:
; codeLenInByte = 0
; NumSgprs: 6
; NumVgprs: 0
; NumAgprs: 0
; TotalNumVgprs: 0
; ScratchSize: 0
; MemoryBound: 0
; FloatMode: 240
; IeeeMode: 1
; LDSByteSize: 0 bytes/workgroup (compile time only)
; SGPRBlocks: 0
; VGPRBlocks: 0
; NumSGPRsForWavesPerEU: 6
; NumVGPRsForWavesPerEU: 1
; AccumOffset: 4
; Occupancy: 8
; WaveLimiterHint : 0
; COMPUTE_PGM_RSRC2:SCRATCH_EN: 0
; COMPUTE_PGM_RSRC2:USER_SGPR: 2
; COMPUTE_PGM_RSRC2:TRAP_HANDLER: 0
; COMPUTE_PGM_RSRC2:TGID_X_EN: 1
; COMPUTE_PGM_RSRC2:TGID_Y_EN: 0
; COMPUTE_PGM_RSRC2:TGID_Z_EN: 0
; COMPUTE_PGM_RSRC2:TIDIG_COMP_CNT: 0
; COMPUTE_PGM_RSRC3_GFX90A:ACCUM_OFFSET: 0
; COMPUTE_PGM_RSRC3_GFX90A:TG_SPLIT: 0
	.section	.text._ZN7rocprim17ROCPRIM_400000_NS6detail17trampoline_kernelINS0_14default_configENS1_25partition_config_selectorILNS1_17partition_subalgoE9EllbEEZZNS1_14partition_implILS5_9ELb0ES3_jPlS8_PNS0_10empty_typeENS0_5tupleIJS8_S9_EEENSB_IJS8_SA_EEENS0_18inequality_wrapperIZN2at6native12_GLOBAL__N_124unique_dim_cuda_templateIsEESt5tupleIJNSF_6TensorESK_SK_EERKSK_lbbbEUlllE0_EEPmJS9_EEE10hipError_tPvRmT3_T4_T5_T6_T7_T9_mT8_P12ihipStream_tbDpT10_ENKUlT_T0_E_clISt17integral_constantIbLb0EES1A_EEDaS15_S16_EUlS15_E_NS1_11comp_targetILNS1_3genE2ELNS1_11target_archE906ELNS1_3gpuE6ELNS1_3repE0EEENS1_30default_config_static_selectorELNS0_4arch9wavefront6targetE1EEEvT1_,"axG",@progbits,_ZN7rocprim17ROCPRIM_400000_NS6detail17trampoline_kernelINS0_14default_configENS1_25partition_config_selectorILNS1_17partition_subalgoE9EllbEEZZNS1_14partition_implILS5_9ELb0ES3_jPlS8_PNS0_10empty_typeENS0_5tupleIJS8_S9_EEENSB_IJS8_SA_EEENS0_18inequality_wrapperIZN2at6native12_GLOBAL__N_124unique_dim_cuda_templateIsEESt5tupleIJNSF_6TensorESK_SK_EERKSK_lbbbEUlllE0_EEPmJS9_EEE10hipError_tPvRmT3_T4_T5_T6_T7_T9_mT8_P12ihipStream_tbDpT10_ENKUlT_T0_E_clISt17integral_constantIbLb0EES1A_EEDaS15_S16_EUlS15_E_NS1_11comp_targetILNS1_3genE2ELNS1_11target_archE906ELNS1_3gpuE6ELNS1_3repE0EEENS1_30default_config_static_selectorELNS0_4arch9wavefront6targetE1EEEvT1_,comdat
	.globl	_ZN7rocprim17ROCPRIM_400000_NS6detail17trampoline_kernelINS0_14default_configENS1_25partition_config_selectorILNS1_17partition_subalgoE9EllbEEZZNS1_14partition_implILS5_9ELb0ES3_jPlS8_PNS0_10empty_typeENS0_5tupleIJS8_S9_EEENSB_IJS8_SA_EEENS0_18inequality_wrapperIZN2at6native12_GLOBAL__N_124unique_dim_cuda_templateIsEESt5tupleIJNSF_6TensorESK_SK_EERKSK_lbbbEUlllE0_EEPmJS9_EEE10hipError_tPvRmT3_T4_T5_T6_T7_T9_mT8_P12ihipStream_tbDpT10_ENKUlT_T0_E_clISt17integral_constantIbLb0EES1A_EEDaS15_S16_EUlS15_E_NS1_11comp_targetILNS1_3genE2ELNS1_11target_archE906ELNS1_3gpuE6ELNS1_3repE0EEENS1_30default_config_static_selectorELNS0_4arch9wavefront6targetE1EEEvT1_ ; -- Begin function _ZN7rocprim17ROCPRIM_400000_NS6detail17trampoline_kernelINS0_14default_configENS1_25partition_config_selectorILNS1_17partition_subalgoE9EllbEEZZNS1_14partition_implILS5_9ELb0ES3_jPlS8_PNS0_10empty_typeENS0_5tupleIJS8_S9_EEENSB_IJS8_SA_EEENS0_18inequality_wrapperIZN2at6native12_GLOBAL__N_124unique_dim_cuda_templateIsEESt5tupleIJNSF_6TensorESK_SK_EERKSK_lbbbEUlllE0_EEPmJS9_EEE10hipError_tPvRmT3_T4_T5_T6_T7_T9_mT8_P12ihipStream_tbDpT10_ENKUlT_T0_E_clISt17integral_constantIbLb0EES1A_EEDaS15_S16_EUlS15_E_NS1_11comp_targetILNS1_3genE2ELNS1_11target_archE906ELNS1_3gpuE6ELNS1_3repE0EEENS1_30default_config_static_selectorELNS0_4arch9wavefront6targetE1EEEvT1_
	.p2align	8
	.type	_ZN7rocprim17ROCPRIM_400000_NS6detail17trampoline_kernelINS0_14default_configENS1_25partition_config_selectorILNS1_17partition_subalgoE9EllbEEZZNS1_14partition_implILS5_9ELb0ES3_jPlS8_PNS0_10empty_typeENS0_5tupleIJS8_S9_EEENSB_IJS8_SA_EEENS0_18inequality_wrapperIZN2at6native12_GLOBAL__N_124unique_dim_cuda_templateIsEESt5tupleIJNSF_6TensorESK_SK_EERKSK_lbbbEUlllE0_EEPmJS9_EEE10hipError_tPvRmT3_T4_T5_T6_T7_T9_mT8_P12ihipStream_tbDpT10_ENKUlT_T0_E_clISt17integral_constantIbLb0EES1A_EEDaS15_S16_EUlS15_E_NS1_11comp_targetILNS1_3genE2ELNS1_11target_archE906ELNS1_3gpuE6ELNS1_3repE0EEENS1_30default_config_static_selectorELNS0_4arch9wavefront6targetE1EEEvT1_,@function
_ZN7rocprim17ROCPRIM_400000_NS6detail17trampoline_kernelINS0_14default_configENS1_25partition_config_selectorILNS1_17partition_subalgoE9EllbEEZZNS1_14partition_implILS5_9ELb0ES3_jPlS8_PNS0_10empty_typeENS0_5tupleIJS8_S9_EEENSB_IJS8_SA_EEENS0_18inequality_wrapperIZN2at6native12_GLOBAL__N_124unique_dim_cuda_templateIsEESt5tupleIJNSF_6TensorESK_SK_EERKSK_lbbbEUlllE0_EEPmJS9_EEE10hipError_tPvRmT3_T4_T5_T6_T7_T9_mT8_P12ihipStream_tbDpT10_ENKUlT_T0_E_clISt17integral_constantIbLb0EES1A_EEDaS15_S16_EUlS15_E_NS1_11comp_targetILNS1_3genE2ELNS1_11target_archE906ELNS1_3gpuE6ELNS1_3repE0EEENS1_30default_config_static_selectorELNS0_4arch9wavefront6targetE1EEEvT1_: ; @_ZN7rocprim17ROCPRIM_400000_NS6detail17trampoline_kernelINS0_14default_configENS1_25partition_config_selectorILNS1_17partition_subalgoE9EllbEEZZNS1_14partition_implILS5_9ELb0ES3_jPlS8_PNS0_10empty_typeENS0_5tupleIJS8_S9_EEENSB_IJS8_SA_EEENS0_18inequality_wrapperIZN2at6native12_GLOBAL__N_124unique_dim_cuda_templateIsEESt5tupleIJNSF_6TensorESK_SK_EERKSK_lbbbEUlllE0_EEPmJS9_EEE10hipError_tPvRmT3_T4_T5_T6_T7_T9_mT8_P12ihipStream_tbDpT10_ENKUlT_T0_E_clISt17integral_constantIbLb0EES1A_EEDaS15_S16_EUlS15_E_NS1_11comp_targetILNS1_3genE2ELNS1_11target_archE906ELNS1_3gpuE6ELNS1_3repE0EEENS1_30default_config_static_selectorELNS0_4arch9wavefront6targetE1EEEvT1_
; %bb.0:
	.section	.rodata,"a",@progbits
	.p2align	6, 0x0
	.amdhsa_kernel _ZN7rocprim17ROCPRIM_400000_NS6detail17trampoline_kernelINS0_14default_configENS1_25partition_config_selectorILNS1_17partition_subalgoE9EllbEEZZNS1_14partition_implILS5_9ELb0ES3_jPlS8_PNS0_10empty_typeENS0_5tupleIJS8_S9_EEENSB_IJS8_SA_EEENS0_18inequality_wrapperIZN2at6native12_GLOBAL__N_124unique_dim_cuda_templateIsEESt5tupleIJNSF_6TensorESK_SK_EERKSK_lbbbEUlllE0_EEPmJS9_EEE10hipError_tPvRmT3_T4_T5_T6_T7_T9_mT8_P12ihipStream_tbDpT10_ENKUlT_T0_E_clISt17integral_constantIbLb0EES1A_EEDaS15_S16_EUlS15_E_NS1_11comp_targetILNS1_3genE2ELNS1_11target_archE906ELNS1_3gpuE6ELNS1_3repE0EEENS1_30default_config_static_selectorELNS0_4arch9wavefront6targetE1EEEvT1_
		.amdhsa_group_segment_fixed_size 0
		.amdhsa_private_segment_fixed_size 0
		.amdhsa_kernarg_size 120
		.amdhsa_user_sgpr_count 2
		.amdhsa_user_sgpr_dispatch_ptr 0
		.amdhsa_user_sgpr_queue_ptr 0
		.amdhsa_user_sgpr_kernarg_segment_ptr 1
		.amdhsa_user_sgpr_dispatch_id 0
		.amdhsa_user_sgpr_kernarg_preload_length 0
		.amdhsa_user_sgpr_kernarg_preload_offset 0
		.amdhsa_user_sgpr_private_segment_size 0
		.amdhsa_uses_dynamic_stack 0
		.amdhsa_enable_private_segment 0
		.amdhsa_system_sgpr_workgroup_id_x 1
		.amdhsa_system_sgpr_workgroup_id_y 0
		.amdhsa_system_sgpr_workgroup_id_z 0
		.amdhsa_system_sgpr_workgroup_info 0
		.amdhsa_system_vgpr_workitem_id 0
		.amdhsa_next_free_vgpr 1
		.amdhsa_next_free_sgpr 0
		.amdhsa_accum_offset 4
		.amdhsa_reserve_vcc 0
		.amdhsa_float_round_mode_32 0
		.amdhsa_float_round_mode_16_64 0
		.amdhsa_float_denorm_mode_32 3
		.amdhsa_float_denorm_mode_16_64 3
		.amdhsa_dx10_clamp 1
		.amdhsa_ieee_mode 1
		.amdhsa_fp16_overflow 0
		.amdhsa_tg_split 0
		.amdhsa_exception_fp_ieee_invalid_op 0
		.amdhsa_exception_fp_denorm_src 0
		.amdhsa_exception_fp_ieee_div_zero 0
		.amdhsa_exception_fp_ieee_overflow 0
		.amdhsa_exception_fp_ieee_underflow 0
		.amdhsa_exception_fp_ieee_inexact 0
		.amdhsa_exception_int_div_zero 0
	.end_amdhsa_kernel
	.section	.text._ZN7rocprim17ROCPRIM_400000_NS6detail17trampoline_kernelINS0_14default_configENS1_25partition_config_selectorILNS1_17partition_subalgoE9EllbEEZZNS1_14partition_implILS5_9ELb0ES3_jPlS8_PNS0_10empty_typeENS0_5tupleIJS8_S9_EEENSB_IJS8_SA_EEENS0_18inequality_wrapperIZN2at6native12_GLOBAL__N_124unique_dim_cuda_templateIsEESt5tupleIJNSF_6TensorESK_SK_EERKSK_lbbbEUlllE0_EEPmJS9_EEE10hipError_tPvRmT3_T4_T5_T6_T7_T9_mT8_P12ihipStream_tbDpT10_ENKUlT_T0_E_clISt17integral_constantIbLb0EES1A_EEDaS15_S16_EUlS15_E_NS1_11comp_targetILNS1_3genE2ELNS1_11target_archE906ELNS1_3gpuE6ELNS1_3repE0EEENS1_30default_config_static_selectorELNS0_4arch9wavefront6targetE1EEEvT1_,"axG",@progbits,_ZN7rocprim17ROCPRIM_400000_NS6detail17trampoline_kernelINS0_14default_configENS1_25partition_config_selectorILNS1_17partition_subalgoE9EllbEEZZNS1_14partition_implILS5_9ELb0ES3_jPlS8_PNS0_10empty_typeENS0_5tupleIJS8_S9_EEENSB_IJS8_SA_EEENS0_18inequality_wrapperIZN2at6native12_GLOBAL__N_124unique_dim_cuda_templateIsEESt5tupleIJNSF_6TensorESK_SK_EERKSK_lbbbEUlllE0_EEPmJS9_EEE10hipError_tPvRmT3_T4_T5_T6_T7_T9_mT8_P12ihipStream_tbDpT10_ENKUlT_T0_E_clISt17integral_constantIbLb0EES1A_EEDaS15_S16_EUlS15_E_NS1_11comp_targetILNS1_3genE2ELNS1_11target_archE906ELNS1_3gpuE6ELNS1_3repE0EEENS1_30default_config_static_selectorELNS0_4arch9wavefront6targetE1EEEvT1_,comdat
.Lfunc_end726:
	.size	_ZN7rocprim17ROCPRIM_400000_NS6detail17trampoline_kernelINS0_14default_configENS1_25partition_config_selectorILNS1_17partition_subalgoE9EllbEEZZNS1_14partition_implILS5_9ELb0ES3_jPlS8_PNS0_10empty_typeENS0_5tupleIJS8_S9_EEENSB_IJS8_SA_EEENS0_18inequality_wrapperIZN2at6native12_GLOBAL__N_124unique_dim_cuda_templateIsEESt5tupleIJNSF_6TensorESK_SK_EERKSK_lbbbEUlllE0_EEPmJS9_EEE10hipError_tPvRmT3_T4_T5_T6_T7_T9_mT8_P12ihipStream_tbDpT10_ENKUlT_T0_E_clISt17integral_constantIbLb0EES1A_EEDaS15_S16_EUlS15_E_NS1_11comp_targetILNS1_3genE2ELNS1_11target_archE906ELNS1_3gpuE6ELNS1_3repE0EEENS1_30default_config_static_selectorELNS0_4arch9wavefront6targetE1EEEvT1_, .Lfunc_end726-_ZN7rocprim17ROCPRIM_400000_NS6detail17trampoline_kernelINS0_14default_configENS1_25partition_config_selectorILNS1_17partition_subalgoE9EllbEEZZNS1_14partition_implILS5_9ELb0ES3_jPlS8_PNS0_10empty_typeENS0_5tupleIJS8_S9_EEENSB_IJS8_SA_EEENS0_18inequality_wrapperIZN2at6native12_GLOBAL__N_124unique_dim_cuda_templateIsEESt5tupleIJNSF_6TensorESK_SK_EERKSK_lbbbEUlllE0_EEPmJS9_EEE10hipError_tPvRmT3_T4_T5_T6_T7_T9_mT8_P12ihipStream_tbDpT10_ENKUlT_T0_E_clISt17integral_constantIbLb0EES1A_EEDaS15_S16_EUlS15_E_NS1_11comp_targetILNS1_3genE2ELNS1_11target_archE906ELNS1_3gpuE6ELNS1_3repE0EEENS1_30default_config_static_selectorELNS0_4arch9wavefront6targetE1EEEvT1_
                                        ; -- End function
	.section	.AMDGPU.csdata,"",@progbits
; Kernel info:
; codeLenInByte = 0
; NumSgprs: 6
; NumVgprs: 0
; NumAgprs: 0
; TotalNumVgprs: 0
; ScratchSize: 0
; MemoryBound: 0
; FloatMode: 240
; IeeeMode: 1
; LDSByteSize: 0 bytes/workgroup (compile time only)
; SGPRBlocks: 0
; VGPRBlocks: 0
; NumSGPRsForWavesPerEU: 6
; NumVGPRsForWavesPerEU: 1
; AccumOffset: 4
; Occupancy: 8
; WaveLimiterHint : 0
; COMPUTE_PGM_RSRC2:SCRATCH_EN: 0
; COMPUTE_PGM_RSRC2:USER_SGPR: 2
; COMPUTE_PGM_RSRC2:TRAP_HANDLER: 0
; COMPUTE_PGM_RSRC2:TGID_X_EN: 1
; COMPUTE_PGM_RSRC2:TGID_Y_EN: 0
; COMPUTE_PGM_RSRC2:TGID_Z_EN: 0
; COMPUTE_PGM_RSRC2:TIDIG_COMP_CNT: 0
; COMPUTE_PGM_RSRC3_GFX90A:ACCUM_OFFSET: 0
; COMPUTE_PGM_RSRC3_GFX90A:TG_SPLIT: 0
	.section	.text._ZN7rocprim17ROCPRIM_400000_NS6detail17trampoline_kernelINS0_14default_configENS1_25partition_config_selectorILNS1_17partition_subalgoE9EllbEEZZNS1_14partition_implILS5_9ELb0ES3_jPlS8_PNS0_10empty_typeENS0_5tupleIJS8_S9_EEENSB_IJS8_SA_EEENS0_18inequality_wrapperIZN2at6native12_GLOBAL__N_124unique_dim_cuda_templateIsEESt5tupleIJNSF_6TensorESK_SK_EERKSK_lbbbEUlllE0_EEPmJS9_EEE10hipError_tPvRmT3_T4_T5_T6_T7_T9_mT8_P12ihipStream_tbDpT10_ENKUlT_T0_E_clISt17integral_constantIbLb0EES1A_EEDaS15_S16_EUlS15_E_NS1_11comp_targetILNS1_3genE10ELNS1_11target_archE1200ELNS1_3gpuE4ELNS1_3repE0EEENS1_30default_config_static_selectorELNS0_4arch9wavefront6targetE1EEEvT1_,"axG",@progbits,_ZN7rocprim17ROCPRIM_400000_NS6detail17trampoline_kernelINS0_14default_configENS1_25partition_config_selectorILNS1_17partition_subalgoE9EllbEEZZNS1_14partition_implILS5_9ELb0ES3_jPlS8_PNS0_10empty_typeENS0_5tupleIJS8_S9_EEENSB_IJS8_SA_EEENS0_18inequality_wrapperIZN2at6native12_GLOBAL__N_124unique_dim_cuda_templateIsEESt5tupleIJNSF_6TensorESK_SK_EERKSK_lbbbEUlllE0_EEPmJS9_EEE10hipError_tPvRmT3_T4_T5_T6_T7_T9_mT8_P12ihipStream_tbDpT10_ENKUlT_T0_E_clISt17integral_constantIbLb0EES1A_EEDaS15_S16_EUlS15_E_NS1_11comp_targetILNS1_3genE10ELNS1_11target_archE1200ELNS1_3gpuE4ELNS1_3repE0EEENS1_30default_config_static_selectorELNS0_4arch9wavefront6targetE1EEEvT1_,comdat
	.globl	_ZN7rocprim17ROCPRIM_400000_NS6detail17trampoline_kernelINS0_14default_configENS1_25partition_config_selectorILNS1_17partition_subalgoE9EllbEEZZNS1_14partition_implILS5_9ELb0ES3_jPlS8_PNS0_10empty_typeENS0_5tupleIJS8_S9_EEENSB_IJS8_SA_EEENS0_18inequality_wrapperIZN2at6native12_GLOBAL__N_124unique_dim_cuda_templateIsEESt5tupleIJNSF_6TensorESK_SK_EERKSK_lbbbEUlllE0_EEPmJS9_EEE10hipError_tPvRmT3_T4_T5_T6_T7_T9_mT8_P12ihipStream_tbDpT10_ENKUlT_T0_E_clISt17integral_constantIbLb0EES1A_EEDaS15_S16_EUlS15_E_NS1_11comp_targetILNS1_3genE10ELNS1_11target_archE1200ELNS1_3gpuE4ELNS1_3repE0EEENS1_30default_config_static_selectorELNS0_4arch9wavefront6targetE1EEEvT1_ ; -- Begin function _ZN7rocprim17ROCPRIM_400000_NS6detail17trampoline_kernelINS0_14default_configENS1_25partition_config_selectorILNS1_17partition_subalgoE9EllbEEZZNS1_14partition_implILS5_9ELb0ES3_jPlS8_PNS0_10empty_typeENS0_5tupleIJS8_S9_EEENSB_IJS8_SA_EEENS0_18inequality_wrapperIZN2at6native12_GLOBAL__N_124unique_dim_cuda_templateIsEESt5tupleIJNSF_6TensorESK_SK_EERKSK_lbbbEUlllE0_EEPmJS9_EEE10hipError_tPvRmT3_T4_T5_T6_T7_T9_mT8_P12ihipStream_tbDpT10_ENKUlT_T0_E_clISt17integral_constantIbLb0EES1A_EEDaS15_S16_EUlS15_E_NS1_11comp_targetILNS1_3genE10ELNS1_11target_archE1200ELNS1_3gpuE4ELNS1_3repE0EEENS1_30default_config_static_selectorELNS0_4arch9wavefront6targetE1EEEvT1_
	.p2align	8
	.type	_ZN7rocprim17ROCPRIM_400000_NS6detail17trampoline_kernelINS0_14default_configENS1_25partition_config_selectorILNS1_17partition_subalgoE9EllbEEZZNS1_14partition_implILS5_9ELb0ES3_jPlS8_PNS0_10empty_typeENS0_5tupleIJS8_S9_EEENSB_IJS8_SA_EEENS0_18inequality_wrapperIZN2at6native12_GLOBAL__N_124unique_dim_cuda_templateIsEESt5tupleIJNSF_6TensorESK_SK_EERKSK_lbbbEUlllE0_EEPmJS9_EEE10hipError_tPvRmT3_T4_T5_T6_T7_T9_mT8_P12ihipStream_tbDpT10_ENKUlT_T0_E_clISt17integral_constantIbLb0EES1A_EEDaS15_S16_EUlS15_E_NS1_11comp_targetILNS1_3genE10ELNS1_11target_archE1200ELNS1_3gpuE4ELNS1_3repE0EEENS1_30default_config_static_selectorELNS0_4arch9wavefront6targetE1EEEvT1_,@function
_ZN7rocprim17ROCPRIM_400000_NS6detail17trampoline_kernelINS0_14default_configENS1_25partition_config_selectorILNS1_17partition_subalgoE9EllbEEZZNS1_14partition_implILS5_9ELb0ES3_jPlS8_PNS0_10empty_typeENS0_5tupleIJS8_S9_EEENSB_IJS8_SA_EEENS0_18inequality_wrapperIZN2at6native12_GLOBAL__N_124unique_dim_cuda_templateIsEESt5tupleIJNSF_6TensorESK_SK_EERKSK_lbbbEUlllE0_EEPmJS9_EEE10hipError_tPvRmT3_T4_T5_T6_T7_T9_mT8_P12ihipStream_tbDpT10_ENKUlT_T0_E_clISt17integral_constantIbLb0EES1A_EEDaS15_S16_EUlS15_E_NS1_11comp_targetILNS1_3genE10ELNS1_11target_archE1200ELNS1_3gpuE4ELNS1_3repE0EEENS1_30default_config_static_selectorELNS0_4arch9wavefront6targetE1EEEvT1_: ; @_ZN7rocprim17ROCPRIM_400000_NS6detail17trampoline_kernelINS0_14default_configENS1_25partition_config_selectorILNS1_17partition_subalgoE9EllbEEZZNS1_14partition_implILS5_9ELb0ES3_jPlS8_PNS0_10empty_typeENS0_5tupleIJS8_S9_EEENSB_IJS8_SA_EEENS0_18inequality_wrapperIZN2at6native12_GLOBAL__N_124unique_dim_cuda_templateIsEESt5tupleIJNSF_6TensorESK_SK_EERKSK_lbbbEUlllE0_EEPmJS9_EEE10hipError_tPvRmT3_T4_T5_T6_T7_T9_mT8_P12ihipStream_tbDpT10_ENKUlT_T0_E_clISt17integral_constantIbLb0EES1A_EEDaS15_S16_EUlS15_E_NS1_11comp_targetILNS1_3genE10ELNS1_11target_archE1200ELNS1_3gpuE4ELNS1_3repE0EEENS1_30default_config_static_selectorELNS0_4arch9wavefront6targetE1EEEvT1_
; %bb.0:
	.section	.rodata,"a",@progbits
	.p2align	6, 0x0
	.amdhsa_kernel _ZN7rocprim17ROCPRIM_400000_NS6detail17trampoline_kernelINS0_14default_configENS1_25partition_config_selectorILNS1_17partition_subalgoE9EllbEEZZNS1_14partition_implILS5_9ELb0ES3_jPlS8_PNS0_10empty_typeENS0_5tupleIJS8_S9_EEENSB_IJS8_SA_EEENS0_18inequality_wrapperIZN2at6native12_GLOBAL__N_124unique_dim_cuda_templateIsEESt5tupleIJNSF_6TensorESK_SK_EERKSK_lbbbEUlllE0_EEPmJS9_EEE10hipError_tPvRmT3_T4_T5_T6_T7_T9_mT8_P12ihipStream_tbDpT10_ENKUlT_T0_E_clISt17integral_constantIbLb0EES1A_EEDaS15_S16_EUlS15_E_NS1_11comp_targetILNS1_3genE10ELNS1_11target_archE1200ELNS1_3gpuE4ELNS1_3repE0EEENS1_30default_config_static_selectorELNS0_4arch9wavefront6targetE1EEEvT1_
		.amdhsa_group_segment_fixed_size 0
		.amdhsa_private_segment_fixed_size 0
		.amdhsa_kernarg_size 120
		.amdhsa_user_sgpr_count 2
		.amdhsa_user_sgpr_dispatch_ptr 0
		.amdhsa_user_sgpr_queue_ptr 0
		.amdhsa_user_sgpr_kernarg_segment_ptr 1
		.amdhsa_user_sgpr_dispatch_id 0
		.amdhsa_user_sgpr_kernarg_preload_length 0
		.amdhsa_user_sgpr_kernarg_preload_offset 0
		.amdhsa_user_sgpr_private_segment_size 0
		.amdhsa_uses_dynamic_stack 0
		.amdhsa_enable_private_segment 0
		.amdhsa_system_sgpr_workgroup_id_x 1
		.amdhsa_system_sgpr_workgroup_id_y 0
		.amdhsa_system_sgpr_workgroup_id_z 0
		.amdhsa_system_sgpr_workgroup_info 0
		.amdhsa_system_vgpr_workitem_id 0
		.amdhsa_next_free_vgpr 1
		.amdhsa_next_free_sgpr 0
		.amdhsa_accum_offset 4
		.amdhsa_reserve_vcc 0
		.amdhsa_float_round_mode_32 0
		.amdhsa_float_round_mode_16_64 0
		.amdhsa_float_denorm_mode_32 3
		.amdhsa_float_denorm_mode_16_64 3
		.amdhsa_dx10_clamp 1
		.amdhsa_ieee_mode 1
		.amdhsa_fp16_overflow 0
		.amdhsa_tg_split 0
		.amdhsa_exception_fp_ieee_invalid_op 0
		.amdhsa_exception_fp_denorm_src 0
		.amdhsa_exception_fp_ieee_div_zero 0
		.amdhsa_exception_fp_ieee_overflow 0
		.amdhsa_exception_fp_ieee_underflow 0
		.amdhsa_exception_fp_ieee_inexact 0
		.amdhsa_exception_int_div_zero 0
	.end_amdhsa_kernel
	.section	.text._ZN7rocprim17ROCPRIM_400000_NS6detail17trampoline_kernelINS0_14default_configENS1_25partition_config_selectorILNS1_17partition_subalgoE9EllbEEZZNS1_14partition_implILS5_9ELb0ES3_jPlS8_PNS0_10empty_typeENS0_5tupleIJS8_S9_EEENSB_IJS8_SA_EEENS0_18inequality_wrapperIZN2at6native12_GLOBAL__N_124unique_dim_cuda_templateIsEESt5tupleIJNSF_6TensorESK_SK_EERKSK_lbbbEUlllE0_EEPmJS9_EEE10hipError_tPvRmT3_T4_T5_T6_T7_T9_mT8_P12ihipStream_tbDpT10_ENKUlT_T0_E_clISt17integral_constantIbLb0EES1A_EEDaS15_S16_EUlS15_E_NS1_11comp_targetILNS1_3genE10ELNS1_11target_archE1200ELNS1_3gpuE4ELNS1_3repE0EEENS1_30default_config_static_selectorELNS0_4arch9wavefront6targetE1EEEvT1_,"axG",@progbits,_ZN7rocprim17ROCPRIM_400000_NS6detail17trampoline_kernelINS0_14default_configENS1_25partition_config_selectorILNS1_17partition_subalgoE9EllbEEZZNS1_14partition_implILS5_9ELb0ES3_jPlS8_PNS0_10empty_typeENS0_5tupleIJS8_S9_EEENSB_IJS8_SA_EEENS0_18inequality_wrapperIZN2at6native12_GLOBAL__N_124unique_dim_cuda_templateIsEESt5tupleIJNSF_6TensorESK_SK_EERKSK_lbbbEUlllE0_EEPmJS9_EEE10hipError_tPvRmT3_T4_T5_T6_T7_T9_mT8_P12ihipStream_tbDpT10_ENKUlT_T0_E_clISt17integral_constantIbLb0EES1A_EEDaS15_S16_EUlS15_E_NS1_11comp_targetILNS1_3genE10ELNS1_11target_archE1200ELNS1_3gpuE4ELNS1_3repE0EEENS1_30default_config_static_selectorELNS0_4arch9wavefront6targetE1EEEvT1_,comdat
.Lfunc_end727:
	.size	_ZN7rocprim17ROCPRIM_400000_NS6detail17trampoline_kernelINS0_14default_configENS1_25partition_config_selectorILNS1_17partition_subalgoE9EllbEEZZNS1_14partition_implILS5_9ELb0ES3_jPlS8_PNS0_10empty_typeENS0_5tupleIJS8_S9_EEENSB_IJS8_SA_EEENS0_18inequality_wrapperIZN2at6native12_GLOBAL__N_124unique_dim_cuda_templateIsEESt5tupleIJNSF_6TensorESK_SK_EERKSK_lbbbEUlllE0_EEPmJS9_EEE10hipError_tPvRmT3_T4_T5_T6_T7_T9_mT8_P12ihipStream_tbDpT10_ENKUlT_T0_E_clISt17integral_constantIbLb0EES1A_EEDaS15_S16_EUlS15_E_NS1_11comp_targetILNS1_3genE10ELNS1_11target_archE1200ELNS1_3gpuE4ELNS1_3repE0EEENS1_30default_config_static_selectorELNS0_4arch9wavefront6targetE1EEEvT1_, .Lfunc_end727-_ZN7rocprim17ROCPRIM_400000_NS6detail17trampoline_kernelINS0_14default_configENS1_25partition_config_selectorILNS1_17partition_subalgoE9EllbEEZZNS1_14partition_implILS5_9ELb0ES3_jPlS8_PNS0_10empty_typeENS0_5tupleIJS8_S9_EEENSB_IJS8_SA_EEENS0_18inequality_wrapperIZN2at6native12_GLOBAL__N_124unique_dim_cuda_templateIsEESt5tupleIJNSF_6TensorESK_SK_EERKSK_lbbbEUlllE0_EEPmJS9_EEE10hipError_tPvRmT3_T4_T5_T6_T7_T9_mT8_P12ihipStream_tbDpT10_ENKUlT_T0_E_clISt17integral_constantIbLb0EES1A_EEDaS15_S16_EUlS15_E_NS1_11comp_targetILNS1_3genE10ELNS1_11target_archE1200ELNS1_3gpuE4ELNS1_3repE0EEENS1_30default_config_static_selectorELNS0_4arch9wavefront6targetE1EEEvT1_
                                        ; -- End function
	.section	.AMDGPU.csdata,"",@progbits
; Kernel info:
; codeLenInByte = 0
; NumSgprs: 6
; NumVgprs: 0
; NumAgprs: 0
; TotalNumVgprs: 0
; ScratchSize: 0
; MemoryBound: 0
; FloatMode: 240
; IeeeMode: 1
; LDSByteSize: 0 bytes/workgroup (compile time only)
; SGPRBlocks: 0
; VGPRBlocks: 0
; NumSGPRsForWavesPerEU: 6
; NumVGPRsForWavesPerEU: 1
; AccumOffset: 4
; Occupancy: 8
; WaveLimiterHint : 0
; COMPUTE_PGM_RSRC2:SCRATCH_EN: 0
; COMPUTE_PGM_RSRC2:USER_SGPR: 2
; COMPUTE_PGM_RSRC2:TRAP_HANDLER: 0
; COMPUTE_PGM_RSRC2:TGID_X_EN: 1
; COMPUTE_PGM_RSRC2:TGID_Y_EN: 0
; COMPUTE_PGM_RSRC2:TGID_Z_EN: 0
; COMPUTE_PGM_RSRC2:TIDIG_COMP_CNT: 0
; COMPUTE_PGM_RSRC3_GFX90A:ACCUM_OFFSET: 0
; COMPUTE_PGM_RSRC3_GFX90A:TG_SPLIT: 0
	.section	.text._ZN7rocprim17ROCPRIM_400000_NS6detail17trampoline_kernelINS0_14default_configENS1_25partition_config_selectorILNS1_17partition_subalgoE9EllbEEZZNS1_14partition_implILS5_9ELb0ES3_jPlS8_PNS0_10empty_typeENS0_5tupleIJS8_S9_EEENSB_IJS8_SA_EEENS0_18inequality_wrapperIZN2at6native12_GLOBAL__N_124unique_dim_cuda_templateIsEESt5tupleIJNSF_6TensorESK_SK_EERKSK_lbbbEUlllE0_EEPmJS9_EEE10hipError_tPvRmT3_T4_T5_T6_T7_T9_mT8_P12ihipStream_tbDpT10_ENKUlT_T0_E_clISt17integral_constantIbLb0EES1A_EEDaS15_S16_EUlS15_E_NS1_11comp_targetILNS1_3genE9ELNS1_11target_archE1100ELNS1_3gpuE3ELNS1_3repE0EEENS1_30default_config_static_selectorELNS0_4arch9wavefront6targetE1EEEvT1_,"axG",@progbits,_ZN7rocprim17ROCPRIM_400000_NS6detail17trampoline_kernelINS0_14default_configENS1_25partition_config_selectorILNS1_17partition_subalgoE9EllbEEZZNS1_14partition_implILS5_9ELb0ES3_jPlS8_PNS0_10empty_typeENS0_5tupleIJS8_S9_EEENSB_IJS8_SA_EEENS0_18inequality_wrapperIZN2at6native12_GLOBAL__N_124unique_dim_cuda_templateIsEESt5tupleIJNSF_6TensorESK_SK_EERKSK_lbbbEUlllE0_EEPmJS9_EEE10hipError_tPvRmT3_T4_T5_T6_T7_T9_mT8_P12ihipStream_tbDpT10_ENKUlT_T0_E_clISt17integral_constantIbLb0EES1A_EEDaS15_S16_EUlS15_E_NS1_11comp_targetILNS1_3genE9ELNS1_11target_archE1100ELNS1_3gpuE3ELNS1_3repE0EEENS1_30default_config_static_selectorELNS0_4arch9wavefront6targetE1EEEvT1_,comdat
	.globl	_ZN7rocprim17ROCPRIM_400000_NS6detail17trampoline_kernelINS0_14default_configENS1_25partition_config_selectorILNS1_17partition_subalgoE9EllbEEZZNS1_14partition_implILS5_9ELb0ES3_jPlS8_PNS0_10empty_typeENS0_5tupleIJS8_S9_EEENSB_IJS8_SA_EEENS0_18inequality_wrapperIZN2at6native12_GLOBAL__N_124unique_dim_cuda_templateIsEESt5tupleIJNSF_6TensorESK_SK_EERKSK_lbbbEUlllE0_EEPmJS9_EEE10hipError_tPvRmT3_T4_T5_T6_T7_T9_mT8_P12ihipStream_tbDpT10_ENKUlT_T0_E_clISt17integral_constantIbLb0EES1A_EEDaS15_S16_EUlS15_E_NS1_11comp_targetILNS1_3genE9ELNS1_11target_archE1100ELNS1_3gpuE3ELNS1_3repE0EEENS1_30default_config_static_selectorELNS0_4arch9wavefront6targetE1EEEvT1_ ; -- Begin function _ZN7rocprim17ROCPRIM_400000_NS6detail17trampoline_kernelINS0_14default_configENS1_25partition_config_selectorILNS1_17partition_subalgoE9EllbEEZZNS1_14partition_implILS5_9ELb0ES3_jPlS8_PNS0_10empty_typeENS0_5tupleIJS8_S9_EEENSB_IJS8_SA_EEENS0_18inequality_wrapperIZN2at6native12_GLOBAL__N_124unique_dim_cuda_templateIsEESt5tupleIJNSF_6TensorESK_SK_EERKSK_lbbbEUlllE0_EEPmJS9_EEE10hipError_tPvRmT3_T4_T5_T6_T7_T9_mT8_P12ihipStream_tbDpT10_ENKUlT_T0_E_clISt17integral_constantIbLb0EES1A_EEDaS15_S16_EUlS15_E_NS1_11comp_targetILNS1_3genE9ELNS1_11target_archE1100ELNS1_3gpuE3ELNS1_3repE0EEENS1_30default_config_static_selectorELNS0_4arch9wavefront6targetE1EEEvT1_
	.p2align	8
	.type	_ZN7rocprim17ROCPRIM_400000_NS6detail17trampoline_kernelINS0_14default_configENS1_25partition_config_selectorILNS1_17partition_subalgoE9EllbEEZZNS1_14partition_implILS5_9ELb0ES3_jPlS8_PNS0_10empty_typeENS0_5tupleIJS8_S9_EEENSB_IJS8_SA_EEENS0_18inequality_wrapperIZN2at6native12_GLOBAL__N_124unique_dim_cuda_templateIsEESt5tupleIJNSF_6TensorESK_SK_EERKSK_lbbbEUlllE0_EEPmJS9_EEE10hipError_tPvRmT3_T4_T5_T6_T7_T9_mT8_P12ihipStream_tbDpT10_ENKUlT_T0_E_clISt17integral_constantIbLb0EES1A_EEDaS15_S16_EUlS15_E_NS1_11comp_targetILNS1_3genE9ELNS1_11target_archE1100ELNS1_3gpuE3ELNS1_3repE0EEENS1_30default_config_static_selectorELNS0_4arch9wavefront6targetE1EEEvT1_,@function
_ZN7rocprim17ROCPRIM_400000_NS6detail17trampoline_kernelINS0_14default_configENS1_25partition_config_selectorILNS1_17partition_subalgoE9EllbEEZZNS1_14partition_implILS5_9ELb0ES3_jPlS8_PNS0_10empty_typeENS0_5tupleIJS8_S9_EEENSB_IJS8_SA_EEENS0_18inequality_wrapperIZN2at6native12_GLOBAL__N_124unique_dim_cuda_templateIsEESt5tupleIJNSF_6TensorESK_SK_EERKSK_lbbbEUlllE0_EEPmJS9_EEE10hipError_tPvRmT3_T4_T5_T6_T7_T9_mT8_P12ihipStream_tbDpT10_ENKUlT_T0_E_clISt17integral_constantIbLb0EES1A_EEDaS15_S16_EUlS15_E_NS1_11comp_targetILNS1_3genE9ELNS1_11target_archE1100ELNS1_3gpuE3ELNS1_3repE0EEENS1_30default_config_static_selectorELNS0_4arch9wavefront6targetE1EEEvT1_: ; @_ZN7rocprim17ROCPRIM_400000_NS6detail17trampoline_kernelINS0_14default_configENS1_25partition_config_selectorILNS1_17partition_subalgoE9EllbEEZZNS1_14partition_implILS5_9ELb0ES3_jPlS8_PNS0_10empty_typeENS0_5tupleIJS8_S9_EEENSB_IJS8_SA_EEENS0_18inequality_wrapperIZN2at6native12_GLOBAL__N_124unique_dim_cuda_templateIsEESt5tupleIJNSF_6TensorESK_SK_EERKSK_lbbbEUlllE0_EEPmJS9_EEE10hipError_tPvRmT3_T4_T5_T6_T7_T9_mT8_P12ihipStream_tbDpT10_ENKUlT_T0_E_clISt17integral_constantIbLb0EES1A_EEDaS15_S16_EUlS15_E_NS1_11comp_targetILNS1_3genE9ELNS1_11target_archE1100ELNS1_3gpuE3ELNS1_3repE0EEENS1_30default_config_static_selectorELNS0_4arch9wavefront6targetE1EEEvT1_
; %bb.0:
	.section	.rodata,"a",@progbits
	.p2align	6, 0x0
	.amdhsa_kernel _ZN7rocprim17ROCPRIM_400000_NS6detail17trampoline_kernelINS0_14default_configENS1_25partition_config_selectorILNS1_17partition_subalgoE9EllbEEZZNS1_14partition_implILS5_9ELb0ES3_jPlS8_PNS0_10empty_typeENS0_5tupleIJS8_S9_EEENSB_IJS8_SA_EEENS0_18inequality_wrapperIZN2at6native12_GLOBAL__N_124unique_dim_cuda_templateIsEESt5tupleIJNSF_6TensorESK_SK_EERKSK_lbbbEUlllE0_EEPmJS9_EEE10hipError_tPvRmT3_T4_T5_T6_T7_T9_mT8_P12ihipStream_tbDpT10_ENKUlT_T0_E_clISt17integral_constantIbLb0EES1A_EEDaS15_S16_EUlS15_E_NS1_11comp_targetILNS1_3genE9ELNS1_11target_archE1100ELNS1_3gpuE3ELNS1_3repE0EEENS1_30default_config_static_selectorELNS0_4arch9wavefront6targetE1EEEvT1_
		.amdhsa_group_segment_fixed_size 0
		.amdhsa_private_segment_fixed_size 0
		.amdhsa_kernarg_size 120
		.amdhsa_user_sgpr_count 2
		.amdhsa_user_sgpr_dispatch_ptr 0
		.amdhsa_user_sgpr_queue_ptr 0
		.amdhsa_user_sgpr_kernarg_segment_ptr 1
		.amdhsa_user_sgpr_dispatch_id 0
		.amdhsa_user_sgpr_kernarg_preload_length 0
		.amdhsa_user_sgpr_kernarg_preload_offset 0
		.amdhsa_user_sgpr_private_segment_size 0
		.amdhsa_uses_dynamic_stack 0
		.amdhsa_enable_private_segment 0
		.amdhsa_system_sgpr_workgroup_id_x 1
		.amdhsa_system_sgpr_workgroup_id_y 0
		.amdhsa_system_sgpr_workgroup_id_z 0
		.amdhsa_system_sgpr_workgroup_info 0
		.amdhsa_system_vgpr_workitem_id 0
		.amdhsa_next_free_vgpr 1
		.amdhsa_next_free_sgpr 0
		.amdhsa_accum_offset 4
		.amdhsa_reserve_vcc 0
		.amdhsa_float_round_mode_32 0
		.amdhsa_float_round_mode_16_64 0
		.amdhsa_float_denorm_mode_32 3
		.amdhsa_float_denorm_mode_16_64 3
		.amdhsa_dx10_clamp 1
		.amdhsa_ieee_mode 1
		.amdhsa_fp16_overflow 0
		.amdhsa_tg_split 0
		.amdhsa_exception_fp_ieee_invalid_op 0
		.amdhsa_exception_fp_denorm_src 0
		.amdhsa_exception_fp_ieee_div_zero 0
		.amdhsa_exception_fp_ieee_overflow 0
		.amdhsa_exception_fp_ieee_underflow 0
		.amdhsa_exception_fp_ieee_inexact 0
		.amdhsa_exception_int_div_zero 0
	.end_amdhsa_kernel
	.section	.text._ZN7rocprim17ROCPRIM_400000_NS6detail17trampoline_kernelINS0_14default_configENS1_25partition_config_selectorILNS1_17partition_subalgoE9EllbEEZZNS1_14partition_implILS5_9ELb0ES3_jPlS8_PNS0_10empty_typeENS0_5tupleIJS8_S9_EEENSB_IJS8_SA_EEENS0_18inequality_wrapperIZN2at6native12_GLOBAL__N_124unique_dim_cuda_templateIsEESt5tupleIJNSF_6TensorESK_SK_EERKSK_lbbbEUlllE0_EEPmJS9_EEE10hipError_tPvRmT3_T4_T5_T6_T7_T9_mT8_P12ihipStream_tbDpT10_ENKUlT_T0_E_clISt17integral_constantIbLb0EES1A_EEDaS15_S16_EUlS15_E_NS1_11comp_targetILNS1_3genE9ELNS1_11target_archE1100ELNS1_3gpuE3ELNS1_3repE0EEENS1_30default_config_static_selectorELNS0_4arch9wavefront6targetE1EEEvT1_,"axG",@progbits,_ZN7rocprim17ROCPRIM_400000_NS6detail17trampoline_kernelINS0_14default_configENS1_25partition_config_selectorILNS1_17partition_subalgoE9EllbEEZZNS1_14partition_implILS5_9ELb0ES3_jPlS8_PNS0_10empty_typeENS0_5tupleIJS8_S9_EEENSB_IJS8_SA_EEENS0_18inequality_wrapperIZN2at6native12_GLOBAL__N_124unique_dim_cuda_templateIsEESt5tupleIJNSF_6TensorESK_SK_EERKSK_lbbbEUlllE0_EEPmJS9_EEE10hipError_tPvRmT3_T4_T5_T6_T7_T9_mT8_P12ihipStream_tbDpT10_ENKUlT_T0_E_clISt17integral_constantIbLb0EES1A_EEDaS15_S16_EUlS15_E_NS1_11comp_targetILNS1_3genE9ELNS1_11target_archE1100ELNS1_3gpuE3ELNS1_3repE0EEENS1_30default_config_static_selectorELNS0_4arch9wavefront6targetE1EEEvT1_,comdat
.Lfunc_end728:
	.size	_ZN7rocprim17ROCPRIM_400000_NS6detail17trampoline_kernelINS0_14default_configENS1_25partition_config_selectorILNS1_17partition_subalgoE9EllbEEZZNS1_14partition_implILS5_9ELb0ES3_jPlS8_PNS0_10empty_typeENS0_5tupleIJS8_S9_EEENSB_IJS8_SA_EEENS0_18inequality_wrapperIZN2at6native12_GLOBAL__N_124unique_dim_cuda_templateIsEESt5tupleIJNSF_6TensorESK_SK_EERKSK_lbbbEUlllE0_EEPmJS9_EEE10hipError_tPvRmT3_T4_T5_T6_T7_T9_mT8_P12ihipStream_tbDpT10_ENKUlT_T0_E_clISt17integral_constantIbLb0EES1A_EEDaS15_S16_EUlS15_E_NS1_11comp_targetILNS1_3genE9ELNS1_11target_archE1100ELNS1_3gpuE3ELNS1_3repE0EEENS1_30default_config_static_selectorELNS0_4arch9wavefront6targetE1EEEvT1_, .Lfunc_end728-_ZN7rocprim17ROCPRIM_400000_NS6detail17trampoline_kernelINS0_14default_configENS1_25partition_config_selectorILNS1_17partition_subalgoE9EllbEEZZNS1_14partition_implILS5_9ELb0ES3_jPlS8_PNS0_10empty_typeENS0_5tupleIJS8_S9_EEENSB_IJS8_SA_EEENS0_18inequality_wrapperIZN2at6native12_GLOBAL__N_124unique_dim_cuda_templateIsEESt5tupleIJNSF_6TensorESK_SK_EERKSK_lbbbEUlllE0_EEPmJS9_EEE10hipError_tPvRmT3_T4_T5_T6_T7_T9_mT8_P12ihipStream_tbDpT10_ENKUlT_T0_E_clISt17integral_constantIbLb0EES1A_EEDaS15_S16_EUlS15_E_NS1_11comp_targetILNS1_3genE9ELNS1_11target_archE1100ELNS1_3gpuE3ELNS1_3repE0EEENS1_30default_config_static_selectorELNS0_4arch9wavefront6targetE1EEEvT1_
                                        ; -- End function
	.section	.AMDGPU.csdata,"",@progbits
; Kernel info:
; codeLenInByte = 0
; NumSgprs: 6
; NumVgprs: 0
; NumAgprs: 0
; TotalNumVgprs: 0
; ScratchSize: 0
; MemoryBound: 0
; FloatMode: 240
; IeeeMode: 1
; LDSByteSize: 0 bytes/workgroup (compile time only)
; SGPRBlocks: 0
; VGPRBlocks: 0
; NumSGPRsForWavesPerEU: 6
; NumVGPRsForWavesPerEU: 1
; AccumOffset: 4
; Occupancy: 8
; WaveLimiterHint : 0
; COMPUTE_PGM_RSRC2:SCRATCH_EN: 0
; COMPUTE_PGM_RSRC2:USER_SGPR: 2
; COMPUTE_PGM_RSRC2:TRAP_HANDLER: 0
; COMPUTE_PGM_RSRC2:TGID_X_EN: 1
; COMPUTE_PGM_RSRC2:TGID_Y_EN: 0
; COMPUTE_PGM_RSRC2:TGID_Z_EN: 0
; COMPUTE_PGM_RSRC2:TIDIG_COMP_CNT: 0
; COMPUTE_PGM_RSRC3_GFX90A:ACCUM_OFFSET: 0
; COMPUTE_PGM_RSRC3_GFX90A:TG_SPLIT: 0
	.section	.text._ZN7rocprim17ROCPRIM_400000_NS6detail17trampoline_kernelINS0_14default_configENS1_25partition_config_selectorILNS1_17partition_subalgoE9EllbEEZZNS1_14partition_implILS5_9ELb0ES3_jPlS8_PNS0_10empty_typeENS0_5tupleIJS8_S9_EEENSB_IJS8_SA_EEENS0_18inequality_wrapperIZN2at6native12_GLOBAL__N_124unique_dim_cuda_templateIsEESt5tupleIJNSF_6TensorESK_SK_EERKSK_lbbbEUlllE0_EEPmJS9_EEE10hipError_tPvRmT3_T4_T5_T6_T7_T9_mT8_P12ihipStream_tbDpT10_ENKUlT_T0_E_clISt17integral_constantIbLb0EES1A_EEDaS15_S16_EUlS15_E_NS1_11comp_targetILNS1_3genE8ELNS1_11target_archE1030ELNS1_3gpuE2ELNS1_3repE0EEENS1_30default_config_static_selectorELNS0_4arch9wavefront6targetE1EEEvT1_,"axG",@progbits,_ZN7rocprim17ROCPRIM_400000_NS6detail17trampoline_kernelINS0_14default_configENS1_25partition_config_selectorILNS1_17partition_subalgoE9EllbEEZZNS1_14partition_implILS5_9ELb0ES3_jPlS8_PNS0_10empty_typeENS0_5tupleIJS8_S9_EEENSB_IJS8_SA_EEENS0_18inequality_wrapperIZN2at6native12_GLOBAL__N_124unique_dim_cuda_templateIsEESt5tupleIJNSF_6TensorESK_SK_EERKSK_lbbbEUlllE0_EEPmJS9_EEE10hipError_tPvRmT3_T4_T5_T6_T7_T9_mT8_P12ihipStream_tbDpT10_ENKUlT_T0_E_clISt17integral_constantIbLb0EES1A_EEDaS15_S16_EUlS15_E_NS1_11comp_targetILNS1_3genE8ELNS1_11target_archE1030ELNS1_3gpuE2ELNS1_3repE0EEENS1_30default_config_static_selectorELNS0_4arch9wavefront6targetE1EEEvT1_,comdat
	.globl	_ZN7rocprim17ROCPRIM_400000_NS6detail17trampoline_kernelINS0_14default_configENS1_25partition_config_selectorILNS1_17partition_subalgoE9EllbEEZZNS1_14partition_implILS5_9ELb0ES3_jPlS8_PNS0_10empty_typeENS0_5tupleIJS8_S9_EEENSB_IJS8_SA_EEENS0_18inequality_wrapperIZN2at6native12_GLOBAL__N_124unique_dim_cuda_templateIsEESt5tupleIJNSF_6TensorESK_SK_EERKSK_lbbbEUlllE0_EEPmJS9_EEE10hipError_tPvRmT3_T4_T5_T6_T7_T9_mT8_P12ihipStream_tbDpT10_ENKUlT_T0_E_clISt17integral_constantIbLb0EES1A_EEDaS15_S16_EUlS15_E_NS1_11comp_targetILNS1_3genE8ELNS1_11target_archE1030ELNS1_3gpuE2ELNS1_3repE0EEENS1_30default_config_static_selectorELNS0_4arch9wavefront6targetE1EEEvT1_ ; -- Begin function _ZN7rocprim17ROCPRIM_400000_NS6detail17trampoline_kernelINS0_14default_configENS1_25partition_config_selectorILNS1_17partition_subalgoE9EllbEEZZNS1_14partition_implILS5_9ELb0ES3_jPlS8_PNS0_10empty_typeENS0_5tupleIJS8_S9_EEENSB_IJS8_SA_EEENS0_18inequality_wrapperIZN2at6native12_GLOBAL__N_124unique_dim_cuda_templateIsEESt5tupleIJNSF_6TensorESK_SK_EERKSK_lbbbEUlllE0_EEPmJS9_EEE10hipError_tPvRmT3_T4_T5_T6_T7_T9_mT8_P12ihipStream_tbDpT10_ENKUlT_T0_E_clISt17integral_constantIbLb0EES1A_EEDaS15_S16_EUlS15_E_NS1_11comp_targetILNS1_3genE8ELNS1_11target_archE1030ELNS1_3gpuE2ELNS1_3repE0EEENS1_30default_config_static_selectorELNS0_4arch9wavefront6targetE1EEEvT1_
	.p2align	8
	.type	_ZN7rocprim17ROCPRIM_400000_NS6detail17trampoline_kernelINS0_14default_configENS1_25partition_config_selectorILNS1_17partition_subalgoE9EllbEEZZNS1_14partition_implILS5_9ELb0ES3_jPlS8_PNS0_10empty_typeENS0_5tupleIJS8_S9_EEENSB_IJS8_SA_EEENS0_18inequality_wrapperIZN2at6native12_GLOBAL__N_124unique_dim_cuda_templateIsEESt5tupleIJNSF_6TensorESK_SK_EERKSK_lbbbEUlllE0_EEPmJS9_EEE10hipError_tPvRmT3_T4_T5_T6_T7_T9_mT8_P12ihipStream_tbDpT10_ENKUlT_T0_E_clISt17integral_constantIbLb0EES1A_EEDaS15_S16_EUlS15_E_NS1_11comp_targetILNS1_3genE8ELNS1_11target_archE1030ELNS1_3gpuE2ELNS1_3repE0EEENS1_30default_config_static_selectorELNS0_4arch9wavefront6targetE1EEEvT1_,@function
_ZN7rocprim17ROCPRIM_400000_NS6detail17trampoline_kernelINS0_14default_configENS1_25partition_config_selectorILNS1_17partition_subalgoE9EllbEEZZNS1_14partition_implILS5_9ELb0ES3_jPlS8_PNS0_10empty_typeENS0_5tupleIJS8_S9_EEENSB_IJS8_SA_EEENS0_18inequality_wrapperIZN2at6native12_GLOBAL__N_124unique_dim_cuda_templateIsEESt5tupleIJNSF_6TensorESK_SK_EERKSK_lbbbEUlllE0_EEPmJS9_EEE10hipError_tPvRmT3_T4_T5_T6_T7_T9_mT8_P12ihipStream_tbDpT10_ENKUlT_T0_E_clISt17integral_constantIbLb0EES1A_EEDaS15_S16_EUlS15_E_NS1_11comp_targetILNS1_3genE8ELNS1_11target_archE1030ELNS1_3gpuE2ELNS1_3repE0EEENS1_30default_config_static_selectorELNS0_4arch9wavefront6targetE1EEEvT1_: ; @_ZN7rocprim17ROCPRIM_400000_NS6detail17trampoline_kernelINS0_14default_configENS1_25partition_config_selectorILNS1_17partition_subalgoE9EllbEEZZNS1_14partition_implILS5_9ELb0ES3_jPlS8_PNS0_10empty_typeENS0_5tupleIJS8_S9_EEENSB_IJS8_SA_EEENS0_18inequality_wrapperIZN2at6native12_GLOBAL__N_124unique_dim_cuda_templateIsEESt5tupleIJNSF_6TensorESK_SK_EERKSK_lbbbEUlllE0_EEPmJS9_EEE10hipError_tPvRmT3_T4_T5_T6_T7_T9_mT8_P12ihipStream_tbDpT10_ENKUlT_T0_E_clISt17integral_constantIbLb0EES1A_EEDaS15_S16_EUlS15_E_NS1_11comp_targetILNS1_3genE8ELNS1_11target_archE1030ELNS1_3gpuE2ELNS1_3repE0EEENS1_30default_config_static_selectorELNS0_4arch9wavefront6targetE1EEEvT1_
; %bb.0:
	.section	.rodata,"a",@progbits
	.p2align	6, 0x0
	.amdhsa_kernel _ZN7rocprim17ROCPRIM_400000_NS6detail17trampoline_kernelINS0_14default_configENS1_25partition_config_selectorILNS1_17partition_subalgoE9EllbEEZZNS1_14partition_implILS5_9ELb0ES3_jPlS8_PNS0_10empty_typeENS0_5tupleIJS8_S9_EEENSB_IJS8_SA_EEENS0_18inequality_wrapperIZN2at6native12_GLOBAL__N_124unique_dim_cuda_templateIsEESt5tupleIJNSF_6TensorESK_SK_EERKSK_lbbbEUlllE0_EEPmJS9_EEE10hipError_tPvRmT3_T4_T5_T6_T7_T9_mT8_P12ihipStream_tbDpT10_ENKUlT_T0_E_clISt17integral_constantIbLb0EES1A_EEDaS15_S16_EUlS15_E_NS1_11comp_targetILNS1_3genE8ELNS1_11target_archE1030ELNS1_3gpuE2ELNS1_3repE0EEENS1_30default_config_static_selectorELNS0_4arch9wavefront6targetE1EEEvT1_
		.amdhsa_group_segment_fixed_size 0
		.amdhsa_private_segment_fixed_size 0
		.amdhsa_kernarg_size 120
		.amdhsa_user_sgpr_count 2
		.amdhsa_user_sgpr_dispatch_ptr 0
		.amdhsa_user_sgpr_queue_ptr 0
		.amdhsa_user_sgpr_kernarg_segment_ptr 1
		.amdhsa_user_sgpr_dispatch_id 0
		.amdhsa_user_sgpr_kernarg_preload_length 0
		.amdhsa_user_sgpr_kernarg_preload_offset 0
		.amdhsa_user_sgpr_private_segment_size 0
		.amdhsa_uses_dynamic_stack 0
		.amdhsa_enable_private_segment 0
		.amdhsa_system_sgpr_workgroup_id_x 1
		.amdhsa_system_sgpr_workgroup_id_y 0
		.amdhsa_system_sgpr_workgroup_id_z 0
		.amdhsa_system_sgpr_workgroup_info 0
		.amdhsa_system_vgpr_workitem_id 0
		.amdhsa_next_free_vgpr 1
		.amdhsa_next_free_sgpr 0
		.amdhsa_accum_offset 4
		.amdhsa_reserve_vcc 0
		.amdhsa_float_round_mode_32 0
		.amdhsa_float_round_mode_16_64 0
		.amdhsa_float_denorm_mode_32 3
		.amdhsa_float_denorm_mode_16_64 3
		.amdhsa_dx10_clamp 1
		.amdhsa_ieee_mode 1
		.amdhsa_fp16_overflow 0
		.amdhsa_tg_split 0
		.amdhsa_exception_fp_ieee_invalid_op 0
		.amdhsa_exception_fp_denorm_src 0
		.amdhsa_exception_fp_ieee_div_zero 0
		.amdhsa_exception_fp_ieee_overflow 0
		.amdhsa_exception_fp_ieee_underflow 0
		.amdhsa_exception_fp_ieee_inexact 0
		.amdhsa_exception_int_div_zero 0
	.end_amdhsa_kernel
	.section	.text._ZN7rocprim17ROCPRIM_400000_NS6detail17trampoline_kernelINS0_14default_configENS1_25partition_config_selectorILNS1_17partition_subalgoE9EllbEEZZNS1_14partition_implILS5_9ELb0ES3_jPlS8_PNS0_10empty_typeENS0_5tupleIJS8_S9_EEENSB_IJS8_SA_EEENS0_18inequality_wrapperIZN2at6native12_GLOBAL__N_124unique_dim_cuda_templateIsEESt5tupleIJNSF_6TensorESK_SK_EERKSK_lbbbEUlllE0_EEPmJS9_EEE10hipError_tPvRmT3_T4_T5_T6_T7_T9_mT8_P12ihipStream_tbDpT10_ENKUlT_T0_E_clISt17integral_constantIbLb0EES1A_EEDaS15_S16_EUlS15_E_NS1_11comp_targetILNS1_3genE8ELNS1_11target_archE1030ELNS1_3gpuE2ELNS1_3repE0EEENS1_30default_config_static_selectorELNS0_4arch9wavefront6targetE1EEEvT1_,"axG",@progbits,_ZN7rocprim17ROCPRIM_400000_NS6detail17trampoline_kernelINS0_14default_configENS1_25partition_config_selectorILNS1_17partition_subalgoE9EllbEEZZNS1_14partition_implILS5_9ELb0ES3_jPlS8_PNS0_10empty_typeENS0_5tupleIJS8_S9_EEENSB_IJS8_SA_EEENS0_18inequality_wrapperIZN2at6native12_GLOBAL__N_124unique_dim_cuda_templateIsEESt5tupleIJNSF_6TensorESK_SK_EERKSK_lbbbEUlllE0_EEPmJS9_EEE10hipError_tPvRmT3_T4_T5_T6_T7_T9_mT8_P12ihipStream_tbDpT10_ENKUlT_T0_E_clISt17integral_constantIbLb0EES1A_EEDaS15_S16_EUlS15_E_NS1_11comp_targetILNS1_3genE8ELNS1_11target_archE1030ELNS1_3gpuE2ELNS1_3repE0EEENS1_30default_config_static_selectorELNS0_4arch9wavefront6targetE1EEEvT1_,comdat
.Lfunc_end729:
	.size	_ZN7rocprim17ROCPRIM_400000_NS6detail17trampoline_kernelINS0_14default_configENS1_25partition_config_selectorILNS1_17partition_subalgoE9EllbEEZZNS1_14partition_implILS5_9ELb0ES3_jPlS8_PNS0_10empty_typeENS0_5tupleIJS8_S9_EEENSB_IJS8_SA_EEENS0_18inequality_wrapperIZN2at6native12_GLOBAL__N_124unique_dim_cuda_templateIsEESt5tupleIJNSF_6TensorESK_SK_EERKSK_lbbbEUlllE0_EEPmJS9_EEE10hipError_tPvRmT3_T4_T5_T6_T7_T9_mT8_P12ihipStream_tbDpT10_ENKUlT_T0_E_clISt17integral_constantIbLb0EES1A_EEDaS15_S16_EUlS15_E_NS1_11comp_targetILNS1_3genE8ELNS1_11target_archE1030ELNS1_3gpuE2ELNS1_3repE0EEENS1_30default_config_static_selectorELNS0_4arch9wavefront6targetE1EEEvT1_, .Lfunc_end729-_ZN7rocprim17ROCPRIM_400000_NS6detail17trampoline_kernelINS0_14default_configENS1_25partition_config_selectorILNS1_17partition_subalgoE9EllbEEZZNS1_14partition_implILS5_9ELb0ES3_jPlS8_PNS0_10empty_typeENS0_5tupleIJS8_S9_EEENSB_IJS8_SA_EEENS0_18inequality_wrapperIZN2at6native12_GLOBAL__N_124unique_dim_cuda_templateIsEESt5tupleIJNSF_6TensorESK_SK_EERKSK_lbbbEUlllE0_EEPmJS9_EEE10hipError_tPvRmT3_T4_T5_T6_T7_T9_mT8_P12ihipStream_tbDpT10_ENKUlT_T0_E_clISt17integral_constantIbLb0EES1A_EEDaS15_S16_EUlS15_E_NS1_11comp_targetILNS1_3genE8ELNS1_11target_archE1030ELNS1_3gpuE2ELNS1_3repE0EEENS1_30default_config_static_selectorELNS0_4arch9wavefront6targetE1EEEvT1_
                                        ; -- End function
	.section	.AMDGPU.csdata,"",@progbits
; Kernel info:
; codeLenInByte = 0
; NumSgprs: 6
; NumVgprs: 0
; NumAgprs: 0
; TotalNumVgprs: 0
; ScratchSize: 0
; MemoryBound: 0
; FloatMode: 240
; IeeeMode: 1
; LDSByteSize: 0 bytes/workgroup (compile time only)
; SGPRBlocks: 0
; VGPRBlocks: 0
; NumSGPRsForWavesPerEU: 6
; NumVGPRsForWavesPerEU: 1
; AccumOffset: 4
; Occupancy: 8
; WaveLimiterHint : 0
; COMPUTE_PGM_RSRC2:SCRATCH_EN: 0
; COMPUTE_PGM_RSRC2:USER_SGPR: 2
; COMPUTE_PGM_RSRC2:TRAP_HANDLER: 0
; COMPUTE_PGM_RSRC2:TGID_X_EN: 1
; COMPUTE_PGM_RSRC2:TGID_Y_EN: 0
; COMPUTE_PGM_RSRC2:TGID_Z_EN: 0
; COMPUTE_PGM_RSRC2:TIDIG_COMP_CNT: 0
; COMPUTE_PGM_RSRC3_GFX90A:ACCUM_OFFSET: 0
; COMPUTE_PGM_RSRC3_GFX90A:TG_SPLIT: 0
	.section	.text._ZN7rocprim17ROCPRIM_400000_NS6detail17trampoline_kernelINS0_14default_configENS1_25partition_config_selectorILNS1_17partition_subalgoE9EllbEEZZNS1_14partition_implILS5_9ELb0ES3_jPlS8_PNS0_10empty_typeENS0_5tupleIJS8_S9_EEENSB_IJS8_SA_EEENS0_18inequality_wrapperIZN2at6native12_GLOBAL__N_124unique_dim_cuda_templateIsEESt5tupleIJNSF_6TensorESK_SK_EERKSK_lbbbEUlllE0_EEPmJS9_EEE10hipError_tPvRmT3_T4_T5_T6_T7_T9_mT8_P12ihipStream_tbDpT10_ENKUlT_T0_E_clISt17integral_constantIbLb1EES1A_EEDaS15_S16_EUlS15_E_NS1_11comp_targetILNS1_3genE0ELNS1_11target_archE4294967295ELNS1_3gpuE0ELNS1_3repE0EEENS1_30default_config_static_selectorELNS0_4arch9wavefront6targetE1EEEvT1_,"axG",@progbits,_ZN7rocprim17ROCPRIM_400000_NS6detail17trampoline_kernelINS0_14default_configENS1_25partition_config_selectorILNS1_17partition_subalgoE9EllbEEZZNS1_14partition_implILS5_9ELb0ES3_jPlS8_PNS0_10empty_typeENS0_5tupleIJS8_S9_EEENSB_IJS8_SA_EEENS0_18inequality_wrapperIZN2at6native12_GLOBAL__N_124unique_dim_cuda_templateIsEESt5tupleIJNSF_6TensorESK_SK_EERKSK_lbbbEUlllE0_EEPmJS9_EEE10hipError_tPvRmT3_T4_T5_T6_T7_T9_mT8_P12ihipStream_tbDpT10_ENKUlT_T0_E_clISt17integral_constantIbLb1EES1A_EEDaS15_S16_EUlS15_E_NS1_11comp_targetILNS1_3genE0ELNS1_11target_archE4294967295ELNS1_3gpuE0ELNS1_3repE0EEENS1_30default_config_static_selectorELNS0_4arch9wavefront6targetE1EEEvT1_,comdat
	.globl	_ZN7rocprim17ROCPRIM_400000_NS6detail17trampoline_kernelINS0_14default_configENS1_25partition_config_selectorILNS1_17partition_subalgoE9EllbEEZZNS1_14partition_implILS5_9ELb0ES3_jPlS8_PNS0_10empty_typeENS0_5tupleIJS8_S9_EEENSB_IJS8_SA_EEENS0_18inequality_wrapperIZN2at6native12_GLOBAL__N_124unique_dim_cuda_templateIsEESt5tupleIJNSF_6TensorESK_SK_EERKSK_lbbbEUlllE0_EEPmJS9_EEE10hipError_tPvRmT3_T4_T5_T6_T7_T9_mT8_P12ihipStream_tbDpT10_ENKUlT_T0_E_clISt17integral_constantIbLb1EES1A_EEDaS15_S16_EUlS15_E_NS1_11comp_targetILNS1_3genE0ELNS1_11target_archE4294967295ELNS1_3gpuE0ELNS1_3repE0EEENS1_30default_config_static_selectorELNS0_4arch9wavefront6targetE1EEEvT1_ ; -- Begin function _ZN7rocprim17ROCPRIM_400000_NS6detail17trampoline_kernelINS0_14default_configENS1_25partition_config_selectorILNS1_17partition_subalgoE9EllbEEZZNS1_14partition_implILS5_9ELb0ES3_jPlS8_PNS0_10empty_typeENS0_5tupleIJS8_S9_EEENSB_IJS8_SA_EEENS0_18inequality_wrapperIZN2at6native12_GLOBAL__N_124unique_dim_cuda_templateIsEESt5tupleIJNSF_6TensorESK_SK_EERKSK_lbbbEUlllE0_EEPmJS9_EEE10hipError_tPvRmT3_T4_T5_T6_T7_T9_mT8_P12ihipStream_tbDpT10_ENKUlT_T0_E_clISt17integral_constantIbLb1EES1A_EEDaS15_S16_EUlS15_E_NS1_11comp_targetILNS1_3genE0ELNS1_11target_archE4294967295ELNS1_3gpuE0ELNS1_3repE0EEENS1_30default_config_static_selectorELNS0_4arch9wavefront6targetE1EEEvT1_
	.p2align	8
	.type	_ZN7rocprim17ROCPRIM_400000_NS6detail17trampoline_kernelINS0_14default_configENS1_25partition_config_selectorILNS1_17partition_subalgoE9EllbEEZZNS1_14partition_implILS5_9ELb0ES3_jPlS8_PNS0_10empty_typeENS0_5tupleIJS8_S9_EEENSB_IJS8_SA_EEENS0_18inequality_wrapperIZN2at6native12_GLOBAL__N_124unique_dim_cuda_templateIsEESt5tupleIJNSF_6TensorESK_SK_EERKSK_lbbbEUlllE0_EEPmJS9_EEE10hipError_tPvRmT3_T4_T5_T6_T7_T9_mT8_P12ihipStream_tbDpT10_ENKUlT_T0_E_clISt17integral_constantIbLb1EES1A_EEDaS15_S16_EUlS15_E_NS1_11comp_targetILNS1_3genE0ELNS1_11target_archE4294967295ELNS1_3gpuE0ELNS1_3repE0EEENS1_30default_config_static_selectorELNS0_4arch9wavefront6targetE1EEEvT1_,@function
_ZN7rocprim17ROCPRIM_400000_NS6detail17trampoline_kernelINS0_14default_configENS1_25partition_config_selectorILNS1_17partition_subalgoE9EllbEEZZNS1_14partition_implILS5_9ELb0ES3_jPlS8_PNS0_10empty_typeENS0_5tupleIJS8_S9_EEENSB_IJS8_SA_EEENS0_18inequality_wrapperIZN2at6native12_GLOBAL__N_124unique_dim_cuda_templateIsEESt5tupleIJNSF_6TensorESK_SK_EERKSK_lbbbEUlllE0_EEPmJS9_EEE10hipError_tPvRmT3_T4_T5_T6_T7_T9_mT8_P12ihipStream_tbDpT10_ENKUlT_T0_E_clISt17integral_constantIbLb1EES1A_EEDaS15_S16_EUlS15_E_NS1_11comp_targetILNS1_3genE0ELNS1_11target_archE4294967295ELNS1_3gpuE0ELNS1_3repE0EEENS1_30default_config_static_selectorELNS0_4arch9wavefront6targetE1EEEvT1_: ; @_ZN7rocprim17ROCPRIM_400000_NS6detail17trampoline_kernelINS0_14default_configENS1_25partition_config_selectorILNS1_17partition_subalgoE9EllbEEZZNS1_14partition_implILS5_9ELb0ES3_jPlS8_PNS0_10empty_typeENS0_5tupleIJS8_S9_EEENSB_IJS8_SA_EEENS0_18inequality_wrapperIZN2at6native12_GLOBAL__N_124unique_dim_cuda_templateIsEESt5tupleIJNSF_6TensorESK_SK_EERKSK_lbbbEUlllE0_EEPmJS9_EEE10hipError_tPvRmT3_T4_T5_T6_T7_T9_mT8_P12ihipStream_tbDpT10_ENKUlT_T0_E_clISt17integral_constantIbLb1EES1A_EEDaS15_S16_EUlS15_E_NS1_11comp_targetILNS1_3genE0ELNS1_11target_archE4294967295ELNS1_3gpuE0ELNS1_3repE0EEENS1_30default_config_static_selectorELNS0_4arch9wavefront6targetE1EEEvT1_
; %bb.0:
	.section	.rodata,"a",@progbits
	.p2align	6, 0x0
	.amdhsa_kernel _ZN7rocprim17ROCPRIM_400000_NS6detail17trampoline_kernelINS0_14default_configENS1_25partition_config_selectorILNS1_17partition_subalgoE9EllbEEZZNS1_14partition_implILS5_9ELb0ES3_jPlS8_PNS0_10empty_typeENS0_5tupleIJS8_S9_EEENSB_IJS8_SA_EEENS0_18inequality_wrapperIZN2at6native12_GLOBAL__N_124unique_dim_cuda_templateIsEESt5tupleIJNSF_6TensorESK_SK_EERKSK_lbbbEUlllE0_EEPmJS9_EEE10hipError_tPvRmT3_T4_T5_T6_T7_T9_mT8_P12ihipStream_tbDpT10_ENKUlT_T0_E_clISt17integral_constantIbLb1EES1A_EEDaS15_S16_EUlS15_E_NS1_11comp_targetILNS1_3genE0ELNS1_11target_archE4294967295ELNS1_3gpuE0ELNS1_3repE0EEENS1_30default_config_static_selectorELNS0_4arch9wavefront6targetE1EEEvT1_
		.amdhsa_group_segment_fixed_size 0
		.amdhsa_private_segment_fixed_size 0
		.amdhsa_kernarg_size 136
		.amdhsa_user_sgpr_count 2
		.amdhsa_user_sgpr_dispatch_ptr 0
		.amdhsa_user_sgpr_queue_ptr 0
		.amdhsa_user_sgpr_kernarg_segment_ptr 1
		.amdhsa_user_sgpr_dispatch_id 0
		.amdhsa_user_sgpr_kernarg_preload_length 0
		.amdhsa_user_sgpr_kernarg_preload_offset 0
		.amdhsa_user_sgpr_private_segment_size 0
		.amdhsa_uses_dynamic_stack 0
		.amdhsa_enable_private_segment 0
		.amdhsa_system_sgpr_workgroup_id_x 1
		.amdhsa_system_sgpr_workgroup_id_y 0
		.amdhsa_system_sgpr_workgroup_id_z 0
		.amdhsa_system_sgpr_workgroup_info 0
		.amdhsa_system_vgpr_workitem_id 0
		.amdhsa_next_free_vgpr 1
		.amdhsa_next_free_sgpr 0
		.amdhsa_accum_offset 4
		.amdhsa_reserve_vcc 0
		.amdhsa_float_round_mode_32 0
		.amdhsa_float_round_mode_16_64 0
		.amdhsa_float_denorm_mode_32 3
		.amdhsa_float_denorm_mode_16_64 3
		.amdhsa_dx10_clamp 1
		.amdhsa_ieee_mode 1
		.amdhsa_fp16_overflow 0
		.amdhsa_tg_split 0
		.amdhsa_exception_fp_ieee_invalid_op 0
		.amdhsa_exception_fp_denorm_src 0
		.amdhsa_exception_fp_ieee_div_zero 0
		.amdhsa_exception_fp_ieee_overflow 0
		.amdhsa_exception_fp_ieee_underflow 0
		.amdhsa_exception_fp_ieee_inexact 0
		.amdhsa_exception_int_div_zero 0
	.end_amdhsa_kernel
	.section	.text._ZN7rocprim17ROCPRIM_400000_NS6detail17trampoline_kernelINS0_14default_configENS1_25partition_config_selectorILNS1_17partition_subalgoE9EllbEEZZNS1_14partition_implILS5_9ELb0ES3_jPlS8_PNS0_10empty_typeENS0_5tupleIJS8_S9_EEENSB_IJS8_SA_EEENS0_18inequality_wrapperIZN2at6native12_GLOBAL__N_124unique_dim_cuda_templateIsEESt5tupleIJNSF_6TensorESK_SK_EERKSK_lbbbEUlllE0_EEPmJS9_EEE10hipError_tPvRmT3_T4_T5_T6_T7_T9_mT8_P12ihipStream_tbDpT10_ENKUlT_T0_E_clISt17integral_constantIbLb1EES1A_EEDaS15_S16_EUlS15_E_NS1_11comp_targetILNS1_3genE0ELNS1_11target_archE4294967295ELNS1_3gpuE0ELNS1_3repE0EEENS1_30default_config_static_selectorELNS0_4arch9wavefront6targetE1EEEvT1_,"axG",@progbits,_ZN7rocprim17ROCPRIM_400000_NS6detail17trampoline_kernelINS0_14default_configENS1_25partition_config_selectorILNS1_17partition_subalgoE9EllbEEZZNS1_14partition_implILS5_9ELb0ES3_jPlS8_PNS0_10empty_typeENS0_5tupleIJS8_S9_EEENSB_IJS8_SA_EEENS0_18inequality_wrapperIZN2at6native12_GLOBAL__N_124unique_dim_cuda_templateIsEESt5tupleIJNSF_6TensorESK_SK_EERKSK_lbbbEUlllE0_EEPmJS9_EEE10hipError_tPvRmT3_T4_T5_T6_T7_T9_mT8_P12ihipStream_tbDpT10_ENKUlT_T0_E_clISt17integral_constantIbLb1EES1A_EEDaS15_S16_EUlS15_E_NS1_11comp_targetILNS1_3genE0ELNS1_11target_archE4294967295ELNS1_3gpuE0ELNS1_3repE0EEENS1_30default_config_static_selectorELNS0_4arch9wavefront6targetE1EEEvT1_,comdat
.Lfunc_end730:
	.size	_ZN7rocprim17ROCPRIM_400000_NS6detail17trampoline_kernelINS0_14default_configENS1_25partition_config_selectorILNS1_17partition_subalgoE9EllbEEZZNS1_14partition_implILS5_9ELb0ES3_jPlS8_PNS0_10empty_typeENS0_5tupleIJS8_S9_EEENSB_IJS8_SA_EEENS0_18inequality_wrapperIZN2at6native12_GLOBAL__N_124unique_dim_cuda_templateIsEESt5tupleIJNSF_6TensorESK_SK_EERKSK_lbbbEUlllE0_EEPmJS9_EEE10hipError_tPvRmT3_T4_T5_T6_T7_T9_mT8_P12ihipStream_tbDpT10_ENKUlT_T0_E_clISt17integral_constantIbLb1EES1A_EEDaS15_S16_EUlS15_E_NS1_11comp_targetILNS1_3genE0ELNS1_11target_archE4294967295ELNS1_3gpuE0ELNS1_3repE0EEENS1_30default_config_static_selectorELNS0_4arch9wavefront6targetE1EEEvT1_, .Lfunc_end730-_ZN7rocprim17ROCPRIM_400000_NS6detail17trampoline_kernelINS0_14default_configENS1_25partition_config_selectorILNS1_17partition_subalgoE9EllbEEZZNS1_14partition_implILS5_9ELb0ES3_jPlS8_PNS0_10empty_typeENS0_5tupleIJS8_S9_EEENSB_IJS8_SA_EEENS0_18inequality_wrapperIZN2at6native12_GLOBAL__N_124unique_dim_cuda_templateIsEESt5tupleIJNSF_6TensorESK_SK_EERKSK_lbbbEUlllE0_EEPmJS9_EEE10hipError_tPvRmT3_T4_T5_T6_T7_T9_mT8_P12ihipStream_tbDpT10_ENKUlT_T0_E_clISt17integral_constantIbLb1EES1A_EEDaS15_S16_EUlS15_E_NS1_11comp_targetILNS1_3genE0ELNS1_11target_archE4294967295ELNS1_3gpuE0ELNS1_3repE0EEENS1_30default_config_static_selectorELNS0_4arch9wavefront6targetE1EEEvT1_
                                        ; -- End function
	.section	.AMDGPU.csdata,"",@progbits
; Kernel info:
; codeLenInByte = 0
; NumSgprs: 6
; NumVgprs: 0
; NumAgprs: 0
; TotalNumVgprs: 0
; ScratchSize: 0
; MemoryBound: 0
; FloatMode: 240
; IeeeMode: 1
; LDSByteSize: 0 bytes/workgroup (compile time only)
; SGPRBlocks: 0
; VGPRBlocks: 0
; NumSGPRsForWavesPerEU: 6
; NumVGPRsForWavesPerEU: 1
; AccumOffset: 4
; Occupancy: 8
; WaveLimiterHint : 0
; COMPUTE_PGM_RSRC2:SCRATCH_EN: 0
; COMPUTE_PGM_RSRC2:USER_SGPR: 2
; COMPUTE_PGM_RSRC2:TRAP_HANDLER: 0
; COMPUTE_PGM_RSRC2:TGID_X_EN: 1
; COMPUTE_PGM_RSRC2:TGID_Y_EN: 0
; COMPUTE_PGM_RSRC2:TGID_Z_EN: 0
; COMPUTE_PGM_RSRC2:TIDIG_COMP_CNT: 0
; COMPUTE_PGM_RSRC3_GFX90A:ACCUM_OFFSET: 0
; COMPUTE_PGM_RSRC3_GFX90A:TG_SPLIT: 0
	.section	.text._ZN7rocprim17ROCPRIM_400000_NS6detail17trampoline_kernelINS0_14default_configENS1_25partition_config_selectorILNS1_17partition_subalgoE9EllbEEZZNS1_14partition_implILS5_9ELb0ES3_jPlS8_PNS0_10empty_typeENS0_5tupleIJS8_S9_EEENSB_IJS8_SA_EEENS0_18inequality_wrapperIZN2at6native12_GLOBAL__N_124unique_dim_cuda_templateIsEESt5tupleIJNSF_6TensorESK_SK_EERKSK_lbbbEUlllE0_EEPmJS9_EEE10hipError_tPvRmT3_T4_T5_T6_T7_T9_mT8_P12ihipStream_tbDpT10_ENKUlT_T0_E_clISt17integral_constantIbLb1EES1A_EEDaS15_S16_EUlS15_E_NS1_11comp_targetILNS1_3genE5ELNS1_11target_archE942ELNS1_3gpuE9ELNS1_3repE0EEENS1_30default_config_static_selectorELNS0_4arch9wavefront6targetE1EEEvT1_,"axG",@progbits,_ZN7rocprim17ROCPRIM_400000_NS6detail17trampoline_kernelINS0_14default_configENS1_25partition_config_selectorILNS1_17partition_subalgoE9EllbEEZZNS1_14partition_implILS5_9ELb0ES3_jPlS8_PNS0_10empty_typeENS0_5tupleIJS8_S9_EEENSB_IJS8_SA_EEENS0_18inequality_wrapperIZN2at6native12_GLOBAL__N_124unique_dim_cuda_templateIsEESt5tupleIJNSF_6TensorESK_SK_EERKSK_lbbbEUlllE0_EEPmJS9_EEE10hipError_tPvRmT3_T4_T5_T6_T7_T9_mT8_P12ihipStream_tbDpT10_ENKUlT_T0_E_clISt17integral_constantIbLb1EES1A_EEDaS15_S16_EUlS15_E_NS1_11comp_targetILNS1_3genE5ELNS1_11target_archE942ELNS1_3gpuE9ELNS1_3repE0EEENS1_30default_config_static_selectorELNS0_4arch9wavefront6targetE1EEEvT1_,comdat
	.globl	_ZN7rocprim17ROCPRIM_400000_NS6detail17trampoline_kernelINS0_14default_configENS1_25partition_config_selectorILNS1_17partition_subalgoE9EllbEEZZNS1_14partition_implILS5_9ELb0ES3_jPlS8_PNS0_10empty_typeENS0_5tupleIJS8_S9_EEENSB_IJS8_SA_EEENS0_18inequality_wrapperIZN2at6native12_GLOBAL__N_124unique_dim_cuda_templateIsEESt5tupleIJNSF_6TensorESK_SK_EERKSK_lbbbEUlllE0_EEPmJS9_EEE10hipError_tPvRmT3_T4_T5_T6_T7_T9_mT8_P12ihipStream_tbDpT10_ENKUlT_T0_E_clISt17integral_constantIbLb1EES1A_EEDaS15_S16_EUlS15_E_NS1_11comp_targetILNS1_3genE5ELNS1_11target_archE942ELNS1_3gpuE9ELNS1_3repE0EEENS1_30default_config_static_selectorELNS0_4arch9wavefront6targetE1EEEvT1_ ; -- Begin function _ZN7rocprim17ROCPRIM_400000_NS6detail17trampoline_kernelINS0_14default_configENS1_25partition_config_selectorILNS1_17partition_subalgoE9EllbEEZZNS1_14partition_implILS5_9ELb0ES3_jPlS8_PNS0_10empty_typeENS0_5tupleIJS8_S9_EEENSB_IJS8_SA_EEENS0_18inequality_wrapperIZN2at6native12_GLOBAL__N_124unique_dim_cuda_templateIsEESt5tupleIJNSF_6TensorESK_SK_EERKSK_lbbbEUlllE0_EEPmJS9_EEE10hipError_tPvRmT3_T4_T5_T6_T7_T9_mT8_P12ihipStream_tbDpT10_ENKUlT_T0_E_clISt17integral_constantIbLb1EES1A_EEDaS15_S16_EUlS15_E_NS1_11comp_targetILNS1_3genE5ELNS1_11target_archE942ELNS1_3gpuE9ELNS1_3repE0EEENS1_30default_config_static_selectorELNS0_4arch9wavefront6targetE1EEEvT1_
	.p2align	8
	.type	_ZN7rocprim17ROCPRIM_400000_NS6detail17trampoline_kernelINS0_14default_configENS1_25partition_config_selectorILNS1_17partition_subalgoE9EllbEEZZNS1_14partition_implILS5_9ELb0ES3_jPlS8_PNS0_10empty_typeENS0_5tupleIJS8_S9_EEENSB_IJS8_SA_EEENS0_18inequality_wrapperIZN2at6native12_GLOBAL__N_124unique_dim_cuda_templateIsEESt5tupleIJNSF_6TensorESK_SK_EERKSK_lbbbEUlllE0_EEPmJS9_EEE10hipError_tPvRmT3_T4_T5_T6_T7_T9_mT8_P12ihipStream_tbDpT10_ENKUlT_T0_E_clISt17integral_constantIbLb1EES1A_EEDaS15_S16_EUlS15_E_NS1_11comp_targetILNS1_3genE5ELNS1_11target_archE942ELNS1_3gpuE9ELNS1_3repE0EEENS1_30default_config_static_selectorELNS0_4arch9wavefront6targetE1EEEvT1_,@function
_ZN7rocprim17ROCPRIM_400000_NS6detail17trampoline_kernelINS0_14default_configENS1_25partition_config_selectorILNS1_17partition_subalgoE9EllbEEZZNS1_14partition_implILS5_9ELb0ES3_jPlS8_PNS0_10empty_typeENS0_5tupleIJS8_S9_EEENSB_IJS8_SA_EEENS0_18inequality_wrapperIZN2at6native12_GLOBAL__N_124unique_dim_cuda_templateIsEESt5tupleIJNSF_6TensorESK_SK_EERKSK_lbbbEUlllE0_EEPmJS9_EEE10hipError_tPvRmT3_T4_T5_T6_T7_T9_mT8_P12ihipStream_tbDpT10_ENKUlT_T0_E_clISt17integral_constantIbLb1EES1A_EEDaS15_S16_EUlS15_E_NS1_11comp_targetILNS1_3genE5ELNS1_11target_archE942ELNS1_3gpuE9ELNS1_3repE0EEENS1_30default_config_static_selectorELNS0_4arch9wavefront6targetE1EEEvT1_: ; @_ZN7rocprim17ROCPRIM_400000_NS6detail17trampoline_kernelINS0_14default_configENS1_25partition_config_selectorILNS1_17partition_subalgoE9EllbEEZZNS1_14partition_implILS5_9ELb0ES3_jPlS8_PNS0_10empty_typeENS0_5tupleIJS8_S9_EEENSB_IJS8_SA_EEENS0_18inequality_wrapperIZN2at6native12_GLOBAL__N_124unique_dim_cuda_templateIsEESt5tupleIJNSF_6TensorESK_SK_EERKSK_lbbbEUlllE0_EEPmJS9_EEE10hipError_tPvRmT3_T4_T5_T6_T7_T9_mT8_P12ihipStream_tbDpT10_ENKUlT_T0_E_clISt17integral_constantIbLb1EES1A_EEDaS15_S16_EUlS15_E_NS1_11comp_targetILNS1_3genE5ELNS1_11target_archE942ELNS1_3gpuE9ELNS1_3repE0EEENS1_30default_config_static_selectorELNS0_4arch9wavefront6targetE1EEEvT1_
; %bb.0:
	s_load_dwordx4 s[4:7], s[0:1], 0x8
	s_load_dwordx2 s[10:11], s[0:1], 0x18
	s_load_dwordx8 s[20:27], s[0:1], 0x40
	s_load_dwordx4 s[36:39], s[0:1], 0x60
	v_cmp_ne_u32_e64 s[2:3], 0, v0
	v_cmp_eq_u32_e64 s[18:19], 0, v0
	s_and_saveexec_b64 s[8:9], s[18:19]
	s_cbranch_execz .LBB731_4
; %bb.1:
	s_mov_b64 s[14:15], exec
	v_mbcnt_lo_u32_b32 v1, s14, 0
	v_mbcnt_hi_u32_b32 v1, s15, v1
	v_cmp_eq_u32_e32 vcc, 0, v1
                                        ; implicit-def: $vgpr2
	s_and_saveexec_b64 s[12:13], vcc
	s_cbranch_execz .LBB731_3
; %bb.2:
	s_load_dwordx2 s[16:17], s[0:1], 0x78
	s_bcnt1_i32_b64 s14, s[14:15]
	v_mov_b32_e32 v2, 0
	v_mov_b32_e32 v3, s14
	s_waitcnt lgkmcnt(0)
	global_atomic_add v2, v2, v3, s[16:17] sc0
.LBB731_3:
	s_or_b64 exec, exec, s[12:13]
	s_waitcnt vmcnt(0)
	v_readfirstlane_b32 s12, v2
	v_mov_b32_e32 v2, 0
	s_nop 0
	v_add_u32_e32 v1, s12, v1
	ds_write_b32 v2, v1
.LBB731_4:
	s_or_b64 exec, exec, s[8:9]
	v_mov_b32_e32 v3, 0
	s_load_dwordx4 s[28:31], s[0:1], 0x28
	s_load_dword s8, s[0:1], 0x70
	s_waitcnt lgkmcnt(0)
	s_barrier
	ds_read_b32 v1, v3
	s_waitcnt lgkmcnt(0)
	s_barrier
	global_load_dwordx2 v[4:5], v3, s[22:23]
	s_lshl_b64 s[12:13], s[6:7], 3
	s_mul_i32 s14, s8, 0xe00
	s_add_u32 s16, s4, s12
	s_addc_u32 s17, s5, s13
	s_add_i32 s4, s14, s6
	s_sub_i32 s54, s24, s4
	s_add_i32 s15, s8, -1
	s_addk_i32 s54, 0xe00
	s_add_u32 s4, s6, s14
	v_readfirstlane_b32 s33, v1
	s_addc_u32 s5, s7, 0
	v_mov_b32_e32 v6, s24
	v_mov_b32_e32 v7, s25
	s_cmp_eq_u32 s33, s15
	s_mov_b32 s9, 0
	s_mul_i32 s8, s33, 0xe00
	v_cmp_ge_u64_e32 vcc, s[4:5], v[6:7]
	s_cselect_b64 s[24:25], -1, 0
	s_lshl_b64 s[14:15], s[8:9], 3
	s_and_b64 s[8:9], vcc, s[24:25]
	s_xor_b64 s[34:35], s[8:9], -1
	s_add_u32 s4, s16, s14
	s_mov_b64 s[0:1], -1
	s_addc_u32 s5, s17, s15
	s_and_b64 vcc, exec, s[34:35]
	s_waitcnt vmcnt(0)
	v_readfirstlane_b32 s22, v4
	v_readfirstlane_b32 s23, v5
	s_cbranch_vccz .LBB731_6
; %bb.5:
	v_lshlrev_b32_e32 v2, 3, v0
	v_lshl_add_u64 v[4:5], s[4:5], 0, v[2:3]
	v_add_co_u32_e32 v8, vcc, 0x1000, v4
	global_load_dwordx2 v[6:7], v2, s[4:5]
	s_nop 0
	v_addc_co_u32_e32 v9, vcc, 0, v5, vcc
	v_add_co_u32_e32 v10, vcc, 0x2000, v4
	s_mov_b64 s[0:1], 0
	s_nop 0
	v_addc_co_u32_e32 v11, vcc, 0, v5, vcc
	v_add_co_u32_e32 v12, vcc, 0x3000, v4
	s_nop 1
	v_addc_co_u32_e32 v13, vcc, 0, v5, vcc
	v_add_co_u32_e32 v14, vcc, 0x4000, v4
	s_nop 1
	v_addc_co_u32_e32 v15, vcc, 0, v5, vcc
	global_load_dwordx2 v[16:17], v[8:9], off
	global_load_dwordx2 v[18:19], v[10:11], off
	;; [unrolled: 1-line block ×4, first 2 shown]
	v_add_co_u32_e32 v8, vcc, 0x5000, v4
	s_nop 1
	v_addc_co_u32_e32 v9, vcc, 0, v5, vcc
	v_add_co_u32_e32 v4, vcc, 0x6000, v4
	global_load_dwordx2 v[8:9], v[8:9], off
	s_nop 0
	v_addc_co_u32_e32 v5, vcc, 0, v5, vcc
	global_load_dwordx2 v[4:5], v[4:5], off
	s_waitcnt vmcnt(5)
	ds_write2st64_b64 v2, v[6:7], v[16:17] offset1:8
	s_waitcnt vmcnt(3)
	ds_write2st64_b64 v2, v[18:19], v[20:21] offset0:16 offset1:24
	s_waitcnt vmcnt(1)
	ds_write2st64_b64 v2, v[22:23], v[8:9] offset0:32 offset1:40
	s_waitcnt vmcnt(0)
	ds_write_b64 v2, v[4:5] offset:24576
	s_waitcnt lgkmcnt(0)
	s_barrier
.LBB731_6:
	s_andn2_b64 vcc, exec, s[0:1]
	v_cmp_gt_u32_e64 s[0:1], s54, v0
	s_cbranch_vccnz .LBB731_22
; %bb.7:
                                        ; implicit-def: $vgpr2_vgpr3_vgpr4_vgpr5_vgpr6_vgpr7_vgpr8_vgpr9_vgpr10_vgpr11_vgpr12_vgpr13_vgpr14_vgpr15_vgpr16_vgpr17
	s_and_saveexec_b64 s[16:17], s[0:1]
	s_cbranch_execz .LBB731_9
; %bb.8:
	v_lshlrev_b32_e32 v1, 3, v0
	global_load_dwordx2 v[2:3], v1, s[4:5]
.LBB731_9:
	s_or_b64 exec, exec, s[16:17]
	v_or_b32_e32 v1, 0x200, v0
	v_cmp_gt_u32_e32 vcc, s54, v1
	s_and_saveexec_b64 s[0:1], vcc
	s_cbranch_execz .LBB731_11
; %bb.10:
	v_lshlrev_b32_e32 v1, 3, v1
	global_load_dwordx2 v[4:5], v1, s[4:5]
.LBB731_11:
	s_or_b64 exec, exec, s[0:1]
	v_or_b32_e32 v1, 0x400, v0
	v_cmp_gt_u32_e32 vcc, s54, v1
	s_and_saveexec_b64 s[0:1], vcc
	;; [unrolled: 9-line block ×6, first 2 shown]
	s_cbranch_execz .LBB731_21
; %bb.20:
	v_lshlrev_b32_e32 v1, 3, v1
	global_load_dwordx2 v[14:15], v1, s[4:5]
.LBB731_21:
	s_or_b64 exec, exec, s[0:1]
	v_lshlrev_b32_e32 v1, 3, v0
	s_waitcnt vmcnt(0)
	ds_write2st64_b64 v1, v[2:3], v[4:5] offset1:8
	ds_write2st64_b64 v1, v[6:7], v[8:9] offset0:16 offset1:24
	ds_write2st64_b64 v1, v[10:11], v[12:13] offset0:32 offset1:40
	ds_write_b64 v1, v[14:15] offset:24576
	s_waitcnt lgkmcnt(0)
	s_barrier
.LBB731_22:
	v_mul_u32_u24_e32 v1, 7, v0
	v_lshlrev_b32_e32 v46, 3, v1
	ds_read2_b64 v[22:25], v46 offset1:1
	ds_read2_b64 v[18:21], v46 offset0:2 offset1:3
	ds_read2_b64 v[14:17], v46 offset0:4 offset1:5
	ds_read_b64 v[28:29], v46 offset:48
	s_add_u32 s0, s10, s12
	s_addc_u32 s1, s11, s13
	s_add_u32 s0, s0, s14
	s_addc_u32 s1, s1, s15
	s_mov_b64 s[10:11], -1
	s_and_b64 vcc, exec, s[34:35]
	s_waitcnt lgkmcnt(0)
	s_barrier
	s_cbranch_vccz .LBB731_24
; %bb.23:
	v_lshlrev_b32_e32 v2, 3, v0
	v_mov_b32_e32 v3, 0
	v_lshl_add_u64 v[4:5], s[0:1], 0, v[2:3]
	v_add_co_u32_e32 v8, vcc, 0x1000, v4
	global_load_dwordx2 v[6:7], v2, s[0:1]
	s_nop 0
	v_addc_co_u32_e32 v9, vcc, 0, v5, vcc
	v_add_co_u32_e32 v10, vcc, 0x2000, v4
	s_mov_b64 s[10:11], 0
	s_nop 0
	v_addc_co_u32_e32 v11, vcc, 0, v5, vcc
	v_add_co_u32_e32 v12, vcc, 0x3000, v4
	s_nop 1
	v_addc_co_u32_e32 v13, vcc, 0, v5, vcc
	v_add_co_u32_e32 v26, vcc, 0x4000, v4
	s_nop 1
	v_addc_co_u32_e32 v27, vcc, 0, v5, vcc
	global_load_dwordx2 v[30:31], v[8:9], off
	global_load_dwordx2 v[32:33], v[10:11], off
	;; [unrolled: 1-line block ×4, first 2 shown]
	v_add_co_u32_e32 v8, vcc, 0x5000, v4
	s_nop 1
	v_addc_co_u32_e32 v9, vcc, 0, v5, vcc
	v_add_co_u32_e32 v4, vcc, 0x6000, v4
	global_load_dwordx2 v[8:9], v[8:9], off
	s_nop 0
	v_addc_co_u32_e32 v5, vcc, 0, v5, vcc
	global_load_dwordx2 v[4:5], v[4:5], off
	s_waitcnt vmcnt(5)
	ds_write2st64_b64 v2, v[6:7], v[30:31] offset1:8
	s_waitcnt vmcnt(3)
	ds_write2st64_b64 v2, v[32:33], v[34:35] offset0:16 offset1:24
	s_waitcnt vmcnt(1)
	ds_write2st64_b64 v2, v[36:37], v[8:9] offset0:32 offset1:40
	s_waitcnt vmcnt(0)
	ds_write_b64 v2, v[4:5] offset:24576
	s_waitcnt lgkmcnt(0)
	s_barrier
.LBB731_24:
	s_andn2_b64 vcc, exec, s[10:11]
	s_cbranch_vccnz .LBB731_40
; %bb.25:
	v_cmp_gt_u32_e32 vcc, s54, v0
                                        ; implicit-def: $vgpr2_vgpr3
	s_and_saveexec_b64 s[10:11], vcc
	s_cbranch_execz .LBB731_27
; %bb.26:
	v_lshlrev_b32_e32 v2, 3, v0
	global_load_dwordx2 v[2:3], v2, s[0:1]
.LBB731_27:
	s_or_b64 exec, exec, s[10:11]
	v_or_b32_e32 v6, 0x200, v0
	v_cmp_gt_u32_e32 vcc, s54, v6
                                        ; implicit-def: $vgpr4_vgpr5
	s_and_saveexec_b64 s[10:11], vcc
	s_cbranch_execz .LBB731_29
; %bb.28:
	v_lshlrev_b32_e32 v4, 3, v6
	global_load_dwordx2 v[4:5], v4, s[0:1]
.LBB731_29:
	s_or_b64 exec, exec, s[10:11]
	v_or_b32_e32 v8, 0x400, v0
	v_cmp_gt_u32_e32 vcc, s54, v8
                                        ; implicit-def: $vgpr6_vgpr7
	s_and_saveexec_b64 s[10:11], vcc
	s_cbranch_execz .LBB731_31
; %bb.30:
	v_lshlrev_b32_e32 v6, 3, v8
	global_load_dwordx2 v[6:7], v6, s[0:1]
.LBB731_31:
	s_or_b64 exec, exec, s[10:11]
	v_or_b32_e32 v10, 0x600, v0
	v_cmp_gt_u32_e32 vcc, s54, v10
                                        ; implicit-def: $vgpr8_vgpr9
	s_and_saveexec_b64 s[10:11], vcc
	s_cbranch_execz .LBB731_33
; %bb.32:
	v_lshlrev_b32_e32 v8, 3, v10
	global_load_dwordx2 v[8:9], v8, s[0:1]
.LBB731_33:
	s_or_b64 exec, exec, s[10:11]
	v_or_b32_e32 v12, 0x800, v0
	v_cmp_gt_u32_e32 vcc, s54, v12
                                        ; implicit-def: $vgpr10_vgpr11
	s_and_saveexec_b64 s[10:11], vcc
	s_cbranch_execz .LBB731_35
; %bb.34:
	v_lshlrev_b32_e32 v10, 3, v12
	global_load_dwordx2 v[10:11], v10, s[0:1]
.LBB731_35:
	s_or_b64 exec, exec, s[10:11]
	v_or_b32_e32 v26, 0xa00, v0
	v_cmp_gt_u32_e32 vcc, s54, v26
                                        ; implicit-def: $vgpr12_vgpr13
	s_and_saveexec_b64 s[10:11], vcc
	s_cbranch_execz .LBB731_37
; %bb.36:
	v_lshlrev_b32_e32 v12, 3, v26
	global_load_dwordx2 v[12:13], v12, s[0:1]
.LBB731_37:
	s_or_b64 exec, exec, s[10:11]
	v_or_b32_e32 v30, 0xc00, v0
	v_cmp_gt_u32_e32 vcc, s54, v30
                                        ; implicit-def: $vgpr26_vgpr27
	s_and_saveexec_b64 s[10:11], vcc
	s_cbranch_execz .LBB731_39
; %bb.38:
	v_lshlrev_b32_e32 v26, 3, v30
	global_load_dwordx2 v[26:27], v26, s[0:1]
.LBB731_39:
	s_or_b64 exec, exec, s[10:11]
	s_movk_i32 s0, 0xffd0
	v_mad_i32_i24 v30, v0, s0, v46
	s_waitcnt vmcnt(0)
	ds_write2st64_b64 v30, v[2:3], v[4:5] offset1:8
	ds_write2st64_b64 v30, v[6:7], v[8:9] offset0:16 offset1:24
	ds_write2st64_b64 v30, v[10:11], v[12:13] offset0:32 offset1:40
	ds_write_b64 v30, v[26:27] offset:24576
	s_waitcnt lgkmcnt(0)
	s_barrier
.LBB731_40:
	ds_read2_b64 v[10:13], v46 offset1:1
	ds_read2_b64 v[6:9], v46 offset0:2 offset1:3
	ds_read2_b64 v[2:5], v46 offset0:4 offset1:5
	ds_read_b64 v[26:27], v46 offset:48
	s_cmp_lg_u32 s33, 0
	s_cselect_b64 s[0:1], -1, 0
	s_cmp_lg_u64 s[6:7], 0
	s_cselect_b64 s[6:7], -1, 0
	s_or_b64 s[6:7], s[6:7], s[0:1]
	v_add_u32_e32 v43, 1, v1
	v_add_u32_e32 v40, 2, v1
	;; [unrolled: 1-line block ×6, first 2 shown]
	s_mov_b64 s[10:11], 0
	s_and_b64 vcc, exec, s[6:7]
	v_cmp_gt_i64_e64 s[12:13], s[26:27], 0
	s_waitcnt lgkmcnt(0)
	s_barrier
	s_cbranch_vccz .LBB731_49
; %bb.41:
	v_mov_b32_e32 v30, 0
	global_load_dwordx2 v[30:31], v30, s[4:5] offset:-8
	v_cndmask_b32_e64 v32, 0, 1, s[12:13]
	v_lshlrev_b32_e32 v47, 3, v0
	s_mov_b64 s[6:7], 0
	s_and_b64 vcc, exec, s[34:35]
	v_cmp_ne_u32_e64 s[4:5], 1, v32
	ds_write_b64 v47, v[28:29]
	s_cbranch_vccz .LBB731_51
; %bb.42:
	v_mul_lo_u32 v34, v17, s26
	v_mul_lo_u32 v35, v16, s27
	v_mad_u64_u32 v[32:33], s[10:11], v16, s26, 0
	v_add3_u32 v33, v33, v35, v34
	s_and_b64 vcc, exec, s[4:5]
	v_lshl_add_u64 v[32:33], v[32:33], 1, s[36:37]
	s_cbranch_vccnz .LBB731_54
; %bb.43:
	v_mul_lo_u32 v36, v29, s26
	v_mul_lo_u32 v37, v28, s27
	v_mad_u64_u32 v[34:35], s[6:7], v28, s26, 0
	v_add3_u32 v35, v35, v37, v36
	v_lshl_add_u64 v[34:35], v[34:35], 1, s[36:37]
	global_load_ushort v36, v[32:33], off
	global_load_ushort v37, v[34:35], off
	s_mov_b64 s[6:7], -1
	s_waitcnt vmcnt(0)
	v_cmp_eq_u16_e32 vcc, v36, v37
	s_and_saveexec_b64 s[10:11], vcc
	s_cbranch_execz .LBB731_53
; %bb.44:
	s_add_u32 s6, s26, -1
	v_lshl_add_u64 v[34:35], v[34:35], 0, 2
	v_lshl_add_u64 v[36:37], v[32:33], 0, 2
	s_addc_u32 s7, s27, -1
	s_mov_b64 s[12:13], 0
	s_mov_b64 s[16:17], 0
                                        ; implicit-def: $sgpr14_sgpr15
	s_branch .LBB731_47
.LBB731_45:                             ;   in Loop: Header=BB731_47 Depth=1
	global_load_ushort v38, v[36:37], off
	global_load_ushort v39, v[34:35], off
	s_add_u32 s16, s16, 1
	s_addc_u32 s17, s17, 0
	s_andn2_b64 s[14:15], s[14:15], exec
	v_lshl_add_u64 v[34:35], v[34:35], 0, 2
	v_lshl_add_u64 v[36:37], v[36:37], 0, 2
	s_waitcnt vmcnt(0)
	v_cmp_ne_u16_e32 vcc, v38, v39
	s_and_b64 s[40:41], vcc, exec
	s_or_b64 s[14:15], s[14:15], s[40:41]
.LBB731_46:                             ;   in Loop: Header=BB731_47 Depth=1
	s_and_b64 s[40:41], exec, s[14:15]
	s_or_b64 s[12:13], s[40:41], s[12:13]
	v_mov_b64_e32 v[38:39], s[16:17]
	s_andn2_b64 exec, exec, s[12:13]
	s_cbranch_execz .LBB731_52
.LBB731_47:                             ; =>This Inner Loop Header: Depth=1
	s_or_b64 s[14:15], s[14:15], exec
	s_cmp_eq_u64 s[6:7], s[16:17]
	s_cbranch_scc0 .LBB731_45
; %bb.48:                               ;   in Loop: Header=BB731_47 Depth=1
                                        ; implicit-def: $vgpr34_vgpr35
                                        ; implicit-def: $vgpr36_vgpr37
	s_mov_b64 s[16:17], s[26:27]
	s_branch .LBB731_46
.LBB731_49:
                                        ; implicit-def: $sgpr14_sgpr15
                                        ; implicit-def: $vgpr49
                                        ; implicit-def: $vgpr48
                                        ; implicit-def: $vgpr39
                                        ; implicit-def: $vgpr34
	s_branch .LBB731_192
.LBB731_50:
                                        ; implicit-def: $vgpr30_vgpr31
	s_branch .LBB731_340
.LBB731_51:
                                        ; implicit-def: $sgpr14_sgpr15
                                        ; implicit-def: $vgpr49
                                        ; implicit-def: $vgpr48
                                        ; implicit-def: $vgpr39
                                        ; implicit-def: $vgpr34
	s_cbranch_execnz .LBB731_111
	s_branch .LBB731_191
.LBB731_52:
	s_or_b64 exec, exec, s[12:13]
	v_cmp_gt_i64_e32 vcc, s[26:27], v[38:39]
	s_orn2_b64 s[6:7], vcc, exec
.LBB731_53:
	s_or_b64 exec, exec, s[10:11]
.LBB731_54:
	v_mul_lo_u32 v36, v15, s26
	v_mul_lo_u32 v37, v14, s27
	v_mad_u64_u32 v[34:35], s[10:11], v14, s26, 0
	v_add3_u32 v35, v35, v37, v36
	s_mov_b64 s[10:11], 0
	s_and_b64 vcc, exec, s[4:5]
	v_lshl_add_u64 v[34:35], v[34:35], 1, s[36:37]
	s_mov_b64 s[12:13], 0
	s_cbranch_vccnz .LBB731_63
; %bb.55:
	global_load_ushort v36, v[34:35], off
	global_load_ushort v37, v[32:33], off
	s_mov_b64 s[12:13], -1
	s_waitcnt vmcnt(0)
	v_cmp_eq_u16_e32 vcc, v36, v37
	s_and_saveexec_b64 s[14:15], vcc
	s_cbranch_execz .LBB731_62
; %bb.56:
	s_add_u32 s12, s26, -1
	v_lshl_add_u64 v[32:33], v[32:33], 0, 2
	v_lshl_add_u64 v[36:37], v[34:35], 0, 2
	s_addc_u32 s13, s27, -1
	s_mov_b64 s[16:17], 0
	s_mov_b64 s[42:43], 0
                                        ; implicit-def: $sgpr40_sgpr41
	s_branch .LBB731_59
.LBB731_57:                             ;   in Loop: Header=BB731_59 Depth=1
	global_load_ushort v38, v[36:37], off
	global_load_ushort v39, v[32:33], off
	s_add_u32 s42, s42, 1
	s_addc_u32 s43, s43, 0
	s_andn2_b64 s[40:41], s[40:41], exec
	v_lshl_add_u64 v[32:33], v[32:33], 0, 2
	v_lshl_add_u64 v[36:37], v[36:37], 0, 2
	s_waitcnt vmcnt(0)
	v_cmp_ne_u16_e32 vcc, v38, v39
	s_and_b64 s[44:45], vcc, exec
	s_or_b64 s[40:41], s[40:41], s[44:45]
.LBB731_58:                             ;   in Loop: Header=BB731_59 Depth=1
	s_and_b64 s[44:45], exec, s[40:41]
	s_or_b64 s[16:17], s[44:45], s[16:17]
	v_mov_b64_e32 v[38:39], s[42:43]
	s_andn2_b64 exec, exec, s[16:17]
	s_cbranch_execz .LBB731_61
.LBB731_59:                             ; =>This Inner Loop Header: Depth=1
	s_or_b64 s[40:41], s[40:41], exec
	s_cmp_eq_u64 s[12:13], s[42:43]
	s_cbranch_scc0 .LBB731_57
; %bb.60:                               ;   in Loop: Header=BB731_59 Depth=1
                                        ; implicit-def: $vgpr32_vgpr33
                                        ; implicit-def: $vgpr36_vgpr37
	s_mov_b64 s[42:43], s[26:27]
	s_branch .LBB731_58
.LBB731_61:
	s_or_b64 exec, exec, s[16:17]
	v_cmp_gt_i64_e32 vcc, s[26:27], v[38:39]
	s_orn2_b64 s[12:13], vcc, exec
.LBB731_62:
	s_or_b64 exec, exec, s[14:15]
.LBB731_63:
	v_mul_lo_u32 v36, v21, s26
	v_mul_lo_u32 v37, v20, s27
	v_mad_u64_u32 v[32:33], s[14:15], v20, s26, 0
	v_add3_u32 v33, v33, v37, v36
	s_and_b64 vcc, exec, s[4:5]
	v_lshl_add_u64 v[32:33], v[32:33], 1, s[36:37]
	s_cbranch_vccnz .LBB731_72
; %bb.64:
	global_load_ushort v36, v[32:33], off
	global_load_ushort v37, v[34:35], off
	s_mov_b64 s[10:11], -1
	s_waitcnt vmcnt(0)
	v_cmp_eq_u16_e32 vcc, v36, v37
	s_and_saveexec_b64 s[14:15], vcc
	s_cbranch_execz .LBB731_71
; %bb.65:
	s_add_u32 s10, s26, -1
	v_lshl_add_u64 v[34:35], v[34:35], 0, 2
	v_lshl_add_u64 v[36:37], v[32:33], 0, 2
	s_addc_u32 s11, s27, -1
	s_mov_b64 s[16:17], 0
	s_mov_b64 s[42:43], 0
                                        ; implicit-def: $sgpr40_sgpr41
	s_branch .LBB731_68
.LBB731_66:                             ;   in Loop: Header=BB731_68 Depth=1
	global_load_ushort v38, v[36:37], off
	global_load_ushort v39, v[34:35], off
	s_add_u32 s42, s42, 1
	s_addc_u32 s43, s43, 0
	s_andn2_b64 s[40:41], s[40:41], exec
	v_lshl_add_u64 v[34:35], v[34:35], 0, 2
	v_lshl_add_u64 v[36:37], v[36:37], 0, 2
	s_waitcnt vmcnt(0)
	v_cmp_ne_u16_e32 vcc, v38, v39
	s_and_b64 s[44:45], vcc, exec
	s_or_b64 s[40:41], s[40:41], s[44:45]
.LBB731_67:                             ;   in Loop: Header=BB731_68 Depth=1
	s_and_b64 s[44:45], exec, s[40:41]
	s_or_b64 s[16:17], s[44:45], s[16:17]
	v_mov_b64_e32 v[38:39], s[42:43]
	s_andn2_b64 exec, exec, s[16:17]
	s_cbranch_execz .LBB731_70
.LBB731_68:                             ; =>This Inner Loop Header: Depth=1
	s_or_b64 s[40:41], s[40:41], exec
	s_cmp_eq_u64 s[10:11], s[42:43]
	s_cbranch_scc0 .LBB731_66
; %bb.69:                               ;   in Loop: Header=BB731_68 Depth=1
                                        ; implicit-def: $vgpr34_vgpr35
                                        ; implicit-def: $vgpr36_vgpr37
	s_mov_b64 s[42:43], s[26:27]
	s_branch .LBB731_67
.LBB731_70:
	s_or_b64 exec, exec, s[16:17]
	v_cmp_gt_i64_e32 vcc, s[26:27], v[38:39]
	s_orn2_b64 s[10:11], vcc, exec
.LBB731_71:
	s_or_b64 exec, exec, s[14:15]
.LBB731_72:
	v_mul_lo_u32 v36, v19, s26
	v_mul_lo_u32 v37, v18, s27
	v_mad_u64_u32 v[34:35], s[14:15], v18, s26, 0
	v_add3_u32 v35, v35, v37, v36
	s_mov_b64 s[14:15], 0
	s_and_b64 vcc, exec, s[4:5]
	v_lshl_add_u64 v[36:37], v[34:35], 1, s[36:37]
	s_mov_b64 s[16:17], 0
	s_cbranch_vccnz .LBB731_81
; %bb.73:
	global_load_ushort v34, v[36:37], off
	global_load_ushort v35, v[32:33], off
	s_mov_b64 s[16:17], -1
	s_waitcnt vmcnt(0)
	v_cmp_eq_u16_e32 vcc, v34, v35
	s_and_saveexec_b64 s[40:41], vcc
	s_cbranch_execz .LBB731_80
; %bb.74:
	s_add_u32 s16, s26, -1
	v_lshl_add_u64 v[32:33], v[32:33], 0, 2
	v_lshl_add_u64 v[34:35], v[36:37], 0, 2
	s_addc_u32 s17, s27, -1
	s_mov_b64 s[42:43], 0
	s_mov_b64 s[46:47], 0
                                        ; implicit-def: $sgpr44_sgpr45
	s_branch .LBB731_77
.LBB731_75:                             ;   in Loop: Header=BB731_77 Depth=1
	global_load_ushort v38, v[34:35], off
	global_load_ushort v39, v[32:33], off
	s_add_u32 s46, s46, 1
	s_addc_u32 s47, s47, 0
	s_andn2_b64 s[44:45], s[44:45], exec
	v_lshl_add_u64 v[32:33], v[32:33], 0, 2
	v_lshl_add_u64 v[34:35], v[34:35], 0, 2
	s_waitcnt vmcnt(0)
	v_cmp_ne_u16_e32 vcc, v38, v39
	s_and_b64 s[48:49], vcc, exec
	s_or_b64 s[44:45], s[44:45], s[48:49]
.LBB731_76:                             ;   in Loop: Header=BB731_77 Depth=1
	s_and_b64 s[48:49], exec, s[44:45]
	s_or_b64 s[42:43], s[48:49], s[42:43]
	v_mov_b64_e32 v[38:39], s[46:47]
	s_andn2_b64 exec, exec, s[42:43]
	s_cbranch_execz .LBB731_79
.LBB731_77:                             ; =>This Inner Loop Header: Depth=1
	s_or_b64 s[44:45], s[44:45], exec
	s_cmp_eq_u64 s[16:17], s[46:47]
	s_cbranch_scc0 .LBB731_75
; %bb.78:                               ;   in Loop: Header=BB731_77 Depth=1
                                        ; implicit-def: $vgpr32_vgpr33
                                        ; implicit-def: $vgpr34_vgpr35
	s_mov_b64 s[46:47], s[26:27]
	s_branch .LBB731_76
.LBB731_79:
	s_or_b64 exec, exec, s[42:43]
	v_cmp_gt_i64_e32 vcc, s[26:27], v[38:39]
	s_orn2_b64 s[16:17], vcc, exec
.LBB731_80:
	s_or_b64 exec, exec, s[40:41]
.LBB731_81:
	v_mul_lo_u32 v34, v25, s26
	v_mul_lo_u32 v35, v24, s27
	v_mad_u64_u32 v[32:33], s[40:41], v24, s26, 0
	v_add3_u32 v33, v33, v35, v34
	s_and_b64 vcc, exec, s[4:5]
	v_lshl_add_u64 v[34:35], v[32:33], 1, s[36:37]
	s_cbranch_vccnz .LBB731_90
; %bb.82:
	global_load_ushort v32, v[34:35], off
	global_load_ushort v33, v[36:37], off
	s_mov_b64 s[14:15], -1
	s_waitcnt vmcnt(0)
	v_cmp_eq_u16_e32 vcc, v32, v33
	s_and_saveexec_b64 s[40:41], vcc
	s_cbranch_execz .LBB731_89
; %bb.83:
	s_add_u32 s14, s26, -1
	v_lshl_add_u64 v[32:33], v[36:37], 0, 2
	v_lshl_add_u64 v[36:37], v[34:35], 0, 2
	s_addc_u32 s15, s27, -1
	s_mov_b64 s[42:43], 0
	s_mov_b64 s[46:47], 0
                                        ; implicit-def: $sgpr44_sgpr45
	s_branch .LBB731_86
.LBB731_84:                             ;   in Loop: Header=BB731_86 Depth=1
	global_load_ushort v38, v[36:37], off
	global_load_ushort v39, v[32:33], off
	s_add_u32 s46, s46, 1
	s_addc_u32 s47, s47, 0
	s_andn2_b64 s[44:45], s[44:45], exec
	v_lshl_add_u64 v[32:33], v[32:33], 0, 2
	v_lshl_add_u64 v[36:37], v[36:37], 0, 2
	s_waitcnt vmcnt(0)
	v_cmp_ne_u16_e32 vcc, v38, v39
	s_and_b64 s[48:49], vcc, exec
	s_or_b64 s[44:45], s[44:45], s[48:49]
.LBB731_85:                             ;   in Loop: Header=BB731_86 Depth=1
	s_and_b64 s[48:49], exec, s[44:45]
	s_or_b64 s[42:43], s[48:49], s[42:43]
	v_mov_b64_e32 v[38:39], s[46:47]
	s_andn2_b64 exec, exec, s[42:43]
	s_cbranch_execz .LBB731_88
.LBB731_86:                             ; =>This Inner Loop Header: Depth=1
	s_or_b64 s[44:45], s[44:45], exec
	s_cmp_eq_u64 s[14:15], s[46:47]
	s_cbranch_scc0 .LBB731_84
; %bb.87:                               ;   in Loop: Header=BB731_86 Depth=1
                                        ; implicit-def: $vgpr32_vgpr33
                                        ; implicit-def: $vgpr36_vgpr37
	s_mov_b64 s[46:47], s[26:27]
	s_branch .LBB731_85
.LBB731_88:
	s_or_b64 exec, exec, s[42:43]
	v_cmp_gt_i64_e32 vcc, s[26:27], v[38:39]
	s_orn2_b64 s[14:15], vcc, exec
.LBB731_89:
	s_or_b64 exec, exec, s[40:41]
.LBB731_90:
	v_mul_lo_u32 v36, v23, s26
	v_mul_lo_u32 v37, v22, s27
	v_mad_u64_u32 v[32:33], s[40:41], v22, s26, 0
	v_add3_u32 v33, v33, v37, v36
	s_mov_b64 s[42:43], 0
	s_and_b64 vcc, exec, s[4:5]
	v_lshl_add_u64 v[32:33], v[32:33], 1, s[36:37]
	s_cbranch_vccnz .LBB731_99
; %bb.91:
	global_load_ushort v36, v[32:33], off
	global_load_ushort v37, v[34:35], off
	s_mov_b64 s[42:43], -1
	s_waitcnt vmcnt(0)
	v_cmp_eq_u16_e32 vcc, v36, v37
	s_and_saveexec_b64 s[40:41], vcc
	s_cbranch_execz .LBB731_98
; %bb.92:
	s_add_u32 s42, s26, -1
	v_lshl_add_u64 v[34:35], v[34:35], 0, 2
	v_lshl_add_u64 v[36:37], v[32:33], 0, 2
	s_addc_u32 s43, s27, -1
	s_mov_b64 s[44:45], 0
	s_mov_b64 s[48:49], 0
                                        ; implicit-def: $sgpr46_sgpr47
	s_branch .LBB731_95
.LBB731_93:                             ;   in Loop: Header=BB731_95 Depth=1
	global_load_ushort v38, v[36:37], off
	global_load_ushort v39, v[34:35], off
	s_add_u32 s48, s48, 1
	s_addc_u32 s49, s49, 0
	s_andn2_b64 s[46:47], s[46:47], exec
	v_lshl_add_u64 v[34:35], v[34:35], 0, 2
	v_lshl_add_u64 v[36:37], v[36:37], 0, 2
	s_waitcnt vmcnt(0)
	v_cmp_ne_u16_e32 vcc, v38, v39
	s_and_b64 s[50:51], vcc, exec
	s_or_b64 s[46:47], s[46:47], s[50:51]
.LBB731_94:                             ;   in Loop: Header=BB731_95 Depth=1
	s_and_b64 s[50:51], exec, s[46:47]
	s_or_b64 s[44:45], s[50:51], s[44:45]
	v_mov_b64_e32 v[38:39], s[48:49]
	s_andn2_b64 exec, exec, s[44:45]
	s_cbranch_execz .LBB731_97
.LBB731_95:                             ; =>This Inner Loop Header: Depth=1
	s_or_b64 s[46:47], s[46:47], exec
	s_cmp_eq_u64 s[42:43], s[48:49]
	s_cbranch_scc0 .LBB731_93
; %bb.96:                               ;   in Loop: Header=BB731_95 Depth=1
                                        ; implicit-def: $vgpr34_vgpr35
                                        ; implicit-def: $vgpr36_vgpr37
	s_mov_b64 s[48:49], s[26:27]
	s_branch .LBB731_94
.LBB731_97:
	s_or_b64 exec, exec, s[44:45]
	v_cmp_gt_i64_e32 vcc, s[26:27], v[38:39]
	s_orn2_b64 s[42:43], vcc, exec
.LBB731_98:
	s_or_b64 exec, exec, s[40:41]
.LBB731_99:
	s_waitcnt vmcnt(0)
	v_mov_b64_e32 v[34:35], v[30:31]
	s_waitcnt lgkmcnt(0)
	s_barrier
	s_and_saveexec_b64 s[40:41], s[2:3]
	s_cbranch_execz .LBB731_101
; %bb.100:
	v_add_u32_e32 v34, -8, v47
	ds_read_b64 v[34:35], v34
.LBB731_101:
	s_or_b64 exec, exec, s[40:41]
	v_cndmask_b32_e64 v37, 0, 1, s[16:17]
	v_cndmask_b32_e64 v36, 0, 1, s[14:15]
	;; [unrolled: 1-line block ×3, first 2 shown]
	v_lshlrev_b16_e32 v37, 8, v37
	v_lshlrev_b16_e32 v38, 8, v38
	v_or_b32_sdwa v50, v36, v37 dst_sel:WORD_1 dst_unused:UNUSED_PAD src0_sel:DWORD src1_sel:DWORD
	s_mov_b64 s[16:17], 0
	s_and_b64 vcc, exec, s[4:5]
	s_mov_b64 s[14:15], 0
	s_cbranch_vccnz .LBB731_110
; %bb.102:
	s_waitcnt lgkmcnt(0)
	v_mul_lo_u32 v36, v35, s26
	v_mul_lo_u32 v37, v34, s27
	v_mad_u64_u32 v[34:35], s[14:15], v34, s26, 0
	v_add3_u32 v35, v35, v37, v36
	v_lshl_add_u64 v[34:35], v[34:35], 1, s[36:37]
	global_load_ushort v36, v[34:35], off
	global_load_ushort v37, v[32:33], off
	s_mov_b64 s[14:15], -1
	s_waitcnt vmcnt(0)
	v_cmp_eq_u16_e32 vcc, v36, v37
	s_and_saveexec_b64 s[40:41], vcc
	s_cbranch_execz .LBB731_109
; %bb.103:
	s_add_u32 s14, s26, -1
	v_lshl_add_u64 v[32:33], v[32:33], 0, 2
	v_lshl_add_u64 v[34:35], v[34:35], 0, 2
	s_addc_u32 s15, s27, -1
	s_mov_b64 s[42:43], 0
	s_mov_b64 s[46:47], 0
                                        ; implicit-def: $sgpr44_sgpr45
	s_branch .LBB731_106
.LBB731_104:                            ;   in Loop: Header=BB731_106 Depth=1
	global_load_ushort v36, v[34:35], off
	global_load_ushort v37, v[32:33], off
	s_add_u32 s46, s46, 1
	s_addc_u32 s47, s47, 0
	s_andn2_b64 s[44:45], s[44:45], exec
	v_lshl_add_u64 v[32:33], v[32:33], 0, 2
	v_lshl_add_u64 v[34:35], v[34:35], 0, 2
	s_waitcnt vmcnt(0)
	v_cmp_ne_u16_e32 vcc, v36, v37
	s_and_b64 s[48:49], vcc, exec
	s_or_b64 s[44:45], s[44:45], s[48:49]
.LBB731_105:                            ;   in Loop: Header=BB731_106 Depth=1
	s_and_b64 s[48:49], exec, s[44:45]
	s_or_b64 s[42:43], s[48:49], s[42:43]
	v_mov_b64_e32 v[36:37], s[46:47]
	s_andn2_b64 exec, exec, s[42:43]
	s_cbranch_execz .LBB731_108
.LBB731_106:                            ; =>This Inner Loop Header: Depth=1
	s_or_b64 s[44:45], s[44:45], exec
	s_cmp_eq_u64 s[14:15], s[46:47]
	s_cbranch_scc0 .LBB731_104
; %bb.107:                              ;   in Loop: Header=BB731_106 Depth=1
                                        ; implicit-def: $vgpr32_vgpr33
                                        ; implicit-def: $vgpr34_vgpr35
	s_mov_b64 s[46:47], s[26:27]
	s_branch .LBB731_105
.LBB731_108:
	s_or_b64 exec, exec, s[42:43]
	v_cmp_gt_i64_e32 vcc, s[26:27], v[36:37]
	s_orn2_b64 s[14:15], vcc, exec
.LBB731_109:
	s_or_b64 exec, exec, s[40:41]
.LBB731_110:
	v_cndmask_b32_e64 v39, 0, 1, s[10:11]
	v_cndmask_b32_e64 v48, 0, 1, s[12:13]
	;; [unrolled: 1-line block ×3, first 2 shown]
	s_waitcnt lgkmcnt(0)
	v_or_b32_e32 v34, v38, v50
	s_and_b64 vcc, exec, s[16:17]
	s_cbranch_vccz .LBB731_191
.LBB731_111:
	v_cmp_gt_u32_e32 vcc, s54, v42
	s_mov_b64 s[10:11], 0
	s_mov_b64 s[6:7], 0
	s_and_saveexec_b64 s[12:13], vcc
	s_cbranch_execz .LBB731_122
; %bb.112:
	s_and_b64 vcc, exec, s[4:5]
	s_mov_b64 s[14:15], 0
	s_cbranch_vccnz .LBB731_121
; %bb.113:
	v_mul_lo_u32 v34, v17, s26
	v_mul_lo_u32 v35, v16, s27
	v_mad_u64_u32 v[32:33], s[6:7], v16, s26, 0
	v_add3_u32 v33, v33, v35, v34
	v_mul_lo_u32 v34, v29, s26
	v_mul_lo_u32 v35, v28, s27
	v_mad_u64_u32 v[36:37], s[6:7], v28, s26, 0
	v_add3_u32 v37, v37, v35, v34
	v_lshl_add_u64 v[34:35], v[32:33], 1, s[36:37]
	v_lshl_add_u64 v[32:33], v[36:37], 1, s[36:37]
	global_load_ushort v36, v[34:35], off
	global_load_ushort v37, v[32:33], off
	s_mov_b64 s[14:15], -1
	s_waitcnt vmcnt(0)
	v_cmp_eq_u16_e32 vcc, v36, v37
	s_and_saveexec_b64 s[6:7], vcc
	s_cbranch_execz .LBB731_120
; %bb.114:
	s_add_u32 s14, s26, -1
	v_lshl_add_u64 v[32:33], v[32:33], 0, 2
	v_lshl_add_u64 v[34:35], v[34:35], 0, 2
	s_addc_u32 s15, s27, -1
	s_mov_b64 s[16:17], 0
	s_mov_b64 s[42:43], 0
                                        ; implicit-def: $sgpr40_sgpr41
	s_branch .LBB731_117
.LBB731_115:                            ;   in Loop: Header=BB731_117 Depth=1
	global_load_ushort v36, v[34:35], off
	global_load_ushort v37, v[32:33], off
	s_add_u32 s42, s42, 1
	s_addc_u32 s43, s43, 0
	s_andn2_b64 s[40:41], s[40:41], exec
	v_lshl_add_u64 v[32:33], v[32:33], 0, 2
	v_lshl_add_u64 v[34:35], v[34:35], 0, 2
	s_waitcnt vmcnt(0)
	v_cmp_ne_u16_e32 vcc, v36, v37
	s_and_b64 s[44:45], vcc, exec
	s_or_b64 s[40:41], s[40:41], s[44:45]
.LBB731_116:                            ;   in Loop: Header=BB731_117 Depth=1
	s_and_b64 s[44:45], exec, s[40:41]
	s_or_b64 s[16:17], s[44:45], s[16:17]
	v_mov_b64_e32 v[36:37], s[42:43]
	s_andn2_b64 exec, exec, s[16:17]
	s_cbranch_execz .LBB731_119
.LBB731_117:                            ; =>This Inner Loop Header: Depth=1
	s_or_b64 s[40:41], s[40:41], exec
	s_cmp_eq_u64 s[14:15], s[42:43]
	s_cbranch_scc0 .LBB731_115
; %bb.118:                              ;   in Loop: Header=BB731_117 Depth=1
                                        ; implicit-def: $vgpr32_vgpr33
                                        ; implicit-def: $vgpr34_vgpr35
	s_mov_b64 s[42:43], s[26:27]
	s_branch .LBB731_116
.LBB731_119:
	s_or_b64 exec, exec, s[16:17]
	v_cmp_gt_i64_e32 vcc, s[26:27], v[36:37]
	s_orn2_b64 s[14:15], vcc, exec
.LBB731_120:
	s_or_b64 exec, exec, s[6:7]
.LBB731_121:
	s_and_b64 s[6:7], s[14:15], exec
.LBB731_122:
	s_or_b64 exec, exec, s[12:13]
	v_cmp_gt_u32_e32 vcc, s54, v45
	s_and_saveexec_b64 s[12:13], vcc
	s_cbranch_execz .LBB731_133
; %bb.123:
	s_and_b64 vcc, exec, s[4:5]
	s_mov_b64 s[14:15], 0
	s_cbranch_vccnz .LBB731_132
; %bb.124:
	v_mul_lo_u32 v34, v15, s26
	v_mul_lo_u32 v35, v14, s27
	v_mad_u64_u32 v[32:33], s[10:11], v14, s26, 0
	v_add3_u32 v33, v33, v35, v34
	v_mul_lo_u32 v34, v17, s26
	v_mul_lo_u32 v35, v16, s27
	v_mad_u64_u32 v[36:37], s[10:11], v16, s26, 0
	v_add3_u32 v37, v37, v35, v34
	v_lshl_add_u64 v[34:35], v[32:33], 1, s[36:37]
	v_lshl_add_u64 v[32:33], v[36:37], 1, s[36:37]
	global_load_ushort v36, v[34:35], off
	global_load_ushort v37, v[32:33], off
	s_mov_b64 s[14:15], -1
	s_waitcnt vmcnt(0)
	v_cmp_eq_u16_e32 vcc, v36, v37
	s_and_saveexec_b64 s[10:11], vcc
	s_cbranch_execz .LBB731_131
; %bb.125:
	s_add_u32 s14, s26, -1
	v_lshl_add_u64 v[32:33], v[32:33], 0, 2
	v_lshl_add_u64 v[34:35], v[34:35], 0, 2
	s_addc_u32 s15, s27, -1
	s_mov_b64 s[16:17], 0
	s_mov_b64 s[42:43], 0
                                        ; implicit-def: $sgpr40_sgpr41
	s_branch .LBB731_128
.LBB731_126:                            ;   in Loop: Header=BB731_128 Depth=1
	global_load_ushort v36, v[34:35], off
	global_load_ushort v37, v[32:33], off
	s_add_u32 s42, s42, 1
	s_addc_u32 s43, s43, 0
	s_andn2_b64 s[40:41], s[40:41], exec
	v_lshl_add_u64 v[32:33], v[32:33], 0, 2
	v_lshl_add_u64 v[34:35], v[34:35], 0, 2
	s_waitcnt vmcnt(0)
	v_cmp_ne_u16_e32 vcc, v36, v37
	s_and_b64 s[44:45], vcc, exec
	s_or_b64 s[40:41], s[40:41], s[44:45]
.LBB731_127:                            ;   in Loop: Header=BB731_128 Depth=1
	s_and_b64 s[44:45], exec, s[40:41]
	s_or_b64 s[16:17], s[44:45], s[16:17]
	v_mov_b64_e32 v[36:37], s[42:43]
	s_andn2_b64 exec, exec, s[16:17]
	s_cbranch_execz .LBB731_130
.LBB731_128:                            ; =>This Inner Loop Header: Depth=1
	s_or_b64 s[40:41], s[40:41], exec
	s_cmp_eq_u64 s[14:15], s[42:43]
	s_cbranch_scc0 .LBB731_126
; %bb.129:                              ;   in Loop: Header=BB731_128 Depth=1
                                        ; implicit-def: $vgpr32_vgpr33
                                        ; implicit-def: $vgpr34_vgpr35
	s_mov_b64 s[42:43], s[26:27]
	s_branch .LBB731_127
.LBB731_130:
	s_or_b64 exec, exec, s[16:17]
	v_cmp_gt_i64_e32 vcc, s[26:27], v[36:37]
	s_orn2_b64 s[14:15], vcc, exec
.LBB731_131:
	s_or_b64 exec, exec, s[10:11]
.LBB731_132:
	s_and_b64 s[10:11], s[14:15], exec
.LBB731_133:
	s_or_b64 exec, exec, s[12:13]
	v_cmp_gt_u32_e32 vcc, s54, v41
	s_mov_b64 s[14:15], 0
	s_mov_b64 s[12:13], 0
	s_and_saveexec_b64 s[16:17], vcc
	s_cbranch_execz .LBB731_144
; %bb.134:
	s_and_b64 vcc, exec, s[4:5]
	s_mov_b64 s[40:41], 0
	s_cbranch_vccnz .LBB731_143
; %bb.135:
	v_mul_lo_u32 v34, v21, s26
	v_mul_lo_u32 v35, v20, s27
	v_mad_u64_u32 v[32:33], s[12:13], v20, s26, 0
	v_add3_u32 v33, v33, v35, v34
	v_mul_lo_u32 v34, v15, s26
	v_mul_lo_u32 v35, v14, s27
	v_mad_u64_u32 v[36:37], s[12:13], v14, s26, 0
	v_add3_u32 v37, v37, v35, v34
	v_lshl_add_u64 v[34:35], v[32:33], 1, s[36:37]
	v_lshl_add_u64 v[32:33], v[36:37], 1, s[36:37]
	global_load_ushort v36, v[34:35], off
	global_load_ushort v37, v[32:33], off
	s_mov_b64 s[40:41], -1
	s_waitcnt vmcnt(0)
	v_cmp_eq_u16_e32 vcc, v36, v37
	s_and_saveexec_b64 s[12:13], vcc
	s_cbranch_execz .LBB731_142
; %bb.136:
	s_add_u32 s40, s26, -1
	v_lshl_add_u64 v[32:33], v[32:33], 0, 2
	v_lshl_add_u64 v[34:35], v[34:35], 0, 2
	s_addc_u32 s41, s27, -1
	s_mov_b64 s[42:43], 0
	s_mov_b64 s[46:47], 0
                                        ; implicit-def: $sgpr44_sgpr45
	s_branch .LBB731_139
.LBB731_137:                            ;   in Loop: Header=BB731_139 Depth=1
	global_load_ushort v36, v[34:35], off
	global_load_ushort v37, v[32:33], off
	s_add_u32 s46, s46, 1
	s_addc_u32 s47, s47, 0
	s_andn2_b64 s[44:45], s[44:45], exec
	v_lshl_add_u64 v[32:33], v[32:33], 0, 2
	v_lshl_add_u64 v[34:35], v[34:35], 0, 2
	s_waitcnt vmcnt(0)
	v_cmp_ne_u16_e32 vcc, v36, v37
	s_and_b64 s[48:49], vcc, exec
	s_or_b64 s[44:45], s[44:45], s[48:49]
.LBB731_138:                            ;   in Loop: Header=BB731_139 Depth=1
	s_and_b64 s[48:49], exec, s[44:45]
	s_or_b64 s[42:43], s[48:49], s[42:43]
	v_mov_b64_e32 v[36:37], s[46:47]
	s_andn2_b64 exec, exec, s[42:43]
	s_cbranch_execz .LBB731_141
.LBB731_139:                            ; =>This Inner Loop Header: Depth=1
	s_or_b64 s[44:45], s[44:45], exec
	s_cmp_eq_u64 s[40:41], s[46:47]
	s_cbranch_scc0 .LBB731_137
; %bb.140:                              ;   in Loop: Header=BB731_139 Depth=1
                                        ; implicit-def: $vgpr32_vgpr33
                                        ; implicit-def: $vgpr34_vgpr35
	s_mov_b64 s[46:47], s[26:27]
	s_branch .LBB731_138
.LBB731_141:
	s_or_b64 exec, exec, s[42:43]
	v_cmp_gt_i64_e32 vcc, s[26:27], v[36:37]
	s_orn2_b64 s[40:41], vcc, exec
.LBB731_142:
	s_or_b64 exec, exec, s[12:13]
.LBB731_143:
	s_and_b64 s[12:13], s[40:41], exec
.LBB731_144:
	s_or_b64 exec, exec, s[16:17]
	v_cmp_gt_u32_e32 vcc, s54, v44
	s_and_saveexec_b64 s[16:17], vcc
	s_cbranch_execz .LBB731_155
; %bb.145:
	s_and_b64 vcc, exec, s[4:5]
	s_mov_b64 s[40:41], 0
	s_cbranch_vccnz .LBB731_154
; %bb.146:
	v_mul_lo_u32 v34, v19, s26
	v_mul_lo_u32 v35, v18, s27
	v_mad_u64_u32 v[32:33], s[14:15], v18, s26, 0
	v_add3_u32 v33, v33, v35, v34
	v_mul_lo_u32 v34, v21, s26
	v_mul_lo_u32 v35, v20, s27
	v_mad_u64_u32 v[36:37], s[14:15], v20, s26, 0
	v_add3_u32 v37, v37, v35, v34
	v_lshl_add_u64 v[34:35], v[32:33], 1, s[36:37]
	v_lshl_add_u64 v[32:33], v[36:37], 1, s[36:37]
	global_load_ushort v36, v[34:35], off
	global_load_ushort v37, v[32:33], off
	s_mov_b64 s[40:41], -1
	s_waitcnt vmcnt(0)
	v_cmp_eq_u16_e32 vcc, v36, v37
	s_and_saveexec_b64 s[14:15], vcc
	s_cbranch_execz .LBB731_153
; %bb.147:
	s_add_u32 s40, s26, -1
	v_lshl_add_u64 v[32:33], v[32:33], 0, 2
	v_lshl_add_u64 v[34:35], v[34:35], 0, 2
	s_addc_u32 s41, s27, -1
	s_mov_b64 s[42:43], 0
	s_mov_b64 s[46:47], 0
                                        ; implicit-def: $sgpr44_sgpr45
	s_branch .LBB731_150
.LBB731_148:                            ;   in Loop: Header=BB731_150 Depth=1
	global_load_ushort v36, v[34:35], off
	global_load_ushort v37, v[32:33], off
	s_add_u32 s46, s46, 1
	s_addc_u32 s47, s47, 0
	s_andn2_b64 s[44:45], s[44:45], exec
	v_lshl_add_u64 v[32:33], v[32:33], 0, 2
	v_lshl_add_u64 v[34:35], v[34:35], 0, 2
	s_waitcnt vmcnt(0)
	v_cmp_ne_u16_e32 vcc, v36, v37
	s_and_b64 s[48:49], vcc, exec
	s_or_b64 s[44:45], s[44:45], s[48:49]
.LBB731_149:                            ;   in Loop: Header=BB731_150 Depth=1
	s_and_b64 s[48:49], exec, s[44:45]
	s_or_b64 s[42:43], s[48:49], s[42:43]
	v_mov_b64_e32 v[36:37], s[46:47]
	s_andn2_b64 exec, exec, s[42:43]
	s_cbranch_execz .LBB731_152
.LBB731_150:                            ; =>This Inner Loop Header: Depth=1
	s_or_b64 s[44:45], s[44:45], exec
	s_cmp_eq_u64 s[40:41], s[46:47]
	s_cbranch_scc0 .LBB731_148
; %bb.151:                              ;   in Loop: Header=BB731_150 Depth=1
                                        ; implicit-def: $vgpr32_vgpr33
                                        ; implicit-def: $vgpr34_vgpr35
	s_mov_b64 s[46:47], s[26:27]
	s_branch .LBB731_149
.LBB731_152:
	s_or_b64 exec, exec, s[42:43]
	v_cmp_gt_i64_e32 vcc, s[26:27], v[36:37]
	s_orn2_b64 s[40:41], vcc, exec
.LBB731_153:
	s_or_b64 exec, exec, s[14:15]
.LBB731_154:
	s_and_b64 s[14:15], s[40:41], exec
.LBB731_155:
	s_or_b64 exec, exec, s[16:17]
	v_cmp_gt_u32_e32 vcc, s54, v40
	s_mov_b64 s[16:17], 0
	s_mov_b64 s[40:41], 0
	s_and_saveexec_b64 s[42:43], vcc
	s_cbranch_execz .LBB731_166
; %bb.156:
	s_and_b64 vcc, exec, s[4:5]
	s_mov_b64 s[44:45], 0
	s_cbranch_vccnz .LBB731_165
; %bb.157:
	v_mul_lo_u32 v34, v25, s26
	v_mul_lo_u32 v35, v24, s27
	v_mad_u64_u32 v[32:33], s[40:41], v24, s26, 0
	v_add3_u32 v33, v33, v35, v34
	v_mul_lo_u32 v34, v19, s26
	v_mul_lo_u32 v35, v18, s27
	v_mad_u64_u32 v[36:37], s[40:41], v18, s26, 0
	v_add3_u32 v37, v37, v35, v34
	v_lshl_add_u64 v[34:35], v[32:33], 1, s[36:37]
	v_lshl_add_u64 v[32:33], v[36:37], 1, s[36:37]
	global_load_ushort v36, v[34:35], off
	global_load_ushort v37, v[32:33], off
	s_mov_b64 s[44:45], -1
	s_waitcnt vmcnt(0)
	v_cmp_eq_u16_e32 vcc, v36, v37
	s_and_saveexec_b64 s[40:41], vcc
	s_cbranch_execz .LBB731_164
; %bb.158:
	s_add_u32 s44, s26, -1
	v_lshl_add_u64 v[32:33], v[32:33], 0, 2
	v_lshl_add_u64 v[34:35], v[34:35], 0, 2
	s_addc_u32 s45, s27, -1
	s_mov_b64 s[46:47], 0
	s_mov_b64 s[50:51], 0
                                        ; implicit-def: $sgpr48_sgpr49
	s_branch .LBB731_161
.LBB731_159:                            ;   in Loop: Header=BB731_161 Depth=1
	global_load_ushort v36, v[34:35], off
	global_load_ushort v37, v[32:33], off
	s_add_u32 s50, s50, 1
	s_addc_u32 s51, s51, 0
	s_andn2_b64 s[48:49], s[48:49], exec
	v_lshl_add_u64 v[32:33], v[32:33], 0, 2
	v_lshl_add_u64 v[34:35], v[34:35], 0, 2
	s_waitcnt vmcnt(0)
	v_cmp_ne_u16_e32 vcc, v36, v37
	s_and_b64 s[52:53], vcc, exec
	s_or_b64 s[48:49], s[48:49], s[52:53]
.LBB731_160:                            ;   in Loop: Header=BB731_161 Depth=1
	s_and_b64 s[52:53], exec, s[48:49]
	s_or_b64 s[46:47], s[52:53], s[46:47]
	v_mov_b64_e32 v[36:37], s[50:51]
	s_andn2_b64 exec, exec, s[46:47]
	s_cbranch_execz .LBB731_163
.LBB731_161:                            ; =>This Inner Loop Header: Depth=1
	s_or_b64 s[48:49], s[48:49], exec
	s_cmp_eq_u64 s[44:45], s[50:51]
	s_cbranch_scc0 .LBB731_159
; %bb.162:                              ;   in Loop: Header=BB731_161 Depth=1
                                        ; implicit-def: $vgpr32_vgpr33
                                        ; implicit-def: $vgpr34_vgpr35
	s_mov_b64 s[50:51], s[26:27]
	s_branch .LBB731_160
.LBB731_163:
	s_or_b64 exec, exec, s[46:47]
	v_cmp_gt_i64_e32 vcc, s[26:27], v[36:37]
	s_orn2_b64 s[44:45], vcc, exec
.LBB731_164:
	s_or_b64 exec, exec, s[40:41]
.LBB731_165:
	s_and_b64 s[40:41], s[44:45], exec
.LBB731_166:
	s_or_b64 exec, exec, s[42:43]
	v_cmp_gt_u32_e32 vcc, s54, v43
	s_and_saveexec_b64 s[42:43], vcc
	s_cbranch_execz .LBB731_177
; %bb.167:
	s_and_b64 vcc, exec, s[4:5]
	s_mov_b64 s[44:45], 0
	s_cbranch_vccnz .LBB731_176
; %bb.168:
	v_mul_lo_u32 v34, v23, s26
	v_mul_lo_u32 v35, v22, s27
	v_mad_u64_u32 v[32:33], s[16:17], v22, s26, 0
	v_add3_u32 v33, v33, v35, v34
	v_mul_lo_u32 v34, v25, s26
	v_mul_lo_u32 v35, v24, s27
	v_mad_u64_u32 v[36:37], s[16:17], v24, s26, 0
	v_add3_u32 v37, v37, v35, v34
	v_lshl_add_u64 v[34:35], v[32:33], 1, s[36:37]
	v_lshl_add_u64 v[32:33], v[36:37], 1, s[36:37]
	global_load_ushort v36, v[34:35], off
	global_load_ushort v37, v[32:33], off
	s_mov_b64 s[44:45], -1
	s_waitcnt vmcnt(0)
	v_cmp_eq_u16_e32 vcc, v36, v37
	s_and_saveexec_b64 s[16:17], vcc
	s_cbranch_execz .LBB731_175
; %bb.169:
	s_add_u32 s44, s26, -1
	v_lshl_add_u64 v[32:33], v[32:33], 0, 2
	v_lshl_add_u64 v[34:35], v[34:35], 0, 2
	s_addc_u32 s45, s27, -1
	s_mov_b64 s[46:47], 0
	s_mov_b64 s[50:51], 0
                                        ; implicit-def: $sgpr48_sgpr49
	s_branch .LBB731_172
.LBB731_170:                            ;   in Loop: Header=BB731_172 Depth=1
	global_load_ushort v36, v[34:35], off
	global_load_ushort v37, v[32:33], off
	s_add_u32 s50, s50, 1
	s_addc_u32 s51, s51, 0
	s_andn2_b64 s[48:49], s[48:49], exec
	v_lshl_add_u64 v[32:33], v[32:33], 0, 2
	v_lshl_add_u64 v[34:35], v[34:35], 0, 2
	s_waitcnt vmcnt(0)
	v_cmp_ne_u16_e32 vcc, v36, v37
	s_and_b64 s[52:53], vcc, exec
	s_or_b64 s[48:49], s[48:49], s[52:53]
.LBB731_171:                            ;   in Loop: Header=BB731_172 Depth=1
	s_and_b64 s[52:53], exec, s[48:49]
	s_or_b64 s[46:47], s[52:53], s[46:47]
	v_mov_b64_e32 v[36:37], s[50:51]
	s_andn2_b64 exec, exec, s[46:47]
	s_cbranch_execz .LBB731_174
.LBB731_172:                            ; =>This Inner Loop Header: Depth=1
	s_or_b64 s[48:49], s[48:49], exec
	s_cmp_eq_u64 s[44:45], s[50:51]
	s_cbranch_scc0 .LBB731_170
; %bb.173:                              ;   in Loop: Header=BB731_172 Depth=1
                                        ; implicit-def: $vgpr32_vgpr33
                                        ; implicit-def: $vgpr34_vgpr35
	s_mov_b64 s[50:51], s[26:27]
	s_branch .LBB731_171
.LBB731_174:
	s_or_b64 exec, exec, s[46:47]
	v_cmp_gt_i64_e32 vcc, s[26:27], v[36:37]
	s_orn2_b64 s[44:45], vcc, exec
.LBB731_175:
	s_or_b64 exec, exec, s[16:17]
.LBB731_176:
	s_and_b64 s[16:17], s[44:45], exec
.LBB731_177:
	s_or_b64 exec, exec, s[42:43]
	s_waitcnt lgkmcnt(0)
	s_barrier
	s_and_saveexec_b64 s[42:43], s[2:3]
	s_cbranch_execz .LBB731_179
; %bb.178:
	s_waitcnt vmcnt(0)
	v_add_u32_e32 v30, -8, v47
	ds_read_b64 v[30:31], v30
.LBB731_179:
	s_or_b64 exec, exec, s[42:43]
	v_cndmask_b32_e64 v33, 0, 1, s[14:15]
	v_cndmask_b32_e64 v32, 0, 1, s[40:41]
	;; [unrolled: 1-line block ×3, first 2 shown]
	v_lshlrev_b16_e32 v33, 8, v33
	v_cmp_gt_u32_e32 vcc, s54, v1
	v_lshlrev_b16_e32 v36, 8, v34
	v_or_b32_sdwa v37, v32, v33 dst_sel:WORD_1 dst_unused:UNUSED_PAD src0_sel:DWORD src1_sel:DWORD
	s_mov_b64 s[14:15], 0
	s_and_saveexec_b64 s[16:17], vcc
	s_cbranch_execz .LBB731_190
; %bb.180:
	s_and_b64 vcc, exec, s[4:5]
	s_cbranch_vccnz .LBB731_189
; %bb.181:
	s_waitcnt vmcnt(0) lgkmcnt(0)
	v_mul_lo_u32 v32, v31, s26
	v_mul_lo_u32 v33, v30, s27
	v_mad_u64_u32 v[30:31], s[4:5], v30, s26, 0
	v_add3_u32 v31, v31, v33, v32
	v_mul_lo_u32 v32, v23, s26
	v_mul_lo_u32 v33, v22, s27
	v_mad_u64_u32 v[34:35], s[4:5], v22, s26, 0
	v_add3_u32 v35, v35, v33, v32
	v_lshl_add_u64 v[32:33], v[30:31], 1, s[36:37]
	v_lshl_add_u64 v[30:31], v[34:35], 1, s[36:37]
	global_load_ushort v34, v[32:33], off
	global_load_ushort v35, v[30:31], off
	s_mov_b64 s[14:15], -1
	s_waitcnt vmcnt(0)
	v_cmp_eq_u16_e32 vcc, v34, v35
	s_and_saveexec_b64 s[4:5], vcc
	s_cbranch_execz .LBB731_188
; %bb.182:
	s_add_u32 s14, s26, -1
	v_lshl_add_u64 v[30:31], v[30:31], 0, 2
	v_lshl_add_u64 v[32:33], v[32:33], 0, 2
	s_addc_u32 s15, s27, -1
	s_mov_b64 s[40:41], 0
	s_mov_b64 s[44:45], 0
                                        ; implicit-def: $sgpr42_sgpr43
	s_branch .LBB731_185
.LBB731_183:                            ;   in Loop: Header=BB731_185 Depth=1
	global_load_ushort v34, v[32:33], off
	global_load_ushort v35, v[30:31], off
	s_add_u32 s44, s44, 1
	s_addc_u32 s45, s45, 0
	s_andn2_b64 s[42:43], s[42:43], exec
	v_lshl_add_u64 v[30:31], v[30:31], 0, 2
	v_lshl_add_u64 v[32:33], v[32:33], 0, 2
	s_waitcnt vmcnt(0)
	v_cmp_ne_u16_e32 vcc, v34, v35
	s_and_b64 s[46:47], vcc, exec
	s_or_b64 s[42:43], s[42:43], s[46:47]
.LBB731_184:                            ;   in Loop: Header=BB731_185 Depth=1
	s_and_b64 s[46:47], exec, s[42:43]
	s_or_b64 s[40:41], s[46:47], s[40:41]
	v_mov_b64_e32 v[34:35], s[44:45]
	s_andn2_b64 exec, exec, s[40:41]
	s_cbranch_execz .LBB731_187
.LBB731_185:                            ; =>This Inner Loop Header: Depth=1
	s_or_b64 s[42:43], s[42:43], exec
	s_cmp_eq_u64 s[14:15], s[44:45]
	s_cbranch_scc0 .LBB731_183
; %bb.186:                              ;   in Loop: Header=BB731_185 Depth=1
                                        ; implicit-def: $vgpr30_vgpr31
                                        ; implicit-def: $vgpr32_vgpr33
	s_mov_b64 s[44:45], s[26:27]
	s_branch .LBB731_184
.LBB731_187:
	s_or_b64 exec, exec, s[40:41]
	v_cmp_gt_i64_e32 vcc, s[26:27], v[34:35]
	s_orn2_b64 s[14:15], vcc, exec
.LBB731_188:
	s_or_b64 exec, exec, s[4:5]
.LBB731_189:
	s_and_b64 s[14:15], s[14:15], exec
.LBB731_190:
	s_or_b64 exec, exec, s[16:17]
	v_cndmask_b32_e64 v39, 0, 1, s[12:13]
	v_cndmask_b32_e64 v48, 0, 1, s[10:11]
	;; [unrolled: 1-line block ×3, first 2 shown]
	v_or_b32_e32 v34, v36, v37
.LBB731_191:
	s_mov_b64 s[10:11], -1
	s_cbranch_execnz .LBB731_50
.LBB731_192:
	s_movk_i32 s4, 0xffd0
	v_mad_i32_i24 v38, v0, s4, v46
	s_mov_b64 s[12:13], 0
	v_cmp_gt_i64_e64 s[6:7], s[26:27], 0
	s_and_b64 vcc, exec, s[34:35]
	ds_write_b64 v38, v[28:29]
	s_cbranch_vccz .LBB731_200
; %bb.193:
	v_mul_lo_u32 v32, v17, s26
	v_mul_lo_u32 v33, v16, s27
	s_waitcnt vmcnt(0) lgkmcnt(1)
	v_mad_u64_u32 v[30:31], s[4:5], v16, s26, 0
	v_add3_u32 v31, v31, v33, v32
	v_cndmask_b32_e64 v32, 0, 1, s[6:7]
	v_cmp_ne_u32_e64 s[4:5], 1, v32
	s_andn2_b64 vcc, exec, s[6:7]
	v_lshl_add_u64 v[30:31], v[30:31], 1, s[36:37]
	s_cbranch_vccnz .LBB731_203
; %bb.194:
	v_mul_lo_u32 v34, v29, s26
	v_mul_lo_u32 v35, v28, s27
	v_mad_u64_u32 v[32:33], s[12:13], v28, s26, 0
	v_add3_u32 v33, v33, v35, v34
	v_lshl_add_u64 v[32:33], v[32:33], 1, s[36:37]
	global_load_ushort v34, v[30:31], off
	global_load_ushort v35, v[32:33], off
	s_mov_b64 s[12:13], -1
	s_waitcnt vmcnt(0)
	v_cmp_eq_u16_e32 vcc, v34, v35
	s_and_saveexec_b64 s[14:15], vcc
	s_cbranch_execz .LBB731_202
; %bb.195:
	s_add_u32 s12, s26, -1
	v_lshl_add_u64 v[32:33], v[32:33], 0, 2
	v_lshl_add_u64 v[34:35], v[30:31], 0, 2
	s_addc_u32 s13, s27, -1
	s_mov_b64 s[16:17], 0
	s_mov_b64 s[42:43], 0
                                        ; implicit-def: $sgpr40_sgpr41
	s_branch .LBB731_198
.LBB731_196:                            ;   in Loop: Header=BB731_198 Depth=1
	global_load_ushort v36, v[34:35], off
	global_load_ushort v37, v[32:33], off
	s_add_u32 s42, s42, 1
	s_addc_u32 s43, s43, 0
	s_andn2_b64 s[40:41], s[40:41], exec
	v_lshl_add_u64 v[32:33], v[32:33], 0, 2
	v_lshl_add_u64 v[34:35], v[34:35], 0, 2
	s_waitcnt vmcnt(0)
	v_cmp_ne_u16_e32 vcc, v36, v37
	s_and_b64 s[44:45], vcc, exec
	s_or_b64 s[40:41], s[40:41], s[44:45]
.LBB731_197:                            ;   in Loop: Header=BB731_198 Depth=1
	s_and_b64 s[44:45], exec, s[40:41]
	s_or_b64 s[16:17], s[44:45], s[16:17]
	v_mov_b64_e32 v[36:37], s[42:43]
	s_andn2_b64 exec, exec, s[16:17]
	s_cbranch_execz .LBB731_201
.LBB731_198:                            ; =>This Inner Loop Header: Depth=1
	s_or_b64 s[40:41], s[40:41], exec
	s_cmp_eq_u64 s[12:13], s[42:43]
	s_cbranch_scc0 .LBB731_196
; %bb.199:                              ;   in Loop: Header=BB731_198 Depth=1
                                        ; implicit-def: $vgpr32_vgpr33
                                        ; implicit-def: $vgpr34_vgpr35
	s_mov_b64 s[42:43], s[26:27]
	s_branch .LBB731_197
.LBB731_200:
                                        ; implicit-def: $sgpr14_sgpr15
                                        ; implicit-def: $vgpr49
                                        ; implicit-def: $vgpr48
                                        ; implicit-def: $vgpr39
                                        ; implicit-def: $vgpr34
                                        ; implicit-def: $vgpr30_vgpr31
	s_cbranch_execnz .LBB731_260
	s_branch .LBB731_340
.LBB731_201:
	s_or_b64 exec, exec, s[16:17]
	v_cmp_gt_i64_e32 vcc, s[26:27], v[36:37]
	s_orn2_b64 s[12:13], vcc, exec
.LBB731_202:
	s_or_b64 exec, exec, s[14:15]
.LBB731_203:
	v_mul_lo_u32 v34, v15, s26
	v_mul_lo_u32 v35, v14, s27
	v_mad_u64_u32 v[32:33], s[14:15], v14, s26, 0
	v_add3_u32 v33, v33, v35, v34
	s_mov_b64 s[14:15], 0
	s_and_b64 vcc, exec, s[4:5]
	v_lshl_add_u64 v[32:33], v[32:33], 1, s[36:37]
	s_mov_b64 s[16:17], 0
	s_cbranch_vccnz .LBB731_212
; %bb.204:
	global_load_ushort v34, v[32:33], off
	global_load_ushort v35, v[30:31], off
	s_mov_b64 s[16:17], -1
	s_waitcnt vmcnt(0)
	v_cmp_eq_u16_e32 vcc, v34, v35
	s_and_saveexec_b64 s[40:41], vcc
	s_cbranch_execz .LBB731_211
; %bb.205:
	s_add_u32 s16, s26, -1
	v_lshl_add_u64 v[30:31], v[30:31], 0, 2
	v_lshl_add_u64 v[34:35], v[32:33], 0, 2
	s_addc_u32 s17, s27, -1
	s_mov_b64 s[42:43], 0
	s_mov_b64 s[46:47], 0
                                        ; implicit-def: $sgpr44_sgpr45
	s_branch .LBB731_208
.LBB731_206:                            ;   in Loop: Header=BB731_208 Depth=1
	global_load_ushort v36, v[34:35], off
	global_load_ushort v37, v[30:31], off
	s_add_u32 s46, s46, 1
	s_addc_u32 s47, s47, 0
	s_andn2_b64 s[44:45], s[44:45], exec
	v_lshl_add_u64 v[30:31], v[30:31], 0, 2
	v_lshl_add_u64 v[34:35], v[34:35], 0, 2
	s_waitcnt vmcnt(0)
	v_cmp_ne_u16_e32 vcc, v36, v37
	s_and_b64 s[48:49], vcc, exec
	s_or_b64 s[44:45], s[44:45], s[48:49]
.LBB731_207:                            ;   in Loop: Header=BB731_208 Depth=1
	s_and_b64 s[48:49], exec, s[44:45]
	s_or_b64 s[42:43], s[48:49], s[42:43]
	v_mov_b64_e32 v[36:37], s[46:47]
	s_andn2_b64 exec, exec, s[42:43]
	s_cbranch_execz .LBB731_210
.LBB731_208:                            ; =>This Inner Loop Header: Depth=1
	s_or_b64 s[44:45], s[44:45], exec
	s_cmp_eq_u64 s[16:17], s[46:47]
	s_cbranch_scc0 .LBB731_206
; %bb.209:                              ;   in Loop: Header=BB731_208 Depth=1
                                        ; implicit-def: $vgpr30_vgpr31
                                        ; implicit-def: $vgpr34_vgpr35
	s_mov_b64 s[46:47], s[26:27]
	s_branch .LBB731_207
.LBB731_210:
	s_or_b64 exec, exec, s[42:43]
	v_cmp_gt_i64_e32 vcc, s[26:27], v[36:37]
	s_orn2_b64 s[16:17], vcc, exec
.LBB731_211:
	s_or_b64 exec, exec, s[40:41]
.LBB731_212:
	v_mul_lo_u32 v34, v21, s26
	v_mul_lo_u32 v35, v20, s27
	v_mad_u64_u32 v[30:31], s[40:41], v20, s26, 0
	v_add3_u32 v31, v31, v35, v34
	s_and_b64 vcc, exec, s[4:5]
	v_lshl_add_u64 v[30:31], v[30:31], 1, s[36:37]
	s_cbranch_vccnz .LBB731_221
; %bb.213:
	global_load_ushort v34, v[30:31], off
	global_load_ushort v35, v[32:33], off
	s_mov_b64 s[14:15], -1
	s_waitcnt vmcnt(0)
	v_cmp_eq_u16_e32 vcc, v34, v35
	s_and_saveexec_b64 s[40:41], vcc
	s_cbranch_execz .LBB731_220
; %bb.214:
	s_add_u32 s14, s26, -1
	v_lshl_add_u64 v[32:33], v[32:33], 0, 2
	v_lshl_add_u64 v[34:35], v[30:31], 0, 2
	s_addc_u32 s15, s27, -1
	s_mov_b64 s[42:43], 0
	s_mov_b64 s[46:47], 0
                                        ; implicit-def: $sgpr44_sgpr45
	s_branch .LBB731_217
.LBB731_215:                            ;   in Loop: Header=BB731_217 Depth=1
	global_load_ushort v36, v[34:35], off
	global_load_ushort v37, v[32:33], off
	s_add_u32 s46, s46, 1
	s_addc_u32 s47, s47, 0
	s_andn2_b64 s[44:45], s[44:45], exec
	v_lshl_add_u64 v[32:33], v[32:33], 0, 2
	v_lshl_add_u64 v[34:35], v[34:35], 0, 2
	s_waitcnt vmcnt(0)
	v_cmp_ne_u16_e32 vcc, v36, v37
	s_and_b64 s[48:49], vcc, exec
	s_or_b64 s[44:45], s[44:45], s[48:49]
.LBB731_216:                            ;   in Loop: Header=BB731_217 Depth=1
	s_and_b64 s[48:49], exec, s[44:45]
	s_or_b64 s[42:43], s[48:49], s[42:43]
	v_mov_b64_e32 v[36:37], s[46:47]
	s_andn2_b64 exec, exec, s[42:43]
	s_cbranch_execz .LBB731_219
.LBB731_217:                            ; =>This Inner Loop Header: Depth=1
	s_or_b64 s[44:45], s[44:45], exec
	s_cmp_eq_u64 s[14:15], s[46:47]
	s_cbranch_scc0 .LBB731_215
; %bb.218:                              ;   in Loop: Header=BB731_217 Depth=1
                                        ; implicit-def: $vgpr32_vgpr33
                                        ; implicit-def: $vgpr34_vgpr35
	s_mov_b64 s[46:47], s[26:27]
	s_branch .LBB731_216
.LBB731_219:
	s_or_b64 exec, exec, s[42:43]
	v_cmp_gt_i64_e32 vcc, s[26:27], v[36:37]
	s_orn2_b64 s[14:15], vcc, exec
.LBB731_220:
	s_or_b64 exec, exec, s[40:41]
.LBB731_221:
	v_mul_lo_u32 v34, v19, s26
	v_mul_lo_u32 v35, v18, s27
	v_mad_u64_u32 v[32:33], s[40:41], v18, s26, 0
	v_add3_u32 v33, v33, v35, v34
	s_mov_b64 s[40:41], 0
	s_and_b64 vcc, exec, s[4:5]
	v_lshl_add_u64 v[32:33], v[32:33], 1, s[36:37]
	s_mov_b64 s[42:43], 0
	s_cbranch_vccnz .LBB731_230
; %bb.222:
	global_load_ushort v34, v[32:33], off
	global_load_ushort v35, v[30:31], off
	s_mov_b64 s[42:43], -1
	s_waitcnt vmcnt(0)
	v_cmp_eq_u16_e32 vcc, v34, v35
	s_and_saveexec_b64 s[44:45], vcc
	s_cbranch_execz .LBB731_229
; %bb.223:
	s_add_u32 s42, s26, -1
	v_lshl_add_u64 v[30:31], v[30:31], 0, 2
	v_lshl_add_u64 v[34:35], v[32:33], 0, 2
	s_addc_u32 s43, s27, -1
	s_mov_b64 s[46:47], 0
	s_mov_b64 s[50:51], 0
                                        ; implicit-def: $sgpr48_sgpr49
	s_branch .LBB731_226
.LBB731_224:                            ;   in Loop: Header=BB731_226 Depth=1
	global_load_ushort v36, v[34:35], off
	global_load_ushort v37, v[30:31], off
	s_add_u32 s50, s50, 1
	s_addc_u32 s51, s51, 0
	s_andn2_b64 s[48:49], s[48:49], exec
	v_lshl_add_u64 v[30:31], v[30:31], 0, 2
	v_lshl_add_u64 v[34:35], v[34:35], 0, 2
	s_waitcnt vmcnt(0)
	v_cmp_ne_u16_e32 vcc, v36, v37
	s_and_b64 s[52:53], vcc, exec
	s_or_b64 s[48:49], s[48:49], s[52:53]
.LBB731_225:                            ;   in Loop: Header=BB731_226 Depth=1
	s_and_b64 s[52:53], exec, s[48:49]
	s_or_b64 s[46:47], s[52:53], s[46:47]
	v_mov_b64_e32 v[36:37], s[50:51]
	s_andn2_b64 exec, exec, s[46:47]
	s_cbranch_execz .LBB731_228
.LBB731_226:                            ; =>This Inner Loop Header: Depth=1
	s_or_b64 s[48:49], s[48:49], exec
	s_cmp_eq_u64 s[42:43], s[50:51]
	s_cbranch_scc0 .LBB731_224
; %bb.227:                              ;   in Loop: Header=BB731_226 Depth=1
                                        ; implicit-def: $vgpr30_vgpr31
                                        ; implicit-def: $vgpr34_vgpr35
	s_mov_b64 s[50:51], s[26:27]
	s_branch .LBB731_225
.LBB731_228:
	s_or_b64 exec, exec, s[46:47]
	v_cmp_gt_i64_e32 vcc, s[26:27], v[36:37]
	s_orn2_b64 s[42:43], vcc, exec
.LBB731_229:
	s_or_b64 exec, exec, s[44:45]
.LBB731_230:
	v_mul_lo_u32 v34, v25, s26
	v_mul_lo_u32 v35, v24, s27
	v_mad_u64_u32 v[30:31], s[44:45], v24, s26, 0
	v_add3_u32 v31, v31, v35, v34
	s_and_b64 vcc, exec, s[4:5]
	v_lshl_add_u64 v[30:31], v[30:31], 1, s[36:37]
	s_cbranch_vccnz .LBB731_239
; %bb.231:
	global_load_ushort v34, v[30:31], off
	global_load_ushort v35, v[32:33], off
	s_mov_b64 s[40:41], -1
	s_waitcnt vmcnt(0)
	v_cmp_eq_u16_e32 vcc, v34, v35
	s_and_saveexec_b64 s[44:45], vcc
	s_cbranch_execz .LBB731_238
; %bb.232:
	s_add_u32 s40, s26, -1
	v_lshl_add_u64 v[32:33], v[32:33], 0, 2
	v_lshl_add_u64 v[34:35], v[30:31], 0, 2
	s_addc_u32 s41, s27, -1
	s_mov_b64 s[46:47], 0
	s_mov_b64 s[50:51], 0
                                        ; implicit-def: $sgpr48_sgpr49
	s_branch .LBB731_235
.LBB731_233:                            ;   in Loop: Header=BB731_235 Depth=1
	global_load_ushort v36, v[34:35], off
	global_load_ushort v37, v[32:33], off
	s_add_u32 s50, s50, 1
	s_addc_u32 s51, s51, 0
	s_andn2_b64 s[48:49], s[48:49], exec
	v_lshl_add_u64 v[32:33], v[32:33], 0, 2
	v_lshl_add_u64 v[34:35], v[34:35], 0, 2
	s_waitcnt vmcnt(0)
	v_cmp_ne_u16_e32 vcc, v36, v37
	s_and_b64 s[52:53], vcc, exec
	s_or_b64 s[48:49], s[48:49], s[52:53]
.LBB731_234:                            ;   in Loop: Header=BB731_235 Depth=1
	s_and_b64 s[52:53], exec, s[48:49]
	s_or_b64 s[46:47], s[52:53], s[46:47]
	v_mov_b64_e32 v[36:37], s[50:51]
	s_andn2_b64 exec, exec, s[46:47]
	s_cbranch_execz .LBB731_237
.LBB731_235:                            ; =>This Inner Loop Header: Depth=1
	s_or_b64 s[48:49], s[48:49], exec
	s_cmp_eq_u64 s[40:41], s[50:51]
	s_cbranch_scc0 .LBB731_233
; %bb.236:                              ;   in Loop: Header=BB731_235 Depth=1
                                        ; implicit-def: $vgpr32_vgpr33
                                        ; implicit-def: $vgpr34_vgpr35
	s_mov_b64 s[50:51], s[26:27]
	s_branch .LBB731_234
.LBB731_237:
	s_or_b64 exec, exec, s[46:47]
	v_cmp_gt_i64_e32 vcc, s[26:27], v[36:37]
	s_orn2_b64 s[40:41], vcc, exec
.LBB731_238:
	s_or_b64 exec, exec, s[44:45]
.LBB731_239:
	v_mul_lo_u32 v34, v23, s26
	v_mul_lo_u32 v35, v22, s27
	v_mad_u64_u32 v[32:33], s[44:45], v22, s26, 0
	v_add3_u32 v33, v33, v35, v34
	s_and_b64 vcc, exec, s[4:5]
	s_mov_b64 s[46:47], 0
	s_cbranch_vccnz .LBB731_248
; %bb.240:
	v_lshl_add_u64 v[34:35], v[32:33], 1, s[36:37]
	global_load_ushort v36, v[34:35], off
	global_load_ushort v37, v[30:31], off
	s_mov_b64 s[46:47], -1
	s_waitcnt vmcnt(0)
	v_cmp_eq_u16_e32 vcc, v36, v37
	s_and_saveexec_b64 s[44:45], vcc
	s_cbranch_execz .LBB731_247
; %bb.241:
	s_add_u32 s46, s26, -1
	v_lshl_add_u64 v[30:31], v[30:31], 0, 2
	v_lshl_add_u64 v[34:35], v[34:35], 0, 2
	s_addc_u32 s47, s27, -1
	s_mov_b64 s[48:49], 0
	s_mov_b64 s[52:53], 0
                                        ; implicit-def: $sgpr50_sgpr51
	s_branch .LBB731_244
.LBB731_242:                            ;   in Loop: Header=BB731_244 Depth=1
	global_load_ushort v36, v[34:35], off
	global_load_ushort v37, v[30:31], off
	s_add_u32 s52, s52, 1
	s_addc_u32 s53, s53, 0
	s_andn2_b64 s[50:51], s[50:51], exec
	v_lshl_add_u64 v[30:31], v[30:31], 0, 2
	v_lshl_add_u64 v[34:35], v[34:35], 0, 2
	s_waitcnt vmcnt(0)
	v_cmp_ne_u16_e32 vcc, v36, v37
	s_and_b64 s[56:57], vcc, exec
	s_or_b64 s[50:51], s[50:51], s[56:57]
.LBB731_243:                            ;   in Loop: Header=BB731_244 Depth=1
	s_and_b64 s[56:57], exec, s[50:51]
	s_or_b64 s[48:49], s[56:57], s[48:49]
	v_mov_b64_e32 v[36:37], s[52:53]
	s_andn2_b64 exec, exec, s[48:49]
	s_cbranch_execz .LBB731_246
.LBB731_244:                            ; =>This Inner Loop Header: Depth=1
	s_or_b64 s[50:51], s[50:51], exec
	s_cmp_eq_u64 s[46:47], s[52:53]
	s_cbranch_scc0 .LBB731_242
; %bb.245:                              ;   in Loop: Header=BB731_244 Depth=1
                                        ; implicit-def: $vgpr30_vgpr31
                                        ; implicit-def: $vgpr34_vgpr35
	s_mov_b64 s[52:53], s[26:27]
	s_branch .LBB731_243
.LBB731_246:
	s_or_b64 exec, exec, s[48:49]
	v_cmp_gt_i64_e32 vcc, s[26:27], v[36:37]
	s_orn2_b64 s[46:47], vcc, exec
.LBB731_247:
	s_or_b64 exec, exec, s[44:45]
.LBB731_248:
	v_cndmask_b32_e64 v31, 0, 1, s[42:43]
	v_cndmask_b32_e64 v30, 0, 1, s[40:41]
	;; [unrolled: 1-line block ×3, first 2 shown]
	v_lshlrev_b16_e32 v31, 8, v31
	v_cndmask_b32_e64 v39, 0, 1, s[14:15]
	v_cndmask_b32_e64 v34, 0, 1, s[46:47]
	v_or_b32_sdwa v30, v30, v31 dst_sel:WORD_1 dst_unused:UNUSED_PAD src0_sel:DWORD src1_sel:DWORD
	v_lshlrev_b16_e32 v31, 8, v48
	v_lshlrev_b16_e32 v34, 8, v34
	v_or_b32_e32 v31, v39, v31
	v_or_b32_e32 v34, 1, v34
	v_and_b32_e32 v31, 0xffff, v31
	v_cndmask_b32_e64 v49, 0, 1, s[12:13]
	v_or_b32_sdwa v30, v34, v30 dst_sel:DWORD dst_unused:UNUSED_PAD src0_sel:WORD_0 src1_sel:DWORD
	v_lshl_or_b32 v31, v49, 16, v31
	s_waitcnt lgkmcnt(0)
	s_barrier
	s_waitcnt lgkmcnt(0)
                                        ; implicit-def: $sgpr14_sgpr15
                                        ; implicit-def: $vgpr34
	s_and_saveexec_b64 s[12:13], s[2:3]
	s_xor_b64 s[12:13], exec, s[12:13]
	s_cbranch_execz .LBB731_259
; %bb.249:
	s_mov_b32 s44, 0x3020104
	s_and_b64 vcc, exec, s[4:5]
	s_mov_b64 s[14:15], 0
	s_cbranch_vccnz .LBB731_258
; %bb.250:
	v_add_u32_e32 v31, -8, v38
	ds_read_b64 v[34:35], v31
	v_lshl_add_u64 v[32:33], v[32:33], 1, s[36:37]
	s_mov_b64 s[14:15], -1
	s_waitcnt lgkmcnt(0)
	v_mul_lo_u32 v31, v35, s26
	v_mul_lo_u32 v36, v34, s27
	v_mad_u64_u32 v[34:35], s[4:5], v34, s26, 0
	v_add3_u32 v35, v35, v36, v31
	v_lshl_add_u64 v[34:35], v[34:35], 1, s[36:37]
	global_load_ushort v31, v[34:35], off
	global_load_ushort v36, v[32:33], off
	s_waitcnt vmcnt(0)
	v_cmp_eq_u16_e32 vcc, v31, v36
	s_and_saveexec_b64 s[4:5], vcc
	s_cbranch_execz .LBB731_257
; %bb.251:
	s_add_u32 s14, s26, -1
	v_lshl_add_u64 v[32:33], v[32:33], 0, 2
	v_lshl_add_u64 v[34:35], v[34:35], 0, 2
	s_addc_u32 s15, s27, -1
	s_mov_b64 s[16:17], 0
	s_mov_b64 s[42:43], 0
                                        ; implicit-def: $sgpr40_sgpr41
	s_branch .LBB731_254
.LBB731_252:                            ;   in Loop: Header=BB731_254 Depth=1
	global_load_ushort v31, v[34:35], off
	global_load_ushort v36, v[32:33], off
	s_add_u32 s42, s42, 1
	s_addc_u32 s43, s43, 0
	s_andn2_b64 s[40:41], s[40:41], exec
	v_lshl_add_u64 v[32:33], v[32:33], 0, 2
	v_lshl_add_u64 v[34:35], v[34:35], 0, 2
	s_waitcnt vmcnt(0)
	v_cmp_ne_u16_e32 vcc, v31, v36
	s_and_b64 s[46:47], vcc, exec
	s_or_b64 s[40:41], s[40:41], s[46:47]
.LBB731_253:                            ;   in Loop: Header=BB731_254 Depth=1
	s_and_b64 s[46:47], exec, s[40:41]
	s_or_b64 s[16:17], s[46:47], s[16:17]
	v_mov_b64_e32 v[36:37], s[42:43]
	s_andn2_b64 exec, exec, s[16:17]
	s_cbranch_execz .LBB731_256
.LBB731_254:                            ; =>This Inner Loop Header: Depth=1
	s_or_b64 s[40:41], s[40:41], exec
	s_cmp_eq_u64 s[14:15], s[42:43]
	s_cbranch_scc0 .LBB731_252
; %bb.255:                              ;   in Loop: Header=BB731_254 Depth=1
                                        ; implicit-def: $vgpr32_vgpr33
                                        ; implicit-def: $vgpr34_vgpr35
	s_mov_b64 s[42:43], s[26:27]
	s_branch .LBB731_253
.LBB731_256:
	s_or_b64 exec, exec, s[16:17]
	v_cmp_gt_i64_e32 vcc, s[26:27], v[36:37]
	s_orn2_b64 s[14:15], vcc, exec
.LBB731_257:
	s_or_b64 exec, exec, s[4:5]
.LBB731_258:
	v_perm_b32 v34, v30, v30, s44
	s_and_b64 s[14:15], s[14:15], exec
	s_or_b64 s[10:11], s[10:11], exec
                                        ; implicit-def: $vgpr30_vgpr31
.LBB731_259:
	s_or_b64 exec, exec, s[12:13]
	s_branch .LBB731_340
.LBB731_260:
	v_cmp_gt_u32_e32 vcc, s54, v42
	s_mov_b64 s[12:13], 0
	s_mov_b64 s[4:5], 0
	s_and_saveexec_b64 s[14:15], vcc
	s_cbranch_execz .LBB731_271
; %bb.261:
	s_andn2_b64 vcc, exec, s[6:7]
	s_mov_b64 s[16:17], 0
	s_cbranch_vccnz .LBB731_270
; %bb.262:
	v_mul_lo_u32 v32, v17, s26
	v_mul_lo_u32 v33, v16, s27
	s_waitcnt vmcnt(0) lgkmcnt(1)
	v_mad_u64_u32 v[30:31], s[4:5], v16, s26, 0
	v_add3_u32 v31, v31, v33, v32
	v_mul_lo_u32 v32, v29, s26
	v_mul_lo_u32 v33, v28, s27
	v_mad_u64_u32 v[34:35], s[4:5], v28, s26, 0
	v_add3_u32 v35, v35, v33, v32
	v_lshl_add_u64 v[32:33], v[30:31], 1, s[36:37]
	v_lshl_add_u64 v[30:31], v[34:35], 1, s[36:37]
	global_load_ushort v34, v[32:33], off
	global_load_ushort v35, v[30:31], off
	s_mov_b64 s[16:17], -1
	s_waitcnt vmcnt(0)
	v_cmp_eq_u16_e32 vcc, v34, v35
	s_and_saveexec_b64 s[4:5], vcc
	s_cbranch_execz .LBB731_269
; %bb.263:
	s_add_u32 s16, s26, -1
	v_lshl_add_u64 v[30:31], v[30:31], 0, 2
	v_lshl_add_u64 v[32:33], v[32:33], 0, 2
	s_addc_u32 s17, s27, -1
	s_mov_b64 s[40:41], 0
	s_mov_b64 s[44:45], 0
                                        ; implicit-def: $sgpr42_sgpr43
	s_branch .LBB731_266
.LBB731_264:                            ;   in Loop: Header=BB731_266 Depth=1
	global_load_ushort v34, v[32:33], off
	global_load_ushort v35, v[30:31], off
	s_add_u32 s44, s44, 1
	s_addc_u32 s45, s45, 0
	s_andn2_b64 s[42:43], s[42:43], exec
	v_lshl_add_u64 v[30:31], v[30:31], 0, 2
	v_lshl_add_u64 v[32:33], v[32:33], 0, 2
	s_waitcnt vmcnt(0)
	v_cmp_ne_u16_e32 vcc, v34, v35
	s_and_b64 s[46:47], vcc, exec
	s_or_b64 s[42:43], s[42:43], s[46:47]
.LBB731_265:                            ;   in Loop: Header=BB731_266 Depth=1
	s_and_b64 s[46:47], exec, s[42:43]
	s_or_b64 s[40:41], s[46:47], s[40:41]
	v_mov_b64_e32 v[34:35], s[44:45]
	s_andn2_b64 exec, exec, s[40:41]
	s_cbranch_execz .LBB731_268
.LBB731_266:                            ; =>This Inner Loop Header: Depth=1
	s_or_b64 s[42:43], s[42:43], exec
	s_cmp_eq_u64 s[16:17], s[44:45]
	s_cbranch_scc0 .LBB731_264
; %bb.267:                              ;   in Loop: Header=BB731_266 Depth=1
                                        ; implicit-def: $vgpr30_vgpr31
                                        ; implicit-def: $vgpr32_vgpr33
	s_mov_b64 s[44:45], s[26:27]
	s_branch .LBB731_265
.LBB731_268:
	s_or_b64 exec, exec, s[40:41]
	v_cmp_gt_i64_e32 vcc, s[26:27], v[34:35]
	s_orn2_b64 s[16:17], vcc, exec
.LBB731_269:
	s_or_b64 exec, exec, s[4:5]
.LBB731_270:
	s_and_b64 s[4:5], s[16:17], exec
.LBB731_271:
	s_or_b64 exec, exec, s[14:15]
	v_cmp_gt_u32_e32 vcc, s54, v45
	s_and_saveexec_b64 s[14:15], vcc
	s_cbranch_execz .LBB731_282
; %bb.272:
	s_andn2_b64 vcc, exec, s[6:7]
	s_mov_b64 s[16:17], 0
	s_cbranch_vccnz .LBB731_281
; %bb.273:
	v_mul_lo_u32 v32, v15, s26
	v_mul_lo_u32 v33, v14, s27
	s_waitcnt vmcnt(0) lgkmcnt(1)
	v_mad_u64_u32 v[30:31], s[12:13], v14, s26, 0
	v_add3_u32 v31, v31, v33, v32
	v_mul_lo_u32 v32, v17, s26
	v_mul_lo_u32 v33, v16, s27
	v_mad_u64_u32 v[34:35], s[12:13], v16, s26, 0
	v_add3_u32 v35, v35, v33, v32
	v_lshl_add_u64 v[32:33], v[30:31], 1, s[36:37]
	v_lshl_add_u64 v[30:31], v[34:35], 1, s[36:37]
	global_load_ushort v34, v[32:33], off
	global_load_ushort v35, v[30:31], off
	s_mov_b64 s[16:17], -1
	s_waitcnt vmcnt(0)
	v_cmp_eq_u16_e32 vcc, v34, v35
	s_and_saveexec_b64 s[12:13], vcc
	s_cbranch_execz .LBB731_280
; %bb.274:
	s_add_u32 s16, s26, -1
	v_lshl_add_u64 v[30:31], v[30:31], 0, 2
	v_lshl_add_u64 v[32:33], v[32:33], 0, 2
	s_addc_u32 s17, s27, -1
	s_mov_b64 s[40:41], 0
	s_mov_b64 s[44:45], 0
                                        ; implicit-def: $sgpr42_sgpr43
	s_branch .LBB731_277
.LBB731_275:                            ;   in Loop: Header=BB731_277 Depth=1
	global_load_ushort v34, v[32:33], off
	global_load_ushort v35, v[30:31], off
	s_add_u32 s44, s44, 1
	s_addc_u32 s45, s45, 0
	s_andn2_b64 s[42:43], s[42:43], exec
	v_lshl_add_u64 v[30:31], v[30:31], 0, 2
	v_lshl_add_u64 v[32:33], v[32:33], 0, 2
	s_waitcnt vmcnt(0)
	v_cmp_ne_u16_e32 vcc, v34, v35
	s_and_b64 s[46:47], vcc, exec
	s_or_b64 s[42:43], s[42:43], s[46:47]
.LBB731_276:                            ;   in Loop: Header=BB731_277 Depth=1
	s_and_b64 s[46:47], exec, s[42:43]
	s_or_b64 s[40:41], s[46:47], s[40:41]
	v_mov_b64_e32 v[34:35], s[44:45]
	s_andn2_b64 exec, exec, s[40:41]
	s_cbranch_execz .LBB731_279
.LBB731_277:                            ; =>This Inner Loop Header: Depth=1
	s_or_b64 s[42:43], s[42:43], exec
	s_cmp_eq_u64 s[16:17], s[44:45]
	s_cbranch_scc0 .LBB731_275
; %bb.278:                              ;   in Loop: Header=BB731_277 Depth=1
                                        ; implicit-def: $vgpr30_vgpr31
                                        ; implicit-def: $vgpr32_vgpr33
	s_mov_b64 s[44:45], s[26:27]
	s_branch .LBB731_276
.LBB731_279:
	s_or_b64 exec, exec, s[40:41]
	v_cmp_gt_i64_e32 vcc, s[26:27], v[34:35]
	s_orn2_b64 s[16:17], vcc, exec
.LBB731_280:
	s_or_b64 exec, exec, s[12:13]
.LBB731_281:
	s_and_b64 s[12:13], s[16:17], exec
.LBB731_282:
	s_or_b64 exec, exec, s[14:15]
	v_cmp_gt_u32_e32 vcc, s54, v41
	s_mov_b64 s[16:17], 0
	s_mov_b64 s[14:15], 0
	s_and_saveexec_b64 s[40:41], vcc
	s_cbranch_execz .LBB731_293
; %bb.283:
	s_andn2_b64 vcc, exec, s[6:7]
	s_mov_b64 s[42:43], 0
	s_cbranch_vccnz .LBB731_292
; %bb.284:
	v_mul_lo_u32 v32, v21, s26
	v_mul_lo_u32 v33, v20, s27
	s_waitcnt vmcnt(0) lgkmcnt(1)
	v_mad_u64_u32 v[30:31], s[14:15], v20, s26, 0
	v_add3_u32 v31, v31, v33, v32
	v_mul_lo_u32 v32, v15, s26
	v_mul_lo_u32 v33, v14, s27
	v_mad_u64_u32 v[34:35], s[14:15], v14, s26, 0
	v_add3_u32 v35, v35, v33, v32
	v_lshl_add_u64 v[32:33], v[30:31], 1, s[36:37]
	v_lshl_add_u64 v[30:31], v[34:35], 1, s[36:37]
	global_load_ushort v34, v[32:33], off
	global_load_ushort v35, v[30:31], off
	s_mov_b64 s[42:43], -1
	s_waitcnt vmcnt(0)
	v_cmp_eq_u16_e32 vcc, v34, v35
	s_and_saveexec_b64 s[14:15], vcc
	s_cbranch_execz .LBB731_291
; %bb.285:
	s_add_u32 s42, s26, -1
	v_lshl_add_u64 v[30:31], v[30:31], 0, 2
	v_lshl_add_u64 v[32:33], v[32:33], 0, 2
	s_addc_u32 s43, s27, -1
	s_mov_b64 s[44:45], 0
	s_mov_b64 s[48:49], 0
                                        ; implicit-def: $sgpr46_sgpr47
	s_branch .LBB731_288
.LBB731_286:                            ;   in Loop: Header=BB731_288 Depth=1
	global_load_ushort v34, v[32:33], off
	global_load_ushort v35, v[30:31], off
	s_add_u32 s48, s48, 1
	s_addc_u32 s49, s49, 0
	s_andn2_b64 s[46:47], s[46:47], exec
	v_lshl_add_u64 v[30:31], v[30:31], 0, 2
	v_lshl_add_u64 v[32:33], v[32:33], 0, 2
	s_waitcnt vmcnt(0)
	v_cmp_ne_u16_e32 vcc, v34, v35
	s_and_b64 s[50:51], vcc, exec
	s_or_b64 s[46:47], s[46:47], s[50:51]
.LBB731_287:                            ;   in Loop: Header=BB731_288 Depth=1
	s_and_b64 s[50:51], exec, s[46:47]
	s_or_b64 s[44:45], s[50:51], s[44:45]
	v_mov_b64_e32 v[34:35], s[48:49]
	s_andn2_b64 exec, exec, s[44:45]
	s_cbranch_execz .LBB731_290
.LBB731_288:                            ; =>This Inner Loop Header: Depth=1
	s_or_b64 s[46:47], s[46:47], exec
	s_cmp_eq_u64 s[42:43], s[48:49]
	s_cbranch_scc0 .LBB731_286
; %bb.289:                              ;   in Loop: Header=BB731_288 Depth=1
                                        ; implicit-def: $vgpr30_vgpr31
                                        ; implicit-def: $vgpr32_vgpr33
	s_mov_b64 s[48:49], s[26:27]
	s_branch .LBB731_287
.LBB731_290:
	s_or_b64 exec, exec, s[44:45]
	v_cmp_gt_i64_e32 vcc, s[26:27], v[34:35]
	s_orn2_b64 s[42:43], vcc, exec
.LBB731_291:
	s_or_b64 exec, exec, s[14:15]
.LBB731_292:
	s_and_b64 s[14:15], s[42:43], exec
.LBB731_293:
	s_or_b64 exec, exec, s[40:41]
	v_cmp_gt_u32_e32 vcc, s54, v44
	s_and_saveexec_b64 s[40:41], vcc
	s_cbranch_execz .LBB731_304
; %bb.294:
	s_andn2_b64 vcc, exec, s[6:7]
	s_mov_b64 s[42:43], 0
	s_cbranch_vccnz .LBB731_303
; %bb.295:
	v_mul_lo_u32 v32, v19, s26
	v_mul_lo_u32 v33, v18, s27
	s_waitcnt vmcnt(0) lgkmcnt(1)
	v_mad_u64_u32 v[30:31], s[16:17], v18, s26, 0
	v_add3_u32 v31, v31, v33, v32
	v_mul_lo_u32 v32, v21, s26
	v_mul_lo_u32 v33, v20, s27
	v_mad_u64_u32 v[34:35], s[16:17], v20, s26, 0
	v_add3_u32 v35, v35, v33, v32
	v_lshl_add_u64 v[32:33], v[30:31], 1, s[36:37]
	v_lshl_add_u64 v[30:31], v[34:35], 1, s[36:37]
	global_load_ushort v34, v[32:33], off
	global_load_ushort v35, v[30:31], off
	s_mov_b64 s[42:43], -1
	s_waitcnt vmcnt(0)
	v_cmp_eq_u16_e32 vcc, v34, v35
	s_and_saveexec_b64 s[16:17], vcc
	s_cbranch_execz .LBB731_302
; %bb.296:
	s_add_u32 s42, s26, -1
	v_lshl_add_u64 v[30:31], v[30:31], 0, 2
	v_lshl_add_u64 v[32:33], v[32:33], 0, 2
	s_addc_u32 s43, s27, -1
	s_mov_b64 s[44:45], 0
	s_mov_b64 s[48:49], 0
                                        ; implicit-def: $sgpr46_sgpr47
	s_branch .LBB731_299
.LBB731_297:                            ;   in Loop: Header=BB731_299 Depth=1
	global_load_ushort v34, v[32:33], off
	global_load_ushort v35, v[30:31], off
	s_add_u32 s48, s48, 1
	s_addc_u32 s49, s49, 0
	s_andn2_b64 s[46:47], s[46:47], exec
	v_lshl_add_u64 v[30:31], v[30:31], 0, 2
	v_lshl_add_u64 v[32:33], v[32:33], 0, 2
	s_waitcnt vmcnt(0)
	v_cmp_ne_u16_e32 vcc, v34, v35
	s_and_b64 s[50:51], vcc, exec
	s_or_b64 s[46:47], s[46:47], s[50:51]
.LBB731_298:                            ;   in Loop: Header=BB731_299 Depth=1
	s_and_b64 s[50:51], exec, s[46:47]
	s_or_b64 s[44:45], s[50:51], s[44:45]
	v_mov_b64_e32 v[34:35], s[48:49]
	s_andn2_b64 exec, exec, s[44:45]
	s_cbranch_execz .LBB731_301
.LBB731_299:                            ; =>This Inner Loop Header: Depth=1
	s_or_b64 s[46:47], s[46:47], exec
	s_cmp_eq_u64 s[42:43], s[48:49]
	s_cbranch_scc0 .LBB731_297
; %bb.300:                              ;   in Loop: Header=BB731_299 Depth=1
                                        ; implicit-def: $vgpr30_vgpr31
                                        ; implicit-def: $vgpr32_vgpr33
	s_mov_b64 s[48:49], s[26:27]
	s_branch .LBB731_298
.LBB731_301:
	s_or_b64 exec, exec, s[44:45]
	v_cmp_gt_i64_e32 vcc, s[26:27], v[34:35]
	s_orn2_b64 s[42:43], vcc, exec
.LBB731_302:
	s_or_b64 exec, exec, s[16:17]
.LBB731_303:
	s_and_b64 s[16:17], s[42:43], exec
.LBB731_304:
	s_or_b64 exec, exec, s[40:41]
	v_cmp_gt_u32_e32 vcc, s54, v40
	s_mov_b64 s[40:41], 0
	s_mov_b64 s[42:43], 0
	s_and_saveexec_b64 s[44:45], vcc
	s_cbranch_execz .LBB731_315
; %bb.305:
	s_andn2_b64 vcc, exec, s[6:7]
	s_mov_b64 s[46:47], 0
	s_cbranch_vccnz .LBB731_314
; %bb.306:
	v_mul_lo_u32 v32, v25, s26
	v_mul_lo_u32 v33, v24, s27
	s_waitcnt vmcnt(0) lgkmcnt(1)
	v_mad_u64_u32 v[30:31], s[42:43], v24, s26, 0
	v_add3_u32 v31, v31, v33, v32
	v_mul_lo_u32 v32, v19, s26
	v_mul_lo_u32 v33, v18, s27
	v_mad_u64_u32 v[34:35], s[42:43], v18, s26, 0
	v_add3_u32 v35, v35, v33, v32
	v_lshl_add_u64 v[32:33], v[30:31], 1, s[36:37]
	v_lshl_add_u64 v[30:31], v[34:35], 1, s[36:37]
	global_load_ushort v34, v[32:33], off
	global_load_ushort v35, v[30:31], off
	s_mov_b64 s[46:47], -1
	s_waitcnt vmcnt(0)
	v_cmp_eq_u16_e32 vcc, v34, v35
	s_and_saveexec_b64 s[42:43], vcc
	s_cbranch_execz .LBB731_313
; %bb.307:
	s_add_u32 s46, s26, -1
	v_lshl_add_u64 v[30:31], v[30:31], 0, 2
	v_lshl_add_u64 v[32:33], v[32:33], 0, 2
	s_addc_u32 s47, s27, -1
	s_mov_b64 s[48:49], 0
	s_mov_b64 s[52:53], 0
                                        ; implicit-def: $sgpr50_sgpr51
	s_branch .LBB731_310
.LBB731_308:                            ;   in Loop: Header=BB731_310 Depth=1
	global_load_ushort v34, v[32:33], off
	global_load_ushort v35, v[30:31], off
	s_add_u32 s52, s52, 1
	s_addc_u32 s53, s53, 0
	s_andn2_b64 s[50:51], s[50:51], exec
	v_lshl_add_u64 v[30:31], v[30:31], 0, 2
	v_lshl_add_u64 v[32:33], v[32:33], 0, 2
	s_waitcnt vmcnt(0)
	v_cmp_ne_u16_e32 vcc, v34, v35
	s_and_b64 s[56:57], vcc, exec
	s_or_b64 s[50:51], s[50:51], s[56:57]
.LBB731_309:                            ;   in Loop: Header=BB731_310 Depth=1
	s_and_b64 s[56:57], exec, s[50:51]
	s_or_b64 s[48:49], s[56:57], s[48:49]
	v_mov_b64_e32 v[34:35], s[52:53]
	s_andn2_b64 exec, exec, s[48:49]
	s_cbranch_execz .LBB731_312
.LBB731_310:                            ; =>This Inner Loop Header: Depth=1
	s_or_b64 s[50:51], s[50:51], exec
	s_cmp_eq_u64 s[46:47], s[52:53]
	s_cbranch_scc0 .LBB731_308
; %bb.311:                              ;   in Loop: Header=BB731_310 Depth=1
                                        ; implicit-def: $vgpr30_vgpr31
                                        ; implicit-def: $vgpr32_vgpr33
	s_mov_b64 s[52:53], s[26:27]
	s_branch .LBB731_309
.LBB731_312:
	s_or_b64 exec, exec, s[48:49]
	v_cmp_gt_i64_e32 vcc, s[26:27], v[34:35]
	s_orn2_b64 s[46:47], vcc, exec
.LBB731_313:
	s_or_b64 exec, exec, s[42:43]
.LBB731_314:
	s_and_b64 s[42:43], s[46:47], exec
.LBB731_315:
	s_or_b64 exec, exec, s[44:45]
	v_cmp_gt_u32_e32 vcc, s54, v43
	s_and_saveexec_b64 s[44:45], vcc
	s_cbranch_execz .LBB731_326
; %bb.316:
	s_andn2_b64 vcc, exec, s[6:7]
	s_mov_b64 s[46:47], 0
	s_cbranch_vccnz .LBB731_325
; %bb.317:
	v_mul_lo_u32 v32, v23, s26
	v_mul_lo_u32 v33, v22, s27
	s_waitcnt vmcnt(0) lgkmcnt(1)
	v_mad_u64_u32 v[30:31], s[40:41], v22, s26, 0
	v_add3_u32 v31, v31, v33, v32
	v_mul_lo_u32 v32, v25, s26
	v_mul_lo_u32 v33, v24, s27
	v_mad_u64_u32 v[34:35], s[40:41], v24, s26, 0
	v_add3_u32 v35, v35, v33, v32
	v_lshl_add_u64 v[32:33], v[30:31], 1, s[36:37]
	v_lshl_add_u64 v[30:31], v[34:35], 1, s[36:37]
	global_load_ushort v34, v[32:33], off
	global_load_ushort v35, v[30:31], off
	s_mov_b64 s[46:47], -1
	s_waitcnt vmcnt(0)
	v_cmp_eq_u16_e32 vcc, v34, v35
	s_and_saveexec_b64 s[40:41], vcc
	s_cbranch_execz .LBB731_324
; %bb.318:
	s_add_u32 s46, s26, -1
	v_lshl_add_u64 v[30:31], v[30:31], 0, 2
	v_lshl_add_u64 v[32:33], v[32:33], 0, 2
	s_addc_u32 s47, s27, -1
	s_mov_b64 s[48:49], 0
	s_mov_b64 s[52:53], 0
                                        ; implicit-def: $sgpr50_sgpr51
	s_branch .LBB731_321
.LBB731_319:                            ;   in Loop: Header=BB731_321 Depth=1
	global_load_ushort v34, v[32:33], off
	global_load_ushort v35, v[30:31], off
	s_add_u32 s52, s52, 1
	s_addc_u32 s53, s53, 0
	s_andn2_b64 s[50:51], s[50:51], exec
	v_lshl_add_u64 v[30:31], v[30:31], 0, 2
	v_lshl_add_u64 v[32:33], v[32:33], 0, 2
	s_waitcnt vmcnt(0)
	v_cmp_ne_u16_e32 vcc, v34, v35
	s_and_b64 s[56:57], vcc, exec
	s_or_b64 s[50:51], s[50:51], s[56:57]
.LBB731_320:                            ;   in Loop: Header=BB731_321 Depth=1
	s_and_b64 s[56:57], exec, s[50:51]
	s_or_b64 s[48:49], s[56:57], s[48:49]
	v_mov_b64_e32 v[34:35], s[52:53]
	s_andn2_b64 exec, exec, s[48:49]
	s_cbranch_execz .LBB731_323
.LBB731_321:                            ; =>This Inner Loop Header: Depth=1
	s_or_b64 s[50:51], s[50:51], exec
	s_cmp_eq_u64 s[46:47], s[52:53]
	s_cbranch_scc0 .LBB731_319
; %bb.322:                              ;   in Loop: Header=BB731_321 Depth=1
                                        ; implicit-def: $vgpr30_vgpr31
                                        ; implicit-def: $vgpr32_vgpr33
	s_mov_b64 s[52:53], s[26:27]
	s_branch .LBB731_320
.LBB731_323:
	s_or_b64 exec, exec, s[48:49]
	v_cmp_gt_i64_e32 vcc, s[26:27], v[34:35]
	s_orn2_b64 s[46:47], vcc, exec
.LBB731_324:
	s_or_b64 exec, exec, s[40:41]
.LBB731_325:
	s_and_b64 s[40:41], s[46:47], exec
.LBB731_326:
	s_or_b64 exec, exec, s[44:45]
	s_waitcnt vmcnt(0) lgkmcnt(1)
	v_cndmask_b32_e64 v31, 0, 1, s[16:17]
	v_cndmask_b32_e64 v30, 0, 1, s[42:43]
	;; [unrolled: 1-line block ×3, first 2 shown]
	v_lshlrev_b16_e32 v31, 8, v31
	v_cndmask_b32_e64 v39, 0, 1, s[14:15]
	v_cndmask_b32_e64 v32, 0, 1, s[40:41]
	v_or_b32_sdwa v30, v30, v31 dst_sel:WORD_1 dst_unused:UNUSED_PAD src0_sel:DWORD src1_sel:DWORD
	v_lshlrev_b16_e32 v31, 8, v48
	v_lshlrev_b16_e32 v32, 8, v32
	v_or_b32_e32 v31, v39, v31
	v_or_b32_e32 v32, 1, v32
	v_and_b32_e32 v31, 0xffff, v31
	v_cndmask_b32_e64 v49, 0, 1, s[4:5]
	v_or_b32_sdwa v30, v32, v30 dst_sel:DWORD dst_unused:UNUSED_PAD src0_sel:WORD_0 src1_sel:DWORD
	v_lshl_or_b32 v31, v49, 16, v31
	s_waitcnt lgkmcnt(0)
	s_barrier
	s_waitcnt lgkmcnt(0)
                                        ; implicit-def: $sgpr14_sgpr15
                                        ; implicit-def: $vgpr34
	s_and_saveexec_b64 s[4:5], s[2:3]
	s_cbranch_execz .LBB731_339
; %bb.327:
	v_cmp_gt_u32_e32 vcc, s54, v1
	s_mov_b32 s40, 0x3020104
	s_mov_b64 s[12:13], 0
	s_and_saveexec_b64 s[2:3], vcc
	s_cbranch_execz .LBB731_338
; %bb.328:
	s_andn2_b64 vcc, exec, s[6:7]
	s_cbranch_vccnz .LBB731_337
; %bb.329:
	v_add_u32_e32 v31, -8, v38
	ds_read_b64 v[32:33], v31
	v_mul_lo_u32 v31, v23, s26
	v_mad_u64_u32 v[36:37], s[6:7], v22, s26, 0
	s_mov_b64 s[12:13], -1
	s_waitcnt lgkmcnt(0)
	v_mul_lo_u32 v34, v33, s26
	v_mul_lo_u32 v35, v32, s27
	v_mad_u64_u32 v[32:33], s[6:7], v32, s26, 0
	v_add3_u32 v33, v33, v35, v34
	v_mul_lo_u32 v34, v22, s27
	v_add3_u32 v37, v37, v34, v31
	v_lshl_add_u64 v[34:35], v[32:33], 1, s[36:37]
	v_lshl_add_u64 v[32:33], v[36:37], 1, s[36:37]
	global_load_ushort v31, v[34:35], off
	global_load_ushort v36, v[32:33], off
	s_waitcnt vmcnt(0)
	v_cmp_eq_u16_e32 vcc, v31, v36
	s_and_saveexec_b64 s[6:7], vcc
	s_cbranch_execz .LBB731_336
; %bb.330:
	s_add_u32 s12, s26, -1
	v_lshl_add_u64 v[32:33], v[32:33], 0, 2
	v_lshl_add_u64 v[34:35], v[34:35], 0, 2
	s_addc_u32 s13, s27, -1
	s_mov_b64 s[14:15], 0
	s_mov_b64 s[36:37], 0
                                        ; implicit-def: $sgpr16_sgpr17
	s_branch .LBB731_333
.LBB731_331:                            ;   in Loop: Header=BB731_333 Depth=1
	global_load_ushort v31, v[34:35], off
	global_load_ushort v36, v[32:33], off
	s_add_u32 s36, s36, 1
	s_addc_u32 s37, s37, 0
	s_andn2_b64 s[16:17], s[16:17], exec
	v_lshl_add_u64 v[32:33], v[32:33], 0, 2
	v_lshl_add_u64 v[34:35], v[34:35], 0, 2
	s_waitcnt vmcnt(0)
	v_cmp_ne_u16_e32 vcc, v31, v36
	s_and_b64 s[42:43], vcc, exec
	s_or_b64 s[16:17], s[16:17], s[42:43]
.LBB731_332:                            ;   in Loop: Header=BB731_333 Depth=1
	s_and_b64 s[42:43], exec, s[16:17]
	s_or_b64 s[14:15], s[42:43], s[14:15]
	v_mov_b64_e32 v[36:37], s[36:37]
	s_andn2_b64 exec, exec, s[14:15]
	s_cbranch_execz .LBB731_335
.LBB731_333:                            ; =>This Inner Loop Header: Depth=1
	s_or_b64 s[16:17], s[16:17], exec
	s_cmp_eq_u64 s[12:13], s[36:37]
	s_cbranch_scc0 .LBB731_331
; %bb.334:                              ;   in Loop: Header=BB731_333 Depth=1
                                        ; implicit-def: $vgpr32_vgpr33
                                        ; implicit-def: $vgpr34_vgpr35
	s_mov_b64 s[36:37], s[26:27]
	s_branch .LBB731_332
.LBB731_335:
	s_or_b64 exec, exec, s[14:15]
	v_cmp_gt_i64_e32 vcc, s[26:27], v[36:37]
	s_orn2_b64 s[12:13], vcc, exec
.LBB731_336:
	s_or_b64 exec, exec, s[6:7]
.LBB731_337:
	s_and_b64 s[12:13], s[12:13], exec
.LBB731_338:
	s_or_b64 exec, exec, s[2:3]
	v_perm_b32 v34, v30, v30, s40
	s_and_b64 s[14:15], s[12:13], exec
	s_or_b64 s[10:11], s[10:11], exec
                                        ; implicit-def: $vgpr30_vgpr31
.LBB731_339:
	s_or_b64 exec, exec, s[4:5]
.LBB731_340:
	s_and_saveexec_b64 s[2:3], s[10:11]
	s_cbranch_execz .LBB731_342
; %bb.341:
	s_waitcnt vmcnt(0) lgkmcnt(0)
	v_lshlrev_b16_e32 v31, 8, v48
	v_and_b32_e32 v32, 0xff, v49
	v_or_b32_sdwa v31, v39, v31 dst_sel:DWORD dst_unused:UNUSED_PAD src0_sel:BYTE_0 src1_sel:DWORD
	v_lshlrev_b32_e32 v32, 16, v32
	s_movk_i32 s4, 0xff
	v_or_b32_sdwa v31, v31, v32 dst_sel:DWORD dst_unused:UNUSED_PAD src0_sel:WORD_0 src1_sel:DWORD
	v_lshrrev_b32_e32 v32, 24, v34
	v_lshlrev_b16_e32 v32, 8, v32
	v_and_b32_sdwa v33, v34, s4 dst_sel:DWORD dst_unused:UNUSED_PAD src0_sel:WORD_1 src1_sel:DWORD
	v_or_b32_sdwa v32, v33, v32 dst_sel:WORD_1 dst_unused:UNUSED_PAD src0_sel:DWORD src1_sel:DWORD
	v_mov_b32_e32 v33, 8
	v_cndmask_b32_e64 v30, 0, 1, s[14:15]
	v_lshrrev_b32_sdwa v33, v33, v34 dst_sel:BYTE_1 dst_unused:UNUSED_PAD src0_sel:DWORD src1_sel:DWORD
	s_nop 0
	v_or_b32_e32 v30, v30, v33
	v_or_b32_sdwa v30, v30, v32 dst_sel:DWORD dst_unused:UNUSED_PAD src0_sel:WORD_0 src1_sel:DWORD
.LBB731_342:
	s_or_b64 exec, exec, s[2:3]
	s_andn2_b64 vcc, exec, s[8:9]
	s_cbranch_vccnz .LBB731_344
; %bb.343:
	s_waitcnt vmcnt(0) lgkmcnt(0)
	v_and_b32_e32 v32, 0xffff0000, v30
	v_cmp_gt_u32_e32 vcc, s54, v1
	s_mov_b32 s2, 0x40c0100
	s_nop 0
	v_cndmask_b32_e32 v1, v32, v30, vcc
	v_and_b32_e32 v1, 0xffff00ff, v1
	v_cmp_gt_u32_e32 vcc, s54, v43
	s_nop 1
	v_cndmask_b32_e32 v1, v1, v30, vcc
	v_lshrrev_b32_e32 v32, 24, v1
	v_perm_b32 v1, v32, v1, s2
	v_cmp_gt_u32_e32 vcc, s54, v40
	v_and_b32_e32 v32, 0xffffff00, v31
	s_nop 0
	v_cndmask_b32_e32 v1, v1, v30, vcc
	v_and_b32_e32 v1, 0xffffff, v1
	v_cmp_gt_u32_e32 vcc, s54, v44
	s_nop 1
	v_cndmask_b32_e32 v1, v1, v30, vcc
	v_cmp_gt_u32_e32 vcc, s54, v41
	s_nop 1
	v_cndmask_b32_e32 v32, v32, v31, vcc
	v_and_b32_e32 v32, 0xffff00ff, v32
	v_cndmask_b32_e32 v1, v1, v30, vcc
	v_cmp_gt_u32_e32 vcc, s54, v45
	s_nop 1
	v_cndmask_b32_e32 v32, v32, v31, vcc
	v_lshrrev_b32_e32 v33, 24, v32
	v_cndmask_b32_e32 v1, v1, v30, vcc
	v_perm_b32 v32, v33, v32, s2
	v_cmp_gt_u32_e32 vcc, s54, v42
	s_mov_b32 s2, 0x3020104
	s_nop 0
	v_cndmask_b32_e32 v1, v1, v30, vcc
	v_cndmask_b32_e32 v30, v32, v31, vcc
	v_mov_b32_e32 v31, 8
	v_lshrrev_b32_sdwa v31, v31, v30 dst_sel:BYTE_1 dst_unused:UNUSED_PAD src0_sel:DWORD src1_sel:DWORD
	s_nop 0
	v_or_b32_sdwa v31, v30, v31 dst_sel:DWORD dst_unused:UNUSED_PAD src0_sel:BYTE_0 src1_sel:DWORD
	v_and_b32_e32 v31, 0xffff, v31
	v_bfe_u32 v30, v30, 16, 8
	v_lshl_or_b32 v31, v30, 16, v31
	v_perm_b32 v30, v1, v1, s2
.LBB731_344:
	s_waitcnt vmcnt(0) lgkmcnt(0)
	v_and_b32_e32 v1, 0xff, v30
	v_bfe_u32 v43, v30, 8, 8
	v_bfe_u32 v45, v30, 16, 8
	v_alignbit_b32 v32, v31, v30, 24
	v_and_b32_e32 v47, 0xff, v32
	v_and_b32_e32 v48, 0xff, v31
	v_add3_u32 v33, v43, v1, v45
	v_bfe_u32 v49, v31, 8, 8
	v_bfe_u32 v32, v31, 16, 8
	v_add3_u32 v33, v33, v47, v48
	v_add3_u32 v52, v33, v49, v32
	v_mbcnt_lo_u32_b32 v32, -1, 0
	v_mbcnt_hi_u32_b32 v50, -1, v32
	v_and_b32_e32 v32, 15, v50
	v_cmp_eq_u32_e64 s[14:15], 0, v32
	v_cmp_lt_u32_e64 s[12:13], 1, v32
	v_cmp_lt_u32_e64 s[10:11], 3, v32
	;; [unrolled: 1-line block ×3, first 2 shown]
	v_and_b32_e32 v32, 16, v50
	v_cmp_eq_u32_e64 s[6:7], 0, v32
	v_or_b32_e32 v32, 63, v0
	v_cmp_lt_u32_e64 s[2:3], 31, v50
	v_lshrrev_b32_e32 v51, 6, v0
	v_cmp_eq_u32_e64 s[4:5], v32, v0
	s_and_b64 vcc, exec, s[0:1]
	s_barrier
	s_cbranch_vccz .LBB731_375
; %bb.345:
	v_mov_b32_dpp v32, v52 row_shr:1 row_mask:0xf bank_mask:0xf
	v_cndmask_b32_e64 v32, v32, 0, s[14:15]
	v_add_u32_e32 v32, v32, v52
	s_nop 1
	v_mov_b32_dpp v33, v32 row_shr:2 row_mask:0xf bank_mask:0xf
	v_cndmask_b32_e64 v33, 0, v33, s[12:13]
	v_add_u32_e32 v32, v32, v33
	s_nop 1
	;; [unrolled: 4-line block ×4, first 2 shown]
	v_mov_b32_dpp v33, v32 row_bcast:15 row_mask:0xf bank_mask:0xf
	v_cndmask_b32_e64 v33, v33, 0, s[6:7]
	v_add_u32_e32 v32, v32, v33
	s_nop 1
	v_mov_b32_dpp v33, v32 row_bcast:31 row_mask:0xf bank_mask:0xf
	v_cndmask_b32_e64 v33, 0, v33, s[2:3]
	v_add_u32_e32 v32, v32, v33
	s_and_saveexec_b64 s[0:1], s[4:5]
	s_cbranch_execz .LBB731_347
; %bb.346:
	v_lshlrev_b32_e32 v33, 2, v51
	ds_write_b32 v33, v32
.LBB731_347:
	s_or_b64 exec, exec, s[0:1]
	v_cmp_gt_u32_e32 vcc, 8, v0
	s_waitcnt lgkmcnt(0)
	s_barrier
	s_and_saveexec_b64 s[0:1], vcc
	s_cbranch_execz .LBB731_349
; %bb.348:
	v_lshlrev_b32_e32 v33, 2, v0
	ds_read_b32 v34, v33
	v_and_b32_e32 v35, 7, v50
	v_cmp_ne_u32_e32 vcc, 0, v35
	s_waitcnt lgkmcnt(0)
	v_mov_b32_dpp v36, v34 row_shr:1 row_mask:0xf bank_mask:0xf
	v_cndmask_b32_e32 v36, 0, v36, vcc
	v_add_u32_e32 v34, v36, v34
	v_cmp_lt_u32_e32 vcc, 1, v35
	s_nop 0
	v_mov_b32_dpp v36, v34 row_shr:2 row_mask:0xf bank_mask:0xf
	v_cndmask_b32_e32 v36, 0, v36, vcc
	v_add_u32_e32 v34, v34, v36
	v_cmp_lt_u32_e32 vcc, 3, v35
	s_nop 0
	v_mov_b32_dpp v36, v34 row_shr:4 row_mask:0xf bank_mask:0xf
	v_cndmask_b32_e32 v35, 0, v36, vcc
	v_add_u32_e32 v34, v34, v35
	ds_write_b32 v33, v34
.LBB731_349:
	s_or_b64 exec, exec, s[0:1]
	v_cmp_gt_u32_e32 vcc, 64, v0
	v_cmp_lt_u32_e64 s[0:1], 63, v0
	s_waitcnt lgkmcnt(0)
	s_barrier
	s_waitcnt lgkmcnt(0)
                                        ; implicit-def: $vgpr42
	s_and_saveexec_b64 s[16:17], s[0:1]
	s_cbranch_execz .LBB731_351
; %bb.350:
	v_lshl_add_u32 v33, v51, 2, -4
	ds_read_b32 v42, v33
	s_waitcnt lgkmcnt(0)
	v_add_u32_e32 v32, v42, v32
.LBB731_351:
	s_or_b64 exec, exec, s[16:17]
	v_add_u32_e32 v33, -1, v50
	v_and_b32_e32 v34, 64, v50
	v_cmp_lt_i32_e64 s[0:1], v33, v34
	v_cmp_eq_u32_e64 s[16:17], 0, v50
	s_nop 0
	v_cndmask_b32_e64 v33, v33, v50, s[0:1]
	v_lshlrev_b32_e32 v33, 2, v33
	ds_bpermute_b32 v44, v33, v32
	s_and_saveexec_b64 s[0:1], vcc
	s_cbranch_execz .LBB731_374
; %bb.352:
	v_mov_b32_e32 v41, 0
	ds_read_b32 v32, v41 offset:28
	s_and_saveexec_b64 s[26:27], s[16:17]
	s_cbranch_execz .LBB731_354
; %bb.353:
	s_add_i32 s36, s33, 64
	s_mov_b32 s37, 0
	s_lshl_b64 s[36:37], s[36:37], 3
	s_add_u32 s36, s38, s36
	v_mov_b32_e32 v33, 1
	s_addc_u32 s37, s39, s37
	s_waitcnt lgkmcnt(0)
	global_store_dwordx2 v41, v[32:33], s[36:37] sc1
.LBB731_354:
	s_or_b64 exec, exec, s[26:27]
	v_xad_u32 v34, v50, -1, s33
	v_add_u32_e32 v40, 64, v34
	v_lshl_add_u64 v[36:37], v[40:41], 3, s[38:39]
	global_load_dwordx2 v[38:39], v[36:37], off sc1
	s_waitcnt vmcnt(0)
	v_cmp_eq_u16_sdwa s[36:37], v39, v41 src0_sel:BYTE_0 src1_sel:DWORD
	s_and_saveexec_b64 s[26:27], s[36:37]
	s_cbranch_execz .LBB731_360
; %bb.355:
	s_mov_b32 s40, 1
	s_mov_b64 s[36:37], 0
	v_mov_b32_e32 v33, 0
.LBB731_356:                            ; =>This Loop Header: Depth=1
                                        ;     Child Loop BB731_357 Depth 2
	s_max_u32 s41, s40, 1
.LBB731_357:                            ;   Parent Loop BB731_356 Depth=1
                                        ; =>  This Inner Loop Header: Depth=2
	s_add_i32 s41, s41, -1
	s_cmp_eq_u32 s41, 0
	s_sleep 1
	s_cbranch_scc0 .LBB731_357
; %bb.358:                              ;   in Loop: Header=BB731_356 Depth=1
	global_load_dwordx2 v[38:39], v[36:37], off sc1
	s_cmp_lt_u32 s40, 32
	s_cselect_b64 s[42:43], -1, 0
	s_cmp_lg_u64 s[42:43], 0
	s_addc_u32 s40, s40, 0
	s_waitcnt vmcnt(0)
	v_cmp_ne_u16_sdwa s[42:43], v39, v33 src0_sel:BYTE_0 src1_sel:DWORD
	s_or_b64 s[36:37], s[42:43], s[36:37]
	s_andn2_b64 exec, exec, s[36:37]
	s_cbranch_execnz .LBB731_356
; %bb.359:
	s_or_b64 exec, exec, s[36:37]
.LBB731_360:
	s_or_b64 exec, exec, s[26:27]
	v_and_b32_e32 v46, 63, v50
	v_mov_b32_e32 v33, 2
	v_cmp_ne_u32_e32 vcc, 63, v46
	v_cmp_eq_u16_sdwa s[26:27], v39, v33 src0_sel:BYTE_0 src1_sel:DWORD
	v_lshlrev_b64 v[36:37], v50, -1
	v_addc_co_u32_e32 v41, vcc, 0, v50, vcc
	v_and_b32_e32 v35, s27, v37
	v_lshlrev_b32_e32 v53, 2, v41
	v_or_b32_e32 v35, 0x80000000, v35
	ds_bpermute_b32 v41, v53, v38
	v_and_b32_e32 v40, s26, v36
	v_ffbl_b32_e32 v35, v35
	v_add_u32_e32 v35, 32, v35
	v_ffbl_b32_e32 v40, v40
	v_min_u32_e32 v35, v40, v35
	v_cmp_lt_u32_e32 vcc, v46, v35
	v_add_u32_e32 v55, 2, v46
	v_add_u32_e32 v57, 4, v46
	s_waitcnt lgkmcnt(0)
	v_cndmask_b32_e32 v40, 0, v41, vcc
	v_cmp_gt_u32_e32 vcc, 62, v46
	v_add_u32_e32 v38, v40, v38
	v_add_u32_e32 v59, 8, v46
	v_cndmask_b32_e64 v40, 0, 1, vcc
	v_lshlrev_b32_e32 v40, 1, v40
	v_add_lshl_u32 v54, v40, v50, 2
	ds_bpermute_b32 v40, v54, v38
	v_cmp_le_u32_e32 vcc, v55, v35
	v_add_u32_e32 v62, 16, v46
	v_add_u32_e32 v64, 32, v46
	s_waitcnt lgkmcnt(0)
	v_cndmask_b32_e32 v40, 0, v40, vcc
	v_cmp_gt_u32_e32 vcc, 60, v46
	v_add_u32_e32 v38, v38, v40
	s_nop 0
	v_cndmask_b32_e64 v40, 0, 1, vcc
	v_lshlrev_b32_e32 v40, 2, v40
	v_add_lshl_u32 v56, v40, v50, 2
	ds_bpermute_b32 v40, v56, v38
	v_cmp_le_u32_e32 vcc, v57, v35
	s_waitcnt lgkmcnt(0)
	s_nop 0
	v_cndmask_b32_e32 v40, 0, v40, vcc
	v_cmp_gt_u32_e32 vcc, 56, v46
	v_add_u32_e32 v38, v38, v40
	s_nop 0
	v_cndmask_b32_e64 v40, 0, 1, vcc
	v_lshlrev_b32_e32 v40, 3, v40
	v_add_lshl_u32 v58, v40, v50, 2
	ds_bpermute_b32 v40, v58, v38
	v_cmp_le_u32_e32 vcc, v59, v35
	s_waitcnt lgkmcnt(0)
	s_nop 0
	v_cndmask_b32_e32 v40, 0, v40, vcc
	v_cmp_gt_u32_e32 vcc, 48, v46
	v_add_u32_e32 v38, v38, v40
	s_nop 0
	v_cndmask_b32_e64 v40, 0, 1, vcc
	v_lshlrev_b32_e32 v40, 4, v40
	v_add_lshl_u32 v61, v40, v50, 2
	ds_bpermute_b32 v40, v61, v38
	v_cmp_le_u32_e32 vcc, v62, v35
	s_waitcnt lgkmcnt(0)
	s_nop 0
	v_cndmask_b32_e32 v40, 0, v40, vcc
	v_cmp_gt_u32_e32 vcc, 32, v46
	v_add_u32_e32 v38, v38, v40
	s_nop 0
	v_cndmask_b32_e64 v40, 0, 1, vcc
	v_lshlrev_b32_e32 v40, 5, v40
	v_add_lshl_u32 v63, v40, v50, 2
	ds_bpermute_b32 v40, v63, v38
	v_cmp_le_u32_e32 vcc, v64, v35
	s_waitcnt lgkmcnt(0)
	s_nop 0
	v_cndmask_b32_e32 v35, 0, v40, vcc
	v_add_u32_e32 v38, v38, v35
	v_mov_b32_e32 v35, 0
	s_branch .LBB731_362
.LBB731_361:                            ;   in Loop: Header=BB731_362 Depth=1
	s_or_b64 exec, exec, s[26:27]
	v_cmp_eq_u16_sdwa s[26:27], v39, v33 src0_sel:BYTE_0 src1_sel:DWORD
	ds_bpermute_b32 v65, v53, v38
	v_subrev_u32_e32 v34, 64, v34
	v_and_b32_e32 v40, s27, v37
	v_or_b32_e32 v40, 0x80000000, v40
	v_and_b32_e32 v41, s26, v36
	v_ffbl_b32_e32 v40, v40
	v_add_u32_e32 v40, 32, v40
	v_ffbl_b32_e32 v41, v41
	v_min_u32_e32 v40, v41, v40
	v_cmp_lt_u32_e32 vcc, v46, v40
	s_waitcnt lgkmcnt(0)
	s_nop 0
	v_cndmask_b32_e32 v41, 0, v65, vcc
	v_add_u32_e32 v38, v41, v38
	ds_bpermute_b32 v41, v54, v38
	v_cmp_le_u32_e32 vcc, v55, v40
	s_waitcnt lgkmcnt(0)
	s_nop 0
	v_cndmask_b32_e32 v41, 0, v41, vcc
	v_add_u32_e32 v38, v38, v41
	ds_bpermute_b32 v41, v56, v38
	v_cmp_le_u32_e32 vcc, v57, v40
	;; [unrolled: 6-line block ×5, first 2 shown]
	s_waitcnt lgkmcnt(0)
	s_nop 0
	v_cndmask_b32_e32 v40, 0, v41, vcc
	v_add3_u32 v38, v40, v60, v38
.LBB731_362:                            ; =>This Loop Header: Depth=1
                                        ;     Child Loop BB731_365 Depth 2
                                        ;       Child Loop BB731_366 Depth 3
	v_cmp_ne_u16_sdwa s[26:27], v39, v33 src0_sel:BYTE_0 src1_sel:DWORD
	v_mov_b32_e32 v60, v38
	s_nop 0
	v_cndmask_b32_e64 v39, 0, 1, s[26:27]
	;;#ASMSTART
	;;#ASMEND
	s_nop 0
	v_cmp_ne_u32_e32 vcc, 0, v39
	s_cmp_lg_u64 vcc, exec
	s_cbranch_scc1 .LBB731_369
; %bb.363:                              ;   in Loop: Header=BB731_362 Depth=1
	v_lshl_add_u64 v[40:41], v[34:35], 3, s[38:39]
	global_load_dwordx2 v[38:39], v[40:41], off sc1
	s_waitcnt vmcnt(0)
	v_cmp_eq_u16_sdwa s[36:37], v39, v35 src0_sel:BYTE_0 src1_sel:DWORD
	s_and_saveexec_b64 s[26:27], s[36:37]
	s_cbranch_execz .LBB731_361
; %bb.364:                              ;   in Loop: Header=BB731_362 Depth=1
	s_mov_b32 s40, 1
	s_mov_b64 s[36:37], 0
.LBB731_365:                            ;   Parent Loop BB731_362 Depth=1
                                        ; =>  This Loop Header: Depth=2
                                        ;       Child Loop BB731_366 Depth 3
	s_max_u32 s41, s40, 1
.LBB731_366:                            ;   Parent Loop BB731_362 Depth=1
                                        ;     Parent Loop BB731_365 Depth=2
                                        ; =>    This Inner Loop Header: Depth=3
	s_add_i32 s41, s41, -1
	s_cmp_eq_u32 s41, 0
	s_sleep 1
	s_cbranch_scc0 .LBB731_366
; %bb.367:                              ;   in Loop: Header=BB731_365 Depth=2
	global_load_dwordx2 v[38:39], v[40:41], off sc1
	s_cmp_lt_u32 s40, 32
	s_cselect_b64 s[42:43], -1, 0
	s_cmp_lg_u64 s[42:43], 0
	s_addc_u32 s40, s40, 0
	s_waitcnt vmcnt(0)
	v_cmp_ne_u16_sdwa s[42:43], v39, v35 src0_sel:BYTE_0 src1_sel:DWORD
	s_or_b64 s[36:37], s[42:43], s[36:37]
	s_andn2_b64 exec, exec, s[36:37]
	s_cbranch_execnz .LBB731_365
; %bb.368:                              ;   in Loop: Header=BB731_362 Depth=1
	s_or_b64 exec, exec, s[36:37]
	s_branch .LBB731_361
.LBB731_369:                            ;   in Loop: Header=BB731_362 Depth=1
                                        ; implicit-def: $vgpr38
                                        ; implicit-def: $vgpr39
	s_cbranch_execz .LBB731_362
; %bb.370:
	s_and_saveexec_b64 s[26:27], s[16:17]
	s_cbranch_execz .LBB731_372
; %bb.371:
	s_add_i32 s36, s33, 64
	s_mov_b32 s37, 0
	s_lshl_b64 s[36:37], s[36:37], 3
	s_add_u32 s36, s38, s36
	v_add_u32_e32 v34, v60, v32
	v_mov_b32_e32 v35, 2
	s_addc_u32 s37, s39, s37
	v_mov_b32_e32 v33, 0
	s_movk_i32 s33, 0x7000
	global_store_dwordx2 v33, v[34:35], s[36:37] sc1
	v_add_u32_e64 v33, s33, 0
	ds_write2_b32 v33, v32, v60 offset1:2
.LBB731_372:
	s_or_b64 exec, exec, s[26:27]
	s_and_b64 exec, exec, s[18:19]
	s_cbranch_execz .LBB731_374
; %bb.373:
	v_mov_b32_e32 v32, 0
	ds_write_b32 v32, v60 offset:28
.LBB731_374:
	s_or_b64 exec, exec, s[0:1]
	v_mov_b32_e32 v32, 0
	s_waitcnt lgkmcnt(0)
	s_barrier
	ds_read_b32 v32, v32 offset:28
	v_cndmask_b32_e64 v33, v44, v42, s[16:17]
	v_cndmask_b32_e64 v33, v33, 0, s[18:19]
	s_movk_i32 s0, 0x7000
	s_waitcnt lgkmcnt(0)
	v_add_u32_e32 v46, v32, v33
	v_add_u32_e64 v32, s0, 0
	v_add_u32_e32 v44, v46, v1
	s_barrier
	ds_read2_b32 v[32:33], v32 offset1:2
	v_add_u32_e32 v42, v44, v43
	v_add_u32_e32 v40, v42, v45
	;; [unrolled: 1-line block ×5, first 2 shown]
	s_waitcnt lgkmcnt(0)
	v_readfirstlane_b32 s26, v32
	v_readfirstlane_b32 s16, v33
	v_lshrrev_b64 v[32:33], 24, v[30:31]
	s_branch .LBB731_385
.LBB731_375:
                                        ; implicit-def: $vgpr34
                                        ; implicit-def: $vgpr36
                                        ; implicit-def: $vgpr38
                                        ; implicit-def: $vgpr40
                                        ; implicit-def: $vgpr42
                                        ; implicit-def: $vgpr44
                                        ; implicit-def: $vgpr46
                                        ; implicit-def: $sgpr16
                                        ; implicit-def: $sgpr26
	v_lshrrev_b64 v[32:33], 24, v[30:31]
	s_cbranch_execz .LBB731_385
; %bb.376:
	s_nop 0
	v_mov_b32_dpp v33, v52 row_shr:1 row_mask:0xf bank_mask:0xf
	v_cndmask_b32_e64 v33, v33, 0, s[14:15]
	v_add_u32_e32 v33, v33, v52
	s_nop 1
	v_mov_b32_dpp v34, v33 row_shr:2 row_mask:0xf bank_mask:0xf
	v_cndmask_b32_e64 v34, 0, v34, s[12:13]
	v_add_u32_e32 v33, v33, v34
	;; [unrolled: 4-line block ×4, first 2 shown]
	s_nop 1
	v_mov_b32_dpp v34, v33 row_bcast:15 row_mask:0xf bank_mask:0xf
	v_cndmask_b32_e64 v34, v34, 0, s[6:7]
	v_add_u32_e32 v33, v33, v34
	s_nop 1
	v_mov_b32_dpp v34, v33 row_bcast:31 row_mask:0xf bank_mask:0xf
	v_cndmask_b32_e64 v34, 0, v34, s[2:3]
	v_add_u32_e32 v33, v33, v34
	s_and_saveexec_b64 s[0:1], s[4:5]
	s_cbranch_execz .LBB731_378
; %bb.377:
	v_lshlrev_b32_e32 v34, 2, v51
	ds_write_b32 v34, v33
.LBB731_378:
	s_or_b64 exec, exec, s[0:1]
	v_cmp_gt_u32_e32 vcc, 8, v0
	s_waitcnt lgkmcnt(0)
	s_barrier
	s_and_saveexec_b64 s[0:1], vcc
	s_cbranch_execz .LBB731_380
; %bb.379:
	v_lshlrev_b32_e32 v34, 2, v0
	ds_read_b32 v35, v34
	v_and_b32_e32 v36, 7, v50
	v_cmp_ne_u32_e32 vcc, 0, v36
	s_waitcnt lgkmcnt(0)
	v_mov_b32_dpp v37, v35 row_shr:1 row_mask:0xf bank_mask:0xf
	v_cndmask_b32_e32 v37, 0, v37, vcc
	v_add_u32_e32 v35, v37, v35
	v_cmp_lt_u32_e32 vcc, 1, v36
	s_nop 0
	v_mov_b32_dpp v37, v35 row_shr:2 row_mask:0xf bank_mask:0xf
	v_cndmask_b32_e32 v37, 0, v37, vcc
	v_add_u32_e32 v35, v35, v37
	v_cmp_lt_u32_e32 vcc, 3, v36
	s_nop 0
	v_mov_b32_dpp v37, v35 row_shr:4 row_mask:0xf bank_mask:0xf
	v_cndmask_b32_e32 v36, 0, v37, vcc
	v_add_u32_e32 v35, v35, v36
	ds_write_b32 v34, v35
.LBB731_380:
	s_or_b64 exec, exec, s[0:1]
	v_cmp_lt_u32_e32 vcc, 63, v0
	v_mov_b32_e32 v35, 0
	v_mov_b32_e32 v34, 0
	s_waitcnt lgkmcnt(0)
	s_barrier
	s_and_saveexec_b64 s[0:1], vcc
	s_cbranch_execz .LBB731_382
; %bb.381:
	v_lshl_add_u32 v34, v51, 2, -4
	ds_read_b32 v34, v34
.LBB731_382:
	s_or_b64 exec, exec, s[0:1]
	v_add_u32_e32 v36, -1, v50
	v_and_b32_e32 v37, 64, v50
	v_cmp_lt_i32_e32 vcc, v36, v37
	s_waitcnt lgkmcnt(0)
	v_add_u32_e32 v33, v34, v33
	ds_read_b32 v35, v35 offset:28
	v_cndmask_b32_e32 v36, v36, v50, vcc
	v_lshlrev_b32_e32 v36, 2, v36
	ds_bpermute_b32 v33, v36, v33
	s_waitcnt lgkmcnt(1)
	v_readfirstlane_b32 s26, v35
	s_and_saveexec_b64 s[0:1], s[18:19]
	s_cbranch_execz .LBB731_384
; %bb.383:
	v_mov_b32_e32 v35, 0
	v_mov_b32_e32 v36, s26
	;; [unrolled: 1-line block ×3, first 2 shown]
	global_store_dwordx2 v35, v[36:37], s[38:39] offset:512 sc1
.LBB731_384:
	s_or_b64 exec, exec, s[0:1]
	v_cmp_eq_u32_e32 vcc, 0, v50
	s_mov_b32 s16, 0
	s_waitcnt lgkmcnt(0)
	v_cndmask_b32_e32 v33, v33, v34, vcc
	v_cndmask_b32_e64 v46, v33, 0, s[18:19]
	v_add_u32_e32 v44, v46, v1
	v_add_u32_e32 v42, v44, v43
	;; [unrolled: 1-line block ×6, first 2 shown]
	s_barrier
.LBB731_385:
	s_cmpk_lt_u32 s26, 0x201
	s_cselect_b64 s[2:3], -1, 0
	v_lshrrev_b32_e32 v33, 8, v30
	v_lshrrev_b32_e32 v1, 8, v31
	s_mov_b64 s[0:1], -1
	s_and_b64 vcc, exec, s[2:3]
	s_cbranch_vccz .LBB731_408
; %bb.386:
	s_add_i32 s4, s16, s26
	v_cmp_gt_u32_e32 vcc, s4, v46
	s_or_b64 s[6:7], s[34:35], vcc
	s_and_saveexec_b64 s[0:1], s[6:7]
	s_cbranch_execz .LBB731_389
; %bb.387:
	v_and_b32_e32 v35, 1, v30
	v_cmp_eq_u32_e32 vcc, 1, v35
	s_and_b64 exec, exec, vcc
	s_cbranch_execz .LBB731_389
; %bb.388:
	s_lshl_b64 s[6:7], s[22:23], 3
	s_add_u32 s6, s28, s6
	s_addc_u32 s7, s29, s7
	v_mov_b32_e32 v47, 0
	v_lshl_add_u64 v[48:49], v[46:47], 3, s[6:7]
	global_store_dwordx2 v[48:49], v[22:23], off
.LBB731_389:
	s_or_b64 exec, exec, s[0:1]
	v_cmp_gt_u32_e32 vcc, s4, v44
	s_or_b64 s[6:7], s[34:35], vcc
	s_and_saveexec_b64 s[0:1], s[6:7]
	s_cbranch_execz .LBB731_392
; %bb.390:
	v_and_b32_e32 v35, 1, v33
	v_cmp_eq_u32_e32 vcc, 1, v35
	s_and_b64 exec, exec, vcc
	s_cbranch_execz .LBB731_392
; %bb.391:
	s_lshl_b64 s[6:7], s[22:23], 3
	s_add_u32 s6, s28, s6
	s_addc_u32 s7, s29, s7
	v_mov_b32_e32 v45, 0
	v_lshl_add_u64 v[48:49], v[44:45], 3, s[6:7]
	global_store_dwordx2 v[48:49], v[24:25], off
.LBB731_392:
	s_or_b64 exec, exec, s[0:1]
	v_cmp_gt_u32_e32 vcc, s4, v42
	s_or_b64 s[6:7], s[34:35], vcc
	s_and_saveexec_b64 s[0:1], s[6:7]
	s_cbranch_execz .LBB731_395
; %bb.393:
	v_mov_b32_e32 v35, 1
	v_and_b32_sdwa v35, v35, v30 dst_sel:DWORD dst_unused:UNUSED_PAD src0_sel:DWORD src1_sel:WORD_1
	v_cmp_eq_u32_e32 vcc, 1, v35
	s_and_b64 exec, exec, vcc
	s_cbranch_execz .LBB731_395
; %bb.394:
	s_lshl_b64 s[6:7], s[22:23], 3
	s_add_u32 s6, s28, s6
	s_addc_u32 s7, s29, s7
	v_mov_b32_e32 v43, 0
	v_lshl_add_u64 v[48:49], v[42:43], 3, s[6:7]
	global_store_dwordx2 v[48:49], v[18:19], off
.LBB731_395:
	s_or_b64 exec, exec, s[0:1]
	v_cmp_gt_u32_e32 vcc, s4, v40
	s_or_b64 s[6:7], s[34:35], vcc
	s_and_saveexec_b64 s[0:1], s[6:7]
	s_cbranch_execz .LBB731_398
; %bb.396:
	v_and_b32_e32 v35, 1, v32
	v_cmp_eq_u32_e32 vcc, 1, v35
	s_and_b64 exec, exec, vcc
	s_cbranch_execz .LBB731_398
; %bb.397:
	s_lshl_b64 s[6:7], s[22:23], 3
	s_add_u32 s6, s28, s6
	s_addc_u32 s7, s29, s7
	v_mov_b32_e32 v41, 0
	v_lshl_add_u64 v[48:49], v[40:41], 3, s[6:7]
	global_store_dwordx2 v[48:49], v[20:21], off
.LBB731_398:
	s_or_b64 exec, exec, s[0:1]
	v_cmp_gt_u32_e32 vcc, s4, v38
	s_or_b64 s[6:7], s[34:35], vcc
	s_and_saveexec_b64 s[0:1], s[6:7]
	s_cbranch_execz .LBB731_401
; %bb.399:
	v_and_b32_e32 v35, 1, v31
	v_cmp_eq_u32_e32 vcc, 1, v35
	s_and_b64 exec, exec, vcc
	s_cbranch_execz .LBB731_401
; %bb.400:
	s_lshl_b64 s[6:7], s[22:23], 3
	s_add_u32 s6, s28, s6
	s_addc_u32 s7, s29, s7
	v_mov_b32_e32 v39, 0
	v_lshl_add_u64 v[48:49], v[38:39], 3, s[6:7]
	global_store_dwordx2 v[48:49], v[14:15], off
.LBB731_401:
	;; [unrolled: 18-line block ×3, first 2 shown]
	s_or_b64 exec, exec, s[0:1]
	v_cmp_gt_u32_e32 vcc, s4, v34
	s_or_b64 s[4:5], s[34:35], vcc
	s_and_saveexec_b64 s[0:1], s[4:5]
	s_cbranch_execz .LBB731_407
; %bb.405:
	v_mov_b32_e32 v35, 1
	v_and_b32_sdwa v35, v35, v31 dst_sel:DWORD dst_unused:UNUSED_PAD src0_sel:DWORD src1_sel:WORD_1
	v_cmp_eq_u32_e32 vcc, 1, v35
	s_and_b64 exec, exec, vcc
	s_cbranch_execz .LBB731_407
; %bb.406:
	s_lshl_b64 s[4:5], s[22:23], 3
	s_add_u32 s4, s28, s4
	s_addc_u32 s5, s29, s5
	v_mov_b32_e32 v35, 0
	v_lshl_add_u64 v[48:49], v[34:35], 3, s[4:5]
	global_store_dwordx2 v[48:49], v[28:29], off
.LBB731_407:
	s_or_b64 exec, exec, s[0:1]
	s_mov_b64 s[0:1], 0
.LBB731_408:
	v_and_b32_e32 v48, 1, v30
	s_and_b64 vcc, exec, s[0:1]
	v_cmp_eq_u32_e64 s[0:1], 1, v48
	s_cbranch_vccz .LBB731_427
; %bb.409:
	s_and_saveexec_b64 s[4:5], s[0:1]
	s_cbranch_execz .LBB731_411
; %bb.410:
	v_subrev_u32_e32 v35, s16, v46
	v_lshlrev_b32_e32 v35, 3, v35
	ds_write_b64 v35, v[22:23]
.LBB731_411:
	s_or_b64 exec, exec, s[4:5]
	v_and_b32_e32 v22, 1, v33
	v_cmp_eq_u32_e32 vcc, 1, v22
	s_and_saveexec_b64 s[0:1], vcc
	s_cbranch_execz .LBB731_413
; %bb.412:
	v_subrev_u32_e32 v22, s16, v44
	v_lshlrev_b32_e32 v22, 3, v22
	ds_write_b64 v22, v[24:25]
.LBB731_413:
	s_or_b64 exec, exec, s[0:1]
	v_mov_b32_e32 v22, 1
	v_and_b32_sdwa v22, v22, v30 dst_sel:DWORD dst_unused:UNUSED_PAD src0_sel:DWORD src1_sel:WORD_1
	v_cmp_eq_u32_e32 vcc, 1, v22
	s_and_saveexec_b64 s[0:1], vcc
	s_cbranch_execz .LBB731_415
; %bb.414:
	v_subrev_u32_e32 v22, s16, v42
	v_lshlrev_b32_e32 v22, 3, v22
	ds_write_b64 v22, v[18:19]
.LBB731_415:
	s_or_b64 exec, exec, s[0:1]
	v_and_b32_e32 v18, 1, v32
	v_cmp_eq_u32_e32 vcc, 1, v18
	s_and_saveexec_b64 s[0:1], vcc
	s_cbranch_execz .LBB731_417
; %bb.416:
	v_subrev_u32_e32 v18, s16, v40
	v_lshlrev_b32_e32 v18, 3, v18
	ds_write_b64 v18, v[20:21]
.LBB731_417:
	s_or_b64 exec, exec, s[0:1]
	v_and_b32_e32 v18, 1, v31
	;; [unrolled: 10-line block ×3, first 2 shown]
	v_cmp_eq_u32_e32 vcc, 1, v14
	s_and_saveexec_b64 s[0:1], vcc
	s_cbranch_execz .LBB731_421
; %bb.420:
	v_subrev_u32_e32 v14, s16, v36
	v_lshlrev_b32_e32 v14, 3, v14
	ds_write_b64 v14, v[16:17]
.LBB731_421:
	s_or_b64 exec, exec, s[0:1]
	v_mov_b32_e32 v14, 1
	v_and_b32_sdwa v14, v14, v31 dst_sel:DWORD dst_unused:UNUSED_PAD src0_sel:DWORD src1_sel:WORD_1
	v_cmp_eq_u32_e32 vcc, 1, v14
	s_and_saveexec_b64 s[0:1], vcc
	s_cbranch_execz .LBB731_423
; %bb.422:
	v_subrev_u32_e32 v14, s16, v34
	v_lshlrev_b32_e32 v14, 3, v14
	ds_write_b64 v14, v[28:29]
.LBB731_423:
	s_or_b64 exec, exec, s[0:1]
	v_cmp_gt_u32_e32 vcc, s26, v0
	s_waitcnt lgkmcnt(0)
	s_barrier
	s_and_saveexec_b64 s[0:1], vcc
	s_cbranch_execz .LBB731_426
; %bb.424:
	s_mov_b32 s17, 0
	s_lshl_b64 s[4:5], s[22:23], 3
	s_lshl_b64 s[6:7], s[16:17], 3
	s_add_u32 s4, s4, s6
	s_addc_u32 s5, s5, s7
	s_add_u32 s4, s28, s4
	v_lshlrev_b32_e32 v14, 3, v0
	v_mov_b32_e32 v15, 0
	s_addc_u32 s5, s29, s5
	v_lshl_add_u64 v[16:17], s[4:5], 0, v[14:15]
	s_mov_b64 s[4:5], 0
	s_mov_b64 s[6:7], 0x1000
	v_mov_b32_e32 v15, v0
.LBB731_425:                            ; =>This Inner Loop Header: Depth=1
	ds_read_b64 v[18:19], v14
	v_add_u32_e32 v15, 0x200, v15
	v_cmp_le_u32_e32 vcc, s26, v15
	v_add_u32_e32 v14, 0x1000, v14
	s_or_b64 s[4:5], vcc, s[4:5]
	s_waitcnt lgkmcnt(0)
	global_store_dwordx2 v[16:17], v[18:19], off
	v_lshl_add_u64 v[16:17], v[16:17], 0, s[6:7]
	s_andn2_b64 exec, exec, s[4:5]
	s_cbranch_execnz .LBB731_425
.LBB731_426:
	s_or_b64 exec, exec, s[0:1]
.LBB731_427:
	s_mov_b64 s[0:1], -1
	s_and_b64 vcc, exec, s[2:3]
	s_barrier
	s_cbranch_vccnz .LBB731_431
; %bb.428:
	s_and_b64 vcc, exec, s[0:1]
	s_cbranch_vccnz .LBB731_453
.LBB731_429:
	s_and_b64 s[0:1], s[18:19], s[24:25]
	s_and_saveexec_b64 s[2:3], s[0:1]
	s_cbranch_execnz .LBB731_471
.LBB731_430:
	s_endpgm
.LBB731_431:
	s_add_i32 s2, s16, s26
	v_cmp_gt_u32_e32 vcc, s2, v46
	s_or_b64 s[4:5], s[34:35], vcc
	s_and_saveexec_b64 s[0:1], s[4:5]
	s_cbranch_execz .LBB731_434
; %bb.432:
	v_cmp_eq_u32_e32 vcc, 1, v48
	s_and_b64 exec, exec, vcc
	s_cbranch_execz .LBB731_434
; %bb.433:
	s_lshl_b64 s[4:5], s[22:23], 3
	s_add_u32 s4, s30, s4
	s_addc_u32 s5, s31, s5
	v_mov_b32_e32 v47, 0
	v_lshl_add_u64 v[14:15], v[46:47], 3, s[4:5]
	global_store_dwordx2 v[14:15], v[10:11], off
.LBB731_434:
	s_or_b64 exec, exec, s[0:1]
	v_cmp_gt_u32_e32 vcc, s2, v44
	s_or_b64 s[4:5], s[34:35], vcc
	s_and_saveexec_b64 s[0:1], s[4:5]
	s_cbranch_execz .LBB731_437
; %bb.435:
	v_and_b32_e32 v14, 1, v33
	v_cmp_eq_u32_e32 vcc, 1, v14
	s_and_b64 exec, exec, vcc
	s_cbranch_execz .LBB731_437
; %bb.436:
	s_lshl_b64 s[4:5], s[22:23], 3
	s_add_u32 s4, s30, s4
	s_addc_u32 s5, s31, s5
	v_mov_b32_e32 v45, 0
	v_lshl_add_u64 v[14:15], v[44:45], 3, s[4:5]
	global_store_dwordx2 v[14:15], v[12:13], off
.LBB731_437:
	s_or_b64 exec, exec, s[0:1]
	v_cmp_gt_u32_e32 vcc, s2, v42
	s_or_b64 s[4:5], s[34:35], vcc
	s_and_saveexec_b64 s[0:1], s[4:5]
	s_cbranch_execz .LBB731_440
; %bb.438:
	v_mov_b32_e32 v14, 1
	v_and_b32_sdwa v14, v14, v30 dst_sel:DWORD dst_unused:UNUSED_PAD src0_sel:DWORD src1_sel:WORD_1
	v_cmp_eq_u32_e32 vcc, 1, v14
	s_and_b64 exec, exec, vcc
	s_cbranch_execz .LBB731_440
; %bb.439:
	s_lshl_b64 s[4:5], s[22:23], 3
	s_add_u32 s4, s30, s4
	s_addc_u32 s5, s31, s5
	v_mov_b32_e32 v43, 0
	v_lshl_add_u64 v[14:15], v[42:43], 3, s[4:5]
	global_store_dwordx2 v[14:15], v[6:7], off
.LBB731_440:
	s_or_b64 exec, exec, s[0:1]
	v_cmp_gt_u32_e32 vcc, s2, v40
	s_or_b64 s[4:5], s[34:35], vcc
	s_and_saveexec_b64 s[0:1], s[4:5]
	s_cbranch_execz .LBB731_443
; %bb.441:
	v_and_b32_e32 v14, 1, v32
	v_cmp_eq_u32_e32 vcc, 1, v14
	s_and_b64 exec, exec, vcc
	s_cbranch_execz .LBB731_443
; %bb.442:
	s_lshl_b64 s[4:5], s[22:23], 3
	s_add_u32 s4, s30, s4
	s_addc_u32 s5, s31, s5
	v_mov_b32_e32 v41, 0
	v_lshl_add_u64 v[14:15], v[40:41], 3, s[4:5]
	global_store_dwordx2 v[14:15], v[8:9], off
.LBB731_443:
	s_or_b64 exec, exec, s[0:1]
	v_cmp_gt_u32_e32 vcc, s2, v38
	s_or_b64 s[4:5], s[34:35], vcc
	s_and_saveexec_b64 s[0:1], s[4:5]
	s_cbranch_execz .LBB731_446
; %bb.444:
	v_and_b32_e32 v14, 1, v31
	v_cmp_eq_u32_e32 vcc, 1, v14
	s_and_b64 exec, exec, vcc
	s_cbranch_execz .LBB731_446
; %bb.445:
	s_lshl_b64 s[4:5], s[22:23], 3
	s_add_u32 s4, s30, s4
	s_addc_u32 s5, s31, s5
	v_mov_b32_e32 v39, 0
	v_lshl_add_u64 v[14:15], v[38:39], 3, s[4:5]
	global_store_dwordx2 v[14:15], v[2:3], off
.LBB731_446:
	;; [unrolled: 18-line block ×3, first 2 shown]
	s_or_b64 exec, exec, s[0:1]
	v_cmp_gt_u32_e32 vcc, s2, v34
	s_or_b64 s[2:3], s[34:35], vcc
	s_and_saveexec_b64 s[0:1], s[2:3]
	s_cbranch_execz .LBB731_452
; %bb.450:
	v_mov_b32_e32 v14, 1
	v_and_b32_sdwa v14, v14, v31 dst_sel:DWORD dst_unused:UNUSED_PAD src0_sel:DWORD src1_sel:WORD_1
	v_cmp_eq_u32_e32 vcc, 1, v14
	s_and_b64 exec, exec, vcc
	s_cbranch_execz .LBB731_452
; %bb.451:
	s_lshl_b64 s[2:3], s[22:23], 3
	s_add_u32 s2, s30, s2
	s_addc_u32 s3, s31, s3
	v_mov_b32_e32 v35, 0
	v_lshl_add_u64 v[14:15], v[34:35], 3, s[2:3]
	global_store_dwordx2 v[14:15], v[26:27], off
.LBB731_452:
	s_or_b64 exec, exec, s[0:1]
	s_branch .LBB731_429
.LBB731_453:
	v_cmp_eq_u32_e32 vcc, 1, v48
	s_and_saveexec_b64 s[0:1], vcc
	s_cbranch_execz .LBB731_455
; %bb.454:
	v_subrev_u32_e32 v14, s16, v46
	v_lshlrev_b32_e32 v14, 3, v14
	ds_write_b64 v14, v[10:11]
.LBB731_455:
	s_or_b64 exec, exec, s[0:1]
	v_and_b32_e32 v10, 1, v33
	v_cmp_eq_u32_e32 vcc, 1, v10
	s_and_saveexec_b64 s[0:1], vcc
	s_cbranch_execz .LBB731_457
; %bb.456:
	v_subrev_u32_e32 v10, s16, v44
	v_lshlrev_b32_e32 v10, 3, v10
	ds_write_b64 v10, v[12:13]
.LBB731_457:
	s_or_b64 exec, exec, s[0:1]
	v_mov_b32_e32 v10, 1
	v_and_b32_sdwa v10, v10, v30 dst_sel:DWORD dst_unused:UNUSED_PAD src0_sel:DWORD src1_sel:WORD_1
	v_cmp_eq_u32_e32 vcc, 1, v10
	s_and_saveexec_b64 s[0:1], vcc
	s_cbranch_execz .LBB731_459
; %bb.458:
	v_subrev_u32_e32 v10, s16, v42
	v_lshlrev_b32_e32 v10, 3, v10
	ds_write_b64 v10, v[6:7]
.LBB731_459:
	s_or_b64 exec, exec, s[0:1]
	v_and_b32_e32 v6, 1, v32
	v_cmp_eq_u32_e32 vcc, 1, v6
	s_and_saveexec_b64 s[0:1], vcc
	s_cbranch_execz .LBB731_461
; %bb.460:
	v_subrev_u32_e32 v6, s16, v40
	v_lshlrev_b32_e32 v6, 3, v6
	ds_write_b64 v6, v[8:9]
.LBB731_461:
	s_or_b64 exec, exec, s[0:1]
	v_and_b32_e32 v6, 1, v31
	;; [unrolled: 10-line block ×3, first 2 shown]
	v_cmp_eq_u32_e32 vcc, 1, v1
	s_and_saveexec_b64 s[0:1], vcc
	s_cbranch_execz .LBB731_465
; %bb.464:
	v_subrev_u32_e32 v1, s16, v36
	v_lshlrev_b32_e32 v1, 3, v1
	ds_write_b64 v1, v[4:5]
.LBB731_465:
	s_or_b64 exec, exec, s[0:1]
	v_mov_b32_e32 v1, 1
	v_and_b32_sdwa v1, v1, v31 dst_sel:DWORD dst_unused:UNUSED_PAD src0_sel:DWORD src1_sel:WORD_1
	v_cmp_eq_u32_e32 vcc, 1, v1
	s_and_saveexec_b64 s[0:1], vcc
	s_cbranch_execz .LBB731_467
; %bb.466:
	v_subrev_u32_e32 v1, s16, v34
	v_lshlrev_b32_e32 v1, 3, v1
	ds_write_b64 v1, v[26:27]
.LBB731_467:
	s_or_b64 exec, exec, s[0:1]
	v_cmp_gt_u32_e32 vcc, s26, v0
	s_waitcnt lgkmcnt(0)
	s_barrier
	s_and_saveexec_b64 s[0:1], vcc
	s_cbranch_execz .LBB731_470
; %bb.468:
	s_mov_b32 s17, 0
	s_lshl_b64 s[2:3], s[22:23], 3
	s_lshl_b64 s[4:5], s[16:17], 3
	s_add_u32 s2, s2, s4
	s_addc_u32 s3, s3, s5
	s_add_u32 s2, s30, s2
	v_lshlrev_b32_e32 v2, 3, v0
	v_mov_b32_e32 v3, 0
	s_addc_u32 s3, s31, s3
	v_lshl_add_u64 v[4:5], s[2:3], 0, v[2:3]
	s_mov_b64 s[2:3], 0
	s_mov_b64 s[4:5], 0x1000
.LBB731_469:                            ; =>This Inner Loop Header: Depth=1
	ds_read_b64 v[6:7], v2
	v_add_u32_e32 v0, 0x200, v0
	v_cmp_le_u32_e32 vcc, s26, v0
	v_add_u32_e32 v2, 0x1000, v2
	s_or_b64 s[2:3], vcc, s[2:3]
	s_waitcnt lgkmcnt(0)
	global_store_dwordx2 v[4:5], v[6:7], off
	v_lshl_add_u64 v[4:5], v[4:5], 0, s[4:5]
	s_andn2_b64 exec, exec, s[2:3]
	s_cbranch_execnz .LBB731_469
.LBB731_470:
	s_or_b64 exec, exec, s[0:1]
	s_and_b64 s[0:1], s[18:19], s[24:25]
	s_and_saveexec_b64 s[2:3], s[0:1]
	s_cbranch_execz .LBB731_430
.LBB731_471:
	s_add_u32 s0, s22, s26
	s_addc_u32 s1, s23, 0
	s_add_u32 s0, s0, s16
	s_addc_u32 s1, s1, 0
	v_mov_b32_e32 v2, 0
	v_mov_b64_e32 v[0:1], s[0:1]
	global_store_dwordx2 v2, v[0:1], s[20:21]
	s_endpgm
	.section	.rodata,"a",@progbits
	.p2align	6, 0x0
	.amdhsa_kernel _ZN7rocprim17ROCPRIM_400000_NS6detail17trampoline_kernelINS0_14default_configENS1_25partition_config_selectorILNS1_17partition_subalgoE9EllbEEZZNS1_14partition_implILS5_9ELb0ES3_jPlS8_PNS0_10empty_typeENS0_5tupleIJS8_S9_EEENSB_IJS8_SA_EEENS0_18inequality_wrapperIZN2at6native12_GLOBAL__N_124unique_dim_cuda_templateIsEESt5tupleIJNSF_6TensorESK_SK_EERKSK_lbbbEUlllE0_EEPmJS9_EEE10hipError_tPvRmT3_T4_T5_T6_T7_T9_mT8_P12ihipStream_tbDpT10_ENKUlT_T0_E_clISt17integral_constantIbLb1EES1A_EEDaS15_S16_EUlS15_E_NS1_11comp_targetILNS1_3genE5ELNS1_11target_archE942ELNS1_3gpuE9ELNS1_3repE0EEENS1_30default_config_static_selectorELNS0_4arch9wavefront6targetE1EEEvT1_
		.amdhsa_group_segment_fixed_size 28684
		.amdhsa_private_segment_fixed_size 0
		.amdhsa_kernarg_size 136
		.amdhsa_user_sgpr_count 2
		.amdhsa_user_sgpr_dispatch_ptr 0
		.amdhsa_user_sgpr_queue_ptr 0
		.amdhsa_user_sgpr_kernarg_segment_ptr 1
		.amdhsa_user_sgpr_dispatch_id 0
		.amdhsa_user_sgpr_kernarg_preload_length 0
		.amdhsa_user_sgpr_kernarg_preload_offset 0
		.amdhsa_user_sgpr_private_segment_size 0
		.amdhsa_uses_dynamic_stack 0
		.amdhsa_enable_private_segment 0
		.amdhsa_system_sgpr_workgroup_id_x 1
		.amdhsa_system_sgpr_workgroup_id_y 0
		.amdhsa_system_sgpr_workgroup_id_z 0
		.amdhsa_system_sgpr_workgroup_info 0
		.amdhsa_system_vgpr_workitem_id 0
		.amdhsa_next_free_vgpr 66
		.amdhsa_next_free_sgpr 58
		.amdhsa_accum_offset 68
		.amdhsa_reserve_vcc 1
		.amdhsa_float_round_mode_32 0
		.amdhsa_float_round_mode_16_64 0
		.amdhsa_float_denorm_mode_32 3
		.amdhsa_float_denorm_mode_16_64 3
		.amdhsa_dx10_clamp 1
		.amdhsa_ieee_mode 1
		.amdhsa_fp16_overflow 0
		.amdhsa_tg_split 0
		.amdhsa_exception_fp_ieee_invalid_op 0
		.amdhsa_exception_fp_denorm_src 0
		.amdhsa_exception_fp_ieee_div_zero 0
		.amdhsa_exception_fp_ieee_overflow 0
		.amdhsa_exception_fp_ieee_underflow 0
		.amdhsa_exception_fp_ieee_inexact 0
		.amdhsa_exception_int_div_zero 0
	.end_amdhsa_kernel
	.section	.text._ZN7rocprim17ROCPRIM_400000_NS6detail17trampoline_kernelINS0_14default_configENS1_25partition_config_selectorILNS1_17partition_subalgoE9EllbEEZZNS1_14partition_implILS5_9ELb0ES3_jPlS8_PNS0_10empty_typeENS0_5tupleIJS8_S9_EEENSB_IJS8_SA_EEENS0_18inequality_wrapperIZN2at6native12_GLOBAL__N_124unique_dim_cuda_templateIsEESt5tupleIJNSF_6TensorESK_SK_EERKSK_lbbbEUlllE0_EEPmJS9_EEE10hipError_tPvRmT3_T4_T5_T6_T7_T9_mT8_P12ihipStream_tbDpT10_ENKUlT_T0_E_clISt17integral_constantIbLb1EES1A_EEDaS15_S16_EUlS15_E_NS1_11comp_targetILNS1_3genE5ELNS1_11target_archE942ELNS1_3gpuE9ELNS1_3repE0EEENS1_30default_config_static_selectorELNS0_4arch9wavefront6targetE1EEEvT1_,"axG",@progbits,_ZN7rocprim17ROCPRIM_400000_NS6detail17trampoline_kernelINS0_14default_configENS1_25partition_config_selectorILNS1_17partition_subalgoE9EllbEEZZNS1_14partition_implILS5_9ELb0ES3_jPlS8_PNS0_10empty_typeENS0_5tupleIJS8_S9_EEENSB_IJS8_SA_EEENS0_18inequality_wrapperIZN2at6native12_GLOBAL__N_124unique_dim_cuda_templateIsEESt5tupleIJNSF_6TensorESK_SK_EERKSK_lbbbEUlllE0_EEPmJS9_EEE10hipError_tPvRmT3_T4_T5_T6_T7_T9_mT8_P12ihipStream_tbDpT10_ENKUlT_T0_E_clISt17integral_constantIbLb1EES1A_EEDaS15_S16_EUlS15_E_NS1_11comp_targetILNS1_3genE5ELNS1_11target_archE942ELNS1_3gpuE9ELNS1_3repE0EEENS1_30default_config_static_selectorELNS0_4arch9wavefront6targetE1EEEvT1_,comdat
.Lfunc_end731:
	.size	_ZN7rocprim17ROCPRIM_400000_NS6detail17trampoline_kernelINS0_14default_configENS1_25partition_config_selectorILNS1_17partition_subalgoE9EllbEEZZNS1_14partition_implILS5_9ELb0ES3_jPlS8_PNS0_10empty_typeENS0_5tupleIJS8_S9_EEENSB_IJS8_SA_EEENS0_18inequality_wrapperIZN2at6native12_GLOBAL__N_124unique_dim_cuda_templateIsEESt5tupleIJNSF_6TensorESK_SK_EERKSK_lbbbEUlllE0_EEPmJS9_EEE10hipError_tPvRmT3_T4_T5_T6_T7_T9_mT8_P12ihipStream_tbDpT10_ENKUlT_T0_E_clISt17integral_constantIbLb1EES1A_EEDaS15_S16_EUlS15_E_NS1_11comp_targetILNS1_3genE5ELNS1_11target_archE942ELNS1_3gpuE9ELNS1_3repE0EEENS1_30default_config_static_selectorELNS0_4arch9wavefront6targetE1EEEvT1_, .Lfunc_end731-_ZN7rocprim17ROCPRIM_400000_NS6detail17trampoline_kernelINS0_14default_configENS1_25partition_config_selectorILNS1_17partition_subalgoE9EllbEEZZNS1_14partition_implILS5_9ELb0ES3_jPlS8_PNS0_10empty_typeENS0_5tupleIJS8_S9_EEENSB_IJS8_SA_EEENS0_18inequality_wrapperIZN2at6native12_GLOBAL__N_124unique_dim_cuda_templateIsEESt5tupleIJNSF_6TensorESK_SK_EERKSK_lbbbEUlllE0_EEPmJS9_EEE10hipError_tPvRmT3_T4_T5_T6_T7_T9_mT8_P12ihipStream_tbDpT10_ENKUlT_T0_E_clISt17integral_constantIbLb1EES1A_EEDaS15_S16_EUlS15_E_NS1_11comp_targetILNS1_3genE5ELNS1_11target_archE942ELNS1_3gpuE9ELNS1_3repE0EEENS1_30default_config_static_selectorELNS0_4arch9wavefront6targetE1EEEvT1_
                                        ; -- End function
	.section	.AMDGPU.csdata,"",@progbits
; Kernel info:
; codeLenInByte = 14564
; NumSgprs: 64
; NumVgprs: 66
; NumAgprs: 0
; TotalNumVgprs: 66
; ScratchSize: 0
; MemoryBound: 0
; FloatMode: 240
; IeeeMode: 1
; LDSByteSize: 28684 bytes/workgroup (compile time only)
; SGPRBlocks: 7
; VGPRBlocks: 8
; NumSGPRsForWavesPerEU: 64
; NumVGPRsForWavesPerEU: 66
; AccumOffset: 68
; Occupancy: 4
; WaveLimiterHint : 1
; COMPUTE_PGM_RSRC2:SCRATCH_EN: 0
; COMPUTE_PGM_RSRC2:USER_SGPR: 2
; COMPUTE_PGM_RSRC2:TRAP_HANDLER: 0
; COMPUTE_PGM_RSRC2:TGID_X_EN: 1
; COMPUTE_PGM_RSRC2:TGID_Y_EN: 0
; COMPUTE_PGM_RSRC2:TGID_Z_EN: 0
; COMPUTE_PGM_RSRC2:TIDIG_COMP_CNT: 0
; COMPUTE_PGM_RSRC3_GFX90A:ACCUM_OFFSET: 16
; COMPUTE_PGM_RSRC3_GFX90A:TG_SPLIT: 0
	.section	.text._ZN7rocprim17ROCPRIM_400000_NS6detail17trampoline_kernelINS0_14default_configENS1_25partition_config_selectorILNS1_17partition_subalgoE9EllbEEZZNS1_14partition_implILS5_9ELb0ES3_jPlS8_PNS0_10empty_typeENS0_5tupleIJS8_S9_EEENSB_IJS8_SA_EEENS0_18inequality_wrapperIZN2at6native12_GLOBAL__N_124unique_dim_cuda_templateIsEESt5tupleIJNSF_6TensorESK_SK_EERKSK_lbbbEUlllE0_EEPmJS9_EEE10hipError_tPvRmT3_T4_T5_T6_T7_T9_mT8_P12ihipStream_tbDpT10_ENKUlT_T0_E_clISt17integral_constantIbLb1EES1A_EEDaS15_S16_EUlS15_E_NS1_11comp_targetILNS1_3genE4ELNS1_11target_archE910ELNS1_3gpuE8ELNS1_3repE0EEENS1_30default_config_static_selectorELNS0_4arch9wavefront6targetE1EEEvT1_,"axG",@progbits,_ZN7rocprim17ROCPRIM_400000_NS6detail17trampoline_kernelINS0_14default_configENS1_25partition_config_selectorILNS1_17partition_subalgoE9EllbEEZZNS1_14partition_implILS5_9ELb0ES3_jPlS8_PNS0_10empty_typeENS0_5tupleIJS8_S9_EEENSB_IJS8_SA_EEENS0_18inequality_wrapperIZN2at6native12_GLOBAL__N_124unique_dim_cuda_templateIsEESt5tupleIJNSF_6TensorESK_SK_EERKSK_lbbbEUlllE0_EEPmJS9_EEE10hipError_tPvRmT3_T4_T5_T6_T7_T9_mT8_P12ihipStream_tbDpT10_ENKUlT_T0_E_clISt17integral_constantIbLb1EES1A_EEDaS15_S16_EUlS15_E_NS1_11comp_targetILNS1_3genE4ELNS1_11target_archE910ELNS1_3gpuE8ELNS1_3repE0EEENS1_30default_config_static_selectorELNS0_4arch9wavefront6targetE1EEEvT1_,comdat
	.globl	_ZN7rocprim17ROCPRIM_400000_NS6detail17trampoline_kernelINS0_14default_configENS1_25partition_config_selectorILNS1_17partition_subalgoE9EllbEEZZNS1_14partition_implILS5_9ELb0ES3_jPlS8_PNS0_10empty_typeENS0_5tupleIJS8_S9_EEENSB_IJS8_SA_EEENS0_18inequality_wrapperIZN2at6native12_GLOBAL__N_124unique_dim_cuda_templateIsEESt5tupleIJNSF_6TensorESK_SK_EERKSK_lbbbEUlllE0_EEPmJS9_EEE10hipError_tPvRmT3_T4_T5_T6_T7_T9_mT8_P12ihipStream_tbDpT10_ENKUlT_T0_E_clISt17integral_constantIbLb1EES1A_EEDaS15_S16_EUlS15_E_NS1_11comp_targetILNS1_3genE4ELNS1_11target_archE910ELNS1_3gpuE8ELNS1_3repE0EEENS1_30default_config_static_selectorELNS0_4arch9wavefront6targetE1EEEvT1_ ; -- Begin function _ZN7rocprim17ROCPRIM_400000_NS6detail17trampoline_kernelINS0_14default_configENS1_25partition_config_selectorILNS1_17partition_subalgoE9EllbEEZZNS1_14partition_implILS5_9ELb0ES3_jPlS8_PNS0_10empty_typeENS0_5tupleIJS8_S9_EEENSB_IJS8_SA_EEENS0_18inequality_wrapperIZN2at6native12_GLOBAL__N_124unique_dim_cuda_templateIsEESt5tupleIJNSF_6TensorESK_SK_EERKSK_lbbbEUlllE0_EEPmJS9_EEE10hipError_tPvRmT3_T4_T5_T6_T7_T9_mT8_P12ihipStream_tbDpT10_ENKUlT_T0_E_clISt17integral_constantIbLb1EES1A_EEDaS15_S16_EUlS15_E_NS1_11comp_targetILNS1_3genE4ELNS1_11target_archE910ELNS1_3gpuE8ELNS1_3repE0EEENS1_30default_config_static_selectorELNS0_4arch9wavefront6targetE1EEEvT1_
	.p2align	8
	.type	_ZN7rocprim17ROCPRIM_400000_NS6detail17trampoline_kernelINS0_14default_configENS1_25partition_config_selectorILNS1_17partition_subalgoE9EllbEEZZNS1_14partition_implILS5_9ELb0ES3_jPlS8_PNS0_10empty_typeENS0_5tupleIJS8_S9_EEENSB_IJS8_SA_EEENS0_18inequality_wrapperIZN2at6native12_GLOBAL__N_124unique_dim_cuda_templateIsEESt5tupleIJNSF_6TensorESK_SK_EERKSK_lbbbEUlllE0_EEPmJS9_EEE10hipError_tPvRmT3_T4_T5_T6_T7_T9_mT8_P12ihipStream_tbDpT10_ENKUlT_T0_E_clISt17integral_constantIbLb1EES1A_EEDaS15_S16_EUlS15_E_NS1_11comp_targetILNS1_3genE4ELNS1_11target_archE910ELNS1_3gpuE8ELNS1_3repE0EEENS1_30default_config_static_selectorELNS0_4arch9wavefront6targetE1EEEvT1_,@function
_ZN7rocprim17ROCPRIM_400000_NS6detail17trampoline_kernelINS0_14default_configENS1_25partition_config_selectorILNS1_17partition_subalgoE9EllbEEZZNS1_14partition_implILS5_9ELb0ES3_jPlS8_PNS0_10empty_typeENS0_5tupleIJS8_S9_EEENSB_IJS8_SA_EEENS0_18inequality_wrapperIZN2at6native12_GLOBAL__N_124unique_dim_cuda_templateIsEESt5tupleIJNSF_6TensorESK_SK_EERKSK_lbbbEUlllE0_EEPmJS9_EEE10hipError_tPvRmT3_T4_T5_T6_T7_T9_mT8_P12ihipStream_tbDpT10_ENKUlT_T0_E_clISt17integral_constantIbLb1EES1A_EEDaS15_S16_EUlS15_E_NS1_11comp_targetILNS1_3genE4ELNS1_11target_archE910ELNS1_3gpuE8ELNS1_3repE0EEENS1_30default_config_static_selectorELNS0_4arch9wavefront6targetE1EEEvT1_: ; @_ZN7rocprim17ROCPRIM_400000_NS6detail17trampoline_kernelINS0_14default_configENS1_25partition_config_selectorILNS1_17partition_subalgoE9EllbEEZZNS1_14partition_implILS5_9ELb0ES3_jPlS8_PNS0_10empty_typeENS0_5tupleIJS8_S9_EEENSB_IJS8_SA_EEENS0_18inequality_wrapperIZN2at6native12_GLOBAL__N_124unique_dim_cuda_templateIsEESt5tupleIJNSF_6TensorESK_SK_EERKSK_lbbbEUlllE0_EEPmJS9_EEE10hipError_tPvRmT3_T4_T5_T6_T7_T9_mT8_P12ihipStream_tbDpT10_ENKUlT_T0_E_clISt17integral_constantIbLb1EES1A_EEDaS15_S16_EUlS15_E_NS1_11comp_targetILNS1_3genE4ELNS1_11target_archE910ELNS1_3gpuE8ELNS1_3repE0EEENS1_30default_config_static_selectorELNS0_4arch9wavefront6targetE1EEEvT1_
; %bb.0:
	.section	.rodata,"a",@progbits
	.p2align	6, 0x0
	.amdhsa_kernel _ZN7rocprim17ROCPRIM_400000_NS6detail17trampoline_kernelINS0_14default_configENS1_25partition_config_selectorILNS1_17partition_subalgoE9EllbEEZZNS1_14partition_implILS5_9ELb0ES3_jPlS8_PNS0_10empty_typeENS0_5tupleIJS8_S9_EEENSB_IJS8_SA_EEENS0_18inequality_wrapperIZN2at6native12_GLOBAL__N_124unique_dim_cuda_templateIsEESt5tupleIJNSF_6TensorESK_SK_EERKSK_lbbbEUlllE0_EEPmJS9_EEE10hipError_tPvRmT3_T4_T5_T6_T7_T9_mT8_P12ihipStream_tbDpT10_ENKUlT_T0_E_clISt17integral_constantIbLb1EES1A_EEDaS15_S16_EUlS15_E_NS1_11comp_targetILNS1_3genE4ELNS1_11target_archE910ELNS1_3gpuE8ELNS1_3repE0EEENS1_30default_config_static_selectorELNS0_4arch9wavefront6targetE1EEEvT1_
		.amdhsa_group_segment_fixed_size 0
		.amdhsa_private_segment_fixed_size 0
		.amdhsa_kernarg_size 136
		.amdhsa_user_sgpr_count 2
		.amdhsa_user_sgpr_dispatch_ptr 0
		.amdhsa_user_sgpr_queue_ptr 0
		.amdhsa_user_sgpr_kernarg_segment_ptr 1
		.amdhsa_user_sgpr_dispatch_id 0
		.amdhsa_user_sgpr_kernarg_preload_length 0
		.amdhsa_user_sgpr_kernarg_preload_offset 0
		.amdhsa_user_sgpr_private_segment_size 0
		.amdhsa_uses_dynamic_stack 0
		.amdhsa_enable_private_segment 0
		.amdhsa_system_sgpr_workgroup_id_x 1
		.amdhsa_system_sgpr_workgroup_id_y 0
		.amdhsa_system_sgpr_workgroup_id_z 0
		.amdhsa_system_sgpr_workgroup_info 0
		.amdhsa_system_vgpr_workitem_id 0
		.amdhsa_next_free_vgpr 1
		.amdhsa_next_free_sgpr 0
		.amdhsa_accum_offset 4
		.amdhsa_reserve_vcc 0
		.amdhsa_float_round_mode_32 0
		.amdhsa_float_round_mode_16_64 0
		.amdhsa_float_denorm_mode_32 3
		.amdhsa_float_denorm_mode_16_64 3
		.amdhsa_dx10_clamp 1
		.amdhsa_ieee_mode 1
		.amdhsa_fp16_overflow 0
		.amdhsa_tg_split 0
		.amdhsa_exception_fp_ieee_invalid_op 0
		.amdhsa_exception_fp_denorm_src 0
		.amdhsa_exception_fp_ieee_div_zero 0
		.amdhsa_exception_fp_ieee_overflow 0
		.amdhsa_exception_fp_ieee_underflow 0
		.amdhsa_exception_fp_ieee_inexact 0
		.amdhsa_exception_int_div_zero 0
	.end_amdhsa_kernel
	.section	.text._ZN7rocprim17ROCPRIM_400000_NS6detail17trampoline_kernelINS0_14default_configENS1_25partition_config_selectorILNS1_17partition_subalgoE9EllbEEZZNS1_14partition_implILS5_9ELb0ES3_jPlS8_PNS0_10empty_typeENS0_5tupleIJS8_S9_EEENSB_IJS8_SA_EEENS0_18inequality_wrapperIZN2at6native12_GLOBAL__N_124unique_dim_cuda_templateIsEESt5tupleIJNSF_6TensorESK_SK_EERKSK_lbbbEUlllE0_EEPmJS9_EEE10hipError_tPvRmT3_T4_T5_T6_T7_T9_mT8_P12ihipStream_tbDpT10_ENKUlT_T0_E_clISt17integral_constantIbLb1EES1A_EEDaS15_S16_EUlS15_E_NS1_11comp_targetILNS1_3genE4ELNS1_11target_archE910ELNS1_3gpuE8ELNS1_3repE0EEENS1_30default_config_static_selectorELNS0_4arch9wavefront6targetE1EEEvT1_,"axG",@progbits,_ZN7rocprim17ROCPRIM_400000_NS6detail17trampoline_kernelINS0_14default_configENS1_25partition_config_selectorILNS1_17partition_subalgoE9EllbEEZZNS1_14partition_implILS5_9ELb0ES3_jPlS8_PNS0_10empty_typeENS0_5tupleIJS8_S9_EEENSB_IJS8_SA_EEENS0_18inequality_wrapperIZN2at6native12_GLOBAL__N_124unique_dim_cuda_templateIsEESt5tupleIJNSF_6TensorESK_SK_EERKSK_lbbbEUlllE0_EEPmJS9_EEE10hipError_tPvRmT3_T4_T5_T6_T7_T9_mT8_P12ihipStream_tbDpT10_ENKUlT_T0_E_clISt17integral_constantIbLb1EES1A_EEDaS15_S16_EUlS15_E_NS1_11comp_targetILNS1_3genE4ELNS1_11target_archE910ELNS1_3gpuE8ELNS1_3repE0EEENS1_30default_config_static_selectorELNS0_4arch9wavefront6targetE1EEEvT1_,comdat
.Lfunc_end732:
	.size	_ZN7rocprim17ROCPRIM_400000_NS6detail17trampoline_kernelINS0_14default_configENS1_25partition_config_selectorILNS1_17partition_subalgoE9EllbEEZZNS1_14partition_implILS5_9ELb0ES3_jPlS8_PNS0_10empty_typeENS0_5tupleIJS8_S9_EEENSB_IJS8_SA_EEENS0_18inequality_wrapperIZN2at6native12_GLOBAL__N_124unique_dim_cuda_templateIsEESt5tupleIJNSF_6TensorESK_SK_EERKSK_lbbbEUlllE0_EEPmJS9_EEE10hipError_tPvRmT3_T4_T5_T6_T7_T9_mT8_P12ihipStream_tbDpT10_ENKUlT_T0_E_clISt17integral_constantIbLb1EES1A_EEDaS15_S16_EUlS15_E_NS1_11comp_targetILNS1_3genE4ELNS1_11target_archE910ELNS1_3gpuE8ELNS1_3repE0EEENS1_30default_config_static_selectorELNS0_4arch9wavefront6targetE1EEEvT1_, .Lfunc_end732-_ZN7rocprim17ROCPRIM_400000_NS6detail17trampoline_kernelINS0_14default_configENS1_25partition_config_selectorILNS1_17partition_subalgoE9EllbEEZZNS1_14partition_implILS5_9ELb0ES3_jPlS8_PNS0_10empty_typeENS0_5tupleIJS8_S9_EEENSB_IJS8_SA_EEENS0_18inequality_wrapperIZN2at6native12_GLOBAL__N_124unique_dim_cuda_templateIsEESt5tupleIJNSF_6TensorESK_SK_EERKSK_lbbbEUlllE0_EEPmJS9_EEE10hipError_tPvRmT3_T4_T5_T6_T7_T9_mT8_P12ihipStream_tbDpT10_ENKUlT_T0_E_clISt17integral_constantIbLb1EES1A_EEDaS15_S16_EUlS15_E_NS1_11comp_targetILNS1_3genE4ELNS1_11target_archE910ELNS1_3gpuE8ELNS1_3repE0EEENS1_30default_config_static_selectorELNS0_4arch9wavefront6targetE1EEEvT1_
                                        ; -- End function
	.section	.AMDGPU.csdata,"",@progbits
; Kernel info:
; codeLenInByte = 0
; NumSgprs: 6
; NumVgprs: 0
; NumAgprs: 0
; TotalNumVgprs: 0
; ScratchSize: 0
; MemoryBound: 0
; FloatMode: 240
; IeeeMode: 1
; LDSByteSize: 0 bytes/workgroup (compile time only)
; SGPRBlocks: 0
; VGPRBlocks: 0
; NumSGPRsForWavesPerEU: 6
; NumVGPRsForWavesPerEU: 1
; AccumOffset: 4
; Occupancy: 8
; WaveLimiterHint : 0
; COMPUTE_PGM_RSRC2:SCRATCH_EN: 0
; COMPUTE_PGM_RSRC2:USER_SGPR: 2
; COMPUTE_PGM_RSRC2:TRAP_HANDLER: 0
; COMPUTE_PGM_RSRC2:TGID_X_EN: 1
; COMPUTE_PGM_RSRC2:TGID_Y_EN: 0
; COMPUTE_PGM_RSRC2:TGID_Z_EN: 0
; COMPUTE_PGM_RSRC2:TIDIG_COMP_CNT: 0
; COMPUTE_PGM_RSRC3_GFX90A:ACCUM_OFFSET: 0
; COMPUTE_PGM_RSRC3_GFX90A:TG_SPLIT: 0
	.section	.text._ZN7rocprim17ROCPRIM_400000_NS6detail17trampoline_kernelINS0_14default_configENS1_25partition_config_selectorILNS1_17partition_subalgoE9EllbEEZZNS1_14partition_implILS5_9ELb0ES3_jPlS8_PNS0_10empty_typeENS0_5tupleIJS8_S9_EEENSB_IJS8_SA_EEENS0_18inequality_wrapperIZN2at6native12_GLOBAL__N_124unique_dim_cuda_templateIsEESt5tupleIJNSF_6TensorESK_SK_EERKSK_lbbbEUlllE0_EEPmJS9_EEE10hipError_tPvRmT3_T4_T5_T6_T7_T9_mT8_P12ihipStream_tbDpT10_ENKUlT_T0_E_clISt17integral_constantIbLb1EES1A_EEDaS15_S16_EUlS15_E_NS1_11comp_targetILNS1_3genE3ELNS1_11target_archE908ELNS1_3gpuE7ELNS1_3repE0EEENS1_30default_config_static_selectorELNS0_4arch9wavefront6targetE1EEEvT1_,"axG",@progbits,_ZN7rocprim17ROCPRIM_400000_NS6detail17trampoline_kernelINS0_14default_configENS1_25partition_config_selectorILNS1_17partition_subalgoE9EllbEEZZNS1_14partition_implILS5_9ELb0ES3_jPlS8_PNS0_10empty_typeENS0_5tupleIJS8_S9_EEENSB_IJS8_SA_EEENS0_18inequality_wrapperIZN2at6native12_GLOBAL__N_124unique_dim_cuda_templateIsEESt5tupleIJNSF_6TensorESK_SK_EERKSK_lbbbEUlllE0_EEPmJS9_EEE10hipError_tPvRmT3_T4_T5_T6_T7_T9_mT8_P12ihipStream_tbDpT10_ENKUlT_T0_E_clISt17integral_constantIbLb1EES1A_EEDaS15_S16_EUlS15_E_NS1_11comp_targetILNS1_3genE3ELNS1_11target_archE908ELNS1_3gpuE7ELNS1_3repE0EEENS1_30default_config_static_selectorELNS0_4arch9wavefront6targetE1EEEvT1_,comdat
	.globl	_ZN7rocprim17ROCPRIM_400000_NS6detail17trampoline_kernelINS0_14default_configENS1_25partition_config_selectorILNS1_17partition_subalgoE9EllbEEZZNS1_14partition_implILS5_9ELb0ES3_jPlS8_PNS0_10empty_typeENS0_5tupleIJS8_S9_EEENSB_IJS8_SA_EEENS0_18inequality_wrapperIZN2at6native12_GLOBAL__N_124unique_dim_cuda_templateIsEESt5tupleIJNSF_6TensorESK_SK_EERKSK_lbbbEUlllE0_EEPmJS9_EEE10hipError_tPvRmT3_T4_T5_T6_T7_T9_mT8_P12ihipStream_tbDpT10_ENKUlT_T0_E_clISt17integral_constantIbLb1EES1A_EEDaS15_S16_EUlS15_E_NS1_11comp_targetILNS1_3genE3ELNS1_11target_archE908ELNS1_3gpuE7ELNS1_3repE0EEENS1_30default_config_static_selectorELNS0_4arch9wavefront6targetE1EEEvT1_ ; -- Begin function _ZN7rocprim17ROCPRIM_400000_NS6detail17trampoline_kernelINS0_14default_configENS1_25partition_config_selectorILNS1_17partition_subalgoE9EllbEEZZNS1_14partition_implILS5_9ELb0ES3_jPlS8_PNS0_10empty_typeENS0_5tupleIJS8_S9_EEENSB_IJS8_SA_EEENS0_18inequality_wrapperIZN2at6native12_GLOBAL__N_124unique_dim_cuda_templateIsEESt5tupleIJNSF_6TensorESK_SK_EERKSK_lbbbEUlllE0_EEPmJS9_EEE10hipError_tPvRmT3_T4_T5_T6_T7_T9_mT8_P12ihipStream_tbDpT10_ENKUlT_T0_E_clISt17integral_constantIbLb1EES1A_EEDaS15_S16_EUlS15_E_NS1_11comp_targetILNS1_3genE3ELNS1_11target_archE908ELNS1_3gpuE7ELNS1_3repE0EEENS1_30default_config_static_selectorELNS0_4arch9wavefront6targetE1EEEvT1_
	.p2align	8
	.type	_ZN7rocprim17ROCPRIM_400000_NS6detail17trampoline_kernelINS0_14default_configENS1_25partition_config_selectorILNS1_17partition_subalgoE9EllbEEZZNS1_14partition_implILS5_9ELb0ES3_jPlS8_PNS0_10empty_typeENS0_5tupleIJS8_S9_EEENSB_IJS8_SA_EEENS0_18inequality_wrapperIZN2at6native12_GLOBAL__N_124unique_dim_cuda_templateIsEESt5tupleIJNSF_6TensorESK_SK_EERKSK_lbbbEUlllE0_EEPmJS9_EEE10hipError_tPvRmT3_T4_T5_T6_T7_T9_mT8_P12ihipStream_tbDpT10_ENKUlT_T0_E_clISt17integral_constantIbLb1EES1A_EEDaS15_S16_EUlS15_E_NS1_11comp_targetILNS1_3genE3ELNS1_11target_archE908ELNS1_3gpuE7ELNS1_3repE0EEENS1_30default_config_static_selectorELNS0_4arch9wavefront6targetE1EEEvT1_,@function
_ZN7rocprim17ROCPRIM_400000_NS6detail17trampoline_kernelINS0_14default_configENS1_25partition_config_selectorILNS1_17partition_subalgoE9EllbEEZZNS1_14partition_implILS5_9ELb0ES3_jPlS8_PNS0_10empty_typeENS0_5tupleIJS8_S9_EEENSB_IJS8_SA_EEENS0_18inequality_wrapperIZN2at6native12_GLOBAL__N_124unique_dim_cuda_templateIsEESt5tupleIJNSF_6TensorESK_SK_EERKSK_lbbbEUlllE0_EEPmJS9_EEE10hipError_tPvRmT3_T4_T5_T6_T7_T9_mT8_P12ihipStream_tbDpT10_ENKUlT_T0_E_clISt17integral_constantIbLb1EES1A_EEDaS15_S16_EUlS15_E_NS1_11comp_targetILNS1_3genE3ELNS1_11target_archE908ELNS1_3gpuE7ELNS1_3repE0EEENS1_30default_config_static_selectorELNS0_4arch9wavefront6targetE1EEEvT1_: ; @_ZN7rocprim17ROCPRIM_400000_NS6detail17trampoline_kernelINS0_14default_configENS1_25partition_config_selectorILNS1_17partition_subalgoE9EllbEEZZNS1_14partition_implILS5_9ELb0ES3_jPlS8_PNS0_10empty_typeENS0_5tupleIJS8_S9_EEENSB_IJS8_SA_EEENS0_18inequality_wrapperIZN2at6native12_GLOBAL__N_124unique_dim_cuda_templateIsEESt5tupleIJNSF_6TensorESK_SK_EERKSK_lbbbEUlllE0_EEPmJS9_EEE10hipError_tPvRmT3_T4_T5_T6_T7_T9_mT8_P12ihipStream_tbDpT10_ENKUlT_T0_E_clISt17integral_constantIbLb1EES1A_EEDaS15_S16_EUlS15_E_NS1_11comp_targetILNS1_3genE3ELNS1_11target_archE908ELNS1_3gpuE7ELNS1_3repE0EEENS1_30default_config_static_selectorELNS0_4arch9wavefront6targetE1EEEvT1_
; %bb.0:
	.section	.rodata,"a",@progbits
	.p2align	6, 0x0
	.amdhsa_kernel _ZN7rocprim17ROCPRIM_400000_NS6detail17trampoline_kernelINS0_14default_configENS1_25partition_config_selectorILNS1_17partition_subalgoE9EllbEEZZNS1_14partition_implILS5_9ELb0ES3_jPlS8_PNS0_10empty_typeENS0_5tupleIJS8_S9_EEENSB_IJS8_SA_EEENS0_18inequality_wrapperIZN2at6native12_GLOBAL__N_124unique_dim_cuda_templateIsEESt5tupleIJNSF_6TensorESK_SK_EERKSK_lbbbEUlllE0_EEPmJS9_EEE10hipError_tPvRmT3_T4_T5_T6_T7_T9_mT8_P12ihipStream_tbDpT10_ENKUlT_T0_E_clISt17integral_constantIbLb1EES1A_EEDaS15_S16_EUlS15_E_NS1_11comp_targetILNS1_3genE3ELNS1_11target_archE908ELNS1_3gpuE7ELNS1_3repE0EEENS1_30default_config_static_selectorELNS0_4arch9wavefront6targetE1EEEvT1_
		.amdhsa_group_segment_fixed_size 0
		.amdhsa_private_segment_fixed_size 0
		.amdhsa_kernarg_size 136
		.amdhsa_user_sgpr_count 2
		.amdhsa_user_sgpr_dispatch_ptr 0
		.amdhsa_user_sgpr_queue_ptr 0
		.amdhsa_user_sgpr_kernarg_segment_ptr 1
		.amdhsa_user_sgpr_dispatch_id 0
		.amdhsa_user_sgpr_kernarg_preload_length 0
		.amdhsa_user_sgpr_kernarg_preload_offset 0
		.amdhsa_user_sgpr_private_segment_size 0
		.amdhsa_uses_dynamic_stack 0
		.amdhsa_enable_private_segment 0
		.amdhsa_system_sgpr_workgroup_id_x 1
		.amdhsa_system_sgpr_workgroup_id_y 0
		.amdhsa_system_sgpr_workgroup_id_z 0
		.amdhsa_system_sgpr_workgroup_info 0
		.amdhsa_system_vgpr_workitem_id 0
		.amdhsa_next_free_vgpr 1
		.amdhsa_next_free_sgpr 0
		.amdhsa_accum_offset 4
		.amdhsa_reserve_vcc 0
		.amdhsa_float_round_mode_32 0
		.amdhsa_float_round_mode_16_64 0
		.amdhsa_float_denorm_mode_32 3
		.amdhsa_float_denorm_mode_16_64 3
		.amdhsa_dx10_clamp 1
		.amdhsa_ieee_mode 1
		.amdhsa_fp16_overflow 0
		.amdhsa_tg_split 0
		.amdhsa_exception_fp_ieee_invalid_op 0
		.amdhsa_exception_fp_denorm_src 0
		.amdhsa_exception_fp_ieee_div_zero 0
		.amdhsa_exception_fp_ieee_overflow 0
		.amdhsa_exception_fp_ieee_underflow 0
		.amdhsa_exception_fp_ieee_inexact 0
		.amdhsa_exception_int_div_zero 0
	.end_amdhsa_kernel
	.section	.text._ZN7rocprim17ROCPRIM_400000_NS6detail17trampoline_kernelINS0_14default_configENS1_25partition_config_selectorILNS1_17partition_subalgoE9EllbEEZZNS1_14partition_implILS5_9ELb0ES3_jPlS8_PNS0_10empty_typeENS0_5tupleIJS8_S9_EEENSB_IJS8_SA_EEENS0_18inequality_wrapperIZN2at6native12_GLOBAL__N_124unique_dim_cuda_templateIsEESt5tupleIJNSF_6TensorESK_SK_EERKSK_lbbbEUlllE0_EEPmJS9_EEE10hipError_tPvRmT3_T4_T5_T6_T7_T9_mT8_P12ihipStream_tbDpT10_ENKUlT_T0_E_clISt17integral_constantIbLb1EES1A_EEDaS15_S16_EUlS15_E_NS1_11comp_targetILNS1_3genE3ELNS1_11target_archE908ELNS1_3gpuE7ELNS1_3repE0EEENS1_30default_config_static_selectorELNS0_4arch9wavefront6targetE1EEEvT1_,"axG",@progbits,_ZN7rocprim17ROCPRIM_400000_NS6detail17trampoline_kernelINS0_14default_configENS1_25partition_config_selectorILNS1_17partition_subalgoE9EllbEEZZNS1_14partition_implILS5_9ELb0ES3_jPlS8_PNS0_10empty_typeENS0_5tupleIJS8_S9_EEENSB_IJS8_SA_EEENS0_18inequality_wrapperIZN2at6native12_GLOBAL__N_124unique_dim_cuda_templateIsEESt5tupleIJNSF_6TensorESK_SK_EERKSK_lbbbEUlllE0_EEPmJS9_EEE10hipError_tPvRmT3_T4_T5_T6_T7_T9_mT8_P12ihipStream_tbDpT10_ENKUlT_T0_E_clISt17integral_constantIbLb1EES1A_EEDaS15_S16_EUlS15_E_NS1_11comp_targetILNS1_3genE3ELNS1_11target_archE908ELNS1_3gpuE7ELNS1_3repE0EEENS1_30default_config_static_selectorELNS0_4arch9wavefront6targetE1EEEvT1_,comdat
.Lfunc_end733:
	.size	_ZN7rocprim17ROCPRIM_400000_NS6detail17trampoline_kernelINS0_14default_configENS1_25partition_config_selectorILNS1_17partition_subalgoE9EllbEEZZNS1_14partition_implILS5_9ELb0ES3_jPlS8_PNS0_10empty_typeENS0_5tupleIJS8_S9_EEENSB_IJS8_SA_EEENS0_18inequality_wrapperIZN2at6native12_GLOBAL__N_124unique_dim_cuda_templateIsEESt5tupleIJNSF_6TensorESK_SK_EERKSK_lbbbEUlllE0_EEPmJS9_EEE10hipError_tPvRmT3_T4_T5_T6_T7_T9_mT8_P12ihipStream_tbDpT10_ENKUlT_T0_E_clISt17integral_constantIbLb1EES1A_EEDaS15_S16_EUlS15_E_NS1_11comp_targetILNS1_3genE3ELNS1_11target_archE908ELNS1_3gpuE7ELNS1_3repE0EEENS1_30default_config_static_selectorELNS0_4arch9wavefront6targetE1EEEvT1_, .Lfunc_end733-_ZN7rocprim17ROCPRIM_400000_NS6detail17trampoline_kernelINS0_14default_configENS1_25partition_config_selectorILNS1_17partition_subalgoE9EllbEEZZNS1_14partition_implILS5_9ELb0ES3_jPlS8_PNS0_10empty_typeENS0_5tupleIJS8_S9_EEENSB_IJS8_SA_EEENS0_18inequality_wrapperIZN2at6native12_GLOBAL__N_124unique_dim_cuda_templateIsEESt5tupleIJNSF_6TensorESK_SK_EERKSK_lbbbEUlllE0_EEPmJS9_EEE10hipError_tPvRmT3_T4_T5_T6_T7_T9_mT8_P12ihipStream_tbDpT10_ENKUlT_T0_E_clISt17integral_constantIbLb1EES1A_EEDaS15_S16_EUlS15_E_NS1_11comp_targetILNS1_3genE3ELNS1_11target_archE908ELNS1_3gpuE7ELNS1_3repE0EEENS1_30default_config_static_selectorELNS0_4arch9wavefront6targetE1EEEvT1_
                                        ; -- End function
	.section	.AMDGPU.csdata,"",@progbits
; Kernel info:
; codeLenInByte = 0
; NumSgprs: 6
; NumVgprs: 0
; NumAgprs: 0
; TotalNumVgprs: 0
; ScratchSize: 0
; MemoryBound: 0
; FloatMode: 240
; IeeeMode: 1
; LDSByteSize: 0 bytes/workgroup (compile time only)
; SGPRBlocks: 0
; VGPRBlocks: 0
; NumSGPRsForWavesPerEU: 6
; NumVGPRsForWavesPerEU: 1
; AccumOffset: 4
; Occupancy: 8
; WaveLimiterHint : 0
; COMPUTE_PGM_RSRC2:SCRATCH_EN: 0
; COMPUTE_PGM_RSRC2:USER_SGPR: 2
; COMPUTE_PGM_RSRC2:TRAP_HANDLER: 0
; COMPUTE_PGM_RSRC2:TGID_X_EN: 1
; COMPUTE_PGM_RSRC2:TGID_Y_EN: 0
; COMPUTE_PGM_RSRC2:TGID_Z_EN: 0
; COMPUTE_PGM_RSRC2:TIDIG_COMP_CNT: 0
; COMPUTE_PGM_RSRC3_GFX90A:ACCUM_OFFSET: 0
; COMPUTE_PGM_RSRC3_GFX90A:TG_SPLIT: 0
	.section	.text._ZN7rocprim17ROCPRIM_400000_NS6detail17trampoline_kernelINS0_14default_configENS1_25partition_config_selectorILNS1_17partition_subalgoE9EllbEEZZNS1_14partition_implILS5_9ELb0ES3_jPlS8_PNS0_10empty_typeENS0_5tupleIJS8_S9_EEENSB_IJS8_SA_EEENS0_18inequality_wrapperIZN2at6native12_GLOBAL__N_124unique_dim_cuda_templateIsEESt5tupleIJNSF_6TensorESK_SK_EERKSK_lbbbEUlllE0_EEPmJS9_EEE10hipError_tPvRmT3_T4_T5_T6_T7_T9_mT8_P12ihipStream_tbDpT10_ENKUlT_T0_E_clISt17integral_constantIbLb1EES1A_EEDaS15_S16_EUlS15_E_NS1_11comp_targetILNS1_3genE2ELNS1_11target_archE906ELNS1_3gpuE6ELNS1_3repE0EEENS1_30default_config_static_selectorELNS0_4arch9wavefront6targetE1EEEvT1_,"axG",@progbits,_ZN7rocprim17ROCPRIM_400000_NS6detail17trampoline_kernelINS0_14default_configENS1_25partition_config_selectorILNS1_17partition_subalgoE9EllbEEZZNS1_14partition_implILS5_9ELb0ES3_jPlS8_PNS0_10empty_typeENS0_5tupleIJS8_S9_EEENSB_IJS8_SA_EEENS0_18inequality_wrapperIZN2at6native12_GLOBAL__N_124unique_dim_cuda_templateIsEESt5tupleIJNSF_6TensorESK_SK_EERKSK_lbbbEUlllE0_EEPmJS9_EEE10hipError_tPvRmT3_T4_T5_T6_T7_T9_mT8_P12ihipStream_tbDpT10_ENKUlT_T0_E_clISt17integral_constantIbLb1EES1A_EEDaS15_S16_EUlS15_E_NS1_11comp_targetILNS1_3genE2ELNS1_11target_archE906ELNS1_3gpuE6ELNS1_3repE0EEENS1_30default_config_static_selectorELNS0_4arch9wavefront6targetE1EEEvT1_,comdat
	.globl	_ZN7rocprim17ROCPRIM_400000_NS6detail17trampoline_kernelINS0_14default_configENS1_25partition_config_selectorILNS1_17partition_subalgoE9EllbEEZZNS1_14partition_implILS5_9ELb0ES3_jPlS8_PNS0_10empty_typeENS0_5tupleIJS8_S9_EEENSB_IJS8_SA_EEENS0_18inequality_wrapperIZN2at6native12_GLOBAL__N_124unique_dim_cuda_templateIsEESt5tupleIJNSF_6TensorESK_SK_EERKSK_lbbbEUlllE0_EEPmJS9_EEE10hipError_tPvRmT3_T4_T5_T6_T7_T9_mT8_P12ihipStream_tbDpT10_ENKUlT_T0_E_clISt17integral_constantIbLb1EES1A_EEDaS15_S16_EUlS15_E_NS1_11comp_targetILNS1_3genE2ELNS1_11target_archE906ELNS1_3gpuE6ELNS1_3repE0EEENS1_30default_config_static_selectorELNS0_4arch9wavefront6targetE1EEEvT1_ ; -- Begin function _ZN7rocprim17ROCPRIM_400000_NS6detail17trampoline_kernelINS0_14default_configENS1_25partition_config_selectorILNS1_17partition_subalgoE9EllbEEZZNS1_14partition_implILS5_9ELb0ES3_jPlS8_PNS0_10empty_typeENS0_5tupleIJS8_S9_EEENSB_IJS8_SA_EEENS0_18inequality_wrapperIZN2at6native12_GLOBAL__N_124unique_dim_cuda_templateIsEESt5tupleIJNSF_6TensorESK_SK_EERKSK_lbbbEUlllE0_EEPmJS9_EEE10hipError_tPvRmT3_T4_T5_T6_T7_T9_mT8_P12ihipStream_tbDpT10_ENKUlT_T0_E_clISt17integral_constantIbLb1EES1A_EEDaS15_S16_EUlS15_E_NS1_11comp_targetILNS1_3genE2ELNS1_11target_archE906ELNS1_3gpuE6ELNS1_3repE0EEENS1_30default_config_static_selectorELNS0_4arch9wavefront6targetE1EEEvT1_
	.p2align	8
	.type	_ZN7rocprim17ROCPRIM_400000_NS6detail17trampoline_kernelINS0_14default_configENS1_25partition_config_selectorILNS1_17partition_subalgoE9EllbEEZZNS1_14partition_implILS5_9ELb0ES3_jPlS8_PNS0_10empty_typeENS0_5tupleIJS8_S9_EEENSB_IJS8_SA_EEENS0_18inequality_wrapperIZN2at6native12_GLOBAL__N_124unique_dim_cuda_templateIsEESt5tupleIJNSF_6TensorESK_SK_EERKSK_lbbbEUlllE0_EEPmJS9_EEE10hipError_tPvRmT3_T4_T5_T6_T7_T9_mT8_P12ihipStream_tbDpT10_ENKUlT_T0_E_clISt17integral_constantIbLb1EES1A_EEDaS15_S16_EUlS15_E_NS1_11comp_targetILNS1_3genE2ELNS1_11target_archE906ELNS1_3gpuE6ELNS1_3repE0EEENS1_30default_config_static_selectorELNS0_4arch9wavefront6targetE1EEEvT1_,@function
_ZN7rocprim17ROCPRIM_400000_NS6detail17trampoline_kernelINS0_14default_configENS1_25partition_config_selectorILNS1_17partition_subalgoE9EllbEEZZNS1_14partition_implILS5_9ELb0ES3_jPlS8_PNS0_10empty_typeENS0_5tupleIJS8_S9_EEENSB_IJS8_SA_EEENS0_18inequality_wrapperIZN2at6native12_GLOBAL__N_124unique_dim_cuda_templateIsEESt5tupleIJNSF_6TensorESK_SK_EERKSK_lbbbEUlllE0_EEPmJS9_EEE10hipError_tPvRmT3_T4_T5_T6_T7_T9_mT8_P12ihipStream_tbDpT10_ENKUlT_T0_E_clISt17integral_constantIbLb1EES1A_EEDaS15_S16_EUlS15_E_NS1_11comp_targetILNS1_3genE2ELNS1_11target_archE906ELNS1_3gpuE6ELNS1_3repE0EEENS1_30default_config_static_selectorELNS0_4arch9wavefront6targetE1EEEvT1_: ; @_ZN7rocprim17ROCPRIM_400000_NS6detail17trampoline_kernelINS0_14default_configENS1_25partition_config_selectorILNS1_17partition_subalgoE9EllbEEZZNS1_14partition_implILS5_9ELb0ES3_jPlS8_PNS0_10empty_typeENS0_5tupleIJS8_S9_EEENSB_IJS8_SA_EEENS0_18inequality_wrapperIZN2at6native12_GLOBAL__N_124unique_dim_cuda_templateIsEESt5tupleIJNSF_6TensorESK_SK_EERKSK_lbbbEUlllE0_EEPmJS9_EEE10hipError_tPvRmT3_T4_T5_T6_T7_T9_mT8_P12ihipStream_tbDpT10_ENKUlT_T0_E_clISt17integral_constantIbLb1EES1A_EEDaS15_S16_EUlS15_E_NS1_11comp_targetILNS1_3genE2ELNS1_11target_archE906ELNS1_3gpuE6ELNS1_3repE0EEENS1_30default_config_static_selectorELNS0_4arch9wavefront6targetE1EEEvT1_
; %bb.0:
	.section	.rodata,"a",@progbits
	.p2align	6, 0x0
	.amdhsa_kernel _ZN7rocprim17ROCPRIM_400000_NS6detail17trampoline_kernelINS0_14default_configENS1_25partition_config_selectorILNS1_17partition_subalgoE9EllbEEZZNS1_14partition_implILS5_9ELb0ES3_jPlS8_PNS0_10empty_typeENS0_5tupleIJS8_S9_EEENSB_IJS8_SA_EEENS0_18inequality_wrapperIZN2at6native12_GLOBAL__N_124unique_dim_cuda_templateIsEESt5tupleIJNSF_6TensorESK_SK_EERKSK_lbbbEUlllE0_EEPmJS9_EEE10hipError_tPvRmT3_T4_T5_T6_T7_T9_mT8_P12ihipStream_tbDpT10_ENKUlT_T0_E_clISt17integral_constantIbLb1EES1A_EEDaS15_S16_EUlS15_E_NS1_11comp_targetILNS1_3genE2ELNS1_11target_archE906ELNS1_3gpuE6ELNS1_3repE0EEENS1_30default_config_static_selectorELNS0_4arch9wavefront6targetE1EEEvT1_
		.amdhsa_group_segment_fixed_size 0
		.amdhsa_private_segment_fixed_size 0
		.amdhsa_kernarg_size 136
		.amdhsa_user_sgpr_count 2
		.amdhsa_user_sgpr_dispatch_ptr 0
		.amdhsa_user_sgpr_queue_ptr 0
		.amdhsa_user_sgpr_kernarg_segment_ptr 1
		.amdhsa_user_sgpr_dispatch_id 0
		.amdhsa_user_sgpr_kernarg_preload_length 0
		.amdhsa_user_sgpr_kernarg_preload_offset 0
		.amdhsa_user_sgpr_private_segment_size 0
		.amdhsa_uses_dynamic_stack 0
		.amdhsa_enable_private_segment 0
		.amdhsa_system_sgpr_workgroup_id_x 1
		.amdhsa_system_sgpr_workgroup_id_y 0
		.amdhsa_system_sgpr_workgroup_id_z 0
		.amdhsa_system_sgpr_workgroup_info 0
		.amdhsa_system_vgpr_workitem_id 0
		.amdhsa_next_free_vgpr 1
		.amdhsa_next_free_sgpr 0
		.amdhsa_accum_offset 4
		.amdhsa_reserve_vcc 0
		.amdhsa_float_round_mode_32 0
		.amdhsa_float_round_mode_16_64 0
		.amdhsa_float_denorm_mode_32 3
		.amdhsa_float_denorm_mode_16_64 3
		.amdhsa_dx10_clamp 1
		.amdhsa_ieee_mode 1
		.amdhsa_fp16_overflow 0
		.amdhsa_tg_split 0
		.amdhsa_exception_fp_ieee_invalid_op 0
		.amdhsa_exception_fp_denorm_src 0
		.amdhsa_exception_fp_ieee_div_zero 0
		.amdhsa_exception_fp_ieee_overflow 0
		.amdhsa_exception_fp_ieee_underflow 0
		.amdhsa_exception_fp_ieee_inexact 0
		.amdhsa_exception_int_div_zero 0
	.end_amdhsa_kernel
	.section	.text._ZN7rocprim17ROCPRIM_400000_NS6detail17trampoline_kernelINS0_14default_configENS1_25partition_config_selectorILNS1_17partition_subalgoE9EllbEEZZNS1_14partition_implILS5_9ELb0ES3_jPlS8_PNS0_10empty_typeENS0_5tupleIJS8_S9_EEENSB_IJS8_SA_EEENS0_18inequality_wrapperIZN2at6native12_GLOBAL__N_124unique_dim_cuda_templateIsEESt5tupleIJNSF_6TensorESK_SK_EERKSK_lbbbEUlllE0_EEPmJS9_EEE10hipError_tPvRmT3_T4_T5_T6_T7_T9_mT8_P12ihipStream_tbDpT10_ENKUlT_T0_E_clISt17integral_constantIbLb1EES1A_EEDaS15_S16_EUlS15_E_NS1_11comp_targetILNS1_3genE2ELNS1_11target_archE906ELNS1_3gpuE6ELNS1_3repE0EEENS1_30default_config_static_selectorELNS0_4arch9wavefront6targetE1EEEvT1_,"axG",@progbits,_ZN7rocprim17ROCPRIM_400000_NS6detail17trampoline_kernelINS0_14default_configENS1_25partition_config_selectorILNS1_17partition_subalgoE9EllbEEZZNS1_14partition_implILS5_9ELb0ES3_jPlS8_PNS0_10empty_typeENS0_5tupleIJS8_S9_EEENSB_IJS8_SA_EEENS0_18inequality_wrapperIZN2at6native12_GLOBAL__N_124unique_dim_cuda_templateIsEESt5tupleIJNSF_6TensorESK_SK_EERKSK_lbbbEUlllE0_EEPmJS9_EEE10hipError_tPvRmT3_T4_T5_T6_T7_T9_mT8_P12ihipStream_tbDpT10_ENKUlT_T0_E_clISt17integral_constantIbLb1EES1A_EEDaS15_S16_EUlS15_E_NS1_11comp_targetILNS1_3genE2ELNS1_11target_archE906ELNS1_3gpuE6ELNS1_3repE0EEENS1_30default_config_static_selectorELNS0_4arch9wavefront6targetE1EEEvT1_,comdat
.Lfunc_end734:
	.size	_ZN7rocprim17ROCPRIM_400000_NS6detail17trampoline_kernelINS0_14default_configENS1_25partition_config_selectorILNS1_17partition_subalgoE9EllbEEZZNS1_14partition_implILS5_9ELb0ES3_jPlS8_PNS0_10empty_typeENS0_5tupleIJS8_S9_EEENSB_IJS8_SA_EEENS0_18inequality_wrapperIZN2at6native12_GLOBAL__N_124unique_dim_cuda_templateIsEESt5tupleIJNSF_6TensorESK_SK_EERKSK_lbbbEUlllE0_EEPmJS9_EEE10hipError_tPvRmT3_T4_T5_T6_T7_T9_mT8_P12ihipStream_tbDpT10_ENKUlT_T0_E_clISt17integral_constantIbLb1EES1A_EEDaS15_S16_EUlS15_E_NS1_11comp_targetILNS1_3genE2ELNS1_11target_archE906ELNS1_3gpuE6ELNS1_3repE0EEENS1_30default_config_static_selectorELNS0_4arch9wavefront6targetE1EEEvT1_, .Lfunc_end734-_ZN7rocprim17ROCPRIM_400000_NS6detail17trampoline_kernelINS0_14default_configENS1_25partition_config_selectorILNS1_17partition_subalgoE9EllbEEZZNS1_14partition_implILS5_9ELb0ES3_jPlS8_PNS0_10empty_typeENS0_5tupleIJS8_S9_EEENSB_IJS8_SA_EEENS0_18inequality_wrapperIZN2at6native12_GLOBAL__N_124unique_dim_cuda_templateIsEESt5tupleIJNSF_6TensorESK_SK_EERKSK_lbbbEUlllE0_EEPmJS9_EEE10hipError_tPvRmT3_T4_T5_T6_T7_T9_mT8_P12ihipStream_tbDpT10_ENKUlT_T0_E_clISt17integral_constantIbLb1EES1A_EEDaS15_S16_EUlS15_E_NS1_11comp_targetILNS1_3genE2ELNS1_11target_archE906ELNS1_3gpuE6ELNS1_3repE0EEENS1_30default_config_static_selectorELNS0_4arch9wavefront6targetE1EEEvT1_
                                        ; -- End function
	.section	.AMDGPU.csdata,"",@progbits
; Kernel info:
; codeLenInByte = 0
; NumSgprs: 6
; NumVgprs: 0
; NumAgprs: 0
; TotalNumVgprs: 0
; ScratchSize: 0
; MemoryBound: 0
; FloatMode: 240
; IeeeMode: 1
; LDSByteSize: 0 bytes/workgroup (compile time only)
; SGPRBlocks: 0
; VGPRBlocks: 0
; NumSGPRsForWavesPerEU: 6
; NumVGPRsForWavesPerEU: 1
; AccumOffset: 4
; Occupancy: 8
; WaveLimiterHint : 0
; COMPUTE_PGM_RSRC2:SCRATCH_EN: 0
; COMPUTE_PGM_RSRC2:USER_SGPR: 2
; COMPUTE_PGM_RSRC2:TRAP_HANDLER: 0
; COMPUTE_PGM_RSRC2:TGID_X_EN: 1
; COMPUTE_PGM_RSRC2:TGID_Y_EN: 0
; COMPUTE_PGM_RSRC2:TGID_Z_EN: 0
; COMPUTE_PGM_RSRC2:TIDIG_COMP_CNT: 0
; COMPUTE_PGM_RSRC3_GFX90A:ACCUM_OFFSET: 0
; COMPUTE_PGM_RSRC3_GFX90A:TG_SPLIT: 0
	.section	.text._ZN7rocprim17ROCPRIM_400000_NS6detail17trampoline_kernelINS0_14default_configENS1_25partition_config_selectorILNS1_17partition_subalgoE9EllbEEZZNS1_14partition_implILS5_9ELb0ES3_jPlS8_PNS0_10empty_typeENS0_5tupleIJS8_S9_EEENSB_IJS8_SA_EEENS0_18inequality_wrapperIZN2at6native12_GLOBAL__N_124unique_dim_cuda_templateIsEESt5tupleIJNSF_6TensorESK_SK_EERKSK_lbbbEUlllE0_EEPmJS9_EEE10hipError_tPvRmT3_T4_T5_T6_T7_T9_mT8_P12ihipStream_tbDpT10_ENKUlT_T0_E_clISt17integral_constantIbLb1EES1A_EEDaS15_S16_EUlS15_E_NS1_11comp_targetILNS1_3genE10ELNS1_11target_archE1200ELNS1_3gpuE4ELNS1_3repE0EEENS1_30default_config_static_selectorELNS0_4arch9wavefront6targetE1EEEvT1_,"axG",@progbits,_ZN7rocprim17ROCPRIM_400000_NS6detail17trampoline_kernelINS0_14default_configENS1_25partition_config_selectorILNS1_17partition_subalgoE9EllbEEZZNS1_14partition_implILS5_9ELb0ES3_jPlS8_PNS0_10empty_typeENS0_5tupleIJS8_S9_EEENSB_IJS8_SA_EEENS0_18inequality_wrapperIZN2at6native12_GLOBAL__N_124unique_dim_cuda_templateIsEESt5tupleIJNSF_6TensorESK_SK_EERKSK_lbbbEUlllE0_EEPmJS9_EEE10hipError_tPvRmT3_T4_T5_T6_T7_T9_mT8_P12ihipStream_tbDpT10_ENKUlT_T0_E_clISt17integral_constantIbLb1EES1A_EEDaS15_S16_EUlS15_E_NS1_11comp_targetILNS1_3genE10ELNS1_11target_archE1200ELNS1_3gpuE4ELNS1_3repE0EEENS1_30default_config_static_selectorELNS0_4arch9wavefront6targetE1EEEvT1_,comdat
	.globl	_ZN7rocprim17ROCPRIM_400000_NS6detail17trampoline_kernelINS0_14default_configENS1_25partition_config_selectorILNS1_17partition_subalgoE9EllbEEZZNS1_14partition_implILS5_9ELb0ES3_jPlS8_PNS0_10empty_typeENS0_5tupleIJS8_S9_EEENSB_IJS8_SA_EEENS0_18inequality_wrapperIZN2at6native12_GLOBAL__N_124unique_dim_cuda_templateIsEESt5tupleIJNSF_6TensorESK_SK_EERKSK_lbbbEUlllE0_EEPmJS9_EEE10hipError_tPvRmT3_T4_T5_T6_T7_T9_mT8_P12ihipStream_tbDpT10_ENKUlT_T0_E_clISt17integral_constantIbLb1EES1A_EEDaS15_S16_EUlS15_E_NS1_11comp_targetILNS1_3genE10ELNS1_11target_archE1200ELNS1_3gpuE4ELNS1_3repE0EEENS1_30default_config_static_selectorELNS0_4arch9wavefront6targetE1EEEvT1_ ; -- Begin function _ZN7rocprim17ROCPRIM_400000_NS6detail17trampoline_kernelINS0_14default_configENS1_25partition_config_selectorILNS1_17partition_subalgoE9EllbEEZZNS1_14partition_implILS5_9ELb0ES3_jPlS8_PNS0_10empty_typeENS0_5tupleIJS8_S9_EEENSB_IJS8_SA_EEENS0_18inequality_wrapperIZN2at6native12_GLOBAL__N_124unique_dim_cuda_templateIsEESt5tupleIJNSF_6TensorESK_SK_EERKSK_lbbbEUlllE0_EEPmJS9_EEE10hipError_tPvRmT3_T4_T5_T6_T7_T9_mT8_P12ihipStream_tbDpT10_ENKUlT_T0_E_clISt17integral_constantIbLb1EES1A_EEDaS15_S16_EUlS15_E_NS1_11comp_targetILNS1_3genE10ELNS1_11target_archE1200ELNS1_3gpuE4ELNS1_3repE0EEENS1_30default_config_static_selectorELNS0_4arch9wavefront6targetE1EEEvT1_
	.p2align	8
	.type	_ZN7rocprim17ROCPRIM_400000_NS6detail17trampoline_kernelINS0_14default_configENS1_25partition_config_selectorILNS1_17partition_subalgoE9EllbEEZZNS1_14partition_implILS5_9ELb0ES3_jPlS8_PNS0_10empty_typeENS0_5tupleIJS8_S9_EEENSB_IJS8_SA_EEENS0_18inequality_wrapperIZN2at6native12_GLOBAL__N_124unique_dim_cuda_templateIsEESt5tupleIJNSF_6TensorESK_SK_EERKSK_lbbbEUlllE0_EEPmJS9_EEE10hipError_tPvRmT3_T4_T5_T6_T7_T9_mT8_P12ihipStream_tbDpT10_ENKUlT_T0_E_clISt17integral_constantIbLb1EES1A_EEDaS15_S16_EUlS15_E_NS1_11comp_targetILNS1_3genE10ELNS1_11target_archE1200ELNS1_3gpuE4ELNS1_3repE0EEENS1_30default_config_static_selectorELNS0_4arch9wavefront6targetE1EEEvT1_,@function
_ZN7rocprim17ROCPRIM_400000_NS6detail17trampoline_kernelINS0_14default_configENS1_25partition_config_selectorILNS1_17partition_subalgoE9EllbEEZZNS1_14partition_implILS5_9ELb0ES3_jPlS8_PNS0_10empty_typeENS0_5tupleIJS8_S9_EEENSB_IJS8_SA_EEENS0_18inequality_wrapperIZN2at6native12_GLOBAL__N_124unique_dim_cuda_templateIsEESt5tupleIJNSF_6TensorESK_SK_EERKSK_lbbbEUlllE0_EEPmJS9_EEE10hipError_tPvRmT3_T4_T5_T6_T7_T9_mT8_P12ihipStream_tbDpT10_ENKUlT_T0_E_clISt17integral_constantIbLb1EES1A_EEDaS15_S16_EUlS15_E_NS1_11comp_targetILNS1_3genE10ELNS1_11target_archE1200ELNS1_3gpuE4ELNS1_3repE0EEENS1_30default_config_static_selectorELNS0_4arch9wavefront6targetE1EEEvT1_: ; @_ZN7rocprim17ROCPRIM_400000_NS6detail17trampoline_kernelINS0_14default_configENS1_25partition_config_selectorILNS1_17partition_subalgoE9EllbEEZZNS1_14partition_implILS5_9ELb0ES3_jPlS8_PNS0_10empty_typeENS0_5tupleIJS8_S9_EEENSB_IJS8_SA_EEENS0_18inequality_wrapperIZN2at6native12_GLOBAL__N_124unique_dim_cuda_templateIsEESt5tupleIJNSF_6TensorESK_SK_EERKSK_lbbbEUlllE0_EEPmJS9_EEE10hipError_tPvRmT3_T4_T5_T6_T7_T9_mT8_P12ihipStream_tbDpT10_ENKUlT_T0_E_clISt17integral_constantIbLb1EES1A_EEDaS15_S16_EUlS15_E_NS1_11comp_targetILNS1_3genE10ELNS1_11target_archE1200ELNS1_3gpuE4ELNS1_3repE0EEENS1_30default_config_static_selectorELNS0_4arch9wavefront6targetE1EEEvT1_
; %bb.0:
	.section	.rodata,"a",@progbits
	.p2align	6, 0x0
	.amdhsa_kernel _ZN7rocprim17ROCPRIM_400000_NS6detail17trampoline_kernelINS0_14default_configENS1_25partition_config_selectorILNS1_17partition_subalgoE9EllbEEZZNS1_14partition_implILS5_9ELb0ES3_jPlS8_PNS0_10empty_typeENS0_5tupleIJS8_S9_EEENSB_IJS8_SA_EEENS0_18inequality_wrapperIZN2at6native12_GLOBAL__N_124unique_dim_cuda_templateIsEESt5tupleIJNSF_6TensorESK_SK_EERKSK_lbbbEUlllE0_EEPmJS9_EEE10hipError_tPvRmT3_T4_T5_T6_T7_T9_mT8_P12ihipStream_tbDpT10_ENKUlT_T0_E_clISt17integral_constantIbLb1EES1A_EEDaS15_S16_EUlS15_E_NS1_11comp_targetILNS1_3genE10ELNS1_11target_archE1200ELNS1_3gpuE4ELNS1_3repE0EEENS1_30default_config_static_selectorELNS0_4arch9wavefront6targetE1EEEvT1_
		.amdhsa_group_segment_fixed_size 0
		.amdhsa_private_segment_fixed_size 0
		.amdhsa_kernarg_size 136
		.amdhsa_user_sgpr_count 2
		.amdhsa_user_sgpr_dispatch_ptr 0
		.amdhsa_user_sgpr_queue_ptr 0
		.amdhsa_user_sgpr_kernarg_segment_ptr 1
		.amdhsa_user_sgpr_dispatch_id 0
		.amdhsa_user_sgpr_kernarg_preload_length 0
		.amdhsa_user_sgpr_kernarg_preload_offset 0
		.amdhsa_user_sgpr_private_segment_size 0
		.amdhsa_uses_dynamic_stack 0
		.amdhsa_enable_private_segment 0
		.amdhsa_system_sgpr_workgroup_id_x 1
		.amdhsa_system_sgpr_workgroup_id_y 0
		.amdhsa_system_sgpr_workgroup_id_z 0
		.amdhsa_system_sgpr_workgroup_info 0
		.amdhsa_system_vgpr_workitem_id 0
		.amdhsa_next_free_vgpr 1
		.amdhsa_next_free_sgpr 0
		.amdhsa_accum_offset 4
		.amdhsa_reserve_vcc 0
		.amdhsa_float_round_mode_32 0
		.amdhsa_float_round_mode_16_64 0
		.amdhsa_float_denorm_mode_32 3
		.amdhsa_float_denorm_mode_16_64 3
		.amdhsa_dx10_clamp 1
		.amdhsa_ieee_mode 1
		.amdhsa_fp16_overflow 0
		.amdhsa_tg_split 0
		.amdhsa_exception_fp_ieee_invalid_op 0
		.amdhsa_exception_fp_denorm_src 0
		.amdhsa_exception_fp_ieee_div_zero 0
		.amdhsa_exception_fp_ieee_overflow 0
		.amdhsa_exception_fp_ieee_underflow 0
		.amdhsa_exception_fp_ieee_inexact 0
		.amdhsa_exception_int_div_zero 0
	.end_amdhsa_kernel
	.section	.text._ZN7rocprim17ROCPRIM_400000_NS6detail17trampoline_kernelINS0_14default_configENS1_25partition_config_selectorILNS1_17partition_subalgoE9EllbEEZZNS1_14partition_implILS5_9ELb0ES3_jPlS8_PNS0_10empty_typeENS0_5tupleIJS8_S9_EEENSB_IJS8_SA_EEENS0_18inequality_wrapperIZN2at6native12_GLOBAL__N_124unique_dim_cuda_templateIsEESt5tupleIJNSF_6TensorESK_SK_EERKSK_lbbbEUlllE0_EEPmJS9_EEE10hipError_tPvRmT3_T4_T5_T6_T7_T9_mT8_P12ihipStream_tbDpT10_ENKUlT_T0_E_clISt17integral_constantIbLb1EES1A_EEDaS15_S16_EUlS15_E_NS1_11comp_targetILNS1_3genE10ELNS1_11target_archE1200ELNS1_3gpuE4ELNS1_3repE0EEENS1_30default_config_static_selectorELNS0_4arch9wavefront6targetE1EEEvT1_,"axG",@progbits,_ZN7rocprim17ROCPRIM_400000_NS6detail17trampoline_kernelINS0_14default_configENS1_25partition_config_selectorILNS1_17partition_subalgoE9EllbEEZZNS1_14partition_implILS5_9ELb0ES3_jPlS8_PNS0_10empty_typeENS0_5tupleIJS8_S9_EEENSB_IJS8_SA_EEENS0_18inequality_wrapperIZN2at6native12_GLOBAL__N_124unique_dim_cuda_templateIsEESt5tupleIJNSF_6TensorESK_SK_EERKSK_lbbbEUlllE0_EEPmJS9_EEE10hipError_tPvRmT3_T4_T5_T6_T7_T9_mT8_P12ihipStream_tbDpT10_ENKUlT_T0_E_clISt17integral_constantIbLb1EES1A_EEDaS15_S16_EUlS15_E_NS1_11comp_targetILNS1_3genE10ELNS1_11target_archE1200ELNS1_3gpuE4ELNS1_3repE0EEENS1_30default_config_static_selectorELNS0_4arch9wavefront6targetE1EEEvT1_,comdat
.Lfunc_end735:
	.size	_ZN7rocprim17ROCPRIM_400000_NS6detail17trampoline_kernelINS0_14default_configENS1_25partition_config_selectorILNS1_17partition_subalgoE9EllbEEZZNS1_14partition_implILS5_9ELb0ES3_jPlS8_PNS0_10empty_typeENS0_5tupleIJS8_S9_EEENSB_IJS8_SA_EEENS0_18inequality_wrapperIZN2at6native12_GLOBAL__N_124unique_dim_cuda_templateIsEESt5tupleIJNSF_6TensorESK_SK_EERKSK_lbbbEUlllE0_EEPmJS9_EEE10hipError_tPvRmT3_T4_T5_T6_T7_T9_mT8_P12ihipStream_tbDpT10_ENKUlT_T0_E_clISt17integral_constantIbLb1EES1A_EEDaS15_S16_EUlS15_E_NS1_11comp_targetILNS1_3genE10ELNS1_11target_archE1200ELNS1_3gpuE4ELNS1_3repE0EEENS1_30default_config_static_selectorELNS0_4arch9wavefront6targetE1EEEvT1_, .Lfunc_end735-_ZN7rocprim17ROCPRIM_400000_NS6detail17trampoline_kernelINS0_14default_configENS1_25partition_config_selectorILNS1_17partition_subalgoE9EllbEEZZNS1_14partition_implILS5_9ELb0ES3_jPlS8_PNS0_10empty_typeENS0_5tupleIJS8_S9_EEENSB_IJS8_SA_EEENS0_18inequality_wrapperIZN2at6native12_GLOBAL__N_124unique_dim_cuda_templateIsEESt5tupleIJNSF_6TensorESK_SK_EERKSK_lbbbEUlllE0_EEPmJS9_EEE10hipError_tPvRmT3_T4_T5_T6_T7_T9_mT8_P12ihipStream_tbDpT10_ENKUlT_T0_E_clISt17integral_constantIbLb1EES1A_EEDaS15_S16_EUlS15_E_NS1_11comp_targetILNS1_3genE10ELNS1_11target_archE1200ELNS1_3gpuE4ELNS1_3repE0EEENS1_30default_config_static_selectorELNS0_4arch9wavefront6targetE1EEEvT1_
                                        ; -- End function
	.section	.AMDGPU.csdata,"",@progbits
; Kernel info:
; codeLenInByte = 0
; NumSgprs: 6
; NumVgprs: 0
; NumAgprs: 0
; TotalNumVgprs: 0
; ScratchSize: 0
; MemoryBound: 0
; FloatMode: 240
; IeeeMode: 1
; LDSByteSize: 0 bytes/workgroup (compile time only)
; SGPRBlocks: 0
; VGPRBlocks: 0
; NumSGPRsForWavesPerEU: 6
; NumVGPRsForWavesPerEU: 1
; AccumOffset: 4
; Occupancy: 8
; WaveLimiterHint : 0
; COMPUTE_PGM_RSRC2:SCRATCH_EN: 0
; COMPUTE_PGM_RSRC2:USER_SGPR: 2
; COMPUTE_PGM_RSRC2:TRAP_HANDLER: 0
; COMPUTE_PGM_RSRC2:TGID_X_EN: 1
; COMPUTE_PGM_RSRC2:TGID_Y_EN: 0
; COMPUTE_PGM_RSRC2:TGID_Z_EN: 0
; COMPUTE_PGM_RSRC2:TIDIG_COMP_CNT: 0
; COMPUTE_PGM_RSRC3_GFX90A:ACCUM_OFFSET: 0
; COMPUTE_PGM_RSRC3_GFX90A:TG_SPLIT: 0
	.section	.text._ZN7rocprim17ROCPRIM_400000_NS6detail17trampoline_kernelINS0_14default_configENS1_25partition_config_selectorILNS1_17partition_subalgoE9EllbEEZZNS1_14partition_implILS5_9ELb0ES3_jPlS8_PNS0_10empty_typeENS0_5tupleIJS8_S9_EEENSB_IJS8_SA_EEENS0_18inequality_wrapperIZN2at6native12_GLOBAL__N_124unique_dim_cuda_templateIsEESt5tupleIJNSF_6TensorESK_SK_EERKSK_lbbbEUlllE0_EEPmJS9_EEE10hipError_tPvRmT3_T4_T5_T6_T7_T9_mT8_P12ihipStream_tbDpT10_ENKUlT_T0_E_clISt17integral_constantIbLb1EES1A_EEDaS15_S16_EUlS15_E_NS1_11comp_targetILNS1_3genE9ELNS1_11target_archE1100ELNS1_3gpuE3ELNS1_3repE0EEENS1_30default_config_static_selectorELNS0_4arch9wavefront6targetE1EEEvT1_,"axG",@progbits,_ZN7rocprim17ROCPRIM_400000_NS6detail17trampoline_kernelINS0_14default_configENS1_25partition_config_selectorILNS1_17partition_subalgoE9EllbEEZZNS1_14partition_implILS5_9ELb0ES3_jPlS8_PNS0_10empty_typeENS0_5tupleIJS8_S9_EEENSB_IJS8_SA_EEENS0_18inequality_wrapperIZN2at6native12_GLOBAL__N_124unique_dim_cuda_templateIsEESt5tupleIJNSF_6TensorESK_SK_EERKSK_lbbbEUlllE0_EEPmJS9_EEE10hipError_tPvRmT3_T4_T5_T6_T7_T9_mT8_P12ihipStream_tbDpT10_ENKUlT_T0_E_clISt17integral_constantIbLb1EES1A_EEDaS15_S16_EUlS15_E_NS1_11comp_targetILNS1_3genE9ELNS1_11target_archE1100ELNS1_3gpuE3ELNS1_3repE0EEENS1_30default_config_static_selectorELNS0_4arch9wavefront6targetE1EEEvT1_,comdat
	.globl	_ZN7rocprim17ROCPRIM_400000_NS6detail17trampoline_kernelINS0_14default_configENS1_25partition_config_selectorILNS1_17partition_subalgoE9EllbEEZZNS1_14partition_implILS5_9ELb0ES3_jPlS8_PNS0_10empty_typeENS0_5tupleIJS8_S9_EEENSB_IJS8_SA_EEENS0_18inequality_wrapperIZN2at6native12_GLOBAL__N_124unique_dim_cuda_templateIsEESt5tupleIJNSF_6TensorESK_SK_EERKSK_lbbbEUlllE0_EEPmJS9_EEE10hipError_tPvRmT3_T4_T5_T6_T7_T9_mT8_P12ihipStream_tbDpT10_ENKUlT_T0_E_clISt17integral_constantIbLb1EES1A_EEDaS15_S16_EUlS15_E_NS1_11comp_targetILNS1_3genE9ELNS1_11target_archE1100ELNS1_3gpuE3ELNS1_3repE0EEENS1_30default_config_static_selectorELNS0_4arch9wavefront6targetE1EEEvT1_ ; -- Begin function _ZN7rocprim17ROCPRIM_400000_NS6detail17trampoline_kernelINS0_14default_configENS1_25partition_config_selectorILNS1_17partition_subalgoE9EllbEEZZNS1_14partition_implILS5_9ELb0ES3_jPlS8_PNS0_10empty_typeENS0_5tupleIJS8_S9_EEENSB_IJS8_SA_EEENS0_18inequality_wrapperIZN2at6native12_GLOBAL__N_124unique_dim_cuda_templateIsEESt5tupleIJNSF_6TensorESK_SK_EERKSK_lbbbEUlllE0_EEPmJS9_EEE10hipError_tPvRmT3_T4_T5_T6_T7_T9_mT8_P12ihipStream_tbDpT10_ENKUlT_T0_E_clISt17integral_constantIbLb1EES1A_EEDaS15_S16_EUlS15_E_NS1_11comp_targetILNS1_3genE9ELNS1_11target_archE1100ELNS1_3gpuE3ELNS1_3repE0EEENS1_30default_config_static_selectorELNS0_4arch9wavefront6targetE1EEEvT1_
	.p2align	8
	.type	_ZN7rocprim17ROCPRIM_400000_NS6detail17trampoline_kernelINS0_14default_configENS1_25partition_config_selectorILNS1_17partition_subalgoE9EllbEEZZNS1_14partition_implILS5_9ELb0ES3_jPlS8_PNS0_10empty_typeENS0_5tupleIJS8_S9_EEENSB_IJS8_SA_EEENS0_18inequality_wrapperIZN2at6native12_GLOBAL__N_124unique_dim_cuda_templateIsEESt5tupleIJNSF_6TensorESK_SK_EERKSK_lbbbEUlllE0_EEPmJS9_EEE10hipError_tPvRmT3_T4_T5_T6_T7_T9_mT8_P12ihipStream_tbDpT10_ENKUlT_T0_E_clISt17integral_constantIbLb1EES1A_EEDaS15_S16_EUlS15_E_NS1_11comp_targetILNS1_3genE9ELNS1_11target_archE1100ELNS1_3gpuE3ELNS1_3repE0EEENS1_30default_config_static_selectorELNS0_4arch9wavefront6targetE1EEEvT1_,@function
_ZN7rocprim17ROCPRIM_400000_NS6detail17trampoline_kernelINS0_14default_configENS1_25partition_config_selectorILNS1_17partition_subalgoE9EllbEEZZNS1_14partition_implILS5_9ELb0ES3_jPlS8_PNS0_10empty_typeENS0_5tupleIJS8_S9_EEENSB_IJS8_SA_EEENS0_18inequality_wrapperIZN2at6native12_GLOBAL__N_124unique_dim_cuda_templateIsEESt5tupleIJNSF_6TensorESK_SK_EERKSK_lbbbEUlllE0_EEPmJS9_EEE10hipError_tPvRmT3_T4_T5_T6_T7_T9_mT8_P12ihipStream_tbDpT10_ENKUlT_T0_E_clISt17integral_constantIbLb1EES1A_EEDaS15_S16_EUlS15_E_NS1_11comp_targetILNS1_3genE9ELNS1_11target_archE1100ELNS1_3gpuE3ELNS1_3repE0EEENS1_30default_config_static_selectorELNS0_4arch9wavefront6targetE1EEEvT1_: ; @_ZN7rocprim17ROCPRIM_400000_NS6detail17trampoline_kernelINS0_14default_configENS1_25partition_config_selectorILNS1_17partition_subalgoE9EllbEEZZNS1_14partition_implILS5_9ELb0ES3_jPlS8_PNS0_10empty_typeENS0_5tupleIJS8_S9_EEENSB_IJS8_SA_EEENS0_18inequality_wrapperIZN2at6native12_GLOBAL__N_124unique_dim_cuda_templateIsEESt5tupleIJNSF_6TensorESK_SK_EERKSK_lbbbEUlllE0_EEPmJS9_EEE10hipError_tPvRmT3_T4_T5_T6_T7_T9_mT8_P12ihipStream_tbDpT10_ENKUlT_T0_E_clISt17integral_constantIbLb1EES1A_EEDaS15_S16_EUlS15_E_NS1_11comp_targetILNS1_3genE9ELNS1_11target_archE1100ELNS1_3gpuE3ELNS1_3repE0EEENS1_30default_config_static_selectorELNS0_4arch9wavefront6targetE1EEEvT1_
; %bb.0:
	.section	.rodata,"a",@progbits
	.p2align	6, 0x0
	.amdhsa_kernel _ZN7rocprim17ROCPRIM_400000_NS6detail17trampoline_kernelINS0_14default_configENS1_25partition_config_selectorILNS1_17partition_subalgoE9EllbEEZZNS1_14partition_implILS5_9ELb0ES3_jPlS8_PNS0_10empty_typeENS0_5tupleIJS8_S9_EEENSB_IJS8_SA_EEENS0_18inequality_wrapperIZN2at6native12_GLOBAL__N_124unique_dim_cuda_templateIsEESt5tupleIJNSF_6TensorESK_SK_EERKSK_lbbbEUlllE0_EEPmJS9_EEE10hipError_tPvRmT3_T4_T5_T6_T7_T9_mT8_P12ihipStream_tbDpT10_ENKUlT_T0_E_clISt17integral_constantIbLb1EES1A_EEDaS15_S16_EUlS15_E_NS1_11comp_targetILNS1_3genE9ELNS1_11target_archE1100ELNS1_3gpuE3ELNS1_3repE0EEENS1_30default_config_static_selectorELNS0_4arch9wavefront6targetE1EEEvT1_
		.amdhsa_group_segment_fixed_size 0
		.amdhsa_private_segment_fixed_size 0
		.amdhsa_kernarg_size 136
		.amdhsa_user_sgpr_count 2
		.amdhsa_user_sgpr_dispatch_ptr 0
		.amdhsa_user_sgpr_queue_ptr 0
		.amdhsa_user_sgpr_kernarg_segment_ptr 1
		.amdhsa_user_sgpr_dispatch_id 0
		.amdhsa_user_sgpr_kernarg_preload_length 0
		.amdhsa_user_sgpr_kernarg_preload_offset 0
		.amdhsa_user_sgpr_private_segment_size 0
		.amdhsa_uses_dynamic_stack 0
		.amdhsa_enable_private_segment 0
		.amdhsa_system_sgpr_workgroup_id_x 1
		.amdhsa_system_sgpr_workgroup_id_y 0
		.amdhsa_system_sgpr_workgroup_id_z 0
		.amdhsa_system_sgpr_workgroup_info 0
		.amdhsa_system_vgpr_workitem_id 0
		.amdhsa_next_free_vgpr 1
		.amdhsa_next_free_sgpr 0
		.amdhsa_accum_offset 4
		.amdhsa_reserve_vcc 0
		.amdhsa_float_round_mode_32 0
		.amdhsa_float_round_mode_16_64 0
		.amdhsa_float_denorm_mode_32 3
		.amdhsa_float_denorm_mode_16_64 3
		.amdhsa_dx10_clamp 1
		.amdhsa_ieee_mode 1
		.amdhsa_fp16_overflow 0
		.amdhsa_tg_split 0
		.amdhsa_exception_fp_ieee_invalid_op 0
		.amdhsa_exception_fp_denorm_src 0
		.amdhsa_exception_fp_ieee_div_zero 0
		.amdhsa_exception_fp_ieee_overflow 0
		.amdhsa_exception_fp_ieee_underflow 0
		.amdhsa_exception_fp_ieee_inexact 0
		.amdhsa_exception_int_div_zero 0
	.end_amdhsa_kernel
	.section	.text._ZN7rocprim17ROCPRIM_400000_NS6detail17trampoline_kernelINS0_14default_configENS1_25partition_config_selectorILNS1_17partition_subalgoE9EllbEEZZNS1_14partition_implILS5_9ELb0ES3_jPlS8_PNS0_10empty_typeENS0_5tupleIJS8_S9_EEENSB_IJS8_SA_EEENS0_18inequality_wrapperIZN2at6native12_GLOBAL__N_124unique_dim_cuda_templateIsEESt5tupleIJNSF_6TensorESK_SK_EERKSK_lbbbEUlllE0_EEPmJS9_EEE10hipError_tPvRmT3_T4_T5_T6_T7_T9_mT8_P12ihipStream_tbDpT10_ENKUlT_T0_E_clISt17integral_constantIbLb1EES1A_EEDaS15_S16_EUlS15_E_NS1_11comp_targetILNS1_3genE9ELNS1_11target_archE1100ELNS1_3gpuE3ELNS1_3repE0EEENS1_30default_config_static_selectorELNS0_4arch9wavefront6targetE1EEEvT1_,"axG",@progbits,_ZN7rocprim17ROCPRIM_400000_NS6detail17trampoline_kernelINS0_14default_configENS1_25partition_config_selectorILNS1_17partition_subalgoE9EllbEEZZNS1_14partition_implILS5_9ELb0ES3_jPlS8_PNS0_10empty_typeENS0_5tupleIJS8_S9_EEENSB_IJS8_SA_EEENS0_18inequality_wrapperIZN2at6native12_GLOBAL__N_124unique_dim_cuda_templateIsEESt5tupleIJNSF_6TensorESK_SK_EERKSK_lbbbEUlllE0_EEPmJS9_EEE10hipError_tPvRmT3_T4_T5_T6_T7_T9_mT8_P12ihipStream_tbDpT10_ENKUlT_T0_E_clISt17integral_constantIbLb1EES1A_EEDaS15_S16_EUlS15_E_NS1_11comp_targetILNS1_3genE9ELNS1_11target_archE1100ELNS1_3gpuE3ELNS1_3repE0EEENS1_30default_config_static_selectorELNS0_4arch9wavefront6targetE1EEEvT1_,comdat
.Lfunc_end736:
	.size	_ZN7rocprim17ROCPRIM_400000_NS6detail17trampoline_kernelINS0_14default_configENS1_25partition_config_selectorILNS1_17partition_subalgoE9EllbEEZZNS1_14partition_implILS5_9ELb0ES3_jPlS8_PNS0_10empty_typeENS0_5tupleIJS8_S9_EEENSB_IJS8_SA_EEENS0_18inequality_wrapperIZN2at6native12_GLOBAL__N_124unique_dim_cuda_templateIsEESt5tupleIJNSF_6TensorESK_SK_EERKSK_lbbbEUlllE0_EEPmJS9_EEE10hipError_tPvRmT3_T4_T5_T6_T7_T9_mT8_P12ihipStream_tbDpT10_ENKUlT_T0_E_clISt17integral_constantIbLb1EES1A_EEDaS15_S16_EUlS15_E_NS1_11comp_targetILNS1_3genE9ELNS1_11target_archE1100ELNS1_3gpuE3ELNS1_3repE0EEENS1_30default_config_static_selectorELNS0_4arch9wavefront6targetE1EEEvT1_, .Lfunc_end736-_ZN7rocprim17ROCPRIM_400000_NS6detail17trampoline_kernelINS0_14default_configENS1_25partition_config_selectorILNS1_17partition_subalgoE9EllbEEZZNS1_14partition_implILS5_9ELb0ES3_jPlS8_PNS0_10empty_typeENS0_5tupleIJS8_S9_EEENSB_IJS8_SA_EEENS0_18inequality_wrapperIZN2at6native12_GLOBAL__N_124unique_dim_cuda_templateIsEESt5tupleIJNSF_6TensorESK_SK_EERKSK_lbbbEUlllE0_EEPmJS9_EEE10hipError_tPvRmT3_T4_T5_T6_T7_T9_mT8_P12ihipStream_tbDpT10_ENKUlT_T0_E_clISt17integral_constantIbLb1EES1A_EEDaS15_S16_EUlS15_E_NS1_11comp_targetILNS1_3genE9ELNS1_11target_archE1100ELNS1_3gpuE3ELNS1_3repE0EEENS1_30default_config_static_selectorELNS0_4arch9wavefront6targetE1EEEvT1_
                                        ; -- End function
	.section	.AMDGPU.csdata,"",@progbits
; Kernel info:
; codeLenInByte = 0
; NumSgprs: 6
; NumVgprs: 0
; NumAgprs: 0
; TotalNumVgprs: 0
; ScratchSize: 0
; MemoryBound: 0
; FloatMode: 240
; IeeeMode: 1
; LDSByteSize: 0 bytes/workgroup (compile time only)
; SGPRBlocks: 0
; VGPRBlocks: 0
; NumSGPRsForWavesPerEU: 6
; NumVGPRsForWavesPerEU: 1
; AccumOffset: 4
; Occupancy: 8
; WaveLimiterHint : 0
; COMPUTE_PGM_RSRC2:SCRATCH_EN: 0
; COMPUTE_PGM_RSRC2:USER_SGPR: 2
; COMPUTE_PGM_RSRC2:TRAP_HANDLER: 0
; COMPUTE_PGM_RSRC2:TGID_X_EN: 1
; COMPUTE_PGM_RSRC2:TGID_Y_EN: 0
; COMPUTE_PGM_RSRC2:TGID_Z_EN: 0
; COMPUTE_PGM_RSRC2:TIDIG_COMP_CNT: 0
; COMPUTE_PGM_RSRC3_GFX90A:ACCUM_OFFSET: 0
; COMPUTE_PGM_RSRC3_GFX90A:TG_SPLIT: 0
	.section	.text._ZN7rocprim17ROCPRIM_400000_NS6detail17trampoline_kernelINS0_14default_configENS1_25partition_config_selectorILNS1_17partition_subalgoE9EllbEEZZNS1_14partition_implILS5_9ELb0ES3_jPlS8_PNS0_10empty_typeENS0_5tupleIJS8_S9_EEENSB_IJS8_SA_EEENS0_18inequality_wrapperIZN2at6native12_GLOBAL__N_124unique_dim_cuda_templateIsEESt5tupleIJNSF_6TensorESK_SK_EERKSK_lbbbEUlllE0_EEPmJS9_EEE10hipError_tPvRmT3_T4_T5_T6_T7_T9_mT8_P12ihipStream_tbDpT10_ENKUlT_T0_E_clISt17integral_constantIbLb1EES1A_EEDaS15_S16_EUlS15_E_NS1_11comp_targetILNS1_3genE8ELNS1_11target_archE1030ELNS1_3gpuE2ELNS1_3repE0EEENS1_30default_config_static_selectorELNS0_4arch9wavefront6targetE1EEEvT1_,"axG",@progbits,_ZN7rocprim17ROCPRIM_400000_NS6detail17trampoline_kernelINS0_14default_configENS1_25partition_config_selectorILNS1_17partition_subalgoE9EllbEEZZNS1_14partition_implILS5_9ELb0ES3_jPlS8_PNS0_10empty_typeENS0_5tupleIJS8_S9_EEENSB_IJS8_SA_EEENS0_18inequality_wrapperIZN2at6native12_GLOBAL__N_124unique_dim_cuda_templateIsEESt5tupleIJNSF_6TensorESK_SK_EERKSK_lbbbEUlllE0_EEPmJS9_EEE10hipError_tPvRmT3_T4_T5_T6_T7_T9_mT8_P12ihipStream_tbDpT10_ENKUlT_T0_E_clISt17integral_constantIbLb1EES1A_EEDaS15_S16_EUlS15_E_NS1_11comp_targetILNS1_3genE8ELNS1_11target_archE1030ELNS1_3gpuE2ELNS1_3repE0EEENS1_30default_config_static_selectorELNS0_4arch9wavefront6targetE1EEEvT1_,comdat
	.globl	_ZN7rocprim17ROCPRIM_400000_NS6detail17trampoline_kernelINS0_14default_configENS1_25partition_config_selectorILNS1_17partition_subalgoE9EllbEEZZNS1_14partition_implILS5_9ELb0ES3_jPlS8_PNS0_10empty_typeENS0_5tupleIJS8_S9_EEENSB_IJS8_SA_EEENS0_18inequality_wrapperIZN2at6native12_GLOBAL__N_124unique_dim_cuda_templateIsEESt5tupleIJNSF_6TensorESK_SK_EERKSK_lbbbEUlllE0_EEPmJS9_EEE10hipError_tPvRmT3_T4_T5_T6_T7_T9_mT8_P12ihipStream_tbDpT10_ENKUlT_T0_E_clISt17integral_constantIbLb1EES1A_EEDaS15_S16_EUlS15_E_NS1_11comp_targetILNS1_3genE8ELNS1_11target_archE1030ELNS1_3gpuE2ELNS1_3repE0EEENS1_30default_config_static_selectorELNS0_4arch9wavefront6targetE1EEEvT1_ ; -- Begin function _ZN7rocprim17ROCPRIM_400000_NS6detail17trampoline_kernelINS0_14default_configENS1_25partition_config_selectorILNS1_17partition_subalgoE9EllbEEZZNS1_14partition_implILS5_9ELb0ES3_jPlS8_PNS0_10empty_typeENS0_5tupleIJS8_S9_EEENSB_IJS8_SA_EEENS0_18inequality_wrapperIZN2at6native12_GLOBAL__N_124unique_dim_cuda_templateIsEESt5tupleIJNSF_6TensorESK_SK_EERKSK_lbbbEUlllE0_EEPmJS9_EEE10hipError_tPvRmT3_T4_T5_T6_T7_T9_mT8_P12ihipStream_tbDpT10_ENKUlT_T0_E_clISt17integral_constantIbLb1EES1A_EEDaS15_S16_EUlS15_E_NS1_11comp_targetILNS1_3genE8ELNS1_11target_archE1030ELNS1_3gpuE2ELNS1_3repE0EEENS1_30default_config_static_selectorELNS0_4arch9wavefront6targetE1EEEvT1_
	.p2align	8
	.type	_ZN7rocprim17ROCPRIM_400000_NS6detail17trampoline_kernelINS0_14default_configENS1_25partition_config_selectorILNS1_17partition_subalgoE9EllbEEZZNS1_14partition_implILS5_9ELb0ES3_jPlS8_PNS0_10empty_typeENS0_5tupleIJS8_S9_EEENSB_IJS8_SA_EEENS0_18inequality_wrapperIZN2at6native12_GLOBAL__N_124unique_dim_cuda_templateIsEESt5tupleIJNSF_6TensorESK_SK_EERKSK_lbbbEUlllE0_EEPmJS9_EEE10hipError_tPvRmT3_T4_T5_T6_T7_T9_mT8_P12ihipStream_tbDpT10_ENKUlT_T0_E_clISt17integral_constantIbLb1EES1A_EEDaS15_S16_EUlS15_E_NS1_11comp_targetILNS1_3genE8ELNS1_11target_archE1030ELNS1_3gpuE2ELNS1_3repE0EEENS1_30default_config_static_selectorELNS0_4arch9wavefront6targetE1EEEvT1_,@function
_ZN7rocprim17ROCPRIM_400000_NS6detail17trampoline_kernelINS0_14default_configENS1_25partition_config_selectorILNS1_17partition_subalgoE9EllbEEZZNS1_14partition_implILS5_9ELb0ES3_jPlS8_PNS0_10empty_typeENS0_5tupleIJS8_S9_EEENSB_IJS8_SA_EEENS0_18inequality_wrapperIZN2at6native12_GLOBAL__N_124unique_dim_cuda_templateIsEESt5tupleIJNSF_6TensorESK_SK_EERKSK_lbbbEUlllE0_EEPmJS9_EEE10hipError_tPvRmT3_T4_T5_T6_T7_T9_mT8_P12ihipStream_tbDpT10_ENKUlT_T0_E_clISt17integral_constantIbLb1EES1A_EEDaS15_S16_EUlS15_E_NS1_11comp_targetILNS1_3genE8ELNS1_11target_archE1030ELNS1_3gpuE2ELNS1_3repE0EEENS1_30default_config_static_selectorELNS0_4arch9wavefront6targetE1EEEvT1_: ; @_ZN7rocprim17ROCPRIM_400000_NS6detail17trampoline_kernelINS0_14default_configENS1_25partition_config_selectorILNS1_17partition_subalgoE9EllbEEZZNS1_14partition_implILS5_9ELb0ES3_jPlS8_PNS0_10empty_typeENS0_5tupleIJS8_S9_EEENSB_IJS8_SA_EEENS0_18inequality_wrapperIZN2at6native12_GLOBAL__N_124unique_dim_cuda_templateIsEESt5tupleIJNSF_6TensorESK_SK_EERKSK_lbbbEUlllE0_EEPmJS9_EEE10hipError_tPvRmT3_T4_T5_T6_T7_T9_mT8_P12ihipStream_tbDpT10_ENKUlT_T0_E_clISt17integral_constantIbLb1EES1A_EEDaS15_S16_EUlS15_E_NS1_11comp_targetILNS1_3genE8ELNS1_11target_archE1030ELNS1_3gpuE2ELNS1_3repE0EEENS1_30default_config_static_selectorELNS0_4arch9wavefront6targetE1EEEvT1_
; %bb.0:
	.section	.rodata,"a",@progbits
	.p2align	6, 0x0
	.amdhsa_kernel _ZN7rocprim17ROCPRIM_400000_NS6detail17trampoline_kernelINS0_14default_configENS1_25partition_config_selectorILNS1_17partition_subalgoE9EllbEEZZNS1_14partition_implILS5_9ELb0ES3_jPlS8_PNS0_10empty_typeENS0_5tupleIJS8_S9_EEENSB_IJS8_SA_EEENS0_18inequality_wrapperIZN2at6native12_GLOBAL__N_124unique_dim_cuda_templateIsEESt5tupleIJNSF_6TensorESK_SK_EERKSK_lbbbEUlllE0_EEPmJS9_EEE10hipError_tPvRmT3_T4_T5_T6_T7_T9_mT8_P12ihipStream_tbDpT10_ENKUlT_T0_E_clISt17integral_constantIbLb1EES1A_EEDaS15_S16_EUlS15_E_NS1_11comp_targetILNS1_3genE8ELNS1_11target_archE1030ELNS1_3gpuE2ELNS1_3repE0EEENS1_30default_config_static_selectorELNS0_4arch9wavefront6targetE1EEEvT1_
		.amdhsa_group_segment_fixed_size 0
		.amdhsa_private_segment_fixed_size 0
		.amdhsa_kernarg_size 136
		.amdhsa_user_sgpr_count 2
		.amdhsa_user_sgpr_dispatch_ptr 0
		.amdhsa_user_sgpr_queue_ptr 0
		.amdhsa_user_sgpr_kernarg_segment_ptr 1
		.amdhsa_user_sgpr_dispatch_id 0
		.amdhsa_user_sgpr_kernarg_preload_length 0
		.amdhsa_user_sgpr_kernarg_preload_offset 0
		.amdhsa_user_sgpr_private_segment_size 0
		.amdhsa_uses_dynamic_stack 0
		.amdhsa_enable_private_segment 0
		.amdhsa_system_sgpr_workgroup_id_x 1
		.amdhsa_system_sgpr_workgroup_id_y 0
		.amdhsa_system_sgpr_workgroup_id_z 0
		.amdhsa_system_sgpr_workgroup_info 0
		.amdhsa_system_vgpr_workitem_id 0
		.amdhsa_next_free_vgpr 1
		.amdhsa_next_free_sgpr 0
		.amdhsa_accum_offset 4
		.amdhsa_reserve_vcc 0
		.amdhsa_float_round_mode_32 0
		.amdhsa_float_round_mode_16_64 0
		.amdhsa_float_denorm_mode_32 3
		.amdhsa_float_denorm_mode_16_64 3
		.amdhsa_dx10_clamp 1
		.amdhsa_ieee_mode 1
		.amdhsa_fp16_overflow 0
		.amdhsa_tg_split 0
		.amdhsa_exception_fp_ieee_invalid_op 0
		.amdhsa_exception_fp_denorm_src 0
		.amdhsa_exception_fp_ieee_div_zero 0
		.amdhsa_exception_fp_ieee_overflow 0
		.amdhsa_exception_fp_ieee_underflow 0
		.amdhsa_exception_fp_ieee_inexact 0
		.amdhsa_exception_int_div_zero 0
	.end_amdhsa_kernel
	.section	.text._ZN7rocprim17ROCPRIM_400000_NS6detail17trampoline_kernelINS0_14default_configENS1_25partition_config_selectorILNS1_17partition_subalgoE9EllbEEZZNS1_14partition_implILS5_9ELb0ES3_jPlS8_PNS0_10empty_typeENS0_5tupleIJS8_S9_EEENSB_IJS8_SA_EEENS0_18inequality_wrapperIZN2at6native12_GLOBAL__N_124unique_dim_cuda_templateIsEESt5tupleIJNSF_6TensorESK_SK_EERKSK_lbbbEUlllE0_EEPmJS9_EEE10hipError_tPvRmT3_T4_T5_T6_T7_T9_mT8_P12ihipStream_tbDpT10_ENKUlT_T0_E_clISt17integral_constantIbLb1EES1A_EEDaS15_S16_EUlS15_E_NS1_11comp_targetILNS1_3genE8ELNS1_11target_archE1030ELNS1_3gpuE2ELNS1_3repE0EEENS1_30default_config_static_selectorELNS0_4arch9wavefront6targetE1EEEvT1_,"axG",@progbits,_ZN7rocprim17ROCPRIM_400000_NS6detail17trampoline_kernelINS0_14default_configENS1_25partition_config_selectorILNS1_17partition_subalgoE9EllbEEZZNS1_14partition_implILS5_9ELb0ES3_jPlS8_PNS0_10empty_typeENS0_5tupleIJS8_S9_EEENSB_IJS8_SA_EEENS0_18inequality_wrapperIZN2at6native12_GLOBAL__N_124unique_dim_cuda_templateIsEESt5tupleIJNSF_6TensorESK_SK_EERKSK_lbbbEUlllE0_EEPmJS9_EEE10hipError_tPvRmT3_T4_T5_T6_T7_T9_mT8_P12ihipStream_tbDpT10_ENKUlT_T0_E_clISt17integral_constantIbLb1EES1A_EEDaS15_S16_EUlS15_E_NS1_11comp_targetILNS1_3genE8ELNS1_11target_archE1030ELNS1_3gpuE2ELNS1_3repE0EEENS1_30default_config_static_selectorELNS0_4arch9wavefront6targetE1EEEvT1_,comdat
.Lfunc_end737:
	.size	_ZN7rocprim17ROCPRIM_400000_NS6detail17trampoline_kernelINS0_14default_configENS1_25partition_config_selectorILNS1_17partition_subalgoE9EllbEEZZNS1_14partition_implILS5_9ELb0ES3_jPlS8_PNS0_10empty_typeENS0_5tupleIJS8_S9_EEENSB_IJS8_SA_EEENS0_18inequality_wrapperIZN2at6native12_GLOBAL__N_124unique_dim_cuda_templateIsEESt5tupleIJNSF_6TensorESK_SK_EERKSK_lbbbEUlllE0_EEPmJS9_EEE10hipError_tPvRmT3_T4_T5_T6_T7_T9_mT8_P12ihipStream_tbDpT10_ENKUlT_T0_E_clISt17integral_constantIbLb1EES1A_EEDaS15_S16_EUlS15_E_NS1_11comp_targetILNS1_3genE8ELNS1_11target_archE1030ELNS1_3gpuE2ELNS1_3repE0EEENS1_30default_config_static_selectorELNS0_4arch9wavefront6targetE1EEEvT1_, .Lfunc_end737-_ZN7rocprim17ROCPRIM_400000_NS6detail17trampoline_kernelINS0_14default_configENS1_25partition_config_selectorILNS1_17partition_subalgoE9EllbEEZZNS1_14partition_implILS5_9ELb0ES3_jPlS8_PNS0_10empty_typeENS0_5tupleIJS8_S9_EEENSB_IJS8_SA_EEENS0_18inequality_wrapperIZN2at6native12_GLOBAL__N_124unique_dim_cuda_templateIsEESt5tupleIJNSF_6TensorESK_SK_EERKSK_lbbbEUlllE0_EEPmJS9_EEE10hipError_tPvRmT3_T4_T5_T6_T7_T9_mT8_P12ihipStream_tbDpT10_ENKUlT_T0_E_clISt17integral_constantIbLb1EES1A_EEDaS15_S16_EUlS15_E_NS1_11comp_targetILNS1_3genE8ELNS1_11target_archE1030ELNS1_3gpuE2ELNS1_3repE0EEENS1_30default_config_static_selectorELNS0_4arch9wavefront6targetE1EEEvT1_
                                        ; -- End function
	.section	.AMDGPU.csdata,"",@progbits
; Kernel info:
; codeLenInByte = 0
; NumSgprs: 6
; NumVgprs: 0
; NumAgprs: 0
; TotalNumVgprs: 0
; ScratchSize: 0
; MemoryBound: 0
; FloatMode: 240
; IeeeMode: 1
; LDSByteSize: 0 bytes/workgroup (compile time only)
; SGPRBlocks: 0
; VGPRBlocks: 0
; NumSGPRsForWavesPerEU: 6
; NumVGPRsForWavesPerEU: 1
; AccumOffset: 4
; Occupancy: 8
; WaveLimiterHint : 0
; COMPUTE_PGM_RSRC2:SCRATCH_EN: 0
; COMPUTE_PGM_RSRC2:USER_SGPR: 2
; COMPUTE_PGM_RSRC2:TRAP_HANDLER: 0
; COMPUTE_PGM_RSRC2:TGID_X_EN: 1
; COMPUTE_PGM_RSRC2:TGID_Y_EN: 0
; COMPUTE_PGM_RSRC2:TGID_Z_EN: 0
; COMPUTE_PGM_RSRC2:TIDIG_COMP_CNT: 0
; COMPUTE_PGM_RSRC3_GFX90A:ACCUM_OFFSET: 0
; COMPUTE_PGM_RSRC3_GFX90A:TG_SPLIT: 0
	.section	.text._ZN7rocprim17ROCPRIM_400000_NS6detail17trampoline_kernelINS0_14default_configENS1_25partition_config_selectorILNS1_17partition_subalgoE9EllbEEZZNS1_14partition_implILS5_9ELb0ES3_jPlS8_PNS0_10empty_typeENS0_5tupleIJS8_S9_EEENSB_IJS8_SA_EEENS0_18inequality_wrapperIZN2at6native12_GLOBAL__N_124unique_dim_cuda_templateIsEESt5tupleIJNSF_6TensorESK_SK_EERKSK_lbbbEUlllE0_EEPmJS9_EEE10hipError_tPvRmT3_T4_T5_T6_T7_T9_mT8_P12ihipStream_tbDpT10_ENKUlT_T0_E_clISt17integral_constantIbLb1EES19_IbLb0EEEEDaS15_S16_EUlS15_E_NS1_11comp_targetILNS1_3genE0ELNS1_11target_archE4294967295ELNS1_3gpuE0ELNS1_3repE0EEENS1_30default_config_static_selectorELNS0_4arch9wavefront6targetE1EEEvT1_,"axG",@progbits,_ZN7rocprim17ROCPRIM_400000_NS6detail17trampoline_kernelINS0_14default_configENS1_25partition_config_selectorILNS1_17partition_subalgoE9EllbEEZZNS1_14partition_implILS5_9ELb0ES3_jPlS8_PNS0_10empty_typeENS0_5tupleIJS8_S9_EEENSB_IJS8_SA_EEENS0_18inequality_wrapperIZN2at6native12_GLOBAL__N_124unique_dim_cuda_templateIsEESt5tupleIJNSF_6TensorESK_SK_EERKSK_lbbbEUlllE0_EEPmJS9_EEE10hipError_tPvRmT3_T4_T5_T6_T7_T9_mT8_P12ihipStream_tbDpT10_ENKUlT_T0_E_clISt17integral_constantIbLb1EES19_IbLb0EEEEDaS15_S16_EUlS15_E_NS1_11comp_targetILNS1_3genE0ELNS1_11target_archE4294967295ELNS1_3gpuE0ELNS1_3repE0EEENS1_30default_config_static_selectorELNS0_4arch9wavefront6targetE1EEEvT1_,comdat
	.globl	_ZN7rocprim17ROCPRIM_400000_NS6detail17trampoline_kernelINS0_14default_configENS1_25partition_config_selectorILNS1_17partition_subalgoE9EllbEEZZNS1_14partition_implILS5_9ELb0ES3_jPlS8_PNS0_10empty_typeENS0_5tupleIJS8_S9_EEENSB_IJS8_SA_EEENS0_18inequality_wrapperIZN2at6native12_GLOBAL__N_124unique_dim_cuda_templateIsEESt5tupleIJNSF_6TensorESK_SK_EERKSK_lbbbEUlllE0_EEPmJS9_EEE10hipError_tPvRmT3_T4_T5_T6_T7_T9_mT8_P12ihipStream_tbDpT10_ENKUlT_T0_E_clISt17integral_constantIbLb1EES19_IbLb0EEEEDaS15_S16_EUlS15_E_NS1_11comp_targetILNS1_3genE0ELNS1_11target_archE4294967295ELNS1_3gpuE0ELNS1_3repE0EEENS1_30default_config_static_selectorELNS0_4arch9wavefront6targetE1EEEvT1_ ; -- Begin function _ZN7rocprim17ROCPRIM_400000_NS6detail17trampoline_kernelINS0_14default_configENS1_25partition_config_selectorILNS1_17partition_subalgoE9EllbEEZZNS1_14partition_implILS5_9ELb0ES3_jPlS8_PNS0_10empty_typeENS0_5tupleIJS8_S9_EEENSB_IJS8_SA_EEENS0_18inequality_wrapperIZN2at6native12_GLOBAL__N_124unique_dim_cuda_templateIsEESt5tupleIJNSF_6TensorESK_SK_EERKSK_lbbbEUlllE0_EEPmJS9_EEE10hipError_tPvRmT3_T4_T5_T6_T7_T9_mT8_P12ihipStream_tbDpT10_ENKUlT_T0_E_clISt17integral_constantIbLb1EES19_IbLb0EEEEDaS15_S16_EUlS15_E_NS1_11comp_targetILNS1_3genE0ELNS1_11target_archE4294967295ELNS1_3gpuE0ELNS1_3repE0EEENS1_30default_config_static_selectorELNS0_4arch9wavefront6targetE1EEEvT1_
	.p2align	8
	.type	_ZN7rocprim17ROCPRIM_400000_NS6detail17trampoline_kernelINS0_14default_configENS1_25partition_config_selectorILNS1_17partition_subalgoE9EllbEEZZNS1_14partition_implILS5_9ELb0ES3_jPlS8_PNS0_10empty_typeENS0_5tupleIJS8_S9_EEENSB_IJS8_SA_EEENS0_18inequality_wrapperIZN2at6native12_GLOBAL__N_124unique_dim_cuda_templateIsEESt5tupleIJNSF_6TensorESK_SK_EERKSK_lbbbEUlllE0_EEPmJS9_EEE10hipError_tPvRmT3_T4_T5_T6_T7_T9_mT8_P12ihipStream_tbDpT10_ENKUlT_T0_E_clISt17integral_constantIbLb1EES19_IbLb0EEEEDaS15_S16_EUlS15_E_NS1_11comp_targetILNS1_3genE0ELNS1_11target_archE4294967295ELNS1_3gpuE0ELNS1_3repE0EEENS1_30default_config_static_selectorELNS0_4arch9wavefront6targetE1EEEvT1_,@function
_ZN7rocprim17ROCPRIM_400000_NS6detail17trampoline_kernelINS0_14default_configENS1_25partition_config_selectorILNS1_17partition_subalgoE9EllbEEZZNS1_14partition_implILS5_9ELb0ES3_jPlS8_PNS0_10empty_typeENS0_5tupleIJS8_S9_EEENSB_IJS8_SA_EEENS0_18inequality_wrapperIZN2at6native12_GLOBAL__N_124unique_dim_cuda_templateIsEESt5tupleIJNSF_6TensorESK_SK_EERKSK_lbbbEUlllE0_EEPmJS9_EEE10hipError_tPvRmT3_T4_T5_T6_T7_T9_mT8_P12ihipStream_tbDpT10_ENKUlT_T0_E_clISt17integral_constantIbLb1EES19_IbLb0EEEEDaS15_S16_EUlS15_E_NS1_11comp_targetILNS1_3genE0ELNS1_11target_archE4294967295ELNS1_3gpuE0ELNS1_3repE0EEENS1_30default_config_static_selectorELNS0_4arch9wavefront6targetE1EEEvT1_: ; @_ZN7rocprim17ROCPRIM_400000_NS6detail17trampoline_kernelINS0_14default_configENS1_25partition_config_selectorILNS1_17partition_subalgoE9EllbEEZZNS1_14partition_implILS5_9ELb0ES3_jPlS8_PNS0_10empty_typeENS0_5tupleIJS8_S9_EEENSB_IJS8_SA_EEENS0_18inequality_wrapperIZN2at6native12_GLOBAL__N_124unique_dim_cuda_templateIsEESt5tupleIJNSF_6TensorESK_SK_EERKSK_lbbbEUlllE0_EEPmJS9_EEE10hipError_tPvRmT3_T4_T5_T6_T7_T9_mT8_P12ihipStream_tbDpT10_ENKUlT_T0_E_clISt17integral_constantIbLb1EES19_IbLb0EEEEDaS15_S16_EUlS15_E_NS1_11comp_targetILNS1_3genE0ELNS1_11target_archE4294967295ELNS1_3gpuE0ELNS1_3repE0EEENS1_30default_config_static_selectorELNS0_4arch9wavefront6targetE1EEEvT1_
; %bb.0:
	.section	.rodata,"a",@progbits
	.p2align	6, 0x0
	.amdhsa_kernel _ZN7rocprim17ROCPRIM_400000_NS6detail17trampoline_kernelINS0_14default_configENS1_25partition_config_selectorILNS1_17partition_subalgoE9EllbEEZZNS1_14partition_implILS5_9ELb0ES3_jPlS8_PNS0_10empty_typeENS0_5tupleIJS8_S9_EEENSB_IJS8_SA_EEENS0_18inequality_wrapperIZN2at6native12_GLOBAL__N_124unique_dim_cuda_templateIsEESt5tupleIJNSF_6TensorESK_SK_EERKSK_lbbbEUlllE0_EEPmJS9_EEE10hipError_tPvRmT3_T4_T5_T6_T7_T9_mT8_P12ihipStream_tbDpT10_ENKUlT_T0_E_clISt17integral_constantIbLb1EES19_IbLb0EEEEDaS15_S16_EUlS15_E_NS1_11comp_targetILNS1_3genE0ELNS1_11target_archE4294967295ELNS1_3gpuE0ELNS1_3repE0EEENS1_30default_config_static_selectorELNS0_4arch9wavefront6targetE1EEEvT1_
		.amdhsa_group_segment_fixed_size 0
		.amdhsa_private_segment_fixed_size 0
		.amdhsa_kernarg_size 120
		.amdhsa_user_sgpr_count 2
		.amdhsa_user_sgpr_dispatch_ptr 0
		.amdhsa_user_sgpr_queue_ptr 0
		.amdhsa_user_sgpr_kernarg_segment_ptr 1
		.amdhsa_user_sgpr_dispatch_id 0
		.amdhsa_user_sgpr_kernarg_preload_length 0
		.amdhsa_user_sgpr_kernarg_preload_offset 0
		.amdhsa_user_sgpr_private_segment_size 0
		.amdhsa_uses_dynamic_stack 0
		.amdhsa_enable_private_segment 0
		.amdhsa_system_sgpr_workgroup_id_x 1
		.amdhsa_system_sgpr_workgroup_id_y 0
		.amdhsa_system_sgpr_workgroup_id_z 0
		.amdhsa_system_sgpr_workgroup_info 0
		.amdhsa_system_vgpr_workitem_id 0
		.amdhsa_next_free_vgpr 1
		.amdhsa_next_free_sgpr 0
		.amdhsa_accum_offset 4
		.amdhsa_reserve_vcc 0
		.amdhsa_float_round_mode_32 0
		.amdhsa_float_round_mode_16_64 0
		.amdhsa_float_denorm_mode_32 3
		.amdhsa_float_denorm_mode_16_64 3
		.amdhsa_dx10_clamp 1
		.amdhsa_ieee_mode 1
		.amdhsa_fp16_overflow 0
		.amdhsa_tg_split 0
		.amdhsa_exception_fp_ieee_invalid_op 0
		.amdhsa_exception_fp_denorm_src 0
		.amdhsa_exception_fp_ieee_div_zero 0
		.amdhsa_exception_fp_ieee_overflow 0
		.amdhsa_exception_fp_ieee_underflow 0
		.amdhsa_exception_fp_ieee_inexact 0
		.amdhsa_exception_int_div_zero 0
	.end_amdhsa_kernel
	.section	.text._ZN7rocprim17ROCPRIM_400000_NS6detail17trampoline_kernelINS0_14default_configENS1_25partition_config_selectorILNS1_17partition_subalgoE9EllbEEZZNS1_14partition_implILS5_9ELb0ES3_jPlS8_PNS0_10empty_typeENS0_5tupleIJS8_S9_EEENSB_IJS8_SA_EEENS0_18inequality_wrapperIZN2at6native12_GLOBAL__N_124unique_dim_cuda_templateIsEESt5tupleIJNSF_6TensorESK_SK_EERKSK_lbbbEUlllE0_EEPmJS9_EEE10hipError_tPvRmT3_T4_T5_T6_T7_T9_mT8_P12ihipStream_tbDpT10_ENKUlT_T0_E_clISt17integral_constantIbLb1EES19_IbLb0EEEEDaS15_S16_EUlS15_E_NS1_11comp_targetILNS1_3genE0ELNS1_11target_archE4294967295ELNS1_3gpuE0ELNS1_3repE0EEENS1_30default_config_static_selectorELNS0_4arch9wavefront6targetE1EEEvT1_,"axG",@progbits,_ZN7rocprim17ROCPRIM_400000_NS6detail17trampoline_kernelINS0_14default_configENS1_25partition_config_selectorILNS1_17partition_subalgoE9EllbEEZZNS1_14partition_implILS5_9ELb0ES3_jPlS8_PNS0_10empty_typeENS0_5tupleIJS8_S9_EEENSB_IJS8_SA_EEENS0_18inequality_wrapperIZN2at6native12_GLOBAL__N_124unique_dim_cuda_templateIsEESt5tupleIJNSF_6TensorESK_SK_EERKSK_lbbbEUlllE0_EEPmJS9_EEE10hipError_tPvRmT3_T4_T5_T6_T7_T9_mT8_P12ihipStream_tbDpT10_ENKUlT_T0_E_clISt17integral_constantIbLb1EES19_IbLb0EEEEDaS15_S16_EUlS15_E_NS1_11comp_targetILNS1_3genE0ELNS1_11target_archE4294967295ELNS1_3gpuE0ELNS1_3repE0EEENS1_30default_config_static_selectorELNS0_4arch9wavefront6targetE1EEEvT1_,comdat
.Lfunc_end738:
	.size	_ZN7rocprim17ROCPRIM_400000_NS6detail17trampoline_kernelINS0_14default_configENS1_25partition_config_selectorILNS1_17partition_subalgoE9EllbEEZZNS1_14partition_implILS5_9ELb0ES3_jPlS8_PNS0_10empty_typeENS0_5tupleIJS8_S9_EEENSB_IJS8_SA_EEENS0_18inequality_wrapperIZN2at6native12_GLOBAL__N_124unique_dim_cuda_templateIsEESt5tupleIJNSF_6TensorESK_SK_EERKSK_lbbbEUlllE0_EEPmJS9_EEE10hipError_tPvRmT3_T4_T5_T6_T7_T9_mT8_P12ihipStream_tbDpT10_ENKUlT_T0_E_clISt17integral_constantIbLb1EES19_IbLb0EEEEDaS15_S16_EUlS15_E_NS1_11comp_targetILNS1_3genE0ELNS1_11target_archE4294967295ELNS1_3gpuE0ELNS1_3repE0EEENS1_30default_config_static_selectorELNS0_4arch9wavefront6targetE1EEEvT1_, .Lfunc_end738-_ZN7rocprim17ROCPRIM_400000_NS6detail17trampoline_kernelINS0_14default_configENS1_25partition_config_selectorILNS1_17partition_subalgoE9EllbEEZZNS1_14partition_implILS5_9ELb0ES3_jPlS8_PNS0_10empty_typeENS0_5tupleIJS8_S9_EEENSB_IJS8_SA_EEENS0_18inequality_wrapperIZN2at6native12_GLOBAL__N_124unique_dim_cuda_templateIsEESt5tupleIJNSF_6TensorESK_SK_EERKSK_lbbbEUlllE0_EEPmJS9_EEE10hipError_tPvRmT3_T4_T5_T6_T7_T9_mT8_P12ihipStream_tbDpT10_ENKUlT_T0_E_clISt17integral_constantIbLb1EES19_IbLb0EEEEDaS15_S16_EUlS15_E_NS1_11comp_targetILNS1_3genE0ELNS1_11target_archE4294967295ELNS1_3gpuE0ELNS1_3repE0EEENS1_30default_config_static_selectorELNS0_4arch9wavefront6targetE1EEEvT1_
                                        ; -- End function
	.section	.AMDGPU.csdata,"",@progbits
; Kernel info:
; codeLenInByte = 0
; NumSgprs: 6
; NumVgprs: 0
; NumAgprs: 0
; TotalNumVgprs: 0
; ScratchSize: 0
; MemoryBound: 0
; FloatMode: 240
; IeeeMode: 1
; LDSByteSize: 0 bytes/workgroup (compile time only)
; SGPRBlocks: 0
; VGPRBlocks: 0
; NumSGPRsForWavesPerEU: 6
; NumVGPRsForWavesPerEU: 1
; AccumOffset: 4
; Occupancy: 8
; WaveLimiterHint : 0
; COMPUTE_PGM_RSRC2:SCRATCH_EN: 0
; COMPUTE_PGM_RSRC2:USER_SGPR: 2
; COMPUTE_PGM_RSRC2:TRAP_HANDLER: 0
; COMPUTE_PGM_RSRC2:TGID_X_EN: 1
; COMPUTE_PGM_RSRC2:TGID_Y_EN: 0
; COMPUTE_PGM_RSRC2:TGID_Z_EN: 0
; COMPUTE_PGM_RSRC2:TIDIG_COMP_CNT: 0
; COMPUTE_PGM_RSRC3_GFX90A:ACCUM_OFFSET: 0
; COMPUTE_PGM_RSRC3_GFX90A:TG_SPLIT: 0
	.section	.text._ZN7rocprim17ROCPRIM_400000_NS6detail17trampoline_kernelINS0_14default_configENS1_25partition_config_selectorILNS1_17partition_subalgoE9EllbEEZZNS1_14partition_implILS5_9ELb0ES3_jPlS8_PNS0_10empty_typeENS0_5tupleIJS8_S9_EEENSB_IJS8_SA_EEENS0_18inequality_wrapperIZN2at6native12_GLOBAL__N_124unique_dim_cuda_templateIsEESt5tupleIJNSF_6TensorESK_SK_EERKSK_lbbbEUlllE0_EEPmJS9_EEE10hipError_tPvRmT3_T4_T5_T6_T7_T9_mT8_P12ihipStream_tbDpT10_ENKUlT_T0_E_clISt17integral_constantIbLb1EES19_IbLb0EEEEDaS15_S16_EUlS15_E_NS1_11comp_targetILNS1_3genE5ELNS1_11target_archE942ELNS1_3gpuE9ELNS1_3repE0EEENS1_30default_config_static_selectorELNS0_4arch9wavefront6targetE1EEEvT1_,"axG",@progbits,_ZN7rocprim17ROCPRIM_400000_NS6detail17trampoline_kernelINS0_14default_configENS1_25partition_config_selectorILNS1_17partition_subalgoE9EllbEEZZNS1_14partition_implILS5_9ELb0ES3_jPlS8_PNS0_10empty_typeENS0_5tupleIJS8_S9_EEENSB_IJS8_SA_EEENS0_18inequality_wrapperIZN2at6native12_GLOBAL__N_124unique_dim_cuda_templateIsEESt5tupleIJNSF_6TensorESK_SK_EERKSK_lbbbEUlllE0_EEPmJS9_EEE10hipError_tPvRmT3_T4_T5_T6_T7_T9_mT8_P12ihipStream_tbDpT10_ENKUlT_T0_E_clISt17integral_constantIbLb1EES19_IbLb0EEEEDaS15_S16_EUlS15_E_NS1_11comp_targetILNS1_3genE5ELNS1_11target_archE942ELNS1_3gpuE9ELNS1_3repE0EEENS1_30default_config_static_selectorELNS0_4arch9wavefront6targetE1EEEvT1_,comdat
	.globl	_ZN7rocprim17ROCPRIM_400000_NS6detail17trampoline_kernelINS0_14default_configENS1_25partition_config_selectorILNS1_17partition_subalgoE9EllbEEZZNS1_14partition_implILS5_9ELb0ES3_jPlS8_PNS0_10empty_typeENS0_5tupleIJS8_S9_EEENSB_IJS8_SA_EEENS0_18inequality_wrapperIZN2at6native12_GLOBAL__N_124unique_dim_cuda_templateIsEESt5tupleIJNSF_6TensorESK_SK_EERKSK_lbbbEUlllE0_EEPmJS9_EEE10hipError_tPvRmT3_T4_T5_T6_T7_T9_mT8_P12ihipStream_tbDpT10_ENKUlT_T0_E_clISt17integral_constantIbLb1EES19_IbLb0EEEEDaS15_S16_EUlS15_E_NS1_11comp_targetILNS1_3genE5ELNS1_11target_archE942ELNS1_3gpuE9ELNS1_3repE0EEENS1_30default_config_static_selectorELNS0_4arch9wavefront6targetE1EEEvT1_ ; -- Begin function _ZN7rocprim17ROCPRIM_400000_NS6detail17trampoline_kernelINS0_14default_configENS1_25partition_config_selectorILNS1_17partition_subalgoE9EllbEEZZNS1_14partition_implILS5_9ELb0ES3_jPlS8_PNS0_10empty_typeENS0_5tupleIJS8_S9_EEENSB_IJS8_SA_EEENS0_18inequality_wrapperIZN2at6native12_GLOBAL__N_124unique_dim_cuda_templateIsEESt5tupleIJNSF_6TensorESK_SK_EERKSK_lbbbEUlllE0_EEPmJS9_EEE10hipError_tPvRmT3_T4_T5_T6_T7_T9_mT8_P12ihipStream_tbDpT10_ENKUlT_T0_E_clISt17integral_constantIbLb1EES19_IbLb0EEEEDaS15_S16_EUlS15_E_NS1_11comp_targetILNS1_3genE5ELNS1_11target_archE942ELNS1_3gpuE9ELNS1_3repE0EEENS1_30default_config_static_selectorELNS0_4arch9wavefront6targetE1EEEvT1_
	.p2align	8
	.type	_ZN7rocprim17ROCPRIM_400000_NS6detail17trampoline_kernelINS0_14default_configENS1_25partition_config_selectorILNS1_17partition_subalgoE9EllbEEZZNS1_14partition_implILS5_9ELb0ES3_jPlS8_PNS0_10empty_typeENS0_5tupleIJS8_S9_EEENSB_IJS8_SA_EEENS0_18inequality_wrapperIZN2at6native12_GLOBAL__N_124unique_dim_cuda_templateIsEESt5tupleIJNSF_6TensorESK_SK_EERKSK_lbbbEUlllE0_EEPmJS9_EEE10hipError_tPvRmT3_T4_T5_T6_T7_T9_mT8_P12ihipStream_tbDpT10_ENKUlT_T0_E_clISt17integral_constantIbLb1EES19_IbLb0EEEEDaS15_S16_EUlS15_E_NS1_11comp_targetILNS1_3genE5ELNS1_11target_archE942ELNS1_3gpuE9ELNS1_3repE0EEENS1_30default_config_static_selectorELNS0_4arch9wavefront6targetE1EEEvT1_,@function
_ZN7rocprim17ROCPRIM_400000_NS6detail17trampoline_kernelINS0_14default_configENS1_25partition_config_selectorILNS1_17partition_subalgoE9EllbEEZZNS1_14partition_implILS5_9ELb0ES3_jPlS8_PNS0_10empty_typeENS0_5tupleIJS8_S9_EEENSB_IJS8_SA_EEENS0_18inequality_wrapperIZN2at6native12_GLOBAL__N_124unique_dim_cuda_templateIsEESt5tupleIJNSF_6TensorESK_SK_EERKSK_lbbbEUlllE0_EEPmJS9_EEE10hipError_tPvRmT3_T4_T5_T6_T7_T9_mT8_P12ihipStream_tbDpT10_ENKUlT_T0_E_clISt17integral_constantIbLb1EES19_IbLb0EEEEDaS15_S16_EUlS15_E_NS1_11comp_targetILNS1_3genE5ELNS1_11target_archE942ELNS1_3gpuE9ELNS1_3repE0EEENS1_30default_config_static_selectorELNS0_4arch9wavefront6targetE1EEEvT1_: ; @_ZN7rocprim17ROCPRIM_400000_NS6detail17trampoline_kernelINS0_14default_configENS1_25partition_config_selectorILNS1_17partition_subalgoE9EllbEEZZNS1_14partition_implILS5_9ELb0ES3_jPlS8_PNS0_10empty_typeENS0_5tupleIJS8_S9_EEENSB_IJS8_SA_EEENS0_18inequality_wrapperIZN2at6native12_GLOBAL__N_124unique_dim_cuda_templateIsEESt5tupleIJNSF_6TensorESK_SK_EERKSK_lbbbEUlllE0_EEPmJS9_EEE10hipError_tPvRmT3_T4_T5_T6_T7_T9_mT8_P12ihipStream_tbDpT10_ENKUlT_T0_E_clISt17integral_constantIbLb1EES19_IbLb0EEEEDaS15_S16_EUlS15_E_NS1_11comp_targetILNS1_3genE5ELNS1_11target_archE942ELNS1_3gpuE9ELNS1_3repE0EEENS1_30default_config_static_selectorELNS0_4arch9wavefront6targetE1EEEvT1_
; %bb.0:
	s_load_dwordx8 s[20:27], s[0:1], 0x40
	s_load_dwordx4 s[4:7], s[0:1], 0x8
	s_load_dwordx2 s[10:11], s[0:1], 0x18
	s_load_dword s3, s[0:1], 0x70
	s_mul_i32 s12, s2, 0xe00
	s_waitcnt lgkmcnt(0)
	v_mov_b32_e32 v2, s24
	s_lshl_b64 s[14:15], s[6:7], 3
	s_add_u32 s18, s4, s14
	s_mul_i32 s4, s3, 0xe00
	s_addc_u32 s19, s5, s15
	s_add_i32 s8, s3, -1
	s_add_i32 s3, s4, s6
	s_sub_i32 s3, s24, s3
	s_addk_i32 s3, 0xe00
	s_add_u32 s4, s6, s4
	s_addc_u32 s5, s7, 0
	v_mov_b32_e32 v3, s25
	s_cmp_eq_u32 s2, s8
	s_load_dwordx2 s[22:23], s[22:23], 0x0
	v_cmp_ge_u64_e32 vcc, s[4:5], v[2:3]
	s_cselect_b64 s[24:25], -1, 0
	s_mov_b32 s13, 0
	s_and_b64 s[8:9], s[24:25], vcc
	s_xor_b64 s[34:35], s[8:9], -1
	s_lshl_b64 s[16:17], s[12:13], 3
	s_add_u32 s12, s18, s16
	s_mov_b64 s[4:5], -1
	s_addc_u32 s13, s19, s17
	s_and_b64 vcc, exec, s[34:35]
	s_cbranch_vccz .LBB739_2
; %bb.1:
	v_lshlrev_b32_e32 v2, 3, v0
	v_mov_b32_e32 v3, 0
	v_lshl_add_u64 v[4:5], s[12:13], 0, v[2:3]
	v_add_co_u32_e32 v8, vcc, 0x1000, v4
	global_load_dwordx2 v[6:7], v2, s[12:13]
	s_nop 0
	v_addc_co_u32_e32 v9, vcc, 0, v5, vcc
	v_add_co_u32_e32 v10, vcc, 0x2000, v4
	s_mov_b64 s[4:5], 0
	s_nop 0
	v_addc_co_u32_e32 v11, vcc, 0, v5, vcc
	v_add_co_u32_e32 v12, vcc, 0x3000, v4
	s_nop 1
	v_addc_co_u32_e32 v13, vcc, 0, v5, vcc
	v_add_co_u32_e32 v14, vcc, 0x4000, v4
	s_nop 1
	v_addc_co_u32_e32 v15, vcc, 0, v5, vcc
	global_load_dwordx2 v[16:17], v[8:9], off
	global_load_dwordx2 v[18:19], v[10:11], off
	;; [unrolled: 1-line block ×4, first 2 shown]
	v_add_co_u32_e32 v8, vcc, 0x5000, v4
	s_nop 1
	v_addc_co_u32_e32 v9, vcc, 0, v5, vcc
	v_add_co_u32_e32 v4, vcc, 0x6000, v4
	global_load_dwordx2 v[8:9], v[8:9], off
	s_nop 0
	v_addc_co_u32_e32 v5, vcc, 0, v5, vcc
	global_load_dwordx2 v[4:5], v[4:5], off
	s_waitcnt vmcnt(5)
	ds_write2st64_b64 v2, v[6:7], v[16:17] offset1:8
	s_waitcnt vmcnt(3)
	ds_write2st64_b64 v2, v[18:19], v[20:21] offset0:16 offset1:24
	s_waitcnt vmcnt(1)
	ds_write2st64_b64 v2, v[22:23], v[8:9] offset0:32 offset1:40
	s_waitcnt vmcnt(0)
	ds_write_b64 v2, v[4:5] offset:24576
	s_waitcnt lgkmcnt(0)
	s_barrier
.LBB739_2:
	s_load_dwordx4 s[28:31], s[0:1], 0x60
	s_andn2_b64 vcc, exec, s[4:5]
	v_cmp_gt_u32_e64 s[4:5], s3, v0
	s_cbranch_vccnz .LBB739_18
; %bb.3:
                                        ; implicit-def: $vgpr2_vgpr3_vgpr4_vgpr5_vgpr6_vgpr7_vgpr8_vgpr9_vgpr10_vgpr11_vgpr12_vgpr13_vgpr14_vgpr15_vgpr16_vgpr17
	s_and_saveexec_b64 s[18:19], s[4:5]
	s_cbranch_execz .LBB739_5
; %bb.4:
	v_lshlrev_b32_e32 v1, 3, v0
	global_load_dwordx2 v[2:3], v1, s[12:13]
.LBB739_5:
	s_or_b64 exec, exec, s[18:19]
	v_or_b32_e32 v1, 0x200, v0
	v_cmp_gt_u32_e32 vcc, s3, v1
	s_and_saveexec_b64 s[4:5], vcc
	s_cbranch_execz .LBB739_7
; %bb.6:
	v_lshlrev_b32_e32 v1, 3, v1
	global_load_dwordx2 v[4:5], v1, s[12:13]
.LBB739_7:
	s_or_b64 exec, exec, s[4:5]
	v_or_b32_e32 v1, 0x400, v0
	v_cmp_gt_u32_e32 vcc, s3, v1
	s_and_saveexec_b64 s[4:5], vcc
	;; [unrolled: 9-line block ×6, first 2 shown]
	s_cbranch_execz .LBB739_17
; %bb.16:
	v_lshlrev_b32_e32 v1, 3, v1
	global_load_dwordx2 v[14:15], v1, s[12:13]
.LBB739_17:
	s_or_b64 exec, exec, s[4:5]
	v_lshlrev_b32_e32 v1, 3, v0
	s_waitcnt vmcnt(0)
	ds_write2st64_b64 v1, v[2:3], v[4:5] offset1:8
	ds_write2st64_b64 v1, v[6:7], v[8:9] offset0:16 offset1:24
	ds_write2st64_b64 v1, v[10:11], v[12:13] offset0:32 offset1:40
	ds_write_b64 v1, v[14:15] offset:24576
	s_waitcnt lgkmcnt(0)
	s_barrier
.LBB739_18:
	v_mul_u32_u24_e32 v1, 7, v0
	v_lshlrev_b32_e32 v44, 3, v1
	s_waitcnt lgkmcnt(0)
	ds_read2_b64 v[22:25], v44 offset1:1
	ds_read2_b64 v[18:21], v44 offset0:2 offset1:3
	ds_read2_b64 v[14:17], v44 offset0:4 offset1:5
	ds_read_b64 v[28:29], v44 offset:48
	s_add_u32 s4, s10, s14
	s_addc_u32 s5, s11, s15
	s_add_u32 s4, s4, s16
	s_addc_u32 s5, s5, s17
	s_mov_b64 s[10:11], -1
	s_and_b64 vcc, exec, s[34:35]
	s_waitcnt lgkmcnt(0)
	s_barrier
	s_cbranch_vccz .LBB739_20
; %bb.19:
	v_lshlrev_b32_e32 v2, 3, v0
	v_mov_b32_e32 v3, 0
	v_lshl_add_u64 v[4:5], s[4:5], 0, v[2:3]
	v_add_co_u32_e32 v8, vcc, 0x1000, v4
	global_load_dwordx2 v[6:7], v2, s[4:5]
	s_nop 0
	v_addc_co_u32_e32 v9, vcc, 0, v5, vcc
	v_add_co_u32_e32 v10, vcc, 0x2000, v4
	s_mov_b64 s[10:11], 0
	s_nop 0
	v_addc_co_u32_e32 v11, vcc, 0, v5, vcc
	v_add_co_u32_e32 v12, vcc, 0x3000, v4
	s_nop 1
	v_addc_co_u32_e32 v13, vcc, 0, v5, vcc
	v_add_co_u32_e32 v26, vcc, 0x4000, v4
	s_nop 1
	v_addc_co_u32_e32 v27, vcc, 0, v5, vcc
	global_load_dwordx2 v[30:31], v[8:9], off
	global_load_dwordx2 v[32:33], v[10:11], off
	global_load_dwordx2 v[34:35], v[12:13], off
	global_load_dwordx2 v[36:37], v[26:27], off
	v_add_co_u32_e32 v8, vcc, 0x5000, v4
	s_nop 1
	v_addc_co_u32_e32 v9, vcc, 0, v5, vcc
	v_add_co_u32_e32 v4, vcc, 0x6000, v4
	global_load_dwordx2 v[8:9], v[8:9], off
	s_nop 0
	v_addc_co_u32_e32 v5, vcc, 0, v5, vcc
	global_load_dwordx2 v[4:5], v[4:5], off
	s_waitcnt vmcnt(5)
	ds_write2st64_b64 v2, v[6:7], v[30:31] offset1:8
	s_waitcnt vmcnt(3)
	ds_write2st64_b64 v2, v[32:33], v[34:35] offset0:16 offset1:24
	s_waitcnt vmcnt(1)
	ds_write2st64_b64 v2, v[36:37], v[8:9] offset0:32 offset1:40
	s_waitcnt vmcnt(0)
	ds_write_b64 v2, v[4:5] offset:24576
	s_waitcnt lgkmcnt(0)
	s_barrier
.LBB739_20:
	s_andn2_b64 vcc, exec, s[10:11]
	s_cbranch_vccnz .LBB739_36
; %bb.21:
	v_cmp_gt_u32_e32 vcc, s3, v0
                                        ; implicit-def: $vgpr2_vgpr3
	s_and_saveexec_b64 s[10:11], vcc
	s_cbranch_execz .LBB739_23
; %bb.22:
	v_lshlrev_b32_e32 v2, 3, v0
	global_load_dwordx2 v[2:3], v2, s[4:5]
.LBB739_23:
	s_or_b64 exec, exec, s[10:11]
	v_or_b32_e32 v6, 0x200, v0
	v_cmp_gt_u32_e32 vcc, s3, v6
                                        ; implicit-def: $vgpr4_vgpr5
	s_and_saveexec_b64 s[10:11], vcc
	s_cbranch_execz .LBB739_25
; %bb.24:
	v_lshlrev_b32_e32 v4, 3, v6
	global_load_dwordx2 v[4:5], v4, s[4:5]
.LBB739_25:
	s_or_b64 exec, exec, s[10:11]
	v_or_b32_e32 v8, 0x400, v0
	v_cmp_gt_u32_e32 vcc, s3, v8
                                        ; implicit-def: $vgpr6_vgpr7
	s_and_saveexec_b64 s[10:11], vcc
	s_cbranch_execz .LBB739_27
; %bb.26:
	v_lshlrev_b32_e32 v6, 3, v8
	global_load_dwordx2 v[6:7], v6, s[4:5]
.LBB739_27:
	s_or_b64 exec, exec, s[10:11]
	v_or_b32_e32 v10, 0x600, v0
	v_cmp_gt_u32_e32 vcc, s3, v10
                                        ; implicit-def: $vgpr8_vgpr9
	s_and_saveexec_b64 s[10:11], vcc
	s_cbranch_execz .LBB739_29
; %bb.28:
	v_lshlrev_b32_e32 v8, 3, v10
	global_load_dwordx2 v[8:9], v8, s[4:5]
.LBB739_29:
	s_or_b64 exec, exec, s[10:11]
	v_or_b32_e32 v12, 0x800, v0
	v_cmp_gt_u32_e32 vcc, s3, v12
                                        ; implicit-def: $vgpr10_vgpr11
	s_and_saveexec_b64 s[10:11], vcc
	s_cbranch_execz .LBB739_31
; %bb.30:
	v_lshlrev_b32_e32 v10, 3, v12
	global_load_dwordx2 v[10:11], v10, s[4:5]
.LBB739_31:
	s_or_b64 exec, exec, s[10:11]
	v_or_b32_e32 v26, 0xa00, v0
	v_cmp_gt_u32_e32 vcc, s3, v26
                                        ; implicit-def: $vgpr12_vgpr13
	s_and_saveexec_b64 s[10:11], vcc
	s_cbranch_execz .LBB739_33
; %bb.32:
	v_lshlrev_b32_e32 v12, 3, v26
	global_load_dwordx2 v[12:13], v12, s[4:5]
.LBB739_33:
	s_or_b64 exec, exec, s[10:11]
	v_or_b32_e32 v30, 0xc00, v0
	v_cmp_gt_u32_e32 vcc, s3, v30
                                        ; implicit-def: $vgpr26_vgpr27
	s_and_saveexec_b64 s[10:11], vcc
	s_cbranch_execz .LBB739_35
; %bb.34:
	v_lshlrev_b32_e32 v26, 3, v30
	global_load_dwordx2 v[26:27], v26, s[4:5]
.LBB739_35:
	s_or_b64 exec, exec, s[10:11]
	s_movk_i32 s4, 0xffd0
	v_mad_i32_i24 v30, v0, s4, v44
	s_waitcnt vmcnt(0)
	ds_write2st64_b64 v30, v[2:3], v[4:5] offset1:8
	ds_write2st64_b64 v30, v[6:7], v[8:9] offset0:16 offset1:24
	ds_write2st64_b64 v30, v[10:11], v[12:13] offset0:32 offset1:40
	ds_write_b64 v30, v[26:27] offset:24576
	s_waitcnt lgkmcnt(0)
	s_barrier
.LBB739_36:
	ds_read2_b64 v[10:13], v44 offset1:1
	ds_read2_b64 v[6:9], v44 offset0:2 offset1:3
	ds_read2_b64 v[2:5], v44 offset0:4 offset1:5
	ds_read_b64 v[26:27], v44 offset:48
	s_cmp_lg_u32 s2, 0
	s_cselect_b64 s[16:17], -1, 0
	s_cmp_lg_u64 s[6:7], 0
	s_cselect_b64 s[4:5], -1, 0
	s_or_b64 s[4:5], s[16:17], s[4:5]
	v_add_u32_e32 v41, 1, v1
	v_add_u32_e32 v38, 2, v1
	;; [unrolled: 1-line block ×6, first 2 shown]
	s_mov_b64 s[10:11], 0
	s_and_b64 vcc, exec, s[4:5]
	v_cmp_gt_i64_e64 s[4:5], s[26:27], 0
	s_waitcnt lgkmcnt(0)
	s_barrier
	s_cbranch_vccz .LBB739_45
; %bb.37:
	s_add_u32 s6, s12, -8
	s_addc_u32 s7, s13, -1
	s_load_dwordx2 s[6:7], s[6:7], 0x0
	v_cndmask_b32_e64 v30, 0, 1, s[4:5]
	v_lshlrev_b32_e32 v45, 3, v0
	s_and_b64 vcc, exec, s[34:35]
	v_cmp_ne_u32_e64 s[4:5], 1, v30
	ds_write_b64 v45, v[28:29]
	s_cbranch_vccz .LBB739_47
; %bb.38:
	v_mul_lo_u32 v32, v17, s26
	v_mul_lo_u32 v33, v16, s27
	v_mad_u64_u32 v[30:31], s[12:13], v16, s26, 0
	v_add3_u32 v31, v31, v33, v32
	s_and_b64 vcc, exec, s[4:5]
	v_lshl_add_u64 v[30:31], v[30:31], 1, s[28:29]
	s_cbranch_vccnz .LBB739_50
; %bb.39:
	v_mul_lo_u32 v34, v29, s26
	v_mul_lo_u32 v35, v28, s27
	v_mad_u64_u32 v[32:33], s[10:11], v28, s26, 0
	v_add3_u32 v33, v33, v35, v34
	v_lshl_add_u64 v[32:33], v[32:33], 1, s[28:29]
	global_load_ushort v34, v[30:31], off
	global_load_ushort v35, v[32:33], off
	s_mov_b64 s[10:11], -1
	s_waitcnt vmcnt(0)
	v_cmp_eq_u16_e32 vcc, v34, v35
	s_and_saveexec_b64 s[12:13], vcc
	s_cbranch_execz .LBB739_49
; %bb.40:
	s_add_u32 s10, s26, -1
	v_lshl_add_u64 v[32:33], v[32:33], 0, 2
	v_lshl_add_u64 v[34:35], v[30:31], 0, 2
	s_addc_u32 s11, s27, -1
	s_mov_b64 s[14:15], 0
	s_mov_b64 s[36:37], 0
                                        ; implicit-def: $sgpr18_sgpr19
	s_branch .LBB739_43
.LBB739_41:                             ;   in Loop: Header=BB739_43 Depth=1
	global_load_ushort v36, v[34:35], off
	global_load_ushort v37, v[32:33], off
	s_add_u32 s36, s36, 1
	s_addc_u32 s37, s37, 0
	s_andn2_b64 s[18:19], s[18:19], exec
	v_lshl_add_u64 v[32:33], v[32:33], 0, 2
	v_lshl_add_u64 v[34:35], v[34:35], 0, 2
	s_waitcnt vmcnt(0)
	v_cmp_ne_u16_e32 vcc, v36, v37
	s_and_b64 s[38:39], vcc, exec
	s_or_b64 s[18:19], s[18:19], s[38:39]
.LBB739_42:                             ;   in Loop: Header=BB739_43 Depth=1
	s_and_b64 s[38:39], exec, s[18:19]
	s_or_b64 s[14:15], s[38:39], s[14:15]
	v_mov_b64_e32 v[36:37], s[36:37]
	s_andn2_b64 exec, exec, s[14:15]
	s_cbranch_execz .LBB739_48
.LBB739_43:                             ; =>This Inner Loop Header: Depth=1
	s_or_b64 s[18:19], s[18:19], exec
	s_cmp_eq_u64 s[10:11], s[36:37]
	s_cbranch_scc0 .LBB739_41
; %bb.44:                               ;   in Loop: Header=BB739_43 Depth=1
                                        ; implicit-def: $vgpr32_vgpr33
                                        ; implicit-def: $vgpr34_vgpr35
	s_mov_b64 s[36:37], s[26:27]
	s_branch .LBB739_42
.LBB739_45:
                                        ; implicit-def: $sgpr18_sgpr19
                                        ; implicit-def: $vgpr48
                                        ; implicit-def: $vgpr47
                                        ; implicit-def: $vgpr46
                                        ; implicit-def: $vgpr34
	s_branch .LBB739_188
.LBB739_46:
                                        ; implicit-def: $vgpr30_vgpr31
	s_branch .LBB739_336
.LBB739_47:
                                        ; implicit-def: $sgpr18_sgpr19
                                        ; implicit-def: $vgpr48
                                        ; implicit-def: $vgpr47
                                        ; implicit-def: $vgpr46
                                        ; implicit-def: $vgpr34
	s_cbranch_execnz .LBB739_107
	s_branch .LBB739_187
.LBB739_48:
	s_or_b64 exec, exec, s[14:15]
	v_cmp_gt_i64_e32 vcc, s[26:27], v[36:37]
	s_orn2_b64 s[10:11], vcc, exec
.LBB739_49:
	s_or_b64 exec, exec, s[12:13]
.LBB739_50:
	v_mul_lo_u32 v34, v15, s26
	v_mul_lo_u32 v35, v14, s27
	v_mad_u64_u32 v[32:33], s[12:13], v14, s26, 0
	v_add3_u32 v33, v33, v35, v34
	s_mov_b64 s[12:13], 0
	s_and_b64 vcc, exec, s[4:5]
	v_lshl_add_u64 v[32:33], v[32:33], 1, s[28:29]
	s_mov_b64 s[14:15], 0
	s_cbranch_vccnz .LBB739_59
; %bb.51:
	global_load_ushort v34, v[32:33], off
	global_load_ushort v35, v[30:31], off
	s_mov_b64 s[14:15], -1
	s_waitcnt vmcnt(0)
	v_cmp_eq_u16_e32 vcc, v34, v35
	s_and_saveexec_b64 s[18:19], vcc
	s_cbranch_execz .LBB739_58
; %bb.52:
	s_add_u32 s14, s26, -1
	v_lshl_add_u64 v[30:31], v[30:31], 0, 2
	v_lshl_add_u64 v[34:35], v[32:33], 0, 2
	s_addc_u32 s15, s27, -1
	s_mov_b64 s[36:37], 0
	s_mov_b64 s[40:41], 0
                                        ; implicit-def: $sgpr38_sgpr39
	s_branch .LBB739_55
.LBB739_53:                             ;   in Loop: Header=BB739_55 Depth=1
	global_load_ushort v36, v[34:35], off
	global_load_ushort v37, v[30:31], off
	s_add_u32 s40, s40, 1
	s_addc_u32 s41, s41, 0
	s_andn2_b64 s[38:39], s[38:39], exec
	v_lshl_add_u64 v[30:31], v[30:31], 0, 2
	v_lshl_add_u64 v[34:35], v[34:35], 0, 2
	s_waitcnt vmcnt(0)
	v_cmp_ne_u16_e32 vcc, v36, v37
	s_and_b64 s[42:43], vcc, exec
	s_or_b64 s[38:39], s[38:39], s[42:43]
.LBB739_54:                             ;   in Loop: Header=BB739_55 Depth=1
	s_and_b64 s[42:43], exec, s[38:39]
	s_or_b64 s[36:37], s[42:43], s[36:37]
	v_mov_b64_e32 v[36:37], s[40:41]
	s_andn2_b64 exec, exec, s[36:37]
	s_cbranch_execz .LBB739_57
.LBB739_55:                             ; =>This Inner Loop Header: Depth=1
	s_or_b64 s[38:39], s[38:39], exec
	s_cmp_eq_u64 s[14:15], s[40:41]
	s_cbranch_scc0 .LBB739_53
; %bb.56:                               ;   in Loop: Header=BB739_55 Depth=1
                                        ; implicit-def: $vgpr30_vgpr31
                                        ; implicit-def: $vgpr34_vgpr35
	s_mov_b64 s[40:41], s[26:27]
	s_branch .LBB739_54
.LBB739_57:
	s_or_b64 exec, exec, s[36:37]
	v_cmp_gt_i64_e32 vcc, s[26:27], v[36:37]
	s_orn2_b64 s[14:15], vcc, exec
.LBB739_58:
	s_or_b64 exec, exec, s[18:19]
.LBB739_59:
	v_mul_lo_u32 v34, v21, s26
	v_mul_lo_u32 v35, v20, s27
	v_mad_u64_u32 v[30:31], s[18:19], v20, s26, 0
	v_add3_u32 v31, v31, v35, v34
	s_and_b64 vcc, exec, s[4:5]
	v_lshl_add_u64 v[30:31], v[30:31], 1, s[28:29]
	s_cbranch_vccnz .LBB739_68
; %bb.60:
	global_load_ushort v34, v[30:31], off
	global_load_ushort v35, v[32:33], off
	s_mov_b64 s[12:13], -1
	s_waitcnt vmcnt(0)
	v_cmp_eq_u16_e32 vcc, v34, v35
	s_and_saveexec_b64 s[18:19], vcc
	s_cbranch_execz .LBB739_67
; %bb.61:
	s_add_u32 s12, s26, -1
	v_lshl_add_u64 v[32:33], v[32:33], 0, 2
	v_lshl_add_u64 v[34:35], v[30:31], 0, 2
	s_addc_u32 s13, s27, -1
	s_mov_b64 s[36:37], 0
	s_mov_b64 s[40:41], 0
                                        ; implicit-def: $sgpr38_sgpr39
	s_branch .LBB739_64
.LBB739_62:                             ;   in Loop: Header=BB739_64 Depth=1
	global_load_ushort v36, v[34:35], off
	global_load_ushort v37, v[32:33], off
	s_add_u32 s40, s40, 1
	s_addc_u32 s41, s41, 0
	s_andn2_b64 s[38:39], s[38:39], exec
	v_lshl_add_u64 v[32:33], v[32:33], 0, 2
	v_lshl_add_u64 v[34:35], v[34:35], 0, 2
	s_waitcnt vmcnt(0)
	v_cmp_ne_u16_e32 vcc, v36, v37
	s_and_b64 s[42:43], vcc, exec
	s_or_b64 s[38:39], s[38:39], s[42:43]
.LBB739_63:                             ;   in Loop: Header=BB739_64 Depth=1
	s_and_b64 s[42:43], exec, s[38:39]
	s_or_b64 s[36:37], s[42:43], s[36:37]
	v_mov_b64_e32 v[36:37], s[40:41]
	s_andn2_b64 exec, exec, s[36:37]
	s_cbranch_execz .LBB739_66
.LBB739_64:                             ; =>This Inner Loop Header: Depth=1
	s_or_b64 s[38:39], s[38:39], exec
	s_cmp_eq_u64 s[12:13], s[40:41]
	s_cbranch_scc0 .LBB739_62
; %bb.65:                               ;   in Loop: Header=BB739_64 Depth=1
                                        ; implicit-def: $vgpr32_vgpr33
                                        ; implicit-def: $vgpr34_vgpr35
	s_mov_b64 s[40:41], s[26:27]
	s_branch .LBB739_63
.LBB739_66:
	s_or_b64 exec, exec, s[36:37]
	v_cmp_gt_i64_e32 vcc, s[26:27], v[36:37]
	s_orn2_b64 s[12:13], vcc, exec
.LBB739_67:
	s_or_b64 exec, exec, s[18:19]
.LBB739_68:
	v_mul_lo_u32 v34, v19, s26
	v_mul_lo_u32 v35, v18, s27
	v_mad_u64_u32 v[32:33], s[18:19], v18, s26, 0
	v_add3_u32 v33, v33, v35, v34
	s_mov_b64 s[18:19], 0
	s_and_b64 vcc, exec, s[4:5]
	v_lshl_add_u64 v[34:35], v[32:33], 1, s[28:29]
	s_mov_b64 s[36:37], 0
	s_cbranch_vccnz .LBB739_77
; %bb.69:
	global_load_ushort v32, v[34:35], off
	global_load_ushort v33, v[30:31], off
	s_mov_b64 s[36:37], -1
	s_waitcnt vmcnt(0)
	v_cmp_eq_u16_e32 vcc, v32, v33
	s_and_saveexec_b64 s[38:39], vcc
	s_cbranch_execz .LBB739_76
; %bb.70:
	s_add_u32 s36, s26, -1
	v_lshl_add_u64 v[30:31], v[30:31], 0, 2
	v_lshl_add_u64 v[32:33], v[34:35], 0, 2
	s_addc_u32 s37, s27, -1
	s_mov_b64 s[40:41], 0
	s_mov_b64 s[44:45], 0
                                        ; implicit-def: $sgpr42_sgpr43
	s_branch .LBB739_73
.LBB739_71:                             ;   in Loop: Header=BB739_73 Depth=1
	global_load_ushort v36, v[32:33], off
	global_load_ushort v37, v[30:31], off
	s_add_u32 s44, s44, 1
	s_addc_u32 s45, s45, 0
	s_andn2_b64 s[42:43], s[42:43], exec
	v_lshl_add_u64 v[30:31], v[30:31], 0, 2
	v_lshl_add_u64 v[32:33], v[32:33], 0, 2
	s_waitcnt vmcnt(0)
	v_cmp_ne_u16_e32 vcc, v36, v37
	s_and_b64 s[46:47], vcc, exec
	s_or_b64 s[42:43], s[42:43], s[46:47]
.LBB739_72:                             ;   in Loop: Header=BB739_73 Depth=1
	s_and_b64 s[46:47], exec, s[42:43]
	s_or_b64 s[40:41], s[46:47], s[40:41]
	v_mov_b64_e32 v[36:37], s[44:45]
	s_andn2_b64 exec, exec, s[40:41]
	s_cbranch_execz .LBB739_75
.LBB739_73:                             ; =>This Inner Loop Header: Depth=1
	s_or_b64 s[42:43], s[42:43], exec
	s_cmp_eq_u64 s[36:37], s[44:45]
	s_cbranch_scc0 .LBB739_71
; %bb.74:                               ;   in Loop: Header=BB739_73 Depth=1
                                        ; implicit-def: $vgpr30_vgpr31
                                        ; implicit-def: $vgpr32_vgpr33
	s_mov_b64 s[44:45], s[26:27]
	s_branch .LBB739_72
.LBB739_75:
	s_or_b64 exec, exec, s[40:41]
	v_cmp_gt_i64_e32 vcc, s[26:27], v[36:37]
	s_orn2_b64 s[36:37], vcc, exec
.LBB739_76:
	s_or_b64 exec, exec, s[38:39]
.LBB739_77:
	v_mul_lo_u32 v32, v25, s26
	v_mul_lo_u32 v33, v24, s27
	v_mad_u64_u32 v[30:31], s[38:39], v24, s26, 0
	v_add3_u32 v31, v31, v33, v32
	s_and_b64 vcc, exec, s[4:5]
	v_lshl_add_u64 v[32:33], v[30:31], 1, s[28:29]
	s_cbranch_vccnz .LBB739_86
; %bb.78:
	global_load_ushort v30, v[32:33], off
	global_load_ushort v31, v[34:35], off
	s_mov_b64 s[18:19], -1
	s_waitcnt vmcnt(0)
	v_cmp_eq_u16_e32 vcc, v30, v31
	s_and_saveexec_b64 s[38:39], vcc
	s_cbranch_execz .LBB739_85
; %bb.79:
	s_add_u32 s18, s26, -1
	v_lshl_add_u64 v[30:31], v[34:35], 0, 2
	v_lshl_add_u64 v[34:35], v[32:33], 0, 2
	s_addc_u32 s19, s27, -1
	s_mov_b64 s[40:41], 0
	s_mov_b64 s[44:45], 0
                                        ; implicit-def: $sgpr42_sgpr43
	s_branch .LBB739_82
.LBB739_80:                             ;   in Loop: Header=BB739_82 Depth=1
	global_load_ushort v36, v[34:35], off
	global_load_ushort v37, v[30:31], off
	s_add_u32 s44, s44, 1
	s_addc_u32 s45, s45, 0
	s_andn2_b64 s[42:43], s[42:43], exec
	v_lshl_add_u64 v[30:31], v[30:31], 0, 2
	v_lshl_add_u64 v[34:35], v[34:35], 0, 2
	s_waitcnt vmcnt(0)
	v_cmp_ne_u16_e32 vcc, v36, v37
	s_and_b64 s[46:47], vcc, exec
	s_or_b64 s[42:43], s[42:43], s[46:47]
.LBB739_81:                             ;   in Loop: Header=BB739_82 Depth=1
	s_and_b64 s[46:47], exec, s[42:43]
	s_or_b64 s[40:41], s[46:47], s[40:41]
	v_mov_b64_e32 v[36:37], s[44:45]
	s_andn2_b64 exec, exec, s[40:41]
	s_cbranch_execz .LBB739_84
.LBB739_82:                             ; =>This Inner Loop Header: Depth=1
	s_or_b64 s[42:43], s[42:43], exec
	s_cmp_eq_u64 s[18:19], s[44:45]
	s_cbranch_scc0 .LBB739_80
; %bb.83:                               ;   in Loop: Header=BB739_82 Depth=1
                                        ; implicit-def: $vgpr30_vgpr31
                                        ; implicit-def: $vgpr34_vgpr35
	s_mov_b64 s[44:45], s[26:27]
	s_branch .LBB739_81
.LBB739_84:
	s_or_b64 exec, exec, s[40:41]
	v_cmp_gt_i64_e32 vcc, s[26:27], v[36:37]
	s_orn2_b64 s[18:19], vcc, exec
.LBB739_85:
	s_or_b64 exec, exec, s[38:39]
.LBB739_86:
	v_mul_lo_u32 v34, v23, s26
	v_mul_lo_u32 v35, v22, s27
	v_mad_u64_u32 v[30:31], s[38:39], v22, s26, 0
	v_add3_u32 v31, v31, v35, v34
	s_mov_b64 s[40:41], 0
	s_and_b64 vcc, exec, s[4:5]
	v_lshl_add_u64 v[30:31], v[30:31], 1, s[28:29]
	s_cbranch_vccnz .LBB739_95
; %bb.87:
	global_load_ushort v34, v[30:31], off
	global_load_ushort v35, v[32:33], off
	s_mov_b64 s[40:41], -1
	s_waitcnt vmcnt(0)
	v_cmp_eq_u16_e32 vcc, v34, v35
	s_and_saveexec_b64 s[38:39], vcc
	s_cbranch_execz .LBB739_94
; %bb.88:
	s_add_u32 s40, s26, -1
	v_lshl_add_u64 v[32:33], v[32:33], 0, 2
	v_lshl_add_u64 v[34:35], v[30:31], 0, 2
	s_addc_u32 s41, s27, -1
	s_mov_b64 s[42:43], 0
	s_mov_b64 s[46:47], 0
                                        ; implicit-def: $sgpr44_sgpr45
	s_branch .LBB739_91
.LBB739_89:                             ;   in Loop: Header=BB739_91 Depth=1
	global_load_ushort v36, v[34:35], off
	global_load_ushort v37, v[32:33], off
	s_add_u32 s46, s46, 1
	s_addc_u32 s47, s47, 0
	s_andn2_b64 s[44:45], s[44:45], exec
	v_lshl_add_u64 v[32:33], v[32:33], 0, 2
	v_lshl_add_u64 v[34:35], v[34:35], 0, 2
	s_waitcnt vmcnt(0)
	v_cmp_ne_u16_e32 vcc, v36, v37
	s_and_b64 s[48:49], vcc, exec
	s_or_b64 s[44:45], s[44:45], s[48:49]
.LBB739_90:                             ;   in Loop: Header=BB739_91 Depth=1
	s_and_b64 s[48:49], exec, s[44:45]
	s_or_b64 s[42:43], s[48:49], s[42:43]
	v_mov_b64_e32 v[36:37], s[46:47]
	s_andn2_b64 exec, exec, s[42:43]
	s_cbranch_execz .LBB739_93
.LBB739_91:                             ; =>This Inner Loop Header: Depth=1
	s_or_b64 s[44:45], s[44:45], exec
	s_cmp_eq_u64 s[40:41], s[46:47]
	s_cbranch_scc0 .LBB739_89
; %bb.92:                               ;   in Loop: Header=BB739_91 Depth=1
                                        ; implicit-def: $vgpr32_vgpr33
                                        ; implicit-def: $vgpr34_vgpr35
	s_mov_b64 s[46:47], s[26:27]
	s_branch .LBB739_90
.LBB739_93:
	s_or_b64 exec, exec, s[42:43]
	v_cmp_gt_i64_e32 vcc, s[26:27], v[36:37]
	s_orn2_b64 s[40:41], vcc, exec
.LBB739_94:
	s_or_b64 exec, exec, s[38:39]
.LBB739_95:
	v_cmp_ne_u32_e32 vcc, 0, v0
	s_waitcnt lgkmcnt(0)
	v_mov_b64_e32 v[32:33], s[6:7]
	s_barrier
	s_and_saveexec_b64 s[38:39], vcc
	s_cbranch_execz .LBB739_97
; %bb.96:
	v_add_u32_e32 v32, -8, v45
	ds_read_b64 v[32:33], v32
.LBB739_97:
	s_or_b64 exec, exec, s[38:39]
	v_cndmask_b32_e64 v35, 0, 1, s[36:37]
	v_cndmask_b32_e64 v34, 0, 1, s[18:19]
	;; [unrolled: 1-line block ×3, first 2 shown]
	v_lshlrev_b16_e32 v35, 8, v35
	v_lshlrev_b16_e32 v36, 8, v36
	v_or_b32_sdwa v37, v34, v35 dst_sel:WORD_1 dst_unused:UNUSED_PAD src0_sel:DWORD src1_sel:DWORD
	s_mov_b64 s[36:37], 0
	s_and_b64 vcc, exec, s[4:5]
	s_mov_b64 s[18:19], 0
	s_cbranch_vccnz .LBB739_106
; %bb.98:
	s_waitcnt lgkmcnt(0)
	v_mul_lo_u32 v34, v33, s26
	v_mul_lo_u32 v35, v32, s27
	v_mad_u64_u32 v[32:33], s[18:19], v32, s26, 0
	v_add3_u32 v33, v33, v35, v34
	v_lshl_add_u64 v[32:33], v[32:33], 1, s[28:29]
	global_load_ushort v34, v[32:33], off
	global_load_ushort v35, v[30:31], off
	s_mov_b64 s[18:19], -1
	s_waitcnt vmcnt(0)
	v_cmp_eq_u16_e32 vcc, v34, v35
	s_and_saveexec_b64 s[38:39], vcc
	s_cbranch_execz .LBB739_105
; %bb.99:
	s_add_u32 s18, s26, -1
	v_lshl_add_u64 v[30:31], v[30:31], 0, 2
	v_lshl_add_u64 v[32:33], v[32:33], 0, 2
	s_addc_u32 s19, s27, -1
	s_mov_b64 s[40:41], 0
	s_mov_b64 s[44:45], 0
                                        ; implicit-def: $sgpr42_sgpr43
	s_branch .LBB739_102
.LBB739_100:                            ;   in Loop: Header=BB739_102 Depth=1
	global_load_ushort v34, v[32:33], off
	global_load_ushort v35, v[30:31], off
	s_add_u32 s44, s44, 1
	s_addc_u32 s45, s45, 0
	s_andn2_b64 s[42:43], s[42:43], exec
	v_lshl_add_u64 v[30:31], v[30:31], 0, 2
	v_lshl_add_u64 v[32:33], v[32:33], 0, 2
	s_waitcnt vmcnt(0)
	v_cmp_ne_u16_e32 vcc, v34, v35
	s_and_b64 s[46:47], vcc, exec
	s_or_b64 s[42:43], s[42:43], s[46:47]
.LBB739_101:                            ;   in Loop: Header=BB739_102 Depth=1
	s_and_b64 s[46:47], exec, s[42:43]
	s_or_b64 s[40:41], s[46:47], s[40:41]
	v_mov_b64_e32 v[34:35], s[44:45]
	s_andn2_b64 exec, exec, s[40:41]
	s_cbranch_execz .LBB739_104
.LBB739_102:                            ; =>This Inner Loop Header: Depth=1
	s_or_b64 s[42:43], s[42:43], exec
	s_cmp_eq_u64 s[18:19], s[44:45]
	s_cbranch_scc0 .LBB739_100
; %bb.103:                              ;   in Loop: Header=BB739_102 Depth=1
                                        ; implicit-def: $vgpr30_vgpr31
                                        ; implicit-def: $vgpr32_vgpr33
	s_mov_b64 s[44:45], s[26:27]
	s_branch .LBB739_101
.LBB739_104:
	s_or_b64 exec, exec, s[40:41]
	v_cmp_gt_i64_e32 vcc, s[26:27], v[34:35]
	s_orn2_b64 s[18:19], vcc, exec
.LBB739_105:
	s_or_b64 exec, exec, s[38:39]
.LBB739_106:
	v_cndmask_b32_e64 v46, 0, 1, s[12:13]
	v_cndmask_b32_e64 v47, 0, 1, s[14:15]
	;; [unrolled: 1-line block ×3, first 2 shown]
	v_or_b32_e32 v34, v36, v37
	s_and_b64 vcc, exec, s[36:37]
	s_cbranch_vccz .LBB739_187
.LBB739_107:
	v_cmp_gt_u32_e32 vcc, s3, v40
	s_mov_b64 s[12:13], 0
	s_mov_b64 s[10:11], 0
	s_and_saveexec_b64 s[14:15], vcc
	s_cbranch_execz .LBB739_118
; %bb.108:
	s_and_b64 vcc, exec, s[4:5]
	s_mov_b64 s[18:19], 0
	s_cbranch_vccnz .LBB739_117
; %bb.109:
	s_waitcnt lgkmcnt(0)
	v_mul_lo_u32 v32, v17, s26
	v_mul_lo_u32 v33, v16, s27
	v_mad_u64_u32 v[30:31], s[10:11], v16, s26, 0
	v_add3_u32 v31, v31, v33, v32
	v_mul_lo_u32 v32, v29, s26
	v_mul_lo_u32 v33, v28, s27
	v_mad_u64_u32 v[34:35], s[10:11], v28, s26, 0
	v_add3_u32 v35, v35, v33, v32
	v_lshl_add_u64 v[32:33], v[30:31], 1, s[28:29]
	v_lshl_add_u64 v[30:31], v[34:35], 1, s[28:29]
	global_load_ushort v34, v[32:33], off
	global_load_ushort v35, v[30:31], off
	s_mov_b64 s[18:19], -1
	s_waitcnt vmcnt(0)
	v_cmp_eq_u16_e32 vcc, v34, v35
	s_and_saveexec_b64 s[10:11], vcc
	s_cbranch_execz .LBB739_116
; %bb.110:
	s_add_u32 s18, s26, -1
	v_lshl_add_u64 v[30:31], v[30:31], 0, 2
	v_lshl_add_u64 v[32:33], v[32:33], 0, 2
	s_addc_u32 s19, s27, -1
	s_mov_b64 s[36:37], 0
	s_mov_b64 s[40:41], 0
                                        ; implicit-def: $sgpr38_sgpr39
	s_branch .LBB739_113
.LBB739_111:                            ;   in Loop: Header=BB739_113 Depth=1
	global_load_ushort v34, v[32:33], off
	global_load_ushort v35, v[30:31], off
	s_add_u32 s40, s40, 1
	s_addc_u32 s41, s41, 0
	s_andn2_b64 s[38:39], s[38:39], exec
	v_lshl_add_u64 v[30:31], v[30:31], 0, 2
	v_lshl_add_u64 v[32:33], v[32:33], 0, 2
	s_waitcnt vmcnt(0)
	v_cmp_ne_u16_e32 vcc, v34, v35
	s_and_b64 s[42:43], vcc, exec
	s_or_b64 s[38:39], s[38:39], s[42:43]
.LBB739_112:                            ;   in Loop: Header=BB739_113 Depth=1
	s_and_b64 s[42:43], exec, s[38:39]
	s_or_b64 s[36:37], s[42:43], s[36:37]
	v_mov_b64_e32 v[34:35], s[40:41]
	s_andn2_b64 exec, exec, s[36:37]
	s_cbranch_execz .LBB739_115
.LBB739_113:                            ; =>This Inner Loop Header: Depth=1
	s_or_b64 s[38:39], s[38:39], exec
	s_cmp_eq_u64 s[18:19], s[40:41]
	s_cbranch_scc0 .LBB739_111
; %bb.114:                              ;   in Loop: Header=BB739_113 Depth=1
                                        ; implicit-def: $vgpr30_vgpr31
                                        ; implicit-def: $vgpr32_vgpr33
	s_mov_b64 s[40:41], s[26:27]
	s_branch .LBB739_112
.LBB739_115:
	s_or_b64 exec, exec, s[36:37]
	v_cmp_gt_i64_e32 vcc, s[26:27], v[34:35]
	s_orn2_b64 s[18:19], vcc, exec
.LBB739_116:
	s_or_b64 exec, exec, s[10:11]
.LBB739_117:
	s_and_b64 s[10:11], s[18:19], exec
.LBB739_118:
	s_or_b64 exec, exec, s[14:15]
	v_cmp_gt_u32_e32 vcc, s3, v43
	s_and_saveexec_b64 s[14:15], vcc
	s_cbranch_execz .LBB739_129
; %bb.119:
	s_and_b64 vcc, exec, s[4:5]
	s_mov_b64 s[18:19], 0
	s_cbranch_vccnz .LBB739_128
; %bb.120:
	s_waitcnt lgkmcnt(0)
	v_mul_lo_u32 v32, v15, s26
	v_mul_lo_u32 v33, v14, s27
	v_mad_u64_u32 v[30:31], s[12:13], v14, s26, 0
	v_add3_u32 v31, v31, v33, v32
	v_mul_lo_u32 v32, v17, s26
	v_mul_lo_u32 v33, v16, s27
	v_mad_u64_u32 v[34:35], s[12:13], v16, s26, 0
	v_add3_u32 v35, v35, v33, v32
	v_lshl_add_u64 v[32:33], v[30:31], 1, s[28:29]
	v_lshl_add_u64 v[30:31], v[34:35], 1, s[28:29]
	global_load_ushort v34, v[32:33], off
	global_load_ushort v35, v[30:31], off
	s_mov_b64 s[18:19], -1
	s_waitcnt vmcnt(0)
	v_cmp_eq_u16_e32 vcc, v34, v35
	s_and_saveexec_b64 s[12:13], vcc
	s_cbranch_execz .LBB739_127
; %bb.121:
	s_add_u32 s18, s26, -1
	v_lshl_add_u64 v[30:31], v[30:31], 0, 2
	v_lshl_add_u64 v[32:33], v[32:33], 0, 2
	s_addc_u32 s19, s27, -1
	s_mov_b64 s[36:37], 0
	s_mov_b64 s[40:41], 0
                                        ; implicit-def: $sgpr38_sgpr39
	s_branch .LBB739_124
.LBB739_122:                            ;   in Loop: Header=BB739_124 Depth=1
	global_load_ushort v34, v[32:33], off
	global_load_ushort v35, v[30:31], off
	s_add_u32 s40, s40, 1
	s_addc_u32 s41, s41, 0
	s_andn2_b64 s[38:39], s[38:39], exec
	v_lshl_add_u64 v[30:31], v[30:31], 0, 2
	v_lshl_add_u64 v[32:33], v[32:33], 0, 2
	s_waitcnt vmcnt(0)
	v_cmp_ne_u16_e32 vcc, v34, v35
	s_and_b64 s[42:43], vcc, exec
	s_or_b64 s[38:39], s[38:39], s[42:43]
.LBB739_123:                            ;   in Loop: Header=BB739_124 Depth=1
	s_and_b64 s[42:43], exec, s[38:39]
	s_or_b64 s[36:37], s[42:43], s[36:37]
	v_mov_b64_e32 v[34:35], s[40:41]
	s_andn2_b64 exec, exec, s[36:37]
	s_cbranch_execz .LBB739_126
.LBB739_124:                            ; =>This Inner Loop Header: Depth=1
	s_or_b64 s[38:39], s[38:39], exec
	s_cmp_eq_u64 s[18:19], s[40:41]
	s_cbranch_scc0 .LBB739_122
; %bb.125:                              ;   in Loop: Header=BB739_124 Depth=1
                                        ; implicit-def: $vgpr30_vgpr31
                                        ; implicit-def: $vgpr32_vgpr33
	s_mov_b64 s[40:41], s[26:27]
	s_branch .LBB739_123
.LBB739_126:
	s_or_b64 exec, exec, s[36:37]
	v_cmp_gt_i64_e32 vcc, s[26:27], v[34:35]
	s_orn2_b64 s[18:19], vcc, exec
.LBB739_127:
	s_or_b64 exec, exec, s[12:13]
.LBB739_128:
	s_and_b64 s[12:13], s[18:19], exec
.LBB739_129:
	s_or_b64 exec, exec, s[14:15]
	v_cmp_gt_u32_e32 vcc, s3, v39
	s_mov_b64 s[18:19], 0
	s_mov_b64 s[14:15], 0
	s_and_saveexec_b64 s[36:37], vcc
	s_cbranch_execz .LBB739_140
; %bb.130:
	s_and_b64 vcc, exec, s[4:5]
	s_mov_b64 s[38:39], 0
	s_cbranch_vccnz .LBB739_139
; %bb.131:
	s_waitcnt lgkmcnt(0)
	v_mul_lo_u32 v32, v21, s26
	v_mul_lo_u32 v33, v20, s27
	v_mad_u64_u32 v[30:31], s[14:15], v20, s26, 0
	v_add3_u32 v31, v31, v33, v32
	v_mul_lo_u32 v32, v15, s26
	v_mul_lo_u32 v33, v14, s27
	v_mad_u64_u32 v[34:35], s[14:15], v14, s26, 0
	v_add3_u32 v35, v35, v33, v32
	v_lshl_add_u64 v[32:33], v[30:31], 1, s[28:29]
	v_lshl_add_u64 v[30:31], v[34:35], 1, s[28:29]
	global_load_ushort v34, v[32:33], off
	global_load_ushort v35, v[30:31], off
	s_mov_b64 s[38:39], -1
	s_waitcnt vmcnt(0)
	v_cmp_eq_u16_e32 vcc, v34, v35
	s_and_saveexec_b64 s[14:15], vcc
	s_cbranch_execz .LBB739_138
; %bb.132:
	s_add_u32 s38, s26, -1
	v_lshl_add_u64 v[30:31], v[30:31], 0, 2
	v_lshl_add_u64 v[32:33], v[32:33], 0, 2
	s_addc_u32 s39, s27, -1
	s_mov_b64 s[40:41], 0
	s_mov_b64 s[44:45], 0
                                        ; implicit-def: $sgpr42_sgpr43
	s_branch .LBB739_135
.LBB739_133:                            ;   in Loop: Header=BB739_135 Depth=1
	global_load_ushort v34, v[32:33], off
	global_load_ushort v35, v[30:31], off
	s_add_u32 s44, s44, 1
	s_addc_u32 s45, s45, 0
	s_andn2_b64 s[42:43], s[42:43], exec
	v_lshl_add_u64 v[30:31], v[30:31], 0, 2
	v_lshl_add_u64 v[32:33], v[32:33], 0, 2
	s_waitcnt vmcnt(0)
	v_cmp_ne_u16_e32 vcc, v34, v35
	s_and_b64 s[46:47], vcc, exec
	s_or_b64 s[42:43], s[42:43], s[46:47]
.LBB739_134:                            ;   in Loop: Header=BB739_135 Depth=1
	s_and_b64 s[46:47], exec, s[42:43]
	s_or_b64 s[40:41], s[46:47], s[40:41]
	v_mov_b64_e32 v[34:35], s[44:45]
	s_andn2_b64 exec, exec, s[40:41]
	s_cbranch_execz .LBB739_137
.LBB739_135:                            ; =>This Inner Loop Header: Depth=1
	s_or_b64 s[42:43], s[42:43], exec
	s_cmp_eq_u64 s[38:39], s[44:45]
	s_cbranch_scc0 .LBB739_133
; %bb.136:                              ;   in Loop: Header=BB739_135 Depth=1
                                        ; implicit-def: $vgpr30_vgpr31
                                        ; implicit-def: $vgpr32_vgpr33
	s_mov_b64 s[44:45], s[26:27]
	s_branch .LBB739_134
.LBB739_137:
	s_or_b64 exec, exec, s[40:41]
	v_cmp_gt_i64_e32 vcc, s[26:27], v[34:35]
	s_orn2_b64 s[38:39], vcc, exec
.LBB739_138:
	s_or_b64 exec, exec, s[14:15]
.LBB739_139:
	s_and_b64 s[14:15], s[38:39], exec
.LBB739_140:
	s_or_b64 exec, exec, s[36:37]
	v_cmp_gt_u32_e32 vcc, s3, v42
	s_and_saveexec_b64 s[36:37], vcc
	s_cbranch_execz .LBB739_151
; %bb.141:
	s_and_b64 vcc, exec, s[4:5]
	s_mov_b64 s[38:39], 0
	s_cbranch_vccnz .LBB739_150
; %bb.142:
	s_waitcnt lgkmcnt(0)
	v_mul_lo_u32 v32, v19, s26
	v_mul_lo_u32 v33, v18, s27
	v_mad_u64_u32 v[30:31], s[18:19], v18, s26, 0
	v_add3_u32 v31, v31, v33, v32
	v_mul_lo_u32 v32, v21, s26
	v_mul_lo_u32 v33, v20, s27
	v_mad_u64_u32 v[34:35], s[18:19], v20, s26, 0
	v_add3_u32 v35, v35, v33, v32
	v_lshl_add_u64 v[32:33], v[30:31], 1, s[28:29]
	v_lshl_add_u64 v[30:31], v[34:35], 1, s[28:29]
	global_load_ushort v34, v[32:33], off
	global_load_ushort v35, v[30:31], off
	s_mov_b64 s[38:39], -1
	s_waitcnt vmcnt(0)
	v_cmp_eq_u16_e32 vcc, v34, v35
	s_and_saveexec_b64 s[18:19], vcc
	s_cbranch_execz .LBB739_149
; %bb.143:
	s_add_u32 s38, s26, -1
	v_lshl_add_u64 v[30:31], v[30:31], 0, 2
	v_lshl_add_u64 v[32:33], v[32:33], 0, 2
	s_addc_u32 s39, s27, -1
	s_mov_b64 s[40:41], 0
	s_mov_b64 s[44:45], 0
                                        ; implicit-def: $sgpr42_sgpr43
	s_branch .LBB739_146
.LBB739_144:                            ;   in Loop: Header=BB739_146 Depth=1
	global_load_ushort v34, v[32:33], off
	global_load_ushort v35, v[30:31], off
	s_add_u32 s44, s44, 1
	s_addc_u32 s45, s45, 0
	s_andn2_b64 s[42:43], s[42:43], exec
	v_lshl_add_u64 v[30:31], v[30:31], 0, 2
	v_lshl_add_u64 v[32:33], v[32:33], 0, 2
	s_waitcnt vmcnt(0)
	v_cmp_ne_u16_e32 vcc, v34, v35
	s_and_b64 s[46:47], vcc, exec
	s_or_b64 s[42:43], s[42:43], s[46:47]
.LBB739_145:                            ;   in Loop: Header=BB739_146 Depth=1
	s_and_b64 s[46:47], exec, s[42:43]
	s_or_b64 s[40:41], s[46:47], s[40:41]
	v_mov_b64_e32 v[34:35], s[44:45]
	s_andn2_b64 exec, exec, s[40:41]
	s_cbranch_execz .LBB739_148
.LBB739_146:                            ; =>This Inner Loop Header: Depth=1
	s_or_b64 s[42:43], s[42:43], exec
	s_cmp_eq_u64 s[38:39], s[44:45]
	s_cbranch_scc0 .LBB739_144
; %bb.147:                              ;   in Loop: Header=BB739_146 Depth=1
                                        ; implicit-def: $vgpr30_vgpr31
                                        ; implicit-def: $vgpr32_vgpr33
	s_mov_b64 s[44:45], s[26:27]
	s_branch .LBB739_145
.LBB739_148:
	s_or_b64 exec, exec, s[40:41]
	v_cmp_gt_i64_e32 vcc, s[26:27], v[34:35]
	s_orn2_b64 s[38:39], vcc, exec
.LBB739_149:
	s_or_b64 exec, exec, s[18:19]
.LBB739_150:
	s_and_b64 s[18:19], s[38:39], exec
.LBB739_151:
	s_or_b64 exec, exec, s[36:37]
	v_cmp_gt_u32_e32 vcc, s3, v38
	s_mov_b64 s[36:37], 0
	s_mov_b64 s[38:39], 0
	s_and_saveexec_b64 s[40:41], vcc
	s_cbranch_execz .LBB739_162
; %bb.152:
	s_and_b64 vcc, exec, s[4:5]
	s_mov_b64 s[42:43], 0
	s_cbranch_vccnz .LBB739_161
; %bb.153:
	s_waitcnt lgkmcnt(0)
	v_mul_lo_u32 v32, v25, s26
	v_mul_lo_u32 v33, v24, s27
	v_mad_u64_u32 v[30:31], s[38:39], v24, s26, 0
	v_add3_u32 v31, v31, v33, v32
	v_mul_lo_u32 v32, v19, s26
	v_mul_lo_u32 v33, v18, s27
	v_mad_u64_u32 v[34:35], s[38:39], v18, s26, 0
	v_add3_u32 v35, v35, v33, v32
	v_lshl_add_u64 v[32:33], v[30:31], 1, s[28:29]
	v_lshl_add_u64 v[30:31], v[34:35], 1, s[28:29]
	global_load_ushort v34, v[32:33], off
	global_load_ushort v35, v[30:31], off
	s_mov_b64 s[42:43], -1
	s_waitcnt vmcnt(0)
	v_cmp_eq_u16_e32 vcc, v34, v35
	s_and_saveexec_b64 s[38:39], vcc
	s_cbranch_execz .LBB739_160
; %bb.154:
	s_add_u32 s42, s26, -1
	v_lshl_add_u64 v[30:31], v[30:31], 0, 2
	v_lshl_add_u64 v[32:33], v[32:33], 0, 2
	s_addc_u32 s43, s27, -1
	s_mov_b64 s[44:45], 0
	s_mov_b64 s[48:49], 0
                                        ; implicit-def: $sgpr46_sgpr47
	s_branch .LBB739_157
.LBB739_155:                            ;   in Loop: Header=BB739_157 Depth=1
	global_load_ushort v34, v[32:33], off
	global_load_ushort v35, v[30:31], off
	s_add_u32 s48, s48, 1
	s_addc_u32 s49, s49, 0
	s_andn2_b64 s[46:47], s[46:47], exec
	v_lshl_add_u64 v[30:31], v[30:31], 0, 2
	v_lshl_add_u64 v[32:33], v[32:33], 0, 2
	s_waitcnt vmcnt(0)
	v_cmp_ne_u16_e32 vcc, v34, v35
	s_and_b64 s[50:51], vcc, exec
	s_or_b64 s[46:47], s[46:47], s[50:51]
.LBB739_156:                            ;   in Loop: Header=BB739_157 Depth=1
	s_and_b64 s[50:51], exec, s[46:47]
	s_or_b64 s[44:45], s[50:51], s[44:45]
	v_mov_b64_e32 v[34:35], s[48:49]
	s_andn2_b64 exec, exec, s[44:45]
	s_cbranch_execz .LBB739_159
.LBB739_157:                            ; =>This Inner Loop Header: Depth=1
	s_or_b64 s[46:47], s[46:47], exec
	s_cmp_eq_u64 s[42:43], s[48:49]
	s_cbranch_scc0 .LBB739_155
; %bb.158:                              ;   in Loop: Header=BB739_157 Depth=1
                                        ; implicit-def: $vgpr30_vgpr31
                                        ; implicit-def: $vgpr32_vgpr33
	s_mov_b64 s[48:49], s[26:27]
	s_branch .LBB739_156
.LBB739_159:
	s_or_b64 exec, exec, s[44:45]
	v_cmp_gt_i64_e32 vcc, s[26:27], v[34:35]
	s_orn2_b64 s[42:43], vcc, exec
.LBB739_160:
	s_or_b64 exec, exec, s[38:39]
.LBB739_161:
	s_and_b64 s[38:39], s[42:43], exec
.LBB739_162:
	s_or_b64 exec, exec, s[40:41]
	v_cmp_gt_u32_e32 vcc, s3, v41
	s_and_saveexec_b64 s[40:41], vcc
	s_cbranch_execz .LBB739_173
; %bb.163:
	s_and_b64 vcc, exec, s[4:5]
	s_mov_b64 s[42:43], 0
	s_cbranch_vccnz .LBB739_172
; %bb.164:
	s_waitcnt lgkmcnt(0)
	v_mul_lo_u32 v32, v23, s26
	v_mul_lo_u32 v33, v22, s27
	v_mad_u64_u32 v[30:31], s[36:37], v22, s26, 0
	v_add3_u32 v31, v31, v33, v32
	v_mul_lo_u32 v32, v25, s26
	v_mul_lo_u32 v33, v24, s27
	v_mad_u64_u32 v[34:35], s[36:37], v24, s26, 0
	v_add3_u32 v35, v35, v33, v32
	v_lshl_add_u64 v[32:33], v[30:31], 1, s[28:29]
	v_lshl_add_u64 v[30:31], v[34:35], 1, s[28:29]
	global_load_ushort v34, v[32:33], off
	global_load_ushort v35, v[30:31], off
	s_mov_b64 s[42:43], -1
	s_waitcnt vmcnt(0)
	v_cmp_eq_u16_e32 vcc, v34, v35
	s_and_saveexec_b64 s[36:37], vcc
	s_cbranch_execz .LBB739_171
; %bb.165:
	s_add_u32 s42, s26, -1
	v_lshl_add_u64 v[30:31], v[30:31], 0, 2
	v_lshl_add_u64 v[32:33], v[32:33], 0, 2
	s_addc_u32 s43, s27, -1
	s_mov_b64 s[44:45], 0
	s_mov_b64 s[48:49], 0
                                        ; implicit-def: $sgpr46_sgpr47
	s_branch .LBB739_168
.LBB739_166:                            ;   in Loop: Header=BB739_168 Depth=1
	global_load_ushort v34, v[32:33], off
	global_load_ushort v35, v[30:31], off
	s_add_u32 s48, s48, 1
	s_addc_u32 s49, s49, 0
	s_andn2_b64 s[46:47], s[46:47], exec
	v_lshl_add_u64 v[30:31], v[30:31], 0, 2
	v_lshl_add_u64 v[32:33], v[32:33], 0, 2
	s_waitcnt vmcnt(0)
	v_cmp_ne_u16_e32 vcc, v34, v35
	s_and_b64 s[50:51], vcc, exec
	s_or_b64 s[46:47], s[46:47], s[50:51]
.LBB739_167:                            ;   in Loop: Header=BB739_168 Depth=1
	s_and_b64 s[50:51], exec, s[46:47]
	s_or_b64 s[44:45], s[50:51], s[44:45]
	v_mov_b64_e32 v[34:35], s[48:49]
	s_andn2_b64 exec, exec, s[44:45]
	s_cbranch_execz .LBB739_170
.LBB739_168:                            ; =>This Inner Loop Header: Depth=1
	s_or_b64 s[46:47], s[46:47], exec
	s_cmp_eq_u64 s[42:43], s[48:49]
	s_cbranch_scc0 .LBB739_166
; %bb.169:                              ;   in Loop: Header=BB739_168 Depth=1
                                        ; implicit-def: $vgpr30_vgpr31
                                        ; implicit-def: $vgpr32_vgpr33
	s_mov_b64 s[48:49], s[26:27]
	s_branch .LBB739_167
.LBB739_170:
	s_or_b64 exec, exec, s[44:45]
	v_cmp_gt_i64_e32 vcc, s[26:27], v[34:35]
	s_orn2_b64 s[42:43], vcc, exec
.LBB739_171:
	s_or_b64 exec, exec, s[36:37]
.LBB739_172:
	s_and_b64 s[36:37], s[42:43], exec
.LBB739_173:
	s_or_b64 exec, exec, s[40:41]
	v_cmp_ne_u32_e32 vcc, 0, v0
	s_waitcnt lgkmcnt(0)
	v_mov_b64_e32 v[30:31], s[6:7]
	s_barrier
	s_and_saveexec_b64 s[6:7], vcc
	s_cbranch_execz .LBB739_175
; %bb.174:
	v_add_u32_e32 v30, -8, v45
	ds_read_b64 v[30:31], v30
.LBB739_175:
	s_or_b64 exec, exec, s[6:7]
	v_cndmask_b32_e64 v33, 0, 1, s[18:19]
	v_cndmask_b32_e64 v32, 0, 1, s[38:39]
	;; [unrolled: 1-line block ×3, first 2 shown]
	v_lshlrev_b16_e32 v33, 8, v33
	v_cmp_gt_u32_e32 vcc, s3, v1
	v_lshlrev_b16_e32 v36, 8, v34
	v_or_b32_sdwa v37, v32, v33 dst_sel:WORD_1 dst_unused:UNUSED_PAD src0_sel:DWORD src1_sel:DWORD
	s_mov_b64 s[18:19], 0
	s_and_saveexec_b64 s[6:7], vcc
	s_cbranch_execz .LBB739_186
; %bb.176:
	s_and_b64 vcc, exec, s[4:5]
	s_cbranch_vccnz .LBB739_185
; %bb.177:
	s_waitcnt lgkmcnt(0)
	v_mul_lo_u32 v32, v31, s26
	v_mul_lo_u32 v33, v30, s27
	v_mad_u64_u32 v[30:31], s[4:5], v30, s26, 0
	v_add3_u32 v31, v31, v33, v32
	v_mul_lo_u32 v32, v23, s26
	v_mul_lo_u32 v33, v22, s27
	v_mad_u64_u32 v[34:35], s[4:5], v22, s26, 0
	v_add3_u32 v35, v35, v33, v32
	v_lshl_add_u64 v[32:33], v[30:31], 1, s[28:29]
	v_lshl_add_u64 v[30:31], v[34:35], 1, s[28:29]
	global_load_ushort v34, v[32:33], off
	global_load_ushort v35, v[30:31], off
	s_mov_b64 s[18:19], -1
	s_waitcnt vmcnt(0)
	v_cmp_eq_u16_e32 vcc, v34, v35
	s_and_saveexec_b64 s[4:5], vcc
	s_cbranch_execz .LBB739_184
; %bb.178:
	s_add_u32 s18, s26, -1
	v_lshl_add_u64 v[30:31], v[30:31], 0, 2
	v_lshl_add_u64 v[32:33], v[32:33], 0, 2
	s_addc_u32 s19, s27, -1
	s_mov_b64 s[36:37], 0
	s_mov_b64 s[40:41], 0
                                        ; implicit-def: $sgpr38_sgpr39
	s_branch .LBB739_181
.LBB739_179:                            ;   in Loop: Header=BB739_181 Depth=1
	global_load_ushort v34, v[32:33], off
	global_load_ushort v35, v[30:31], off
	s_add_u32 s40, s40, 1
	s_addc_u32 s41, s41, 0
	s_andn2_b64 s[38:39], s[38:39], exec
	v_lshl_add_u64 v[30:31], v[30:31], 0, 2
	v_lshl_add_u64 v[32:33], v[32:33], 0, 2
	s_waitcnt vmcnt(0)
	v_cmp_ne_u16_e32 vcc, v34, v35
	s_and_b64 s[42:43], vcc, exec
	s_or_b64 s[38:39], s[38:39], s[42:43]
.LBB739_180:                            ;   in Loop: Header=BB739_181 Depth=1
	s_and_b64 s[42:43], exec, s[38:39]
	s_or_b64 s[36:37], s[42:43], s[36:37]
	v_mov_b64_e32 v[34:35], s[40:41]
	s_andn2_b64 exec, exec, s[36:37]
	s_cbranch_execz .LBB739_183
.LBB739_181:                            ; =>This Inner Loop Header: Depth=1
	s_or_b64 s[38:39], s[38:39], exec
	s_cmp_eq_u64 s[18:19], s[40:41]
	s_cbranch_scc0 .LBB739_179
; %bb.182:                              ;   in Loop: Header=BB739_181 Depth=1
                                        ; implicit-def: $vgpr30_vgpr31
                                        ; implicit-def: $vgpr32_vgpr33
	s_mov_b64 s[40:41], s[26:27]
	s_branch .LBB739_180
.LBB739_183:
	s_or_b64 exec, exec, s[36:37]
	v_cmp_gt_i64_e32 vcc, s[26:27], v[34:35]
	s_orn2_b64 s[18:19], vcc, exec
.LBB739_184:
	s_or_b64 exec, exec, s[4:5]
.LBB739_185:
	s_and_b64 s[18:19], s[18:19], exec
.LBB739_186:
	s_or_b64 exec, exec, s[6:7]
	v_cndmask_b32_e64 v46, 0, 1, s[14:15]
	v_cndmask_b32_e64 v47, 0, 1, s[12:13]
	;; [unrolled: 1-line block ×3, first 2 shown]
	v_or_b32_e32 v34, v36, v37
.LBB739_187:
	s_mov_b64 s[10:11], -1
	s_cbranch_execnz .LBB739_46
.LBB739_188:
	s_movk_i32 s4, 0xffd0
	v_mad_i32_i24 v44, v0, s4, v44
	s_mov_b64 s[12:13], 0
	s_waitcnt lgkmcnt(0)
	v_cmp_gt_i64_e64 s[6:7], s[26:27], 0
	s_and_b64 vcc, exec, s[34:35]
	ds_write_b64 v44, v[28:29]
	s_cbranch_vccz .LBB739_196
; %bb.189:
	v_mul_lo_u32 v32, v17, s26
	v_mul_lo_u32 v33, v16, s27
	v_mad_u64_u32 v[30:31], s[4:5], v16, s26, 0
	v_add3_u32 v31, v31, v33, v32
	v_cndmask_b32_e64 v32, 0, 1, s[6:7]
	v_cmp_ne_u32_e64 s[4:5], 1, v32
	s_andn2_b64 vcc, exec, s[6:7]
	v_lshl_add_u64 v[30:31], v[30:31], 1, s[28:29]
	s_cbranch_vccnz .LBB739_199
; %bb.190:
	v_mul_lo_u32 v34, v29, s26
	v_mul_lo_u32 v35, v28, s27
	v_mad_u64_u32 v[32:33], s[12:13], v28, s26, 0
	v_add3_u32 v33, v33, v35, v34
	v_lshl_add_u64 v[32:33], v[32:33], 1, s[28:29]
	global_load_ushort v34, v[30:31], off
	global_load_ushort v35, v[32:33], off
	s_mov_b64 s[12:13], -1
	s_waitcnt vmcnt(0)
	v_cmp_eq_u16_e32 vcc, v34, v35
	s_and_saveexec_b64 s[14:15], vcc
	s_cbranch_execz .LBB739_198
; %bb.191:
	s_add_u32 s12, s26, -1
	v_lshl_add_u64 v[32:33], v[32:33], 0, 2
	v_lshl_add_u64 v[34:35], v[30:31], 0, 2
	s_addc_u32 s13, s27, -1
	s_mov_b64 s[18:19], 0
	s_mov_b64 s[38:39], 0
                                        ; implicit-def: $sgpr36_sgpr37
	s_branch .LBB739_194
.LBB739_192:                            ;   in Loop: Header=BB739_194 Depth=1
	global_load_ushort v36, v[34:35], off
	global_load_ushort v37, v[32:33], off
	s_add_u32 s38, s38, 1
	s_addc_u32 s39, s39, 0
	s_andn2_b64 s[36:37], s[36:37], exec
	v_lshl_add_u64 v[32:33], v[32:33], 0, 2
	v_lshl_add_u64 v[34:35], v[34:35], 0, 2
	s_waitcnt vmcnt(0)
	v_cmp_ne_u16_e32 vcc, v36, v37
	s_and_b64 s[40:41], vcc, exec
	s_or_b64 s[36:37], s[36:37], s[40:41]
.LBB739_193:                            ;   in Loop: Header=BB739_194 Depth=1
	s_and_b64 s[40:41], exec, s[36:37]
	s_or_b64 s[18:19], s[40:41], s[18:19]
	v_mov_b64_e32 v[36:37], s[38:39]
	s_andn2_b64 exec, exec, s[18:19]
	s_cbranch_execz .LBB739_197
.LBB739_194:                            ; =>This Inner Loop Header: Depth=1
	s_or_b64 s[36:37], s[36:37], exec
	s_cmp_eq_u64 s[12:13], s[38:39]
	s_cbranch_scc0 .LBB739_192
; %bb.195:                              ;   in Loop: Header=BB739_194 Depth=1
                                        ; implicit-def: $vgpr32_vgpr33
                                        ; implicit-def: $vgpr34_vgpr35
	s_mov_b64 s[38:39], s[26:27]
	s_branch .LBB739_193
.LBB739_196:
                                        ; implicit-def: $sgpr18_sgpr19
                                        ; implicit-def: $vgpr48
                                        ; implicit-def: $vgpr47
                                        ; implicit-def: $vgpr46
                                        ; implicit-def: $vgpr34
                                        ; implicit-def: $vgpr30_vgpr31
	s_cbranch_execnz .LBB739_256
	s_branch .LBB739_336
.LBB739_197:
	s_or_b64 exec, exec, s[18:19]
	v_cmp_gt_i64_e32 vcc, s[26:27], v[36:37]
	s_orn2_b64 s[12:13], vcc, exec
.LBB739_198:
	s_or_b64 exec, exec, s[14:15]
.LBB739_199:
	v_mul_lo_u32 v34, v15, s26
	v_mul_lo_u32 v35, v14, s27
	v_mad_u64_u32 v[32:33], s[14:15], v14, s26, 0
	v_add3_u32 v33, v33, v35, v34
	s_mov_b64 s[14:15], 0
	s_and_b64 vcc, exec, s[4:5]
	v_lshl_add_u64 v[32:33], v[32:33], 1, s[28:29]
	s_mov_b64 s[18:19], 0
	s_cbranch_vccnz .LBB739_208
; %bb.200:
	global_load_ushort v34, v[32:33], off
	global_load_ushort v35, v[30:31], off
	s_mov_b64 s[18:19], -1
	s_waitcnt vmcnt(0)
	v_cmp_eq_u16_e32 vcc, v34, v35
	s_and_saveexec_b64 s[36:37], vcc
	s_cbranch_execz .LBB739_207
; %bb.201:
	s_add_u32 s18, s26, -1
	v_lshl_add_u64 v[30:31], v[30:31], 0, 2
	v_lshl_add_u64 v[34:35], v[32:33], 0, 2
	s_addc_u32 s19, s27, -1
	s_mov_b64 s[38:39], 0
	s_mov_b64 s[42:43], 0
                                        ; implicit-def: $sgpr40_sgpr41
	s_branch .LBB739_204
.LBB739_202:                            ;   in Loop: Header=BB739_204 Depth=1
	global_load_ushort v36, v[34:35], off
	global_load_ushort v37, v[30:31], off
	s_add_u32 s42, s42, 1
	s_addc_u32 s43, s43, 0
	s_andn2_b64 s[40:41], s[40:41], exec
	v_lshl_add_u64 v[30:31], v[30:31], 0, 2
	v_lshl_add_u64 v[34:35], v[34:35], 0, 2
	s_waitcnt vmcnt(0)
	v_cmp_ne_u16_e32 vcc, v36, v37
	s_and_b64 s[44:45], vcc, exec
	s_or_b64 s[40:41], s[40:41], s[44:45]
.LBB739_203:                            ;   in Loop: Header=BB739_204 Depth=1
	s_and_b64 s[44:45], exec, s[40:41]
	s_or_b64 s[38:39], s[44:45], s[38:39]
	v_mov_b64_e32 v[36:37], s[42:43]
	s_andn2_b64 exec, exec, s[38:39]
	s_cbranch_execz .LBB739_206
.LBB739_204:                            ; =>This Inner Loop Header: Depth=1
	s_or_b64 s[40:41], s[40:41], exec
	s_cmp_eq_u64 s[18:19], s[42:43]
	s_cbranch_scc0 .LBB739_202
; %bb.205:                              ;   in Loop: Header=BB739_204 Depth=1
                                        ; implicit-def: $vgpr30_vgpr31
                                        ; implicit-def: $vgpr34_vgpr35
	s_mov_b64 s[42:43], s[26:27]
	s_branch .LBB739_203
.LBB739_206:
	s_or_b64 exec, exec, s[38:39]
	v_cmp_gt_i64_e32 vcc, s[26:27], v[36:37]
	s_orn2_b64 s[18:19], vcc, exec
.LBB739_207:
	s_or_b64 exec, exec, s[36:37]
.LBB739_208:
	v_mul_lo_u32 v34, v21, s26
	v_mul_lo_u32 v35, v20, s27
	v_mad_u64_u32 v[30:31], s[36:37], v20, s26, 0
	v_add3_u32 v31, v31, v35, v34
	s_and_b64 vcc, exec, s[4:5]
	v_lshl_add_u64 v[30:31], v[30:31], 1, s[28:29]
	s_cbranch_vccnz .LBB739_217
; %bb.209:
	global_load_ushort v34, v[30:31], off
	global_load_ushort v35, v[32:33], off
	s_mov_b64 s[14:15], -1
	s_waitcnt vmcnt(0)
	v_cmp_eq_u16_e32 vcc, v34, v35
	s_and_saveexec_b64 s[36:37], vcc
	s_cbranch_execz .LBB739_216
; %bb.210:
	s_add_u32 s14, s26, -1
	v_lshl_add_u64 v[32:33], v[32:33], 0, 2
	v_lshl_add_u64 v[34:35], v[30:31], 0, 2
	s_addc_u32 s15, s27, -1
	s_mov_b64 s[38:39], 0
	s_mov_b64 s[42:43], 0
                                        ; implicit-def: $sgpr40_sgpr41
	s_branch .LBB739_213
.LBB739_211:                            ;   in Loop: Header=BB739_213 Depth=1
	global_load_ushort v36, v[34:35], off
	global_load_ushort v37, v[32:33], off
	s_add_u32 s42, s42, 1
	s_addc_u32 s43, s43, 0
	s_andn2_b64 s[40:41], s[40:41], exec
	v_lshl_add_u64 v[32:33], v[32:33], 0, 2
	v_lshl_add_u64 v[34:35], v[34:35], 0, 2
	s_waitcnt vmcnt(0)
	v_cmp_ne_u16_e32 vcc, v36, v37
	s_and_b64 s[44:45], vcc, exec
	s_or_b64 s[40:41], s[40:41], s[44:45]
.LBB739_212:                            ;   in Loop: Header=BB739_213 Depth=1
	s_and_b64 s[44:45], exec, s[40:41]
	s_or_b64 s[38:39], s[44:45], s[38:39]
	v_mov_b64_e32 v[36:37], s[42:43]
	s_andn2_b64 exec, exec, s[38:39]
	s_cbranch_execz .LBB739_215
.LBB739_213:                            ; =>This Inner Loop Header: Depth=1
	s_or_b64 s[40:41], s[40:41], exec
	s_cmp_eq_u64 s[14:15], s[42:43]
	s_cbranch_scc0 .LBB739_211
; %bb.214:                              ;   in Loop: Header=BB739_213 Depth=1
                                        ; implicit-def: $vgpr32_vgpr33
                                        ; implicit-def: $vgpr34_vgpr35
	s_mov_b64 s[42:43], s[26:27]
	s_branch .LBB739_212
.LBB739_215:
	s_or_b64 exec, exec, s[38:39]
	v_cmp_gt_i64_e32 vcc, s[26:27], v[36:37]
	s_orn2_b64 s[14:15], vcc, exec
.LBB739_216:
	s_or_b64 exec, exec, s[36:37]
.LBB739_217:
	v_mul_lo_u32 v34, v19, s26
	v_mul_lo_u32 v35, v18, s27
	v_mad_u64_u32 v[32:33], s[36:37], v18, s26, 0
	v_add3_u32 v33, v33, v35, v34
	s_mov_b64 s[36:37], 0
	s_and_b64 vcc, exec, s[4:5]
	v_lshl_add_u64 v[32:33], v[32:33], 1, s[28:29]
	s_mov_b64 s[38:39], 0
	s_cbranch_vccnz .LBB739_226
; %bb.218:
	global_load_ushort v34, v[32:33], off
	global_load_ushort v35, v[30:31], off
	s_mov_b64 s[38:39], -1
	s_waitcnt vmcnt(0)
	v_cmp_eq_u16_e32 vcc, v34, v35
	s_and_saveexec_b64 s[40:41], vcc
	s_cbranch_execz .LBB739_225
; %bb.219:
	s_add_u32 s38, s26, -1
	v_lshl_add_u64 v[30:31], v[30:31], 0, 2
	v_lshl_add_u64 v[34:35], v[32:33], 0, 2
	s_addc_u32 s39, s27, -1
	s_mov_b64 s[42:43], 0
	s_mov_b64 s[46:47], 0
                                        ; implicit-def: $sgpr44_sgpr45
	s_branch .LBB739_222
.LBB739_220:                            ;   in Loop: Header=BB739_222 Depth=1
	global_load_ushort v36, v[34:35], off
	global_load_ushort v37, v[30:31], off
	s_add_u32 s46, s46, 1
	s_addc_u32 s47, s47, 0
	s_andn2_b64 s[44:45], s[44:45], exec
	v_lshl_add_u64 v[30:31], v[30:31], 0, 2
	v_lshl_add_u64 v[34:35], v[34:35], 0, 2
	s_waitcnt vmcnt(0)
	v_cmp_ne_u16_e32 vcc, v36, v37
	s_and_b64 s[48:49], vcc, exec
	s_or_b64 s[44:45], s[44:45], s[48:49]
.LBB739_221:                            ;   in Loop: Header=BB739_222 Depth=1
	s_and_b64 s[48:49], exec, s[44:45]
	s_or_b64 s[42:43], s[48:49], s[42:43]
	v_mov_b64_e32 v[36:37], s[46:47]
	s_andn2_b64 exec, exec, s[42:43]
	s_cbranch_execz .LBB739_224
.LBB739_222:                            ; =>This Inner Loop Header: Depth=1
	s_or_b64 s[44:45], s[44:45], exec
	s_cmp_eq_u64 s[38:39], s[46:47]
	s_cbranch_scc0 .LBB739_220
; %bb.223:                              ;   in Loop: Header=BB739_222 Depth=1
                                        ; implicit-def: $vgpr30_vgpr31
                                        ; implicit-def: $vgpr34_vgpr35
	s_mov_b64 s[46:47], s[26:27]
	s_branch .LBB739_221
.LBB739_224:
	s_or_b64 exec, exec, s[42:43]
	v_cmp_gt_i64_e32 vcc, s[26:27], v[36:37]
	s_orn2_b64 s[38:39], vcc, exec
.LBB739_225:
	s_or_b64 exec, exec, s[40:41]
.LBB739_226:
	v_mul_lo_u32 v34, v25, s26
	v_mul_lo_u32 v35, v24, s27
	v_mad_u64_u32 v[30:31], s[40:41], v24, s26, 0
	v_add3_u32 v31, v31, v35, v34
	s_and_b64 vcc, exec, s[4:5]
	v_lshl_add_u64 v[30:31], v[30:31], 1, s[28:29]
	s_cbranch_vccnz .LBB739_235
; %bb.227:
	global_load_ushort v34, v[30:31], off
	global_load_ushort v35, v[32:33], off
	s_mov_b64 s[36:37], -1
	s_waitcnt vmcnt(0)
	v_cmp_eq_u16_e32 vcc, v34, v35
	s_and_saveexec_b64 s[40:41], vcc
	s_cbranch_execz .LBB739_234
; %bb.228:
	s_add_u32 s36, s26, -1
	v_lshl_add_u64 v[32:33], v[32:33], 0, 2
	v_lshl_add_u64 v[34:35], v[30:31], 0, 2
	s_addc_u32 s37, s27, -1
	s_mov_b64 s[42:43], 0
	s_mov_b64 s[46:47], 0
                                        ; implicit-def: $sgpr44_sgpr45
	s_branch .LBB739_231
.LBB739_229:                            ;   in Loop: Header=BB739_231 Depth=1
	global_load_ushort v36, v[34:35], off
	global_load_ushort v37, v[32:33], off
	s_add_u32 s46, s46, 1
	s_addc_u32 s47, s47, 0
	s_andn2_b64 s[44:45], s[44:45], exec
	v_lshl_add_u64 v[32:33], v[32:33], 0, 2
	v_lshl_add_u64 v[34:35], v[34:35], 0, 2
	s_waitcnt vmcnt(0)
	v_cmp_ne_u16_e32 vcc, v36, v37
	s_and_b64 s[48:49], vcc, exec
	s_or_b64 s[44:45], s[44:45], s[48:49]
.LBB739_230:                            ;   in Loop: Header=BB739_231 Depth=1
	s_and_b64 s[48:49], exec, s[44:45]
	s_or_b64 s[42:43], s[48:49], s[42:43]
	v_mov_b64_e32 v[36:37], s[46:47]
	s_andn2_b64 exec, exec, s[42:43]
	s_cbranch_execz .LBB739_233
.LBB739_231:                            ; =>This Inner Loop Header: Depth=1
	s_or_b64 s[44:45], s[44:45], exec
	s_cmp_eq_u64 s[36:37], s[46:47]
	s_cbranch_scc0 .LBB739_229
; %bb.232:                              ;   in Loop: Header=BB739_231 Depth=1
                                        ; implicit-def: $vgpr32_vgpr33
                                        ; implicit-def: $vgpr34_vgpr35
	s_mov_b64 s[46:47], s[26:27]
	s_branch .LBB739_230
.LBB739_233:
	s_or_b64 exec, exec, s[42:43]
	v_cmp_gt_i64_e32 vcc, s[26:27], v[36:37]
	s_orn2_b64 s[36:37], vcc, exec
.LBB739_234:
	s_or_b64 exec, exec, s[40:41]
.LBB739_235:
	v_mul_lo_u32 v34, v23, s26
	v_mul_lo_u32 v35, v22, s27
	v_mad_u64_u32 v[32:33], s[40:41], v22, s26, 0
	v_add3_u32 v33, v33, v35, v34
	s_and_b64 vcc, exec, s[4:5]
	s_mov_b64 s[42:43], 0
	s_cbranch_vccnz .LBB739_244
; %bb.236:
	v_lshl_add_u64 v[34:35], v[32:33], 1, s[28:29]
	global_load_ushort v36, v[34:35], off
	global_load_ushort v37, v[30:31], off
	s_mov_b64 s[42:43], -1
	s_waitcnt vmcnt(0)
	v_cmp_eq_u16_e32 vcc, v36, v37
	s_and_saveexec_b64 s[40:41], vcc
	s_cbranch_execz .LBB739_243
; %bb.237:
	s_add_u32 s42, s26, -1
	v_lshl_add_u64 v[30:31], v[30:31], 0, 2
	v_lshl_add_u64 v[34:35], v[34:35], 0, 2
	s_addc_u32 s43, s27, -1
	s_mov_b64 s[44:45], 0
	s_mov_b64 s[48:49], 0
                                        ; implicit-def: $sgpr46_sgpr47
	s_branch .LBB739_240
.LBB739_238:                            ;   in Loop: Header=BB739_240 Depth=1
	global_load_ushort v36, v[34:35], off
	global_load_ushort v37, v[30:31], off
	s_add_u32 s48, s48, 1
	s_addc_u32 s49, s49, 0
	s_andn2_b64 s[46:47], s[46:47], exec
	v_lshl_add_u64 v[30:31], v[30:31], 0, 2
	v_lshl_add_u64 v[34:35], v[34:35], 0, 2
	s_waitcnt vmcnt(0)
	v_cmp_ne_u16_e32 vcc, v36, v37
	s_and_b64 s[50:51], vcc, exec
	s_or_b64 s[46:47], s[46:47], s[50:51]
.LBB739_239:                            ;   in Loop: Header=BB739_240 Depth=1
	s_and_b64 s[50:51], exec, s[46:47]
	s_or_b64 s[44:45], s[50:51], s[44:45]
	v_mov_b64_e32 v[36:37], s[48:49]
	s_andn2_b64 exec, exec, s[44:45]
	s_cbranch_execz .LBB739_242
.LBB739_240:                            ; =>This Inner Loop Header: Depth=1
	s_or_b64 s[46:47], s[46:47], exec
	s_cmp_eq_u64 s[42:43], s[48:49]
	s_cbranch_scc0 .LBB739_238
; %bb.241:                              ;   in Loop: Header=BB739_240 Depth=1
                                        ; implicit-def: $vgpr30_vgpr31
                                        ; implicit-def: $vgpr34_vgpr35
	s_mov_b64 s[48:49], s[26:27]
	s_branch .LBB739_239
.LBB739_242:
	s_or_b64 exec, exec, s[44:45]
	v_cmp_gt_i64_e32 vcc, s[26:27], v[36:37]
	s_orn2_b64 s[42:43], vcc, exec
.LBB739_243:
	s_or_b64 exec, exec, s[40:41]
.LBB739_244:
	v_cndmask_b32_e64 v31, 0, 1, s[38:39]
	v_cndmask_b32_e64 v30, 0, 1, s[36:37]
	;; [unrolled: 1-line block ×3, first 2 shown]
	v_lshlrev_b16_e32 v31, 8, v31
	v_cndmask_b32_e64 v46, 0, 1, s[14:15]
	v_cndmask_b32_e64 v34, 0, 1, s[42:43]
	v_or_b32_sdwa v30, v30, v31 dst_sel:WORD_1 dst_unused:UNUSED_PAD src0_sel:DWORD src1_sel:DWORD
	v_lshlrev_b16_e32 v31, 8, v47
	v_lshlrev_b16_e32 v34, 8, v34
	v_or_b32_e32 v31, v46, v31
	v_or_b32_e32 v34, 1, v34
	v_and_b32_e32 v31, 0xffff, v31
	v_cndmask_b32_e64 v48, 0, 1, s[12:13]
	v_or_b32_sdwa v30, v34, v30 dst_sel:DWORD dst_unused:UNUSED_PAD src0_sel:WORD_0 src1_sel:DWORD
	v_lshl_or_b32 v31, v48, 16, v31
	v_cmp_ne_u32_e32 vcc, 0, v0
	s_waitcnt lgkmcnt(0)
	s_barrier
	s_waitcnt lgkmcnt(0)
                                        ; implicit-def: $sgpr18_sgpr19
                                        ; implicit-def: $vgpr34
	s_and_saveexec_b64 s[12:13], vcc
	s_xor_b64 s[12:13], exec, s[12:13]
	s_cbranch_execz .LBB739_255
; %bb.245:
	s_mov_b32 s33, 0x3020104
	s_and_b64 vcc, exec, s[4:5]
	s_mov_b64 s[14:15], 0
	s_cbranch_vccnz .LBB739_254
; %bb.246:
	v_add_u32_e32 v31, -8, v44
	ds_read_b64 v[34:35], v31
	v_lshl_add_u64 v[32:33], v[32:33], 1, s[28:29]
	s_mov_b64 s[14:15], -1
	s_waitcnt lgkmcnt(0)
	v_mul_lo_u32 v31, v35, s26
	v_mul_lo_u32 v36, v34, s27
	v_mad_u64_u32 v[34:35], s[4:5], v34, s26, 0
	v_add3_u32 v35, v35, v36, v31
	v_lshl_add_u64 v[34:35], v[34:35], 1, s[28:29]
	global_load_ushort v31, v[34:35], off
	global_load_ushort v36, v[32:33], off
	s_waitcnt vmcnt(0)
	v_cmp_eq_u16_e32 vcc, v31, v36
	s_and_saveexec_b64 s[4:5], vcc
	s_cbranch_execz .LBB739_253
; %bb.247:
	s_add_u32 s14, s26, -1
	v_lshl_add_u64 v[32:33], v[32:33], 0, 2
	v_lshl_add_u64 v[34:35], v[34:35], 0, 2
	s_addc_u32 s15, s27, -1
	s_mov_b64 s[18:19], 0
	s_mov_b64 s[38:39], 0
                                        ; implicit-def: $sgpr36_sgpr37
	s_branch .LBB739_250
.LBB739_248:                            ;   in Loop: Header=BB739_250 Depth=1
	global_load_ushort v31, v[34:35], off
	global_load_ushort v36, v[32:33], off
	s_add_u32 s38, s38, 1
	s_addc_u32 s39, s39, 0
	s_andn2_b64 s[36:37], s[36:37], exec
	v_lshl_add_u64 v[32:33], v[32:33], 0, 2
	v_lshl_add_u64 v[34:35], v[34:35], 0, 2
	s_waitcnt vmcnt(0)
	v_cmp_ne_u16_e32 vcc, v31, v36
	s_and_b64 s[40:41], vcc, exec
	s_or_b64 s[36:37], s[36:37], s[40:41]
.LBB739_249:                            ;   in Loop: Header=BB739_250 Depth=1
	s_and_b64 s[40:41], exec, s[36:37]
	s_or_b64 s[18:19], s[40:41], s[18:19]
	v_mov_b64_e32 v[36:37], s[38:39]
	s_andn2_b64 exec, exec, s[18:19]
	s_cbranch_execz .LBB739_252
.LBB739_250:                            ; =>This Inner Loop Header: Depth=1
	s_or_b64 s[36:37], s[36:37], exec
	s_cmp_eq_u64 s[14:15], s[38:39]
	s_cbranch_scc0 .LBB739_248
; %bb.251:                              ;   in Loop: Header=BB739_250 Depth=1
                                        ; implicit-def: $vgpr32_vgpr33
                                        ; implicit-def: $vgpr34_vgpr35
	s_mov_b64 s[38:39], s[26:27]
	s_branch .LBB739_249
.LBB739_252:
	s_or_b64 exec, exec, s[18:19]
	v_cmp_gt_i64_e32 vcc, s[26:27], v[36:37]
	s_orn2_b64 s[14:15], vcc, exec
.LBB739_253:
	s_or_b64 exec, exec, s[4:5]
.LBB739_254:
	v_perm_b32 v34, v30, v30, s33
	s_and_b64 s[18:19], s[14:15], exec
	s_or_b64 s[10:11], s[10:11], exec
                                        ; implicit-def: $vgpr30_vgpr31
.LBB739_255:
	s_or_b64 exec, exec, s[12:13]
	s_branch .LBB739_336
.LBB739_256:
	v_cmp_gt_u32_e32 vcc, s3, v40
	s_mov_b64 s[12:13], 0
	s_mov_b64 s[4:5], 0
	s_and_saveexec_b64 s[14:15], vcc
	s_cbranch_execz .LBB739_267
; %bb.257:
	s_andn2_b64 vcc, exec, s[6:7]
	s_mov_b64 s[18:19], 0
	s_cbranch_vccnz .LBB739_266
; %bb.258:
	v_mul_lo_u32 v32, v17, s26
	v_mul_lo_u32 v33, v16, s27
	v_mad_u64_u32 v[30:31], s[4:5], v16, s26, 0
	v_add3_u32 v31, v31, v33, v32
	v_mul_lo_u32 v32, v29, s26
	v_mul_lo_u32 v33, v28, s27
	v_mad_u64_u32 v[34:35], s[4:5], v28, s26, 0
	v_add3_u32 v35, v35, v33, v32
	v_lshl_add_u64 v[32:33], v[30:31], 1, s[28:29]
	v_lshl_add_u64 v[30:31], v[34:35], 1, s[28:29]
	global_load_ushort v34, v[32:33], off
	global_load_ushort v35, v[30:31], off
	s_mov_b64 s[18:19], -1
	s_waitcnt vmcnt(0)
	v_cmp_eq_u16_e32 vcc, v34, v35
	s_and_saveexec_b64 s[4:5], vcc
	s_cbranch_execz .LBB739_265
; %bb.259:
	s_add_u32 s18, s26, -1
	v_lshl_add_u64 v[30:31], v[30:31], 0, 2
	v_lshl_add_u64 v[32:33], v[32:33], 0, 2
	s_addc_u32 s19, s27, -1
	s_mov_b64 s[36:37], 0
	s_mov_b64 s[40:41], 0
                                        ; implicit-def: $sgpr38_sgpr39
	s_branch .LBB739_262
.LBB739_260:                            ;   in Loop: Header=BB739_262 Depth=1
	global_load_ushort v34, v[32:33], off
	global_load_ushort v35, v[30:31], off
	s_add_u32 s40, s40, 1
	s_addc_u32 s41, s41, 0
	s_andn2_b64 s[38:39], s[38:39], exec
	v_lshl_add_u64 v[30:31], v[30:31], 0, 2
	v_lshl_add_u64 v[32:33], v[32:33], 0, 2
	s_waitcnt vmcnt(0)
	v_cmp_ne_u16_e32 vcc, v34, v35
	s_and_b64 s[42:43], vcc, exec
	s_or_b64 s[38:39], s[38:39], s[42:43]
.LBB739_261:                            ;   in Loop: Header=BB739_262 Depth=1
	s_and_b64 s[42:43], exec, s[38:39]
	s_or_b64 s[36:37], s[42:43], s[36:37]
	v_mov_b64_e32 v[34:35], s[40:41]
	s_andn2_b64 exec, exec, s[36:37]
	s_cbranch_execz .LBB739_264
.LBB739_262:                            ; =>This Inner Loop Header: Depth=1
	s_or_b64 s[38:39], s[38:39], exec
	s_cmp_eq_u64 s[18:19], s[40:41]
	s_cbranch_scc0 .LBB739_260
; %bb.263:                              ;   in Loop: Header=BB739_262 Depth=1
                                        ; implicit-def: $vgpr30_vgpr31
                                        ; implicit-def: $vgpr32_vgpr33
	s_mov_b64 s[40:41], s[26:27]
	s_branch .LBB739_261
.LBB739_264:
	s_or_b64 exec, exec, s[36:37]
	v_cmp_gt_i64_e32 vcc, s[26:27], v[34:35]
	s_orn2_b64 s[18:19], vcc, exec
.LBB739_265:
	s_or_b64 exec, exec, s[4:5]
.LBB739_266:
	s_and_b64 s[4:5], s[18:19], exec
.LBB739_267:
	s_or_b64 exec, exec, s[14:15]
	v_cmp_gt_u32_e32 vcc, s3, v43
	s_and_saveexec_b64 s[14:15], vcc
	s_cbranch_execz .LBB739_278
; %bb.268:
	s_andn2_b64 vcc, exec, s[6:7]
	s_mov_b64 s[18:19], 0
	s_cbranch_vccnz .LBB739_277
; %bb.269:
	v_mul_lo_u32 v32, v15, s26
	v_mul_lo_u32 v33, v14, s27
	v_mad_u64_u32 v[30:31], s[12:13], v14, s26, 0
	v_add3_u32 v31, v31, v33, v32
	v_mul_lo_u32 v32, v17, s26
	v_mul_lo_u32 v33, v16, s27
	v_mad_u64_u32 v[34:35], s[12:13], v16, s26, 0
	v_add3_u32 v35, v35, v33, v32
	v_lshl_add_u64 v[32:33], v[30:31], 1, s[28:29]
	v_lshl_add_u64 v[30:31], v[34:35], 1, s[28:29]
	global_load_ushort v34, v[32:33], off
	global_load_ushort v35, v[30:31], off
	s_mov_b64 s[18:19], -1
	s_waitcnt vmcnt(0)
	v_cmp_eq_u16_e32 vcc, v34, v35
	s_and_saveexec_b64 s[12:13], vcc
	s_cbranch_execz .LBB739_276
; %bb.270:
	s_add_u32 s18, s26, -1
	v_lshl_add_u64 v[30:31], v[30:31], 0, 2
	v_lshl_add_u64 v[32:33], v[32:33], 0, 2
	s_addc_u32 s19, s27, -1
	s_mov_b64 s[36:37], 0
	s_mov_b64 s[40:41], 0
                                        ; implicit-def: $sgpr38_sgpr39
	s_branch .LBB739_273
.LBB739_271:                            ;   in Loop: Header=BB739_273 Depth=1
	global_load_ushort v34, v[32:33], off
	global_load_ushort v35, v[30:31], off
	s_add_u32 s40, s40, 1
	s_addc_u32 s41, s41, 0
	s_andn2_b64 s[38:39], s[38:39], exec
	v_lshl_add_u64 v[30:31], v[30:31], 0, 2
	v_lshl_add_u64 v[32:33], v[32:33], 0, 2
	s_waitcnt vmcnt(0)
	v_cmp_ne_u16_e32 vcc, v34, v35
	s_and_b64 s[42:43], vcc, exec
	s_or_b64 s[38:39], s[38:39], s[42:43]
.LBB739_272:                            ;   in Loop: Header=BB739_273 Depth=1
	s_and_b64 s[42:43], exec, s[38:39]
	s_or_b64 s[36:37], s[42:43], s[36:37]
	v_mov_b64_e32 v[34:35], s[40:41]
	s_andn2_b64 exec, exec, s[36:37]
	s_cbranch_execz .LBB739_275
.LBB739_273:                            ; =>This Inner Loop Header: Depth=1
	s_or_b64 s[38:39], s[38:39], exec
	s_cmp_eq_u64 s[18:19], s[40:41]
	s_cbranch_scc0 .LBB739_271
; %bb.274:                              ;   in Loop: Header=BB739_273 Depth=1
                                        ; implicit-def: $vgpr30_vgpr31
                                        ; implicit-def: $vgpr32_vgpr33
	s_mov_b64 s[40:41], s[26:27]
	s_branch .LBB739_272
.LBB739_275:
	s_or_b64 exec, exec, s[36:37]
	v_cmp_gt_i64_e32 vcc, s[26:27], v[34:35]
	s_orn2_b64 s[18:19], vcc, exec
.LBB739_276:
	s_or_b64 exec, exec, s[12:13]
.LBB739_277:
	s_and_b64 s[12:13], s[18:19], exec
.LBB739_278:
	s_or_b64 exec, exec, s[14:15]
	v_cmp_gt_u32_e32 vcc, s3, v39
	s_mov_b64 s[18:19], 0
	s_mov_b64 s[14:15], 0
	s_and_saveexec_b64 s[36:37], vcc
	s_cbranch_execz .LBB739_289
; %bb.279:
	s_andn2_b64 vcc, exec, s[6:7]
	s_mov_b64 s[38:39], 0
	s_cbranch_vccnz .LBB739_288
; %bb.280:
	v_mul_lo_u32 v32, v21, s26
	v_mul_lo_u32 v33, v20, s27
	v_mad_u64_u32 v[30:31], s[14:15], v20, s26, 0
	v_add3_u32 v31, v31, v33, v32
	v_mul_lo_u32 v32, v15, s26
	v_mul_lo_u32 v33, v14, s27
	v_mad_u64_u32 v[34:35], s[14:15], v14, s26, 0
	v_add3_u32 v35, v35, v33, v32
	v_lshl_add_u64 v[32:33], v[30:31], 1, s[28:29]
	v_lshl_add_u64 v[30:31], v[34:35], 1, s[28:29]
	global_load_ushort v34, v[32:33], off
	global_load_ushort v35, v[30:31], off
	s_mov_b64 s[38:39], -1
	s_waitcnt vmcnt(0)
	v_cmp_eq_u16_e32 vcc, v34, v35
	s_and_saveexec_b64 s[14:15], vcc
	s_cbranch_execz .LBB739_287
; %bb.281:
	s_add_u32 s38, s26, -1
	v_lshl_add_u64 v[30:31], v[30:31], 0, 2
	v_lshl_add_u64 v[32:33], v[32:33], 0, 2
	s_addc_u32 s39, s27, -1
	s_mov_b64 s[40:41], 0
	s_mov_b64 s[44:45], 0
                                        ; implicit-def: $sgpr42_sgpr43
	s_branch .LBB739_284
.LBB739_282:                            ;   in Loop: Header=BB739_284 Depth=1
	global_load_ushort v34, v[32:33], off
	global_load_ushort v35, v[30:31], off
	s_add_u32 s44, s44, 1
	s_addc_u32 s45, s45, 0
	s_andn2_b64 s[42:43], s[42:43], exec
	v_lshl_add_u64 v[30:31], v[30:31], 0, 2
	v_lshl_add_u64 v[32:33], v[32:33], 0, 2
	s_waitcnt vmcnt(0)
	v_cmp_ne_u16_e32 vcc, v34, v35
	s_and_b64 s[46:47], vcc, exec
	s_or_b64 s[42:43], s[42:43], s[46:47]
.LBB739_283:                            ;   in Loop: Header=BB739_284 Depth=1
	s_and_b64 s[46:47], exec, s[42:43]
	s_or_b64 s[40:41], s[46:47], s[40:41]
	v_mov_b64_e32 v[34:35], s[44:45]
	s_andn2_b64 exec, exec, s[40:41]
	s_cbranch_execz .LBB739_286
.LBB739_284:                            ; =>This Inner Loop Header: Depth=1
	s_or_b64 s[42:43], s[42:43], exec
	s_cmp_eq_u64 s[38:39], s[44:45]
	s_cbranch_scc0 .LBB739_282
; %bb.285:                              ;   in Loop: Header=BB739_284 Depth=1
                                        ; implicit-def: $vgpr30_vgpr31
                                        ; implicit-def: $vgpr32_vgpr33
	s_mov_b64 s[44:45], s[26:27]
	s_branch .LBB739_283
.LBB739_286:
	s_or_b64 exec, exec, s[40:41]
	v_cmp_gt_i64_e32 vcc, s[26:27], v[34:35]
	s_orn2_b64 s[38:39], vcc, exec
.LBB739_287:
	s_or_b64 exec, exec, s[14:15]
.LBB739_288:
	s_and_b64 s[14:15], s[38:39], exec
.LBB739_289:
	s_or_b64 exec, exec, s[36:37]
	v_cmp_gt_u32_e32 vcc, s3, v42
	s_and_saveexec_b64 s[36:37], vcc
	s_cbranch_execz .LBB739_300
; %bb.290:
	s_andn2_b64 vcc, exec, s[6:7]
	s_mov_b64 s[38:39], 0
	s_cbranch_vccnz .LBB739_299
; %bb.291:
	v_mul_lo_u32 v32, v19, s26
	v_mul_lo_u32 v33, v18, s27
	v_mad_u64_u32 v[30:31], s[18:19], v18, s26, 0
	v_add3_u32 v31, v31, v33, v32
	v_mul_lo_u32 v32, v21, s26
	v_mul_lo_u32 v33, v20, s27
	v_mad_u64_u32 v[34:35], s[18:19], v20, s26, 0
	v_add3_u32 v35, v35, v33, v32
	v_lshl_add_u64 v[32:33], v[30:31], 1, s[28:29]
	v_lshl_add_u64 v[30:31], v[34:35], 1, s[28:29]
	global_load_ushort v34, v[32:33], off
	global_load_ushort v35, v[30:31], off
	s_mov_b64 s[38:39], -1
	s_waitcnt vmcnt(0)
	v_cmp_eq_u16_e32 vcc, v34, v35
	s_and_saveexec_b64 s[18:19], vcc
	s_cbranch_execz .LBB739_298
; %bb.292:
	s_add_u32 s38, s26, -1
	v_lshl_add_u64 v[30:31], v[30:31], 0, 2
	v_lshl_add_u64 v[32:33], v[32:33], 0, 2
	s_addc_u32 s39, s27, -1
	s_mov_b64 s[40:41], 0
	s_mov_b64 s[44:45], 0
                                        ; implicit-def: $sgpr42_sgpr43
	s_branch .LBB739_295
.LBB739_293:                            ;   in Loop: Header=BB739_295 Depth=1
	global_load_ushort v34, v[32:33], off
	global_load_ushort v35, v[30:31], off
	s_add_u32 s44, s44, 1
	s_addc_u32 s45, s45, 0
	s_andn2_b64 s[42:43], s[42:43], exec
	v_lshl_add_u64 v[30:31], v[30:31], 0, 2
	v_lshl_add_u64 v[32:33], v[32:33], 0, 2
	s_waitcnt vmcnt(0)
	v_cmp_ne_u16_e32 vcc, v34, v35
	s_and_b64 s[46:47], vcc, exec
	s_or_b64 s[42:43], s[42:43], s[46:47]
.LBB739_294:                            ;   in Loop: Header=BB739_295 Depth=1
	s_and_b64 s[46:47], exec, s[42:43]
	s_or_b64 s[40:41], s[46:47], s[40:41]
	v_mov_b64_e32 v[34:35], s[44:45]
	s_andn2_b64 exec, exec, s[40:41]
	s_cbranch_execz .LBB739_297
.LBB739_295:                            ; =>This Inner Loop Header: Depth=1
	s_or_b64 s[42:43], s[42:43], exec
	s_cmp_eq_u64 s[38:39], s[44:45]
	s_cbranch_scc0 .LBB739_293
; %bb.296:                              ;   in Loop: Header=BB739_295 Depth=1
                                        ; implicit-def: $vgpr30_vgpr31
                                        ; implicit-def: $vgpr32_vgpr33
	s_mov_b64 s[44:45], s[26:27]
	s_branch .LBB739_294
.LBB739_297:
	s_or_b64 exec, exec, s[40:41]
	v_cmp_gt_i64_e32 vcc, s[26:27], v[34:35]
	s_orn2_b64 s[38:39], vcc, exec
.LBB739_298:
	s_or_b64 exec, exec, s[18:19]
.LBB739_299:
	s_and_b64 s[18:19], s[38:39], exec
.LBB739_300:
	s_or_b64 exec, exec, s[36:37]
	v_cmp_gt_u32_e32 vcc, s3, v38
	s_mov_b64 s[36:37], 0
	s_mov_b64 s[38:39], 0
	s_and_saveexec_b64 s[40:41], vcc
	s_cbranch_execz .LBB739_311
; %bb.301:
	s_andn2_b64 vcc, exec, s[6:7]
	s_mov_b64 s[42:43], 0
	s_cbranch_vccnz .LBB739_310
; %bb.302:
	v_mul_lo_u32 v32, v25, s26
	v_mul_lo_u32 v33, v24, s27
	v_mad_u64_u32 v[30:31], s[38:39], v24, s26, 0
	v_add3_u32 v31, v31, v33, v32
	v_mul_lo_u32 v32, v19, s26
	v_mul_lo_u32 v33, v18, s27
	v_mad_u64_u32 v[34:35], s[38:39], v18, s26, 0
	v_add3_u32 v35, v35, v33, v32
	v_lshl_add_u64 v[32:33], v[30:31], 1, s[28:29]
	v_lshl_add_u64 v[30:31], v[34:35], 1, s[28:29]
	global_load_ushort v34, v[32:33], off
	global_load_ushort v35, v[30:31], off
	s_mov_b64 s[42:43], -1
	s_waitcnt vmcnt(0)
	v_cmp_eq_u16_e32 vcc, v34, v35
	s_and_saveexec_b64 s[38:39], vcc
	s_cbranch_execz .LBB739_309
; %bb.303:
	s_add_u32 s42, s26, -1
	v_lshl_add_u64 v[30:31], v[30:31], 0, 2
	v_lshl_add_u64 v[32:33], v[32:33], 0, 2
	s_addc_u32 s43, s27, -1
	s_mov_b64 s[44:45], 0
	s_mov_b64 s[48:49], 0
                                        ; implicit-def: $sgpr46_sgpr47
	s_branch .LBB739_306
.LBB739_304:                            ;   in Loop: Header=BB739_306 Depth=1
	global_load_ushort v34, v[32:33], off
	global_load_ushort v35, v[30:31], off
	s_add_u32 s48, s48, 1
	s_addc_u32 s49, s49, 0
	s_andn2_b64 s[46:47], s[46:47], exec
	v_lshl_add_u64 v[30:31], v[30:31], 0, 2
	v_lshl_add_u64 v[32:33], v[32:33], 0, 2
	s_waitcnt vmcnt(0)
	v_cmp_ne_u16_e32 vcc, v34, v35
	s_and_b64 s[50:51], vcc, exec
	s_or_b64 s[46:47], s[46:47], s[50:51]
.LBB739_305:                            ;   in Loop: Header=BB739_306 Depth=1
	s_and_b64 s[50:51], exec, s[46:47]
	s_or_b64 s[44:45], s[50:51], s[44:45]
	v_mov_b64_e32 v[34:35], s[48:49]
	s_andn2_b64 exec, exec, s[44:45]
	s_cbranch_execz .LBB739_308
.LBB739_306:                            ; =>This Inner Loop Header: Depth=1
	s_or_b64 s[46:47], s[46:47], exec
	s_cmp_eq_u64 s[42:43], s[48:49]
	s_cbranch_scc0 .LBB739_304
; %bb.307:                              ;   in Loop: Header=BB739_306 Depth=1
                                        ; implicit-def: $vgpr30_vgpr31
                                        ; implicit-def: $vgpr32_vgpr33
	s_mov_b64 s[48:49], s[26:27]
	s_branch .LBB739_305
.LBB739_308:
	s_or_b64 exec, exec, s[44:45]
	v_cmp_gt_i64_e32 vcc, s[26:27], v[34:35]
	s_orn2_b64 s[42:43], vcc, exec
.LBB739_309:
	s_or_b64 exec, exec, s[38:39]
.LBB739_310:
	s_and_b64 s[38:39], s[42:43], exec
.LBB739_311:
	s_or_b64 exec, exec, s[40:41]
	v_cmp_gt_u32_e32 vcc, s3, v41
	s_and_saveexec_b64 s[40:41], vcc
	s_cbranch_execz .LBB739_322
; %bb.312:
	s_andn2_b64 vcc, exec, s[6:7]
	s_mov_b64 s[42:43], 0
	s_cbranch_vccnz .LBB739_321
; %bb.313:
	v_mul_lo_u32 v32, v23, s26
	v_mul_lo_u32 v33, v22, s27
	v_mad_u64_u32 v[30:31], s[36:37], v22, s26, 0
	v_add3_u32 v31, v31, v33, v32
	v_mul_lo_u32 v32, v25, s26
	v_mul_lo_u32 v33, v24, s27
	v_mad_u64_u32 v[34:35], s[36:37], v24, s26, 0
	v_add3_u32 v35, v35, v33, v32
	v_lshl_add_u64 v[32:33], v[30:31], 1, s[28:29]
	v_lshl_add_u64 v[30:31], v[34:35], 1, s[28:29]
	global_load_ushort v34, v[32:33], off
	global_load_ushort v35, v[30:31], off
	s_mov_b64 s[42:43], -1
	s_waitcnt vmcnt(0)
	v_cmp_eq_u16_e32 vcc, v34, v35
	s_and_saveexec_b64 s[36:37], vcc
	s_cbranch_execz .LBB739_320
; %bb.314:
	s_add_u32 s42, s26, -1
	v_lshl_add_u64 v[30:31], v[30:31], 0, 2
	v_lshl_add_u64 v[32:33], v[32:33], 0, 2
	s_addc_u32 s43, s27, -1
	s_mov_b64 s[44:45], 0
	s_mov_b64 s[48:49], 0
                                        ; implicit-def: $sgpr46_sgpr47
	s_branch .LBB739_317
.LBB739_315:                            ;   in Loop: Header=BB739_317 Depth=1
	global_load_ushort v34, v[32:33], off
	global_load_ushort v35, v[30:31], off
	s_add_u32 s48, s48, 1
	s_addc_u32 s49, s49, 0
	s_andn2_b64 s[46:47], s[46:47], exec
	v_lshl_add_u64 v[30:31], v[30:31], 0, 2
	v_lshl_add_u64 v[32:33], v[32:33], 0, 2
	s_waitcnt vmcnt(0)
	v_cmp_ne_u16_e32 vcc, v34, v35
	s_and_b64 s[50:51], vcc, exec
	s_or_b64 s[46:47], s[46:47], s[50:51]
.LBB739_316:                            ;   in Loop: Header=BB739_317 Depth=1
	s_and_b64 s[50:51], exec, s[46:47]
	s_or_b64 s[44:45], s[50:51], s[44:45]
	v_mov_b64_e32 v[34:35], s[48:49]
	s_andn2_b64 exec, exec, s[44:45]
	s_cbranch_execz .LBB739_319
.LBB739_317:                            ; =>This Inner Loop Header: Depth=1
	s_or_b64 s[46:47], s[46:47], exec
	s_cmp_eq_u64 s[42:43], s[48:49]
	s_cbranch_scc0 .LBB739_315
; %bb.318:                              ;   in Loop: Header=BB739_317 Depth=1
                                        ; implicit-def: $vgpr30_vgpr31
                                        ; implicit-def: $vgpr32_vgpr33
	s_mov_b64 s[48:49], s[26:27]
	s_branch .LBB739_316
.LBB739_319:
	s_or_b64 exec, exec, s[44:45]
	v_cmp_gt_i64_e32 vcc, s[26:27], v[34:35]
	s_orn2_b64 s[42:43], vcc, exec
.LBB739_320:
	s_or_b64 exec, exec, s[36:37]
.LBB739_321:
	s_and_b64 s[36:37], s[42:43], exec
.LBB739_322:
	s_or_b64 exec, exec, s[40:41]
	v_cndmask_b32_e64 v31, 0, 1, s[18:19]
	v_cndmask_b32_e64 v30, 0, 1, s[38:39]
	;; [unrolled: 1-line block ×3, first 2 shown]
	v_lshlrev_b16_e32 v31, 8, v31
	v_cndmask_b32_e64 v46, 0, 1, s[14:15]
	v_cndmask_b32_e64 v32, 0, 1, s[36:37]
	v_or_b32_sdwa v30, v30, v31 dst_sel:WORD_1 dst_unused:UNUSED_PAD src0_sel:DWORD src1_sel:DWORD
	v_lshlrev_b16_e32 v31, 8, v47
	v_lshlrev_b16_e32 v32, 8, v32
	v_or_b32_e32 v31, v46, v31
	v_or_b32_e32 v32, 1, v32
	v_and_b32_e32 v31, 0xffff, v31
	v_cndmask_b32_e64 v48, 0, 1, s[4:5]
	v_or_b32_sdwa v30, v32, v30 dst_sel:DWORD dst_unused:UNUSED_PAD src0_sel:WORD_0 src1_sel:DWORD
	v_lshl_or_b32 v31, v48, 16, v31
	v_cmp_ne_u32_e32 vcc, 0, v0
	s_waitcnt lgkmcnt(0)
	s_barrier
	s_waitcnt lgkmcnt(0)
                                        ; implicit-def: $sgpr18_sgpr19
                                        ; implicit-def: $vgpr34
	s_and_saveexec_b64 s[4:5], vcc
	s_cbranch_execz .LBB739_335
; %bb.323:
	v_cmp_gt_u32_e32 vcc, s3, v1
	s_mov_b32 s33, 0x3020104
	s_mov_b64 s[14:15], 0
	s_and_saveexec_b64 s[12:13], vcc
	s_cbranch_execz .LBB739_334
; %bb.324:
	s_andn2_b64 vcc, exec, s[6:7]
	s_cbranch_vccnz .LBB739_333
; %bb.325:
	v_add_u32_e32 v31, -8, v44
	ds_read_b64 v[32:33], v31
	v_mul_lo_u32 v31, v23, s26
	v_mad_u64_u32 v[36:37], s[6:7], v22, s26, 0
	s_mov_b64 s[14:15], -1
	s_waitcnt lgkmcnt(0)
	v_mul_lo_u32 v34, v33, s26
	v_mul_lo_u32 v35, v32, s27
	v_mad_u64_u32 v[32:33], s[6:7], v32, s26, 0
	v_add3_u32 v33, v33, v35, v34
	v_mul_lo_u32 v34, v22, s27
	v_add3_u32 v37, v37, v34, v31
	v_lshl_add_u64 v[34:35], v[32:33], 1, s[28:29]
	v_lshl_add_u64 v[32:33], v[36:37], 1, s[28:29]
	global_load_ushort v31, v[34:35], off
	global_load_ushort v36, v[32:33], off
	s_waitcnt vmcnt(0)
	v_cmp_eq_u16_e32 vcc, v31, v36
	s_and_saveexec_b64 s[6:7], vcc
	s_cbranch_execz .LBB739_332
; %bb.326:
	s_add_u32 s14, s26, -1
	v_lshl_add_u64 v[32:33], v[32:33], 0, 2
	v_lshl_add_u64 v[34:35], v[34:35], 0, 2
	s_addc_u32 s15, s27, -1
	s_mov_b64 s[18:19], 0
	s_mov_b64 s[36:37], 0
                                        ; implicit-def: $sgpr28_sgpr29
	s_branch .LBB739_329
.LBB739_327:                            ;   in Loop: Header=BB739_329 Depth=1
	global_load_ushort v31, v[34:35], off
	global_load_ushort v36, v[32:33], off
	s_add_u32 s36, s36, 1
	s_addc_u32 s37, s37, 0
	s_andn2_b64 s[28:29], s[28:29], exec
	v_lshl_add_u64 v[32:33], v[32:33], 0, 2
	v_lshl_add_u64 v[34:35], v[34:35], 0, 2
	s_waitcnt vmcnt(0)
	v_cmp_ne_u16_e32 vcc, v31, v36
	s_and_b64 s[38:39], vcc, exec
	s_or_b64 s[28:29], s[28:29], s[38:39]
.LBB739_328:                            ;   in Loop: Header=BB739_329 Depth=1
	s_and_b64 s[38:39], exec, s[28:29]
	s_or_b64 s[18:19], s[38:39], s[18:19]
	v_mov_b64_e32 v[36:37], s[36:37]
	s_andn2_b64 exec, exec, s[18:19]
	s_cbranch_execz .LBB739_331
.LBB739_329:                            ; =>This Inner Loop Header: Depth=1
	s_or_b64 s[28:29], s[28:29], exec
	s_cmp_eq_u64 s[14:15], s[36:37]
	s_cbranch_scc0 .LBB739_327
; %bb.330:                              ;   in Loop: Header=BB739_329 Depth=1
                                        ; implicit-def: $vgpr32_vgpr33
                                        ; implicit-def: $vgpr34_vgpr35
	s_mov_b64 s[36:37], s[26:27]
	s_branch .LBB739_328
.LBB739_331:
	s_or_b64 exec, exec, s[18:19]
	v_cmp_gt_i64_e32 vcc, s[26:27], v[36:37]
	s_orn2_b64 s[14:15], vcc, exec
.LBB739_332:
	s_or_b64 exec, exec, s[6:7]
.LBB739_333:
	s_and_b64 s[14:15], s[14:15], exec
.LBB739_334:
	s_or_b64 exec, exec, s[12:13]
	v_perm_b32 v34, v30, v30, s33
	s_and_b64 s[18:19], s[14:15], exec
	s_or_b64 s[10:11], s[10:11], exec
                                        ; implicit-def: $vgpr30_vgpr31
.LBB739_335:
	s_or_b64 exec, exec, s[4:5]
.LBB739_336:
	s_and_saveexec_b64 s[4:5], s[10:11]
	s_cbranch_execz .LBB739_338
; %bb.337:
	s_waitcnt lgkmcnt(0)
	v_lshlrev_b16_e32 v31, 8, v47
	v_and_b32_e32 v32, 0xff, v48
	v_or_b32_sdwa v31, v46, v31 dst_sel:DWORD dst_unused:UNUSED_PAD src0_sel:BYTE_0 src1_sel:DWORD
	v_lshlrev_b32_e32 v32, 16, v32
	s_movk_i32 s6, 0xff
	v_or_b32_sdwa v31, v31, v32 dst_sel:DWORD dst_unused:UNUSED_PAD src0_sel:WORD_0 src1_sel:DWORD
	v_lshrrev_b32_e32 v32, 24, v34
	v_lshlrev_b16_e32 v32, 8, v32
	v_and_b32_sdwa v33, v34, s6 dst_sel:DWORD dst_unused:UNUSED_PAD src0_sel:WORD_1 src1_sel:DWORD
	v_or_b32_sdwa v32, v33, v32 dst_sel:WORD_1 dst_unused:UNUSED_PAD src0_sel:DWORD src1_sel:DWORD
	v_mov_b32_e32 v33, 8
	v_cndmask_b32_e64 v30, 0, 1, s[18:19]
	v_lshrrev_b32_sdwa v33, v33, v34 dst_sel:BYTE_1 dst_unused:UNUSED_PAD src0_sel:DWORD src1_sel:DWORD
	s_nop 0
	v_or_b32_e32 v30, v30, v33
	v_or_b32_sdwa v30, v30, v32 dst_sel:DWORD dst_unused:UNUSED_PAD src0_sel:WORD_0 src1_sel:DWORD
.LBB739_338:
	s_or_b64 exec, exec, s[4:5]
	s_andn2_b64 vcc, exec, s[8:9]
	s_cbranch_vccnz .LBB739_340
; %bb.339:
	s_waitcnt lgkmcnt(0)
	v_and_b32_e32 v32, 0xffff0000, v30
	v_cmp_gt_u32_e32 vcc, s3, v1
	s_mov_b32 s4, 0x40c0100
	s_nop 0
	v_cndmask_b32_e32 v1, v32, v30, vcc
	v_and_b32_e32 v1, 0xffff00ff, v1
	v_cmp_gt_u32_e32 vcc, s3, v41
	s_nop 1
	v_cndmask_b32_e32 v1, v1, v30, vcc
	v_lshrrev_b32_e32 v32, 24, v1
	v_perm_b32 v1, v32, v1, s4
	v_cmp_gt_u32_e32 vcc, s3, v38
	v_and_b32_e32 v32, 0xffffff00, v31
	s_nop 0
	v_cndmask_b32_e32 v1, v1, v30, vcc
	v_and_b32_e32 v1, 0xffffff, v1
	v_cmp_gt_u32_e32 vcc, s3, v42
	s_nop 1
	v_cndmask_b32_e32 v1, v1, v30, vcc
	v_cmp_gt_u32_e32 vcc, s3, v39
	s_nop 1
	v_cndmask_b32_e32 v32, v32, v31, vcc
	v_and_b32_e32 v32, 0xffff00ff, v32
	v_cndmask_b32_e32 v1, v1, v30, vcc
	v_cmp_gt_u32_e32 vcc, s3, v43
	s_nop 1
	v_cndmask_b32_e32 v32, v32, v31, vcc
	v_lshrrev_b32_e32 v33, 24, v32
	v_cndmask_b32_e32 v1, v1, v30, vcc
	v_perm_b32 v32, v33, v32, s4
	v_cmp_gt_u32_e32 vcc, s3, v40
	s_mov_b32 s3, 0x3020104
	s_nop 0
	v_cndmask_b32_e32 v1, v1, v30, vcc
	v_cndmask_b32_e32 v30, v32, v31, vcc
	v_mov_b32_e32 v31, 8
	v_lshrrev_b32_sdwa v31, v31, v30 dst_sel:BYTE_1 dst_unused:UNUSED_PAD src0_sel:DWORD src1_sel:DWORD
	s_nop 0
	v_or_b32_sdwa v31, v30, v31 dst_sel:DWORD dst_unused:UNUSED_PAD src0_sel:BYTE_0 src1_sel:DWORD
	v_and_b32_e32 v31, 0xffff, v31
	v_bfe_u32 v30, v30, 16, 8
	v_lshl_or_b32 v31, v30, 16, v31
	v_perm_b32 v30, v1, v1, s3
.LBB739_340:
	s_waitcnt lgkmcnt(0)
	v_and_b32_e32 v1, 0xff, v30
	v_bfe_u32 v43, v30, 8, 8
	v_bfe_u32 v45, v30, 16, 8
	v_alignbit_b32 v32, v31, v30, 24
	v_and_b32_e32 v47, 0xff, v32
	v_and_b32_e32 v48, 0xff, v31
	v_add3_u32 v33, v43, v1, v45
	v_bfe_u32 v49, v31, 8, 8
	v_bfe_u32 v32, v31, 16, 8
	v_add3_u32 v33, v33, v47, v48
	v_add3_u32 v52, v33, v49, v32
	v_mbcnt_lo_u32_b32 v32, -1, 0
	v_mbcnt_hi_u32_b32 v50, -1, v32
	v_and_b32_e32 v32, 15, v50
	v_cmp_eq_u32_e64 s[14:15], 0, v32
	v_cmp_lt_u32_e64 s[12:13], 1, v32
	v_cmp_lt_u32_e64 s[10:11], 3, v32
	;; [unrolled: 1-line block ×3, first 2 shown]
	v_and_b32_e32 v32, 16, v50
	v_cmp_eq_u32_e64 s[6:7], 0, v32
	v_or_b32_e32 v32, 63, v0
	v_cmp_lt_u32_e64 s[18:19], 31, v50
	v_lshrrev_b32_e32 v51, 6, v0
	v_cmp_eq_u32_e64 s[4:5], v32, v0
	s_and_b64 vcc, exec, s[16:17]
	s_barrier
	s_cbranch_vccz .LBB739_371
; %bb.341:
	v_mov_b32_dpp v32, v52 row_shr:1 row_mask:0xf bank_mask:0xf
	v_cndmask_b32_e64 v32, v32, 0, s[14:15]
	v_add_u32_e32 v32, v32, v52
	s_nop 1
	v_mov_b32_dpp v33, v32 row_shr:2 row_mask:0xf bank_mask:0xf
	v_cndmask_b32_e64 v33, 0, v33, s[12:13]
	v_add_u32_e32 v32, v32, v33
	s_nop 1
	;; [unrolled: 4-line block ×4, first 2 shown]
	v_mov_b32_dpp v33, v32 row_bcast:15 row_mask:0xf bank_mask:0xf
	v_cndmask_b32_e64 v33, v33, 0, s[6:7]
	v_add_u32_e32 v32, v32, v33
	s_nop 1
	v_mov_b32_dpp v33, v32 row_bcast:31 row_mask:0xf bank_mask:0xf
	v_cndmask_b32_e64 v33, 0, v33, s[18:19]
	v_add_u32_e32 v32, v32, v33
	s_and_saveexec_b64 s[16:17], s[4:5]
	s_cbranch_execz .LBB739_343
; %bb.342:
	v_lshlrev_b32_e32 v33, 2, v51
	ds_write_b32 v33, v32
.LBB739_343:
	s_or_b64 exec, exec, s[16:17]
	v_cmp_gt_u32_e32 vcc, 8, v0
	s_waitcnt lgkmcnt(0)
	s_barrier
	s_and_saveexec_b64 s[16:17], vcc
	s_cbranch_execz .LBB739_345
; %bb.344:
	v_lshlrev_b32_e32 v33, 2, v0
	ds_read_b32 v34, v33
	v_and_b32_e32 v35, 7, v50
	v_cmp_ne_u32_e32 vcc, 0, v35
	s_waitcnt lgkmcnt(0)
	v_mov_b32_dpp v36, v34 row_shr:1 row_mask:0xf bank_mask:0xf
	v_cndmask_b32_e32 v36, 0, v36, vcc
	v_add_u32_e32 v34, v36, v34
	v_cmp_lt_u32_e32 vcc, 1, v35
	s_nop 0
	v_mov_b32_dpp v36, v34 row_shr:2 row_mask:0xf bank_mask:0xf
	v_cndmask_b32_e32 v36, 0, v36, vcc
	v_add_u32_e32 v34, v34, v36
	v_cmp_lt_u32_e32 vcc, 3, v35
	s_nop 0
	v_mov_b32_dpp v36, v34 row_shr:4 row_mask:0xf bank_mask:0xf
	v_cndmask_b32_e32 v35, 0, v36, vcc
	v_add_u32_e32 v34, v34, v35
	ds_write_b32 v33, v34
.LBB739_345:
	s_or_b64 exec, exec, s[16:17]
	v_cmp_gt_u32_e32 vcc, 64, v0
	v_cmp_lt_u32_e64 s[16:17], 63, v0
	s_waitcnt lgkmcnt(0)
	s_barrier
	s_waitcnt lgkmcnt(0)
                                        ; implicit-def: $vgpr42
	s_and_saveexec_b64 s[26:27], s[16:17]
	s_cbranch_execz .LBB739_347
; %bb.346:
	v_lshl_add_u32 v33, v51, 2, -4
	ds_read_b32 v42, v33
	s_waitcnt lgkmcnt(0)
	v_add_u32_e32 v32, v42, v32
.LBB739_347:
	s_or_b64 exec, exec, s[26:27]
	v_add_u32_e32 v33, -1, v50
	v_and_b32_e32 v34, 64, v50
	v_cmp_lt_i32_e64 s[16:17], v33, v34
	s_nop 1
	v_cndmask_b32_e64 v33, v33, v50, s[16:17]
	v_lshlrev_b32_e32 v33, 2, v33
	ds_bpermute_b32 v44, v33, v32
	v_cmp_eq_u32_e64 s[16:17], 0, v50
	s_and_saveexec_b64 s[26:27], vcc
	s_cbranch_execz .LBB739_370
; %bb.348:
	v_mov_b32_e32 v41, 0
	ds_read_b32 v32, v41 offset:28
	s_and_saveexec_b64 s[28:29], s[16:17]
	s_cbranch_execz .LBB739_350
; %bb.349:
	s_add_i32 s36, s2, 64
	s_mov_b32 s37, 0
	s_lshl_b64 s[36:37], s[36:37], 3
	s_add_u32 s36, s30, s36
	v_mov_b32_e32 v33, 1
	s_addc_u32 s37, s31, s37
	s_waitcnt lgkmcnt(0)
	global_store_dwordx2 v41, v[32:33], s[36:37] sc1
.LBB739_350:
	s_or_b64 exec, exec, s[28:29]
	v_xad_u32 v34, v50, -1, s2
	v_add_u32_e32 v40, 64, v34
	v_lshl_add_u64 v[36:37], v[40:41], 3, s[30:31]
	global_load_dwordx2 v[38:39], v[36:37], off sc1
	s_waitcnt vmcnt(0)
	v_cmp_eq_u16_sdwa s[36:37], v39, v41 src0_sel:BYTE_0 src1_sel:DWORD
	s_and_saveexec_b64 s[28:29], s[36:37]
	s_cbranch_execz .LBB739_356
; %bb.351:
	s_mov_b32 s3, 1
	s_mov_b64 s[36:37], 0
	v_mov_b32_e32 v33, 0
.LBB739_352:                            ; =>This Loop Header: Depth=1
                                        ;     Child Loop BB739_353 Depth 2
	s_max_u32 s33, s3, 1
.LBB739_353:                            ;   Parent Loop BB739_352 Depth=1
                                        ; =>  This Inner Loop Header: Depth=2
	s_add_i32 s33, s33, -1
	s_cmp_eq_u32 s33, 0
	s_sleep 1
	s_cbranch_scc0 .LBB739_353
; %bb.354:                              ;   in Loop: Header=BB739_352 Depth=1
	global_load_dwordx2 v[38:39], v[36:37], off sc1
	s_cmp_lt_u32 s3, 32
	s_cselect_b64 s[38:39], -1, 0
	s_cmp_lg_u64 s[38:39], 0
	s_addc_u32 s3, s3, 0
	s_waitcnt vmcnt(0)
	v_cmp_ne_u16_sdwa s[38:39], v39, v33 src0_sel:BYTE_0 src1_sel:DWORD
	s_or_b64 s[36:37], s[38:39], s[36:37]
	s_andn2_b64 exec, exec, s[36:37]
	s_cbranch_execnz .LBB739_352
; %bb.355:
	s_or_b64 exec, exec, s[36:37]
.LBB739_356:
	s_or_b64 exec, exec, s[28:29]
	v_and_b32_e32 v46, 63, v50
	v_mov_b32_e32 v33, 2
	v_cmp_ne_u32_e32 vcc, 63, v46
	v_cmp_eq_u16_sdwa s[28:29], v39, v33 src0_sel:BYTE_0 src1_sel:DWORD
	v_lshlrev_b64 v[36:37], v50, -1
	v_addc_co_u32_e32 v41, vcc, 0, v50, vcc
	v_and_b32_e32 v35, s29, v37
	v_lshlrev_b32_e32 v53, 2, v41
	v_or_b32_e32 v35, 0x80000000, v35
	ds_bpermute_b32 v41, v53, v38
	v_and_b32_e32 v40, s28, v36
	v_ffbl_b32_e32 v35, v35
	v_add_u32_e32 v35, 32, v35
	v_ffbl_b32_e32 v40, v40
	v_min_u32_e32 v35, v40, v35
	v_cmp_lt_u32_e32 vcc, v46, v35
	v_add_u32_e32 v55, 2, v46
	v_add_u32_e32 v57, 4, v46
	s_waitcnt lgkmcnt(0)
	v_cndmask_b32_e32 v40, 0, v41, vcc
	v_cmp_gt_u32_e32 vcc, 62, v46
	v_add_u32_e32 v38, v40, v38
	v_add_u32_e32 v59, 8, v46
	v_cndmask_b32_e64 v40, 0, 1, vcc
	v_lshlrev_b32_e32 v40, 1, v40
	v_add_lshl_u32 v54, v40, v50, 2
	ds_bpermute_b32 v40, v54, v38
	v_cmp_le_u32_e32 vcc, v55, v35
	v_add_u32_e32 v62, 16, v46
	v_add_u32_e32 v64, 32, v46
	s_waitcnt lgkmcnt(0)
	v_cndmask_b32_e32 v40, 0, v40, vcc
	v_cmp_gt_u32_e32 vcc, 60, v46
	v_add_u32_e32 v38, v38, v40
	s_nop 0
	v_cndmask_b32_e64 v40, 0, 1, vcc
	v_lshlrev_b32_e32 v40, 2, v40
	v_add_lshl_u32 v56, v40, v50, 2
	ds_bpermute_b32 v40, v56, v38
	v_cmp_le_u32_e32 vcc, v57, v35
	s_waitcnt lgkmcnt(0)
	s_nop 0
	v_cndmask_b32_e32 v40, 0, v40, vcc
	v_cmp_gt_u32_e32 vcc, 56, v46
	v_add_u32_e32 v38, v38, v40
	s_nop 0
	v_cndmask_b32_e64 v40, 0, 1, vcc
	v_lshlrev_b32_e32 v40, 3, v40
	v_add_lshl_u32 v58, v40, v50, 2
	ds_bpermute_b32 v40, v58, v38
	v_cmp_le_u32_e32 vcc, v59, v35
	s_waitcnt lgkmcnt(0)
	s_nop 0
	;; [unrolled: 11-line block ×4, first 2 shown]
	v_cndmask_b32_e32 v35, 0, v40, vcc
	v_add_u32_e32 v38, v38, v35
	v_mov_b32_e32 v35, 0
	s_branch .LBB739_358
.LBB739_357:                            ;   in Loop: Header=BB739_358 Depth=1
	s_or_b64 exec, exec, s[28:29]
	v_cmp_eq_u16_sdwa s[28:29], v39, v33 src0_sel:BYTE_0 src1_sel:DWORD
	ds_bpermute_b32 v65, v53, v38
	v_subrev_u32_e32 v34, 64, v34
	v_and_b32_e32 v40, s29, v37
	v_or_b32_e32 v40, 0x80000000, v40
	v_and_b32_e32 v41, s28, v36
	v_ffbl_b32_e32 v40, v40
	v_add_u32_e32 v40, 32, v40
	v_ffbl_b32_e32 v41, v41
	v_min_u32_e32 v40, v41, v40
	v_cmp_lt_u32_e32 vcc, v46, v40
	s_waitcnt lgkmcnt(0)
	s_nop 0
	v_cndmask_b32_e32 v41, 0, v65, vcc
	v_add_u32_e32 v38, v41, v38
	ds_bpermute_b32 v41, v54, v38
	v_cmp_le_u32_e32 vcc, v55, v40
	s_waitcnt lgkmcnt(0)
	s_nop 0
	v_cndmask_b32_e32 v41, 0, v41, vcc
	v_add_u32_e32 v38, v38, v41
	ds_bpermute_b32 v41, v56, v38
	v_cmp_le_u32_e32 vcc, v57, v40
	;; [unrolled: 6-line block ×5, first 2 shown]
	s_waitcnt lgkmcnt(0)
	s_nop 0
	v_cndmask_b32_e32 v40, 0, v41, vcc
	v_add3_u32 v38, v40, v60, v38
.LBB739_358:                            ; =>This Loop Header: Depth=1
                                        ;     Child Loop BB739_361 Depth 2
                                        ;       Child Loop BB739_362 Depth 3
	v_cmp_ne_u16_sdwa s[28:29], v39, v33 src0_sel:BYTE_0 src1_sel:DWORD
	v_mov_b32_e32 v60, v38
	s_nop 0
	v_cndmask_b32_e64 v39, 0, 1, s[28:29]
	;;#ASMSTART
	;;#ASMEND
	s_nop 0
	v_cmp_ne_u32_e32 vcc, 0, v39
	s_cmp_lg_u64 vcc, exec
	s_cbranch_scc1 .LBB739_365
; %bb.359:                              ;   in Loop: Header=BB739_358 Depth=1
	v_lshl_add_u64 v[40:41], v[34:35], 3, s[30:31]
	global_load_dwordx2 v[38:39], v[40:41], off sc1
	s_waitcnt vmcnt(0)
	v_cmp_eq_u16_sdwa s[36:37], v39, v35 src0_sel:BYTE_0 src1_sel:DWORD
	s_and_saveexec_b64 s[28:29], s[36:37]
	s_cbranch_execz .LBB739_357
; %bb.360:                              ;   in Loop: Header=BB739_358 Depth=1
	s_mov_b32 s3, 1
	s_mov_b64 s[36:37], 0
.LBB739_361:                            ;   Parent Loop BB739_358 Depth=1
                                        ; =>  This Loop Header: Depth=2
                                        ;       Child Loop BB739_362 Depth 3
	s_max_u32 s33, s3, 1
.LBB739_362:                            ;   Parent Loop BB739_358 Depth=1
                                        ;     Parent Loop BB739_361 Depth=2
                                        ; =>    This Inner Loop Header: Depth=3
	s_add_i32 s33, s33, -1
	s_cmp_eq_u32 s33, 0
	s_sleep 1
	s_cbranch_scc0 .LBB739_362
; %bb.363:                              ;   in Loop: Header=BB739_361 Depth=2
	global_load_dwordx2 v[38:39], v[40:41], off sc1
	s_cmp_lt_u32 s3, 32
	s_cselect_b64 s[38:39], -1, 0
	s_cmp_lg_u64 s[38:39], 0
	s_addc_u32 s3, s3, 0
	s_waitcnt vmcnt(0)
	v_cmp_ne_u16_sdwa s[38:39], v39, v35 src0_sel:BYTE_0 src1_sel:DWORD
	s_or_b64 s[36:37], s[38:39], s[36:37]
	s_andn2_b64 exec, exec, s[36:37]
	s_cbranch_execnz .LBB739_361
; %bb.364:                              ;   in Loop: Header=BB739_358 Depth=1
	s_or_b64 exec, exec, s[36:37]
	s_branch .LBB739_357
.LBB739_365:                            ;   in Loop: Header=BB739_358 Depth=1
                                        ; implicit-def: $vgpr38
                                        ; implicit-def: $vgpr39
	s_cbranch_execz .LBB739_358
; %bb.366:
	s_and_saveexec_b64 s[28:29], s[16:17]
	s_cbranch_execz .LBB739_368
; %bb.367:
	s_add_i32 s2, s2, 64
	s_mov_b32 s3, 0
	s_lshl_b64 s[2:3], s[2:3], 3
	s_add_u32 s2, s30, s2
	v_add_u32_e32 v34, v60, v32
	v_mov_b32_e32 v35, 2
	s_addc_u32 s3, s31, s3
	v_mov_b32_e32 v33, 0
	global_store_dwordx2 v33, v[34:35], s[2:3] sc1
	s_movk_i32 s2, 0x7000
	v_add_u32_e64 v33, s2, 0
	ds_write2_b32 v33, v32, v60 offset1:2
.LBB739_368:
	s_or_b64 exec, exec, s[28:29]
	v_cmp_eq_u32_e32 vcc, 0, v0
	s_and_b64 exec, exec, vcc
	s_cbranch_execz .LBB739_370
; %bb.369:
	v_mov_b32_e32 v32, 0
	ds_write_b32 v32, v60 offset:28
.LBB739_370:
	s_or_b64 exec, exec, s[26:27]
	v_mov_b32_e32 v32, 0
	s_waitcnt lgkmcnt(0)
	s_barrier
	ds_read_b32 v32, v32 offset:28
	v_cndmask_b32_e64 v33, v44, v42, s[16:17]
	v_cmp_ne_u32_e32 vcc, 0, v0
	s_movk_i32 s2, 0x7000
	s_waitcnt lgkmcnt(0)
	v_cndmask_b32_e32 v33, 0, v33, vcc
	v_add_u32_e32 v46, v32, v33
	v_add_u32_e64 v32, s2, 0
	v_add_u32_e32 v44, v46, v1
	s_barrier
	ds_read2_b32 v[32:33], v32 offset1:2
	v_add_u32_e32 v42, v44, v43
	v_add_u32_e32 v40, v42, v45
	;; [unrolled: 1-line block ×5, first 2 shown]
	s_waitcnt lgkmcnt(0)
	v_readfirstlane_b32 s26, v32
	v_readfirstlane_b32 s16, v33
	v_lshrrev_b64 v[32:33], 24, v[30:31]
	s_branch .LBB739_381
.LBB739_371:
                                        ; implicit-def: $vgpr34
                                        ; implicit-def: $vgpr36
                                        ; implicit-def: $vgpr38
                                        ; implicit-def: $vgpr40
                                        ; implicit-def: $vgpr42
                                        ; implicit-def: $vgpr44
                                        ; implicit-def: $vgpr46
                                        ; implicit-def: $sgpr16
                                        ; implicit-def: $sgpr26
	v_lshrrev_b64 v[32:33], 24, v[30:31]
	s_cbranch_execz .LBB739_381
; %bb.372:
	s_nop 0
	v_mov_b32_dpp v33, v52 row_shr:1 row_mask:0xf bank_mask:0xf
	v_cndmask_b32_e64 v33, v33, 0, s[14:15]
	v_add_u32_e32 v33, v33, v52
	s_nop 1
	v_mov_b32_dpp v34, v33 row_shr:2 row_mask:0xf bank_mask:0xf
	v_cndmask_b32_e64 v34, 0, v34, s[12:13]
	v_add_u32_e32 v33, v33, v34
	;; [unrolled: 4-line block ×4, first 2 shown]
	s_nop 1
	v_mov_b32_dpp v34, v33 row_bcast:15 row_mask:0xf bank_mask:0xf
	v_cndmask_b32_e64 v34, v34, 0, s[6:7]
	v_add_u32_e32 v33, v33, v34
	s_nop 1
	v_mov_b32_dpp v34, v33 row_bcast:31 row_mask:0xf bank_mask:0xf
	v_cndmask_b32_e64 v34, 0, v34, s[18:19]
	v_add_u32_e32 v33, v33, v34
	s_and_saveexec_b64 s[2:3], s[4:5]
	s_cbranch_execz .LBB739_374
; %bb.373:
	v_lshlrev_b32_e32 v34, 2, v51
	ds_write_b32 v34, v33
.LBB739_374:
	s_or_b64 exec, exec, s[2:3]
	v_cmp_gt_u32_e32 vcc, 8, v0
	s_waitcnt lgkmcnt(0)
	s_barrier
	s_and_saveexec_b64 s[2:3], vcc
	s_cbranch_execz .LBB739_376
; %bb.375:
	v_lshlrev_b32_e32 v34, 2, v0
	ds_read_b32 v35, v34
	v_and_b32_e32 v36, 7, v50
	v_cmp_ne_u32_e32 vcc, 0, v36
	s_waitcnt lgkmcnt(0)
	v_mov_b32_dpp v37, v35 row_shr:1 row_mask:0xf bank_mask:0xf
	v_cndmask_b32_e32 v37, 0, v37, vcc
	v_add_u32_e32 v35, v37, v35
	v_cmp_lt_u32_e32 vcc, 1, v36
	s_nop 0
	v_mov_b32_dpp v37, v35 row_shr:2 row_mask:0xf bank_mask:0xf
	v_cndmask_b32_e32 v37, 0, v37, vcc
	v_add_u32_e32 v35, v35, v37
	v_cmp_lt_u32_e32 vcc, 3, v36
	s_nop 0
	v_mov_b32_dpp v37, v35 row_shr:4 row_mask:0xf bank_mask:0xf
	v_cndmask_b32_e32 v36, 0, v37, vcc
	v_add_u32_e32 v35, v35, v36
	ds_write_b32 v34, v35
.LBB739_376:
	s_or_b64 exec, exec, s[2:3]
	v_cmp_lt_u32_e32 vcc, 63, v0
	v_mov_b32_e32 v35, 0
	v_mov_b32_e32 v34, 0
	s_waitcnt lgkmcnt(0)
	s_barrier
	s_and_saveexec_b64 s[2:3], vcc
	s_cbranch_execz .LBB739_378
; %bb.377:
	v_lshl_add_u32 v34, v51, 2, -4
	ds_read_b32 v34, v34
.LBB739_378:
	s_or_b64 exec, exec, s[2:3]
	v_add_u32_e32 v36, -1, v50
	v_and_b32_e32 v37, 64, v50
	v_cmp_lt_i32_e32 vcc, v36, v37
	s_waitcnt lgkmcnt(0)
	v_add_u32_e32 v33, v34, v33
	ds_read_b32 v35, v35 offset:28
	v_cndmask_b32_e32 v36, v36, v50, vcc
	v_lshlrev_b32_e32 v36, 2, v36
	ds_bpermute_b32 v33, v36, v33
	s_mov_b32 s16, 0
	v_cmp_eq_u32_e32 vcc, 0, v0
	s_waitcnt lgkmcnt(1)
	v_readfirstlane_b32 s26, v35
	s_and_saveexec_b64 s[2:3], vcc
	s_cbranch_execz .LBB739_380
; %bb.379:
	v_mov_b32_e32 v35, 0
	v_mov_b32_e32 v36, s26
	;; [unrolled: 1-line block ×3, first 2 shown]
	global_store_dwordx2 v35, v[36:37], s[30:31] offset:512 sc1
.LBB739_380:
	s_or_b64 exec, exec, s[2:3]
	v_cmp_eq_u32_e64 s[2:3], 0, v50
	s_waitcnt lgkmcnt(0)
	s_barrier
	v_cndmask_b32_e64 v33, v33, v34, s[2:3]
	v_cndmask_b32_e64 v46, v33, 0, vcc
	v_add_u32_e32 v44, v46, v1
	v_add_u32_e32 v42, v44, v43
	v_add_u32_e32 v40, v42, v45
	v_add_u32_e32 v38, v40, v47
	v_add_u32_e32 v36, v38, v48
	v_add_u32_e32 v34, v36, v49
.LBB739_381:
	s_load_dwordx4 s[4:7], s[0:1], 0x28
	s_cmpk_lt_u32 s26, 0x201
	s_cselect_b64 s[2:3], -1, 0
	v_lshrrev_b32_e32 v33, 8, v30
	v_lshrrev_b32_e32 v1, 8, v31
	s_mov_b64 s[0:1], -1
	s_and_b64 vcc, exec, s[2:3]
	s_cbranch_vccz .LBB739_404
; %bb.382:
	s_add_i32 s8, s16, s26
	v_cmp_gt_u32_e32 vcc, s8, v46
	s_or_b64 s[10:11], s[34:35], vcc
	s_and_saveexec_b64 s[0:1], s[10:11]
	s_cbranch_execz .LBB739_385
; %bb.383:
	v_and_b32_e32 v35, 1, v30
	v_cmp_eq_u32_e32 vcc, 1, v35
	s_and_b64 exec, exec, vcc
	s_cbranch_execz .LBB739_385
; %bb.384:
	s_lshl_b64 s[10:11], s[22:23], 3
	s_waitcnt lgkmcnt(0)
	s_add_u32 s10, s4, s10
	s_addc_u32 s11, s5, s11
	v_mov_b32_e32 v47, 0
	v_lshl_add_u64 v[48:49], v[46:47], 3, s[10:11]
	global_store_dwordx2 v[48:49], v[22:23], off
.LBB739_385:
	s_or_b64 exec, exec, s[0:1]
	v_cmp_gt_u32_e32 vcc, s8, v44
	s_or_b64 s[10:11], s[34:35], vcc
	s_and_saveexec_b64 s[0:1], s[10:11]
	s_cbranch_execz .LBB739_388
; %bb.386:
	v_and_b32_e32 v35, 1, v33
	v_cmp_eq_u32_e32 vcc, 1, v35
	s_and_b64 exec, exec, vcc
	s_cbranch_execz .LBB739_388
; %bb.387:
	s_lshl_b64 s[10:11], s[22:23], 3
	s_waitcnt lgkmcnt(0)
	s_add_u32 s10, s4, s10
	s_addc_u32 s11, s5, s11
	v_mov_b32_e32 v45, 0
	v_lshl_add_u64 v[48:49], v[44:45], 3, s[10:11]
	global_store_dwordx2 v[48:49], v[24:25], off
.LBB739_388:
	s_or_b64 exec, exec, s[0:1]
	v_cmp_gt_u32_e32 vcc, s8, v42
	s_or_b64 s[10:11], s[34:35], vcc
	s_and_saveexec_b64 s[0:1], s[10:11]
	s_cbranch_execz .LBB739_391
; %bb.389:
	v_mov_b32_e32 v35, 1
	v_and_b32_sdwa v35, v35, v30 dst_sel:DWORD dst_unused:UNUSED_PAD src0_sel:DWORD src1_sel:WORD_1
	v_cmp_eq_u32_e32 vcc, 1, v35
	s_and_b64 exec, exec, vcc
	s_cbranch_execz .LBB739_391
; %bb.390:
	s_lshl_b64 s[10:11], s[22:23], 3
	s_waitcnt lgkmcnt(0)
	s_add_u32 s10, s4, s10
	s_addc_u32 s11, s5, s11
	v_mov_b32_e32 v43, 0
	v_lshl_add_u64 v[48:49], v[42:43], 3, s[10:11]
	global_store_dwordx2 v[48:49], v[18:19], off
.LBB739_391:
	s_or_b64 exec, exec, s[0:1]
	v_cmp_gt_u32_e32 vcc, s8, v40
	s_or_b64 s[10:11], s[34:35], vcc
	s_and_saveexec_b64 s[0:1], s[10:11]
	s_cbranch_execz .LBB739_394
; %bb.392:
	v_and_b32_e32 v35, 1, v32
	v_cmp_eq_u32_e32 vcc, 1, v35
	s_and_b64 exec, exec, vcc
	s_cbranch_execz .LBB739_394
; %bb.393:
	s_lshl_b64 s[10:11], s[22:23], 3
	s_waitcnt lgkmcnt(0)
	s_add_u32 s10, s4, s10
	s_addc_u32 s11, s5, s11
	v_mov_b32_e32 v41, 0
	v_lshl_add_u64 v[48:49], v[40:41], 3, s[10:11]
	global_store_dwordx2 v[48:49], v[20:21], off
.LBB739_394:
	s_or_b64 exec, exec, s[0:1]
	v_cmp_gt_u32_e32 vcc, s8, v38
	s_or_b64 s[10:11], s[34:35], vcc
	s_and_saveexec_b64 s[0:1], s[10:11]
	s_cbranch_execz .LBB739_397
; %bb.395:
	v_and_b32_e32 v35, 1, v31
	v_cmp_eq_u32_e32 vcc, 1, v35
	s_and_b64 exec, exec, vcc
	s_cbranch_execz .LBB739_397
; %bb.396:
	s_lshl_b64 s[10:11], s[22:23], 3
	s_waitcnt lgkmcnt(0)
	s_add_u32 s10, s4, s10
	s_addc_u32 s11, s5, s11
	v_mov_b32_e32 v39, 0
	v_lshl_add_u64 v[48:49], v[38:39], 3, s[10:11]
	global_store_dwordx2 v[48:49], v[14:15], off
.LBB739_397:
	;; [unrolled: 19-line block ×3, first 2 shown]
	s_or_b64 exec, exec, s[0:1]
	v_cmp_gt_u32_e32 vcc, s8, v34
	s_or_b64 s[8:9], s[34:35], vcc
	s_and_saveexec_b64 s[0:1], s[8:9]
	s_cbranch_execz .LBB739_403
; %bb.401:
	v_mov_b32_e32 v35, 1
	v_and_b32_sdwa v35, v35, v31 dst_sel:DWORD dst_unused:UNUSED_PAD src0_sel:DWORD src1_sel:WORD_1
	v_cmp_eq_u32_e32 vcc, 1, v35
	s_and_b64 exec, exec, vcc
	s_cbranch_execz .LBB739_403
; %bb.402:
	s_lshl_b64 s[8:9], s[22:23], 3
	s_waitcnt lgkmcnt(0)
	s_add_u32 s8, s4, s8
	s_addc_u32 s9, s5, s9
	v_mov_b32_e32 v35, 0
	v_lshl_add_u64 v[48:49], v[34:35], 3, s[8:9]
	global_store_dwordx2 v[48:49], v[28:29], off
.LBB739_403:
	s_or_b64 exec, exec, s[0:1]
	s_mov_b64 s[0:1], 0
.LBB739_404:
	v_and_b32_e32 v48, 1, v30
	s_and_b64 vcc, exec, s[0:1]
	v_cmp_eq_u32_e64 s[0:1], 1, v48
	s_cbranch_vccz .LBB739_423
; %bb.405:
	s_and_saveexec_b64 s[8:9], s[0:1]
	s_cbranch_execz .LBB739_407
; %bb.406:
	v_subrev_u32_e32 v35, s16, v46
	v_lshlrev_b32_e32 v35, 3, v35
	ds_write_b64 v35, v[22:23]
.LBB739_407:
	s_or_b64 exec, exec, s[8:9]
	v_and_b32_e32 v22, 1, v33
	v_cmp_eq_u32_e32 vcc, 1, v22
	s_and_saveexec_b64 s[0:1], vcc
	s_cbranch_execz .LBB739_409
; %bb.408:
	v_subrev_u32_e32 v22, s16, v44
	v_lshlrev_b32_e32 v22, 3, v22
	ds_write_b64 v22, v[24:25]
.LBB739_409:
	s_or_b64 exec, exec, s[0:1]
	v_mov_b32_e32 v22, 1
	v_and_b32_sdwa v22, v22, v30 dst_sel:DWORD dst_unused:UNUSED_PAD src0_sel:DWORD src1_sel:WORD_1
	v_cmp_eq_u32_e32 vcc, 1, v22
	s_and_saveexec_b64 s[0:1], vcc
	s_cbranch_execz .LBB739_411
; %bb.410:
	v_subrev_u32_e32 v22, s16, v42
	v_lshlrev_b32_e32 v22, 3, v22
	ds_write_b64 v22, v[18:19]
.LBB739_411:
	s_or_b64 exec, exec, s[0:1]
	v_and_b32_e32 v18, 1, v32
	v_cmp_eq_u32_e32 vcc, 1, v18
	s_and_saveexec_b64 s[0:1], vcc
	s_cbranch_execz .LBB739_413
; %bb.412:
	v_subrev_u32_e32 v18, s16, v40
	v_lshlrev_b32_e32 v18, 3, v18
	ds_write_b64 v18, v[20:21]
.LBB739_413:
	s_or_b64 exec, exec, s[0:1]
	v_and_b32_e32 v18, 1, v31
	;; [unrolled: 10-line block ×3, first 2 shown]
	v_cmp_eq_u32_e32 vcc, 1, v14
	s_and_saveexec_b64 s[0:1], vcc
	s_cbranch_execz .LBB739_417
; %bb.416:
	v_subrev_u32_e32 v14, s16, v36
	v_lshlrev_b32_e32 v14, 3, v14
	ds_write_b64 v14, v[16:17]
.LBB739_417:
	s_or_b64 exec, exec, s[0:1]
	v_mov_b32_e32 v14, 1
	v_and_b32_sdwa v14, v14, v31 dst_sel:DWORD dst_unused:UNUSED_PAD src0_sel:DWORD src1_sel:WORD_1
	v_cmp_eq_u32_e32 vcc, 1, v14
	s_and_saveexec_b64 s[0:1], vcc
	s_cbranch_execz .LBB739_419
; %bb.418:
	v_subrev_u32_e32 v14, s16, v34
	v_lshlrev_b32_e32 v14, 3, v14
	ds_write_b64 v14, v[28:29]
.LBB739_419:
	s_or_b64 exec, exec, s[0:1]
	v_cmp_gt_u32_e32 vcc, s26, v0
	s_waitcnt lgkmcnt(0)
	s_barrier
	s_and_saveexec_b64 s[0:1], vcc
	s_cbranch_execz .LBB739_422
; %bb.420:
	s_mov_b32 s17, 0
	s_lshl_b64 s[8:9], s[22:23], 3
	s_lshl_b64 s[10:11], s[16:17], 3
	s_add_u32 s8, s8, s10
	s_addc_u32 s9, s9, s11
	s_add_u32 s4, s4, s8
	v_lshlrev_b32_e32 v14, 3, v0
	v_mov_b32_e32 v15, 0
	s_addc_u32 s5, s5, s9
	v_lshl_add_u64 v[16:17], s[4:5], 0, v[14:15]
	s_mov_b64 s[4:5], 0
	s_mov_b64 s[8:9], 0x1000
	v_mov_b32_e32 v15, v0
.LBB739_421:                            ; =>This Inner Loop Header: Depth=1
	ds_read_b64 v[18:19], v14
	v_add_u32_e32 v15, 0x200, v15
	v_cmp_le_u32_e32 vcc, s26, v15
	v_add_u32_e32 v14, 0x1000, v14
	s_or_b64 s[4:5], vcc, s[4:5]
	s_waitcnt lgkmcnt(0)
	global_store_dwordx2 v[16:17], v[18:19], off
	v_lshl_add_u64 v[16:17], v[16:17], 0, s[8:9]
	s_andn2_b64 exec, exec, s[4:5]
	s_cbranch_execnz .LBB739_421
.LBB739_422:
	s_or_b64 exec, exec, s[0:1]
.LBB739_423:
	s_mov_b64 s[0:1], -1
	s_and_b64 vcc, exec, s[2:3]
	s_waitcnt lgkmcnt(0)
	s_barrier
	s_cbranch_vccnz .LBB739_427
; %bb.424:
	s_and_b64 vcc, exec, s[0:1]
	s_cbranch_vccnz .LBB739_449
.LBB739_425:
	v_cmp_eq_u32_e32 vcc, 0, v0
	s_and_b64 s[0:1], vcc, s[24:25]
	s_and_saveexec_b64 s[2:3], s[0:1]
	s_cbranch_execnz .LBB739_467
.LBB739_426:
	s_endpgm
.LBB739_427:
	s_add_i32 s2, s16, s26
	v_cmp_gt_u32_e32 vcc, s2, v46
	s_or_b64 s[4:5], s[34:35], vcc
	s_and_saveexec_b64 s[0:1], s[4:5]
	s_cbranch_execz .LBB739_430
; %bb.428:
	v_cmp_eq_u32_e32 vcc, 1, v48
	s_and_b64 exec, exec, vcc
	s_cbranch_execz .LBB739_430
; %bb.429:
	s_lshl_b64 s[4:5], s[22:23], 3
	s_add_u32 s4, s6, s4
	s_addc_u32 s5, s7, s5
	v_mov_b32_e32 v47, 0
	v_lshl_add_u64 v[14:15], v[46:47], 3, s[4:5]
	global_store_dwordx2 v[14:15], v[10:11], off
.LBB739_430:
	s_or_b64 exec, exec, s[0:1]
	v_cmp_gt_u32_e32 vcc, s2, v44
	s_or_b64 s[4:5], s[34:35], vcc
	s_and_saveexec_b64 s[0:1], s[4:5]
	s_cbranch_execz .LBB739_433
; %bb.431:
	v_and_b32_e32 v14, 1, v33
	v_cmp_eq_u32_e32 vcc, 1, v14
	s_and_b64 exec, exec, vcc
	s_cbranch_execz .LBB739_433
; %bb.432:
	s_lshl_b64 s[4:5], s[22:23], 3
	s_add_u32 s4, s6, s4
	s_addc_u32 s5, s7, s5
	v_mov_b32_e32 v45, 0
	v_lshl_add_u64 v[14:15], v[44:45], 3, s[4:5]
	global_store_dwordx2 v[14:15], v[12:13], off
.LBB739_433:
	s_or_b64 exec, exec, s[0:1]
	v_cmp_gt_u32_e32 vcc, s2, v42
	s_or_b64 s[4:5], s[34:35], vcc
	s_and_saveexec_b64 s[0:1], s[4:5]
	s_cbranch_execz .LBB739_436
; %bb.434:
	v_mov_b32_e32 v14, 1
	v_and_b32_sdwa v14, v14, v30 dst_sel:DWORD dst_unused:UNUSED_PAD src0_sel:DWORD src1_sel:WORD_1
	v_cmp_eq_u32_e32 vcc, 1, v14
	s_and_b64 exec, exec, vcc
	s_cbranch_execz .LBB739_436
; %bb.435:
	s_lshl_b64 s[4:5], s[22:23], 3
	s_add_u32 s4, s6, s4
	s_addc_u32 s5, s7, s5
	v_mov_b32_e32 v43, 0
	v_lshl_add_u64 v[14:15], v[42:43], 3, s[4:5]
	global_store_dwordx2 v[14:15], v[6:7], off
.LBB739_436:
	s_or_b64 exec, exec, s[0:1]
	v_cmp_gt_u32_e32 vcc, s2, v40
	s_or_b64 s[4:5], s[34:35], vcc
	s_and_saveexec_b64 s[0:1], s[4:5]
	s_cbranch_execz .LBB739_439
; %bb.437:
	v_and_b32_e32 v14, 1, v32
	v_cmp_eq_u32_e32 vcc, 1, v14
	s_and_b64 exec, exec, vcc
	s_cbranch_execz .LBB739_439
; %bb.438:
	s_lshl_b64 s[4:5], s[22:23], 3
	s_add_u32 s4, s6, s4
	s_addc_u32 s5, s7, s5
	v_mov_b32_e32 v41, 0
	v_lshl_add_u64 v[14:15], v[40:41], 3, s[4:5]
	global_store_dwordx2 v[14:15], v[8:9], off
.LBB739_439:
	s_or_b64 exec, exec, s[0:1]
	v_cmp_gt_u32_e32 vcc, s2, v38
	s_or_b64 s[4:5], s[34:35], vcc
	s_and_saveexec_b64 s[0:1], s[4:5]
	s_cbranch_execz .LBB739_442
; %bb.440:
	v_and_b32_e32 v14, 1, v31
	v_cmp_eq_u32_e32 vcc, 1, v14
	s_and_b64 exec, exec, vcc
	s_cbranch_execz .LBB739_442
; %bb.441:
	s_lshl_b64 s[4:5], s[22:23], 3
	s_add_u32 s4, s6, s4
	s_addc_u32 s5, s7, s5
	v_mov_b32_e32 v39, 0
	v_lshl_add_u64 v[14:15], v[38:39], 3, s[4:5]
	global_store_dwordx2 v[14:15], v[2:3], off
.LBB739_442:
	;; [unrolled: 18-line block ×3, first 2 shown]
	s_or_b64 exec, exec, s[0:1]
	v_cmp_gt_u32_e32 vcc, s2, v34
	s_or_b64 s[2:3], s[34:35], vcc
	s_and_saveexec_b64 s[0:1], s[2:3]
	s_cbranch_execz .LBB739_448
; %bb.446:
	v_mov_b32_e32 v14, 1
	v_and_b32_sdwa v14, v14, v31 dst_sel:DWORD dst_unused:UNUSED_PAD src0_sel:DWORD src1_sel:WORD_1
	v_cmp_eq_u32_e32 vcc, 1, v14
	s_and_b64 exec, exec, vcc
	s_cbranch_execz .LBB739_448
; %bb.447:
	s_lshl_b64 s[2:3], s[22:23], 3
	s_add_u32 s2, s6, s2
	s_addc_u32 s3, s7, s3
	v_mov_b32_e32 v35, 0
	v_lshl_add_u64 v[14:15], v[34:35], 3, s[2:3]
	global_store_dwordx2 v[14:15], v[26:27], off
.LBB739_448:
	s_or_b64 exec, exec, s[0:1]
	s_branch .LBB739_425
.LBB739_449:
	v_cmp_eq_u32_e32 vcc, 1, v48
	s_and_saveexec_b64 s[0:1], vcc
	s_cbranch_execz .LBB739_451
; %bb.450:
	v_subrev_u32_e32 v14, s16, v46
	v_lshlrev_b32_e32 v14, 3, v14
	ds_write_b64 v14, v[10:11]
.LBB739_451:
	s_or_b64 exec, exec, s[0:1]
	v_and_b32_e32 v10, 1, v33
	v_cmp_eq_u32_e32 vcc, 1, v10
	s_and_saveexec_b64 s[0:1], vcc
	s_cbranch_execz .LBB739_453
; %bb.452:
	v_subrev_u32_e32 v10, s16, v44
	v_lshlrev_b32_e32 v10, 3, v10
	ds_write_b64 v10, v[12:13]
.LBB739_453:
	s_or_b64 exec, exec, s[0:1]
	v_mov_b32_e32 v10, 1
	v_and_b32_sdwa v10, v10, v30 dst_sel:DWORD dst_unused:UNUSED_PAD src0_sel:DWORD src1_sel:WORD_1
	v_cmp_eq_u32_e32 vcc, 1, v10
	s_and_saveexec_b64 s[0:1], vcc
	s_cbranch_execz .LBB739_455
; %bb.454:
	v_subrev_u32_e32 v10, s16, v42
	v_lshlrev_b32_e32 v10, 3, v10
	ds_write_b64 v10, v[6:7]
.LBB739_455:
	s_or_b64 exec, exec, s[0:1]
	v_and_b32_e32 v6, 1, v32
	v_cmp_eq_u32_e32 vcc, 1, v6
	s_and_saveexec_b64 s[0:1], vcc
	s_cbranch_execz .LBB739_457
; %bb.456:
	v_subrev_u32_e32 v6, s16, v40
	v_lshlrev_b32_e32 v6, 3, v6
	ds_write_b64 v6, v[8:9]
.LBB739_457:
	s_or_b64 exec, exec, s[0:1]
	v_and_b32_e32 v6, 1, v31
	;; [unrolled: 10-line block ×3, first 2 shown]
	v_cmp_eq_u32_e32 vcc, 1, v1
	s_and_saveexec_b64 s[0:1], vcc
	s_cbranch_execz .LBB739_461
; %bb.460:
	v_subrev_u32_e32 v1, s16, v36
	v_lshlrev_b32_e32 v1, 3, v1
	ds_write_b64 v1, v[4:5]
.LBB739_461:
	s_or_b64 exec, exec, s[0:1]
	v_mov_b32_e32 v1, 1
	v_and_b32_sdwa v1, v1, v31 dst_sel:DWORD dst_unused:UNUSED_PAD src0_sel:DWORD src1_sel:WORD_1
	v_cmp_eq_u32_e32 vcc, 1, v1
	s_and_saveexec_b64 s[0:1], vcc
	s_cbranch_execz .LBB739_463
; %bb.462:
	v_subrev_u32_e32 v1, s16, v34
	v_lshlrev_b32_e32 v1, 3, v1
	ds_write_b64 v1, v[26:27]
.LBB739_463:
	s_or_b64 exec, exec, s[0:1]
	v_cmp_gt_u32_e32 vcc, s26, v0
	s_waitcnt lgkmcnt(0)
	s_barrier
	s_and_saveexec_b64 s[0:1], vcc
	s_cbranch_execz .LBB739_466
; %bb.464:
	s_mov_b32 s17, 0
	s_lshl_b64 s[2:3], s[22:23], 3
	s_lshl_b64 s[4:5], s[16:17], 3
	s_add_u32 s2, s2, s4
	s_addc_u32 s3, s3, s5
	s_add_u32 s2, s6, s2
	v_lshlrev_b32_e32 v2, 3, v0
	v_mov_b32_e32 v3, 0
	s_addc_u32 s3, s7, s3
	v_lshl_add_u64 v[4:5], s[2:3], 0, v[2:3]
	s_mov_b64 s[2:3], 0
	s_mov_b64 s[4:5], 0x1000
	v_mov_b32_e32 v1, v0
.LBB739_465:                            ; =>This Inner Loop Header: Depth=1
	ds_read_b64 v[6:7], v2
	v_add_u32_e32 v1, 0x200, v1
	v_cmp_le_u32_e32 vcc, s26, v1
	v_add_u32_e32 v2, 0x1000, v2
	s_or_b64 s[2:3], vcc, s[2:3]
	s_waitcnt lgkmcnt(0)
	global_store_dwordx2 v[4:5], v[6:7], off
	v_lshl_add_u64 v[4:5], v[4:5], 0, s[4:5]
	s_andn2_b64 exec, exec, s[2:3]
	s_cbranch_execnz .LBB739_465
.LBB739_466:
	s_or_b64 exec, exec, s[0:1]
	v_cmp_eq_u32_e32 vcc, 0, v0
	s_and_b64 s[0:1], vcc, s[24:25]
	s_and_saveexec_b64 s[2:3], s[0:1]
	s_cbranch_execz .LBB739_426
.LBB739_467:
	s_add_u32 s0, s22, s26
	s_addc_u32 s1, s23, 0
	s_add_u32 s0, s0, s16
	s_addc_u32 s1, s1, 0
	v_mov_b32_e32 v2, 0
	v_mov_b64_e32 v[0:1], s[0:1]
	global_store_dwordx2 v2, v[0:1], s[20:21]
	s_endpgm
	.section	.rodata,"a",@progbits
	.p2align	6, 0x0
	.amdhsa_kernel _ZN7rocprim17ROCPRIM_400000_NS6detail17trampoline_kernelINS0_14default_configENS1_25partition_config_selectorILNS1_17partition_subalgoE9EllbEEZZNS1_14partition_implILS5_9ELb0ES3_jPlS8_PNS0_10empty_typeENS0_5tupleIJS8_S9_EEENSB_IJS8_SA_EEENS0_18inequality_wrapperIZN2at6native12_GLOBAL__N_124unique_dim_cuda_templateIsEESt5tupleIJNSF_6TensorESK_SK_EERKSK_lbbbEUlllE0_EEPmJS9_EEE10hipError_tPvRmT3_T4_T5_T6_T7_T9_mT8_P12ihipStream_tbDpT10_ENKUlT_T0_E_clISt17integral_constantIbLb1EES19_IbLb0EEEEDaS15_S16_EUlS15_E_NS1_11comp_targetILNS1_3genE5ELNS1_11target_archE942ELNS1_3gpuE9ELNS1_3repE0EEENS1_30default_config_static_selectorELNS0_4arch9wavefront6targetE1EEEvT1_
		.amdhsa_group_segment_fixed_size 28684
		.amdhsa_private_segment_fixed_size 0
		.amdhsa_kernarg_size 120
		.amdhsa_user_sgpr_count 2
		.amdhsa_user_sgpr_dispatch_ptr 0
		.amdhsa_user_sgpr_queue_ptr 0
		.amdhsa_user_sgpr_kernarg_segment_ptr 1
		.amdhsa_user_sgpr_dispatch_id 0
		.amdhsa_user_sgpr_kernarg_preload_length 0
		.amdhsa_user_sgpr_kernarg_preload_offset 0
		.amdhsa_user_sgpr_private_segment_size 0
		.amdhsa_uses_dynamic_stack 0
		.amdhsa_enable_private_segment 0
		.amdhsa_system_sgpr_workgroup_id_x 1
		.amdhsa_system_sgpr_workgroup_id_y 0
		.amdhsa_system_sgpr_workgroup_id_z 0
		.amdhsa_system_sgpr_workgroup_info 0
		.amdhsa_system_vgpr_workitem_id 0
		.amdhsa_next_free_vgpr 66
		.amdhsa_next_free_sgpr 52
		.amdhsa_accum_offset 68
		.amdhsa_reserve_vcc 1
		.amdhsa_float_round_mode_32 0
		.amdhsa_float_round_mode_16_64 0
		.amdhsa_float_denorm_mode_32 3
		.amdhsa_float_denorm_mode_16_64 3
		.amdhsa_dx10_clamp 1
		.amdhsa_ieee_mode 1
		.amdhsa_fp16_overflow 0
		.amdhsa_tg_split 0
		.amdhsa_exception_fp_ieee_invalid_op 0
		.amdhsa_exception_fp_denorm_src 0
		.amdhsa_exception_fp_ieee_div_zero 0
		.amdhsa_exception_fp_ieee_overflow 0
		.amdhsa_exception_fp_ieee_underflow 0
		.amdhsa_exception_fp_ieee_inexact 0
		.amdhsa_exception_int_div_zero 0
	.end_amdhsa_kernel
	.section	.text._ZN7rocprim17ROCPRIM_400000_NS6detail17trampoline_kernelINS0_14default_configENS1_25partition_config_selectorILNS1_17partition_subalgoE9EllbEEZZNS1_14partition_implILS5_9ELb0ES3_jPlS8_PNS0_10empty_typeENS0_5tupleIJS8_S9_EEENSB_IJS8_SA_EEENS0_18inequality_wrapperIZN2at6native12_GLOBAL__N_124unique_dim_cuda_templateIsEESt5tupleIJNSF_6TensorESK_SK_EERKSK_lbbbEUlllE0_EEPmJS9_EEE10hipError_tPvRmT3_T4_T5_T6_T7_T9_mT8_P12ihipStream_tbDpT10_ENKUlT_T0_E_clISt17integral_constantIbLb1EES19_IbLb0EEEEDaS15_S16_EUlS15_E_NS1_11comp_targetILNS1_3genE5ELNS1_11target_archE942ELNS1_3gpuE9ELNS1_3repE0EEENS1_30default_config_static_selectorELNS0_4arch9wavefront6targetE1EEEvT1_,"axG",@progbits,_ZN7rocprim17ROCPRIM_400000_NS6detail17trampoline_kernelINS0_14default_configENS1_25partition_config_selectorILNS1_17partition_subalgoE9EllbEEZZNS1_14partition_implILS5_9ELb0ES3_jPlS8_PNS0_10empty_typeENS0_5tupleIJS8_S9_EEENSB_IJS8_SA_EEENS0_18inequality_wrapperIZN2at6native12_GLOBAL__N_124unique_dim_cuda_templateIsEESt5tupleIJNSF_6TensorESK_SK_EERKSK_lbbbEUlllE0_EEPmJS9_EEE10hipError_tPvRmT3_T4_T5_T6_T7_T9_mT8_P12ihipStream_tbDpT10_ENKUlT_T0_E_clISt17integral_constantIbLb1EES19_IbLb0EEEEDaS15_S16_EUlS15_E_NS1_11comp_targetILNS1_3genE5ELNS1_11target_archE942ELNS1_3gpuE9ELNS1_3repE0EEENS1_30default_config_static_selectorELNS0_4arch9wavefront6targetE1EEEvT1_,comdat
.Lfunc_end739:
	.size	_ZN7rocprim17ROCPRIM_400000_NS6detail17trampoline_kernelINS0_14default_configENS1_25partition_config_selectorILNS1_17partition_subalgoE9EllbEEZZNS1_14partition_implILS5_9ELb0ES3_jPlS8_PNS0_10empty_typeENS0_5tupleIJS8_S9_EEENSB_IJS8_SA_EEENS0_18inequality_wrapperIZN2at6native12_GLOBAL__N_124unique_dim_cuda_templateIsEESt5tupleIJNSF_6TensorESK_SK_EERKSK_lbbbEUlllE0_EEPmJS9_EEE10hipError_tPvRmT3_T4_T5_T6_T7_T9_mT8_P12ihipStream_tbDpT10_ENKUlT_T0_E_clISt17integral_constantIbLb1EES19_IbLb0EEEEDaS15_S16_EUlS15_E_NS1_11comp_targetILNS1_3genE5ELNS1_11target_archE942ELNS1_3gpuE9ELNS1_3repE0EEENS1_30default_config_static_selectorELNS0_4arch9wavefront6targetE1EEEvT1_, .Lfunc_end739-_ZN7rocprim17ROCPRIM_400000_NS6detail17trampoline_kernelINS0_14default_configENS1_25partition_config_selectorILNS1_17partition_subalgoE9EllbEEZZNS1_14partition_implILS5_9ELb0ES3_jPlS8_PNS0_10empty_typeENS0_5tupleIJS8_S9_EEENSB_IJS8_SA_EEENS0_18inequality_wrapperIZN2at6native12_GLOBAL__N_124unique_dim_cuda_templateIsEESt5tupleIJNSF_6TensorESK_SK_EERKSK_lbbbEUlllE0_EEPmJS9_EEE10hipError_tPvRmT3_T4_T5_T6_T7_T9_mT8_P12ihipStream_tbDpT10_ENKUlT_T0_E_clISt17integral_constantIbLb1EES19_IbLb0EEEEDaS15_S16_EUlS15_E_NS1_11comp_targetILNS1_3genE5ELNS1_11target_archE942ELNS1_3gpuE9ELNS1_3repE0EEENS1_30default_config_static_selectorELNS0_4arch9wavefront6targetE1EEEvT1_
                                        ; -- End function
	.section	.AMDGPU.csdata,"",@progbits
; Kernel info:
; codeLenInByte = 14472
; NumSgprs: 58
; NumVgprs: 66
; NumAgprs: 0
; TotalNumVgprs: 66
; ScratchSize: 0
; MemoryBound: 0
; FloatMode: 240
; IeeeMode: 1
; LDSByteSize: 28684 bytes/workgroup (compile time only)
; SGPRBlocks: 7
; VGPRBlocks: 8
; NumSGPRsForWavesPerEU: 58
; NumVGPRsForWavesPerEU: 66
; AccumOffset: 68
; Occupancy: 4
; WaveLimiterHint : 1
; COMPUTE_PGM_RSRC2:SCRATCH_EN: 0
; COMPUTE_PGM_RSRC2:USER_SGPR: 2
; COMPUTE_PGM_RSRC2:TRAP_HANDLER: 0
; COMPUTE_PGM_RSRC2:TGID_X_EN: 1
; COMPUTE_PGM_RSRC2:TGID_Y_EN: 0
; COMPUTE_PGM_RSRC2:TGID_Z_EN: 0
; COMPUTE_PGM_RSRC2:TIDIG_COMP_CNT: 0
; COMPUTE_PGM_RSRC3_GFX90A:ACCUM_OFFSET: 16
; COMPUTE_PGM_RSRC3_GFX90A:TG_SPLIT: 0
	.section	.text._ZN7rocprim17ROCPRIM_400000_NS6detail17trampoline_kernelINS0_14default_configENS1_25partition_config_selectorILNS1_17partition_subalgoE9EllbEEZZNS1_14partition_implILS5_9ELb0ES3_jPlS8_PNS0_10empty_typeENS0_5tupleIJS8_S9_EEENSB_IJS8_SA_EEENS0_18inequality_wrapperIZN2at6native12_GLOBAL__N_124unique_dim_cuda_templateIsEESt5tupleIJNSF_6TensorESK_SK_EERKSK_lbbbEUlllE0_EEPmJS9_EEE10hipError_tPvRmT3_T4_T5_T6_T7_T9_mT8_P12ihipStream_tbDpT10_ENKUlT_T0_E_clISt17integral_constantIbLb1EES19_IbLb0EEEEDaS15_S16_EUlS15_E_NS1_11comp_targetILNS1_3genE4ELNS1_11target_archE910ELNS1_3gpuE8ELNS1_3repE0EEENS1_30default_config_static_selectorELNS0_4arch9wavefront6targetE1EEEvT1_,"axG",@progbits,_ZN7rocprim17ROCPRIM_400000_NS6detail17trampoline_kernelINS0_14default_configENS1_25partition_config_selectorILNS1_17partition_subalgoE9EllbEEZZNS1_14partition_implILS5_9ELb0ES3_jPlS8_PNS0_10empty_typeENS0_5tupleIJS8_S9_EEENSB_IJS8_SA_EEENS0_18inequality_wrapperIZN2at6native12_GLOBAL__N_124unique_dim_cuda_templateIsEESt5tupleIJNSF_6TensorESK_SK_EERKSK_lbbbEUlllE0_EEPmJS9_EEE10hipError_tPvRmT3_T4_T5_T6_T7_T9_mT8_P12ihipStream_tbDpT10_ENKUlT_T0_E_clISt17integral_constantIbLb1EES19_IbLb0EEEEDaS15_S16_EUlS15_E_NS1_11comp_targetILNS1_3genE4ELNS1_11target_archE910ELNS1_3gpuE8ELNS1_3repE0EEENS1_30default_config_static_selectorELNS0_4arch9wavefront6targetE1EEEvT1_,comdat
	.globl	_ZN7rocprim17ROCPRIM_400000_NS6detail17trampoline_kernelINS0_14default_configENS1_25partition_config_selectorILNS1_17partition_subalgoE9EllbEEZZNS1_14partition_implILS5_9ELb0ES3_jPlS8_PNS0_10empty_typeENS0_5tupleIJS8_S9_EEENSB_IJS8_SA_EEENS0_18inequality_wrapperIZN2at6native12_GLOBAL__N_124unique_dim_cuda_templateIsEESt5tupleIJNSF_6TensorESK_SK_EERKSK_lbbbEUlllE0_EEPmJS9_EEE10hipError_tPvRmT3_T4_T5_T6_T7_T9_mT8_P12ihipStream_tbDpT10_ENKUlT_T0_E_clISt17integral_constantIbLb1EES19_IbLb0EEEEDaS15_S16_EUlS15_E_NS1_11comp_targetILNS1_3genE4ELNS1_11target_archE910ELNS1_3gpuE8ELNS1_3repE0EEENS1_30default_config_static_selectorELNS0_4arch9wavefront6targetE1EEEvT1_ ; -- Begin function _ZN7rocprim17ROCPRIM_400000_NS6detail17trampoline_kernelINS0_14default_configENS1_25partition_config_selectorILNS1_17partition_subalgoE9EllbEEZZNS1_14partition_implILS5_9ELb0ES3_jPlS8_PNS0_10empty_typeENS0_5tupleIJS8_S9_EEENSB_IJS8_SA_EEENS0_18inequality_wrapperIZN2at6native12_GLOBAL__N_124unique_dim_cuda_templateIsEESt5tupleIJNSF_6TensorESK_SK_EERKSK_lbbbEUlllE0_EEPmJS9_EEE10hipError_tPvRmT3_T4_T5_T6_T7_T9_mT8_P12ihipStream_tbDpT10_ENKUlT_T0_E_clISt17integral_constantIbLb1EES19_IbLb0EEEEDaS15_S16_EUlS15_E_NS1_11comp_targetILNS1_3genE4ELNS1_11target_archE910ELNS1_3gpuE8ELNS1_3repE0EEENS1_30default_config_static_selectorELNS0_4arch9wavefront6targetE1EEEvT1_
	.p2align	8
	.type	_ZN7rocprim17ROCPRIM_400000_NS6detail17trampoline_kernelINS0_14default_configENS1_25partition_config_selectorILNS1_17partition_subalgoE9EllbEEZZNS1_14partition_implILS5_9ELb0ES3_jPlS8_PNS0_10empty_typeENS0_5tupleIJS8_S9_EEENSB_IJS8_SA_EEENS0_18inequality_wrapperIZN2at6native12_GLOBAL__N_124unique_dim_cuda_templateIsEESt5tupleIJNSF_6TensorESK_SK_EERKSK_lbbbEUlllE0_EEPmJS9_EEE10hipError_tPvRmT3_T4_T5_T6_T7_T9_mT8_P12ihipStream_tbDpT10_ENKUlT_T0_E_clISt17integral_constantIbLb1EES19_IbLb0EEEEDaS15_S16_EUlS15_E_NS1_11comp_targetILNS1_3genE4ELNS1_11target_archE910ELNS1_3gpuE8ELNS1_3repE0EEENS1_30default_config_static_selectorELNS0_4arch9wavefront6targetE1EEEvT1_,@function
_ZN7rocprim17ROCPRIM_400000_NS6detail17trampoline_kernelINS0_14default_configENS1_25partition_config_selectorILNS1_17partition_subalgoE9EllbEEZZNS1_14partition_implILS5_9ELb0ES3_jPlS8_PNS0_10empty_typeENS0_5tupleIJS8_S9_EEENSB_IJS8_SA_EEENS0_18inequality_wrapperIZN2at6native12_GLOBAL__N_124unique_dim_cuda_templateIsEESt5tupleIJNSF_6TensorESK_SK_EERKSK_lbbbEUlllE0_EEPmJS9_EEE10hipError_tPvRmT3_T4_T5_T6_T7_T9_mT8_P12ihipStream_tbDpT10_ENKUlT_T0_E_clISt17integral_constantIbLb1EES19_IbLb0EEEEDaS15_S16_EUlS15_E_NS1_11comp_targetILNS1_3genE4ELNS1_11target_archE910ELNS1_3gpuE8ELNS1_3repE0EEENS1_30default_config_static_selectorELNS0_4arch9wavefront6targetE1EEEvT1_: ; @_ZN7rocprim17ROCPRIM_400000_NS6detail17trampoline_kernelINS0_14default_configENS1_25partition_config_selectorILNS1_17partition_subalgoE9EllbEEZZNS1_14partition_implILS5_9ELb0ES3_jPlS8_PNS0_10empty_typeENS0_5tupleIJS8_S9_EEENSB_IJS8_SA_EEENS0_18inequality_wrapperIZN2at6native12_GLOBAL__N_124unique_dim_cuda_templateIsEESt5tupleIJNSF_6TensorESK_SK_EERKSK_lbbbEUlllE0_EEPmJS9_EEE10hipError_tPvRmT3_T4_T5_T6_T7_T9_mT8_P12ihipStream_tbDpT10_ENKUlT_T0_E_clISt17integral_constantIbLb1EES19_IbLb0EEEEDaS15_S16_EUlS15_E_NS1_11comp_targetILNS1_3genE4ELNS1_11target_archE910ELNS1_3gpuE8ELNS1_3repE0EEENS1_30default_config_static_selectorELNS0_4arch9wavefront6targetE1EEEvT1_
; %bb.0:
	.section	.rodata,"a",@progbits
	.p2align	6, 0x0
	.amdhsa_kernel _ZN7rocprim17ROCPRIM_400000_NS6detail17trampoline_kernelINS0_14default_configENS1_25partition_config_selectorILNS1_17partition_subalgoE9EllbEEZZNS1_14partition_implILS5_9ELb0ES3_jPlS8_PNS0_10empty_typeENS0_5tupleIJS8_S9_EEENSB_IJS8_SA_EEENS0_18inequality_wrapperIZN2at6native12_GLOBAL__N_124unique_dim_cuda_templateIsEESt5tupleIJNSF_6TensorESK_SK_EERKSK_lbbbEUlllE0_EEPmJS9_EEE10hipError_tPvRmT3_T4_T5_T6_T7_T9_mT8_P12ihipStream_tbDpT10_ENKUlT_T0_E_clISt17integral_constantIbLb1EES19_IbLb0EEEEDaS15_S16_EUlS15_E_NS1_11comp_targetILNS1_3genE4ELNS1_11target_archE910ELNS1_3gpuE8ELNS1_3repE0EEENS1_30default_config_static_selectorELNS0_4arch9wavefront6targetE1EEEvT1_
		.amdhsa_group_segment_fixed_size 0
		.amdhsa_private_segment_fixed_size 0
		.amdhsa_kernarg_size 120
		.amdhsa_user_sgpr_count 2
		.amdhsa_user_sgpr_dispatch_ptr 0
		.amdhsa_user_sgpr_queue_ptr 0
		.amdhsa_user_sgpr_kernarg_segment_ptr 1
		.amdhsa_user_sgpr_dispatch_id 0
		.amdhsa_user_sgpr_kernarg_preload_length 0
		.amdhsa_user_sgpr_kernarg_preload_offset 0
		.amdhsa_user_sgpr_private_segment_size 0
		.amdhsa_uses_dynamic_stack 0
		.amdhsa_enable_private_segment 0
		.amdhsa_system_sgpr_workgroup_id_x 1
		.amdhsa_system_sgpr_workgroup_id_y 0
		.amdhsa_system_sgpr_workgroup_id_z 0
		.amdhsa_system_sgpr_workgroup_info 0
		.amdhsa_system_vgpr_workitem_id 0
		.amdhsa_next_free_vgpr 1
		.amdhsa_next_free_sgpr 0
		.amdhsa_accum_offset 4
		.amdhsa_reserve_vcc 0
		.amdhsa_float_round_mode_32 0
		.amdhsa_float_round_mode_16_64 0
		.amdhsa_float_denorm_mode_32 3
		.amdhsa_float_denorm_mode_16_64 3
		.amdhsa_dx10_clamp 1
		.amdhsa_ieee_mode 1
		.amdhsa_fp16_overflow 0
		.amdhsa_tg_split 0
		.amdhsa_exception_fp_ieee_invalid_op 0
		.amdhsa_exception_fp_denorm_src 0
		.amdhsa_exception_fp_ieee_div_zero 0
		.amdhsa_exception_fp_ieee_overflow 0
		.amdhsa_exception_fp_ieee_underflow 0
		.amdhsa_exception_fp_ieee_inexact 0
		.amdhsa_exception_int_div_zero 0
	.end_amdhsa_kernel
	.section	.text._ZN7rocprim17ROCPRIM_400000_NS6detail17trampoline_kernelINS0_14default_configENS1_25partition_config_selectorILNS1_17partition_subalgoE9EllbEEZZNS1_14partition_implILS5_9ELb0ES3_jPlS8_PNS0_10empty_typeENS0_5tupleIJS8_S9_EEENSB_IJS8_SA_EEENS0_18inequality_wrapperIZN2at6native12_GLOBAL__N_124unique_dim_cuda_templateIsEESt5tupleIJNSF_6TensorESK_SK_EERKSK_lbbbEUlllE0_EEPmJS9_EEE10hipError_tPvRmT3_T4_T5_T6_T7_T9_mT8_P12ihipStream_tbDpT10_ENKUlT_T0_E_clISt17integral_constantIbLb1EES19_IbLb0EEEEDaS15_S16_EUlS15_E_NS1_11comp_targetILNS1_3genE4ELNS1_11target_archE910ELNS1_3gpuE8ELNS1_3repE0EEENS1_30default_config_static_selectorELNS0_4arch9wavefront6targetE1EEEvT1_,"axG",@progbits,_ZN7rocprim17ROCPRIM_400000_NS6detail17trampoline_kernelINS0_14default_configENS1_25partition_config_selectorILNS1_17partition_subalgoE9EllbEEZZNS1_14partition_implILS5_9ELb0ES3_jPlS8_PNS0_10empty_typeENS0_5tupleIJS8_S9_EEENSB_IJS8_SA_EEENS0_18inequality_wrapperIZN2at6native12_GLOBAL__N_124unique_dim_cuda_templateIsEESt5tupleIJNSF_6TensorESK_SK_EERKSK_lbbbEUlllE0_EEPmJS9_EEE10hipError_tPvRmT3_T4_T5_T6_T7_T9_mT8_P12ihipStream_tbDpT10_ENKUlT_T0_E_clISt17integral_constantIbLb1EES19_IbLb0EEEEDaS15_S16_EUlS15_E_NS1_11comp_targetILNS1_3genE4ELNS1_11target_archE910ELNS1_3gpuE8ELNS1_3repE0EEENS1_30default_config_static_selectorELNS0_4arch9wavefront6targetE1EEEvT1_,comdat
.Lfunc_end740:
	.size	_ZN7rocprim17ROCPRIM_400000_NS6detail17trampoline_kernelINS0_14default_configENS1_25partition_config_selectorILNS1_17partition_subalgoE9EllbEEZZNS1_14partition_implILS5_9ELb0ES3_jPlS8_PNS0_10empty_typeENS0_5tupleIJS8_S9_EEENSB_IJS8_SA_EEENS0_18inequality_wrapperIZN2at6native12_GLOBAL__N_124unique_dim_cuda_templateIsEESt5tupleIJNSF_6TensorESK_SK_EERKSK_lbbbEUlllE0_EEPmJS9_EEE10hipError_tPvRmT3_T4_T5_T6_T7_T9_mT8_P12ihipStream_tbDpT10_ENKUlT_T0_E_clISt17integral_constantIbLb1EES19_IbLb0EEEEDaS15_S16_EUlS15_E_NS1_11comp_targetILNS1_3genE4ELNS1_11target_archE910ELNS1_3gpuE8ELNS1_3repE0EEENS1_30default_config_static_selectorELNS0_4arch9wavefront6targetE1EEEvT1_, .Lfunc_end740-_ZN7rocprim17ROCPRIM_400000_NS6detail17trampoline_kernelINS0_14default_configENS1_25partition_config_selectorILNS1_17partition_subalgoE9EllbEEZZNS1_14partition_implILS5_9ELb0ES3_jPlS8_PNS0_10empty_typeENS0_5tupleIJS8_S9_EEENSB_IJS8_SA_EEENS0_18inequality_wrapperIZN2at6native12_GLOBAL__N_124unique_dim_cuda_templateIsEESt5tupleIJNSF_6TensorESK_SK_EERKSK_lbbbEUlllE0_EEPmJS9_EEE10hipError_tPvRmT3_T4_T5_T6_T7_T9_mT8_P12ihipStream_tbDpT10_ENKUlT_T0_E_clISt17integral_constantIbLb1EES19_IbLb0EEEEDaS15_S16_EUlS15_E_NS1_11comp_targetILNS1_3genE4ELNS1_11target_archE910ELNS1_3gpuE8ELNS1_3repE0EEENS1_30default_config_static_selectorELNS0_4arch9wavefront6targetE1EEEvT1_
                                        ; -- End function
	.section	.AMDGPU.csdata,"",@progbits
; Kernel info:
; codeLenInByte = 0
; NumSgprs: 6
; NumVgprs: 0
; NumAgprs: 0
; TotalNumVgprs: 0
; ScratchSize: 0
; MemoryBound: 0
; FloatMode: 240
; IeeeMode: 1
; LDSByteSize: 0 bytes/workgroup (compile time only)
; SGPRBlocks: 0
; VGPRBlocks: 0
; NumSGPRsForWavesPerEU: 6
; NumVGPRsForWavesPerEU: 1
; AccumOffset: 4
; Occupancy: 8
; WaveLimiterHint : 0
; COMPUTE_PGM_RSRC2:SCRATCH_EN: 0
; COMPUTE_PGM_RSRC2:USER_SGPR: 2
; COMPUTE_PGM_RSRC2:TRAP_HANDLER: 0
; COMPUTE_PGM_RSRC2:TGID_X_EN: 1
; COMPUTE_PGM_RSRC2:TGID_Y_EN: 0
; COMPUTE_PGM_RSRC2:TGID_Z_EN: 0
; COMPUTE_PGM_RSRC2:TIDIG_COMP_CNT: 0
; COMPUTE_PGM_RSRC3_GFX90A:ACCUM_OFFSET: 0
; COMPUTE_PGM_RSRC3_GFX90A:TG_SPLIT: 0
	.section	.text._ZN7rocprim17ROCPRIM_400000_NS6detail17trampoline_kernelINS0_14default_configENS1_25partition_config_selectorILNS1_17partition_subalgoE9EllbEEZZNS1_14partition_implILS5_9ELb0ES3_jPlS8_PNS0_10empty_typeENS0_5tupleIJS8_S9_EEENSB_IJS8_SA_EEENS0_18inequality_wrapperIZN2at6native12_GLOBAL__N_124unique_dim_cuda_templateIsEESt5tupleIJNSF_6TensorESK_SK_EERKSK_lbbbEUlllE0_EEPmJS9_EEE10hipError_tPvRmT3_T4_T5_T6_T7_T9_mT8_P12ihipStream_tbDpT10_ENKUlT_T0_E_clISt17integral_constantIbLb1EES19_IbLb0EEEEDaS15_S16_EUlS15_E_NS1_11comp_targetILNS1_3genE3ELNS1_11target_archE908ELNS1_3gpuE7ELNS1_3repE0EEENS1_30default_config_static_selectorELNS0_4arch9wavefront6targetE1EEEvT1_,"axG",@progbits,_ZN7rocprim17ROCPRIM_400000_NS6detail17trampoline_kernelINS0_14default_configENS1_25partition_config_selectorILNS1_17partition_subalgoE9EllbEEZZNS1_14partition_implILS5_9ELb0ES3_jPlS8_PNS0_10empty_typeENS0_5tupleIJS8_S9_EEENSB_IJS8_SA_EEENS0_18inequality_wrapperIZN2at6native12_GLOBAL__N_124unique_dim_cuda_templateIsEESt5tupleIJNSF_6TensorESK_SK_EERKSK_lbbbEUlllE0_EEPmJS9_EEE10hipError_tPvRmT3_T4_T5_T6_T7_T9_mT8_P12ihipStream_tbDpT10_ENKUlT_T0_E_clISt17integral_constantIbLb1EES19_IbLb0EEEEDaS15_S16_EUlS15_E_NS1_11comp_targetILNS1_3genE3ELNS1_11target_archE908ELNS1_3gpuE7ELNS1_3repE0EEENS1_30default_config_static_selectorELNS0_4arch9wavefront6targetE1EEEvT1_,comdat
	.globl	_ZN7rocprim17ROCPRIM_400000_NS6detail17trampoline_kernelINS0_14default_configENS1_25partition_config_selectorILNS1_17partition_subalgoE9EllbEEZZNS1_14partition_implILS5_9ELb0ES3_jPlS8_PNS0_10empty_typeENS0_5tupleIJS8_S9_EEENSB_IJS8_SA_EEENS0_18inequality_wrapperIZN2at6native12_GLOBAL__N_124unique_dim_cuda_templateIsEESt5tupleIJNSF_6TensorESK_SK_EERKSK_lbbbEUlllE0_EEPmJS9_EEE10hipError_tPvRmT3_T4_T5_T6_T7_T9_mT8_P12ihipStream_tbDpT10_ENKUlT_T0_E_clISt17integral_constantIbLb1EES19_IbLb0EEEEDaS15_S16_EUlS15_E_NS1_11comp_targetILNS1_3genE3ELNS1_11target_archE908ELNS1_3gpuE7ELNS1_3repE0EEENS1_30default_config_static_selectorELNS0_4arch9wavefront6targetE1EEEvT1_ ; -- Begin function _ZN7rocprim17ROCPRIM_400000_NS6detail17trampoline_kernelINS0_14default_configENS1_25partition_config_selectorILNS1_17partition_subalgoE9EllbEEZZNS1_14partition_implILS5_9ELb0ES3_jPlS8_PNS0_10empty_typeENS0_5tupleIJS8_S9_EEENSB_IJS8_SA_EEENS0_18inequality_wrapperIZN2at6native12_GLOBAL__N_124unique_dim_cuda_templateIsEESt5tupleIJNSF_6TensorESK_SK_EERKSK_lbbbEUlllE0_EEPmJS9_EEE10hipError_tPvRmT3_T4_T5_T6_T7_T9_mT8_P12ihipStream_tbDpT10_ENKUlT_T0_E_clISt17integral_constantIbLb1EES19_IbLb0EEEEDaS15_S16_EUlS15_E_NS1_11comp_targetILNS1_3genE3ELNS1_11target_archE908ELNS1_3gpuE7ELNS1_3repE0EEENS1_30default_config_static_selectorELNS0_4arch9wavefront6targetE1EEEvT1_
	.p2align	8
	.type	_ZN7rocprim17ROCPRIM_400000_NS6detail17trampoline_kernelINS0_14default_configENS1_25partition_config_selectorILNS1_17partition_subalgoE9EllbEEZZNS1_14partition_implILS5_9ELb0ES3_jPlS8_PNS0_10empty_typeENS0_5tupleIJS8_S9_EEENSB_IJS8_SA_EEENS0_18inequality_wrapperIZN2at6native12_GLOBAL__N_124unique_dim_cuda_templateIsEESt5tupleIJNSF_6TensorESK_SK_EERKSK_lbbbEUlllE0_EEPmJS9_EEE10hipError_tPvRmT3_T4_T5_T6_T7_T9_mT8_P12ihipStream_tbDpT10_ENKUlT_T0_E_clISt17integral_constantIbLb1EES19_IbLb0EEEEDaS15_S16_EUlS15_E_NS1_11comp_targetILNS1_3genE3ELNS1_11target_archE908ELNS1_3gpuE7ELNS1_3repE0EEENS1_30default_config_static_selectorELNS0_4arch9wavefront6targetE1EEEvT1_,@function
_ZN7rocprim17ROCPRIM_400000_NS6detail17trampoline_kernelINS0_14default_configENS1_25partition_config_selectorILNS1_17partition_subalgoE9EllbEEZZNS1_14partition_implILS5_9ELb0ES3_jPlS8_PNS0_10empty_typeENS0_5tupleIJS8_S9_EEENSB_IJS8_SA_EEENS0_18inequality_wrapperIZN2at6native12_GLOBAL__N_124unique_dim_cuda_templateIsEESt5tupleIJNSF_6TensorESK_SK_EERKSK_lbbbEUlllE0_EEPmJS9_EEE10hipError_tPvRmT3_T4_T5_T6_T7_T9_mT8_P12ihipStream_tbDpT10_ENKUlT_T0_E_clISt17integral_constantIbLb1EES19_IbLb0EEEEDaS15_S16_EUlS15_E_NS1_11comp_targetILNS1_3genE3ELNS1_11target_archE908ELNS1_3gpuE7ELNS1_3repE0EEENS1_30default_config_static_selectorELNS0_4arch9wavefront6targetE1EEEvT1_: ; @_ZN7rocprim17ROCPRIM_400000_NS6detail17trampoline_kernelINS0_14default_configENS1_25partition_config_selectorILNS1_17partition_subalgoE9EllbEEZZNS1_14partition_implILS5_9ELb0ES3_jPlS8_PNS0_10empty_typeENS0_5tupleIJS8_S9_EEENSB_IJS8_SA_EEENS0_18inequality_wrapperIZN2at6native12_GLOBAL__N_124unique_dim_cuda_templateIsEESt5tupleIJNSF_6TensorESK_SK_EERKSK_lbbbEUlllE0_EEPmJS9_EEE10hipError_tPvRmT3_T4_T5_T6_T7_T9_mT8_P12ihipStream_tbDpT10_ENKUlT_T0_E_clISt17integral_constantIbLb1EES19_IbLb0EEEEDaS15_S16_EUlS15_E_NS1_11comp_targetILNS1_3genE3ELNS1_11target_archE908ELNS1_3gpuE7ELNS1_3repE0EEENS1_30default_config_static_selectorELNS0_4arch9wavefront6targetE1EEEvT1_
; %bb.0:
	.section	.rodata,"a",@progbits
	.p2align	6, 0x0
	.amdhsa_kernel _ZN7rocprim17ROCPRIM_400000_NS6detail17trampoline_kernelINS0_14default_configENS1_25partition_config_selectorILNS1_17partition_subalgoE9EllbEEZZNS1_14partition_implILS5_9ELb0ES3_jPlS8_PNS0_10empty_typeENS0_5tupleIJS8_S9_EEENSB_IJS8_SA_EEENS0_18inequality_wrapperIZN2at6native12_GLOBAL__N_124unique_dim_cuda_templateIsEESt5tupleIJNSF_6TensorESK_SK_EERKSK_lbbbEUlllE0_EEPmJS9_EEE10hipError_tPvRmT3_T4_T5_T6_T7_T9_mT8_P12ihipStream_tbDpT10_ENKUlT_T0_E_clISt17integral_constantIbLb1EES19_IbLb0EEEEDaS15_S16_EUlS15_E_NS1_11comp_targetILNS1_3genE3ELNS1_11target_archE908ELNS1_3gpuE7ELNS1_3repE0EEENS1_30default_config_static_selectorELNS0_4arch9wavefront6targetE1EEEvT1_
		.amdhsa_group_segment_fixed_size 0
		.amdhsa_private_segment_fixed_size 0
		.amdhsa_kernarg_size 120
		.amdhsa_user_sgpr_count 2
		.amdhsa_user_sgpr_dispatch_ptr 0
		.amdhsa_user_sgpr_queue_ptr 0
		.amdhsa_user_sgpr_kernarg_segment_ptr 1
		.amdhsa_user_sgpr_dispatch_id 0
		.amdhsa_user_sgpr_kernarg_preload_length 0
		.amdhsa_user_sgpr_kernarg_preload_offset 0
		.amdhsa_user_sgpr_private_segment_size 0
		.amdhsa_uses_dynamic_stack 0
		.amdhsa_enable_private_segment 0
		.amdhsa_system_sgpr_workgroup_id_x 1
		.amdhsa_system_sgpr_workgroup_id_y 0
		.amdhsa_system_sgpr_workgroup_id_z 0
		.amdhsa_system_sgpr_workgroup_info 0
		.amdhsa_system_vgpr_workitem_id 0
		.amdhsa_next_free_vgpr 1
		.amdhsa_next_free_sgpr 0
		.amdhsa_accum_offset 4
		.amdhsa_reserve_vcc 0
		.amdhsa_float_round_mode_32 0
		.amdhsa_float_round_mode_16_64 0
		.amdhsa_float_denorm_mode_32 3
		.amdhsa_float_denorm_mode_16_64 3
		.amdhsa_dx10_clamp 1
		.amdhsa_ieee_mode 1
		.amdhsa_fp16_overflow 0
		.amdhsa_tg_split 0
		.amdhsa_exception_fp_ieee_invalid_op 0
		.amdhsa_exception_fp_denorm_src 0
		.amdhsa_exception_fp_ieee_div_zero 0
		.amdhsa_exception_fp_ieee_overflow 0
		.amdhsa_exception_fp_ieee_underflow 0
		.amdhsa_exception_fp_ieee_inexact 0
		.amdhsa_exception_int_div_zero 0
	.end_amdhsa_kernel
	.section	.text._ZN7rocprim17ROCPRIM_400000_NS6detail17trampoline_kernelINS0_14default_configENS1_25partition_config_selectorILNS1_17partition_subalgoE9EllbEEZZNS1_14partition_implILS5_9ELb0ES3_jPlS8_PNS0_10empty_typeENS0_5tupleIJS8_S9_EEENSB_IJS8_SA_EEENS0_18inequality_wrapperIZN2at6native12_GLOBAL__N_124unique_dim_cuda_templateIsEESt5tupleIJNSF_6TensorESK_SK_EERKSK_lbbbEUlllE0_EEPmJS9_EEE10hipError_tPvRmT3_T4_T5_T6_T7_T9_mT8_P12ihipStream_tbDpT10_ENKUlT_T0_E_clISt17integral_constantIbLb1EES19_IbLb0EEEEDaS15_S16_EUlS15_E_NS1_11comp_targetILNS1_3genE3ELNS1_11target_archE908ELNS1_3gpuE7ELNS1_3repE0EEENS1_30default_config_static_selectorELNS0_4arch9wavefront6targetE1EEEvT1_,"axG",@progbits,_ZN7rocprim17ROCPRIM_400000_NS6detail17trampoline_kernelINS0_14default_configENS1_25partition_config_selectorILNS1_17partition_subalgoE9EllbEEZZNS1_14partition_implILS5_9ELb0ES3_jPlS8_PNS0_10empty_typeENS0_5tupleIJS8_S9_EEENSB_IJS8_SA_EEENS0_18inequality_wrapperIZN2at6native12_GLOBAL__N_124unique_dim_cuda_templateIsEESt5tupleIJNSF_6TensorESK_SK_EERKSK_lbbbEUlllE0_EEPmJS9_EEE10hipError_tPvRmT3_T4_T5_T6_T7_T9_mT8_P12ihipStream_tbDpT10_ENKUlT_T0_E_clISt17integral_constantIbLb1EES19_IbLb0EEEEDaS15_S16_EUlS15_E_NS1_11comp_targetILNS1_3genE3ELNS1_11target_archE908ELNS1_3gpuE7ELNS1_3repE0EEENS1_30default_config_static_selectorELNS0_4arch9wavefront6targetE1EEEvT1_,comdat
.Lfunc_end741:
	.size	_ZN7rocprim17ROCPRIM_400000_NS6detail17trampoline_kernelINS0_14default_configENS1_25partition_config_selectorILNS1_17partition_subalgoE9EllbEEZZNS1_14partition_implILS5_9ELb0ES3_jPlS8_PNS0_10empty_typeENS0_5tupleIJS8_S9_EEENSB_IJS8_SA_EEENS0_18inequality_wrapperIZN2at6native12_GLOBAL__N_124unique_dim_cuda_templateIsEESt5tupleIJNSF_6TensorESK_SK_EERKSK_lbbbEUlllE0_EEPmJS9_EEE10hipError_tPvRmT3_T4_T5_T6_T7_T9_mT8_P12ihipStream_tbDpT10_ENKUlT_T0_E_clISt17integral_constantIbLb1EES19_IbLb0EEEEDaS15_S16_EUlS15_E_NS1_11comp_targetILNS1_3genE3ELNS1_11target_archE908ELNS1_3gpuE7ELNS1_3repE0EEENS1_30default_config_static_selectorELNS0_4arch9wavefront6targetE1EEEvT1_, .Lfunc_end741-_ZN7rocprim17ROCPRIM_400000_NS6detail17trampoline_kernelINS0_14default_configENS1_25partition_config_selectorILNS1_17partition_subalgoE9EllbEEZZNS1_14partition_implILS5_9ELb0ES3_jPlS8_PNS0_10empty_typeENS0_5tupleIJS8_S9_EEENSB_IJS8_SA_EEENS0_18inequality_wrapperIZN2at6native12_GLOBAL__N_124unique_dim_cuda_templateIsEESt5tupleIJNSF_6TensorESK_SK_EERKSK_lbbbEUlllE0_EEPmJS9_EEE10hipError_tPvRmT3_T4_T5_T6_T7_T9_mT8_P12ihipStream_tbDpT10_ENKUlT_T0_E_clISt17integral_constantIbLb1EES19_IbLb0EEEEDaS15_S16_EUlS15_E_NS1_11comp_targetILNS1_3genE3ELNS1_11target_archE908ELNS1_3gpuE7ELNS1_3repE0EEENS1_30default_config_static_selectorELNS0_4arch9wavefront6targetE1EEEvT1_
                                        ; -- End function
	.section	.AMDGPU.csdata,"",@progbits
; Kernel info:
; codeLenInByte = 0
; NumSgprs: 6
; NumVgprs: 0
; NumAgprs: 0
; TotalNumVgprs: 0
; ScratchSize: 0
; MemoryBound: 0
; FloatMode: 240
; IeeeMode: 1
; LDSByteSize: 0 bytes/workgroup (compile time only)
; SGPRBlocks: 0
; VGPRBlocks: 0
; NumSGPRsForWavesPerEU: 6
; NumVGPRsForWavesPerEU: 1
; AccumOffset: 4
; Occupancy: 8
; WaveLimiterHint : 0
; COMPUTE_PGM_RSRC2:SCRATCH_EN: 0
; COMPUTE_PGM_RSRC2:USER_SGPR: 2
; COMPUTE_PGM_RSRC2:TRAP_HANDLER: 0
; COMPUTE_PGM_RSRC2:TGID_X_EN: 1
; COMPUTE_PGM_RSRC2:TGID_Y_EN: 0
; COMPUTE_PGM_RSRC2:TGID_Z_EN: 0
; COMPUTE_PGM_RSRC2:TIDIG_COMP_CNT: 0
; COMPUTE_PGM_RSRC3_GFX90A:ACCUM_OFFSET: 0
; COMPUTE_PGM_RSRC3_GFX90A:TG_SPLIT: 0
	.section	.text._ZN7rocprim17ROCPRIM_400000_NS6detail17trampoline_kernelINS0_14default_configENS1_25partition_config_selectorILNS1_17partition_subalgoE9EllbEEZZNS1_14partition_implILS5_9ELb0ES3_jPlS8_PNS0_10empty_typeENS0_5tupleIJS8_S9_EEENSB_IJS8_SA_EEENS0_18inequality_wrapperIZN2at6native12_GLOBAL__N_124unique_dim_cuda_templateIsEESt5tupleIJNSF_6TensorESK_SK_EERKSK_lbbbEUlllE0_EEPmJS9_EEE10hipError_tPvRmT3_T4_T5_T6_T7_T9_mT8_P12ihipStream_tbDpT10_ENKUlT_T0_E_clISt17integral_constantIbLb1EES19_IbLb0EEEEDaS15_S16_EUlS15_E_NS1_11comp_targetILNS1_3genE2ELNS1_11target_archE906ELNS1_3gpuE6ELNS1_3repE0EEENS1_30default_config_static_selectorELNS0_4arch9wavefront6targetE1EEEvT1_,"axG",@progbits,_ZN7rocprim17ROCPRIM_400000_NS6detail17trampoline_kernelINS0_14default_configENS1_25partition_config_selectorILNS1_17partition_subalgoE9EllbEEZZNS1_14partition_implILS5_9ELb0ES3_jPlS8_PNS0_10empty_typeENS0_5tupleIJS8_S9_EEENSB_IJS8_SA_EEENS0_18inequality_wrapperIZN2at6native12_GLOBAL__N_124unique_dim_cuda_templateIsEESt5tupleIJNSF_6TensorESK_SK_EERKSK_lbbbEUlllE0_EEPmJS9_EEE10hipError_tPvRmT3_T4_T5_T6_T7_T9_mT8_P12ihipStream_tbDpT10_ENKUlT_T0_E_clISt17integral_constantIbLb1EES19_IbLb0EEEEDaS15_S16_EUlS15_E_NS1_11comp_targetILNS1_3genE2ELNS1_11target_archE906ELNS1_3gpuE6ELNS1_3repE0EEENS1_30default_config_static_selectorELNS0_4arch9wavefront6targetE1EEEvT1_,comdat
	.globl	_ZN7rocprim17ROCPRIM_400000_NS6detail17trampoline_kernelINS0_14default_configENS1_25partition_config_selectorILNS1_17partition_subalgoE9EllbEEZZNS1_14partition_implILS5_9ELb0ES3_jPlS8_PNS0_10empty_typeENS0_5tupleIJS8_S9_EEENSB_IJS8_SA_EEENS0_18inequality_wrapperIZN2at6native12_GLOBAL__N_124unique_dim_cuda_templateIsEESt5tupleIJNSF_6TensorESK_SK_EERKSK_lbbbEUlllE0_EEPmJS9_EEE10hipError_tPvRmT3_T4_T5_T6_T7_T9_mT8_P12ihipStream_tbDpT10_ENKUlT_T0_E_clISt17integral_constantIbLb1EES19_IbLb0EEEEDaS15_S16_EUlS15_E_NS1_11comp_targetILNS1_3genE2ELNS1_11target_archE906ELNS1_3gpuE6ELNS1_3repE0EEENS1_30default_config_static_selectorELNS0_4arch9wavefront6targetE1EEEvT1_ ; -- Begin function _ZN7rocprim17ROCPRIM_400000_NS6detail17trampoline_kernelINS0_14default_configENS1_25partition_config_selectorILNS1_17partition_subalgoE9EllbEEZZNS1_14partition_implILS5_9ELb0ES3_jPlS8_PNS0_10empty_typeENS0_5tupleIJS8_S9_EEENSB_IJS8_SA_EEENS0_18inequality_wrapperIZN2at6native12_GLOBAL__N_124unique_dim_cuda_templateIsEESt5tupleIJNSF_6TensorESK_SK_EERKSK_lbbbEUlllE0_EEPmJS9_EEE10hipError_tPvRmT3_T4_T5_T6_T7_T9_mT8_P12ihipStream_tbDpT10_ENKUlT_T0_E_clISt17integral_constantIbLb1EES19_IbLb0EEEEDaS15_S16_EUlS15_E_NS1_11comp_targetILNS1_3genE2ELNS1_11target_archE906ELNS1_3gpuE6ELNS1_3repE0EEENS1_30default_config_static_selectorELNS0_4arch9wavefront6targetE1EEEvT1_
	.p2align	8
	.type	_ZN7rocprim17ROCPRIM_400000_NS6detail17trampoline_kernelINS0_14default_configENS1_25partition_config_selectorILNS1_17partition_subalgoE9EllbEEZZNS1_14partition_implILS5_9ELb0ES3_jPlS8_PNS0_10empty_typeENS0_5tupleIJS8_S9_EEENSB_IJS8_SA_EEENS0_18inequality_wrapperIZN2at6native12_GLOBAL__N_124unique_dim_cuda_templateIsEESt5tupleIJNSF_6TensorESK_SK_EERKSK_lbbbEUlllE0_EEPmJS9_EEE10hipError_tPvRmT3_T4_T5_T6_T7_T9_mT8_P12ihipStream_tbDpT10_ENKUlT_T0_E_clISt17integral_constantIbLb1EES19_IbLb0EEEEDaS15_S16_EUlS15_E_NS1_11comp_targetILNS1_3genE2ELNS1_11target_archE906ELNS1_3gpuE6ELNS1_3repE0EEENS1_30default_config_static_selectorELNS0_4arch9wavefront6targetE1EEEvT1_,@function
_ZN7rocprim17ROCPRIM_400000_NS6detail17trampoline_kernelINS0_14default_configENS1_25partition_config_selectorILNS1_17partition_subalgoE9EllbEEZZNS1_14partition_implILS5_9ELb0ES3_jPlS8_PNS0_10empty_typeENS0_5tupleIJS8_S9_EEENSB_IJS8_SA_EEENS0_18inequality_wrapperIZN2at6native12_GLOBAL__N_124unique_dim_cuda_templateIsEESt5tupleIJNSF_6TensorESK_SK_EERKSK_lbbbEUlllE0_EEPmJS9_EEE10hipError_tPvRmT3_T4_T5_T6_T7_T9_mT8_P12ihipStream_tbDpT10_ENKUlT_T0_E_clISt17integral_constantIbLb1EES19_IbLb0EEEEDaS15_S16_EUlS15_E_NS1_11comp_targetILNS1_3genE2ELNS1_11target_archE906ELNS1_3gpuE6ELNS1_3repE0EEENS1_30default_config_static_selectorELNS0_4arch9wavefront6targetE1EEEvT1_: ; @_ZN7rocprim17ROCPRIM_400000_NS6detail17trampoline_kernelINS0_14default_configENS1_25partition_config_selectorILNS1_17partition_subalgoE9EllbEEZZNS1_14partition_implILS5_9ELb0ES3_jPlS8_PNS0_10empty_typeENS0_5tupleIJS8_S9_EEENSB_IJS8_SA_EEENS0_18inequality_wrapperIZN2at6native12_GLOBAL__N_124unique_dim_cuda_templateIsEESt5tupleIJNSF_6TensorESK_SK_EERKSK_lbbbEUlllE0_EEPmJS9_EEE10hipError_tPvRmT3_T4_T5_T6_T7_T9_mT8_P12ihipStream_tbDpT10_ENKUlT_T0_E_clISt17integral_constantIbLb1EES19_IbLb0EEEEDaS15_S16_EUlS15_E_NS1_11comp_targetILNS1_3genE2ELNS1_11target_archE906ELNS1_3gpuE6ELNS1_3repE0EEENS1_30default_config_static_selectorELNS0_4arch9wavefront6targetE1EEEvT1_
; %bb.0:
	.section	.rodata,"a",@progbits
	.p2align	6, 0x0
	.amdhsa_kernel _ZN7rocprim17ROCPRIM_400000_NS6detail17trampoline_kernelINS0_14default_configENS1_25partition_config_selectorILNS1_17partition_subalgoE9EllbEEZZNS1_14partition_implILS5_9ELb0ES3_jPlS8_PNS0_10empty_typeENS0_5tupleIJS8_S9_EEENSB_IJS8_SA_EEENS0_18inequality_wrapperIZN2at6native12_GLOBAL__N_124unique_dim_cuda_templateIsEESt5tupleIJNSF_6TensorESK_SK_EERKSK_lbbbEUlllE0_EEPmJS9_EEE10hipError_tPvRmT3_T4_T5_T6_T7_T9_mT8_P12ihipStream_tbDpT10_ENKUlT_T0_E_clISt17integral_constantIbLb1EES19_IbLb0EEEEDaS15_S16_EUlS15_E_NS1_11comp_targetILNS1_3genE2ELNS1_11target_archE906ELNS1_3gpuE6ELNS1_3repE0EEENS1_30default_config_static_selectorELNS0_4arch9wavefront6targetE1EEEvT1_
		.amdhsa_group_segment_fixed_size 0
		.amdhsa_private_segment_fixed_size 0
		.amdhsa_kernarg_size 120
		.amdhsa_user_sgpr_count 2
		.amdhsa_user_sgpr_dispatch_ptr 0
		.amdhsa_user_sgpr_queue_ptr 0
		.amdhsa_user_sgpr_kernarg_segment_ptr 1
		.amdhsa_user_sgpr_dispatch_id 0
		.amdhsa_user_sgpr_kernarg_preload_length 0
		.amdhsa_user_sgpr_kernarg_preload_offset 0
		.amdhsa_user_sgpr_private_segment_size 0
		.amdhsa_uses_dynamic_stack 0
		.amdhsa_enable_private_segment 0
		.amdhsa_system_sgpr_workgroup_id_x 1
		.amdhsa_system_sgpr_workgroup_id_y 0
		.amdhsa_system_sgpr_workgroup_id_z 0
		.amdhsa_system_sgpr_workgroup_info 0
		.amdhsa_system_vgpr_workitem_id 0
		.amdhsa_next_free_vgpr 1
		.amdhsa_next_free_sgpr 0
		.amdhsa_accum_offset 4
		.amdhsa_reserve_vcc 0
		.amdhsa_float_round_mode_32 0
		.amdhsa_float_round_mode_16_64 0
		.amdhsa_float_denorm_mode_32 3
		.amdhsa_float_denorm_mode_16_64 3
		.amdhsa_dx10_clamp 1
		.amdhsa_ieee_mode 1
		.amdhsa_fp16_overflow 0
		.amdhsa_tg_split 0
		.amdhsa_exception_fp_ieee_invalid_op 0
		.amdhsa_exception_fp_denorm_src 0
		.amdhsa_exception_fp_ieee_div_zero 0
		.amdhsa_exception_fp_ieee_overflow 0
		.amdhsa_exception_fp_ieee_underflow 0
		.amdhsa_exception_fp_ieee_inexact 0
		.amdhsa_exception_int_div_zero 0
	.end_amdhsa_kernel
	.section	.text._ZN7rocprim17ROCPRIM_400000_NS6detail17trampoline_kernelINS0_14default_configENS1_25partition_config_selectorILNS1_17partition_subalgoE9EllbEEZZNS1_14partition_implILS5_9ELb0ES3_jPlS8_PNS0_10empty_typeENS0_5tupleIJS8_S9_EEENSB_IJS8_SA_EEENS0_18inequality_wrapperIZN2at6native12_GLOBAL__N_124unique_dim_cuda_templateIsEESt5tupleIJNSF_6TensorESK_SK_EERKSK_lbbbEUlllE0_EEPmJS9_EEE10hipError_tPvRmT3_T4_T5_T6_T7_T9_mT8_P12ihipStream_tbDpT10_ENKUlT_T0_E_clISt17integral_constantIbLb1EES19_IbLb0EEEEDaS15_S16_EUlS15_E_NS1_11comp_targetILNS1_3genE2ELNS1_11target_archE906ELNS1_3gpuE6ELNS1_3repE0EEENS1_30default_config_static_selectorELNS0_4arch9wavefront6targetE1EEEvT1_,"axG",@progbits,_ZN7rocprim17ROCPRIM_400000_NS6detail17trampoline_kernelINS0_14default_configENS1_25partition_config_selectorILNS1_17partition_subalgoE9EllbEEZZNS1_14partition_implILS5_9ELb0ES3_jPlS8_PNS0_10empty_typeENS0_5tupleIJS8_S9_EEENSB_IJS8_SA_EEENS0_18inequality_wrapperIZN2at6native12_GLOBAL__N_124unique_dim_cuda_templateIsEESt5tupleIJNSF_6TensorESK_SK_EERKSK_lbbbEUlllE0_EEPmJS9_EEE10hipError_tPvRmT3_T4_T5_T6_T7_T9_mT8_P12ihipStream_tbDpT10_ENKUlT_T0_E_clISt17integral_constantIbLb1EES19_IbLb0EEEEDaS15_S16_EUlS15_E_NS1_11comp_targetILNS1_3genE2ELNS1_11target_archE906ELNS1_3gpuE6ELNS1_3repE0EEENS1_30default_config_static_selectorELNS0_4arch9wavefront6targetE1EEEvT1_,comdat
.Lfunc_end742:
	.size	_ZN7rocprim17ROCPRIM_400000_NS6detail17trampoline_kernelINS0_14default_configENS1_25partition_config_selectorILNS1_17partition_subalgoE9EllbEEZZNS1_14partition_implILS5_9ELb0ES3_jPlS8_PNS0_10empty_typeENS0_5tupleIJS8_S9_EEENSB_IJS8_SA_EEENS0_18inequality_wrapperIZN2at6native12_GLOBAL__N_124unique_dim_cuda_templateIsEESt5tupleIJNSF_6TensorESK_SK_EERKSK_lbbbEUlllE0_EEPmJS9_EEE10hipError_tPvRmT3_T4_T5_T6_T7_T9_mT8_P12ihipStream_tbDpT10_ENKUlT_T0_E_clISt17integral_constantIbLb1EES19_IbLb0EEEEDaS15_S16_EUlS15_E_NS1_11comp_targetILNS1_3genE2ELNS1_11target_archE906ELNS1_3gpuE6ELNS1_3repE0EEENS1_30default_config_static_selectorELNS0_4arch9wavefront6targetE1EEEvT1_, .Lfunc_end742-_ZN7rocprim17ROCPRIM_400000_NS6detail17trampoline_kernelINS0_14default_configENS1_25partition_config_selectorILNS1_17partition_subalgoE9EllbEEZZNS1_14partition_implILS5_9ELb0ES3_jPlS8_PNS0_10empty_typeENS0_5tupleIJS8_S9_EEENSB_IJS8_SA_EEENS0_18inequality_wrapperIZN2at6native12_GLOBAL__N_124unique_dim_cuda_templateIsEESt5tupleIJNSF_6TensorESK_SK_EERKSK_lbbbEUlllE0_EEPmJS9_EEE10hipError_tPvRmT3_T4_T5_T6_T7_T9_mT8_P12ihipStream_tbDpT10_ENKUlT_T0_E_clISt17integral_constantIbLb1EES19_IbLb0EEEEDaS15_S16_EUlS15_E_NS1_11comp_targetILNS1_3genE2ELNS1_11target_archE906ELNS1_3gpuE6ELNS1_3repE0EEENS1_30default_config_static_selectorELNS0_4arch9wavefront6targetE1EEEvT1_
                                        ; -- End function
	.section	.AMDGPU.csdata,"",@progbits
; Kernel info:
; codeLenInByte = 0
; NumSgprs: 6
; NumVgprs: 0
; NumAgprs: 0
; TotalNumVgprs: 0
; ScratchSize: 0
; MemoryBound: 0
; FloatMode: 240
; IeeeMode: 1
; LDSByteSize: 0 bytes/workgroup (compile time only)
; SGPRBlocks: 0
; VGPRBlocks: 0
; NumSGPRsForWavesPerEU: 6
; NumVGPRsForWavesPerEU: 1
; AccumOffset: 4
; Occupancy: 8
; WaveLimiterHint : 0
; COMPUTE_PGM_RSRC2:SCRATCH_EN: 0
; COMPUTE_PGM_RSRC2:USER_SGPR: 2
; COMPUTE_PGM_RSRC2:TRAP_HANDLER: 0
; COMPUTE_PGM_RSRC2:TGID_X_EN: 1
; COMPUTE_PGM_RSRC2:TGID_Y_EN: 0
; COMPUTE_PGM_RSRC2:TGID_Z_EN: 0
; COMPUTE_PGM_RSRC2:TIDIG_COMP_CNT: 0
; COMPUTE_PGM_RSRC3_GFX90A:ACCUM_OFFSET: 0
; COMPUTE_PGM_RSRC3_GFX90A:TG_SPLIT: 0
	.section	.text._ZN7rocprim17ROCPRIM_400000_NS6detail17trampoline_kernelINS0_14default_configENS1_25partition_config_selectorILNS1_17partition_subalgoE9EllbEEZZNS1_14partition_implILS5_9ELb0ES3_jPlS8_PNS0_10empty_typeENS0_5tupleIJS8_S9_EEENSB_IJS8_SA_EEENS0_18inequality_wrapperIZN2at6native12_GLOBAL__N_124unique_dim_cuda_templateIsEESt5tupleIJNSF_6TensorESK_SK_EERKSK_lbbbEUlllE0_EEPmJS9_EEE10hipError_tPvRmT3_T4_T5_T6_T7_T9_mT8_P12ihipStream_tbDpT10_ENKUlT_T0_E_clISt17integral_constantIbLb1EES19_IbLb0EEEEDaS15_S16_EUlS15_E_NS1_11comp_targetILNS1_3genE10ELNS1_11target_archE1200ELNS1_3gpuE4ELNS1_3repE0EEENS1_30default_config_static_selectorELNS0_4arch9wavefront6targetE1EEEvT1_,"axG",@progbits,_ZN7rocprim17ROCPRIM_400000_NS6detail17trampoline_kernelINS0_14default_configENS1_25partition_config_selectorILNS1_17partition_subalgoE9EllbEEZZNS1_14partition_implILS5_9ELb0ES3_jPlS8_PNS0_10empty_typeENS0_5tupleIJS8_S9_EEENSB_IJS8_SA_EEENS0_18inequality_wrapperIZN2at6native12_GLOBAL__N_124unique_dim_cuda_templateIsEESt5tupleIJNSF_6TensorESK_SK_EERKSK_lbbbEUlllE0_EEPmJS9_EEE10hipError_tPvRmT3_T4_T5_T6_T7_T9_mT8_P12ihipStream_tbDpT10_ENKUlT_T0_E_clISt17integral_constantIbLb1EES19_IbLb0EEEEDaS15_S16_EUlS15_E_NS1_11comp_targetILNS1_3genE10ELNS1_11target_archE1200ELNS1_3gpuE4ELNS1_3repE0EEENS1_30default_config_static_selectorELNS0_4arch9wavefront6targetE1EEEvT1_,comdat
	.globl	_ZN7rocprim17ROCPRIM_400000_NS6detail17trampoline_kernelINS0_14default_configENS1_25partition_config_selectorILNS1_17partition_subalgoE9EllbEEZZNS1_14partition_implILS5_9ELb0ES3_jPlS8_PNS0_10empty_typeENS0_5tupleIJS8_S9_EEENSB_IJS8_SA_EEENS0_18inequality_wrapperIZN2at6native12_GLOBAL__N_124unique_dim_cuda_templateIsEESt5tupleIJNSF_6TensorESK_SK_EERKSK_lbbbEUlllE0_EEPmJS9_EEE10hipError_tPvRmT3_T4_T5_T6_T7_T9_mT8_P12ihipStream_tbDpT10_ENKUlT_T0_E_clISt17integral_constantIbLb1EES19_IbLb0EEEEDaS15_S16_EUlS15_E_NS1_11comp_targetILNS1_3genE10ELNS1_11target_archE1200ELNS1_3gpuE4ELNS1_3repE0EEENS1_30default_config_static_selectorELNS0_4arch9wavefront6targetE1EEEvT1_ ; -- Begin function _ZN7rocprim17ROCPRIM_400000_NS6detail17trampoline_kernelINS0_14default_configENS1_25partition_config_selectorILNS1_17partition_subalgoE9EllbEEZZNS1_14partition_implILS5_9ELb0ES3_jPlS8_PNS0_10empty_typeENS0_5tupleIJS8_S9_EEENSB_IJS8_SA_EEENS0_18inequality_wrapperIZN2at6native12_GLOBAL__N_124unique_dim_cuda_templateIsEESt5tupleIJNSF_6TensorESK_SK_EERKSK_lbbbEUlllE0_EEPmJS9_EEE10hipError_tPvRmT3_T4_T5_T6_T7_T9_mT8_P12ihipStream_tbDpT10_ENKUlT_T0_E_clISt17integral_constantIbLb1EES19_IbLb0EEEEDaS15_S16_EUlS15_E_NS1_11comp_targetILNS1_3genE10ELNS1_11target_archE1200ELNS1_3gpuE4ELNS1_3repE0EEENS1_30default_config_static_selectorELNS0_4arch9wavefront6targetE1EEEvT1_
	.p2align	8
	.type	_ZN7rocprim17ROCPRIM_400000_NS6detail17trampoline_kernelINS0_14default_configENS1_25partition_config_selectorILNS1_17partition_subalgoE9EllbEEZZNS1_14partition_implILS5_9ELb0ES3_jPlS8_PNS0_10empty_typeENS0_5tupleIJS8_S9_EEENSB_IJS8_SA_EEENS0_18inequality_wrapperIZN2at6native12_GLOBAL__N_124unique_dim_cuda_templateIsEESt5tupleIJNSF_6TensorESK_SK_EERKSK_lbbbEUlllE0_EEPmJS9_EEE10hipError_tPvRmT3_T4_T5_T6_T7_T9_mT8_P12ihipStream_tbDpT10_ENKUlT_T0_E_clISt17integral_constantIbLb1EES19_IbLb0EEEEDaS15_S16_EUlS15_E_NS1_11comp_targetILNS1_3genE10ELNS1_11target_archE1200ELNS1_3gpuE4ELNS1_3repE0EEENS1_30default_config_static_selectorELNS0_4arch9wavefront6targetE1EEEvT1_,@function
_ZN7rocprim17ROCPRIM_400000_NS6detail17trampoline_kernelINS0_14default_configENS1_25partition_config_selectorILNS1_17partition_subalgoE9EllbEEZZNS1_14partition_implILS5_9ELb0ES3_jPlS8_PNS0_10empty_typeENS0_5tupleIJS8_S9_EEENSB_IJS8_SA_EEENS0_18inequality_wrapperIZN2at6native12_GLOBAL__N_124unique_dim_cuda_templateIsEESt5tupleIJNSF_6TensorESK_SK_EERKSK_lbbbEUlllE0_EEPmJS9_EEE10hipError_tPvRmT3_T4_T5_T6_T7_T9_mT8_P12ihipStream_tbDpT10_ENKUlT_T0_E_clISt17integral_constantIbLb1EES19_IbLb0EEEEDaS15_S16_EUlS15_E_NS1_11comp_targetILNS1_3genE10ELNS1_11target_archE1200ELNS1_3gpuE4ELNS1_3repE0EEENS1_30default_config_static_selectorELNS0_4arch9wavefront6targetE1EEEvT1_: ; @_ZN7rocprim17ROCPRIM_400000_NS6detail17trampoline_kernelINS0_14default_configENS1_25partition_config_selectorILNS1_17partition_subalgoE9EllbEEZZNS1_14partition_implILS5_9ELb0ES3_jPlS8_PNS0_10empty_typeENS0_5tupleIJS8_S9_EEENSB_IJS8_SA_EEENS0_18inequality_wrapperIZN2at6native12_GLOBAL__N_124unique_dim_cuda_templateIsEESt5tupleIJNSF_6TensorESK_SK_EERKSK_lbbbEUlllE0_EEPmJS9_EEE10hipError_tPvRmT3_T4_T5_T6_T7_T9_mT8_P12ihipStream_tbDpT10_ENKUlT_T0_E_clISt17integral_constantIbLb1EES19_IbLb0EEEEDaS15_S16_EUlS15_E_NS1_11comp_targetILNS1_3genE10ELNS1_11target_archE1200ELNS1_3gpuE4ELNS1_3repE0EEENS1_30default_config_static_selectorELNS0_4arch9wavefront6targetE1EEEvT1_
; %bb.0:
	.section	.rodata,"a",@progbits
	.p2align	6, 0x0
	.amdhsa_kernel _ZN7rocprim17ROCPRIM_400000_NS6detail17trampoline_kernelINS0_14default_configENS1_25partition_config_selectorILNS1_17partition_subalgoE9EllbEEZZNS1_14partition_implILS5_9ELb0ES3_jPlS8_PNS0_10empty_typeENS0_5tupleIJS8_S9_EEENSB_IJS8_SA_EEENS0_18inequality_wrapperIZN2at6native12_GLOBAL__N_124unique_dim_cuda_templateIsEESt5tupleIJNSF_6TensorESK_SK_EERKSK_lbbbEUlllE0_EEPmJS9_EEE10hipError_tPvRmT3_T4_T5_T6_T7_T9_mT8_P12ihipStream_tbDpT10_ENKUlT_T0_E_clISt17integral_constantIbLb1EES19_IbLb0EEEEDaS15_S16_EUlS15_E_NS1_11comp_targetILNS1_3genE10ELNS1_11target_archE1200ELNS1_3gpuE4ELNS1_3repE0EEENS1_30default_config_static_selectorELNS0_4arch9wavefront6targetE1EEEvT1_
		.amdhsa_group_segment_fixed_size 0
		.amdhsa_private_segment_fixed_size 0
		.amdhsa_kernarg_size 120
		.amdhsa_user_sgpr_count 2
		.amdhsa_user_sgpr_dispatch_ptr 0
		.amdhsa_user_sgpr_queue_ptr 0
		.amdhsa_user_sgpr_kernarg_segment_ptr 1
		.amdhsa_user_sgpr_dispatch_id 0
		.amdhsa_user_sgpr_kernarg_preload_length 0
		.amdhsa_user_sgpr_kernarg_preload_offset 0
		.amdhsa_user_sgpr_private_segment_size 0
		.amdhsa_uses_dynamic_stack 0
		.amdhsa_enable_private_segment 0
		.amdhsa_system_sgpr_workgroup_id_x 1
		.amdhsa_system_sgpr_workgroup_id_y 0
		.amdhsa_system_sgpr_workgroup_id_z 0
		.amdhsa_system_sgpr_workgroup_info 0
		.amdhsa_system_vgpr_workitem_id 0
		.amdhsa_next_free_vgpr 1
		.amdhsa_next_free_sgpr 0
		.amdhsa_accum_offset 4
		.amdhsa_reserve_vcc 0
		.amdhsa_float_round_mode_32 0
		.amdhsa_float_round_mode_16_64 0
		.amdhsa_float_denorm_mode_32 3
		.amdhsa_float_denorm_mode_16_64 3
		.amdhsa_dx10_clamp 1
		.amdhsa_ieee_mode 1
		.amdhsa_fp16_overflow 0
		.amdhsa_tg_split 0
		.amdhsa_exception_fp_ieee_invalid_op 0
		.amdhsa_exception_fp_denorm_src 0
		.amdhsa_exception_fp_ieee_div_zero 0
		.amdhsa_exception_fp_ieee_overflow 0
		.amdhsa_exception_fp_ieee_underflow 0
		.amdhsa_exception_fp_ieee_inexact 0
		.amdhsa_exception_int_div_zero 0
	.end_amdhsa_kernel
	.section	.text._ZN7rocprim17ROCPRIM_400000_NS6detail17trampoline_kernelINS0_14default_configENS1_25partition_config_selectorILNS1_17partition_subalgoE9EllbEEZZNS1_14partition_implILS5_9ELb0ES3_jPlS8_PNS0_10empty_typeENS0_5tupleIJS8_S9_EEENSB_IJS8_SA_EEENS0_18inequality_wrapperIZN2at6native12_GLOBAL__N_124unique_dim_cuda_templateIsEESt5tupleIJNSF_6TensorESK_SK_EERKSK_lbbbEUlllE0_EEPmJS9_EEE10hipError_tPvRmT3_T4_T5_T6_T7_T9_mT8_P12ihipStream_tbDpT10_ENKUlT_T0_E_clISt17integral_constantIbLb1EES19_IbLb0EEEEDaS15_S16_EUlS15_E_NS1_11comp_targetILNS1_3genE10ELNS1_11target_archE1200ELNS1_3gpuE4ELNS1_3repE0EEENS1_30default_config_static_selectorELNS0_4arch9wavefront6targetE1EEEvT1_,"axG",@progbits,_ZN7rocprim17ROCPRIM_400000_NS6detail17trampoline_kernelINS0_14default_configENS1_25partition_config_selectorILNS1_17partition_subalgoE9EllbEEZZNS1_14partition_implILS5_9ELb0ES3_jPlS8_PNS0_10empty_typeENS0_5tupleIJS8_S9_EEENSB_IJS8_SA_EEENS0_18inequality_wrapperIZN2at6native12_GLOBAL__N_124unique_dim_cuda_templateIsEESt5tupleIJNSF_6TensorESK_SK_EERKSK_lbbbEUlllE0_EEPmJS9_EEE10hipError_tPvRmT3_T4_T5_T6_T7_T9_mT8_P12ihipStream_tbDpT10_ENKUlT_T0_E_clISt17integral_constantIbLb1EES19_IbLb0EEEEDaS15_S16_EUlS15_E_NS1_11comp_targetILNS1_3genE10ELNS1_11target_archE1200ELNS1_3gpuE4ELNS1_3repE0EEENS1_30default_config_static_selectorELNS0_4arch9wavefront6targetE1EEEvT1_,comdat
.Lfunc_end743:
	.size	_ZN7rocprim17ROCPRIM_400000_NS6detail17trampoline_kernelINS0_14default_configENS1_25partition_config_selectorILNS1_17partition_subalgoE9EllbEEZZNS1_14partition_implILS5_9ELb0ES3_jPlS8_PNS0_10empty_typeENS0_5tupleIJS8_S9_EEENSB_IJS8_SA_EEENS0_18inequality_wrapperIZN2at6native12_GLOBAL__N_124unique_dim_cuda_templateIsEESt5tupleIJNSF_6TensorESK_SK_EERKSK_lbbbEUlllE0_EEPmJS9_EEE10hipError_tPvRmT3_T4_T5_T6_T7_T9_mT8_P12ihipStream_tbDpT10_ENKUlT_T0_E_clISt17integral_constantIbLb1EES19_IbLb0EEEEDaS15_S16_EUlS15_E_NS1_11comp_targetILNS1_3genE10ELNS1_11target_archE1200ELNS1_3gpuE4ELNS1_3repE0EEENS1_30default_config_static_selectorELNS0_4arch9wavefront6targetE1EEEvT1_, .Lfunc_end743-_ZN7rocprim17ROCPRIM_400000_NS6detail17trampoline_kernelINS0_14default_configENS1_25partition_config_selectorILNS1_17partition_subalgoE9EllbEEZZNS1_14partition_implILS5_9ELb0ES3_jPlS8_PNS0_10empty_typeENS0_5tupleIJS8_S9_EEENSB_IJS8_SA_EEENS0_18inequality_wrapperIZN2at6native12_GLOBAL__N_124unique_dim_cuda_templateIsEESt5tupleIJNSF_6TensorESK_SK_EERKSK_lbbbEUlllE0_EEPmJS9_EEE10hipError_tPvRmT3_T4_T5_T6_T7_T9_mT8_P12ihipStream_tbDpT10_ENKUlT_T0_E_clISt17integral_constantIbLb1EES19_IbLb0EEEEDaS15_S16_EUlS15_E_NS1_11comp_targetILNS1_3genE10ELNS1_11target_archE1200ELNS1_3gpuE4ELNS1_3repE0EEENS1_30default_config_static_selectorELNS0_4arch9wavefront6targetE1EEEvT1_
                                        ; -- End function
	.section	.AMDGPU.csdata,"",@progbits
; Kernel info:
; codeLenInByte = 0
; NumSgprs: 6
; NumVgprs: 0
; NumAgprs: 0
; TotalNumVgprs: 0
; ScratchSize: 0
; MemoryBound: 0
; FloatMode: 240
; IeeeMode: 1
; LDSByteSize: 0 bytes/workgroup (compile time only)
; SGPRBlocks: 0
; VGPRBlocks: 0
; NumSGPRsForWavesPerEU: 6
; NumVGPRsForWavesPerEU: 1
; AccumOffset: 4
; Occupancy: 8
; WaveLimiterHint : 0
; COMPUTE_PGM_RSRC2:SCRATCH_EN: 0
; COMPUTE_PGM_RSRC2:USER_SGPR: 2
; COMPUTE_PGM_RSRC2:TRAP_HANDLER: 0
; COMPUTE_PGM_RSRC2:TGID_X_EN: 1
; COMPUTE_PGM_RSRC2:TGID_Y_EN: 0
; COMPUTE_PGM_RSRC2:TGID_Z_EN: 0
; COMPUTE_PGM_RSRC2:TIDIG_COMP_CNT: 0
; COMPUTE_PGM_RSRC3_GFX90A:ACCUM_OFFSET: 0
; COMPUTE_PGM_RSRC3_GFX90A:TG_SPLIT: 0
	.section	.text._ZN7rocprim17ROCPRIM_400000_NS6detail17trampoline_kernelINS0_14default_configENS1_25partition_config_selectorILNS1_17partition_subalgoE9EllbEEZZNS1_14partition_implILS5_9ELb0ES3_jPlS8_PNS0_10empty_typeENS0_5tupleIJS8_S9_EEENSB_IJS8_SA_EEENS0_18inequality_wrapperIZN2at6native12_GLOBAL__N_124unique_dim_cuda_templateIsEESt5tupleIJNSF_6TensorESK_SK_EERKSK_lbbbEUlllE0_EEPmJS9_EEE10hipError_tPvRmT3_T4_T5_T6_T7_T9_mT8_P12ihipStream_tbDpT10_ENKUlT_T0_E_clISt17integral_constantIbLb1EES19_IbLb0EEEEDaS15_S16_EUlS15_E_NS1_11comp_targetILNS1_3genE9ELNS1_11target_archE1100ELNS1_3gpuE3ELNS1_3repE0EEENS1_30default_config_static_selectorELNS0_4arch9wavefront6targetE1EEEvT1_,"axG",@progbits,_ZN7rocprim17ROCPRIM_400000_NS6detail17trampoline_kernelINS0_14default_configENS1_25partition_config_selectorILNS1_17partition_subalgoE9EllbEEZZNS1_14partition_implILS5_9ELb0ES3_jPlS8_PNS0_10empty_typeENS0_5tupleIJS8_S9_EEENSB_IJS8_SA_EEENS0_18inequality_wrapperIZN2at6native12_GLOBAL__N_124unique_dim_cuda_templateIsEESt5tupleIJNSF_6TensorESK_SK_EERKSK_lbbbEUlllE0_EEPmJS9_EEE10hipError_tPvRmT3_T4_T5_T6_T7_T9_mT8_P12ihipStream_tbDpT10_ENKUlT_T0_E_clISt17integral_constantIbLb1EES19_IbLb0EEEEDaS15_S16_EUlS15_E_NS1_11comp_targetILNS1_3genE9ELNS1_11target_archE1100ELNS1_3gpuE3ELNS1_3repE0EEENS1_30default_config_static_selectorELNS0_4arch9wavefront6targetE1EEEvT1_,comdat
	.globl	_ZN7rocprim17ROCPRIM_400000_NS6detail17trampoline_kernelINS0_14default_configENS1_25partition_config_selectorILNS1_17partition_subalgoE9EllbEEZZNS1_14partition_implILS5_9ELb0ES3_jPlS8_PNS0_10empty_typeENS0_5tupleIJS8_S9_EEENSB_IJS8_SA_EEENS0_18inequality_wrapperIZN2at6native12_GLOBAL__N_124unique_dim_cuda_templateIsEESt5tupleIJNSF_6TensorESK_SK_EERKSK_lbbbEUlllE0_EEPmJS9_EEE10hipError_tPvRmT3_T4_T5_T6_T7_T9_mT8_P12ihipStream_tbDpT10_ENKUlT_T0_E_clISt17integral_constantIbLb1EES19_IbLb0EEEEDaS15_S16_EUlS15_E_NS1_11comp_targetILNS1_3genE9ELNS1_11target_archE1100ELNS1_3gpuE3ELNS1_3repE0EEENS1_30default_config_static_selectorELNS0_4arch9wavefront6targetE1EEEvT1_ ; -- Begin function _ZN7rocprim17ROCPRIM_400000_NS6detail17trampoline_kernelINS0_14default_configENS1_25partition_config_selectorILNS1_17partition_subalgoE9EllbEEZZNS1_14partition_implILS5_9ELb0ES3_jPlS8_PNS0_10empty_typeENS0_5tupleIJS8_S9_EEENSB_IJS8_SA_EEENS0_18inequality_wrapperIZN2at6native12_GLOBAL__N_124unique_dim_cuda_templateIsEESt5tupleIJNSF_6TensorESK_SK_EERKSK_lbbbEUlllE0_EEPmJS9_EEE10hipError_tPvRmT3_T4_T5_T6_T7_T9_mT8_P12ihipStream_tbDpT10_ENKUlT_T0_E_clISt17integral_constantIbLb1EES19_IbLb0EEEEDaS15_S16_EUlS15_E_NS1_11comp_targetILNS1_3genE9ELNS1_11target_archE1100ELNS1_3gpuE3ELNS1_3repE0EEENS1_30default_config_static_selectorELNS0_4arch9wavefront6targetE1EEEvT1_
	.p2align	8
	.type	_ZN7rocprim17ROCPRIM_400000_NS6detail17trampoline_kernelINS0_14default_configENS1_25partition_config_selectorILNS1_17partition_subalgoE9EllbEEZZNS1_14partition_implILS5_9ELb0ES3_jPlS8_PNS0_10empty_typeENS0_5tupleIJS8_S9_EEENSB_IJS8_SA_EEENS0_18inequality_wrapperIZN2at6native12_GLOBAL__N_124unique_dim_cuda_templateIsEESt5tupleIJNSF_6TensorESK_SK_EERKSK_lbbbEUlllE0_EEPmJS9_EEE10hipError_tPvRmT3_T4_T5_T6_T7_T9_mT8_P12ihipStream_tbDpT10_ENKUlT_T0_E_clISt17integral_constantIbLb1EES19_IbLb0EEEEDaS15_S16_EUlS15_E_NS1_11comp_targetILNS1_3genE9ELNS1_11target_archE1100ELNS1_3gpuE3ELNS1_3repE0EEENS1_30default_config_static_selectorELNS0_4arch9wavefront6targetE1EEEvT1_,@function
_ZN7rocprim17ROCPRIM_400000_NS6detail17trampoline_kernelINS0_14default_configENS1_25partition_config_selectorILNS1_17partition_subalgoE9EllbEEZZNS1_14partition_implILS5_9ELb0ES3_jPlS8_PNS0_10empty_typeENS0_5tupleIJS8_S9_EEENSB_IJS8_SA_EEENS0_18inequality_wrapperIZN2at6native12_GLOBAL__N_124unique_dim_cuda_templateIsEESt5tupleIJNSF_6TensorESK_SK_EERKSK_lbbbEUlllE0_EEPmJS9_EEE10hipError_tPvRmT3_T4_T5_T6_T7_T9_mT8_P12ihipStream_tbDpT10_ENKUlT_T0_E_clISt17integral_constantIbLb1EES19_IbLb0EEEEDaS15_S16_EUlS15_E_NS1_11comp_targetILNS1_3genE9ELNS1_11target_archE1100ELNS1_3gpuE3ELNS1_3repE0EEENS1_30default_config_static_selectorELNS0_4arch9wavefront6targetE1EEEvT1_: ; @_ZN7rocprim17ROCPRIM_400000_NS6detail17trampoline_kernelINS0_14default_configENS1_25partition_config_selectorILNS1_17partition_subalgoE9EllbEEZZNS1_14partition_implILS5_9ELb0ES3_jPlS8_PNS0_10empty_typeENS0_5tupleIJS8_S9_EEENSB_IJS8_SA_EEENS0_18inequality_wrapperIZN2at6native12_GLOBAL__N_124unique_dim_cuda_templateIsEESt5tupleIJNSF_6TensorESK_SK_EERKSK_lbbbEUlllE0_EEPmJS9_EEE10hipError_tPvRmT3_T4_T5_T6_T7_T9_mT8_P12ihipStream_tbDpT10_ENKUlT_T0_E_clISt17integral_constantIbLb1EES19_IbLb0EEEEDaS15_S16_EUlS15_E_NS1_11comp_targetILNS1_3genE9ELNS1_11target_archE1100ELNS1_3gpuE3ELNS1_3repE0EEENS1_30default_config_static_selectorELNS0_4arch9wavefront6targetE1EEEvT1_
; %bb.0:
	.section	.rodata,"a",@progbits
	.p2align	6, 0x0
	.amdhsa_kernel _ZN7rocprim17ROCPRIM_400000_NS6detail17trampoline_kernelINS0_14default_configENS1_25partition_config_selectorILNS1_17partition_subalgoE9EllbEEZZNS1_14partition_implILS5_9ELb0ES3_jPlS8_PNS0_10empty_typeENS0_5tupleIJS8_S9_EEENSB_IJS8_SA_EEENS0_18inequality_wrapperIZN2at6native12_GLOBAL__N_124unique_dim_cuda_templateIsEESt5tupleIJNSF_6TensorESK_SK_EERKSK_lbbbEUlllE0_EEPmJS9_EEE10hipError_tPvRmT3_T4_T5_T6_T7_T9_mT8_P12ihipStream_tbDpT10_ENKUlT_T0_E_clISt17integral_constantIbLb1EES19_IbLb0EEEEDaS15_S16_EUlS15_E_NS1_11comp_targetILNS1_3genE9ELNS1_11target_archE1100ELNS1_3gpuE3ELNS1_3repE0EEENS1_30default_config_static_selectorELNS0_4arch9wavefront6targetE1EEEvT1_
		.amdhsa_group_segment_fixed_size 0
		.amdhsa_private_segment_fixed_size 0
		.amdhsa_kernarg_size 120
		.amdhsa_user_sgpr_count 2
		.amdhsa_user_sgpr_dispatch_ptr 0
		.amdhsa_user_sgpr_queue_ptr 0
		.amdhsa_user_sgpr_kernarg_segment_ptr 1
		.amdhsa_user_sgpr_dispatch_id 0
		.amdhsa_user_sgpr_kernarg_preload_length 0
		.amdhsa_user_sgpr_kernarg_preload_offset 0
		.amdhsa_user_sgpr_private_segment_size 0
		.amdhsa_uses_dynamic_stack 0
		.amdhsa_enable_private_segment 0
		.amdhsa_system_sgpr_workgroup_id_x 1
		.amdhsa_system_sgpr_workgroup_id_y 0
		.amdhsa_system_sgpr_workgroup_id_z 0
		.amdhsa_system_sgpr_workgroup_info 0
		.amdhsa_system_vgpr_workitem_id 0
		.amdhsa_next_free_vgpr 1
		.amdhsa_next_free_sgpr 0
		.amdhsa_accum_offset 4
		.amdhsa_reserve_vcc 0
		.amdhsa_float_round_mode_32 0
		.amdhsa_float_round_mode_16_64 0
		.amdhsa_float_denorm_mode_32 3
		.amdhsa_float_denorm_mode_16_64 3
		.amdhsa_dx10_clamp 1
		.amdhsa_ieee_mode 1
		.amdhsa_fp16_overflow 0
		.amdhsa_tg_split 0
		.amdhsa_exception_fp_ieee_invalid_op 0
		.amdhsa_exception_fp_denorm_src 0
		.amdhsa_exception_fp_ieee_div_zero 0
		.amdhsa_exception_fp_ieee_overflow 0
		.amdhsa_exception_fp_ieee_underflow 0
		.amdhsa_exception_fp_ieee_inexact 0
		.amdhsa_exception_int_div_zero 0
	.end_amdhsa_kernel
	.section	.text._ZN7rocprim17ROCPRIM_400000_NS6detail17trampoline_kernelINS0_14default_configENS1_25partition_config_selectorILNS1_17partition_subalgoE9EllbEEZZNS1_14partition_implILS5_9ELb0ES3_jPlS8_PNS0_10empty_typeENS0_5tupleIJS8_S9_EEENSB_IJS8_SA_EEENS0_18inequality_wrapperIZN2at6native12_GLOBAL__N_124unique_dim_cuda_templateIsEESt5tupleIJNSF_6TensorESK_SK_EERKSK_lbbbEUlllE0_EEPmJS9_EEE10hipError_tPvRmT3_T4_T5_T6_T7_T9_mT8_P12ihipStream_tbDpT10_ENKUlT_T0_E_clISt17integral_constantIbLb1EES19_IbLb0EEEEDaS15_S16_EUlS15_E_NS1_11comp_targetILNS1_3genE9ELNS1_11target_archE1100ELNS1_3gpuE3ELNS1_3repE0EEENS1_30default_config_static_selectorELNS0_4arch9wavefront6targetE1EEEvT1_,"axG",@progbits,_ZN7rocprim17ROCPRIM_400000_NS6detail17trampoline_kernelINS0_14default_configENS1_25partition_config_selectorILNS1_17partition_subalgoE9EllbEEZZNS1_14partition_implILS5_9ELb0ES3_jPlS8_PNS0_10empty_typeENS0_5tupleIJS8_S9_EEENSB_IJS8_SA_EEENS0_18inequality_wrapperIZN2at6native12_GLOBAL__N_124unique_dim_cuda_templateIsEESt5tupleIJNSF_6TensorESK_SK_EERKSK_lbbbEUlllE0_EEPmJS9_EEE10hipError_tPvRmT3_T4_T5_T6_T7_T9_mT8_P12ihipStream_tbDpT10_ENKUlT_T0_E_clISt17integral_constantIbLb1EES19_IbLb0EEEEDaS15_S16_EUlS15_E_NS1_11comp_targetILNS1_3genE9ELNS1_11target_archE1100ELNS1_3gpuE3ELNS1_3repE0EEENS1_30default_config_static_selectorELNS0_4arch9wavefront6targetE1EEEvT1_,comdat
.Lfunc_end744:
	.size	_ZN7rocprim17ROCPRIM_400000_NS6detail17trampoline_kernelINS0_14default_configENS1_25partition_config_selectorILNS1_17partition_subalgoE9EllbEEZZNS1_14partition_implILS5_9ELb0ES3_jPlS8_PNS0_10empty_typeENS0_5tupleIJS8_S9_EEENSB_IJS8_SA_EEENS0_18inequality_wrapperIZN2at6native12_GLOBAL__N_124unique_dim_cuda_templateIsEESt5tupleIJNSF_6TensorESK_SK_EERKSK_lbbbEUlllE0_EEPmJS9_EEE10hipError_tPvRmT3_T4_T5_T6_T7_T9_mT8_P12ihipStream_tbDpT10_ENKUlT_T0_E_clISt17integral_constantIbLb1EES19_IbLb0EEEEDaS15_S16_EUlS15_E_NS1_11comp_targetILNS1_3genE9ELNS1_11target_archE1100ELNS1_3gpuE3ELNS1_3repE0EEENS1_30default_config_static_selectorELNS0_4arch9wavefront6targetE1EEEvT1_, .Lfunc_end744-_ZN7rocprim17ROCPRIM_400000_NS6detail17trampoline_kernelINS0_14default_configENS1_25partition_config_selectorILNS1_17partition_subalgoE9EllbEEZZNS1_14partition_implILS5_9ELb0ES3_jPlS8_PNS0_10empty_typeENS0_5tupleIJS8_S9_EEENSB_IJS8_SA_EEENS0_18inequality_wrapperIZN2at6native12_GLOBAL__N_124unique_dim_cuda_templateIsEESt5tupleIJNSF_6TensorESK_SK_EERKSK_lbbbEUlllE0_EEPmJS9_EEE10hipError_tPvRmT3_T4_T5_T6_T7_T9_mT8_P12ihipStream_tbDpT10_ENKUlT_T0_E_clISt17integral_constantIbLb1EES19_IbLb0EEEEDaS15_S16_EUlS15_E_NS1_11comp_targetILNS1_3genE9ELNS1_11target_archE1100ELNS1_3gpuE3ELNS1_3repE0EEENS1_30default_config_static_selectorELNS0_4arch9wavefront6targetE1EEEvT1_
                                        ; -- End function
	.section	.AMDGPU.csdata,"",@progbits
; Kernel info:
; codeLenInByte = 0
; NumSgprs: 6
; NumVgprs: 0
; NumAgprs: 0
; TotalNumVgprs: 0
; ScratchSize: 0
; MemoryBound: 0
; FloatMode: 240
; IeeeMode: 1
; LDSByteSize: 0 bytes/workgroup (compile time only)
; SGPRBlocks: 0
; VGPRBlocks: 0
; NumSGPRsForWavesPerEU: 6
; NumVGPRsForWavesPerEU: 1
; AccumOffset: 4
; Occupancy: 8
; WaveLimiterHint : 0
; COMPUTE_PGM_RSRC2:SCRATCH_EN: 0
; COMPUTE_PGM_RSRC2:USER_SGPR: 2
; COMPUTE_PGM_RSRC2:TRAP_HANDLER: 0
; COMPUTE_PGM_RSRC2:TGID_X_EN: 1
; COMPUTE_PGM_RSRC2:TGID_Y_EN: 0
; COMPUTE_PGM_RSRC2:TGID_Z_EN: 0
; COMPUTE_PGM_RSRC2:TIDIG_COMP_CNT: 0
; COMPUTE_PGM_RSRC3_GFX90A:ACCUM_OFFSET: 0
; COMPUTE_PGM_RSRC3_GFX90A:TG_SPLIT: 0
	.section	.text._ZN7rocprim17ROCPRIM_400000_NS6detail17trampoline_kernelINS0_14default_configENS1_25partition_config_selectorILNS1_17partition_subalgoE9EllbEEZZNS1_14partition_implILS5_9ELb0ES3_jPlS8_PNS0_10empty_typeENS0_5tupleIJS8_S9_EEENSB_IJS8_SA_EEENS0_18inequality_wrapperIZN2at6native12_GLOBAL__N_124unique_dim_cuda_templateIsEESt5tupleIJNSF_6TensorESK_SK_EERKSK_lbbbEUlllE0_EEPmJS9_EEE10hipError_tPvRmT3_T4_T5_T6_T7_T9_mT8_P12ihipStream_tbDpT10_ENKUlT_T0_E_clISt17integral_constantIbLb1EES19_IbLb0EEEEDaS15_S16_EUlS15_E_NS1_11comp_targetILNS1_3genE8ELNS1_11target_archE1030ELNS1_3gpuE2ELNS1_3repE0EEENS1_30default_config_static_selectorELNS0_4arch9wavefront6targetE1EEEvT1_,"axG",@progbits,_ZN7rocprim17ROCPRIM_400000_NS6detail17trampoline_kernelINS0_14default_configENS1_25partition_config_selectorILNS1_17partition_subalgoE9EllbEEZZNS1_14partition_implILS5_9ELb0ES3_jPlS8_PNS0_10empty_typeENS0_5tupleIJS8_S9_EEENSB_IJS8_SA_EEENS0_18inequality_wrapperIZN2at6native12_GLOBAL__N_124unique_dim_cuda_templateIsEESt5tupleIJNSF_6TensorESK_SK_EERKSK_lbbbEUlllE0_EEPmJS9_EEE10hipError_tPvRmT3_T4_T5_T6_T7_T9_mT8_P12ihipStream_tbDpT10_ENKUlT_T0_E_clISt17integral_constantIbLb1EES19_IbLb0EEEEDaS15_S16_EUlS15_E_NS1_11comp_targetILNS1_3genE8ELNS1_11target_archE1030ELNS1_3gpuE2ELNS1_3repE0EEENS1_30default_config_static_selectorELNS0_4arch9wavefront6targetE1EEEvT1_,comdat
	.globl	_ZN7rocprim17ROCPRIM_400000_NS6detail17trampoline_kernelINS0_14default_configENS1_25partition_config_selectorILNS1_17partition_subalgoE9EllbEEZZNS1_14partition_implILS5_9ELb0ES3_jPlS8_PNS0_10empty_typeENS0_5tupleIJS8_S9_EEENSB_IJS8_SA_EEENS0_18inequality_wrapperIZN2at6native12_GLOBAL__N_124unique_dim_cuda_templateIsEESt5tupleIJNSF_6TensorESK_SK_EERKSK_lbbbEUlllE0_EEPmJS9_EEE10hipError_tPvRmT3_T4_T5_T6_T7_T9_mT8_P12ihipStream_tbDpT10_ENKUlT_T0_E_clISt17integral_constantIbLb1EES19_IbLb0EEEEDaS15_S16_EUlS15_E_NS1_11comp_targetILNS1_3genE8ELNS1_11target_archE1030ELNS1_3gpuE2ELNS1_3repE0EEENS1_30default_config_static_selectorELNS0_4arch9wavefront6targetE1EEEvT1_ ; -- Begin function _ZN7rocprim17ROCPRIM_400000_NS6detail17trampoline_kernelINS0_14default_configENS1_25partition_config_selectorILNS1_17partition_subalgoE9EllbEEZZNS1_14partition_implILS5_9ELb0ES3_jPlS8_PNS0_10empty_typeENS0_5tupleIJS8_S9_EEENSB_IJS8_SA_EEENS0_18inequality_wrapperIZN2at6native12_GLOBAL__N_124unique_dim_cuda_templateIsEESt5tupleIJNSF_6TensorESK_SK_EERKSK_lbbbEUlllE0_EEPmJS9_EEE10hipError_tPvRmT3_T4_T5_T6_T7_T9_mT8_P12ihipStream_tbDpT10_ENKUlT_T0_E_clISt17integral_constantIbLb1EES19_IbLb0EEEEDaS15_S16_EUlS15_E_NS1_11comp_targetILNS1_3genE8ELNS1_11target_archE1030ELNS1_3gpuE2ELNS1_3repE0EEENS1_30default_config_static_selectorELNS0_4arch9wavefront6targetE1EEEvT1_
	.p2align	8
	.type	_ZN7rocprim17ROCPRIM_400000_NS6detail17trampoline_kernelINS0_14default_configENS1_25partition_config_selectorILNS1_17partition_subalgoE9EllbEEZZNS1_14partition_implILS5_9ELb0ES3_jPlS8_PNS0_10empty_typeENS0_5tupleIJS8_S9_EEENSB_IJS8_SA_EEENS0_18inequality_wrapperIZN2at6native12_GLOBAL__N_124unique_dim_cuda_templateIsEESt5tupleIJNSF_6TensorESK_SK_EERKSK_lbbbEUlllE0_EEPmJS9_EEE10hipError_tPvRmT3_T4_T5_T6_T7_T9_mT8_P12ihipStream_tbDpT10_ENKUlT_T0_E_clISt17integral_constantIbLb1EES19_IbLb0EEEEDaS15_S16_EUlS15_E_NS1_11comp_targetILNS1_3genE8ELNS1_11target_archE1030ELNS1_3gpuE2ELNS1_3repE0EEENS1_30default_config_static_selectorELNS0_4arch9wavefront6targetE1EEEvT1_,@function
_ZN7rocprim17ROCPRIM_400000_NS6detail17trampoline_kernelINS0_14default_configENS1_25partition_config_selectorILNS1_17partition_subalgoE9EllbEEZZNS1_14partition_implILS5_9ELb0ES3_jPlS8_PNS0_10empty_typeENS0_5tupleIJS8_S9_EEENSB_IJS8_SA_EEENS0_18inequality_wrapperIZN2at6native12_GLOBAL__N_124unique_dim_cuda_templateIsEESt5tupleIJNSF_6TensorESK_SK_EERKSK_lbbbEUlllE0_EEPmJS9_EEE10hipError_tPvRmT3_T4_T5_T6_T7_T9_mT8_P12ihipStream_tbDpT10_ENKUlT_T0_E_clISt17integral_constantIbLb1EES19_IbLb0EEEEDaS15_S16_EUlS15_E_NS1_11comp_targetILNS1_3genE8ELNS1_11target_archE1030ELNS1_3gpuE2ELNS1_3repE0EEENS1_30default_config_static_selectorELNS0_4arch9wavefront6targetE1EEEvT1_: ; @_ZN7rocprim17ROCPRIM_400000_NS6detail17trampoline_kernelINS0_14default_configENS1_25partition_config_selectorILNS1_17partition_subalgoE9EllbEEZZNS1_14partition_implILS5_9ELb0ES3_jPlS8_PNS0_10empty_typeENS0_5tupleIJS8_S9_EEENSB_IJS8_SA_EEENS0_18inequality_wrapperIZN2at6native12_GLOBAL__N_124unique_dim_cuda_templateIsEESt5tupleIJNSF_6TensorESK_SK_EERKSK_lbbbEUlllE0_EEPmJS9_EEE10hipError_tPvRmT3_T4_T5_T6_T7_T9_mT8_P12ihipStream_tbDpT10_ENKUlT_T0_E_clISt17integral_constantIbLb1EES19_IbLb0EEEEDaS15_S16_EUlS15_E_NS1_11comp_targetILNS1_3genE8ELNS1_11target_archE1030ELNS1_3gpuE2ELNS1_3repE0EEENS1_30default_config_static_selectorELNS0_4arch9wavefront6targetE1EEEvT1_
; %bb.0:
	.section	.rodata,"a",@progbits
	.p2align	6, 0x0
	.amdhsa_kernel _ZN7rocprim17ROCPRIM_400000_NS6detail17trampoline_kernelINS0_14default_configENS1_25partition_config_selectorILNS1_17partition_subalgoE9EllbEEZZNS1_14partition_implILS5_9ELb0ES3_jPlS8_PNS0_10empty_typeENS0_5tupleIJS8_S9_EEENSB_IJS8_SA_EEENS0_18inequality_wrapperIZN2at6native12_GLOBAL__N_124unique_dim_cuda_templateIsEESt5tupleIJNSF_6TensorESK_SK_EERKSK_lbbbEUlllE0_EEPmJS9_EEE10hipError_tPvRmT3_T4_T5_T6_T7_T9_mT8_P12ihipStream_tbDpT10_ENKUlT_T0_E_clISt17integral_constantIbLb1EES19_IbLb0EEEEDaS15_S16_EUlS15_E_NS1_11comp_targetILNS1_3genE8ELNS1_11target_archE1030ELNS1_3gpuE2ELNS1_3repE0EEENS1_30default_config_static_selectorELNS0_4arch9wavefront6targetE1EEEvT1_
		.amdhsa_group_segment_fixed_size 0
		.amdhsa_private_segment_fixed_size 0
		.amdhsa_kernarg_size 120
		.amdhsa_user_sgpr_count 2
		.amdhsa_user_sgpr_dispatch_ptr 0
		.amdhsa_user_sgpr_queue_ptr 0
		.amdhsa_user_sgpr_kernarg_segment_ptr 1
		.amdhsa_user_sgpr_dispatch_id 0
		.amdhsa_user_sgpr_kernarg_preload_length 0
		.amdhsa_user_sgpr_kernarg_preload_offset 0
		.amdhsa_user_sgpr_private_segment_size 0
		.amdhsa_uses_dynamic_stack 0
		.amdhsa_enable_private_segment 0
		.amdhsa_system_sgpr_workgroup_id_x 1
		.amdhsa_system_sgpr_workgroup_id_y 0
		.amdhsa_system_sgpr_workgroup_id_z 0
		.amdhsa_system_sgpr_workgroup_info 0
		.amdhsa_system_vgpr_workitem_id 0
		.amdhsa_next_free_vgpr 1
		.amdhsa_next_free_sgpr 0
		.amdhsa_accum_offset 4
		.amdhsa_reserve_vcc 0
		.amdhsa_float_round_mode_32 0
		.amdhsa_float_round_mode_16_64 0
		.amdhsa_float_denorm_mode_32 3
		.amdhsa_float_denorm_mode_16_64 3
		.amdhsa_dx10_clamp 1
		.amdhsa_ieee_mode 1
		.amdhsa_fp16_overflow 0
		.amdhsa_tg_split 0
		.amdhsa_exception_fp_ieee_invalid_op 0
		.amdhsa_exception_fp_denorm_src 0
		.amdhsa_exception_fp_ieee_div_zero 0
		.amdhsa_exception_fp_ieee_overflow 0
		.amdhsa_exception_fp_ieee_underflow 0
		.amdhsa_exception_fp_ieee_inexact 0
		.amdhsa_exception_int_div_zero 0
	.end_amdhsa_kernel
	.section	.text._ZN7rocprim17ROCPRIM_400000_NS6detail17trampoline_kernelINS0_14default_configENS1_25partition_config_selectorILNS1_17partition_subalgoE9EllbEEZZNS1_14partition_implILS5_9ELb0ES3_jPlS8_PNS0_10empty_typeENS0_5tupleIJS8_S9_EEENSB_IJS8_SA_EEENS0_18inequality_wrapperIZN2at6native12_GLOBAL__N_124unique_dim_cuda_templateIsEESt5tupleIJNSF_6TensorESK_SK_EERKSK_lbbbEUlllE0_EEPmJS9_EEE10hipError_tPvRmT3_T4_T5_T6_T7_T9_mT8_P12ihipStream_tbDpT10_ENKUlT_T0_E_clISt17integral_constantIbLb1EES19_IbLb0EEEEDaS15_S16_EUlS15_E_NS1_11comp_targetILNS1_3genE8ELNS1_11target_archE1030ELNS1_3gpuE2ELNS1_3repE0EEENS1_30default_config_static_selectorELNS0_4arch9wavefront6targetE1EEEvT1_,"axG",@progbits,_ZN7rocprim17ROCPRIM_400000_NS6detail17trampoline_kernelINS0_14default_configENS1_25partition_config_selectorILNS1_17partition_subalgoE9EllbEEZZNS1_14partition_implILS5_9ELb0ES3_jPlS8_PNS0_10empty_typeENS0_5tupleIJS8_S9_EEENSB_IJS8_SA_EEENS0_18inequality_wrapperIZN2at6native12_GLOBAL__N_124unique_dim_cuda_templateIsEESt5tupleIJNSF_6TensorESK_SK_EERKSK_lbbbEUlllE0_EEPmJS9_EEE10hipError_tPvRmT3_T4_T5_T6_T7_T9_mT8_P12ihipStream_tbDpT10_ENKUlT_T0_E_clISt17integral_constantIbLb1EES19_IbLb0EEEEDaS15_S16_EUlS15_E_NS1_11comp_targetILNS1_3genE8ELNS1_11target_archE1030ELNS1_3gpuE2ELNS1_3repE0EEENS1_30default_config_static_selectorELNS0_4arch9wavefront6targetE1EEEvT1_,comdat
.Lfunc_end745:
	.size	_ZN7rocprim17ROCPRIM_400000_NS6detail17trampoline_kernelINS0_14default_configENS1_25partition_config_selectorILNS1_17partition_subalgoE9EllbEEZZNS1_14partition_implILS5_9ELb0ES3_jPlS8_PNS0_10empty_typeENS0_5tupleIJS8_S9_EEENSB_IJS8_SA_EEENS0_18inequality_wrapperIZN2at6native12_GLOBAL__N_124unique_dim_cuda_templateIsEESt5tupleIJNSF_6TensorESK_SK_EERKSK_lbbbEUlllE0_EEPmJS9_EEE10hipError_tPvRmT3_T4_T5_T6_T7_T9_mT8_P12ihipStream_tbDpT10_ENKUlT_T0_E_clISt17integral_constantIbLb1EES19_IbLb0EEEEDaS15_S16_EUlS15_E_NS1_11comp_targetILNS1_3genE8ELNS1_11target_archE1030ELNS1_3gpuE2ELNS1_3repE0EEENS1_30default_config_static_selectorELNS0_4arch9wavefront6targetE1EEEvT1_, .Lfunc_end745-_ZN7rocprim17ROCPRIM_400000_NS6detail17trampoline_kernelINS0_14default_configENS1_25partition_config_selectorILNS1_17partition_subalgoE9EllbEEZZNS1_14partition_implILS5_9ELb0ES3_jPlS8_PNS0_10empty_typeENS0_5tupleIJS8_S9_EEENSB_IJS8_SA_EEENS0_18inequality_wrapperIZN2at6native12_GLOBAL__N_124unique_dim_cuda_templateIsEESt5tupleIJNSF_6TensorESK_SK_EERKSK_lbbbEUlllE0_EEPmJS9_EEE10hipError_tPvRmT3_T4_T5_T6_T7_T9_mT8_P12ihipStream_tbDpT10_ENKUlT_T0_E_clISt17integral_constantIbLb1EES19_IbLb0EEEEDaS15_S16_EUlS15_E_NS1_11comp_targetILNS1_3genE8ELNS1_11target_archE1030ELNS1_3gpuE2ELNS1_3repE0EEENS1_30default_config_static_selectorELNS0_4arch9wavefront6targetE1EEEvT1_
                                        ; -- End function
	.section	.AMDGPU.csdata,"",@progbits
; Kernel info:
; codeLenInByte = 0
; NumSgprs: 6
; NumVgprs: 0
; NumAgprs: 0
; TotalNumVgprs: 0
; ScratchSize: 0
; MemoryBound: 0
; FloatMode: 240
; IeeeMode: 1
; LDSByteSize: 0 bytes/workgroup (compile time only)
; SGPRBlocks: 0
; VGPRBlocks: 0
; NumSGPRsForWavesPerEU: 6
; NumVGPRsForWavesPerEU: 1
; AccumOffset: 4
; Occupancy: 8
; WaveLimiterHint : 0
; COMPUTE_PGM_RSRC2:SCRATCH_EN: 0
; COMPUTE_PGM_RSRC2:USER_SGPR: 2
; COMPUTE_PGM_RSRC2:TRAP_HANDLER: 0
; COMPUTE_PGM_RSRC2:TGID_X_EN: 1
; COMPUTE_PGM_RSRC2:TGID_Y_EN: 0
; COMPUTE_PGM_RSRC2:TGID_Z_EN: 0
; COMPUTE_PGM_RSRC2:TIDIG_COMP_CNT: 0
; COMPUTE_PGM_RSRC3_GFX90A:ACCUM_OFFSET: 0
; COMPUTE_PGM_RSRC3_GFX90A:TG_SPLIT: 0
	.section	.text._ZN7rocprim17ROCPRIM_400000_NS6detail17trampoline_kernelINS0_14default_configENS1_25partition_config_selectorILNS1_17partition_subalgoE9EllbEEZZNS1_14partition_implILS5_9ELb0ES3_jPlS8_PNS0_10empty_typeENS0_5tupleIJS8_S9_EEENSB_IJS8_SA_EEENS0_18inequality_wrapperIZN2at6native12_GLOBAL__N_124unique_dim_cuda_templateIsEESt5tupleIJNSF_6TensorESK_SK_EERKSK_lbbbEUlllE0_EEPmJS9_EEE10hipError_tPvRmT3_T4_T5_T6_T7_T9_mT8_P12ihipStream_tbDpT10_ENKUlT_T0_E_clISt17integral_constantIbLb0EES19_IbLb1EEEEDaS15_S16_EUlS15_E_NS1_11comp_targetILNS1_3genE0ELNS1_11target_archE4294967295ELNS1_3gpuE0ELNS1_3repE0EEENS1_30default_config_static_selectorELNS0_4arch9wavefront6targetE1EEEvT1_,"axG",@progbits,_ZN7rocprim17ROCPRIM_400000_NS6detail17trampoline_kernelINS0_14default_configENS1_25partition_config_selectorILNS1_17partition_subalgoE9EllbEEZZNS1_14partition_implILS5_9ELb0ES3_jPlS8_PNS0_10empty_typeENS0_5tupleIJS8_S9_EEENSB_IJS8_SA_EEENS0_18inequality_wrapperIZN2at6native12_GLOBAL__N_124unique_dim_cuda_templateIsEESt5tupleIJNSF_6TensorESK_SK_EERKSK_lbbbEUlllE0_EEPmJS9_EEE10hipError_tPvRmT3_T4_T5_T6_T7_T9_mT8_P12ihipStream_tbDpT10_ENKUlT_T0_E_clISt17integral_constantIbLb0EES19_IbLb1EEEEDaS15_S16_EUlS15_E_NS1_11comp_targetILNS1_3genE0ELNS1_11target_archE4294967295ELNS1_3gpuE0ELNS1_3repE0EEENS1_30default_config_static_selectorELNS0_4arch9wavefront6targetE1EEEvT1_,comdat
	.globl	_ZN7rocprim17ROCPRIM_400000_NS6detail17trampoline_kernelINS0_14default_configENS1_25partition_config_selectorILNS1_17partition_subalgoE9EllbEEZZNS1_14partition_implILS5_9ELb0ES3_jPlS8_PNS0_10empty_typeENS0_5tupleIJS8_S9_EEENSB_IJS8_SA_EEENS0_18inequality_wrapperIZN2at6native12_GLOBAL__N_124unique_dim_cuda_templateIsEESt5tupleIJNSF_6TensorESK_SK_EERKSK_lbbbEUlllE0_EEPmJS9_EEE10hipError_tPvRmT3_T4_T5_T6_T7_T9_mT8_P12ihipStream_tbDpT10_ENKUlT_T0_E_clISt17integral_constantIbLb0EES19_IbLb1EEEEDaS15_S16_EUlS15_E_NS1_11comp_targetILNS1_3genE0ELNS1_11target_archE4294967295ELNS1_3gpuE0ELNS1_3repE0EEENS1_30default_config_static_selectorELNS0_4arch9wavefront6targetE1EEEvT1_ ; -- Begin function _ZN7rocprim17ROCPRIM_400000_NS6detail17trampoline_kernelINS0_14default_configENS1_25partition_config_selectorILNS1_17partition_subalgoE9EllbEEZZNS1_14partition_implILS5_9ELb0ES3_jPlS8_PNS0_10empty_typeENS0_5tupleIJS8_S9_EEENSB_IJS8_SA_EEENS0_18inequality_wrapperIZN2at6native12_GLOBAL__N_124unique_dim_cuda_templateIsEESt5tupleIJNSF_6TensorESK_SK_EERKSK_lbbbEUlllE0_EEPmJS9_EEE10hipError_tPvRmT3_T4_T5_T6_T7_T9_mT8_P12ihipStream_tbDpT10_ENKUlT_T0_E_clISt17integral_constantIbLb0EES19_IbLb1EEEEDaS15_S16_EUlS15_E_NS1_11comp_targetILNS1_3genE0ELNS1_11target_archE4294967295ELNS1_3gpuE0ELNS1_3repE0EEENS1_30default_config_static_selectorELNS0_4arch9wavefront6targetE1EEEvT1_
	.p2align	8
	.type	_ZN7rocprim17ROCPRIM_400000_NS6detail17trampoline_kernelINS0_14default_configENS1_25partition_config_selectorILNS1_17partition_subalgoE9EllbEEZZNS1_14partition_implILS5_9ELb0ES3_jPlS8_PNS0_10empty_typeENS0_5tupleIJS8_S9_EEENSB_IJS8_SA_EEENS0_18inequality_wrapperIZN2at6native12_GLOBAL__N_124unique_dim_cuda_templateIsEESt5tupleIJNSF_6TensorESK_SK_EERKSK_lbbbEUlllE0_EEPmJS9_EEE10hipError_tPvRmT3_T4_T5_T6_T7_T9_mT8_P12ihipStream_tbDpT10_ENKUlT_T0_E_clISt17integral_constantIbLb0EES19_IbLb1EEEEDaS15_S16_EUlS15_E_NS1_11comp_targetILNS1_3genE0ELNS1_11target_archE4294967295ELNS1_3gpuE0ELNS1_3repE0EEENS1_30default_config_static_selectorELNS0_4arch9wavefront6targetE1EEEvT1_,@function
_ZN7rocprim17ROCPRIM_400000_NS6detail17trampoline_kernelINS0_14default_configENS1_25partition_config_selectorILNS1_17partition_subalgoE9EllbEEZZNS1_14partition_implILS5_9ELb0ES3_jPlS8_PNS0_10empty_typeENS0_5tupleIJS8_S9_EEENSB_IJS8_SA_EEENS0_18inequality_wrapperIZN2at6native12_GLOBAL__N_124unique_dim_cuda_templateIsEESt5tupleIJNSF_6TensorESK_SK_EERKSK_lbbbEUlllE0_EEPmJS9_EEE10hipError_tPvRmT3_T4_T5_T6_T7_T9_mT8_P12ihipStream_tbDpT10_ENKUlT_T0_E_clISt17integral_constantIbLb0EES19_IbLb1EEEEDaS15_S16_EUlS15_E_NS1_11comp_targetILNS1_3genE0ELNS1_11target_archE4294967295ELNS1_3gpuE0ELNS1_3repE0EEENS1_30default_config_static_selectorELNS0_4arch9wavefront6targetE1EEEvT1_: ; @_ZN7rocprim17ROCPRIM_400000_NS6detail17trampoline_kernelINS0_14default_configENS1_25partition_config_selectorILNS1_17partition_subalgoE9EllbEEZZNS1_14partition_implILS5_9ELb0ES3_jPlS8_PNS0_10empty_typeENS0_5tupleIJS8_S9_EEENSB_IJS8_SA_EEENS0_18inequality_wrapperIZN2at6native12_GLOBAL__N_124unique_dim_cuda_templateIsEESt5tupleIJNSF_6TensorESK_SK_EERKSK_lbbbEUlllE0_EEPmJS9_EEE10hipError_tPvRmT3_T4_T5_T6_T7_T9_mT8_P12ihipStream_tbDpT10_ENKUlT_T0_E_clISt17integral_constantIbLb0EES19_IbLb1EEEEDaS15_S16_EUlS15_E_NS1_11comp_targetILNS1_3genE0ELNS1_11target_archE4294967295ELNS1_3gpuE0ELNS1_3repE0EEENS1_30default_config_static_selectorELNS0_4arch9wavefront6targetE1EEEvT1_
; %bb.0:
	.section	.rodata,"a",@progbits
	.p2align	6, 0x0
	.amdhsa_kernel _ZN7rocprim17ROCPRIM_400000_NS6detail17trampoline_kernelINS0_14default_configENS1_25partition_config_selectorILNS1_17partition_subalgoE9EllbEEZZNS1_14partition_implILS5_9ELb0ES3_jPlS8_PNS0_10empty_typeENS0_5tupleIJS8_S9_EEENSB_IJS8_SA_EEENS0_18inequality_wrapperIZN2at6native12_GLOBAL__N_124unique_dim_cuda_templateIsEESt5tupleIJNSF_6TensorESK_SK_EERKSK_lbbbEUlllE0_EEPmJS9_EEE10hipError_tPvRmT3_T4_T5_T6_T7_T9_mT8_P12ihipStream_tbDpT10_ENKUlT_T0_E_clISt17integral_constantIbLb0EES19_IbLb1EEEEDaS15_S16_EUlS15_E_NS1_11comp_targetILNS1_3genE0ELNS1_11target_archE4294967295ELNS1_3gpuE0ELNS1_3repE0EEENS1_30default_config_static_selectorELNS0_4arch9wavefront6targetE1EEEvT1_
		.amdhsa_group_segment_fixed_size 0
		.amdhsa_private_segment_fixed_size 0
		.amdhsa_kernarg_size 136
		.amdhsa_user_sgpr_count 2
		.amdhsa_user_sgpr_dispatch_ptr 0
		.amdhsa_user_sgpr_queue_ptr 0
		.amdhsa_user_sgpr_kernarg_segment_ptr 1
		.amdhsa_user_sgpr_dispatch_id 0
		.amdhsa_user_sgpr_kernarg_preload_length 0
		.amdhsa_user_sgpr_kernarg_preload_offset 0
		.amdhsa_user_sgpr_private_segment_size 0
		.amdhsa_uses_dynamic_stack 0
		.amdhsa_enable_private_segment 0
		.amdhsa_system_sgpr_workgroup_id_x 1
		.amdhsa_system_sgpr_workgroup_id_y 0
		.amdhsa_system_sgpr_workgroup_id_z 0
		.amdhsa_system_sgpr_workgroup_info 0
		.amdhsa_system_vgpr_workitem_id 0
		.amdhsa_next_free_vgpr 1
		.amdhsa_next_free_sgpr 0
		.amdhsa_accum_offset 4
		.amdhsa_reserve_vcc 0
		.amdhsa_float_round_mode_32 0
		.amdhsa_float_round_mode_16_64 0
		.amdhsa_float_denorm_mode_32 3
		.amdhsa_float_denorm_mode_16_64 3
		.amdhsa_dx10_clamp 1
		.amdhsa_ieee_mode 1
		.amdhsa_fp16_overflow 0
		.amdhsa_tg_split 0
		.amdhsa_exception_fp_ieee_invalid_op 0
		.amdhsa_exception_fp_denorm_src 0
		.amdhsa_exception_fp_ieee_div_zero 0
		.amdhsa_exception_fp_ieee_overflow 0
		.amdhsa_exception_fp_ieee_underflow 0
		.amdhsa_exception_fp_ieee_inexact 0
		.amdhsa_exception_int_div_zero 0
	.end_amdhsa_kernel
	.section	.text._ZN7rocprim17ROCPRIM_400000_NS6detail17trampoline_kernelINS0_14default_configENS1_25partition_config_selectorILNS1_17partition_subalgoE9EllbEEZZNS1_14partition_implILS5_9ELb0ES3_jPlS8_PNS0_10empty_typeENS0_5tupleIJS8_S9_EEENSB_IJS8_SA_EEENS0_18inequality_wrapperIZN2at6native12_GLOBAL__N_124unique_dim_cuda_templateIsEESt5tupleIJNSF_6TensorESK_SK_EERKSK_lbbbEUlllE0_EEPmJS9_EEE10hipError_tPvRmT3_T4_T5_T6_T7_T9_mT8_P12ihipStream_tbDpT10_ENKUlT_T0_E_clISt17integral_constantIbLb0EES19_IbLb1EEEEDaS15_S16_EUlS15_E_NS1_11comp_targetILNS1_3genE0ELNS1_11target_archE4294967295ELNS1_3gpuE0ELNS1_3repE0EEENS1_30default_config_static_selectorELNS0_4arch9wavefront6targetE1EEEvT1_,"axG",@progbits,_ZN7rocprim17ROCPRIM_400000_NS6detail17trampoline_kernelINS0_14default_configENS1_25partition_config_selectorILNS1_17partition_subalgoE9EllbEEZZNS1_14partition_implILS5_9ELb0ES3_jPlS8_PNS0_10empty_typeENS0_5tupleIJS8_S9_EEENSB_IJS8_SA_EEENS0_18inequality_wrapperIZN2at6native12_GLOBAL__N_124unique_dim_cuda_templateIsEESt5tupleIJNSF_6TensorESK_SK_EERKSK_lbbbEUlllE0_EEPmJS9_EEE10hipError_tPvRmT3_T4_T5_T6_T7_T9_mT8_P12ihipStream_tbDpT10_ENKUlT_T0_E_clISt17integral_constantIbLb0EES19_IbLb1EEEEDaS15_S16_EUlS15_E_NS1_11comp_targetILNS1_3genE0ELNS1_11target_archE4294967295ELNS1_3gpuE0ELNS1_3repE0EEENS1_30default_config_static_selectorELNS0_4arch9wavefront6targetE1EEEvT1_,comdat
.Lfunc_end746:
	.size	_ZN7rocprim17ROCPRIM_400000_NS6detail17trampoline_kernelINS0_14default_configENS1_25partition_config_selectorILNS1_17partition_subalgoE9EllbEEZZNS1_14partition_implILS5_9ELb0ES3_jPlS8_PNS0_10empty_typeENS0_5tupleIJS8_S9_EEENSB_IJS8_SA_EEENS0_18inequality_wrapperIZN2at6native12_GLOBAL__N_124unique_dim_cuda_templateIsEESt5tupleIJNSF_6TensorESK_SK_EERKSK_lbbbEUlllE0_EEPmJS9_EEE10hipError_tPvRmT3_T4_T5_T6_T7_T9_mT8_P12ihipStream_tbDpT10_ENKUlT_T0_E_clISt17integral_constantIbLb0EES19_IbLb1EEEEDaS15_S16_EUlS15_E_NS1_11comp_targetILNS1_3genE0ELNS1_11target_archE4294967295ELNS1_3gpuE0ELNS1_3repE0EEENS1_30default_config_static_selectorELNS0_4arch9wavefront6targetE1EEEvT1_, .Lfunc_end746-_ZN7rocprim17ROCPRIM_400000_NS6detail17trampoline_kernelINS0_14default_configENS1_25partition_config_selectorILNS1_17partition_subalgoE9EllbEEZZNS1_14partition_implILS5_9ELb0ES3_jPlS8_PNS0_10empty_typeENS0_5tupleIJS8_S9_EEENSB_IJS8_SA_EEENS0_18inequality_wrapperIZN2at6native12_GLOBAL__N_124unique_dim_cuda_templateIsEESt5tupleIJNSF_6TensorESK_SK_EERKSK_lbbbEUlllE0_EEPmJS9_EEE10hipError_tPvRmT3_T4_T5_T6_T7_T9_mT8_P12ihipStream_tbDpT10_ENKUlT_T0_E_clISt17integral_constantIbLb0EES19_IbLb1EEEEDaS15_S16_EUlS15_E_NS1_11comp_targetILNS1_3genE0ELNS1_11target_archE4294967295ELNS1_3gpuE0ELNS1_3repE0EEENS1_30default_config_static_selectorELNS0_4arch9wavefront6targetE1EEEvT1_
                                        ; -- End function
	.section	.AMDGPU.csdata,"",@progbits
; Kernel info:
; codeLenInByte = 0
; NumSgprs: 6
; NumVgprs: 0
; NumAgprs: 0
; TotalNumVgprs: 0
; ScratchSize: 0
; MemoryBound: 0
; FloatMode: 240
; IeeeMode: 1
; LDSByteSize: 0 bytes/workgroup (compile time only)
; SGPRBlocks: 0
; VGPRBlocks: 0
; NumSGPRsForWavesPerEU: 6
; NumVGPRsForWavesPerEU: 1
; AccumOffset: 4
; Occupancy: 8
; WaveLimiterHint : 0
; COMPUTE_PGM_RSRC2:SCRATCH_EN: 0
; COMPUTE_PGM_RSRC2:USER_SGPR: 2
; COMPUTE_PGM_RSRC2:TRAP_HANDLER: 0
; COMPUTE_PGM_RSRC2:TGID_X_EN: 1
; COMPUTE_PGM_RSRC2:TGID_Y_EN: 0
; COMPUTE_PGM_RSRC2:TGID_Z_EN: 0
; COMPUTE_PGM_RSRC2:TIDIG_COMP_CNT: 0
; COMPUTE_PGM_RSRC3_GFX90A:ACCUM_OFFSET: 0
; COMPUTE_PGM_RSRC3_GFX90A:TG_SPLIT: 0
	.section	.text._ZN7rocprim17ROCPRIM_400000_NS6detail17trampoline_kernelINS0_14default_configENS1_25partition_config_selectorILNS1_17partition_subalgoE9EllbEEZZNS1_14partition_implILS5_9ELb0ES3_jPlS8_PNS0_10empty_typeENS0_5tupleIJS8_S9_EEENSB_IJS8_SA_EEENS0_18inequality_wrapperIZN2at6native12_GLOBAL__N_124unique_dim_cuda_templateIsEESt5tupleIJNSF_6TensorESK_SK_EERKSK_lbbbEUlllE0_EEPmJS9_EEE10hipError_tPvRmT3_T4_T5_T6_T7_T9_mT8_P12ihipStream_tbDpT10_ENKUlT_T0_E_clISt17integral_constantIbLb0EES19_IbLb1EEEEDaS15_S16_EUlS15_E_NS1_11comp_targetILNS1_3genE5ELNS1_11target_archE942ELNS1_3gpuE9ELNS1_3repE0EEENS1_30default_config_static_selectorELNS0_4arch9wavefront6targetE1EEEvT1_,"axG",@progbits,_ZN7rocprim17ROCPRIM_400000_NS6detail17trampoline_kernelINS0_14default_configENS1_25partition_config_selectorILNS1_17partition_subalgoE9EllbEEZZNS1_14partition_implILS5_9ELb0ES3_jPlS8_PNS0_10empty_typeENS0_5tupleIJS8_S9_EEENSB_IJS8_SA_EEENS0_18inequality_wrapperIZN2at6native12_GLOBAL__N_124unique_dim_cuda_templateIsEESt5tupleIJNSF_6TensorESK_SK_EERKSK_lbbbEUlllE0_EEPmJS9_EEE10hipError_tPvRmT3_T4_T5_T6_T7_T9_mT8_P12ihipStream_tbDpT10_ENKUlT_T0_E_clISt17integral_constantIbLb0EES19_IbLb1EEEEDaS15_S16_EUlS15_E_NS1_11comp_targetILNS1_3genE5ELNS1_11target_archE942ELNS1_3gpuE9ELNS1_3repE0EEENS1_30default_config_static_selectorELNS0_4arch9wavefront6targetE1EEEvT1_,comdat
	.globl	_ZN7rocprim17ROCPRIM_400000_NS6detail17trampoline_kernelINS0_14default_configENS1_25partition_config_selectorILNS1_17partition_subalgoE9EllbEEZZNS1_14partition_implILS5_9ELb0ES3_jPlS8_PNS0_10empty_typeENS0_5tupleIJS8_S9_EEENSB_IJS8_SA_EEENS0_18inequality_wrapperIZN2at6native12_GLOBAL__N_124unique_dim_cuda_templateIsEESt5tupleIJNSF_6TensorESK_SK_EERKSK_lbbbEUlllE0_EEPmJS9_EEE10hipError_tPvRmT3_T4_T5_T6_T7_T9_mT8_P12ihipStream_tbDpT10_ENKUlT_T0_E_clISt17integral_constantIbLb0EES19_IbLb1EEEEDaS15_S16_EUlS15_E_NS1_11comp_targetILNS1_3genE5ELNS1_11target_archE942ELNS1_3gpuE9ELNS1_3repE0EEENS1_30default_config_static_selectorELNS0_4arch9wavefront6targetE1EEEvT1_ ; -- Begin function _ZN7rocprim17ROCPRIM_400000_NS6detail17trampoline_kernelINS0_14default_configENS1_25partition_config_selectorILNS1_17partition_subalgoE9EllbEEZZNS1_14partition_implILS5_9ELb0ES3_jPlS8_PNS0_10empty_typeENS0_5tupleIJS8_S9_EEENSB_IJS8_SA_EEENS0_18inequality_wrapperIZN2at6native12_GLOBAL__N_124unique_dim_cuda_templateIsEESt5tupleIJNSF_6TensorESK_SK_EERKSK_lbbbEUlllE0_EEPmJS9_EEE10hipError_tPvRmT3_T4_T5_T6_T7_T9_mT8_P12ihipStream_tbDpT10_ENKUlT_T0_E_clISt17integral_constantIbLb0EES19_IbLb1EEEEDaS15_S16_EUlS15_E_NS1_11comp_targetILNS1_3genE5ELNS1_11target_archE942ELNS1_3gpuE9ELNS1_3repE0EEENS1_30default_config_static_selectorELNS0_4arch9wavefront6targetE1EEEvT1_
	.p2align	8
	.type	_ZN7rocprim17ROCPRIM_400000_NS6detail17trampoline_kernelINS0_14default_configENS1_25partition_config_selectorILNS1_17partition_subalgoE9EllbEEZZNS1_14partition_implILS5_9ELb0ES3_jPlS8_PNS0_10empty_typeENS0_5tupleIJS8_S9_EEENSB_IJS8_SA_EEENS0_18inequality_wrapperIZN2at6native12_GLOBAL__N_124unique_dim_cuda_templateIsEESt5tupleIJNSF_6TensorESK_SK_EERKSK_lbbbEUlllE0_EEPmJS9_EEE10hipError_tPvRmT3_T4_T5_T6_T7_T9_mT8_P12ihipStream_tbDpT10_ENKUlT_T0_E_clISt17integral_constantIbLb0EES19_IbLb1EEEEDaS15_S16_EUlS15_E_NS1_11comp_targetILNS1_3genE5ELNS1_11target_archE942ELNS1_3gpuE9ELNS1_3repE0EEENS1_30default_config_static_selectorELNS0_4arch9wavefront6targetE1EEEvT1_,@function
_ZN7rocprim17ROCPRIM_400000_NS6detail17trampoline_kernelINS0_14default_configENS1_25partition_config_selectorILNS1_17partition_subalgoE9EllbEEZZNS1_14partition_implILS5_9ELb0ES3_jPlS8_PNS0_10empty_typeENS0_5tupleIJS8_S9_EEENSB_IJS8_SA_EEENS0_18inequality_wrapperIZN2at6native12_GLOBAL__N_124unique_dim_cuda_templateIsEESt5tupleIJNSF_6TensorESK_SK_EERKSK_lbbbEUlllE0_EEPmJS9_EEE10hipError_tPvRmT3_T4_T5_T6_T7_T9_mT8_P12ihipStream_tbDpT10_ENKUlT_T0_E_clISt17integral_constantIbLb0EES19_IbLb1EEEEDaS15_S16_EUlS15_E_NS1_11comp_targetILNS1_3genE5ELNS1_11target_archE942ELNS1_3gpuE9ELNS1_3repE0EEENS1_30default_config_static_selectorELNS0_4arch9wavefront6targetE1EEEvT1_: ; @_ZN7rocprim17ROCPRIM_400000_NS6detail17trampoline_kernelINS0_14default_configENS1_25partition_config_selectorILNS1_17partition_subalgoE9EllbEEZZNS1_14partition_implILS5_9ELb0ES3_jPlS8_PNS0_10empty_typeENS0_5tupleIJS8_S9_EEENSB_IJS8_SA_EEENS0_18inequality_wrapperIZN2at6native12_GLOBAL__N_124unique_dim_cuda_templateIsEESt5tupleIJNSF_6TensorESK_SK_EERKSK_lbbbEUlllE0_EEPmJS9_EEE10hipError_tPvRmT3_T4_T5_T6_T7_T9_mT8_P12ihipStream_tbDpT10_ENKUlT_T0_E_clISt17integral_constantIbLb0EES19_IbLb1EEEEDaS15_S16_EUlS15_E_NS1_11comp_targetILNS1_3genE5ELNS1_11target_archE942ELNS1_3gpuE9ELNS1_3repE0EEENS1_30default_config_static_selectorELNS0_4arch9wavefront6targetE1EEEvT1_
; %bb.0:
	s_load_dwordx4 s[4:7], s[0:1], 0x8
	s_load_dwordx2 s[10:11], s[0:1], 0x18
	s_load_dwordx8 s[20:27], s[0:1], 0x40
	s_load_dwordx4 s[36:39], s[0:1], 0x60
	v_cmp_ne_u32_e64 s[2:3], 0, v0
	v_cmp_eq_u32_e64 s[18:19], 0, v0
	s_and_saveexec_b64 s[8:9], s[18:19]
	s_cbranch_execz .LBB747_4
; %bb.1:
	s_mov_b64 s[14:15], exec
	v_mbcnt_lo_u32_b32 v1, s14, 0
	v_mbcnt_hi_u32_b32 v1, s15, v1
	v_cmp_eq_u32_e32 vcc, 0, v1
                                        ; implicit-def: $vgpr2
	s_and_saveexec_b64 s[12:13], vcc
	s_cbranch_execz .LBB747_3
; %bb.2:
	s_load_dwordx2 s[16:17], s[0:1], 0x78
	s_bcnt1_i32_b64 s14, s[14:15]
	v_mov_b32_e32 v2, 0
	v_mov_b32_e32 v3, s14
	s_waitcnt lgkmcnt(0)
	global_atomic_add v2, v2, v3, s[16:17] sc0
.LBB747_3:
	s_or_b64 exec, exec, s[12:13]
	s_waitcnt vmcnt(0)
	v_readfirstlane_b32 s12, v2
	v_mov_b32_e32 v2, 0
	s_nop 0
	v_add_u32_e32 v1, s12, v1
	ds_write_b32 v2, v1
.LBB747_4:
	s_or_b64 exec, exec, s[8:9]
	v_mov_b32_e32 v3, 0
	s_load_dwordx4 s[28:31], s[0:1], 0x28
	s_load_dword s8, s[0:1], 0x70
	s_waitcnt lgkmcnt(0)
	s_barrier
	ds_read_b32 v1, v3
	s_waitcnt lgkmcnt(0)
	s_barrier
	global_load_dwordx2 v[4:5], v3, s[22:23]
	s_lshl_b64 s[12:13], s[6:7], 3
	s_mul_i32 s14, s8, 0xe00
	s_add_u32 s16, s4, s12
	s_addc_u32 s17, s5, s13
	s_add_i32 s4, s14, s6
	s_sub_i32 s54, s24, s4
	s_add_i32 s15, s8, -1
	s_addk_i32 s54, 0xe00
	s_add_u32 s4, s6, s14
	v_readfirstlane_b32 s33, v1
	s_addc_u32 s5, s7, 0
	v_mov_b32_e32 v6, s24
	v_mov_b32_e32 v7, s25
	s_cmp_eq_u32 s33, s15
	s_mov_b32 s9, 0
	s_mul_i32 s8, s33, 0xe00
	v_cmp_ge_u64_e32 vcc, s[4:5], v[6:7]
	s_cselect_b64 s[24:25], -1, 0
	s_lshl_b64 s[14:15], s[8:9], 3
	s_and_b64 s[8:9], vcc, s[24:25]
	s_xor_b64 s[34:35], s[8:9], -1
	s_add_u32 s4, s16, s14
	s_mov_b64 s[0:1], -1
	s_addc_u32 s5, s17, s15
	s_and_b64 vcc, exec, s[34:35]
	s_waitcnt vmcnt(0)
	v_readfirstlane_b32 s22, v4
	v_readfirstlane_b32 s23, v5
	s_cbranch_vccz .LBB747_6
; %bb.5:
	v_lshlrev_b32_e32 v2, 3, v0
	v_lshl_add_u64 v[4:5], s[4:5], 0, v[2:3]
	v_add_co_u32_e32 v8, vcc, 0x1000, v4
	global_load_dwordx2 v[6:7], v2, s[4:5]
	s_nop 0
	v_addc_co_u32_e32 v9, vcc, 0, v5, vcc
	v_add_co_u32_e32 v10, vcc, 0x2000, v4
	s_mov_b64 s[0:1], 0
	s_nop 0
	v_addc_co_u32_e32 v11, vcc, 0, v5, vcc
	v_add_co_u32_e32 v12, vcc, 0x3000, v4
	s_nop 1
	v_addc_co_u32_e32 v13, vcc, 0, v5, vcc
	v_add_co_u32_e32 v14, vcc, 0x4000, v4
	s_nop 1
	v_addc_co_u32_e32 v15, vcc, 0, v5, vcc
	global_load_dwordx2 v[16:17], v[8:9], off
	global_load_dwordx2 v[18:19], v[10:11], off
	global_load_dwordx2 v[20:21], v[12:13], off
	global_load_dwordx2 v[22:23], v[14:15], off
	v_add_co_u32_e32 v8, vcc, 0x5000, v4
	s_nop 1
	v_addc_co_u32_e32 v9, vcc, 0, v5, vcc
	v_add_co_u32_e32 v4, vcc, 0x6000, v4
	global_load_dwordx2 v[8:9], v[8:9], off
	s_nop 0
	v_addc_co_u32_e32 v5, vcc, 0, v5, vcc
	global_load_dwordx2 v[4:5], v[4:5], off
	s_waitcnt vmcnt(5)
	ds_write2st64_b64 v2, v[6:7], v[16:17] offset1:8
	s_waitcnt vmcnt(3)
	ds_write2st64_b64 v2, v[18:19], v[20:21] offset0:16 offset1:24
	s_waitcnt vmcnt(1)
	ds_write2st64_b64 v2, v[22:23], v[8:9] offset0:32 offset1:40
	s_waitcnt vmcnt(0)
	ds_write_b64 v2, v[4:5] offset:24576
	s_waitcnt lgkmcnt(0)
	s_barrier
.LBB747_6:
	s_andn2_b64 vcc, exec, s[0:1]
	v_cmp_gt_u32_e64 s[0:1], s54, v0
	s_cbranch_vccnz .LBB747_22
; %bb.7:
                                        ; implicit-def: $vgpr2_vgpr3_vgpr4_vgpr5_vgpr6_vgpr7_vgpr8_vgpr9_vgpr10_vgpr11_vgpr12_vgpr13_vgpr14_vgpr15_vgpr16_vgpr17
	s_and_saveexec_b64 s[16:17], s[0:1]
	s_cbranch_execz .LBB747_9
; %bb.8:
	v_lshlrev_b32_e32 v1, 3, v0
	global_load_dwordx2 v[2:3], v1, s[4:5]
.LBB747_9:
	s_or_b64 exec, exec, s[16:17]
	v_or_b32_e32 v1, 0x200, v0
	v_cmp_gt_u32_e32 vcc, s54, v1
	s_and_saveexec_b64 s[0:1], vcc
	s_cbranch_execz .LBB747_11
; %bb.10:
	v_lshlrev_b32_e32 v1, 3, v1
	global_load_dwordx2 v[4:5], v1, s[4:5]
.LBB747_11:
	s_or_b64 exec, exec, s[0:1]
	v_or_b32_e32 v1, 0x400, v0
	v_cmp_gt_u32_e32 vcc, s54, v1
	s_and_saveexec_b64 s[0:1], vcc
	;; [unrolled: 9-line block ×6, first 2 shown]
	s_cbranch_execz .LBB747_21
; %bb.20:
	v_lshlrev_b32_e32 v1, 3, v1
	global_load_dwordx2 v[14:15], v1, s[4:5]
.LBB747_21:
	s_or_b64 exec, exec, s[0:1]
	v_lshlrev_b32_e32 v1, 3, v0
	s_waitcnt vmcnt(0)
	ds_write2st64_b64 v1, v[2:3], v[4:5] offset1:8
	ds_write2st64_b64 v1, v[6:7], v[8:9] offset0:16 offset1:24
	ds_write2st64_b64 v1, v[10:11], v[12:13] offset0:32 offset1:40
	ds_write_b64 v1, v[14:15] offset:24576
	s_waitcnt lgkmcnt(0)
	s_barrier
.LBB747_22:
	v_mul_u32_u24_e32 v1, 7, v0
	v_lshlrev_b32_e32 v46, 3, v1
	ds_read2_b64 v[22:25], v46 offset1:1
	ds_read2_b64 v[18:21], v46 offset0:2 offset1:3
	ds_read2_b64 v[14:17], v46 offset0:4 offset1:5
	ds_read_b64 v[28:29], v46 offset:48
	s_add_u32 s0, s10, s12
	s_addc_u32 s1, s11, s13
	s_add_u32 s0, s0, s14
	s_addc_u32 s1, s1, s15
	s_mov_b64 s[10:11], -1
	s_and_b64 vcc, exec, s[34:35]
	s_waitcnt lgkmcnt(0)
	s_barrier
	s_cbranch_vccz .LBB747_24
; %bb.23:
	v_lshlrev_b32_e32 v2, 3, v0
	v_mov_b32_e32 v3, 0
	v_lshl_add_u64 v[4:5], s[0:1], 0, v[2:3]
	v_add_co_u32_e32 v8, vcc, 0x1000, v4
	global_load_dwordx2 v[6:7], v2, s[0:1]
	s_nop 0
	v_addc_co_u32_e32 v9, vcc, 0, v5, vcc
	v_add_co_u32_e32 v10, vcc, 0x2000, v4
	s_mov_b64 s[10:11], 0
	s_nop 0
	v_addc_co_u32_e32 v11, vcc, 0, v5, vcc
	v_add_co_u32_e32 v12, vcc, 0x3000, v4
	s_nop 1
	v_addc_co_u32_e32 v13, vcc, 0, v5, vcc
	v_add_co_u32_e32 v26, vcc, 0x4000, v4
	s_nop 1
	v_addc_co_u32_e32 v27, vcc, 0, v5, vcc
	global_load_dwordx2 v[30:31], v[8:9], off
	global_load_dwordx2 v[32:33], v[10:11], off
	;; [unrolled: 1-line block ×4, first 2 shown]
	v_add_co_u32_e32 v8, vcc, 0x5000, v4
	s_nop 1
	v_addc_co_u32_e32 v9, vcc, 0, v5, vcc
	v_add_co_u32_e32 v4, vcc, 0x6000, v4
	global_load_dwordx2 v[8:9], v[8:9], off
	s_nop 0
	v_addc_co_u32_e32 v5, vcc, 0, v5, vcc
	global_load_dwordx2 v[4:5], v[4:5], off
	s_waitcnt vmcnt(5)
	ds_write2st64_b64 v2, v[6:7], v[30:31] offset1:8
	s_waitcnt vmcnt(3)
	ds_write2st64_b64 v2, v[32:33], v[34:35] offset0:16 offset1:24
	s_waitcnt vmcnt(1)
	ds_write2st64_b64 v2, v[36:37], v[8:9] offset0:32 offset1:40
	s_waitcnt vmcnt(0)
	ds_write_b64 v2, v[4:5] offset:24576
	s_waitcnt lgkmcnt(0)
	s_barrier
.LBB747_24:
	s_andn2_b64 vcc, exec, s[10:11]
	s_cbranch_vccnz .LBB747_40
; %bb.25:
	v_cmp_gt_u32_e32 vcc, s54, v0
                                        ; implicit-def: $vgpr2_vgpr3
	s_and_saveexec_b64 s[10:11], vcc
	s_cbranch_execz .LBB747_27
; %bb.26:
	v_lshlrev_b32_e32 v2, 3, v0
	global_load_dwordx2 v[2:3], v2, s[0:1]
.LBB747_27:
	s_or_b64 exec, exec, s[10:11]
	v_or_b32_e32 v6, 0x200, v0
	v_cmp_gt_u32_e32 vcc, s54, v6
                                        ; implicit-def: $vgpr4_vgpr5
	s_and_saveexec_b64 s[10:11], vcc
	s_cbranch_execz .LBB747_29
; %bb.28:
	v_lshlrev_b32_e32 v4, 3, v6
	global_load_dwordx2 v[4:5], v4, s[0:1]
.LBB747_29:
	s_or_b64 exec, exec, s[10:11]
	v_or_b32_e32 v8, 0x400, v0
	v_cmp_gt_u32_e32 vcc, s54, v8
                                        ; implicit-def: $vgpr6_vgpr7
	s_and_saveexec_b64 s[10:11], vcc
	s_cbranch_execz .LBB747_31
; %bb.30:
	v_lshlrev_b32_e32 v6, 3, v8
	global_load_dwordx2 v[6:7], v6, s[0:1]
.LBB747_31:
	s_or_b64 exec, exec, s[10:11]
	v_or_b32_e32 v10, 0x600, v0
	v_cmp_gt_u32_e32 vcc, s54, v10
                                        ; implicit-def: $vgpr8_vgpr9
	s_and_saveexec_b64 s[10:11], vcc
	s_cbranch_execz .LBB747_33
; %bb.32:
	v_lshlrev_b32_e32 v8, 3, v10
	global_load_dwordx2 v[8:9], v8, s[0:1]
.LBB747_33:
	s_or_b64 exec, exec, s[10:11]
	v_or_b32_e32 v12, 0x800, v0
	v_cmp_gt_u32_e32 vcc, s54, v12
                                        ; implicit-def: $vgpr10_vgpr11
	s_and_saveexec_b64 s[10:11], vcc
	s_cbranch_execz .LBB747_35
; %bb.34:
	v_lshlrev_b32_e32 v10, 3, v12
	global_load_dwordx2 v[10:11], v10, s[0:1]
.LBB747_35:
	s_or_b64 exec, exec, s[10:11]
	v_or_b32_e32 v26, 0xa00, v0
	v_cmp_gt_u32_e32 vcc, s54, v26
                                        ; implicit-def: $vgpr12_vgpr13
	s_and_saveexec_b64 s[10:11], vcc
	s_cbranch_execz .LBB747_37
; %bb.36:
	v_lshlrev_b32_e32 v12, 3, v26
	global_load_dwordx2 v[12:13], v12, s[0:1]
.LBB747_37:
	s_or_b64 exec, exec, s[10:11]
	v_or_b32_e32 v30, 0xc00, v0
	v_cmp_gt_u32_e32 vcc, s54, v30
                                        ; implicit-def: $vgpr26_vgpr27
	s_and_saveexec_b64 s[10:11], vcc
	s_cbranch_execz .LBB747_39
; %bb.38:
	v_lshlrev_b32_e32 v26, 3, v30
	global_load_dwordx2 v[26:27], v26, s[0:1]
.LBB747_39:
	s_or_b64 exec, exec, s[10:11]
	s_movk_i32 s0, 0xffd0
	v_mad_i32_i24 v30, v0, s0, v46
	s_waitcnt vmcnt(0)
	ds_write2st64_b64 v30, v[2:3], v[4:5] offset1:8
	ds_write2st64_b64 v30, v[6:7], v[8:9] offset0:16 offset1:24
	ds_write2st64_b64 v30, v[10:11], v[12:13] offset0:32 offset1:40
	ds_write_b64 v30, v[26:27] offset:24576
	s_waitcnt lgkmcnt(0)
	s_barrier
.LBB747_40:
	ds_read2_b64 v[10:13], v46 offset1:1
	ds_read2_b64 v[6:9], v46 offset0:2 offset1:3
	ds_read2_b64 v[2:5], v46 offset0:4 offset1:5
	ds_read_b64 v[26:27], v46 offset:48
	s_cmp_lg_u32 s33, 0
	s_cselect_b64 s[0:1], -1, 0
	s_cmp_lg_u64 s[6:7], 0
	s_cselect_b64 s[6:7], -1, 0
	s_or_b64 s[6:7], s[6:7], s[0:1]
	v_add_u32_e32 v43, 1, v1
	v_add_u32_e32 v40, 2, v1
	;; [unrolled: 1-line block ×6, first 2 shown]
	s_mov_b64 s[10:11], 0
	s_and_b64 vcc, exec, s[6:7]
	v_cmp_gt_i64_e64 s[12:13], s[26:27], 0
	s_waitcnt lgkmcnt(0)
	s_barrier
	s_cbranch_vccz .LBB747_49
; %bb.41:
	v_mov_b32_e32 v30, 0
	global_load_dwordx2 v[30:31], v30, s[4:5] offset:-8
	v_cndmask_b32_e64 v32, 0, 1, s[12:13]
	v_lshlrev_b32_e32 v47, 3, v0
	s_mov_b64 s[6:7], 0
	s_and_b64 vcc, exec, s[34:35]
	v_cmp_ne_u32_e64 s[4:5], 1, v32
	ds_write_b64 v47, v[28:29]
	s_cbranch_vccz .LBB747_51
; %bb.42:
	v_mul_lo_u32 v34, v17, s26
	v_mul_lo_u32 v35, v16, s27
	v_mad_u64_u32 v[32:33], s[10:11], v16, s26, 0
	v_add3_u32 v33, v33, v35, v34
	s_and_b64 vcc, exec, s[4:5]
	v_lshl_add_u64 v[32:33], v[32:33], 1, s[36:37]
	s_cbranch_vccnz .LBB747_54
; %bb.43:
	v_mul_lo_u32 v36, v29, s26
	v_mul_lo_u32 v37, v28, s27
	v_mad_u64_u32 v[34:35], s[6:7], v28, s26, 0
	v_add3_u32 v35, v35, v37, v36
	v_lshl_add_u64 v[34:35], v[34:35], 1, s[36:37]
	global_load_ushort v36, v[32:33], off
	global_load_ushort v37, v[34:35], off
	s_mov_b64 s[6:7], -1
	s_waitcnt vmcnt(0)
	v_cmp_eq_u16_e32 vcc, v36, v37
	s_and_saveexec_b64 s[10:11], vcc
	s_cbranch_execz .LBB747_53
; %bb.44:
	s_add_u32 s6, s26, -1
	v_lshl_add_u64 v[34:35], v[34:35], 0, 2
	v_lshl_add_u64 v[36:37], v[32:33], 0, 2
	s_addc_u32 s7, s27, -1
	s_mov_b64 s[12:13], 0
	s_mov_b64 s[16:17], 0
                                        ; implicit-def: $sgpr14_sgpr15
	s_branch .LBB747_47
.LBB747_45:                             ;   in Loop: Header=BB747_47 Depth=1
	global_load_ushort v38, v[36:37], off
	global_load_ushort v39, v[34:35], off
	s_add_u32 s16, s16, 1
	s_addc_u32 s17, s17, 0
	s_andn2_b64 s[14:15], s[14:15], exec
	v_lshl_add_u64 v[34:35], v[34:35], 0, 2
	v_lshl_add_u64 v[36:37], v[36:37], 0, 2
	s_waitcnt vmcnt(0)
	v_cmp_ne_u16_e32 vcc, v38, v39
	s_and_b64 s[40:41], vcc, exec
	s_or_b64 s[14:15], s[14:15], s[40:41]
.LBB747_46:                             ;   in Loop: Header=BB747_47 Depth=1
	s_and_b64 s[40:41], exec, s[14:15]
	s_or_b64 s[12:13], s[40:41], s[12:13]
	v_mov_b64_e32 v[38:39], s[16:17]
	s_andn2_b64 exec, exec, s[12:13]
	s_cbranch_execz .LBB747_52
.LBB747_47:                             ; =>This Inner Loop Header: Depth=1
	s_or_b64 s[14:15], s[14:15], exec
	s_cmp_eq_u64 s[6:7], s[16:17]
	s_cbranch_scc0 .LBB747_45
; %bb.48:                               ;   in Loop: Header=BB747_47 Depth=1
                                        ; implicit-def: $vgpr34_vgpr35
                                        ; implicit-def: $vgpr36_vgpr37
	s_mov_b64 s[16:17], s[26:27]
	s_branch .LBB747_46
.LBB747_49:
                                        ; implicit-def: $sgpr14_sgpr15
                                        ; implicit-def: $vgpr49
                                        ; implicit-def: $vgpr48
                                        ; implicit-def: $vgpr39
                                        ; implicit-def: $vgpr34
	s_branch .LBB747_192
.LBB747_50:
                                        ; implicit-def: $vgpr30_vgpr31
	s_branch .LBB747_340
.LBB747_51:
                                        ; implicit-def: $sgpr14_sgpr15
                                        ; implicit-def: $vgpr49
                                        ; implicit-def: $vgpr48
                                        ; implicit-def: $vgpr39
                                        ; implicit-def: $vgpr34
	s_cbranch_execnz .LBB747_111
	s_branch .LBB747_191
.LBB747_52:
	s_or_b64 exec, exec, s[12:13]
	v_cmp_gt_i64_e32 vcc, s[26:27], v[38:39]
	s_orn2_b64 s[6:7], vcc, exec
.LBB747_53:
	s_or_b64 exec, exec, s[10:11]
.LBB747_54:
	v_mul_lo_u32 v36, v15, s26
	v_mul_lo_u32 v37, v14, s27
	v_mad_u64_u32 v[34:35], s[10:11], v14, s26, 0
	v_add3_u32 v35, v35, v37, v36
	s_mov_b64 s[10:11], 0
	s_and_b64 vcc, exec, s[4:5]
	v_lshl_add_u64 v[34:35], v[34:35], 1, s[36:37]
	s_mov_b64 s[12:13], 0
	s_cbranch_vccnz .LBB747_63
; %bb.55:
	global_load_ushort v36, v[34:35], off
	global_load_ushort v37, v[32:33], off
	s_mov_b64 s[12:13], -1
	s_waitcnt vmcnt(0)
	v_cmp_eq_u16_e32 vcc, v36, v37
	s_and_saveexec_b64 s[14:15], vcc
	s_cbranch_execz .LBB747_62
; %bb.56:
	s_add_u32 s12, s26, -1
	v_lshl_add_u64 v[32:33], v[32:33], 0, 2
	v_lshl_add_u64 v[36:37], v[34:35], 0, 2
	s_addc_u32 s13, s27, -1
	s_mov_b64 s[16:17], 0
	s_mov_b64 s[42:43], 0
                                        ; implicit-def: $sgpr40_sgpr41
	s_branch .LBB747_59
.LBB747_57:                             ;   in Loop: Header=BB747_59 Depth=1
	global_load_ushort v38, v[36:37], off
	global_load_ushort v39, v[32:33], off
	s_add_u32 s42, s42, 1
	s_addc_u32 s43, s43, 0
	s_andn2_b64 s[40:41], s[40:41], exec
	v_lshl_add_u64 v[32:33], v[32:33], 0, 2
	v_lshl_add_u64 v[36:37], v[36:37], 0, 2
	s_waitcnt vmcnt(0)
	v_cmp_ne_u16_e32 vcc, v38, v39
	s_and_b64 s[44:45], vcc, exec
	s_or_b64 s[40:41], s[40:41], s[44:45]
.LBB747_58:                             ;   in Loop: Header=BB747_59 Depth=1
	s_and_b64 s[44:45], exec, s[40:41]
	s_or_b64 s[16:17], s[44:45], s[16:17]
	v_mov_b64_e32 v[38:39], s[42:43]
	s_andn2_b64 exec, exec, s[16:17]
	s_cbranch_execz .LBB747_61
.LBB747_59:                             ; =>This Inner Loop Header: Depth=1
	s_or_b64 s[40:41], s[40:41], exec
	s_cmp_eq_u64 s[12:13], s[42:43]
	s_cbranch_scc0 .LBB747_57
; %bb.60:                               ;   in Loop: Header=BB747_59 Depth=1
                                        ; implicit-def: $vgpr32_vgpr33
                                        ; implicit-def: $vgpr36_vgpr37
	s_mov_b64 s[42:43], s[26:27]
	s_branch .LBB747_58
.LBB747_61:
	s_or_b64 exec, exec, s[16:17]
	v_cmp_gt_i64_e32 vcc, s[26:27], v[38:39]
	s_orn2_b64 s[12:13], vcc, exec
.LBB747_62:
	s_or_b64 exec, exec, s[14:15]
.LBB747_63:
	v_mul_lo_u32 v36, v21, s26
	v_mul_lo_u32 v37, v20, s27
	v_mad_u64_u32 v[32:33], s[14:15], v20, s26, 0
	v_add3_u32 v33, v33, v37, v36
	s_and_b64 vcc, exec, s[4:5]
	v_lshl_add_u64 v[32:33], v[32:33], 1, s[36:37]
	s_cbranch_vccnz .LBB747_72
; %bb.64:
	global_load_ushort v36, v[32:33], off
	global_load_ushort v37, v[34:35], off
	s_mov_b64 s[10:11], -1
	s_waitcnt vmcnt(0)
	v_cmp_eq_u16_e32 vcc, v36, v37
	s_and_saveexec_b64 s[14:15], vcc
	s_cbranch_execz .LBB747_71
; %bb.65:
	s_add_u32 s10, s26, -1
	v_lshl_add_u64 v[34:35], v[34:35], 0, 2
	v_lshl_add_u64 v[36:37], v[32:33], 0, 2
	s_addc_u32 s11, s27, -1
	s_mov_b64 s[16:17], 0
	s_mov_b64 s[42:43], 0
                                        ; implicit-def: $sgpr40_sgpr41
	s_branch .LBB747_68
.LBB747_66:                             ;   in Loop: Header=BB747_68 Depth=1
	global_load_ushort v38, v[36:37], off
	global_load_ushort v39, v[34:35], off
	s_add_u32 s42, s42, 1
	s_addc_u32 s43, s43, 0
	s_andn2_b64 s[40:41], s[40:41], exec
	v_lshl_add_u64 v[34:35], v[34:35], 0, 2
	v_lshl_add_u64 v[36:37], v[36:37], 0, 2
	s_waitcnt vmcnt(0)
	v_cmp_ne_u16_e32 vcc, v38, v39
	s_and_b64 s[44:45], vcc, exec
	s_or_b64 s[40:41], s[40:41], s[44:45]
.LBB747_67:                             ;   in Loop: Header=BB747_68 Depth=1
	s_and_b64 s[44:45], exec, s[40:41]
	s_or_b64 s[16:17], s[44:45], s[16:17]
	v_mov_b64_e32 v[38:39], s[42:43]
	s_andn2_b64 exec, exec, s[16:17]
	s_cbranch_execz .LBB747_70
.LBB747_68:                             ; =>This Inner Loop Header: Depth=1
	s_or_b64 s[40:41], s[40:41], exec
	s_cmp_eq_u64 s[10:11], s[42:43]
	s_cbranch_scc0 .LBB747_66
; %bb.69:                               ;   in Loop: Header=BB747_68 Depth=1
                                        ; implicit-def: $vgpr34_vgpr35
                                        ; implicit-def: $vgpr36_vgpr37
	s_mov_b64 s[42:43], s[26:27]
	s_branch .LBB747_67
.LBB747_70:
	s_or_b64 exec, exec, s[16:17]
	v_cmp_gt_i64_e32 vcc, s[26:27], v[38:39]
	s_orn2_b64 s[10:11], vcc, exec
.LBB747_71:
	s_or_b64 exec, exec, s[14:15]
.LBB747_72:
	v_mul_lo_u32 v36, v19, s26
	v_mul_lo_u32 v37, v18, s27
	v_mad_u64_u32 v[34:35], s[14:15], v18, s26, 0
	v_add3_u32 v35, v35, v37, v36
	s_mov_b64 s[14:15], 0
	s_and_b64 vcc, exec, s[4:5]
	v_lshl_add_u64 v[36:37], v[34:35], 1, s[36:37]
	s_mov_b64 s[16:17], 0
	s_cbranch_vccnz .LBB747_81
; %bb.73:
	global_load_ushort v34, v[36:37], off
	global_load_ushort v35, v[32:33], off
	s_mov_b64 s[16:17], -1
	s_waitcnt vmcnt(0)
	v_cmp_eq_u16_e32 vcc, v34, v35
	s_and_saveexec_b64 s[40:41], vcc
	s_cbranch_execz .LBB747_80
; %bb.74:
	s_add_u32 s16, s26, -1
	v_lshl_add_u64 v[32:33], v[32:33], 0, 2
	v_lshl_add_u64 v[34:35], v[36:37], 0, 2
	s_addc_u32 s17, s27, -1
	s_mov_b64 s[42:43], 0
	s_mov_b64 s[46:47], 0
                                        ; implicit-def: $sgpr44_sgpr45
	s_branch .LBB747_77
.LBB747_75:                             ;   in Loop: Header=BB747_77 Depth=1
	global_load_ushort v38, v[34:35], off
	global_load_ushort v39, v[32:33], off
	s_add_u32 s46, s46, 1
	s_addc_u32 s47, s47, 0
	s_andn2_b64 s[44:45], s[44:45], exec
	v_lshl_add_u64 v[32:33], v[32:33], 0, 2
	v_lshl_add_u64 v[34:35], v[34:35], 0, 2
	s_waitcnt vmcnt(0)
	v_cmp_ne_u16_e32 vcc, v38, v39
	s_and_b64 s[48:49], vcc, exec
	s_or_b64 s[44:45], s[44:45], s[48:49]
.LBB747_76:                             ;   in Loop: Header=BB747_77 Depth=1
	s_and_b64 s[48:49], exec, s[44:45]
	s_or_b64 s[42:43], s[48:49], s[42:43]
	v_mov_b64_e32 v[38:39], s[46:47]
	s_andn2_b64 exec, exec, s[42:43]
	s_cbranch_execz .LBB747_79
.LBB747_77:                             ; =>This Inner Loop Header: Depth=1
	s_or_b64 s[44:45], s[44:45], exec
	s_cmp_eq_u64 s[16:17], s[46:47]
	s_cbranch_scc0 .LBB747_75
; %bb.78:                               ;   in Loop: Header=BB747_77 Depth=1
                                        ; implicit-def: $vgpr32_vgpr33
                                        ; implicit-def: $vgpr34_vgpr35
	s_mov_b64 s[46:47], s[26:27]
	s_branch .LBB747_76
.LBB747_79:
	s_or_b64 exec, exec, s[42:43]
	v_cmp_gt_i64_e32 vcc, s[26:27], v[38:39]
	s_orn2_b64 s[16:17], vcc, exec
.LBB747_80:
	s_or_b64 exec, exec, s[40:41]
.LBB747_81:
	v_mul_lo_u32 v34, v25, s26
	v_mul_lo_u32 v35, v24, s27
	v_mad_u64_u32 v[32:33], s[40:41], v24, s26, 0
	v_add3_u32 v33, v33, v35, v34
	s_and_b64 vcc, exec, s[4:5]
	v_lshl_add_u64 v[34:35], v[32:33], 1, s[36:37]
	s_cbranch_vccnz .LBB747_90
; %bb.82:
	global_load_ushort v32, v[34:35], off
	global_load_ushort v33, v[36:37], off
	s_mov_b64 s[14:15], -1
	s_waitcnt vmcnt(0)
	v_cmp_eq_u16_e32 vcc, v32, v33
	s_and_saveexec_b64 s[40:41], vcc
	s_cbranch_execz .LBB747_89
; %bb.83:
	s_add_u32 s14, s26, -1
	v_lshl_add_u64 v[32:33], v[36:37], 0, 2
	v_lshl_add_u64 v[36:37], v[34:35], 0, 2
	s_addc_u32 s15, s27, -1
	s_mov_b64 s[42:43], 0
	s_mov_b64 s[46:47], 0
                                        ; implicit-def: $sgpr44_sgpr45
	s_branch .LBB747_86
.LBB747_84:                             ;   in Loop: Header=BB747_86 Depth=1
	global_load_ushort v38, v[36:37], off
	global_load_ushort v39, v[32:33], off
	s_add_u32 s46, s46, 1
	s_addc_u32 s47, s47, 0
	s_andn2_b64 s[44:45], s[44:45], exec
	v_lshl_add_u64 v[32:33], v[32:33], 0, 2
	v_lshl_add_u64 v[36:37], v[36:37], 0, 2
	s_waitcnt vmcnt(0)
	v_cmp_ne_u16_e32 vcc, v38, v39
	s_and_b64 s[48:49], vcc, exec
	s_or_b64 s[44:45], s[44:45], s[48:49]
.LBB747_85:                             ;   in Loop: Header=BB747_86 Depth=1
	s_and_b64 s[48:49], exec, s[44:45]
	s_or_b64 s[42:43], s[48:49], s[42:43]
	v_mov_b64_e32 v[38:39], s[46:47]
	s_andn2_b64 exec, exec, s[42:43]
	s_cbranch_execz .LBB747_88
.LBB747_86:                             ; =>This Inner Loop Header: Depth=1
	s_or_b64 s[44:45], s[44:45], exec
	s_cmp_eq_u64 s[14:15], s[46:47]
	s_cbranch_scc0 .LBB747_84
; %bb.87:                               ;   in Loop: Header=BB747_86 Depth=1
                                        ; implicit-def: $vgpr32_vgpr33
                                        ; implicit-def: $vgpr36_vgpr37
	s_mov_b64 s[46:47], s[26:27]
	s_branch .LBB747_85
.LBB747_88:
	s_or_b64 exec, exec, s[42:43]
	v_cmp_gt_i64_e32 vcc, s[26:27], v[38:39]
	s_orn2_b64 s[14:15], vcc, exec
.LBB747_89:
	s_or_b64 exec, exec, s[40:41]
.LBB747_90:
	v_mul_lo_u32 v36, v23, s26
	v_mul_lo_u32 v37, v22, s27
	v_mad_u64_u32 v[32:33], s[40:41], v22, s26, 0
	v_add3_u32 v33, v33, v37, v36
	s_mov_b64 s[42:43], 0
	s_and_b64 vcc, exec, s[4:5]
	v_lshl_add_u64 v[32:33], v[32:33], 1, s[36:37]
	s_cbranch_vccnz .LBB747_99
; %bb.91:
	global_load_ushort v36, v[32:33], off
	global_load_ushort v37, v[34:35], off
	s_mov_b64 s[42:43], -1
	s_waitcnt vmcnt(0)
	v_cmp_eq_u16_e32 vcc, v36, v37
	s_and_saveexec_b64 s[40:41], vcc
	s_cbranch_execz .LBB747_98
; %bb.92:
	s_add_u32 s42, s26, -1
	v_lshl_add_u64 v[34:35], v[34:35], 0, 2
	v_lshl_add_u64 v[36:37], v[32:33], 0, 2
	s_addc_u32 s43, s27, -1
	s_mov_b64 s[44:45], 0
	s_mov_b64 s[48:49], 0
                                        ; implicit-def: $sgpr46_sgpr47
	s_branch .LBB747_95
.LBB747_93:                             ;   in Loop: Header=BB747_95 Depth=1
	global_load_ushort v38, v[36:37], off
	global_load_ushort v39, v[34:35], off
	s_add_u32 s48, s48, 1
	s_addc_u32 s49, s49, 0
	s_andn2_b64 s[46:47], s[46:47], exec
	v_lshl_add_u64 v[34:35], v[34:35], 0, 2
	v_lshl_add_u64 v[36:37], v[36:37], 0, 2
	s_waitcnt vmcnt(0)
	v_cmp_ne_u16_e32 vcc, v38, v39
	s_and_b64 s[50:51], vcc, exec
	s_or_b64 s[46:47], s[46:47], s[50:51]
.LBB747_94:                             ;   in Loop: Header=BB747_95 Depth=1
	s_and_b64 s[50:51], exec, s[46:47]
	s_or_b64 s[44:45], s[50:51], s[44:45]
	v_mov_b64_e32 v[38:39], s[48:49]
	s_andn2_b64 exec, exec, s[44:45]
	s_cbranch_execz .LBB747_97
.LBB747_95:                             ; =>This Inner Loop Header: Depth=1
	s_or_b64 s[46:47], s[46:47], exec
	s_cmp_eq_u64 s[42:43], s[48:49]
	s_cbranch_scc0 .LBB747_93
; %bb.96:                               ;   in Loop: Header=BB747_95 Depth=1
                                        ; implicit-def: $vgpr34_vgpr35
                                        ; implicit-def: $vgpr36_vgpr37
	s_mov_b64 s[48:49], s[26:27]
	s_branch .LBB747_94
.LBB747_97:
	s_or_b64 exec, exec, s[44:45]
	v_cmp_gt_i64_e32 vcc, s[26:27], v[38:39]
	s_orn2_b64 s[42:43], vcc, exec
.LBB747_98:
	s_or_b64 exec, exec, s[40:41]
.LBB747_99:
	s_waitcnt vmcnt(0)
	v_mov_b64_e32 v[34:35], v[30:31]
	s_waitcnt lgkmcnt(0)
	s_barrier
	s_and_saveexec_b64 s[40:41], s[2:3]
	s_cbranch_execz .LBB747_101
; %bb.100:
	v_add_u32_e32 v34, -8, v47
	ds_read_b64 v[34:35], v34
.LBB747_101:
	s_or_b64 exec, exec, s[40:41]
	v_cndmask_b32_e64 v37, 0, 1, s[16:17]
	v_cndmask_b32_e64 v36, 0, 1, s[14:15]
	;; [unrolled: 1-line block ×3, first 2 shown]
	v_lshlrev_b16_e32 v37, 8, v37
	v_lshlrev_b16_e32 v38, 8, v38
	v_or_b32_sdwa v50, v36, v37 dst_sel:WORD_1 dst_unused:UNUSED_PAD src0_sel:DWORD src1_sel:DWORD
	s_mov_b64 s[16:17], 0
	s_and_b64 vcc, exec, s[4:5]
	s_mov_b64 s[14:15], 0
	s_cbranch_vccnz .LBB747_110
; %bb.102:
	s_waitcnt lgkmcnt(0)
	v_mul_lo_u32 v36, v35, s26
	v_mul_lo_u32 v37, v34, s27
	v_mad_u64_u32 v[34:35], s[14:15], v34, s26, 0
	v_add3_u32 v35, v35, v37, v36
	v_lshl_add_u64 v[34:35], v[34:35], 1, s[36:37]
	global_load_ushort v36, v[34:35], off
	global_load_ushort v37, v[32:33], off
	s_mov_b64 s[14:15], -1
	s_waitcnt vmcnt(0)
	v_cmp_eq_u16_e32 vcc, v36, v37
	s_and_saveexec_b64 s[40:41], vcc
	s_cbranch_execz .LBB747_109
; %bb.103:
	s_add_u32 s14, s26, -1
	v_lshl_add_u64 v[32:33], v[32:33], 0, 2
	v_lshl_add_u64 v[34:35], v[34:35], 0, 2
	s_addc_u32 s15, s27, -1
	s_mov_b64 s[42:43], 0
	s_mov_b64 s[46:47], 0
                                        ; implicit-def: $sgpr44_sgpr45
	s_branch .LBB747_106
.LBB747_104:                            ;   in Loop: Header=BB747_106 Depth=1
	global_load_ushort v36, v[34:35], off
	global_load_ushort v37, v[32:33], off
	s_add_u32 s46, s46, 1
	s_addc_u32 s47, s47, 0
	s_andn2_b64 s[44:45], s[44:45], exec
	v_lshl_add_u64 v[32:33], v[32:33], 0, 2
	v_lshl_add_u64 v[34:35], v[34:35], 0, 2
	s_waitcnt vmcnt(0)
	v_cmp_ne_u16_e32 vcc, v36, v37
	s_and_b64 s[48:49], vcc, exec
	s_or_b64 s[44:45], s[44:45], s[48:49]
.LBB747_105:                            ;   in Loop: Header=BB747_106 Depth=1
	s_and_b64 s[48:49], exec, s[44:45]
	s_or_b64 s[42:43], s[48:49], s[42:43]
	v_mov_b64_e32 v[36:37], s[46:47]
	s_andn2_b64 exec, exec, s[42:43]
	s_cbranch_execz .LBB747_108
.LBB747_106:                            ; =>This Inner Loop Header: Depth=1
	s_or_b64 s[44:45], s[44:45], exec
	s_cmp_eq_u64 s[14:15], s[46:47]
	s_cbranch_scc0 .LBB747_104
; %bb.107:                              ;   in Loop: Header=BB747_106 Depth=1
                                        ; implicit-def: $vgpr32_vgpr33
                                        ; implicit-def: $vgpr34_vgpr35
	s_mov_b64 s[46:47], s[26:27]
	s_branch .LBB747_105
.LBB747_108:
	s_or_b64 exec, exec, s[42:43]
	v_cmp_gt_i64_e32 vcc, s[26:27], v[36:37]
	s_orn2_b64 s[14:15], vcc, exec
.LBB747_109:
	s_or_b64 exec, exec, s[40:41]
.LBB747_110:
	v_cndmask_b32_e64 v39, 0, 1, s[10:11]
	v_cndmask_b32_e64 v48, 0, 1, s[12:13]
	v_cndmask_b32_e64 v49, 0, 1, s[6:7]
	s_waitcnt lgkmcnt(0)
	v_or_b32_e32 v34, v38, v50
	s_and_b64 vcc, exec, s[16:17]
	s_cbranch_vccz .LBB747_191
.LBB747_111:
	v_cmp_gt_u32_e32 vcc, s54, v42
	s_mov_b64 s[10:11], 0
	s_mov_b64 s[6:7], 0
	s_and_saveexec_b64 s[12:13], vcc
	s_cbranch_execz .LBB747_122
; %bb.112:
	s_and_b64 vcc, exec, s[4:5]
	s_mov_b64 s[14:15], 0
	s_cbranch_vccnz .LBB747_121
; %bb.113:
	v_mul_lo_u32 v34, v17, s26
	v_mul_lo_u32 v35, v16, s27
	v_mad_u64_u32 v[32:33], s[6:7], v16, s26, 0
	v_add3_u32 v33, v33, v35, v34
	v_mul_lo_u32 v34, v29, s26
	v_mul_lo_u32 v35, v28, s27
	v_mad_u64_u32 v[36:37], s[6:7], v28, s26, 0
	v_add3_u32 v37, v37, v35, v34
	v_lshl_add_u64 v[34:35], v[32:33], 1, s[36:37]
	v_lshl_add_u64 v[32:33], v[36:37], 1, s[36:37]
	global_load_ushort v36, v[34:35], off
	global_load_ushort v37, v[32:33], off
	s_mov_b64 s[14:15], -1
	s_waitcnt vmcnt(0)
	v_cmp_eq_u16_e32 vcc, v36, v37
	s_and_saveexec_b64 s[6:7], vcc
	s_cbranch_execz .LBB747_120
; %bb.114:
	s_add_u32 s14, s26, -1
	v_lshl_add_u64 v[32:33], v[32:33], 0, 2
	v_lshl_add_u64 v[34:35], v[34:35], 0, 2
	s_addc_u32 s15, s27, -1
	s_mov_b64 s[16:17], 0
	s_mov_b64 s[42:43], 0
                                        ; implicit-def: $sgpr40_sgpr41
	s_branch .LBB747_117
.LBB747_115:                            ;   in Loop: Header=BB747_117 Depth=1
	global_load_ushort v36, v[34:35], off
	global_load_ushort v37, v[32:33], off
	s_add_u32 s42, s42, 1
	s_addc_u32 s43, s43, 0
	s_andn2_b64 s[40:41], s[40:41], exec
	v_lshl_add_u64 v[32:33], v[32:33], 0, 2
	v_lshl_add_u64 v[34:35], v[34:35], 0, 2
	s_waitcnt vmcnt(0)
	v_cmp_ne_u16_e32 vcc, v36, v37
	s_and_b64 s[44:45], vcc, exec
	s_or_b64 s[40:41], s[40:41], s[44:45]
.LBB747_116:                            ;   in Loop: Header=BB747_117 Depth=1
	s_and_b64 s[44:45], exec, s[40:41]
	s_or_b64 s[16:17], s[44:45], s[16:17]
	v_mov_b64_e32 v[36:37], s[42:43]
	s_andn2_b64 exec, exec, s[16:17]
	s_cbranch_execz .LBB747_119
.LBB747_117:                            ; =>This Inner Loop Header: Depth=1
	s_or_b64 s[40:41], s[40:41], exec
	s_cmp_eq_u64 s[14:15], s[42:43]
	s_cbranch_scc0 .LBB747_115
; %bb.118:                              ;   in Loop: Header=BB747_117 Depth=1
                                        ; implicit-def: $vgpr32_vgpr33
                                        ; implicit-def: $vgpr34_vgpr35
	s_mov_b64 s[42:43], s[26:27]
	s_branch .LBB747_116
.LBB747_119:
	s_or_b64 exec, exec, s[16:17]
	v_cmp_gt_i64_e32 vcc, s[26:27], v[36:37]
	s_orn2_b64 s[14:15], vcc, exec
.LBB747_120:
	s_or_b64 exec, exec, s[6:7]
.LBB747_121:
	s_and_b64 s[6:7], s[14:15], exec
.LBB747_122:
	s_or_b64 exec, exec, s[12:13]
	v_cmp_gt_u32_e32 vcc, s54, v45
	s_and_saveexec_b64 s[12:13], vcc
	s_cbranch_execz .LBB747_133
; %bb.123:
	s_and_b64 vcc, exec, s[4:5]
	s_mov_b64 s[14:15], 0
	s_cbranch_vccnz .LBB747_132
; %bb.124:
	v_mul_lo_u32 v34, v15, s26
	v_mul_lo_u32 v35, v14, s27
	v_mad_u64_u32 v[32:33], s[10:11], v14, s26, 0
	v_add3_u32 v33, v33, v35, v34
	v_mul_lo_u32 v34, v17, s26
	v_mul_lo_u32 v35, v16, s27
	v_mad_u64_u32 v[36:37], s[10:11], v16, s26, 0
	v_add3_u32 v37, v37, v35, v34
	v_lshl_add_u64 v[34:35], v[32:33], 1, s[36:37]
	v_lshl_add_u64 v[32:33], v[36:37], 1, s[36:37]
	global_load_ushort v36, v[34:35], off
	global_load_ushort v37, v[32:33], off
	s_mov_b64 s[14:15], -1
	s_waitcnt vmcnt(0)
	v_cmp_eq_u16_e32 vcc, v36, v37
	s_and_saveexec_b64 s[10:11], vcc
	s_cbranch_execz .LBB747_131
; %bb.125:
	s_add_u32 s14, s26, -1
	v_lshl_add_u64 v[32:33], v[32:33], 0, 2
	v_lshl_add_u64 v[34:35], v[34:35], 0, 2
	s_addc_u32 s15, s27, -1
	s_mov_b64 s[16:17], 0
	s_mov_b64 s[42:43], 0
                                        ; implicit-def: $sgpr40_sgpr41
	s_branch .LBB747_128
.LBB747_126:                            ;   in Loop: Header=BB747_128 Depth=1
	global_load_ushort v36, v[34:35], off
	global_load_ushort v37, v[32:33], off
	s_add_u32 s42, s42, 1
	s_addc_u32 s43, s43, 0
	s_andn2_b64 s[40:41], s[40:41], exec
	v_lshl_add_u64 v[32:33], v[32:33], 0, 2
	v_lshl_add_u64 v[34:35], v[34:35], 0, 2
	s_waitcnt vmcnt(0)
	v_cmp_ne_u16_e32 vcc, v36, v37
	s_and_b64 s[44:45], vcc, exec
	s_or_b64 s[40:41], s[40:41], s[44:45]
.LBB747_127:                            ;   in Loop: Header=BB747_128 Depth=1
	s_and_b64 s[44:45], exec, s[40:41]
	s_or_b64 s[16:17], s[44:45], s[16:17]
	v_mov_b64_e32 v[36:37], s[42:43]
	s_andn2_b64 exec, exec, s[16:17]
	s_cbranch_execz .LBB747_130
.LBB747_128:                            ; =>This Inner Loop Header: Depth=1
	s_or_b64 s[40:41], s[40:41], exec
	s_cmp_eq_u64 s[14:15], s[42:43]
	s_cbranch_scc0 .LBB747_126
; %bb.129:                              ;   in Loop: Header=BB747_128 Depth=1
                                        ; implicit-def: $vgpr32_vgpr33
                                        ; implicit-def: $vgpr34_vgpr35
	s_mov_b64 s[42:43], s[26:27]
	s_branch .LBB747_127
.LBB747_130:
	s_or_b64 exec, exec, s[16:17]
	v_cmp_gt_i64_e32 vcc, s[26:27], v[36:37]
	s_orn2_b64 s[14:15], vcc, exec
.LBB747_131:
	s_or_b64 exec, exec, s[10:11]
.LBB747_132:
	s_and_b64 s[10:11], s[14:15], exec
.LBB747_133:
	s_or_b64 exec, exec, s[12:13]
	v_cmp_gt_u32_e32 vcc, s54, v41
	s_mov_b64 s[14:15], 0
	s_mov_b64 s[12:13], 0
	s_and_saveexec_b64 s[16:17], vcc
	s_cbranch_execz .LBB747_144
; %bb.134:
	s_and_b64 vcc, exec, s[4:5]
	s_mov_b64 s[40:41], 0
	s_cbranch_vccnz .LBB747_143
; %bb.135:
	v_mul_lo_u32 v34, v21, s26
	v_mul_lo_u32 v35, v20, s27
	v_mad_u64_u32 v[32:33], s[12:13], v20, s26, 0
	v_add3_u32 v33, v33, v35, v34
	v_mul_lo_u32 v34, v15, s26
	v_mul_lo_u32 v35, v14, s27
	v_mad_u64_u32 v[36:37], s[12:13], v14, s26, 0
	v_add3_u32 v37, v37, v35, v34
	v_lshl_add_u64 v[34:35], v[32:33], 1, s[36:37]
	v_lshl_add_u64 v[32:33], v[36:37], 1, s[36:37]
	global_load_ushort v36, v[34:35], off
	global_load_ushort v37, v[32:33], off
	s_mov_b64 s[40:41], -1
	s_waitcnt vmcnt(0)
	v_cmp_eq_u16_e32 vcc, v36, v37
	s_and_saveexec_b64 s[12:13], vcc
	s_cbranch_execz .LBB747_142
; %bb.136:
	s_add_u32 s40, s26, -1
	v_lshl_add_u64 v[32:33], v[32:33], 0, 2
	v_lshl_add_u64 v[34:35], v[34:35], 0, 2
	s_addc_u32 s41, s27, -1
	s_mov_b64 s[42:43], 0
	s_mov_b64 s[46:47], 0
                                        ; implicit-def: $sgpr44_sgpr45
	s_branch .LBB747_139
.LBB747_137:                            ;   in Loop: Header=BB747_139 Depth=1
	global_load_ushort v36, v[34:35], off
	global_load_ushort v37, v[32:33], off
	s_add_u32 s46, s46, 1
	s_addc_u32 s47, s47, 0
	s_andn2_b64 s[44:45], s[44:45], exec
	v_lshl_add_u64 v[32:33], v[32:33], 0, 2
	v_lshl_add_u64 v[34:35], v[34:35], 0, 2
	s_waitcnt vmcnt(0)
	v_cmp_ne_u16_e32 vcc, v36, v37
	s_and_b64 s[48:49], vcc, exec
	s_or_b64 s[44:45], s[44:45], s[48:49]
.LBB747_138:                            ;   in Loop: Header=BB747_139 Depth=1
	s_and_b64 s[48:49], exec, s[44:45]
	s_or_b64 s[42:43], s[48:49], s[42:43]
	v_mov_b64_e32 v[36:37], s[46:47]
	s_andn2_b64 exec, exec, s[42:43]
	s_cbranch_execz .LBB747_141
.LBB747_139:                            ; =>This Inner Loop Header: Depth=1
	s_or_b64 s[44:45], s[44:45], exec
	s_cmp_eq_u64 s[40:41], s[46:47]
	s_cbranch_scc0 .LBB747_137
; %bb.140:                              ;   in Loop: Header=BB747_139 Depth=1
                                        ; implicit-def: $vgpr32_vgpr33
                                        ; implicit-def: $vgpr34_vgpr35
	s_mov_b64 s[46:47], s[26:27]
	s_branch .LBB747_138
.LBB747_141:
	s_or_b64 exec, exec, s[42:43]
	v_cmp_gt_i64_e32 vcc, s[26:27], v[36:37]
	s_orn2_b64 s[40:41], vcc, exec
.LBB747_142:
	s_or_b64 exec, exec, s[12:13]
.LBB747_143:
	s_and_b64 s[12:13], s[40:41], exec
.LBB747_144:
	s_or_b64 exec, exec, s[16:17]
	v_cmp_gt_u32_e32 vcc, s54, v44
	s_and_saveexec_b64 s[16:17], vcc
	s_cbranch_execz .LBB747_155
; %bb.145:
	s_and_b64 vcc, exec, s[4:5]
	s_mov_b64 s[40:41], 0
	s_cbranch_vccnz .LBB747_154
; %bb.146:
	v_mul_lo_u32 v34, v19, s26
	v_mul_lo_u32 v35, v18, s27
	v_mad_u64_u32 v[32:33], s[14:15], v18, s26, 0
	v_add3_u32 v33, v33, v35, v34
	v_mul_lo_u32 v34, v21, s26
	v_mul_lo_u32 v35, v20, s27
	v_mad_u64_u32 v[36:37], s[14:15], v20, s26, 0
	v_add3_u32 v37, v37, v35, v34
	v_lshl_add_u64 v[34:35], v[32:33], 1, s[36:37]
	v_lshl_add_u64 v[32:33], v[36:37], 1, s[36:37]
	global_load_ushort v36, v[34:35], off
	global_load_ushort v37, v[32:33], off
	s_mov_b64 s[40:41], -1
	s_waitcnt vmcnt(0)
	v_cmp_eq_u16_e32 vcc, v36, v37
	s_and_saveexec_b64 s[14:15], vcc
	s_cbranch_execz .LBB747_153
; %bb.147:
	s_add_u32 s40, s26, -1
	v_lshl_add_u64 v[32:33], v[32:33], 0, 2
	v_lshl_add_u64 v[34:35], v[34:35], 0, 2
	s_addc_u32 s41, s27, -1
	s_mov_b64 s[42:43], 0
	s_mov_b64 s[46:47], 0
                                        ; implicit-def: $sgpr44_sgpr45
	s_branch .LBB747_150
.LBB747_148:                            ;   in Loop: Header=BB747_150 Depth=1
	global_load_ushort v36, v[34:35], off
	global_load_ushort v37, v[32:33], off
	s_add_u32 s46, s46, 1
	s_addc_u32 s47, s47, 0
	s_andn2_b64 s[44:45], s[44:45], exec
	v_lshl_add_u64 v[32:33], v[32:33], 0, 2
	v_lshl_add_u64 v[34:35], v[34:35], 0, 2
	s_waitcnt vmcnt(0)
	v_cmp_ne_u16_e32 vcc, v36, v37
	s_and_b64 s[48:49], vcc, exec
	s_or_b64 s[44:45], s[44:45], s[48:49]
.LBB747_149:                            ;   in Loop: Header=BB747_150 Depth=1
	s_and_b64 s[48:49], exec, s[44:45]
	s_or_b64 s[42:43], s[48:49], s[42:43]
	v_mov_b64_e32 v[36:37], s[46:47]
	s_andn2_b64 exec, exec, s[42:43]
	s_cbranch_execz .LBB747_152
.LBB747_150:                            ; =>This Inner Loop Header: Depth=1
	s_or_b64 s[44:45], s[44:45], exec
	s_cmp_eq_u64 s[40:41], s[46:47]
	s_cbranch_scc0 .LBB747_148
; %bb.151:                              ;   in Loop: Header=BB747_150 Depth=1
                                        ; implicit-def: $vgpr32_vgpr33
                                        ; implicit-def: $vgpr34_vgpr35
	s_mov_b64 s[46:47], s[26:27]
	s_branch .LBB747_149
.LBB747_152:
	s_or_b64 exec, exec, s[42:43]
	v_cmp_gt_i64_e32 vcc, s[26:27], v[36:37]
	s_orn2_b64 s[40:41], vcc, exec
.LBB747_153:
	s_or_b64 exec, exec, s[14:15]
.LBB747_154:
	s_and_b64 s[14:15], s[40:41], exec
.LBB747_155:
	s_or_b64 exec, exec, s[16:17]
	v_cmp_gt_u32_e32 vcc, s54, v40
	s_mov_b64 s[16:17], 0
	s_mov_b64 s[40:41], 0
	s_and_saveexec_b64 s[42:43], vcc
	s_cbranch_execz .LBB747_166
; %bb.156:
	s_and_b64 vcc, exec, s[4:5]
	s_mov_b64 s[44:45], 0
	s_cbranch_vccnz .LBB747_165
; %bb.157:
	v_mul_lo_u32 v34, v25, s26
	v_mul_lo_u32 v35, v24, s27
	v_mad_u64_u32 v[32:33], s[40:41], v24, s26, 0
	v_add3_u32 v33, v33, v35, v34
	v_mul_lo_u32 v34, v19, s26
	v_mul_lo_u32 v35, v18, s27
	v_mad_u64_u32 v[36:37], s[40:41], v18, s26, 0
	v_add3_u32 v37, v37, v35, v34
	v_lshl_add_u64 v[34:35], v[32:33], 1, s[36:37]
	v_lshl_add_u64 v[32:33], v[36:37], 1, s[36:37]
	global_load_ushort v36, v[34:35], off
	global_load_ushort v37, v[32:33], off
	s_mov_b64 s[44:45], -1
	s_waitcnt vmcnt(0)
	v_cmp_eq_u16_e32 vcc, v36, v37
	s_and_saveexec_b64 s[40:41], vcc
	s_cbranch_execz .LBB747_164
; %bb.158:
	s_add_u32 s44, s26, -1
	v_lshl_add_u64 v[32:33], v[32:33], 0, 2
	v_lshl_add_u64 v[34:35], v[34:35], 0, 2
	s_addc_u32 s45, s27, -1
	s_mov_b64 s[46:47], 0
	s_mov_b64 s[50:51], 0
                                        ; implicit-def: $sgpr48_sgpr49
	s_branch .LBB747_161
.LBB747_159:                            ;   in Loop: Header=BB747_161 Depth=1
	global_load_ushort v36, v[34:35], off
	global_load_ushort v37, v[32:33], off
	s_add_u32 s50, s50, 1
	s_addc_u32 s51, s51, 0
	s_andn2_b64 s[48:49], s[48:49], exec
	v_lshl_add_u64 v[32:33], v[32:33], 0, 2
	v_lshl_add_u64 v[34:35], v[34:35], 0, 2
	s_waitcnt vmcnt(0)
	v_cmp_ne_u16_e32 vcc, v36, v37
	s_and_b64 s[52:53], vcc, exec
	s_or_b64 s[48:49], s[48:49], s[52:53]
.LBB747_160:                            ;   in Loop: Header=BB747_161 Depth=1
	s_and_b64 s[52:53], exec, s[48:49]
	s_or_b64 s[46:47], s[52:53], s[46:47]
	v_mov_b64_e32 v[36:37], s[50:51]
	s_andn2_b64 exec, exec, s[46:47]
	s_cbranch_execz .LBB747_163
.LBB747_161:                            ; =>This Inner Loop Header: Depth=1
	s_or_b64 s[48:49], s[48:49], exec
	s_cmp_eq_u64 s[44:45], s[50:51]
	s_cbranch_scc0 .LBB747_159
; %bb.162:                              ;   in Loop: Header=BB747_161 Depth=1
                                        ; implicit-def: $vgpr32_vgpr33
                                        ; implicit-def: $vgpr34_vgpr35
	s_mov_b64 s[50:51], s[26:27]
	s_branch .LBB747_160
.LBB747_163:
	s_or_b64 exec, exec, s[46:47]
	v_cmp_gt_i64_e32 vcc, s[26:27], v[36:37]
	s_orn2_b64 s[44:45], vcc, exec
.LBB747_164:
	s_or_b64 exec, exec, s[40:41]
.LBB747_165:
	s_and_b64 s[40:41], s[44:45], exec
.LBB747_166:
	s_or_b64 exec, exec, s[42:43]
	v_cmp_gt_u32_e32 vcc, s54, v43
	s_and_saveexec_b64 s[42:43], vcc
	s_cbranch_execz .LBB747_177
; %bb.167:
	s_and_b64 vcc, exec, s[4:5]
	s_mov_b64 s[44:45], 0
	s_cbranch_vccnz .LBB747_176
; %bb.168:
	v_mul_lo_u32 v34, v23, s26
	v_mul_lo_u32 v35, v22, s27
	v_mad_u64_u32 v[32:33], s[16:17], v22, s26, 0
	v_add3_u32 v33, v33, v35, v34
	v_mul_lo_u32 v34, v25, s26
	v_mul_lo_u32 v35, v24, s27
	v_mad_u64_u32 v[36:37], s[16:17], v24, s26, 0
	v_add3_u32 v37, v37, v35, v34
	v_lshl_add_u64 v[34:35], v[32:33], 1, s[36:37]
	v_lshl_add_u64 v[32:33], v[36:37], 1, s[36:37]
	global_load_ushort v36, v[34:35], off
	global_load_ushort v37, v[32:33], off
	s_mov_b64 s[44:45], -1
	s_waitcnt vmcnt(0)
	v_cmp_eq_u16_e32 vcc, v36, v37
	s_and_saveexec_b64 s[16:17], vcc
	s_cbranch_execz .LBB747_175
; %bb.169:
	s_add_u32 s44, s26, -1
	v_lshl_add_u64 v[32:33], v[32:33], 0, 2
	v_lshl_add_u64 v[34:35], v[34:35], 0, 2
	s_addc_u32 s45, s27, -1
	s_mov_b64 s[46:47], 0
	s_mov_b64 s[50:51], 0
                                        ; implicit-def: $sgpr48_sgpr49
	s_branch .LBB747_172
.LBB747_170:                            ;   in Loop: Header=BB747_172 Depth=1
	global_load_ushort v36, v[34:35], off
	global_load_ushort v37, v[32:33], off
	s_add_u32 s50, s50, 1
	s_addc_u32 s51, s51, 0
	s_andn2_b64 s[48:49], s[48:49], exec
	v_lshl_add_u64 v[32:33], v[32:33], 0, 2
	v_lshl_add_u64 v[34:35], v[34:35], 0, 2
	s_waitcnt vmcnt(0)
	v_cmp_ne_u16_e32 vcc, v36, v37
	s_and_b64 s[52:53], vcc, exec
	s_or_b64 s[48:49], s[48:49], s[52:53]
.LBB747_171:                            ;   in Loop: Header=BB747_172 Depth=1
	s_and_b64 s[52:53], exec, s[48:49]
	s_or_b64 s[46:47], s[52:53], s[46:47]
	v_mov_b64_e32 v[36:37], s[50:51]
	s_andn2_b64 exec, exec, s[46:47]
	s_cbranch_execz .LBB747_174
.LBB747_172:                            ; =>This Inner Loop Header: Depth=1
	s_or_b64 s[48:49], s[48:49], exec
	s_cmp_eq_u64 s[44:45], s[50:51]
	s_cbranch_scc0 .LBB747_170
; %bb.173:                              ;   in Loop: Header=BB747_172 Depth=1
                                        ; implicit-def: $vgpr32_vgpr33
                                        ; implicit-def: $vgpr34_vgpr35
	s_mov_b64 s[50:51], s[26:27]
	s_branch .LBB747_171
.LBB747_174:
	s_or_b64 exec, exec, s[46:47]
	v_cmp_gt_i64_e32 vcc, s[26:27], v[36:37]
	s_orn2_b64 s[44:45], vcc, exec
.LBB747_175:
	s_or_b64 exec, exec, s[16:17]
.LBB747_176:
	s_and_b64 s[16:17], s[44:45], exec
.LBB747_177:
	s_or_b64 exec, exec, s[42:43]
	s_waitcnt lgkmcnt(0)
	s_barrier
	s_and_saveexec_b64 s[42:43], s[2:3]
	s_cbranch_execz .LBB747_179
; %bb.178:
	s_waitcnt vmcnt(0)
	v_add_u32_e32 v30, -8, v47
	ds_read_b64 v[30:31], v30
.LBB747_179:
	s_or_b64 exec, exec, s[42:43]
	v_cndmask_b32_e64 v33, 0, 1, s[14:15]
	v_cndmask_b32_e64 v32, 0, 1, s[40:41]
	;; [unrolled: 1-line block ×3, first 2 shown]
	v_lshlrev_b16_e32 v33, 8, v33
	v_cmp_gt_u32_e32 vcc, s54, v1
	v_lshlrev_b16_e32 v36, 8, v34
	v_or_b32_sdwa v37, v32, v33 dst_sel:WORD_1 dst_unused:UNUSED_PAD src0_sel:DWORD src1_sel:DWORD
	s_mov_b64 s[14:15], 0
	s_and_saveexec_b64 s[16:17], vcc
	s_cbranch_execz .LBB747_190
; %bb.180:
	s_and_b64 vcc, exec, s[4:5]
	s_cbranch_vccnz .LBB747_189
; %bb.181:
	s_waitcnt vmcnt(0) lgkmcnt(0)
	v_mul_lo_u32 v32, v31, s26
	v_mul_lo_u32 v33, v30, s27
	v_mad_u64_u32 v[30:31], s[4:5], v30, s26, 0
	v_add3_u32 v31, v31, v33, v32
	v_mul_lo_u32 v32, v23, s26
	v_mul_lo_u32 v33, v22, s27
	v_mad_u64_u32 v[34:35], s[4:5], v22, s26, 0
	v_add3_u32 v35, v35, v33, v32
	v_lshl_add_u64 v[32:33], v[30:31], 1, s[36:37]
	v_lshl_add_u64 v[30:31], v[34:35], 1, s[36:37]
	global_load_ushort v34, v[32:33], off
	global_load_ushort v35, v[30:31], off
	s_mov_b64 s[14:15], -1
	s_waitcnt vmcnt(0)
	v_cmp_eq_u16_e32 vcc, v34, v35
	s_and_saveexec_b64 s[4:5], vcc
	s_cbranch_execz .LBB747_188
; %bb.182:
	s_add_u32 s14, s26, -1
	v_lshl_add_u64 v[30:31], v[30:31], 0, 2
	v_lshl_add_u64 v[32:33], v[32:33], 0, 2
	s_addc_u32 s15, s27, -1
	s_mov_b64 s[40:41], 0
	s_mov_b64 s[44:45], 0
                                        ; implicit-def: $sgpr42_sgpr43
	s_branch .LBB747_185
.LBB747_183:                            ;   in Loop: Header=BB747_185 Depth=1
	global_load_ushort v34, v[32:33], off
	global_load_ushort v35, v[30:31], off
	s_add_u32 s44, s44, 1
	s_addc_u32 s45, s45, 0
	s_andn2_b64 s[42:43], s[42:43], exec
	v_lshl_add_u64 v[30:31], v[30:31], 0, 2
	v_lshl_add_u64 v[32:33], v[32:33], 0, 2
	s_waitcnt vmcnt(0)
	v_cmp_ne_u16_e32 vcc, v34, v35
	s_and_b64 s[46:47], vcc, exec
	s_or_b64 s[42:43], s[42:43], s[46:47]
.LBB747_184:                            ;   in Loop: Header=BB747_185 Depth=1
	s_and_b64 s[46:47], exec, s[42:43]
	s_or_b64 s[40:41], s[46:47], s[40:41]
	v_mov_b64_e32 v[34:35], s[44:45]
	s_andn2_b64 exec, exec, s[40:41]
	s_cbranch_execz .LBB747_187
.LBB747_185:                            ; =>This Inner Loop Header: Depth=1
	s_or_b64 s[42:43], s[42:43], exec
	s_cmp_eq_u64 s[14:15], s[44:45]
	s_cbranch_scc0 .LBB747_183
; %bb.186:                              ;   in Loop: Header=BB747_185 Depth=1
                                        ; implicit-def: $vgpr30_vgpr31
                                        ; implicit-def: $vgpr32_vgpr33
	s_mov_b64 s[44:45], s[26:27]
	s_branch .LBB747_184
.LBB747_187:
	s_or_b64 exec, exec, s[40:41]
	v_cmp_gt_i64_e32 vcc, s[26:27], v[34:35]
	s_orn2_b64 s[14:15], vcc, exec
.LBB747_188:
	s_or_b64 exec, exec, s[4:5]
.LBB747_189:
	s_and_b64 s[14:15], s[14:15], exec
.LBB747_190:
	s_or_b64 exec, exec, s[16:17]
	v_cndmask_b32_e64 v39, 0, 1, s[12:13]
	v_cndmask_b32_e64 v48, 0, 1, s[10:11]
	;; [unrolled: 1-line block ×3, first 2 shown]
	v_or_b32_e32 v34, v36, v37
.LBB747_191:
	s_mov_b64 s[10:11], -1
	s_cbranch_execnz .LBB747_50
.LBB747_192:
	s_movk_i32 s4, 0xffd0
	v_mad_i32_i24 v38, v0, s4, v46
	s_mov_b64 s[12:13], 0
	v_cmp_gt_i64_e64 s[6:7], s[26:27], 0
	s_and_b64 vcc, exec, s[34:35]
	ds_write_b64 v38, v[28:29]
	s_cbranch_vccz .LBB747_200
; %bb.193:
	v_mul_lo_u32 v32, v17, s26
	v_mul_lo_u32 v33, v16, s27
	s_waitcnt vmcnt(0) lgkmcnt(1)
	v_mad_u64_u32 v[30:31], s[4:5], v16, s26, 0
	v_add3_u32 v31, v31, v33, v32
	v_cndmask_b32_e64 v32, 0, 1, s[6:7]
	v_cmp_ne_u32_e64 s[4:5], 1, v32
	s_andn2_b64 vcc, exec, s[6:7]
	v_lshl_add_u64 v[30:31], v[30:31], 1, s[36:37]
	s_cbranch_vccnz .LBB747_203
; %bb.194:
	v_mul_lo_u32 v34, v29, s26
	v_mul_lo_u32 v35, v28, s27
	v_mad_u64_u32 v[32:33], s[12:13], v28, s26, 0
	v_add3_u32 v33, v33, v35, v34
	v_lshl_add_u64 v[32:33], v[32:33], 1, s[36:37]
	global_load_ushort v34, v[30:31], off
	global_load_ushort v35, v[32:33], off
	s_mov_b64 s[12:13], -1
	s_waitcnt vmcnt(0)
	v_cmp_eq_u16_e32 vcc, v34, v35
	s_and_saveexec_b64 s[14:15], vcc
	s_cbranch_execz .LBB747_202
; %bb.195:
	s_add_u32 s12, s26, -1
	v_lshl_add_u64 v[32:33], v[32:33], 0, 2
	v_lshl_add_u64 v[34:35], v[30:31], 0, 2
	s_addc_u32 s13, s27, -1
	s_mov_b64 s[16:17], 0
	s_mov_b64 s[42:43], 0
                                        ; implicit-def: $sgpr40_sgpr41
	s_branch .LBB747_198
.LBB747_196:                            ;   in Loop: Header=BB747_198 Depth=1
	global_load_ushort v36, v[34:35], off
	global_load_ushort v37, v[32:33], off
	s_add_u32 s42, s42, 1
	s_addc_u32 s43, s43, 0
	s_andn2_b64 s[40:41], s[40:41], exec
	v_lshl_add_u64 v[32:33], v[32:33], 0, 2
	v_lshl_add_u64 v[34:35], v[34:35], 0, 2
	s_waitcnt vmcnt(0)
	v_cmp_ne_u16_e32 vcc, v36, v37
	s_and_b64 s[44:45], vcc, exec
	s_or_b64 s[40:41], s[40:41], s[44:45]
.LBB747_197:                            ;   in Loop: Header=BB747_198 Depth=1
	s_and_b64 s[44:45], exec, s[40:41]
	s_or_b64 s[16:17], s[44:45], s[16:17]
	v_mov_b64_e32 v[36:37], s[42:43]
	s_andn2_b64 exec, exec, s[16:17]
	s_cbranch_execz .LBB747_201
.LBB747_198:                            ; =>This Inner Loop Header: Depth=1
	s_or_b64 s[40:41], s[40:41], exec
	s_cmp_eq_u64 s[12:13], s[42:43]
	s_cbranch_scc0 .LBB747_196
; %bb.199:                              ;   in Loop: Header=BB747_198 Depth=1
                                        ; implicit-def: $vgpr32_vgpr33
                                        ; implicit-def: $vgpr34_vgpr35
	s_mov_b64 s[42:43], s[26:27]
	s_branch .LBB747_197
.LBB747_200:
                                        ; implicit-def: $sgpr14_sgpr15
                                        ; implicit-def: $vgpr49
                                        ; implicit-def: $vgpr48
                                        ; implicit-def: $vgpr39
                                        ; implicit-def: $vgpr34
                                        ; implicit-def: $vgpr30_vgpr31
	s_cbranch_execnz .LBB747_260
	s_branch .LBB747_340
.LBB747_201:
	s_or_b64 exec, exec, s[16:17]
	v_cmp_gt_i64_e32 vcc, s[26:27], v[36:37]
	s_orn2_b64 s[12:13], vcc, exec
.LBB747_202:
	s_or_b64 exec, exec, s[14:15]
.LBB747_203:
	v_mul_lo_u32 v34, v15, s26
	v_mul_lo_u32 v35, v14, s27
	v_mad_u64_u32 v[32:33], s[14:15], v14, s26, 0
	v_add3_u32 v33, v33, v35, v34
	s_mov_b64 s[14:15], 0
	s_and_b64 vcc, exec, s[4:5]
	v_lshl_add_u64 v[32:33], v[32:33], 1, s[36:37]
	s_mov_b64 s[16:17], 0
	s_cbranch_vccnz .LBB747_212
; %bb.204:
	global_load_ushort v34, v[32:33], off
	global_load_ushort v35, v[30:31], off
	s_mov_b64 s[16:17], -1
	s_waitcnt vmcnt(0)
	v_cmp_eq_u16_e32 vcc, v34, v35
	s_and_saveexec_b64 s[40:41], vcc
	s_cbranch_execz .LBB747_211
; %bb.205:
	s_add_u32 s16, s26, -1
	v_lshl_add_u64 v[30:31], v[30:31], 0, 2
	v_lshl_add_u64 v[34:35], v[32:33], 0, 2
	s_addc_u32 s17, s27, -1
	s_mov_b64 s[42:43], 0
	s_mov_b64 s[46:47], 0
                                        ; implicit-def: $sgpr44_sgpr45
	s_branch .LBB747_208
.LBB747_206:                            ;   in Loop: Header=BB747_208 Depth=1
	global_load_ushort v36, v[34:35], off
	global_load_ushort v37, v[30:31], off
	s_add_u32 s46, s46, 1
	s_addc_u32 s47, s47, 0
	s_andn2_b64 s[44:45], s[44:45], exec
	v_lshl_add_u64 v[30:31], v[30:31], 0, 2
	v_lshl_add_u64 v[34:35], v[34:35], 0, 2
	s_waitcnt vmcnt(0)
	v_cmp_ne_u16_e32 vcc, v36, v37
	s_and_b64 s[48:49], vcc, exec
	s_or_b64 s[44:45], s[44:45], s[48:49]
.LBB747_207:                            ;   in Loop: Header=BB747_208 Depth=1
	s_and_b64 s[48:49], exec, s[44:45]
	s_or_b64 s[42:43], s[48:49], s[42:43]
	v_mov_b64_e32 v[36:37], s[46:47]
	s_andn2_b64 exec, exec, s[42:43]
	s_cbranch_execz .LBB747_210
.LBB747_208:                            ; =>This Inner Loop Header: Depth=1
	s_or_b64 s[44:45], s[44:45], exec
	s_cmp_eq_u64 s[16:17], s[46:47]
	s_cbranch_scc0 .LBB747_206
; %bb.209:                              ;   in Loop: Header=BB747_208 Depth=1
                                        ; implicit-def: $vgpr30_vgpr31
                                        ; implicit-def: $vgpr34_vgpr35
	s_mov_b64 s[46:47], s[26:27]
	s_branch .LBB747_207
.LBB747_210:
	s_or_b64 exec, exec, s[42:43]
	v_cmp_gt_i64_e32 vcc, s[26:27], v[36:37]
	s_orn2_b64 s[16:17], vcc, exec
.LBB747_211:
	s_or_b64 exec, exec, s[40:41]
.LBB747_212:
	v_mul_lo_u32 v34, v21, s26
	v_mul_lo_u32 v35, v20, s27
	v_mad_u64_u32 v[30:31], s[40:41], v20, s26, 0
	v_add3_u32 v31, v31, v35, v34
	s_and_b64 vcc, exec, s[4:5]
	v_lshl_add_u64 v[30:31], v[30:31], 1, s[36:37]
	s_cbranch_vccnz .LBB747_221
; %bb.213:
	global_load_ushort v34, v[30:31], off
	global_load_ushort v35, v[32:33], off
	s_mov_b64 s[14:15], -1
	s_waitcnt vmcnt(0)
	v_cmp_eq_u16_e32 vcc, v34, v35
	s_and_saveexec_b64 s[40:41], vcc
	s_cbranch_execz .LBB747_220
; %bb.214:
	s_add_u32 s14, s26, -1
	v_lshl_add_u64 v[32:33], v[32:33], 0, 2
	v_lshl_add_u64 v[34:35], v[30:31], 0, 2
	s_addc_u32 s15, s27, -1
	s_mov_b64 s[42:43], 0
	s_mov_b64 s[46:47], 0
                                        ; implicit-def: $sgpr44_sgpr45
	s_branch .LBB747_217
.LBB747_215:                            ;   in Loop: Header=BB747_217 Depth=1
	global_load_ushort v36, v[34:35], off
	global_load_ushort v37, v[32:33], off
	s_add_u32 s46, s46, 1
	s_addc_u32 s47, s47, 0
	s_andn2_b64 s[44:45], s[44:45], exec
	v_lshl_add_u64 v[32:33], v[32:33], 0, 2
	v_lshl_add_u64 v[34:35], v[34:35], 0, 2
	s_waitcnt vmcnt(0)
	v_cmp_ne_u16_e32 vcc, v36, v37
	s_and_b64 s[48:49], vcc, exec
	s_or_b64 s[44:45], s[44:45], s[48:49]
.LBB747_216:                            ;   in Loop: Header=BB747_217 Depth=1
	s_and_b64 s[48:49], exec, s[44:45]
	s_or_b64 s[42:43], s[48:49], s[42:43]
	v_mov_b64_e32 v[36:37], s[46:47]
	s_andn2_b64 exec, exec, s[42:43]
	s_cbranch_execz .LBB747_219
.LBB747_217:                            ; =>This Inner Loop Header: Depth=1
	s_or_b64 s[44:45], s[44:45], exec
	s_cmp_eq_u64 s[14:15], s[46:47]
	s_cbranch_scc0 .LBB747_215
; %bb.218:                              ;   in Loop: Header=BB747_217 Depth=1
                                        ; implicit-def: $vgpr32_vgpr33
                                        ; implicit-def: $vgpr34_vgpr35
	s_mov_b64 s[46:47], s[26:27]
	s_branch .LBB747_216
.LBB747_219:
	s_or_b64 exec, exec, s[42:43]
	v_cmp_gt_i64_e32 vcc, s[26:27], v[36:37]
	s_orn2_b64 s[14:15], vcc, exec
.LBB747_220:
	s_or_b64 exec, exec, s[40:41]
.LBB747_221:
	v_mul_lo_u32 v34, v19, s26
	v_mul_lo_u32 v35, v18, s27
	v_mad_u64_u32 v[32:33], s[40:41], v18, s26, 0
	v_add3_u32 v33, v33, v35, v34
	s_mov_b64 s[40:41], 0
	s_and_b64 vcc, exec, s[4:5]
	v_lshl_add_u64 v[32:33], v[32:33], 1, s[36:37]
	s_mov_b64 s[42:43], 0
	s_cbranch_vccnz .LBB747_230
; %bb.222:
	global_load_ushort v34, v[32:33], off
	global_load_ushort v35, v[30:31], off
	s_mov_b64 s[42:43], -1
	s_waitcnt vmcnt(0)
	v_cmp_eq_u16_e32 vcc, v34, v35
	s_and_saveexec_b64 s[44:45], vcc
	s_cbranch_execz .LBB747_229
; %bb.223:
	s_add_u32 s42, s26, -1
	v_lshl_add_u64 v[30:31], v[30:31], 0, 2
	v_lshl_add_u64 v[34:35], v[32:33], 0, 2
	s_addc_u32 s43, s27, -1
	s_mov_b64 s[46:47], 0
	s_mov_b64 s[50:51], 0
                                        ; implicit-def: $sgpr48_sgpr49
	s_branch .LBB747_226
.LBB747_224:                            ;   in Loop: Header=BB747_226 Depth=1
	global_load_ushort v36, v[34:35], off
	global_load_ushort v37, v[30:31], off
	s_add_u32 s50, s50, 1
	s_addc_u32 s51, s51, 0
	s_andn2_b64 s[48:49], s[48:49], exec
	v_lshl_add_u64 v[30:31], v[30:31], 0, 2
	v_lshl_add_u64 v[34:35], v[34:35], 0, 2
	s_waitcnt vmcnt(0)
	v_cmp_ne_u16_e32 vcc, v36, v37
	s_and_b64 s[52:53], vcc, exec
	s_or_b64 s[48:49], s[48:49], s[52:53]
.LBB747_225:                            ;   in Loop: Header=BB747_226 Depth=1
	s_and_b64 s[52:53], exec, s[48:49]
	s_or_b64 s[46:47], s[52:53], s[46:47]
	v_mov_b64_e32 v[36:37], s[50:51]
	s_andn2_b64 exec, exec, s[46:47]
	s_cbranch_execz .LBB747_228
.LBB747_226:                            ; =>This Inner Loop Header: Depth=1
	s_or_b64 s[48:49], s[48:49], exec
	s_cmp_eq_u64 s[42:43], s[50:51]
	s_cbranch_scc0 .LBB747_224
; %bb.227:                              ;   in Loop: Header=BB747_226 Depth=1
                                        ; implicit-def: $vgpr30_vgpr31
                                        ; implicit-def: $vgpr34_vgpr35
	s_mov_b64 s[50:51], s[26:27]
	s_branch .LBB747_225
.LBB747_228:
	s_or_b64 exec, exec, s[46:47]
	v_cmp_gt_i64_e32 vcc, s[26:27], v[36:37]
	s_orn2_b64 s[42:43], vcc, exec
.LBB747_229:
	s_or_b64 exec, exec, s[44:45]
.LBB747_230:
	v_mul_lo_u32 v34, v25, s26
	v_mul_lo_u32 v35, v24, s27
	v_mad_u64_u32 v[30:31], s[44:45], v24, s26, 0
	v_add3_u32 v31, v31, v35, v34
	s_and_b64 vcc, exec, s[4:5]
	v_lshl_add_u64 v[30:31], v[30:31], 1, s[36:37]
	s_cbranch_vccnz .LBB747_239
; %bb.231:
	global_load_ushort v34, v[30:31], off
	global_load_ushort v35, v[32:33], off
	s_mov_b64 s[40:41], -1
	s_waitcnt vmcnt(0)
	v_cmp_eq_u16_e32 vcc, v34, v35
	s_and_saveexec_b64 s[44:45], vcc
	s_cbranch_execz .LBB747_238
; %bb.232:
	s_add_u32 s40, s26, -1
	v_lshl_add_u64 v[32:33], v[32:33], 0, 2
	v_lshl_add_u64 v[34:35], v[30:31], 0, 2
	s_addc_u32 s41, s27, -1
	s_mov_b64 s[46:47], 0
	s_mov_b64 s[50:51], 0
                                        ; implicit-def: $sgpr48_sgpr49
	s_branch .LBB747_235
.LBB747_233:                            ;   in Loop: Header=BB747_235 Depth=1
	global_load_ushort v36, v[34:35], off
	global_load_ushort v37, v[32:33], off
	s_add_u32 s50, s50, 1
	s_addc_u32 s51, s51, 0
	s_andn2_b64 s[48:49], s[48:49], exec
	v_lshl_add_u64 v[32:33], v[32:33], 0, 2
	v_lshl_add_u64 v[34:35], v[34:35], 0, 2
	s_waitcnt vmcnt(0)
	v_cmp_ne_u16_e32 vcc, v36, v37
	s_and_b64 s[52:53], vcc, exec
	s_or_b64 s[48:49], s[48:49], s[52:53]
.LBB747_234:                            ;   in Loop: Header=BB747_235 Depth=1
	s_and_b64 s[52:53], exec, s[48:49]
	s_or_b64 s[46:47], s[52:53], s[46:47]
	v_mov_b64_e32 v[36:37], s[50:51]
	s_andn2_b64 exec, exec, s[46:47]
	s_cbranch_execz .LBB747_237
.LBB747_235:                            ; =>This Inner Loop Header: Depth=1
	s_or_b64 s[48:49], s[48:49], exec
	s_cmp_eq_u64 s[40:41], s[50:51]
	s_cbranch_scc0 .LBB747_233
; %bb.236:                              ;   in Loop: Header=BB747_235 Depth=1
                                        ; implicit-def: $vgpr32_vgpr33
                                        ; implicit-def: $vgpr34_vgpr35
	s_mov_b64 s[50:51], s[26:27]
	s_branch .LBB747_234
.LBB747_237:
	s_or_b64 exec, exec, s[46:47]
	v_cmp_gt_i64_e32 vcc, s[26:27], v[36:37]
	s_orn2_b64 s[40:41], vcc, exec
.LBB747_238:
	s_or_b64 exec, exec, s[44:45]
.LBB747_239:
	v_mul_lo_u32 v34, v23, s26
	v_mul_lo_u32 v35, v22, s27
	v_mad_u64_u32 v[32:33], s[44:45], v22, s26, 0
	v_add3_u32 v33, v33, v35, v34
	s_and_b64 vcc, exec, s[4:5]
	s_mov_b64 s[46:47], 0
	s_cbranch_vccnz .LBB747_248
; %bb.240:
	v_lshl_add_u64 v[34:35], v[32:33], 1, s[36:37]
	global_load_ushort v36, v[34:35], off
	global_load_ushort v37, v[30:31], off
	s_mov_b64 s[46:47], -1
	s_waitcnt vmcnt(0)
	v_cmp_eq_u16_e32 vcc, v36, v37
	s_and_saveexec_b64 s[44:45], vcc
	s_cbranch_execz .LBB747_247
; %bb.241:
	s_add_u32 s46, s26, -1
	v_lshl_add_u64 v[30:31], v[30:31], 0, 2
	v_lshl_add_u64 v[34:35], v[34:35], 0, 2
	s_addc_u32 s47, s27, -1
	s_mov_b64 s[48:49], 0
	s_mov_b64 s[52:53], 0
                                        ; implicit-def: $sgpr50_sgpr51
	s_branch .LBB747_244
.LBB747_242:                            ;   in Loop: Header=BB747_244 Depth=1
	global_load_ushort v36, v[34:35], off
	global_load_ushort v37, v[30:31], off
	s_add_u32 s52, s52, 1
	s_addc_u32 s53, s53, 0
	s_andn2_b64 s[50:51], s[50:51], exec
	v_lshl_add_u64 v[30:31], v[30:31], 0, 2
	v_lshl_add_u64 v[34:35], v[34:35], 0, 2
	s_waitcnt vmcnt(0)
	v_cmp_ne_u16_e32 vcc, v36, v37
	s_and_b64 s[56:57], vcc, exec
	s_or_b64 s[50:51], s[50:51], s[56:57]
.LBB747_243:                            ;   in Loop: Header=BB747_244 Depth=1
	s_and_b64 s[56:57], exec, s[50:51]
	s_or_b64 s[48:49], s[56:57], s[48:49]
	v_mov_b64_e32 v[36:37], s[52:53]
	s_andn2_b64 exec, exec, s[48:49]
	s_cbranch_execz .LBB747_246
.LBB747_244:                            ; =>This Inner Loop Header: Depth=1
	s_or_b64 s[50:51], s[50:51], exec
	s_cmp_eq_u64 s[46:47], s[52:53]
	s_cbranch_scc0 .LBB747_242
; %bb.245:                              ;   in Loop: Header=BB747_244 Depth=1
                                        ; implicit-def: $vgpr30_vgpr31
                                        ; implicit-def: $vgpr34_vgpr35
	s_mov_b64 s[52:53], s[26:27]
	s_branch .LBB747_243
.LBB747_246:
	s_or_b64 exec, exec, s[48:49]
	v_cmp_gt_i64_e32 vcc, s[26:27], v[36:37]
	s_orn2_b64 s[46:47], vcc, exec
.LBB747_247:
	s_or_b64 exec, exec, s[44:45]
.LBB747_248:
	v_cndmask_b32_e64 v31, 0, 1, s[42:43]
	v_cndmask_b32_e64 v30, 0, 1, s[40:41]
	v_cndmask_b32_e64 v48, 0, 1, s[16:17]
	v_lshlrev_b16_e32 v31, 8, v31
	v_cndmask_b32_e64 v39, 0, 1, s[14:15]
	v_cndmask_b32_e64 v34, 0, 1, s[46:47]
	v_or_b32_sdwa v30, v30, v31 dst_sel:WORD_1 dst_unused:UNUSED_PAD src0_sel:DWORD src1_sel:DWORD
	v_lshlrev_b16_e32 v31, 8, v48
	v_lshlrev_b16_e32 v34, 8, v34
	v_or_b32_e32 v31, v39, v31
	v_or_b32_e32 v34, 1, v34
	v_and_b32_e32 v31, 0xffff, v31
	v_cndmask_b32_e64 v49, 0, 1, s[12:13]
	v_or_b32_sdwa v30, v34, v30 dst_sel:DWORD dst_unused:UNUSED_PAD src0_sel:WORD_0 src1_sel:DWORD
	v_lshl_or_b32 v31, v49, 16, v31
	s_waitcnt lgkmcnt(0)
	s_barrier
	s_waitcnt lgkmcnt(0)
                                        ; implicit-def: $sgpr14_sgpr15
                                        ; implicit-def: $vgpr34
	s_and_saveexec_b64 s[12:13], s[2:3]
	s_xor_b64 s[12:13], exec, s[12:13]
	s_cbranch_execz .LBB747_259
; %bb.249:
	s_mov_b32 s44, 0x3020104
	s_and_b64 vcc, exec, s[4:5]
	s_mov_b64 s[14:15], 0
	s_cbranch_vccnz .LBB747_258
; %bb.250:
	v_add_u32_e32 v31, -8, v38
	ds_read_b64 v[34:35], v31
	v_lshl_add_u64 v[32:33], v[32:33], 1, s[36:37]
	s_mov_b64 s[14:15], -1
	s_waitcnt lgkmcnt(0)
	v_mul_lo_u32 v31, v35, s26
	v_mul_lo_u32 v36, v34, s27
	v_mad_u64_u32 v[34:35], s[4:5], v34, s26, 0
	v_add3_u32 v35, v35, v36, v31
	v_lshl_add_u64 v[34:35], v[34:35], 1, s[36:37]
	global_load_ushort v31, v[34:35], off
	global_load_ushort v36, v[32:33], off
	s_waitcnt vmcnt(0)
	v_cmp_eq_u16_e32 vcc, v31, v36
	s_and_saveexec_b64 s[4:5], vcc
	s_cbranch_execz .LBB747_257
; %bb.251:
	s_add_u32 s14, s26, -1
	v_lshl_add_u64 v[32:33], v[32:33], 0, 2
	v_lshl_add_u64 v[34:35], v[34:35], 0, 2
	s_addc_u32 s15, s27, -1
	s_mov_b64 s[16:17], 0
	s_mov_b64 s[42:43], 0
                                        ; implicit-def: $sgpr40_sgpr41
	s_branch .LBB747_254
.LBB747_252:                            ;   in Loop: Header=BB747_254 Depth=1
	global_load_ushort v31, v[34:35], off
	global_load_ushort v36, v[32:33], off
	s_add_u32 s42, s42, 1
	s_addc_u32 s43, s43, 0
	s_andn2_b64 s[40:41], s[40:41], exec
	v_lshl_add_u64 v[32:33], v[32:33], 0, 2
	v_lshl_add_u64 v[34:35], v[34:35], 0, 2
	s_waitcnt vmcnt(0)
	v_cmp_ne_u16_e32 vcc, v31, v36
	s_and_b64 s[46:47], vcc, exec
	s_or_b64 s[40:41], s[40:41], s[46:47]
.LBB747_253:                            ;   in Loop: Header=BB747_254 Depth=1
	s_and_b64 s[46:47], exec, s[40:41]
	s_or_b64 s[16:17], s[46:47], s[16:17]
	v_mov_b64_e32 v[36:37], s[42:43]
	s_andn2_b64 exec, exec, s[16:17]
	s_cbranch_execz .LBB747_256
.LBB747_254:                            ; =>This Inner Loop Header: Depth=1
	s_or_b64 s[40:41], s[40:41], exec
	s_cmp_eq_u64 s[14:15], s[42:43]
	s_cbranch_scc0 .LBB747_252
; %bb.255:                              ;   in Loop: Header=BB747_254 Depth=1
                                        ; implicit-def: $vgpr32_vgpr33
                                        ; implicit-def: $vgpr34_vgpr35
	s_mov_b64 s[42:43], s[26:27]
	s_branch .LBB747_253
.LBB747_256:
	s_or_b64 exec, exec, s[16:17]
	v_cmp_gt_i64_e32 vcc, s[26:27], v[36:37]
	s_orn2_b64 s[14:15], vcc, exec
.LBB747_257:
	s_or_b64 exec, exec, s[4:5]
.LBB747_258:
	v_perm_b32 v34, v30, v30, s44
	s_and_b64 s[14:15], s[14:15], exec
	s_or_b64 s[10:11], s[10:11], exec
                                        ; implicit-def: $vgpr30_vgpr31
.LBB747_259:
	s_or_b64 exec, exec, s[12:13]
	s_branch .LBB747_340
.LBB747_260:
	v_cmp_gt_u32_e32 vcc, s54, v42
	s_mov_b64 s[12:13], 0
	s_mov_b64 s[4:5], 0
	s_and_saveexec_b64 s[14:15], vcc
	s_cbranch_execz .LBB747_271
; %bb.261:
	s_andn2_b64 vcc, exec, s[6:7]
	s_mov_b64 s[16:17], 0
	s_cbranch_vccnz .LBB747_270
; %bb.262:
	v_mul_lo_u32 v32, v17, s26
	v_mul_lo_u32 v33, v16, s27
	s_waitcnt vmcnt(0) lgkmcnt(1)
	v_mad_u64_u32 v[30:31], s[4:5], v16, s26, 0
	v_add3_u32 v31, v31, v33, v32
	v_mul_lo_u32 v32, v29, s26
	v_mul_lo_u32 v33, v28, s27
	v_mad_u64_u32 v[34:35], s[4:5], v28, s26, 0
	v_add3_u32 v35, v35, v33, v32
	v_lshl_add_u64 v[32:33], v[30:31], 1, s[36:37]
	v_lshl_add_u64 v[30:31], v[34:35], 1, s[36:37]
	global_load_ushort v34, v[32:33], off
	global_load_ushort v35, v[30:31], off
	s_mov_b64 s[16:17], -1
	s_waitcnt vmcnt(0)
	v_cmp_eq_u16_e32 vcc, v34, v35
	s_and_saveexec_b64 s[4:5], vcc
	s_cbranch_execz .LBB747_269
; %bb.263:
	s_add_u32 s16, s26, -1
	v_lshl_add_u64 v[30:31], v[30:31], 0, 2
	v_lshl_add_u64 v[32:33], v[32:33], 0, 2
	s_addc_u32 s17, s27, -1
	s_mov_b64 s[40:41], 0
	s_mov_b64 s[44:45], 0
                                        ; implicit-def: $sgpr42_sgpr43
	s_branch .LBB747_266
.LBB747_264:                            ;   in Loop: Header=BB747_266 Depth=1
	global_load_ushort v34, v[32:33], off
	global_load_ushort v35, v[30:31], off
	s_add_u32 s44, s44, 1
	s_addc_u32 s45, s45, 0
	s_andn2_b64 s[42:43], s[42:43], exec
	v_lshl_add_u64 v[30:31], v[30:31], 0, 2
	v_lshl_add_u64 v[32:33], v[32:33], 0, 2
	s_waitcnt vmcnt(0)
	v_cmp_ne_u16_e32 vcc, v34, v35
	s_and_b64 s[46:47], vcc, exec
	s_or_b64 s[42:43], s[42:43], s[46:47]
.LBB747_265:                            ;   in Loop: Header=BB747_266 Depth=1
	s_and_b64 s[46:47], exec, s[42:43]
	s_or_b64 s[40:41], s[46:47], s[40:41]
	v_mov_b64_e32 v[34:35], s[44:45]
	s_andn2_b64 exec, exec, s[40:41]
	s_cbranch_execz .LBB747_268
.LBB747_266:                            ; =>This Inner Loop Header: Depth=1
	s_or_b64 s[42:43], s[42:43], exec
	s_cmp_eq_u64 s[16:17], s[44:45]
	s_cbranch_scc0 .LBB747_264
; %bb.267:                              ;   in Loop: Header=BB747_266 Depth=1
                                        ; implicit-def: $vgpr30_vgpr31
                                        ; implicit-def: $vgpr32_vgpr33
	s_mov_b64 s[44:45], s[26:27]
	s_branch .LBB747_265
.LBB747_268:
	s_or_b64 exec, exec, s[40:41]
	v_cmp_gt_i64_e32 vcc, s[26:27], v[34:35]
	s_orn2_b64 s[16:17], vcc, exec
.LBB747_269:
	s_or_b64 exec, exec, s[4:5]
.LBB747_270:
	s_and_b64 s[4:5], s[16:17], exec
.LBB747_271:
	s_or_b64 exec, exec, s[14:15]
	v_cmp_gt_u32_e32 vcc, s54, v45
	s_and_saveexec_b64 s[14:15], vcc
	s_cbranch_execz .LBB747_282
; %bb.272:
	s_andn2_b64 vcc, exec, s[6:7]
	s_mov_b64 s[16:17], 0
	s_cbranch_vccnz .LBB747_281
; %bb.273:
	v_mul_lo_u32 v32, v15, s26
	v_mul_lo_u32 v33, v14, s27
	s_waitcnt vmcnt(0) lgkmcnt(1)
	v_mad_u64_u32 v[30:31], s[12:13], v14, s26, 0
	v_add3_u32 v31, v31, v33, v32
	v_mul_lo_u32 v32, v17, s26
	v_mul_lo_u32 v33, v16, s27
	v_mad_u64_u32 v[34:35], s[12:13], v16, s26, 0
	v_add3_u32 v35, v35, v33, v32
	v_lshl_add_u64 v[32:33], v[30:31], 1, s[36:37]
	v_lshl_add_u64 v[30:31], v[34:35], 1, s[36:37]
	global_load_ushort v34, v[32:33], off
	global_load_ushort v35, v[30:31], off
	s_mov_b64 s[16:17], -1
	s_waitcnt vmcnt(0)
	v_cmp_eq_u16_e32 vcc, v34, v35
	s_and_saveexec_b64 s[12:13], vcc
	s_cbranch_execz .LBB747_280
; %bb.274:
	s_add_u32 s16, s26, -1
	v_lshl_add_u64 v[30:31], v[30:31], 0, 2
	v_lshl_add_u64 v[32:33], v[32:33], 0, 2
	s_addc_u32 s17, s27, -1
	s_mov_b64 s[40:41], 0
	s_mov_b64 s[44:45], 0
                                        ; implicit-def: $sgpr42_sgpr43
	s_branch .LBB747_277
.LBB747_275:                            ;   in Loop: Header=BB747_277 Depth=1
	global_load_ushort v34, v[32:33], off
	global_load_ushort v35, v[30:31], off
	s_add_u32 s44, s44, 1
	s_addc_u32 s45, s45, 0
	s_andn2_b64 s[42:43], s[42:43], exec
	v_lshl_add_u64 v[30:31], v[30:31], 0, 2
	v_lshl_add_u64 v[32:33], v[32:33], 0, 2
	s_waitcnt vmcnt(0)
	v_cmp_ne_u16_e32 vcc, v34, v35
	s_and_b64 s[46:47], vcc, exec
	s_or_b64 s[42:43], s[42:43], s[46:47]
.LBB747_276:                            ;   in Loop: Header=BB747_277 Depth=1
	s_and_b64 s[46:47], exec, s[42:43]
	s_or_b64 s[40:41], s[46:47], s[40:41]
	v_mov_b64_e32 v[34:35], s[44:45]
	s_andn2_b64 exec, exec, s[40:41]
	s_cbranch_execz .LBB747_279
.LBB747_277:                            ; =>This Inner Loop Header: Depth=1
	s_or_b64 s[42:43], s[42:43], exec
	s_cmp_eq_u64 s[16:17], s[44:45]
	s_cbranch_scc0 .LBB747_275
; %bb.278:                              ;   in Loop: Header=BB747_277 Depth=1
                                        ; implicit-def: $vgpr30_vgpr31
                                        ; implicit-def: $vgpr32_vgpr33
	s_mov_b64 s[44:45], s[26:27]
	s_branch .LBB747_276
.LBB747_279:
	s_or_b64 exec, exec, s[40:41]
	v_cmp_gt_i64_e32 vcc, s[26:27], v[34:35]
	s_orn2_b64 s[16:17], vcc, exec
.LBB747_280:
	s_or_b64 exec, exec, s[12:13]
.LBB747_281:
	s_and_b64 s[12:13], s[16:17], exec
.LBB747_282:
	s_or_b64 exec, exec, s[14:15]
	v_cmp_gt_u32_e32 vcc, s54, v41
	s_mov_b64 s[16:17], 0
	s_mov_b64 s[14:15], 0
	s_and_saveexec_b64 s[40:41], vcc
	s_cbranch_execz .LBB747_293
; %bb.283:
	s_andn2_b64 vcc, exec, s[6:7]
	s_mov_b64 s[42:43], 0
	s_cbranch_vccnz .LBB747_292
; %bb.284:
	v_mul_lo_u32 v32, v21, s26
	v_mul_lo_u32 v33, v20, s27
	s_waitcnt vmcnt(0) lgkmcnt(1)
	v_mad_u64_u32 v[30:31], s[14:15], v20, s26, 0
	v_add3_u32 v31, v31, v33, v32
	v_mul_lo_u32 v32, v15, s26
	v_mul_lo_u32 v33, v14, s27
	v_mad_u64_u32 v[34:35], s[14:15], v14, s26, 0
	v_add3_u32 v35, v35, v33, v32
	v_lshl_add_u64 v[32:33], v[30:31], 1, s[36:37]
	v_lshl_add_u64 v[30:31], v[34:35], 1, s[36:37]
	global_load_ushort v34, v[32:33], off
	global_load_ushort v35, v[30:31], off
	s_mov_b64 s[42:43], -1
	s_waitcnt vmcnt(0)
	v_cmp_eq_u16_e32 vcc, v34, v35
	s_and_saveexec_b64 s[14:15], vcc
	s_cbranch_execz .LBB747_291
; %bb.285:
	s_add_u32 s42, s26, -1
	v_lshl_add_u64 v[30:31], v[30:31], 0, 2
	v_lshl_add_u64 v[32:33], v[32:33], 0, 2
	s_addc_u32 s43, s27, -1
	s_mov_b64 s[44:45], 0
	s_mov_b64 s[48:49], 0
                                        ; implicit-def: $sgpr46_sgpr47
	s_branch .LBB747_288
.LBB747_286:                            ;   in Loop: Header=BB747_288 Depth=1
	global_load_ushort v34, v[32:33], off
	global_load_ushort v35, v[30:31], off
	s_add_u32 s48, s48, 1
	s_addc_u32 s49, s49, 0
	s_andn2_b64 s[46:47], s[46:47], exec
	v_lshl_add_u64 v[30:31], v[30:31], 0, 2
	v_lshl_add_u64 v[32:33], v[32:33], 0, 2
	s_waitcnt vmcnt(0)
	v_cmp_ne_u16_e32 vcc, v34, v35
	s_and_b64 s[50:51], vcc, exec
	s_or_b64 s[46:47], s[46:47], s[50:51]
.LBB747_287:                            ;   in Loop: Header=BB747_288 Depth=1
	s_and_b64 s[50:51], exec, s[46:47]
	s_or_b64 s[44:45], s[50:51], s[44:45]
	v_mov_b64_e32 v[34:35], s[48:49]
	s_andn2_b64 exec, exec, s[44:45]
	s_cbranch_execz .LBB747_290
.LBB747_288:                            ; =>This Inner Loop Header: Depth=1
	s_or_b64 s[46:47], s[46:47], exec
	s_cmp_eq_u64 s[42:43], s[48:49]
	s_cbranch_scc0 .LBB747_286
; %bb.289:                              ;   in Loop: Header=BB747_288 Depth=1
                                        ; implicit-def: $vgpr30_vgpr31
                                        ; implicit-def: $vgpr32_vgpr33
	s_mov_b64 s[48:49], s[26:27]
	s_branch .LBB747_287
.LBB747_290:
	s_or_b64 exec, exec, s[44:45]
	v_cmp_gt_i64_e32 vcc, s[26:27], v[34:35]
	s_orn2_b64 s[42:43], vcc, exec
.LBB747_291:
	s_or_b64 exec, exec, s[14:15]
.LBB747_292:
	s_and_b64 s[14:15], s[42:43], exec
.LBB747_293:
	s_or_b64 exec, exec, s[40:41]
	v_cmp_gt_u32_e32 vcc, s54, v44
	s_and_saveexec_b64 s[40:41], vcc
	s_cbranch_execz .LBB747_304
; %bb.294:
	s_andn2_b64 vcc, exec, s[6:7]
	s_mov_b64 s[42:43], 0
	s_cbranch_vccnz .LBB747_303
; %bb.295:
	v_mul_lo_u32 v32, v19, s26
	v_mul_lo_u32 v33, v18, s27
	s_waitcnt vmcnt(0) lgkmcnt(1)
	v_mad_u64_u32 v[30:31], s[16:17], v18, s26, 0
	v_add3_u32 v31, v31, v33, v32
	v_mul_lo_u32 v32, v21, s26
	v_mul_lo_u32 v33, v20, s27
	v_mad_u64_u32 v[34:35], s[16:17], v20, s26, 0
	v_add3_u32 v35, v35, v33, v32
	v_lshl_add_u64 v[32:33], v[30:31], 1, s[36:37]
	v_lshl_add_u64 v[30:31], v[34:35], 1, s[36:37]
	global_load_ushort v34, v[32:33], off
	global_load_ushort v35, v[30:31], off
	s_mov_b64 s[42:43], -1
	s_waitcnt vmcnt(0)
	v_cmp_eq_u16_e32 vcc, v34, v35
	s_and_saveexec_b64 s[16:17], vcc
	s_cbranch_execz .LBB747_302
; %bb.296:
	s_add_u32 s42, s26, -1
	v_lshl_add_u64 v[30:31], v[30:31], 0, 2
	v_lshl_add_u64 v[32:33], v[32:33], 0, 2
	s_addc_u32 s43, s27, -1
	s_mov_b64 s[44:45], 0
	s_mov_b64 s[48:49], 0
                                        ; implicit-def: $sgpr46_sgpr47
	s_branch .LBB747_299
.LBB747_297:                            ;   in Loop: Header=BB747_299 Depth=1
	global_load_ushort v34, v[32:33], off
	global_load_ushort v35, v[30:31], off
	s_add_u32 s48, s48, 1
	s_addc_u32 s49, s49, 0
	s_andn2_b64 s[46:47], s[46:47], exec
	v_lshl_add_u64 v[30:31], v[30:31], 0, 2
	v_lshl_add_u64 v[32:33], v[32:33], 0, 2
	s_waitcnt vmcnt(0)
	v_cmp_ne_u16_e32 vcc, v34, v35
	s_and_b64 s[50:51], vcc, exec
	s_or_b64 s[46:47], s[46:47], s[50:51]
.LBB747_298:                            ;   in Loop: Header=BB747_299 Depth=1
	s_and_b64 s[50:51], exec, s[46:47]
	s_or_b64 s[44:45], s[50:51], s[44:45]
	v_mov_b64_e32 v[34:35], s[48:49]
	s_andn2_b64 exec, exec, s[44:45]
	s_cbranch_execz .LBB747_301
.LBB747_299:                            ; =>This Inner Loop Header: Depth=1
	s_or_b64 s[46:47], s[46:47], exec
	s_cmp_eq_u64 s[42:43], s[48:49]
	s_cbranch_scc0 .LBB747_297
; %bb.300:                              ;   in Loop: Header=BB747_299 Depth=1
                                        ; implicit-def: $vgpr30_vgpr31
                                        ; implicit-def: $vgpr32_vgpr33
	s_mov_b64 s[48:49], s[26:27]
	s_branch .LBB747_298
.LBB747_301:
	s_or_b64 exec, exec, s[44:45]
	v_cmp_gt_i64_e32 vcc, s[26:27], v[34:35]
	s_orn2_b64 s[42:43], vcc, exec
.LBB747_302:
	s_or_b64 exec, exec, s[16:17]
.LBB747_303:
	s_and_b64 s[16:17], s[42:43], exec
.LBB747_304:
	s_or_b64 exec, exec, s[40:41]
	v_cmp_gt_u32_e32 vcc, s54, v40
	s_mov_b64 s[40:41], 0
	s_mov_b64 s[42:43], 0
	s_and_saveexec_b64 s[44:45], vcc
	s_cbranch_execz .LBB747_315
; %bb.305:
	s_andn2_b64 vcc, exec, s[6:7]
	s_mov_b64 s[46:47], 0
	s_cbranch_vccnz .LBB747_314
; %bb.306:
	v_mul_lo_u32 v32, v25, s26
	v_mul_lo_u32 v33, v24, s27
	s_waitcnt vmcnt(0) lgkmcnt(1)
	v_mad_u64_u32 v[30:31], s[42:43], v24, s26, 0
	v_add3_u32 v31, v31, v33, v32
	v_mul_lo_u32 v32, v19, s26
	v_mul_lo_u32 v33, v18, s27
	v_mad_u64_u32 v[34:35], s[42:43], v18, s26, 0
	v_add3_u32 v35, v35, v33, v32
	v_lshl_add_u64 v[32:33], v[30:31], 1, s[36:37]
	v_lshl_add_u64 v[30:31], v[34:35], 1, s[36:37]
	global_load_ushort v34, v[32:33], off
	global_load_ushort v35, v[30:31], off
	s_mov_b64 s[46:47], -1
	s_waitcnt vmcnt(0)
	v_cmp_eq_u16_e32 vcc, v34, v35
	s_and_saveexec_b64 s[42:43], vcc
	s_cbranch_execz .LBB747_313
; %bb.307:
	s_add_u32 s46, s26, -1
	v_lshl_add_u64 v[30:31], v[30:31], 0, 2
	v_lshl_add_u64 v[32:33], v[32:33], 0, 2
	s_addc_u32 s47, s27, -1
	s_mov_b64 s[48:49], 0
	s_mov_b64 s[52:53], 0
                                        ; implicit-def: $sgpr50_sgpr51
	s_branch .LBB747_310
.LBB747_308:                            ;   in Loop: Header=BB747_310 Depth=1
	global_load_ushort v34, v[32:33], off
	global_load_ushort v35, v[30:31], off
	s_add_u32 s52, s52, 1
	s_addc_u32 s53, s53, 0
	s_andn2_b64 s[50:51], s[50:51], exec
	v_lshl_add_u64 v[30:31], v[30:31], 0, 2
	v_lshl_add_u64 v[32:33], v[32:33], 0, 2
	s_waitcnt vmcnt(0)
	v_cmp_ne_u16_e32 vcc, v34, v35
	s_and_b64 s[56:57], vcc, exec
	s_or_b64 s[50:51], s[50:51], s[56:57]
.LBB747_309:                            ;   in Loop: Header=BB747_310 Depth=1
	s_and_b64 s[56:57], exec, s[50:51]
	s_or_b64 s[48:49], s[56:57], s[48:49]
	v_mov_b64_e32 v[34:35], s[52:53]
	s_andn2_b64 exec, exec, s[48:49]
	s_cbranch_execz .LBB747_312
.LBB747_310:                            ; =>This Inner Loop Header: Depth=1
	s_or_b64 s[50:51], s[50:51], exec
	s_cmp_eq_u64 s[46:47], s[52:53]
	s_cbranch_scc0 .LBB747_308
; %bb.311:                              ;   in Loop: Header=BB747_310 Depth=1
                                        ; implicit-def: $vgpr30_vgpr31
                                        ; implicit-def: $vgpr32_vgpr33
	s_mov_b64 s[52:53], s[26:27]
	s_branch .LBB747_309
.LBB747_312:
	s_or_b64 exec, exec, s[48:49]
	v_cmp_gt_i64_e32 vcc, s[26:27], v[34:35]
	s_orn2_b64 s[46:47], vcc, exec
.LBB747_313:
	s_or_b64 exec, exec, s[42:43]
.LBB747_314:
	s_and_b64 s[42:43], s[46:47], exec
.LBB747_315:
	s_or_b64 exec, exec, s[44:45]
	v_cmp_gt_u32_e32 vcc, s54, v43
	s_and_saveexec_b64 s[44:45], vcc
	s_cbranch_execz .LBB747_326
; %bb.316:
	s_andn2_b64 vcc, exec, s[6:7]
	s_mov_b64 s[46:47], 0
	s_cbranch_vccnz .LBB747_325
; %bb.317:
	v_mul_lo_u32 v32, v23, s26
	v_mul_lo_u32 v33, v22, s27
	s_waitcnt vmcnt(0) lgkmcnt(1)
	v_mad_u64_u32 v[30:31], s[40:41], v22, s26, 0
	v_add3_u32 v31, v31, v33, v32
	v_mul_lo_u32 v32, v25, s26
	v_mul_lo_u32 v33, v24, s27
	v_mad_u64_u32 v[34:35], s[40:41], v24, s26, 0
	v_add3_u32 v35, v35, v33, v32
	v_lshl_add_u64 v[32:33], v[30:31], 1, s[36:37]
	v_lshl_add_u64 v[30:31], v[34:35], 1, s[36:37]
	global_load_ushort v34, v[32:33], off
	global_load_ushort v35, v[30:31], off
	s_mov_b64 s[46:47], -1
	s_waitcnt vmcnt(0)
	v_cmp_eq_u16_e32 vcc, v34, v35
	s_and_saveexec_b64 s[40:41], vcc
	s_cbranch_execz .LBB747_324
; %bb.318:
	s_add_u32 s46, s26, -1
	v_lshl_add_u64 v[30:31], v[30:31], 0, 2
	v_lshl_add_u64 v[32:33], v[32:33], 0, 2
	s_addc_u32 s47, s27, -1
	s_mov_b64 s[48:49], 0
	s_mov_b64 s[52:53], 0
                                        ; implicit-def: $sgpr50_sgpr51
	s_branch .LBB747_321
.LBB747_319:                            ;   in Loop: Header=BB747_321 Depth=1
	global_load_ushort v34, v[32:33], off
	global_load_ushort v35, v[30:31], off
	s_add_u32 s52, s52, 1
	s_addc_u32 s53, s53, 0
	s_andn2_b64 s[50:51], s[50:51], exec
	v_lshl_add_u64 v[30:31], v[30:31], 0, 2
	v_lshl_add_u64 v[32:33], v[32:33], 0, 2
	s_waitcnt vmcnt(0)
	v_cmp_ne_u16_e32 vcc, v34, v35
	s_and_b64 s[56:57], vcc, exec
	s_or_b64 s[50:51], s[50:51], s[56:57]
.LBB747_320:                            ;   in Loop: Header=BB747_321 Depth=1
	s_and_b64 s[56:57], exec, s[50:51]
	s_or_b64 s[48:49], s[56:57], s[48:49]
	v_mov_b64_e32 v[34:35], s[52:53]
	s_andn2_b64 exec, exec, s[48:49]
	s_cbranch_execz .LBB747_323
.LBB747_321:                            ; =>This Inner Loop Header: Depth=1
	s_or_b64 s[50:51], s[50:51], exec
	s_cmp_eq_u64 s[46:47], s[52:53]
	s_cbranch_scc0 .LBB747_319
; %bb.322:                              ;   in Loop: Header=BB747_321 Depth=1
                                        ; implicit-def: $vgpr30_vgpr31
                                        ; implicit-def: $vgpr32_vgpr33
	s_mov_b64 s[52:53], s[26:27]
	s_branch .LBB747_320
.LBB747_323:
	s_or_b64 exec, exec, s[48:49]
	v_cmp_gt_i64_e32 vcc, s[26:27], v[34:35]
	s_orn2_b64 s[46:47], vcc, exec
.LBB747_324:
	s_or_b64 exec, exec, s[40:41]
.LBB747_325:
	s_and_b64 s[40:41], s[46:47], exec
.LBB747_326:
	s_or_b64 exec, exec, s[44:45]
	s_waitcnt vmcnt(0) lgkmcnt(1)
	v_cndmask_b32_e64 v31, 0, 1, s[16:17]
	v_cndmask_b32_e64 v30, 0, 1, s[42:43]
	;; [unrolled: 1-line block ×3, first 2 shown]
	v_lshlrev_b16_e32 v31, 8, v31
	v_cndmask_b32_e64 v39, 0, 1, s[14:15]
	v_cndmask_b32_e64 v32, 0, 1, s[40:41]
	v_or_b32_sdwa v30, v30, v31 dst_sel:WORD_1 dst_unused:UNUSED_PAD src0_sel:DWORD src1_sel:DWORD
	v_lshlrev_b16_e32 v31, 8, v48
	v_lshlrev_b16_e32 v32, 8, v32
	v_or_b32_e32 v31, v39, v31
	v_or_b32_e32 v32, 1, v32
	v_and_b32_e32 v31, 0xffff, v31
	v_cndmask_b32_e64 v49, 0, 1, s[4:5]
	v_or_b32_sdwa v30, v32, v30 dst_sel:DWORD dst_unused:UNUSED_PAD src0_sel:WORD_0 src1_sel:DWORD
	v_lshl_or_b32 v31, v49, 16, v31
	s_waitcnt lgkmcnt(0)
	s_barrier
	s_waitcnt lgkmcnt(0)
                                        ; implicit-def: $sgpr14_sgpr15
                                        ; implicit-def: $vgpr34
	s_and_saveexec_b64 s[4:5], s[2:3]
	s_cbranch_execz .LBB747_339
; %bb.327:
	v_cmp_gt_u32_e32 vcc, s54, v1
	s_mov_b32 s40, 0x3020104
	s_mov_b64 s[12:13], 0
	s_and_saveexec_b64 s[2:3], vcc
	s_cbranch_execz .LBB747_338
; %bb.328:
	s_andn2_b64 vcc, exec, s[6:7]
	s_cbranch_vccnz .LBB747_337
; %bb.329:
	v_add_u32_e32 v31, -8, v38
	ds_read_b64 v[32:33], v31
	v_mul_lo_u32 v31, v23, s26
	v_mad_u64_u32 v[36:37], s[6:7], v22, s26, 0
	s_mov_b64 s[12:13], -1
	s_waitcnt lgkmcnt(0)
	v_mul_lo_u32 v34, v33, s26
	v_mul_lo_u32 v35, v32, s27
	v_mad_u64_u32 v[32:33], s[6:7], v32, s26, 0
	v_add3_u32 v33, v33, v35, v34
	v_mul_lo_u32 v34, v22, s27
	v_add3_u32 v37, v37, v34, v31
	v_lshl_add_u64 v[34:35], v[32:33], 1, s[36:37]
	v_lshl_add_u64 v[32:33], v[36:37], 1, s[36:37]
	global_load_ushort v31, v[34:35], off
	global_load_ushort v36, v[32:33], off
	s_waitcnt vmcnt(0)
	v_cmp_eq_u16_e32 vcc, v31, v36
	s_and_saveexec_b64 s[6:7], vcc
	s_cbranch_execz .LBB747_336
; %bb.330:
	s_add_u32 s12, s26, -1
	v_lshl_add_u64 v[32:33], v[32:33], 0, 2
	v_lshl_add_u64 v[34:35], v[34:35], 0, 2
	s_addc_u32 s13, s27, -1
	s_mov_b64 s[14:15], 0
	s_mov_b64 s[36:37], 0
                                        ; implicit-def: $sgpr16_sgpr17
	s_branch .LBB747_333
.LBB747_331:                            ;   in Loop: Header=BB747_333 Depth=1
	global_load_ushort v31, v[34:35], off
	global_load_ushort v36, v[32:33], off
	s_add_u32 s36, s36, 1
	s_addc_u32 s37, s37, 0
	s_andn2_b64 s[16:17], s[16:17], exec
	v_lshl_add_u64 v[32:33], v[32:33], 0, 2
	v_lshl_add_u64 v[34:35], v[34:35], 0, 2
	s_waitcnt vmcnt(0)
	v_cmp_ne_u16_e32 vcc, v31, v36
	s_and_b64 s[42:43], vcc, exec
	s_or_b64 s[16:17], s[16:17], s[42:43]
.LBB747_332:                            ;   in Loop: Header=BB747_333 Depth=1
	s_and_b64 s[42:43], exec, s[16:17]
	s_or_b64 s[14:15], s[42:43], s[14:15]
	v_mov_b64_e32 v[36:37], s[36:37]
	s_andn2_b64 exec, exec, s[14:15]
	s_cbranch_execz .LBB747_335
.LBB747_333:                            ; =>This Inner Loop Header: Depth=1
	s_or_b64 s[16:17], s[16:17], exec
	s_cmp_eq_u64 s[12:13], s[36:37]
	s_cbranch_scc0 .LBB747_331
; %bb.334:                              ;   in Loop: Header=BB747_333 Depth=1
                                        ; implicit-def: $vgpr32_vgpr33
                                        ; implicit-def: $vgpr34_vgpr35
	s_mov_b64 s[36:37], s[26:27]
	s_branch .LBB747_332
.LBB747_335:
	s_or_b64 exec, exec, s[14:15]
	v_cmp_gt_i64_e32 vcc, s[26:27], v[36:37]
	s_orn2_b64 s[12:13], vcc, exec
.LBB747_336:
	s_or_b64 exec, exec, s[6:7]
.LBB747_337:
	s_and_b64 s[12:13], s[12:13], exec
.LBB747_338:
	s_or_b64 exec, exec, s[2:3]
	v_perm_b32 v34, v30, v30, s40
	s_and_b64 s[14:15], s[12:13], exec
	s_or_b64 s[10:11], s[10:11], exec
                                        ; implicit-def: $vgpr30_vgpr31
.LBB747_339:
	s_or_b64 exec, exec, s[4:5]
.LBB747_340:
	s_and_saveexec_b64 s[2:3], s[10:11]
	s_cbranch_execz .LBB747_342
; %bb.341:
	s_waitcnt vmcnt(0) lgkmcnt(0)
	v_lshlrev_b16_e32 v31, 8, v48
	v_and_b32_e32 v32, 0xff, v49
	v_or_b32_sdwa v31, v39, v31 dst_sel:DWORD dst_unused:UNUSED_PAD src0_sel:BYTE_0 src1_sel:DWORD
	v_lshlrev_b32_e32 v32, 16, v32
	s_movk_i32 s4, 0xff
	v_or_b32_sdwa v31, v31, v32 dst_sel:DWORD dst_unused:UNUSED_PAD src0_sel:WORD_0 src1_sel:DWORD
	v_lshrrev_b32_e32 v32, 24, v34
	v_lshlrev_b16_e32 v32, 8, v32
	v_and_b32_sdwa v33, v34, s4 dst_sel:DWORD dst_unused:UNUSED_PAD src0_sel:WORD_1 src1_sel:DWORD
	v_or_b32_sdwa v32, v33, v32 dst_sel:WORD_1 dst_unused:UNUSED_PAD src0_sel:DWORD src1_sel:DWORD
	v_mov_b32_e32 v33, 8
	v_cndmask_b32_e64 v30, 0, 1, s[14:15]
	v_lshrrev_b32_sdwa v33, v33, v34 dst_sel:BYTE_1 dst_unused:UNUSED_PAD src0_sel:DWORD src1_sel:DWORD
	s_nop 0
	v_or_b32_e32 v30, v30, v33
	v_or_b32_sdwa v30, v30, v32 dst_sel:DWORD dst_unused:UNUSED_PAD src0_sel:WORD_0 src1_sel:DWORD
.LBB747_342:
	s_or_b64 exec, exec, s[2:3]
	s_andn2_b64 vcc, exec, s[8:9]
	s_cbranch_vccnz .LBB747_344
; %bb.343:
	s_waitcnt vmcnt(0) lgkmcnt(0)
	v_and_b32_e32 v32, 0xffff0000, v30
	v_cmp_gt_u32_e32 vcc, s54, v1
	s_mov_b32 s2, 0x40c0100
	s_nop 0
	v_cndmask_b32_e32 v1, v32, v30, vcc
	v_and_b32_e32 v1, 0xffff00ff, v1
	v_cmp_gt_u32_e32 vcc, s54, v43
	s_nop 1
	v_cndmask_b32_e32 v1, v1, v30, vcc
	v_lshrrev_b32_e32 v32, 24, v1
	v_perm_b32 v1, v32, v1, s2
	v_cmp_gt_u32_e32 vcc, s54, v40
	v_and_b32_e32 v32, 0xffffff00, v31
	s_nop 0
	v_cndmask_b32_e32 v1, v1, v30, vcc
	v_and_b32_e32 v1, 0xffffff, v1
	v_cmp_gt_u32_e32 vcc, s54, v44
	s_nop 1
	v_cndmask_b32_e32 v1, v1, v30, vcc
	v_cmp_gt_u32_e32 vcc, s54, v41
	s_nop 1
	v_cndmask_b32_e32 v32, v32, v31, vcc
	v_and_b32_e32 v32, 0xffff00ff, v32
	v_cndmask_b32_e32 v1, v1, v30, vcc
	v_cmp_gt_u32_e32 vcc, s54, v45
	s_nop 1
	v_cndmask_b32_e32 v32, v32, v31, vcc
	v_lshrrev_b32_e32 v33, 24, v32
	v_cndmask_b32_e32 v1, v1, v30, vcc
	v_perm_b32 v32, v33, v32, s2
	v_cmp_gt_u32_e32 vcc, s54, v42
	s_mov_b32 s2, 0x3020104
	s_nop 0
	v_cndmask_b32_e32 v1, v1, v30, vcc
	v_cndmask_b32_e32 v30, v32, v31, vcc
	v_mov_b32_e32 v31, 8
	v_lshrrev_b32_sdwa v31, v31, v30 dst_sel:BYTE_1 dst_unused:UNUSED_PAD src0_sel:DWORD src1_sel:DWORD
	s_nop 0
	v_or_b32_sdwa v31, v30, v31 dst_sel:DWORD dst_unused:UNUSED_PAD src0_sel:BYTE_0 src1_sel:DWORD
	v_and_b32_e32 v31, 0xffff, v31
	v_bfe_u32 v30, v30, 16, 8
	v_lshl_or_b32 v31, v30, 16, v31
	v_perm_b32 v30, v1, v1, s2
.LBB747_344:
	s_waitcnt vmcnt(0) lgkmcnt(0)
	v_and_b32_e32 v1, 0xff, v30
	v_bfe_u32 v43, v30, 8, 8
	v_bfe_u32 v45, v30, 16, 8
	v_alignbit_b32 v32, v31, v30, 24
	v_and_b32_e32 v47, 0xff, v32
	v_and_b32_e32 v48, 0xff, v31
	v_add3_u32 v33, v43, v1, v45
	v_bfe_u32 v49, v31, 8, 8
	v_bfe_u32 v32, v31, 16, 8
	v_add3_u32 v33, v33, v47, v48
	v_add3_u32 v52, v33, v49, v32
	v_mbcnt_lo_u32_b32 v32, -1, 0
	v_mbcnt_hi_u32_b32 v50, -1, v32
	v_and_b32_e32 v32, 15, v50
	v_cmp_eq_u32_e64 s[14:15], 0, v32
	v_cmp_lt_u32_e64 s[12:13], 1, v32
	v_cmp_lt_u32_e64 s[10:11], 3, v32
	;; [unrolled: 1-line block ×3, first 2 shown]
	v_and_b32_e32 v32, 16, v50
	v_cmp_eq_u32_e64 s[6:7], 0, v32
	v_or_b32_e32 v32, 63, v0
	v_cmp_lt_u32_e64 s[2:3], 31, v50
	v_lshrrev_b32_e32 v51, 6, v0
	v_cmp_eq_u32_e64 s[4:5], v32, v0
	s_and_b64 vcc, exec, s[0:1]
	s_barrier
	s_cbranch_vccz .LBB747_371
; %bb.345:
	v_mov_b32_dpp v32, v52 row_shr:1 row_mask:0xf bank_mask:0xf
	v_cndmask_b32_e64 v32, v32, 0, s[14:15]
	v_add_u32_e32 v32, v32, v52
	s_nop 1
	v_mov_b32_dpp v33, v32 row_shr:2 row_mask:0xf bank_mask:0xf
	v_cndmask_b32_e64 v33, 0, v33, s[12:13]
	v_add_u32_e32 v32, v32, v33
	s_nop 1
	v_mov_b32_dpp v33, v32 row_shr:4 row_mask:0xf bank_mask:0xf
	v_cndmask_b32_e64 v33, 0, v33, s[10:11]
	v_add_u32_e32 v32, v32, v33
	s_nop 1
	v_mov_b32_dpp v33, v32 row_shr:8 row_mask:0xf bank_mask:0xf
	v_cndmask_b32_e64 v33, 0, v33, s[8:9]
	v_add_u32_e32 v32, v32, v33
	s_nop 1
	v_mov_b32_dpp v33, v32 row_bcast:15 row_mask:0xf bank_mask:0xf
	v_cndmask_b32_e64 v33, v33, 0, s[6:7]
	v_add_u32_e32 v32, v32, v33
	s_nop 1
	v_mov_b32_dpp v33, v32 row_bcast:31 row_mask:0xf bank_mask:0xf
	v_cndmask_b32_e64 v33, 0, v33, s[2:3]
	v_add_u32_e32 v32, v32, v33
	s_and_saveexec_b64 s[0:1], s[4:5]
	s_cbranch_execz .LBB747_347
; %bb.346:
	v_lshlrev_b32_e32 v33, 2, v51
	ds_write_b32 v33, v32
.LBB747_347:
	s_or_b64 exec, exec, s[0:1]
	v_cmp_gt_u32_e32 vcc, 8, v0
	s_waitcnt lgkmcnt(0)
	s_barrier
	s_and_saveexec_b64 s[0:1], vcc
	s_cbranch_execz .LBB747_349
; %bb.348:
	v_lshlrev_b32_e32 v33, 2, v0
	ds_read_b32 v34, v33
	v_and_b32_e32 v35, 7, v50
	v_cmp_ne_u32_e32 vcc, 0, v35
	s_waitcnt lgkmcnt(0)
	v_mov_b32_dpp v36, v34 row_shr:1 row_mask:0xf bank_mask:0xf
	v_cndmask_b32_e32 v36, 0, v36, vcc
	v_add_u32_e32 v34, v36, v34
	v_cmp_lt_u32_e32 vcc, 1, v35
	s_nop 0
	v_mov_b32_dpp v36, v34 row_shr:2 row_mask:0xf bank_mask:0xf
	v_cndmask_b32_e32 v36, 0, v36, vcc
	v_add_u32_e32 v34, v34, v36
	v_cmp_lt_u32_e32 vcc, 3, v35
	s_nop 0
	v_mov_b32_dpp v36, v34 row_shr:4 row_mask:0xf bank_mask:0xf
	v_cndmask_b32_e32 v35, 0, v36, vcc
	v_add_u32_e32 v34, v34, v35
	ds_write_b32 v33, v34
.LBB747_349:
	s_or_b64 exec, exec, s[0:1]
	v_cmp_gt_u32_e32 vcc, 64, v0
	v_cmp_lt_u32_e64 s[0:1], 63, v0
	s_waitcnt lgkmcnt(0)
	s_barrier
	s_waitcnt lgkmcnt(0)
                                        ; implicit-def: $vgpr42
	s_and_saveexec_b64 s[16:17], s[0:1]
	s_cbranch_execz .LBB747_351
; %bb.350:
	v_lshl_add_u32 v33, v51, 2, -4
	ds_read_b32 v42, v33
	s_waitcnt lgkmcnt(0)
	v_add_u32_e32 v32, v42, v32
.LBB747_351:
	s_or_b64 exec, exec, s[16:17]
	v_add_u32_e32 v33, -1, v50
	v_and_b32_e32 v34, 64, v50
	v_cmp_lt_i32_e64 s[0:1], v33, v34
	v_cmp_eq_u32_e64 s[16:17], 0, v50
	s_nop 0
	v_cndmask_b32_e64 v33, v33, v50, s[0:1]
	v_lshlrev_b32_e32 v33, 2, v33
	ds_bpermute_b32 v44, v33, v32
	s_and_saveexec_b64 s[0:1], vcc
	s_cbranch_execz .LBB747_370
; %bb.352:
	v_mov_b32_e32 v39, 0
	ds_read_b32 v32, v39 offset:28
	s_and_saveexec_b64 s[26:27], s[16:17]
	s_cbranch_execz .LBB747_354
; %bb.353:
	s_add_i32 s36, s33, 64
	s_mov_b32 s37, 0
	s_lshl_b64 s[36:37], s[36:37], 3
	s_add_u32 s36, s38, s36
	v_mov_b32_e32 v33, 1
	s_addc_u32 s37, s39, s37
	s_waitcnt lgkmcnt(0)
	global_store_dwordx2 v39, v[32:33], s[36:37] sc1
.LBB747_354:
	s_or_b64 exec, exec, s[26:27]
	v_xad_u32 v34, v50, -1, s33
	v_add_u32_e32 v38, 64, v34
	v_lshl_add_u64 v[40:41], v[38:39], 3, s[38:39]
	global_load_dwordx2 v[36:37], v[40:41], off sc1
	s_waitcnt vmcnt(0)
	v_cmp_eq_u16_sdwa s[36:37], v37, v39 src0_sel:BYTE_0 src1_sel:DWORD
	s_and_saveexec_b64 s[26:27], s[36:37]
	s_cbranch_execz .LBB747_358
; %bb.355:
	s_mov_b64 s[36:37], 0
	v_mov_b32_e32 v33, 0
.LBB747_356:                            ; =>This Inner Loop Header: Depth=1
	global_load_dwordx2 v[36:37], v[40:41], off sc1
	s_waitcnt vmcnt(0)
	v_cmp_ne_u16_sdwa s[40:41], v37, v33 src0_sel:BYTE_0 src1_sel:DWORD
	s_or_b64 s[36:37], s[40:41], s[36:37]
	s_andn2_b64 exec, exec, s[36:37]
	s_cbranch_execnz .LBB747_356
; %bb.357:
	s_or_b64 exec, exec, s[36:37]
.LBB747_358:
	s_or_b64 exec, exec, s[26:27]
	v_and_b32_e32 v46, 63, v50
	v_mov_b32_e32 v33, 2
	v_cmp_ne_u32_e32 vcc, 63, v46
	v_cmp_eq_u16_sdwa s[26:27], v37, v33 src0_sel:BYTE_0 src1_sel:DWORD
	v_lshlrev_b64 v[38:39], v50, -1
	v_addc_co_u32_e32 v41, vcc, 0, v50, vcc
	v_and_b32_e32 v35, s27, v39
	v_lshlrev_b32_e32 v53, 2, v41
	v_or_b32_e32 v35, 0x80000000, v35
	ds_bpermute_b32 v41, v53, v36
	v_and_b32_e32 v40, s26, v38
	v_ffbl_b32_e32 v35, v35
	v_add_u32_e32 v35, 32, v35
	v_ffbl_b32_e32 v40, v40
	v_min_u32_e32 v35, v40, v35
	v_cmp_lt_u32_e32 vcc, v46, v35
	v_add_u32_e32 v55, 2, v46
	v_add_u32_e32 v57, 4, v46
	s_waitcnt lgkmcnt(0)
	v_cndmask_b32_e32 v40, 0, v41, vcc
	v_cmp_gt_u32_e32 vcc, 62, v46
	v_add_u32_e32 v36, v40, v36
	v_add_u32_e32 v59, 8, v46
	v_cndmask_b32_e64 v40, 0, 1, vcc
	v_lshlrev_b32_e32 v40, 1, v40
	v_add_lshl_u32 v54, v40, v50, 2
	ds_bpermute_b32 v40, v54, v36
	v_cmp_le_u32_e32 vcc, v55, v35
	v_add_u32_e32 v62, 16, v46
	v_add_u32_e32 v64, 32, v46
	s_waitcnt lgkmcnt(0)
	v_cndmask_b32_e32 v40, 0, v40, vcc
	v_cmp_gt_u32_e32 vcc, 60, v46
	v_add_u32_e32 v36, v36, v40
	s_nop 0
	v_cndmask_b32_e64 v40, 0, 1, vcc
	v_lshlrev_b32_e32 v40, 2, v40
	v_add_lshl_u32 v56, v40, v50, 2
	ds_bpermute_b32 v40, v56, v36
	v_cmp_le_u32_e32 vcc, v57, v35
	s_waitcnt lgkmcnt(0)
	s_nop 0
	v_cndmask_b32_e32 v40, 0, v40, vcc
	v_cmp_gt_u32_e32 vcc, 56, v46
	v_add_u32_e32 v36, v36, v40
	s_nop 0
	v_cndmask_b32_e64 v40, 0, 1, vcc
	v_lshlrev_b32_e32 v40, 3, v40
	v_add_lshl_u32 v58, v40, v50, 2
	ds_bpermute_b32 v40, v58, v36
	v_cmp_le_u32_e32 vcc, v59, v35
	s_waitcnt lgkmcnt(0)
	s_nop 0
	;; [unrolled: 11-line block ×4, first 2 shown]
	v_cndmask_b32_e32 v35, 0, v40, vcc
	v_add_u32_e32 v36, v36, v35
	v_mov_b32_e32 v35, 0
	s_branch .LBB747_360
.LBB747_359:                            ;   in Loop: Header=BB747_360 Depth=1
	s_or_b64 exec, exec, s[26:27]
	v_cmp_eq_u16_sdwa s[26:27], v37, v33 src0_sel:BYTE_0 src1_sel:DWORD
	ds_bpermute_b32 v65, v53, v36
	v_subrev_u32_e32 v34, 64, v34
	v_and_b32_e32 v40, s27, v39
	v_or_b32_e32 v40, 0x80000000, v40
	v_and_b32_e32 v41, s26, v38
	v_ffbl_b32_e32 v40, v40
	v_add_u32_e32 v40, 32, v40
	v_ffbl_b32_e32 v41, v41
	v_min_u32_e32 v40, v41, v40
	v_cmp_lt_u32_e32 vcc, v46, v40
	s_waitcnt lgkmcnt(0)
	s_nop 0
	v_cndmask_b32_e32 v41, 0, v65, vcc
	v_add_u32_e32 v36, v41, v36
	ds_bpermute_b32 v41, v54, v36
	v_cmp_le_u32_e32 vcc, v55, v40
	s_waitcnt lgkmcnt(0)
	s_nop 0
	v_cndmask_b32_e32 v41, 0, v41, vcc
	v_add_u32_e32 v36, v36, v41
	ds_bpermute_b32 v41, v56, v36
	v_cmp_le_u32_e32 vcc, v57, v40
	;; [unrolled: 6-line block ×5, first 2 shown]
	s_waitcnt lgkmcnt(0)
	s_nop 0
	v_cndmask_b32_e32 v40, 0, v41, vcc
	v_add3_u32 v36, v40, v60, v36
.LBB747_360:                            ; =>This Loop Header: Depth=1
                                        ;     Child Loop BB747_363 Depth 2
	v_cmp_ne_u16_sdwa s[26:27], v37, v33 src0_sel:BYTE_0 src1_sel:DWORD
	v_mov_b32_e32 v60, v36
	s_nop 0
	v_cndmask_b32_e64 v37, 0, 1, s[26:27]
	;;#ASMSTART
	;;#ASMEND
	s_nop 0
	v_cmp_ne_u32_e32 vcc, 0, v37
	s_cmp_lg_u64 vcc, exec
	s_cbranch_scc1 .LBB747_365
; %bb.361:                              ;   in Loop: Header=BB747_360 Depth=1
	v_lshl_add_u64 v[40:41], v[34:35], 3, s[38:39]
	global_load_dwordx2 v[36:37], v[40:41], off sc1
	s_waitcnt vmcnt(0)
	v_cmp_eq_u16_sdwa s[36:37], v37, v35 src0_sel:BYTE_0 src1_sel:DWORD
	s_and_saveexec_b64 s[26:27], s[36:37]
	s_cbranch_execz .LBB747_359
; %bb.362:                              ;   in Loop: Header=BB747_360 Depth=1
	s_mov_b64 s[36:37], 0
.LBB747_363:                            ;   Parent Loop BB747_360 Depth=1
                                        ; =>  This Inner Loop Header: Depth=2
	global_load_dwordx2 v[36:37], v[40:41], off sc1
	s_waitcnt vmcnt(0)
	v_cmp_ne_u16_sdwa s[40:41], v37, v35 src0_sel:BYTE_0 src1_sel:DWORD
	s_or_b64 s[36:37], s[40:41], s[36:37]
	s_andn2_b64 exec, exec, s[36:37]
	s_cbranch_execnz .LBB747_363
; %bb.364:                              ;   in Loop: Header=BB747_360 Depth=1
	s_or_b64 exec, exec, s[36:37]
	s_branch .LBB747_359
.LBB747_365:                            ;   in Loop: Header=BB747_360 Depth=1
                                        ; implicit-def: $vgpr36
                                        ; implicit-def: $vgpr37
	s_cbranch_execz .LBB747_360
; %bb.366:
	s_and_saveexec_b64 s[26:27], s[16:17]
	s_cbranch_execz .LBB747_368
; %bb.367:
	s_add_i32 s36, s33, 64
	s_mov_b32 s37, 0
	s_lshl_b64 s[36:37], s[36:37], 3
	s_add_u32 s36, s38, s36
	v_add_u32_e32 v34, v60, v32
	v_mov_b32_e32 v35, 2
	s_addc_u32 s37, s39, s37
	v_mov_b32_e32 v33, 0
	s_movk_i32 s33, 0x7000
	global_store_dwordx2 v33, v[34:35], s[36:37] sc1
	v_add_u32_e64 v33, s33, 0
	ds_write2_b32 v33, v32, v60 offset1:2
.LBB747_368:
	s_or_b64 exec, exec, s[26:27]
	s_and_b64 exec, exec, s[18:19]
	s_cbranch_execz .LBB747_370
; %bb.369:
	v_mov_b32_e32 v32, 0
	ds_write_b32 v32, v60 offset:28
.LBB747_370:
	s_or_b64 exec, exec, s[0:1]
	v_mov_b32_e32 v32, 0
	s_waitcnt lgkmcnt(0)
	s_barrier
	ds_read_b32 v32, v32 offset:28
	v_cndmask_b32_e64 v33, v44, v42, s[16:17]
	v_cndmask_b32_e64 v33, v33, 0, s[18:19]
	s_movk_i32 s0, 0x7000
	s_waitcnt lgkmcnt(0)
	v_add_u32_e32 v46, v32, v33
	v_add_u32_e64 v32, s0, 0
	v_add_u32_e32 v44, v46, v1
	s_barrier
	ds_read2_b32 v[32:33], v32 offset1:2
	v_add_u32_e32 v42, v44, v43
	v_add_u32_e32 v40, v42, v45
	;; [unrolled: 1-line block ×5, first 2 shown]
	s_waitcnt lgkmcnt(0)
	v_readfirstlane_b32 s26, v32
	v_readfirstlane_b32 s16, v33
	v_lshrrev_b64 v[32:33], 24, v[30:31]
	s_branch .LBB747_381
.LBB747_371:
                                        ; implicit-def: $vgpr34
                                        ; implicit-def: $vgpr36
                                        ; implicit-def: $vgpr38
                                        ; implicit-def: $vgpr40
                                        ; implicit-def: $vgpr42
                                        ; implicit-def: $vgpr44
                                        ; implicit-def: $vgpr46
                                        ; implicit-def: $sgpr16
                                        ; implicit-def: $sgpr26
	v_lshrrev_b64 v[32:33], 24, v[30:31]
	s_cbranch_execz .LBB747_381
; %bb.372:
	s_nop 0
	v_mov_b32_dpp v33, v52 row_shr:1 row_mask:0xf bank_mask:0xf
	v_cndmask_b32_e64 v33, v33, 0, s[14:15]
	v_add_u32_e32 v33, v33, v52
	s_nop 1
	v_mov_b32_dpp v34, v33 row_shr:2 row_mask:0xf bank_mask:0xf
	v_cndmask_b32_e64 v34, 0, v34, s[12:13]
	v_add_u32_e32 v33, v33, v34
	;; [unrolled: 4-line block ×4, first 2 shown]
	s_nop 1
	v_mov_b32_dpp v34, v33 row_bcast:15 row_mask:0xf bank_mask:0xf
	v_cndmask_b32_e64 v34, v34, 0, s[6:7]
	v_add_u32_e32 v33, v33, v34
	s_nop 1
	v_mov_b32_dpp v34, v33 row_bcast:31 row_mask:0xf bank_mask:0xf
	v_cndmask_b32_e64 v34, 0, v34, s[2:3]
	v_add_u32_e32 v33, v33, v34
	s_and_saveexec_b64 s[0:1], s[4:5]
	s_cbranch_execz .LBB747_374
; %bb.373:
	v_lshlrev_b32_e32 v34, 2, v51
	ds_write_b32 v34, v33
.LBB747_374:
	s_or_b64 exec, exec, s[0:1]
	v_cmp_gt_u32_e32 vcc, 8, v0
	s_waitcnt lgkmcnt(0)
	s_barrier
	s_and_saveexec_b64 s[0:1], vcc
	s_cbranch_execz .LBB747_376
; %bb.375:
	v_lshlrev_b32_e32 v34, 2, v0
	ds_read_b32 v35, v34
	v_and_b32_e32 v36, 7, v50
	v_cmp_ne_u32_e32 vcc, 0, v36
	s_waitcnt lgkmcnt(0)
	v_mov_b32_dpp v37, v35 row_shr:1 row_mask:0xf bank_mask:0xf
	v_cndmask_b32_e32 v37, 0, v37, vcc
	v_add_u32_e32 v35, v37, v35
	v_cmp_lt_u32_e32 vcc, 1, v36
	s_nop 0
	v_mov_b32_dpp v37, v35 row_shr:2 row_mask:0xf bank_mask:0xf
	v_cndmask_b32_e32 v37, 0, v37, vcc
	v_add_u32_e32 v35, v35, v37
	v_cmp_lt_u32_e32 vcc, 3, v36
	s_nop 0
	v_mov_b32_dpp v37, v35 row_shr:4 row_mask:0xf bank_mask:0xf
	v_cndmask_b32_e32 v36, 0, v37, vcc
	v_add_u32_e32 v35, v35, v36
	ds_write_b32 v34, v35
.LBB747_376:
	s_or_b64 exec, exec, s[0:1]
	v_cmp_lt_u32_e32 vcc, 63, v0
	v_mov_b32_e32 v35, 0
	v_mov_b32_e32 v34, 0
	s_waitcnt lgkmcnt(0)
	s_barrier
	s_and_saveexec_b64 s[0:1], vcc
	s_cbranch_execz .LBB747_378
; %bb.377:
	v_lshl_add_u32 v34, v51, 2, -4
	ds_read_b32 v34, v34
.LBB747_378:
	s_or_b64 exec, exec, s[0:1]
	v_add_u32_e32 v36, -1, v50
	v_and_b32_e32 v37, 64, v50
	v_cmp_lt_i32_e32 vcc, v36, v37
	s_waitcnt lgkmcnt(0)
	v_add_u32_e32 v33, v34, v33
	ds_read_b32 v35, v35 offset:28
	v_cndmask_b32_e32 v36, v36, v50, vcc
	v_lshlrev_b32_e32 v36, 2, v36
	ds_bpermute_b32 v33, v36, v33
	s_waitcnt lgkmcnt(1)
	v_readfirstlane_b32 s26, v35
	s_and_saveexec_b64 s[0:1], s[18:19]
	s_cbranch_execz .LBB747_380
; %bb.379:
	v_mov_b32_e32 v35, 0
	v_mov_b32_e32 v36, s26
	;; [unrolled: 1-line block ×3, first 2 shown]
	global_store_dwordx2 v35, v[36:37], s[38:39] offset:512 sc1
.LBB747_380:
	s_or_b64 exec, exec, s[0:1]
	v_cmp_eq_u32_e32 vcc, 0, v50
	s_mov_b32 s16, 0
	s_waitcnt lgkmcnt(0)
	v_cndmask_b32_e32 v33, v33, v34, vcc
	v_cndmask_b32_e64 v46, v33, 0, s[18:19]
	v_add_u32_e32 v44, v46, v1
	v_add_u32_e32 v42, v44, v43
	;; [unrolled: 1-line block ×6, first 2 shown]
	s_barrier
.LBB747_381:
	s_cmpk_lt_u32 s26, 0x201
	s_cselect_b64 s[2:3], -1, 0
	v_lshrrev_b32_e32 v33, 8, v30
	v_lshrrev_b32_e32 v1, 8, v31
	s_mov_b64 s[0:1], -1
	s_and_b64 vcc, exec, s[2:3]
	s_cbranch_vccz .LBB747_404
; %bb.382:
	s_add_i32 s4, s16, s26
	v_cmp_gt_u32_e32 vcc, s4, v46
	s_or_b64 s[6:7], s[34:35], vcc
	s_and_saveexec_b64 s[0:1], s[6:7]
	s_cbranch_execz .LBB747_385
; %bb.383:
	v_and_b32_e32 v35, 1, v30
	v_cmp_eq_u32_e32 vcc, 1, v35
	s_and_b64 exec, exec, vcc
	s_cbranch_execz .LBB747_385
; %bb.384:
	s_lshl_b64 s[6:7], s[22:23], 3
	s_add_u32 s6, s28, s6
	s_addc_u32 s7, s29, s7
	v_mov_b32_e32 v47, 0
	v_lshl_add_u64 v[48:49], v[46:47], 3, s[6:7]
	global_store_dwordx2 v[48:49], v[22:23], off
.LBB747_385:
	s_or_b64 exec, exec, s[0:1]
	v_cmp_gt_u32_e32 vcc, s4, v44
	s_or_b64 s[6:7], s[34:35], vcc
	s_and_saveexec_b64 s[0:1], s[6:7]
	s_cbranch_execz .LBB747_388
; %bb.386:
	v_and_b32_e32 v35, 1, v33
	v_cmp_eq_u32_e32 vcc, 1, v35
	s_and_b64 exec, exec, vcc
	s_cbranch_execz .LBB747_388
; %bb.387:
	s_lshl_b64 s[6:7], s[22:23], 3
	s_add_u32 s6, s28, s6
	s_addc_u32 s7, s29, s7
	v_mov_b32_e32 v45, 0
	v_lshl_add_u64 v[48:49], v[44:45], 3, s[6:7]
	global_store_dwordx2 v[48:49], v[24:25], off
.LBB747_388:
	s_or_b64 exec, exec, s[0:1]
	v_cmp_gt_u32_e32 vcc, s4, v42
	s_or_b64 s[6:7], s[34:35], vcc
	s_and_saveexec_b64 s[0:1], s[6:7]
	s_cbranch_execz .LBB747_391
; %bb.389:
	v_mov_b32_e32 v35, 1
	v_and_b32_sdwa v35, v35, v30 dst_sel:DWORD dst_unused:UNUSED_PAD src0_sel:DWORD src1_sel:WORD_1
	v_cmp_eq_u32_e32 vcc, 1, v35
	s_and_b64 exec, exec, vcc
	s_cbranch_execz .LBB747_391
; %bb.390:
	s_lshl_b64 s[6:7], s[22:23], 3
	s_add_u32 s6, s28, s6
	s_addc_u32 s7, s29, s7
	v_mov_b32_e32 v43, 0
	v_lshl_add_u64 v[48:49], v[42:43], 3, s[6:7]
	global_store_dwordx2 v[48:49], v[18:19], off
.LBB747_391:
	s_or_b64 exec, exec, s[0:1]
	v_cmp_gt_u32_e32 vcc, s4, v40
	s_or_b64 s[6:7], s[34:35], vcc
	s_and_saveexec_b64 s[0:1], s[6:7]
	s_cbranch_execz .LBB747_394
; %bb.392:
	v_and_b32_e32 v35, 1, v32
	v_cmp_eq_u32_e32 vcc, 1, v35
	s_and_b64 exec, exec, vcc
	s_cbranch_execz .LBB747_394
; %bb.393:
	s_lshl_b64 s[6:7], s[22:23], 3
	s_add_u32 s6, s28, s6
	s_addc_u32 s7, s29, s7
	v_mov_b32_e32 v41, 0
	v_lshl_add_u64 v[48:49], v[40:41], 3, s[6:7]
	global_store_dwordx2 v[48:49], v[20:21], off
.LBB747_394:
	s_or_b64 exec, exec, s[0:1]
	v_cmp_gt_u32_e32 vcc, s4, v38
	s_or_b64 s[6:7], s[34:35], vcc
	s_and_saveexec_b64 s[0:1], s[6:7]
	s_cbranch_execz .LBB747_397
; %bb.395:
	v_and_b32_e32 v35, 1, v31
	v_cmp_eq_u32_e32 vcc, 1, v35
	s_and_b64 exec, exec, vcc
	s_cbranch_execz .LBB747_397
; %bb.396:
	s_lshl_b64 s[6:7], s[22:23], 3
	s_add_u32 s6, s28, s6
	s_addc_u32 s7, s29, s7
	v_mov_b32_e32 v39, 0
	v_lshl_add_u64 v[48:49], v[38:39], 3, s[6:7]
	global_store_dwordx2 v[48:49], v[14:15], off
.LBB747_397:
	;; [unrolled: 18-line block ×3, first 2 shown]
	s_or_b64 exec, exec, s[0:1]
	v_cmp_gt_u32_e32 vcc, s4, v34
	s_or_b64 s[4:5], s[34:35], vcc
	s_and_saveexec_b64 s[0:1], s[4:5]
	s_cbranch_execz .LBB747_403
; %bb.401:
	v_mov_b32_e32 v35, 1
	v_and_b32_sdwa v35, v35, v31 dst_sel:DWORD dst_unused:UNUSED_PAD src0_sel:DWORD src1_sel:WORD_1
	v_cmp_eq_u32_e32 vcc, 1, v35
	s_and_b64 exec, exec, vcc
	s_cbranch_execz .LBB747_403
; %bb.402:
	s_lshl_b64 s[4:5], s[22:23], 3
	s_add_u32 s4, s28, s4
	s_addc_u32 s5, s29, s5
	v_mov_b32_e32 v35, 0
	v_lshl_add_u64 v[48:49], v[34:35], 3, s[4:5]
	global_store_dwordx2 v[48:49], v[28:29], off
.LBB747_403:
	s_or_b64 exec, exec, s[0:1]
	s_mov_b64 s[0:1], 0
.LBB747_404:
	v_and_b32_e32 v48, 1, v30
	s_and_b64 vcc, exec, s[0:1]
	v_cmp_eq_u32_e64 s[0:1], 1, v48
	s_cbranch_vccz .LBB747_423
; %bb.405:
	s_and_saveexec_b64 s[4:5], s[0:1]
	s_cbranch_execz .LBB747_407
; %bb.406:
	v_subrev_u32_e32 v35, s16, v46
	v_lshlrev_b32_e32 v35, 3, v35
	ds_write_b64 v35, v[22:23]
.LBB747_407:
	s_or_b64 exec, exec, s[4:5]
	v_and_b32_e32 v22, 1, v33
	v_cmp_eq_u32_e32 vcc, 1, v22
	s_and_saveexec_b64 s[0:1], vcc
	s_cbranch_execz .LBB747_409
; %bb.408:
	v_subrev_u32_e32 v22, s16, v44
	v_lshlrev_b32_e32 v22, 3, v22
	ds_write_b64 v22, v[24:25]
.LBB747_409:
	s_or_b64 exec, exec, s[0:1]
	v_mov_b32_e32 v22, 1
	v_and_b32_sdwa v22, v22, v30 dst_sel:DWORD dst_unused:UNUSED_PAD src0_sel:DWORD src1_sel:WORD_1
	v_cmp_eq_u32_e32 vcc, 1, v22
	s_and_saveexec_b64 s[0:1], vcc
	s_cbranch_execz .LBB747_411
; %bb.410:
	v_subrev_u32_e32 v22, s16, v42
	v_lshlrev_b32_e32 v22, 3, v22
	ds_write_b64 v22, v[18:19]
.LBB747_411:
	s_or_b64 exec, exec, s[0:1]
	v_and_b32_e32 v18, 1, v32
	v_cmp_eq_u32_e32 vcc, 1, v18
	s_and_saveexec_b64 s[0:1], vcc
	s_cbranch_execz .LBB747_413
; %bb.412:
	v_subrev_u32_e32 v18, s16, v40
	v_lshlrev_b32_e32 v18, 3, v18
	ds_write_b64 v18, v[20:21]
.LBB747_413:
	s_or_b64 exec, exec, s[0:1]
	v_and_b32_e32 v18, 1, v31
	;; [unrolled: 10-line block ×3, first 2 shown]
	v_cmp_eq_u32_e32 vcc, 1, v14
	s_and_saveexec_b64 s[0:1], vcc
	s_cbranch_execz .LBB747_417
; %bb.416:
	v_subrev_u32_e32 v14, s16, v36
	v_lshlrev_b32_e32 v14, 3, v14
	ds_write_b64 v14, v[16:17]
.LBB747_417:
	s_or_b64 exec, exec, s[0:1]
	v_mov_b32_e32 v14, 1
	v_and_b32_sdwa v14, v14, v31 dst_sel:DWORD dst_unused:UNUSED_PAD src0_sel:DWORD src1_sel:WORD_1
	v_cmp_eq_u32_e32 vcc, 1, v14
	s_and_saveexec_b64 s[0:1], vcc
	s_cbranch_execz .LBB747_419
; %bb.418:
	v_subrev_u32_e32 v14, s16, v34
	v_lshlrev_b32_e32 v14, 3, v14
	ds_write_b64 v14, v[28:29]
.LBB747_419:
	s_or_b64 exec, exec, s[0:1]
	v_cmp_gt_u32_e32 vcc, s26, v0
	s_waitcnt lgkmcnt(0)
	s_barrier
	s_and_saveexec_b64 s[0:1], vcc
	s_cbranch_execz .LBB747_422
; %bb.420:
	s_mov_b32 s17, 0
	s_lshl_b64 s[4:5], s[22:23], 3
	s_lshl_b64 s[6:7], s[16:17], 3
	s_add_u32 s4, s4, s6
	s_addc_u32 s5, s5, s7
	s_add_u32 s4, s28, s4
	v_lshlrev_b32_e32 v14, 3, v0
	v_mov_b32_e32 v15, 0
	s_addc_u32 s5, s29, s5
	v_lshl_add_u64 v[16:17], s[4:5], 0, v[14:15]
	s_mov_b64 s[4:5], 0
	s_mov_b64 s[6:7], 0x1000
	v_mov_b32_e32 v15, v0
.LBB747_421:                            ; =>This Inner Loop Header: Depth=1
	ds_read_b64 v[18:19], v14
	v_add_u32_e32 v15, 0x200, v15
	v_cmp_le_u32_e32 vcc, s26, v15
	v_add_u32_e32 v14, 0x1000, v14
	s_or_b64 s[4:5], vcc, s[4:5]
	s_waitcnt lgkmcnt(0)
	global_store_dwordx2 v[16:17], v[18:19], off
	v_lshl_add_u64 v[16:17], v[16:17], 0, s[6:7]
	s_andn2_b64 exec, exec, s[4:5]
	s_cbranch_execnz .LBB747_421
.LBB747_422:
	s_or_b64 exec, exec, s[0:1]
.LBB747_423:
	s_mov_b64 s[0:1], -1
	s_and_b64 vcc, exec, s[2:3]
	s_barrier
	s_cbranch_vccnz .LBB747_427
; %bb.424:
	s_and_b64 vcc, exec, s[0:1]
	s_cbranch_vccnz .LBB747_449
.LBB747_425:
	s_and_b64 s[0:1], s[18:19], s[24:25]
	s_and_saveexec_b64 s[2:3], s[0:1]
	s_cbranch_execnz .LBB747_467
.LBB747_426:
	s_endpgm
.LBB747_427:
	s_add_i32 s2, s16, s26
	v_cmp_gt_u32_e32 vcc, s2, v46
	s_or_b64 s[4:5], s[34:35], vcc
	s_and_saveexec_b64 s[0:1], s[4:5]
	s_cbranch_execz .LBB747_430
; %bb.428:
	v_cmp_eq_u32_e32 vcc, 1, v48
	s_and_b64 exec, exec, vcc
	s_cbranch_execz .LBB747_430
; %bb.429:
	s_lshl_b64 s[4:5], s[22:23], 3
	s_add_u32 s4, s30, s4
	s_addc_u32 s5, s31, s5
	v_mov_b32_e32 v47, 0
	v_lshl_add_u64 v[14:15], v[46:47], 3, s[4:5]
	global_store_dwordx2 v[14:15], v[10:11], off
.LBB747_430:
	s_or_b64 exec, exec, s[0:1]
	v_cmp_gt_u32_e32 vcc, s2, v44
	s_or_b64 s[4:5], s[34:35], vcc
	s_and_saveexec_b64 s[0:1], s[4:5]
	s_cbranch_execz .LBB747_433
; %bb.431:
	v_and_b32_e32 v14, 1, v33
	v_cmp_eq_u32_e32 vcc, 1, v14
	s_and_b64 exec, exec, vcc
	s_cbranch_execz .LBB747_433
; %bb.432:
	s_lshl_b64 s[4:5], s[22:23], 3
	s_add_u32 s4, s30, s4
	s_addc_u32 s5, s31, s5
	v_mov_b32_e32 v45, 0
	v_lshl_add_u64 v[14:15], v[44:45], 3, s[4:5]
	global_store_dwordx2 v[14:15], v[12:13], off
.LBB747_433:
	s_or_b64 exec, exec, s[0:1]
	v_cmp_gt_u32_e32 vcc, s2, v42
	s_or_b64 s[4:5], s[34:35], vcc
	s_and_saveexec_b64 s[0:1], s[4:5]
	s_cbranch_execz .LBB747_436
; %bb.434:
	v_mov_b32_e32 v14, 1
	v_and_b32_sdwa v14, v14, v30 dst_sel:DWORD dst_unused:UNUSED_PAD src0_sel:DWORD src1_sel:WORD_1
	v_cmp_eq_u32_e32 vcc, 1, v14
	s_and_b64 exec, exec, vcc
	s_cbranch_execz .LBB747_436
; %bb.435:
	s_lshl_b64 s[4:5], s[22:23], 3
	s_add_u32 s4, s30, s4
	s_addc_u32 s5, s31, s5
	v_mov_b32_e32 v43, 0
	v_lshl_add_u64 v[14:15], v[42:43], 3, s[4:5]
	global_store_dwordx2 v[14:15], v[6:7], off
.LBB747_436:
	s_or_b64 exec, exec, s[0:1]
	v_cmp_gt_u32_e32 vcc, s2, v40
	s_or_b64 s[4:5], s[34:35], vcc
	s_and_saveexec_b64 s[0:1], s[4:5]
	s_cbranch_execz .LBB747_439
; %bb.437:
	v_and_b32_e32 v14, 1, v32
	v_cmp_eq_u32_e32 vcc, 1, v14
	s_and_b64 exec, exec, vcc
	s_cbranch_execz .LBB747_439
; %bb.438:
	s_lshl_b64 s[4:5], s[22:23], 3
	s_add_u32 s4, s30, s4
	s_addc_u32 s5, s31, s5
	v_mov_b32_e32 v41, 0
	v_lshl_add_u64 v[14:15], v[40:41], 3, s[4:5]
	global_store_dwordx2 v[14:15], v[8:9], off
.LBB747_439:
	s_or_b64 exec, exec, s[0:1]
	v_cmp_gt_u32_e32 vcc, s2, v38
	s_or_b64 s[4:5], s[34:35], vcc
	s_and_saveexec_b64 s[0:1], s[4:5]
	s_cbranch_execz .LBB747_442
; %bb.440:
	v_and_b32_e32 v14, 1, v31
	v_cmp_eq_u32_e32 vcc, 1, v14
	s_and_b64 exec, exec, vcc
	s_cbranch_execz .LBB747_442
; %bb.441:
	s_lshl_b64 s[4:5], s[22:23], 3
	s_add_u32 s4, s30, s4
	s_addc_u32 s5, s31, s5
	v_mov_b32_e32 v39, 0
	v_lshl_add_u64 v[14:15], v[38:39], 3, s[4:5]
	global_store_dwordx2 v[14:15], v[2:3], off
.LBB747_442:
	;; [unrolled: 18-line block ×3, first 2 shown]
	s_or_b64 exec, exec, s[0:1]
	v_cmp_gt_u32_e32 vcc, s2, v34
	s_or_b64 s[2:3], s[34:35], vcc
	s_and_saveexec_b64 s[0:1], s[2:3]
	s_cbranch_execz .LBB747_448
; %bb.446:
	v_mov_b32_e32 v14, 1
	v_and_b32_sdwa v14, v14, v31 dst_sel:DWORD dst_unused:UNUSED_PAD src0_sel:DWORD src1_sel:WORD_1
	v_cmp_eq_u32_e32 vcc, 1, v14
	s_and_b64 exec, exec, vcc
	s_cbranch_execz .LBB747_448
; %bb.447:
	s_lshl_b64 s[2:3], s[22:23], 3
	s_add_u32 s2, s30, s2
	s_addc_u32 s3, s31, s3
	v_mov_b32_e32 v35, 0
	v_lshl_add_u64 v[14:15], v[34:35], 3, s[2:3]
	global_store_dwordx2 v[14:15], v[26:27], off
.LBB747_448:
	s_or_b64 exec, exec, s[0:1]
	s_branch .LBB747_425
.LBB747_449:
	v_cmp_eq_u32_e32 vcc, 1, v48
	s_and_saveexec_b64 s[0:1], vcc
	s_cbranch_execz .LBB747_451
; %bb.450:
	v_subrev_u32_e32 v14, s16, v46
	v_lshlrev_b32_e32 v14, 3, v14
	ds_write_b64 v14, v[10:11]
.LBB747_451:
	s_or_b64 exec, exec, s[0:1]
	v_and_b32_e32 v10, 1, v33
	v_cmp_eq_u32_e32 vcc, 1, v10
	s_and_saveexec_b64 s[0:1], vcc
	s_cbranch_execz .LBB747_453
; %bb.452:
	v_subrev_u32_e32 v10, s16, v44
	v_lshlrev_b32_e32 v10, 3, v10
	ds_write_b64 v10, v[12:13]
.LBB747_453:
	s_or_b64 exec, exec, s[0:1]
	v_mov_b32_e32 v10, 1
	v_and_b32_sdwa v10, v10, v30 dst_sel:DWORD dst_unused:UNUSED_PAD src0_sel:DWORD src1_sel:WORD_1
	v_cmp_eq_u32_e32 vcc, 1, v10
	s_and_saveexec_b64 s[0:1], vcc
	s_cbranch_execz .LBB747_455
; %bb.454:
	v_subrev_u32_e32 v10, s16, v42
	v_lshlrev_b32_e32 v10, 3, v10
	ds_write_b64 v10, v[6:7]
.LBB747_455:
	s_or_b64 exec, exec, s[0:1]
	v_and_b32_e32 v6, 1, v32
	v_cmp_eq_u32_e32 vcc, 1, v6
	s_and_saveexec_b64 s[0:1], vcc
	s_cbranch_execz .LBB747_457
; %bb.456:
	v_subrev_u32_e32 v6, s16, v40
	v_lshlrev_b32_e32 v6, 3, v6
	ds_write_b64 v6, v[8:9]
.LBB747_457:
	s_or_b64 exec, exec, s[0:1]
	v_and_b32_e32 v6, 1, v31
	;; [unrolled: 10-line block ×3, first 2 shown]
	v_cmp_eq_u32_e32 vcc, 1, v1
	s_and_saveexec_b64 s[0:1], vcc
	s_cbranch_execz .LBB747_461
; %bb.460:
	v_subrev_u32_e32 v1, s16, v36
	v_lshlrev_b32_e32 v1, 3, v1
	ds_write_b64 v1, v[4:5]
.LBB747_461:
	s_or_b64 exec, exec, s[0:1]
	v_mov_b32_e32 v1, 1
	v_and_b32_sdwa v1, v1, v31 dst_sel:DWORD dst_unused:UNUSED_PAD src0_sel:DWORD src1_sel:WORD_1
	v_cmp_eq_u32_e32 vcc, 1, v1
	s_and_saveexec_b64 s[0:1], vcc
	s_cbranch_execz .LBB747_463
; %bb.462:
	v_subrev_u32_e32 v1, s16, v34
	v_lshlrev_b32_e32 v1, 3, v1
	ds_write_b64 v1, v[26:27]
.LBB747_463:
	s_or_b64 exec, exec, s[0:1]
	v_cmp_gt_u32_e32 vcc, s26, v0
	s_waitcnt lgkmcnt(0)
	s_barrier
	s_and_saveexec_b64 s[0:1], vcc
	s_cbranch_execz .LBB747_466
; %bb.464:
	s_mov_b32 s17, 0
	s_lshl_b64 s[2:3], s[22:23], 3
	s_lshl_b64 s[4:5], s[16:17], 3
	s_add_u32 s2, s2, s4
	s_addc_u32 s3, s3, s5
	s_add_u32 s2, s30, s2
	v_lshlrev_b32_e32 v2, 3, v0
	v_mov_b32_e32 v3, 0
	s_addc_u32 s3, s31, s3
	v_lshl_add_u64 v[4:5], s[2:3], 0, v[2:3]
	s_mov_b64 s[2:3], 0
	s_mov_b64 s[4:5], 0x1000
.LBB747_465:                            ; =>This Inner Loop Header: Depth=1
	ds_read_b64 v[6:7], v2
	v_add_u32_e32 v0, 0x200, v0
	v_cmp_le_u32_e32 vcc, s26, v0
	v_add_u32_e32 v2, 0x1000, v2
	s_or_b64 s[2:3], vcc, s[2:3]
	s_waitcnt lgkmcnt(0)
	global_store_dwordx2 v[4:5], v[6:7], off
	v_lshl_add_u64 v[4:5], v[4:5], 0, s[4:5]
	s_andn2_b64 exec, exec, s[2:3]
	s_cbranch_execnz .LBB747_465
.LBB747_466:
	s_or_b64 exec, exec, s[0:1]
	s_and_b64 s[0:1], s[18:19], s[24:25]
	s_and_saveexec_b64 s[2:3], s[0:1]
	s_cbranch_execz .LBB747_426
.LBB747_467:
	s_add_u32 s0, s22, s26
	s_addc_u32 s1, s23, 0
	s_add_u32 s0, s0, s16
	s_addc_u32 s1, s1, 0
	v_mov_b32_e32 v2, 0
	v_mov_b64_e32 v[0:1], s[0:1]
	global_store_dwordx2 v2, v[0:1], s[20:21]
	s_endpgm
	.section	.rodata,"a",@progbits
	.p2align	6, 0x0
	.amdhsa_kernel _ZN7rocprim17ROCPRIM_400000_NS6detail17trampoline_kernelINS0_14default_configENS1_25partition_config_selectorILNS1_17partition_subalgoE9EllbEEZZNS1_14partition_implILS5_9ELb0ES3_jPlS8_PNS0_10empty_typeENS0_5tupleIJS8_S9_EEENSB_IJS8_SA_EEENS0_18inequality_wrapperIZN2at6native12_GLOBAL__N_124unique_dim_cuda_templateIsEESt5tupleIJNSF_6TensorESK_SK_EERKSK_lbbbEUlllE0_EEPmJS9_EEE10hipError_tPvRmT3_T4_T5_T6_T7_T9_mT8_P12ihipStream_tbDpT10_ENKUlT_T0_E_clISt17integral_constantIbLb0EES19_IbLb1EEEEDaS15_S16_EUlS15_E_NS1_11comp_targetILNS1_3genE5ELNS1_11target_archE942ELNS1_3gpuE9ELNS1_3repE0EEENS1_30default_config_static_selectorELNS0_4arch9wavefront6targetE1EEEvT1_
		.amdhsa_group_segment_fixed_size 28684
		.amdhsa_private_segment_fixed_size 0
		.amdhsa_kernarg_size 136
		.amdhsa_user_sgpr_count 2
		.amdhsa_user_sgpr_dispatch_ptr 0
		.amdhsa_user_sgpr_queue_ptr 0
		.amdhsa_user_sgpr_kernarg_segment_ptr 1
		.amdhsa_user_sgpr_dispatch_id 0
		.amdhsa_user_sgpr_kernarg_preload_length 0
		.amdhsa_user_sgpr_kernarg_preload_offset 0
		.amdhsa_user_sgpr_private_segment_size 0
		.amdhsa_uses_dynamic_stack 0
		.amdhsa_enable_private_segment 0
		.amdhsa_system_sgpr_workgroup_id_x 1
		.amdhsa_system_sgpr_workgroup_id_y 0
		.amdhsa_system_sgpr_workgroup_id_z 0
		.amdhsa_system_sgpr_workgroup_info 0
		.amdhsa_system_vgpr_workitem_id 0
		.amdhsa_next_free_vgpr 66
		.amdhsa_next_free_sgpr 58
		.amdhsa_accum_offset 68
		.amdhsa_reserve_vcc 1
		.amdhsa_float_round_mode_32 0
		.amdhsa_float_round_mode_16_64 0
		.amdhsa_float_denorm_mode_32 3
		.amdhsa_float_denorm_mode_16_64 3
		.amdhsa_dx10_clamp 1
		.amdhsa_ieee_mode 1
		.amdhsa_fp16_overflow 0
		.amdhsa_tg_split 0
		.amdhsa_exception_fp_ieee_invalid_op 0
		.amdhsa_exception_fp_denorm_src 0
		.amdhsa_exception_fp_ieee_div_zero 0
		.amdhsa_exception_fp_ieee_overflow 0
		.amdhsa_exception_fp_ieee_underflow 0
		.amdhsa_exception_fp_ieee_inexact 0
		.amdhsa_exception_int_div_zero 0
	.end_amdhsa_kernel
	.section	.text._ZN7rocprim17ROCPRIM_400000_NS6detail17trampoline_kernelINS0_14default_configENS1_25partition_config_selectorILNS1_17partition_subalgoE9EllbEEZZNS1_14partition_implILS5_9ELb0ES3_jPlS8_PNS0_10empty_typeENS0_5tupleIJS8_S9_EEENSB_IJS8_SA_EEENS0_18inequality_wrapperIZN2at6native12_GLOBAL__N_124unique_dim_cuda_templateIsEESt5tupleIJNSF_6TensorESK_SK_EERKSK_lbbbEUlllE0_EEPmJS9_EEE10hipError_tPvRmT3_T4_T5_T6_T7_T9_mT8_P12ihipStream_tbDpT10_ENKUlT_T0_E_clISt17integral_constantIbLb0EES19_IbLb1EEEEDaS15_S16_EUlS15_E_NS1_11comp_targetILNS1_3genE5ELNS1_11target_archE942ELNS1_3gpuE9ELNS1_3repE0EEENS1_30default_config_static_selectorELNS0_4arch9wavefront6targetE1EEEvT1_,"axG",@progbits,_ZN7rocprim17ROCPRIM_400000_NS6detail17trampoline_kernelINS0_14default_configENS1_25partition_config_selectorILNS1_17partition_subalgoE9EllbEEZZNS1_14partition_implILS5_9ELb0ES3_jPlS8_PNS0_10empty_typeENS0_5tupleIJS8_S9_EEENSB_IJS8_SA_EEENS0_18inequality_wrapperIZN2at6native12_GLOBAL__N_124unique_dim_cuda_templateIsEESt5tupleIJNSF_6TensorESK_SK_EERKSK_lbbbEUlllE0_EEPmJS9_EEE10hipError_tPvRmT3_T4_T5_T6_T7_T9_mT8_P12ihipStream_tbDpT10_ENKUlT_T0_E_clISt17integral_constantIbLb0EES19_IbLb1EEEEDaS15_S16_EUlS15_E_NS1_11comp_targetILNS1_3genE5ELNS1_11target_archE942ELNS1_3gpuE9ELNS1_3repE0EEENS1_30default_config_static_selectorELNS0_4arch9wavefront6targetE1EEEvT1_,comdat
.Lfunc_end747:
	.size	_ZN7rocprim17ROCPRIM_400000_NS6detail17trampoline_kernelINS0_14default_configENS1_25partition_config_selectorILNS1_17partition_subalgoE9EllbEEZZNS1_14partition_implILS5_9ELb0ES3_jPlS8_PNS0_10empty_typeENS0_5tupleIJS8_S9_EEENSB_IJS8_SA_EEENS0_18inequality_wrapperIZN2at6native12_GLOBAL__N_124unique_dim_cuda_templateIsEESt5tupleIJNSF_6TensorESK_SK_EERKSK_lbbbEUlllE0_EEPmJS9_EEE10hipError_tPvRmT3_T4_T5_T6_T7_T9_mT8_P12ihipStream_tbDpT10_ENKUlT_T0_E_clISt17integral_constantIbLb0EES19_IbLb1EEEEDaS15_S16_EUlS15_E_NS1_11comp_targetILNS1_3genE5ELNS1_11target_archE942ELNS1_3gpuE9ELNS1_3repE0EEENS1_30default_config_static_selectorELNS0_4arch9wavefront6targetE1EEEvT1_, .Lfunc_end747-_ZN7rocprim17ROCPRIM_400000_NS6detail17trampoline_kernelINS0_14default_configENS1_25partition_config_selectorILNS1_17partition_subalgoE9EllbEEZZNS1_14partition_implILS5_9ELb0ES3_jPlS8_PNS0_10empty_typeENS0_5tupleIJS8_S9_EEENSB_IJS8_SA_EEENS0_18inequality_wrapperIZN2at6native12_GLOBAL__N_124unique_dim_cuda_templateIsEESt5tupleIJNSF_6TensorESK_SK_EERKSK_lbbbEUlllE0_EEPmJS9_EEE10hipError_tPvRmT3_T4_T5_T6_T7_T9_mT8_P12ihipStream_tbDpT10_ENKUlT_T0_E_clISt17integral_constantIbLb0EES19_IbLb1EEEEDaS15_S16_EUlS15_E_NS1_11comp_targetILNS1_3genE5ELNS1_11target_archE942ELNS1_3gpuE9ELNS1_3repE0EEENS1_30default_config_static_selectorELNS0_4arch9wavefront6targetE1EEEvT1_
                                        ; -- End function
	.section	.AMDGPU.csdata,"",@progbits
; Kernel info:
; codeLenInByte = 14484
; NumSgprs: 64
; NumVgprs: 66
; NumAgprs: 0
; TotalNumVgprs: 66
; ScratchSize: 0
; MemoryBound: 0
; FloatMode: 240
; IeeeMode: 1
; LDSByteSize: 28684 bytes/workgroup (compile time only)
; SGPRBlocks: 7
; VGPRBlocks: 8
; NumSGPRsForWavesPerEU: 64
; NumVGPRsForWavesPerEU: 66
; AccumOffset: 68
; Occupancy: 4
; WaveLimiterHint : 1
; COMPUTE_PGM_RSRC2:SCRATCH_EN: 0
; COMPUTE_PGM_RSRC2:USER_SGPR: 2
; COMPUTE_PGM_RSRC2:TRAP_HANDLER: 0
; COMPUTE_PGM_RSRC2:TGID_X_EN: 1
; COMPUTE_PGM_RSRC2:TGID_Y_EN: 0
; COMPUTE_PGM_RSRC2:TGID_Z_EN: 0
; COMPUTE_PGM_RSRC2:TIDIG_COMP_CNT: 0
; COMPUTE_PGM_RSRC3_GFX90A:ACCUM_OFFSET: 16
; COMPUTE_PGM_RSRC3_GFX90A:TG_SPLIT: 0
	.section	.text._ZN7rocprim17ROCPRIM_400000_NS6detail17trampoline_kernelINS0_14default_configENS1_25partition_config_selectorILNS1_17partition_subalgoE9EllbEEZZNS1_14partition_implILS5_9ELb0ES3_jPlS8_PNS0_10empty_typeENS0_5tupleIJS8_S9_EEENSB_IJS8_SA_EEENS0_18inequality_wrapperIZN2at6native12_GLOBAL__N_124unique_dim_cuda_templateIsEESt5tupleIJNSF_6TensorESK_SK_EERKSK_lbbbEUlllE0_EEPmJS9_EEE10hipError_tPvRmT3_T4_T5_T6_T7_T9_mT8_P12ihipStream_tbDpT10_ENKUlT_T0_E_clISt17integral_constantIbLb0EES19_IbLb1EEEEDaS15_S16_EUlS15_E_NS1_11comp_targetILNS1_3genE4ELNS1_11target_archE910ELNS1_3gpuE8ELNS1_3repE0EEENS1_30default_config_static_selectorELNS0_4arch9wavefront6targetE1EEEvT1_,"axG",@progbits,_ZN7rocprim17ROCPRIM_400000_NS6detail17trampoline_kernelINS0_14default_configENS1_25partition_config_selectorILNS1_17partition_subalgoE9EllbEEZZNS1_14partition_implILS5_9ELb0ES3_jPlS8_PNS0_10empty_typeENS0_5tupleIJS8_S9_EEENSB_IJS8_SA_EEENS0_18inequality_wrapperIZN2at6native12_GLOBAL__N_124unique_dim_cuda_templateIsEESt5tupleIJNSF_6TensorESK_SK_EERKSK_lbbbEUlllE0_EEPmJS9_EEE10hipError_tPvRmT3_T4_T5_T6_T7_T9_mT8_P12ihipStream_tbDpT10_ENKUlT_T0_E_clISt17integral_constantIbLb0EES19_IbLb1EEEEDaS15_S16_EUlS15_E_NS1_11comp_targetILNS1_3genE4ELNS1_11target_archE910ELNS1_3gpuE8ELNS1_3repE0EEENS1_30default_config_static_selectorELNS0_4arch9wavefront6targetE1EEEvT1_,comdat
	.globl	_ZN7rocprim17ROCPRIM_400000_NS6detail17trampoline_kernelINS0_14default_configENS1_25partition_config_selectorILNS1_17partition_subalgoE9EllbEEZZNS1_14partition_implILS5_9ELb0ES3_jPlS8_PNS0_10empty_typeENS0_5tupleIJS8_S9_EEENSB_IJS8_SA_EEENS0_18inequality_wrapperIZN2at6native12_GLOBAL__N_124unique_dim_cuda_templateIsEESt5tupleIJNSF_6TensorESK_SK_EERKSK_lbbbEUlllE0_EEPmJS9_EEE10hipError_tPvRmT3_T4_T5_T6_T7_T9_mT8_P12ihipStream_tbDpT10_ENKUlT_T0_E_clISt17integral_constantIbLb0EES19_IbLb1EEEEDaS15_S16_EUlS15_E_NS1_11comp_targetILNS1_3genE4ELNS1_11target_archE910ELNS1_3gpuE8ELNS1_3repE0EEENS1_30default_config_static_selectorELNS0_4arch9wavefront6targetE1EEEvT1_ ; -- Begin function _ZN7rocprim17ROCPRIM_400000_NS6detail17trampoline_kernelINS0_14default_configENS1_25partition_config_selectorILNS1_17partition_subalgoE9EllbEEZZNS1_14partition_implILS5_9ELb0ES3_jPlS8_PNS0_10empty_typeENS0_5tupleIJS8_S9_EEENSB_IJS8_SA_EEENS0_18inequality_wrapperIZN2at6native12_GLOBAL__N_124unique_dim_cuda_templateIsEESt5tupleIJNSF_6TensorESK_SK_EERKSK_lbbbEUlllE0_EEPmJS9_EEE10hipError_tPvRmT3_T4_T5_T6_T7_T9_mT8_P12ihipStream_tbDpT10_ENKUlT_T0_E_clISt17integral_constantIbLb0EES19_IbLb1EEEEDaS15_S16_EUlS15_E_NS1_11comp_targetILNS1_3genE4ELNS1_11target_archE910ELNS1_3gpuE8ELNS1_3repE0EEENS1_30default_config_static_selectorELNS0_4arch9wavefront6targetE1EEEvT1_
	.p2align	8
	.type	_ZN7rocprim17ROCPRIM_400000_NS6detail17trampoline_kernelINS0_14default_configENS1_25partition_config_selectorILNS1_17partition_subalgoE9EllbEEZZNS1_14partition_implILS5_9ELb0ES3_jPlS8_PNS0_10empty_typeENS0_5tupleIJS8_S9_EEENSB_IJS8_SA_EEENS0_18inequality_wrapperIZN2at6native12_GLOBAL__N_124unique_dim_cuda_templateIsEESt5tupleIJNSF_6TensorESK_SK_EERKSK_lbbbEUlllE0_EEPmJS9_EEE10hipError_tPvRmT3_T4_T5_T6_T7_T9_mT8_P12ihipStream_tbDpT10_ENKUlT_T0_E_clISt17integral_constantIbLb0EES19_IbLb1EEEEDaS15_S16_EUlS15_E_NS1_11comp_targetILNS1_3genE4ELNS1_11target_archE910ELNS1_3gpuE8ELNS1_3repE0EEENS1_30default_config_static_selectorELNS0_4arch9wavefront6targetE1EEEvT1_,@function
_ZN7rocprim17ROCPRIM_400000_NS6detail17trampoline_kernelINS0_14default_configENS1_25partition_config_selectorILNS1_17partition_subalgoE9EllbEEZZNS1_14partition_implILS5_9ELb0ES3_jPlS8_PNS0_10empty_typeENS0_5tupleIJS8_S9_EEENSB_IJS8_SA_EEENS0_18inequality_wrapperIZN2at6native12_GLOBAL__N_124unique_dim_cuda_templateIsEESt5tupleIJNSF_6TensorESK_SK_EERKSK_lbbbEUlllE0_EEPmJS9_EEE10hipError_tPvRmT3_T4_T5_T6_T7_T9_mT8_P12ihipStream_tbDpT10_ENKUlT_T0_E_clISt17integral_constantIbLb0EES19_IbLb1EEEEDaS15_S16_EUlS15_E_NS1_11comp_targetILNS1_3genE4ELNS1_11target_archE910ELNS1_3gpuE8ELNS1_3repE0EEENS1_30default_config_static_selectorELNS0_4arch9wavefront6targetE1EEEvT1_: ; @_ZN7rocprim17ROCPRIM_400000_NS6detail17trampoline_kernelINS0_14default_configENS1_25partition_config_selectorILNS1_17partition_subalgoE9EllbEEZZNS1_14partition_implILS5_9ELb0ES3_jPlS8_PNS0_10empty_typeENS0_5tupleIJS8_S9_EEENSB_IJS8_SA_EEENS0_18inequality_wrapperIZN2at6native12_GLOBAL__N_124unique_dim_cuda_templateIsEESt5tupleIJNSF_6TensorESK_SK_EERKSK_lbbbEUlllE0_EEPmJS9_EEE10hipError_tPvRmT3_T4_T5_T6_T7_T9_mT8_P12ihipStream_tbDpT10_ENKUlT_T0_E_clISt17integral_constantIbLb0EES19_IbLb1EEEEDaS15_S16_EUlS15_E_NS1_11comp_targetILNS1_3genE4ELNS1_11target_archE910ELNS1_3gpuE8ELNS1_3repE0EEENS1_30default_config_static_selectorELNS0_4arch9wavefront6targetE1EEEvT1_
; %bb.0:
	.section	.rodata,"a",@progbits
	.p2align	6, 0x0
	.amdhsa_kernel _ZN7rocprim17ROCPRIM_400000_NS6detail17trampoline_kernelINS0_14default_configENS1_25partition_config_selectorILNS1_17partition_subalgoE9EllbEEZZNS1_14partition_implILS5_9ELb0ES3_jPlS8_PNS0_10empty_typeENS0_5tupleIJS8_S9_EEENSB_IJS8_SA_EEENS0_18inequality_wrapperIZN2at6native12_GLOBAL__N_124unique_dim_cuda_templateIsEESt5tupleIJNSF_6TensorESK_SK_EERKSK_lbbbEUlllE0_EEPmJS9_EEE10hipError_tPvRmT3_T4_T5_T6_T7_T9_mT8_P12ihipStream_tbDpT10_ENKUlT_T0_E_clISt17integral_constantIbLb0EES19_IbLb1EEEEDaS15_S16_EUlS15_E_NS1_11comp_targetILNS1_3genE4ELNS1_11target_archE910ELNS1_3gpuE8ELNS1_3repE0EEENS1_30default_config_static_selectorELNS0_4arch9wavefront6targetE1EEEvT1_
		.amdhsa_group_segment_fixed_size 0
		.amdhsa_private_segment_fixed_size 0
		.amdhsa_kernarg_size 136
		.amdhsa_user_sgpr_count 2
		.amdhsa_user_sgpr_dispatch_ptr 0
		.amdhsa_user_sgpr_queue_ptr 0
		.amdhsa_user_sgpr_kernarg_segment_ptr 1
		.amdhsa_user_sgpr_dispatch_id 0
		.amdhsa_user_sgpr_kernarg_preload_length 0
		.amdhsa_user_sgpr_kernarg_preload_offset 0
		.amdhsa_user_sgpr_private_segment_size 0
		.amdhsa_uses_dynamic_stack 0
		.amdhsa_enable_private_segment 0
		.amdhsa_system_sgpr_workgroup_id_x 1
		.amdhsa_system_sgpr_workgroup_id_y 0
		.amdhsa_system_sgpr_workgroup_id_z 0
		.amdhsa_system_sgpr_workgroup_info 0
		.amdhsa_system_vgpr_workitem_id 0
		.amdhsa_next_free_vgpr 1
		.amdhsa_next_free_sgpr 0
		.amdhsa_accum_offset 4
		.amdhsa_reserve_vcc 0
		.amdhsa_float_round_mode_32 0
		.amdhsa_float_round_mode_16_64 0
		.amdhsa_float_denorm_mode_32 3
		.amdhsa_float_denorm_mode_16_64 3
		.amdhsa_dx10_clamp 1
		.amdhsa_ieee_mode 1
		.amdhsa_fp16_overflow 0
		.amdhsa_tg_split 0
		.amdhsa_exception_fp_ieee_invalid_op 0
		.amdhsa_exception_fp_denorm_src 0
		.amdhsa_exception_fp_ieee_div_zero 0
		.amdhsa_exception_fp_ieee_overflow 0
		.amdhsa_exception_fp_ieee_underflow 0
		.amdhsa_exception_fp_ieee_inexact 0
		.amdhsa_exception_int_div_zero 0
	.end_amdhsa_kernel
	.section	.text._ZN7rocprim17ROCPRIM_400000_NS6detail17trampoline_kernelINS0_14default_configENS1_25partition_config_selectorILNS1_17partition_subalgoE9EllbEEZZNS1_14partition_implILS5_9ELb0ES3_jPlS8_PNS0_10empty_typeENS0_5tupleIJS8_S9_EEENSB_IJS8_SA_EEENS0_18inequality_wrapperIZN2at6native12_GLOBAL__N_124unique_dim_cuda_templateIsEESt5tupleIJNSF_6TensorESK_SK_EERKSK_lbbbEUlllE0_EEPmJS9_EEE10hipError_tPvRmT3_T4_T5_T6_T7_T9_mT8_P12ihipStream_tbDpT10_ENKUlT_T0_E_clISt17integral_constantIbLb0EES19_IbLb1EEEEDaS15_S16_EUlS15_E_NS1_11comp_targetILNS1_3genE4ELNS1_11target_archE910ELNS1_3gpuE8ELNS1_3repE0EEENS1_30default_config_static_selectorELNS0_4arch9wavefront6targetE1EEEvT1_,"axG",@progbits,_ZN7rocprim17ROCPRIM_400000_NS6detail17trampoline_kernelINS0_14default_configENS1_25partition_config_selectorILNS1_17partition_subalgoE9EllbEEZZNS1_14partition_implILS5_9ELb0ES3_jPlS8_PNS0_10empty_typeENS0_5tupleIJS8_S9_EEENSB_IJS8_SA_EEENS0_18inequality_wrapperIZN2at6native12_GLOBAL__N_124unique_dim_cuda_templateIsEESt5tupleIJNSF_6TensorESK_SK_EERKSK_lbbbEUlllE0_EEPmJS9_EEE10hipError_tPvRmT3_T4_T5_T6_T7_T9_mT8_P12ihipStream_tbDpT10_ENKUlT_T0_E_clISt17integral_constantIbLb0EES19_IbLb1EEEEDaS15_S16_EUlS15_E_NS1_11comp_targetILNS1_3genE4ELNS1_11target_archE910ELNS1_3gpuE8ELNS1_3repE0EEENS1_30default_config_static_selectorELNS0_4arch9wavefront6targetE1EEEvT1_,comdat
.Lfunc_end748:
	.size	_ZN7rocprim17ROCPRIM_400000_NS6detail17trampoline_kernelINS0_14default_configENS1_25partition_config_selectorILNS1_17partition_subalgoE9EllbEEZZNS1_14partition_implILS5_9ELb0ES3_jPlS8_PNS0_10empty_typeENS0_5tupleIJS8_S9_EEENSB_IJS8_SA_EEENS0_18inequality_wrapperIZN2at6native12_GLOBAL__N_124unique_dim_cuda_templateIsEESt5tupleIJNSF_6TensorESK_SK_EERKSK_lbbbEUlllE0_EEPmJS9_EEE10hipError_tPvRmT3_T4_T5_T6_T7_T9_mT8_P12ihipStream_tbDpT10_ENKUlT_T0_E_clISt17integral_constantIbLb0EES19_IbLb1EEEEDaS15_S16_EUlS15_E_NS1_11comp_targetILNS1_3genE4ELNS1_11target_archE910ELNS1_3gpuE8ELNS1_3repE0EEENS1_30default_config_static_selectorELNS0_4arch9wavefront6targetE1EEEvT1_, .Lfunc_end748-_ZN7rocprim17ROCPRIM_400000_NS6detail17trampoline_kernelINS0_14default_configENS1_25partition_config_selectorILNS1_17partition_subalgoE9EllbEEZZNS1_14partition_implILS5_9ELb0ES3_jPlS8_PNS0_10empty_typeENS0_5tupleIJS8_S9_EEENSB_IJS8_SA_EEENS0_18inequality_wrapperIZN2at6native12_GLOBAL__N_124unique_dim_cuda_templateIsEESt5tupleIJNSF_6TensorESK_SK_EERKSK_lbbbEUlllE0_EEPmJS9_EEE10hipError_tPvRmT3_T4_T5_T6_T7_T9_mT8_P12ihipStream_tbDpT10_ENKUlT_T0_E_clISt17integral_constantIbLb0EES19_IbLb1EEEEDaS15_S16_EUlS15_E_NS1_11comp_targetILNS1_3genE4ELNS1_11target_archE910ELNS1_3gpuE8ELNS1_3repE0EEENS1_30default_config_static_selectorELNS0_4arch9wavefront6targetE1EEEvT1_
                                        ; -- End function
	.section	.AMDGPU.csdata,"",@progbits
; Kernel info:
; codeLenInByte = 0
; NumSgprs: 6
; NumVgprs: 0
; NumAgprs: 0
; TotalNumVgprs: 0
; ScratchSize: 0
; MemoryBound: 0
; FloatMode: 240
; IeeeMode: 1
; LDSByteSize: 0 bytes/workgroup (compile time only)
; SGPRBlocks: 0
; VGPRBlocks: 0
; NumSGPRsForWavesPerEU: 6
; NumVGPRsForWavesPerEU: 1
; AccumOffset: 4
; Occupancy: 8
; WaveLimiterHint : 0
; COMPUTE_PGM_RSRC2:SCRATCH_EN: 0
; COMPUTE_PGM_RSRC2:USER_SGPR: 2
; COMPUTE_PGM_RSRC2:TRAP_HANDLER: 0
; COMPUTE_PGM_RSRC2:TGID_X_EN: 1
; COMPUTE_PGM_RSRC2:TGID_Y_EN: 0
; COMPUTE_PGM_RSRC2:TGID_Z_EN: 0
; COMPUTE_PGM_RSRC2:TIDIG_COMP_CNT: 0
; COMPUTE_PGM_RSRC3_GFX90A:ACCUM_OFFSET: 0
; COMPUTE_PGM_RSRC3_GFX90A:TG_SPLIT: 0
	.section	.text._ZN7rocprim17ROCPRIM_400000_NS6detail17trampoline_kernelINS0_14default_configENS1_25partition_config_selectorILNS1_17partition_subalgoE9EllbEEZZNS1_14partition_implILS5_9ELb0ES3_jPlS8_PNS0_10empty_typeENS0_5tupleIJS8_S9_EEENSB_IJS8_SA_EEENS0_18inequality_wrapperIZN2at6native12_GLOBAL__N_124unique_dim_cuda_templateIsEESt5tupleIJNSF_6TensorESK_SK_EERKSK_lbbbEUlllE0_EEPmJS9_EEE10hipError_tPvRmT3_T4_T5_T6_T7_T9_mT8_P12ihipStream_tbDpT10_ENKUlT_T0_E_clISt17integral_constantIbLb0EES19_IbLb1EEEEDaS15_S16_EUlS15_E_NS1_11comp_targetILNS1_3genE3ELNS1_11target_archE908ELNS1_3gpuE7ELNS1_3repE0EEENS1_30default_config_static_selectorELNS0_4arch9wavefront6targetE1EEEvT1_,"axG",@progbits,_ZN7rocprim17ROCPRIM_400000_NS6detail17trampoline_kernelINS0_14default_configENS1_25partition_config_selectorILNS1_17partition_subalgoE9EllbEEZZNS1_14partition_implILS5_9ELb0ES3_jPlS8_PNS0_10empty_typeENS0_5tupleIJS8_S9_EEENSB_IJS8_SA_EEENS0_18inequality_wrapperIZN2at6native12_GLOBAL__N_124unique_dim_cuda_templateIsEESt5tupleIJNSF_6TensorESK_SK_EERKSK_lbbbEUlllE0_EEPmJS9_EEE10hipError_tPvRmT3_T4_T5_T6_T7_T9_mT8_P12ihipStream_tbDpT10_ENKUlT_T0_E_clISt17integral_constantIbLb0EES19_IbLb1EEEEDaS15_S16_EUlS15_E_NS1_11comp_targetILNS1_3genE3ELNS1_11target_archE908ELNS1_3gpuE7ELNS1_3repE0EEENS1_30default_config_static_selectorELNS0_4arch9wavefront6targetE1EEEvT1_,comdat
	.globl	_ZN7rocprim17ROCPRIM_400000_NS6detail17trampoline_kernelINS0_14default_configENS1_25partition_config_selectorILNS1_17partition_subalgoE9EllbEEZZNS1_14partition_implILS5_9ELb0ES3_jPlS8_PNS0_10empty_typeENS0_5tupleIJS8_S9_EEENSB_IJS8_SA_EEENS0_18inequality_wrapperIZN2at6native12_GLOBAL__N_124unique_dim_cuda_templateIsEESt5tupleIJNSF_6TensorESK_SK_EERKSK_lbbbEUlllE0_EEPmJS9_EEE10hipError_tPvRmT3_T4_T5_T6_T7_T9_mT8_P12ihipStream_tbDpT10_ENKUlT_T0_E_clISt17integral_constantIbLb0EES19_IbLb1EEEEDaS15_S16_EUlS15_E_NS1_11comp_targetILNS1_3genE3ELNS1_11target_archE908ELNS1_3gpuE7ELNS1_3repE0EEENS1_30default_config_static_selectorELNS0_4arch9wavefront6targetE1EEEvT1_ ; -- Begin function _ZN7rocprim17ROCPRIM_400000_NS6detail17trampoline_kernelINS0_14default_configENS1_25partition_config_selectorILNS1_17partition_subalgoE9EllbEEZZNS1_14partition_implILS5_9ELb0ES3_jPlS8_PNS0_10empty_typeENS0_5tupleIJS8_S9_EEENSB_IJS8_SA_EEENS0_18inequality_wrapperIZN2at6native12_GLOBAL__N_124unique_dim_cuda_templateIsEESt5tupleIJNSF_6TensorESK_SK_EERKSK_lbbbEUlllE0_EEPmJS9_EEE10hipError_tPvRmT3_T4_T5_T6_T7_T9_mT8_P12ihipStream_tbDpT10_ENKUlT_T0_E_clISt17integral_constantIbLb0EES19_IbLb1EEEEDaS15_S16_EUlS15_E_NS1_11comp_targetILNS1_3genE3ELNS1_11target_archE908ELNS1_3gpuE7ELNS1_3repE0EEENS1_30default_config_static_selectorELNS0_4arch9wavefront6targetE1EEEvT1_
	.p2align	8
	.type	_ZN7rocprim17ROCPRIM_400000_NS6detail17trampoline_kernelINS0_14default_configENS1_25partition_config_selectorILNS1_17partition_subalgoE9EllbEEZZNS1_14partition_implILS5_9ELb0ES3_jPlS8_PNS0_10empty_typeENS0_5tupleIJS8_S9_EEENSB_IJS8_SA_EEENS0_18inequality_wrapperIZN2at6native12_GLOBAL__N_124unique_dim_cuda_templateIsEESt5tupleIJNSF_6TensorESK_SK_EERKSK_lbbbEUlllE0_EEPmJS9_EEE10hipError_tPvRmT3_T4_T5_T6_T7_T9_mT8_P12ihipStream_tbDpT10_ENKUlT_T0_E_clISt17integral_constantIbLb0EES19_IbLb1EEEEDaS15_S16_EUlS15_E_NS1_11comp_targetILNS1_3genE3ELNS1_11target_archE908ELNS1_3gpuE7ELNS1_3repE0EEENS1_30default_config_static_selectorELNS0_4arch9wavefront6targetE1EEEvT1_,@function
_ZN7rocprim17ROCPRIM_400000_NS6detail17trampoline_kernelINS0_14default_configENS1_25partition_config_selectorILNS1_17partition_subalgoE9EllbEEZZNS1_14partition_implILS5_9ELb0ES3_jPlS8_PNS0_10empty_typeENS0_5tupleIJS8_S9_EEENSB_IJS8_SA_EEENS0_18inequality_wrapperIZN2at6native12_GLOBAL__N_124unique_dim_cuda_templateIsEESt5tupleIJNSF_6TensorESK_SK_EERKSK_lbbbEUlllE0_EEPmJS9_EEE10hipError_tPvRmT3_T4_T5_T6_T7_T9_mT8_P12ihipStream_tbDpT10_ENKUlT_T0_E_clISt17integral_constantIbLb0EES19_IbLb1EEEEDaS15_S16_EUlS15_E_NS1_11comp_targetILNS1_3genE3ELNS1_11target_archE908ELNS1_3gpuE7ELNS1_3repE0EEENS1_30default_config_static_selectorELNS0_4arch9wavefront6targetE1EEEvT1_: ; @_ZN7rocprim17ROCPRIM_400000_NS6detail17trampoline_kernelINS0_14default_configENS1_25partition_config_selectorILNS1_17partition_subalgoE9EllbEEZZNS1_14partition_implILS5_9ELb0ES3_jPlS8_PNS0_10empty_typeENS0_5tupleIJS8_S9_EEENSB_IJS8_SA_EEENS0_18inequality_wrapperIZN2at6native12_GLOBAL__N_124unique_dim_cuda_templateIsEESt5tupleIJNSF_6TensorESK_SK_EERKSK_lbbbEUlllE0_EEPmJS9_EEE10hipError_tPvRmT3_T4_T5_T6_T7_T9_mT8_P12ihipStream_tbDpT10_ENKUlT_T0_E_clISt17integral_constantIbLb0EES19_IbLb1EEEEDaS15_S16_EUlS15_E_NS1_11comp_targetILNS1_3genE3ELNS1_11target_archE908ELNS1_3gpuE7ELNS1_3repE0EEENS1_30default_config_static_selectorELNS0_4arch9wavefront6targetE1EEEvT1_
; %bb.0:
	.section	.rodata,"a",@progbits
	.p2align	6, 0x0
	.amdhsa_kernel _ZN7rocprim17ROCPRIM_400000_NS6detail17trampoline_kernelINS0_14default_configENS1_25partition_config_selectorILNS1_17partition_subalgoE9EllbEEZZNS1_14partition_implILS5_9ELb0ES3_jPlS8_PNS0_10empty_typeENS0_5tupleIJS8_S9_EEENSB_IJS8_SA_EEENS0_18inequality_wrapperIZN2at6native12_GLOBAL__N_124unique_dim_cuda_templateIsEESt5tupleIJNSF_6TensorESK_SK_EERKSK_lbbbEUlllE0_EEPmJS9_EEE10hipError_tPvRmT3_T4_T5_T6_T7_T9_mT8_P12ihipStream_tbDpT10_ENKUlT_T0_E_clISt17integral_constantIbLb0EES19_IbLb1EEEEDaS15_S16_EUlS15_E_NS1_11comp_targetILNS1_3genE3ELNS1_11target_archE908ELNS1_3gpuE7ELNS1_3repE0EEENS1_30default_config_static_selectorELNS0_4arch9wavefront6targetE1EEEvT1_
		.amdhsa_group_segment_fixed_size 0
		.amdhsa_private_segment_fixed_size 0
		.amdhsa_kernarg_size 136
		.amdhsa_user_sgpr_count 2
		.amdhsa_user_sgpr_dispatch_ptr 0
		.amdhsa_user_sgpr_queue_ptr 0
		.amdhsa_user_sgpr_kernarg_segment_ptr 1
		.amdhsa_user_sgpr_dispatch_id 0
		.amdhsa_user_sgpr_kernarg_preload_length 0
		.amdhsa_user_sgpr_kernarg_preload_offset 0
		.amdhsa_user_sgpr_private_segment_size 0
		.amdhsa_uses_dynamic_stack 0
		.amdhsa_enable_private_segment 0
		.amdhsa_system_sgpr_workgroup_id_x 1
		.amdhsa_system_sgpr_workgroup_id_y 0
		.amdhsa_system_sgpr_workgroup_id_z 0
		.amdhsa_system_sgpr_workgroup_info 0
		.amdhsa_system_vgpr_workitem_id 0
		.amdhsa_next_free_vgpr 1
		.amdhsa_next_free_sgpr 0
		.amdhsa_accum_offset 4
		.amdhsa_reserve_vcc 0
		.amdhsa_float_round_mode_32 0
		.amdhsa_float_round_mode_16_64 0
		.amdhsa_float_denorm_mode_32 3
		.amdhsa_float_denorm_mode_16_64 3
		.amdhsa_dx10_clamp 1
		.amdhsa_ieee_mode 1
		.amdhsa_fp16_overflow 0
		.amdhsa_tg_split 0
		.amdhsa_exception_fp_ieee_invalid_op 0
		.amdhsa_exception_fp_denorm_src 0
		.amdhsa_exception_fp_ieee_div_zero 0
		.amdhsa_exception_fp_ieee_overflow 0
		.amdhsa_exception_fp_ieee_underflow 0
		.amdhsa_exception_fp_ieee_inexact 0
		.amdhsa_exception_int_div_zero 0
	.end_amdhsa_kernel
	.section	.text._ZN7rocprim17ROCPRIM_400000_NS6detail17trampoline_kernelINS0_14default_configENS1_25partition_config_selectorILNS1_17partition_subalgoE9EllbEEZZNS1_14partition_implILS5_9ELb0ES3_jPlS8_PNS0_10empty_typeENS0_5tupleIJS8_S9_EEENSB_IJS8_SA_EEENS0_18inequality_wrapperIZN2at6native12_GLOBAL__N_124unique_dim_cuda_templateIsEESt5tupleIJNSF_6TensorESK_SK_EERKSK_lbbbEUlllE0_EEPmJS9_EEE10hipError_tPvRmT3_T4_T5_T6_T7_T9_mT8_P12ihipStream_tbDpT10_ENKUlT_T0_E_clISt17integral_constantIbLb0EES19_IbLb1EEEEDaS15_S16_EUlS15_E_NS1_11comp_targetILNS1_3genE3ELNS1_11target_archE908ELNS1_3gpuE7ELNS1_3repE0EEENS1_30default_config_static_selectorELNS0_4arch9wavefront6targetE1EEEvT1_,"axG",@progbits,_ZN7rocprim17ROCPRIM_400000_NS6detail17trampoline_kernelINS0_14default_configENS1_25partition_config_selectorILNS1_17partition_subalgoE9EllbEEZZNS1_14partition_implILS5_9ELb0ES3_jPlS8_PNS0_10empty_typeENS0_5tupleIJS8_S9_EEENSB_IJS8_SA_EEENS0_18inequality_wrapperIZN2at6native12_GLOBAL__N_124unique_dim_cuda_templateIsEESt5tupleIJNSF_6TensorESK_SK_EERKSK_lbbbEUlllE0_EEPmJS9_EEE10hipError_tPvRmT3_T4_T5_T6_T7_T9_mT8_P12ihipStream_tbDpT10_ENKUlT_T0_E_clISt17integral_constantIbLb0EES19_IbLb1EEEEDaS15_S16_EUlS15_E_NS1_11comp_targetILNS1_3genE3ELNS1_11target_archE908ELNS1_3gpuE7ELNS1_3repE0EEENS1_30default_config_static_selectorELNS0_4arch9wavefront6targetE1EEEvT1_,comdat
.Lfunc_end749:
	.size	_ZN7rocprim17ROCPRIM_400000_NS6detail17trampoline_kernelINS0_14default_configENS1_25partition_config_selectorILNS1_17partition_subalgoE9EllbEEZZNS1_14partition_implILS5_9ELb0ES3_jPlS8_PNS0_10empty_typeENS0_5tupleIJS8_S9_EEENSB_IJS8_SA_EEENS0_18inequality_wrapperIZN2at6native12_GLOBAL__N_124unique_dim_cuda_templateIsEESt5tupleIJNSF_6TensorESK_SK_EERKSK_lbbbEUlllE0_EEPmJS9_EEE10hipError_tPvRmT3_T4_T5_T6_T7_T9_mT8_P12ihipStream_tbDpT10_ENKUlT_T0_E_clISt17integral_constantIbLb0EES19_IbLb1EEEEDaS15_S16_EUlS15_E_NS1_11comp_targetILNS1_3genE3ELNS1_11target_archE908ELNS1_3gpuE7ELNS1_3repE0EEENS1_30default_config_static_selectorELNS0_4arch9wavefront6targetE1EEEvT1_, .Lfunc_end749-_ZN7rocprim17ROCPRIM_400000_NS6detail17trampoline_kernelINS0_14default_configENS1_25partition_config_selectorILNS1_17partition_subalgoE9EllbEEZZNS1_14partition_implILS5_9ELb0ES3_jPlS8_PNS0_10empty_typeENS0_5tupleIJS8_S9_EEENSB_IJS8_SA_EEENS0_18inequality_wrapperIZN2at6native12_GLOBAL__N_124unique_dim_cuda_templateIsEESt5tupleIJNSF_6TensorESK_SK_EERKSK_lbbbEUlllE0_EEPmJS9_EEE10hipError_tPvRmT3_T4_T5_T6_T7_T9_mT8_P12ihipStream_tbDpT10_ENKUlT_T0_E_clISt17integral_constantIbLb0EES19_IbLb1EEEEDaS15_S16_EUlS15_E_NS1_11comp_targetILNS1_3genE3ELNS1_11target_archE908ELNS1_3gpuE7ELNS1_3repE0EEENS1_30default_config_static_selectorELNS0_4arch9wavefront6targetE1EEEvT1_
                                        ; -- End function
	.section	.AMDGPU.csdata,"",@progbits
; Kernel info:
; codeLenInByte = 0
; NumSgprs: 6
; NumVgprs: 0
; NumAgprs: 0
; TotalNumVgprs: 0
; ScratchSize: 0
; MemoryBound: 0
; FloatMode: 240
; IeeeMode: 1
; LDSByteSize: 0 bytes/workgroup (compile time only)
; SGPRBlocks: 0
; VGPRBlocks: 0
; NumSGPRsForWavesPerEU: 6
; NumVGPRsForWavesPerEU: 1
; AccumOffset: 4
; Occupancy: 8
; WaveLimiterHint : 0
; COMPUTE_PGM_RSRC2:SCRATCH_EN: 0
; COMPUTE_PGM_RSRC2:USER_SGPR: 2
; COMPUTE_PGM_RSRC2:TRAP_HANDLER: 0
; COMPUTE_PGM_RSRC2:TGID_X_EN: 1
; COMPUTE_PGM_RSRC2:TGID_Y_EN: 0
; COMPUTE_PGM_RSRC2:TGID_Z_EN: 0
; COMPUTE_PGM_RSRC2:TIDIG_COMP_CNT: 0
; COMPUTE_PGM_RSRC3_GFX90A:ACCUM_OFFSET: 0
; COMPUTE_PGM_RSRC3_GFX90A:TG_SPLIT: 0
	.section	.text._ZN7rocprim17ROCPRIM_400000_NS6detail17trampoline_kernelINS0_14default_configENS1_25partition_config_selectorILNS1_17partition_subalgoE9EllbEEZZNS1_14partition_implILS5_9ELb0ES3_jPlS8_PNS0_10empty_typeENS0_5tupleIJS8_S9_EEENSB_IJS8_SA_EEENS0_18inequality_wrapperIZN2at6native12_GLOBAL__N_124unique_dim_cuda_templateIsEESt5tupleIJNSF_6TensorESK_SK_EERKSK_lbbbEUlllE0_EEPmJS9_EEE10hipError_tPvRmT3_T4_T5_T6_T7_T9_mT8_P12ihipStream_tbDpT10_ENKUlT_T0_E_clISt17integral_constantIbLb0EES19_IbLb1EEEEDaS15_S16_EUlS15_E_NS1_11comp_targetILNS1_3genE2ELNS1_11target_archE906ELNS1_3gpuE6ELNS1_3repE0EEENS1_30default_config_static_selectorELNS0_4arch9wavefront6targetE1EEEvT1_,"axG",@progbits,_ZN7rocprim17ROCPRIM_400000_NS6detail17trampoline_kernelINS0_14default_configENS1_25partition_config_selectorILNS1_17partition_subalgoE9EllbEEZZNS1_14partition_implILS5_9ELb0ES3_jPlS8_PNS0_10empty_typeENS0_5tupleIJS8_S9_EEENSB_IJS8_SA_EEENS0_18inequality_wrapperIZN2at6native12_GLOBAL__N_124unique_dim_cuda_templateIsEESt5tupleIJNSF_6TensorESK_SK_EERKSK_lbbbEUlllE0_EEPmJS9_EEE10hipError_tPvRmT3_T4_T5_T6_T7_T9_mT8_P12ihipStream_tbDpT10_ENKUlT_T0_E_clISt17integral_constantIbLb0EES19_IbLb1EEEEDaS15_S16_EUlS15_E_NS1_11comp_targetILNS1_3genE2ELNS1_11target_archE906ELNS1_3gpuE6ELNS1_3repE0EEENS1_30default_config_static_selectorELNS0_4arch9wavefront6targetE1EEEvT1_,comdat
	.globl	_ZN7rocprim17ROCPRIM_400000_NS6detail17trampoline_kernelINS0_14default_configENS1_25partition_config_selectorILNS1_17partition_subalgoE9EllbEEZZNS1_14partition_implILS5_9ELb0ES3_jPlS8_PNS0_10empty_typeENS0_5tupleIJS8_S9_EEENSB_IJS8_SA_EEENS0_18inequality_wrapperIZN2at6native12_GLOBAL__N_124unique_dim_cuda_templateIsEESt5tupleIJNSF_6TensorESK_SK_EERKSK_lbbbEUlllE0_EEPmJS9_EEE10hipError_tPvRmT3_T4_T5_T6_T7_T9_mT8_P12ihipStream_tbDpT10_ENKUlT_T0_E_clISt17integral_constantIbLb0EES19_IbLb1EEEEDaS15_S16_EUlS15_E_NS1_11comp_targetILNS1_3genE2ELNS1_11target_archE906ELNS1_3gpuE6ELNS1_3repE0EEENS1_30default_config_static_selectorELNS0_4arch9wavefront6targetE1EEEvT1_ ; -- Begin function _ZN7rocprim17ROCPRIM_400000_NS6detail17trampoline_kernelINS0_14default_configENS1_25partition_config_selectorILNS1_17partition_subalgoE9EllbEEZZNS1_14partition_implILS5_9ELb0ES3_jPlS8_PNS0_10empty_typeENS0_5tupleIJS8_S9_EEENSB_IJS8_SA_EEENS0_18inequality_wrapperIZN2at6native12_GLOBAL__N_124unique_dim_cuda_templateIsEESt5tupleIJNSF_6TensorESK_SK_EERKSK_lbbbEUlllE0_EEPmJS9_EEE10hipError_tPvRmT3_T4_T5_T6_T7_T9_mT8_P12ihipStream_tbDpT10_ENKUlT_T0_E_clISt17integral_constantIbLb0EES19_IbLb1EEEEDaS15_S16_EUlS15_E_NS1_11comp_targetILNS1_3genE2ELNS1_11target_archE906ELNS1_3gpuE6ELNS1_3repE0EEENS1_30default_config_static_selectorELNS0_4arch9wavefront6targetE1EEEvT1_
	.p2align	8
	.type	_ZN7rocprim17ROCPRIM_400000_NS6detail17trampoline_kernelINS0_14default_configENS1_25partition_config_selectorILNS1_17partition_subalgoE9EllbEEZZNS1_14partition_implILS5_9ELb0ES3_jPlS8_PNS0_10empty_typeENS0_5tupleIJS8_S9_EEENSB_IJS8_SA_EEENS0_18inequality_wrapperIZN2at6native12_GLOBAL__N_124unique_dim_cuda_templateIsEESt5tupleIJNSF_6TensorESK_SK_EERKSK_lbbbEUlllE0_EEPmJS9_EEE10hipError_tPvRmT3_T4_T5_T6_T7_T9_mT8_P12ihipStream_tbDpT10_ENKUlT_T0_E_clISt17integral_constantIbLb0EES19_IbLb1EEEEDaS15_S16_EUlS15_E_NS1_11comp_targetILNS1_3genE2ELNS1_11target_archE906ELNS1_3gpuE6ELNS1_3repE0EEENS1_30default_config_static_selectorELNS0_4arch9wavefront6targetE1EEEvT1_,@function
_ZN7rocprim17ROCPRIM_400000_NS6detail17trampoline_kernelINS0_14default_configENS1_25partition_config_selectorILNS1_17partition_subalgoE9EllbEEZZNS1_14partition_implILS5_9ELb0ES3_jPlS8_PNS0_10empty_typeENS0_5tupleIJS8_S9_EEENSB_IJS8_SA_EEENS0_18inequality_wrapperIZN2at6native12_GLOBAL__N_124unique_dim_cuda_templateIsEESt5tupleIJNSF_6TensorESK_SK_EERKSK_lbbbEUlllE0_EEPmJS9_EEE10hipError_tPvRmT3_T4_T5_T6_T7_T9_mT8_P12ihipStream_tbDpT10_ENKUlT_T0_E_clISt17integral_constantIbLb0EES19_IbLb1EEEEDaS15_S16_EUlS15_E_NS1_11comp_targetILNS1_3genE2ELNS1_11target_archE906ELNS1_3gpuE6ELNS1_3repE0EEENS1_30default_config_static_selectorELNS0_4arch9wavefront6targetE1EEEvT1_: ; @_ZN7rocprim17ROCPRIM_400000_NS6detail17trampoline_kernelINS0_14default_configENS1_25partition_config_selectorILNS1_17partition_subalgoE9EllbEEZZNS1_14partition_implILS5_9ELb0ES3_jPlS8_PNS0_10empty_typeENS0_5tupleIJS8_S9_EEENSB_IJS8_SA_EEENS0_18inequality_wrapperIZN2at6native12_GLOBAL__N_124unique_dim_cuda_templateIsEESt5tupleIJNSF_6TensorESK_SK_EERKSK_lbbbEUlllE0_EEPmJS9_EEE10hipError_tPvRmT3_T4_T5_T6_T7_T9_mT8_P12ihipStream_tbDpT10_ENKUlT_T0_E_clISt17integral_constantIbLb0EES19_IbLb1EEEEDaS15_S16_EUlS15_E_NS1_11comp_targetILNS1_3genE2ELNS1_11target_archE906ELNS1_3gpuE6ELNS1_3repE0EEENS1_30default_config_static_selectorELNS0_4arch9wavefront6targetE1EEEvT1_
; %bb.0:
	.section	.rodata,"a",@progbits
	.p2align	6, 0x0
	.amdhsa_kernel _ZN7rocprim17ROCPRIM_400000_NS6detail17trampoline_kernelINS0_14default_configENS1_25partition_config_selectorILNS1_17partition_subalgoE9EllbEEZZNS1_14partition_implILS5_9ELb0ES3_jPlS8_PNS0_10empty_typeENS0_5tupleIJS8_S9_EEENSB_IJS8_SA_EEENS0_18inequality_wrapperIZN2at6native12_GLOBAL__N_124unique_dim_cuda_templateIsEESt5tupleIJNSF_6TensorESK_SK_EERKSK_lbbbEUlllE0_EEPmJS9_EEE10hipError_tPvRmT3_T4_T5_T6_T7_T9_mT8_P12ihipStream_tbDpT10_ENKUlT_T0_E_clISt17integral_constantIbLb0EES19_IbLb1EEEEDaS15_S16_EUlS15_E_NS1_11comp_targetILNS1_3genE2ELNS1_11target_archE906ELNS1_3gpuE6ELNS1_3repE0EEENS1_30default_config_static_selectorELNS0_4arch9wavefront6targetE1EEEvT1_
		.amdhsa_group_segment_fixed_size 0
		.amdhsa_private_segment_fixed_size 0
		.amdhsa_kernarg_size 136
		.amdhsa_user_sgpr_count 2
		.amdhsa_user_sgpr_dispatch_ptr 0
		.amdhsa_user_sgpr_queue_ptr 0
		.amdhsa_user_sgpr_kernarg_segment_ptr 1
		.amdhsa_user_sgpr_dispatch_id 0
		.amdhsa_user_sgpr_kernarg_preload_length 0
		.amdhsa_user_sgpr_kernarg_preload_offset 0
		.amdhsa_user_sgpr_private_segment_size 0
		.amdhsa_uses_dynamic_stack 0
		.amdhsa_enable_private_segment 0
		.amdhsa_system_sgpr_workgroup_id_x 1
		.amdhsa_system_sgpr_workgroup_id_y 0
		.amdhsa_system_sgpr_workgroup_id_z 0
		.amdhsa_system_sgpr_workgroup_info 0
		.amdhsa_system_vgpr_workitem_id 0
		.amdhsa_next_free_vgpr 1
		.amdhsa_next_free_sgpr 0
		.amdhsa_accum_offset 4
		.amdhsa_reserve_vcc 0
		.amdhsa_float_round_mode_32 0
		.amdhsa_float_round_mode_16_64 0
		.amdhsa_float_denorm_mode_32 3
		.amdhsa_float_denorm_mode_16_64 3
		.amdhsa_dx10_clamp 1
		.amdhsa_ieee_mode 1
		.amdhsa_fp16_overflow 0
		.amdhsa_tg_split 0
		.amdhsa_exception_fp_ieee_invalid_op 0
		.amdhsa_exception_fp_denorm_src 0
		.amdhsa_exception_fp_ieee_div_zero 0
		.amdhsa_exception_fp_ieee_overflow 0
		.amdhsa_exception_fp_ieee_underflow 0
		.amdhsa_exception_fp_ieee_inexact 0
		.amdhsa_exception_int_div_zero 0
	.end_amdhsa_kernel
	.section	.text._ZN7rocprim17ROCPRIM_400000_NS6detail17trampoline_kernelINS0_14default_configENS1_25partition_config_selectorILNS1_17partition_subalgoE9EllbEEZZNS1_14partition_implILS5_9ELb0ES3_jPlS8_PNS0_10empty_typeENS0_5tupleIJS8_S9_EEENSB_IJS8_SA_EEENS0_18inequality_wrapperIZN2at6native12_GLOBAL__N_124unique_dim_cuda_templateIsEESt5tupleIJNSF_6TensorESK_SK_EERKSK_lbbbEUlllE0_EEPmJS9_EEE10hipError_tPvRmT3_T4_T5_T6_T7_T9_mT8_P12ihipStream_tbDpT10_ENKUlT_T0_E_clISt17integral_constantIbLb0EES19_IbLb1EEEEDaS15_S16_EUlS15_E_NS1_11comp_targetILNS1_3genE2ELNS1_11target_archE906ELNS1_3gpuE6ELNS1_3repE0EEENS1_30default_config_static_selectorELNS0_4arch9wavefront6targetE1EEEvT1_,"axG",@progbits,_ZN7rocprim17ROCPRIM_400000_NS6detail17trampoline_kernelINS0_14default_configENS1_25partition_config_selectorILNS1_17partition_subalgoE9EllbEEZZNS1_14partition_implILS5_9ELb0ES3_jPlS8_PNS0_10empty_typeENS0_5tupleIJS8_S9_EEENSB_IJS8_SA_EEENS0_18inequality_wrapperIZN2at6native12_GLOBAL__N_124unique_dim_cuda_templateIsEESt5tupleIJNSF_6TensorESK_SK_EERKSK_lbbbEUlllE0_EEPmJS9_EEE10hipError_tPvRmT3_T4_T5_T6_T7_T9_mT8_P12ihipStream_tbDpT10_ENKUlT_T0_E_clISt17integral_constantIbLb0EES19_IbLb1EEEEDaS15_S16_EUlS15_E_NS1_11comp_targetILNS1_3genE2ELNS1_11target_archE906ELNS1_3gpuE6ELNS1_3repE0EEENS1_30default_config_static_selectorELNS0_4arch9wavefront6targetE1EEEvT1_,comdat
.Lfunc_end750:
	.size	_ZN7rocprim17ROCPRIM_400000_NS6detail17trampoline_kernelINS0_14default_configENS1_25partition_config_selectorILNS1_17partition_subalgoE9EllbEEZZNS1_14partition_implILS5_9ELb0ES3_jPlS8_PNS0_10empty_typeENS0_5tupleIJS8_S9_EEENSB_IJS8_SA_EEENS0_18inequality_wrapperIZN2at6native12_GLOBAL__N_124unique_dim_cuda_templateIsEESt5tupleIJNSF_6TensorESK_SK_EERKSK_lbbbEUlllE0_EEPmJS9_EEE10hipError_tPvRmT3_T4_T5_T6_T7_T9_mT8_P12ihipStream_tbDpT10_ENKUlT_T0_E_clISt17integral_constantIbLb0EES19_IbLb1EEEEDaS15_S16_EUlS15_E_NS1_11comp_targetILNS1_3genE2ELNS1_11target_archE906ELNS1_3gpuE6ELNS1_3repE0EEENS1_30default_config_static_selectorELNS0_4arch9wavefront6targetE1EEEvT1_, .Lfunc_end750-_ZN7rocprim17ROCPRIM_400000_NS6detail17trampoline_kernelINS0_14default_configENS1_25partition_config_selectorILNS1_17partition_subalgoE9EllbEEZZNS1_14partition_implILS5_9ELb0ES3_jPlS8_PNS0_10empty_typeENS0_5tupleIJS8_S9_EEENSB_IJS8_SA_EEENS0_18inequality_wrapperIZN2at6native12_GLOBAL__N_124unique_dim_cuda_templateIsEESt5tupleIJNSF_6TensorESK_SK_EERKSK_lbbbEUlllE0_EEPmJS9_EEE10hipError_tPvRmT3_T4_T5_T6_T7_T9_mT8_P12ihipStream_tbDpT10_ENKUlT_T0_E_clISt17integral_constantIbLb0EES19_IbLb1EEEEDaS15_S16_EUlS15_E_NS1_11comp_targetILNS1_3genE2ELNS1_11target_archE906ELNS1_3gpuE6ELNS1_3repE0EEENS1_30default_config_static_selectorELNS0_4arch9wavefront6targetE1EEEvT1_
                                        ; -- End function
	.section	.AMDGPU.csdata,"",@progbits
; Kernel info:
; codeLenInByte = 0
; NumSgprs: 6
; NumVgprs: 0
; NumAgprs: 0
; TotalNumVgprs: 0
; ScratchSize: 0
; MemoryBound: 0
; FloatMode: 240
; IeeeMode: 1
; LDSByteSize: 0 bytes/workgroup (compile time only)
; SGPRBlocks: 0
; VGPRBlocks: 0
; NumSGPRsForWavesPerEU: 6
; NumVGPRsForWavesPerEU: 1
; AccumOffset: 4
; Occupancy: 8
; WaveLimiterHint : 0
; COMPUTE_PGM_RSRC2:SCRATCH_EN: 0
; COMPUTE_PGM_RSRC2:USER_SGPR: 2
; COMPUTE_PGM_RSRC2:TRAP_HANDLER: 0
; COMPUTE_PGM_RSRC2:TGID_X_EN: 1
; COMPUTE_PGM_RSRC2:TGID_Y_EN: 0
; COMPUTE_PGM_RSRC2:TGID_Z_EN: 0
; COMPUTE_PGM_RSRC2:TIDIG_COMP_CNT: 0
; COMPUTE_PGM_RSRC3_GFX90A:ACCUM_OFFSET: 0
; COMPUTE_PGM_RSRC3_GFX90A:TG_SPLIT: 0
	.section	.text._ZN7rocprim17ROCPRIM_400000_NS6detail17trampoline_kernelINS0_14default_configENS1_25partition_config_selectorILNS1_17partition_subalgoE9EllbEEZZNS1_14partition_implILS5_9ELb0ES3_jPlS8_PNS0_10empty_typeENS0_5tupleIJS8_S9_EEENSB_IJS8_SA_EEENS0_18inequality_wrapperIZN2at6native12_GLOBAL__N_124unique_dim_cuda_templateIsEESt5tupleIJNSF_6TensorESK_SK_EERKSK_lbbbEUlllE0_EEPmJS9_EEE10hipError_tPvRmT3_T4_T5_T6_T7_T9_mT8_P12ihipStream_tbDpT10_ENKUlT_T0_E_clISt17integral_constantIbLb0EES19_IbLb1EEEEDaS15_S16_EUlS15_E_NS1_11comp_targetILNS1_3genE10ELNS1_11target_archE1200ELNS1_3gpuE4ELNS1_3repE0EEENS1_30default_config_static_selectorELNS0_4arch9wavefront6targetE1EEEvT1_,"axG",@progbits,_ZN7rocprim17ROCPRIM_400000_NS6detail17trampoline_kernelINS0_14default_configENS1_25partition_config_selectorILNS1_17partition_subalgoE9EllbEEZZNS1_14partition_implILS5_9ELb0ES3_jPlS8_PNS0_10empty_typeENS0_5tupleIJS8_S9_EEENSB_IJS8_SA_EEENS0_18inequality_wrapperIZN2at6native12_GLOBAL__N_124unique_dim_cuda_templateIsEESt5tupleIJNSF_6TensorESK_SK_EERKSK_lbbbEUlllE0_EEPmJS9_EEE10hipError_tPvRmT3_T4_T5_T6_T7_T9_mT8_P12ihipStream_tbDpT10_ENKUlT_T0_E_clISt17integral_constantIbLb0EES19_IbLb1EEEEDaS15_S16_EUlS15_E_NS1_11comp_targetILNS1_3genE10ELNS1_11target_archE1200ELNS1_3gpuE4ELNS1_3repE0EEENS1_30default_config_static_selectorELNS0_4arch9wavefront6targetE1EEEvT1_,comdat
	.globl	_ZN7rocprim17ROCPRIM_400000_NS6detail17trampoline_kernelINS0_14default_configENS1_25partition_config_selectorILNS1_17partition_subalgoE9EllbEEZZNS1_14partition_implILS5_9ELb0ES3_jPlS8_PNS0_10empty_typeENS0_5tupleIJS8_S9_EEENSB_IJS8_SA_EEENS0_18inequality_wrapperIZN2at6native12_GLOBAL__N_124unique_dim_cuda_templateIsEESt5tupleIJNSF_6TensorESK_SK_EERKSK_lbbbEUlllE0_EEPmJS9_EEE10hipError_tPvRmT3_T4_T5_T6_T7_T9_mT8_P12ihipStream_tbDpT10_ENKUlT_T0_E_clISt17integral_constantIbLb0EES19_IbLb1EEEEDaS15_S16_EUlS15_E_NS1_11comp_targetILNS1_3genE10ELNS1_11target_archE1200ELNS1_3gpuE4ELNS1_3repE0EEENS1_30default_config_static_selectorELNS0_4arch9wavefront6targetE1EEEvT1_ ; -- Begin function _ZN7rocprim17ROCPRIM_400000_NS6detail17trampoline_kernelINS0_14default_configENS1_25partition_config_selectorILNS1_17partition_subalgoE9EllbEEZZNS1_14partition_implILS5_9ELb0ES3_jPlS8_PNS0_10empty_typeENS0_5tupleIJS8_S9_EEENSB_IJS8_SA_EEENS0_18inequality_wrapperIZN2at6native12_GLOBAL__N_124unique_dim_cuda_templateIsEESt5tupleIJNSF_6TensorESK_SK_EERKSK_lbbbEUlllE0_EEPmJS9_EEE10hipError_tPvRmT3_T4_T5_T6_T7_T9_mT8_P12ihipStream_tbDpT10_ENKUlT_T0_E_clISt17integral_constantIbLb0EES19_IbLb1EEEEDaS15_S16_EUlS15_E_NS1_11comp_targetILNS1_3genE10ELNS1_11target_archE1200ELNS1_3gpuE4ELNS1_3repE0EEENS1_30default_config_static_selectorELNS0_4arch9wavefront6targetE1EEEvT1_
	.p2align	8
	.type	_ZN7rocprim17ROCPRIM_400000_NS6detail17trampoline_kernelINS0_14default_configENS1_25partition_config_selectorILNS1_17partition_subalgoE9EllbEEZZNS1_14partition_implILS5_9ELb0ES3_jPlS8_PNS0_10empty_typeENS0_5tupleIJS8_S9_EEENSB_IJS8_SA_EEENS0_18inequality_wrapperIZN2at6native12_GLOBAL__N_124unique_dim_cuda_templateIsEESt5tupleIJNSF_6TensorESK_SK_EERKSK_lbbbEUlllE0_EEPmJS9_EEE10hipError_tPvRmT3_T4_T5_T6_T7_T9_mT8_P12ihipStream_tbDpT10_ENKUlT_T0_E_clISt17integral_constantIbLb0EES19_IbLb1EEEEDaS15_S16_EUlS15_E_NS1_11comp_targetILNS1_3genE10ELNS1_11target_archE1200ELNS1_3gpuE4ELNS1_3repE0EEENS1_30default_config_static_selectorELNS0_4arch9wavefront6targetE1EEEvT1_,@function
_ZN7rocprim17ROCPRIM_400000_NS6detail17trampoline_kernelINS0_14default_configENS1_25partition_config_selectorILNS1_17partition_subalgoE9EllbEEZZNS1_14partition_implILS5_9ELb0ES3_jPlS8_PNS0_10empty_typeENS0_5tupleIJS8_S9_EEENSB_IJS8_SA_EEENS0_18inequality_wrapperIZN2at6native12_GLOBAL__N_124unique_dim_cuda_templateIsEESt5tupleIJNSF_6TensorESK_SK_EERKSK_lbbbEUlllE0_EEPmJS9_EEE10hipError_tPvRmT3_T4_T5_T6_T7_T9_mT8_P12ihipStream_tbDpT10_ENKUlT_T0_E_clISt17integral_constantIbLb0EES19_IbLb1EEEEDaS15_S16_EUlS15_E_NS1_11comp_targetILNS1_3genE10ELNS1_11target_archE1200ELNS1_3gpuE4ELNS1_3repE0EEENS1_30default_config_static_selectorELNS0_4arch9wavefront6targetE1EEEvT1_: ; @_ZN7rocprim17ROCPRIM_400000_NS6detail17trampoline_kernelINS0_14default_configENS1_25partition_config_selectorILNS1_17partition_subalgoE9EllbEEZZNS1_14partition_implILS5_9ELb0ES3_jPlS8_PNS0_10empty_typeENS0_5tupleIJS8_S9_EEENSB_IJS8_SA_EEENS0_18inequality_wrapperIZN2at6native12_GLOBAL__N_124unique_dim_cuda_templateIsEESt5tupleIJNSF_6TensorESK_SK_EERKSK_lbbbEUlllE0_EEPmJS9_EEE10hipError_tPvRmT3_T4_T5_T6_T7_T9_mT8_P12ihipStream_tbDpT10_ENKUlT_T0_E_clISt17integral_constantIbLb0EES19_IbLb1EEEEDaS15_S16_EUlS15_E_NS1_11comp_targetILNS1_3genE10ELNS1_11target_archE1200ELNS1_3gpuE4ELNS1_3repE0EEENS1_30default_config_static_selectorELNS0_4arch9wavefront6targetE1EEEvT1_
; %bb.0:
	.section	.rodata,"a",@progbits
	.p2align	6, 0x0
	.amdhsa_kernel _ZN7rocprim17ROCPRIM_400000_NS6detail17trampoline_kernelINS0_14default_configENS1_25partition_config_selectorILNS1_17partition_subalgoE9EllbEEZZNS1_14partition_implILS5_9ELb0ES3_jPlS8_PNS0_10empty_typeENS0_5tupleIJS8_S9_EEENSB_IJS8_SA_EEENS0_18inequality_wrapperIZN2at6native12_GLOBAL__N_124unique_dim_cuda_templateIsEESt5tupleIJNSF_6TensorESK_SK_EERKSK_lbbbEUlllE0_EEPmJS9_EEE10hipError_tPvRmT3_T4_T5_T6_T7_T9_mT8_P12ihipStream_tbDpT10_ENKUlT_T0_E_clISt17integral_constantIbLb0EES19_IbLb1EEEEDaS15_S16_EUlS15_E_NS1_11comp_targetILNS1_3genE10ELNS1_11target_archE1200ELNS1_3gpuE4ELNS1_3repE0EEENS1_30default_config_static_selectorELNS0_4arch9wavefront6targetE1EEEvT1_
		.amdhsa_group_segment_fixed_size 0
		.amdhsa_private_segment_fixed_size 0
		.amdhsa_kernarg_size 136
		.amdhsa_user_sgpr_count 2
		.amdhsa_user_sgpr_dispatch_ptr 0
		.amdhsa_user_sgpr_queue_ptr 0
		.amdhsa_user_sgpr_kernarg_segment_ptr 1
		.amdhsa_user_sgpr_dispatch_id 0
		.amdhsa_user_sgpr_kernarg_preload_length 0
		.amdhsa_user_sgpr_kernarg_preload_offset 0
		.amdhsa_user_sgpr_private_segment_size 0
		.amdhsa_uses_dynamic_stack 0
		.amdhsa_enable_private_segment 0
		.amdhsa_system_sgpr_workgroup_id_x 1
		.amdhsa_system_sgpr_workgroup_id_y 0
		.amdhsa_system_sgpr_workgroup_id_z 0
		.amdhsa_system_sgpr_workgroup_info 0
		.amdhsa_system_vgpr_workitem_id 0
		.amdhsa_next_free_vgpr 1
		.amdhsa_next_free_sgpr 0
		.amdhsa_accum_offset 4
		.amdhsa_reserve_vcc 0
		.amdhsa_float_round_mode_32 0
		.amdhsa_float_round_mode_16_64 0
		.amdhsa_float_denorm_mode_32 3
		.amdhsa_float_denorm_mode_16_64 3
		.amdhsa_dx10_clamp 1
		.amdhsa_ieee_mode 1
		.amdhsa_fp16_overflow 0
		.amdhsa_tg_split 0
		.amdhsa_exception_fp_ieee_invalid_op 0
		.amdhsa_exception_fp_denorm_src 0
		.amdhsa_exception_fp_ieee_div_zero 0
		.amdhsa_exception_fp_ieee_overflow 0
		.amdhsa_exception_fp_ieee_underflow 0
		.amdhsa_exception_fp_ieee_inexact 0
		.amdhsa_exception_int_div_zero 0
	.end_amdhsa_kernel
	.section	.text._ZN7rocprim17ROCPRIM_400000_NS6detail17trampoline_kernelINS0_14default_configENS1_25partition_config_selectorILNS1_17partition_subalgoE9EllbEEZZNS1_14partition_implILS5_9ELb0ES3_jPlS8_PNS0_10empty_typeENS0_5tupleIJS8_S9_EEENSB_IJS8_SA_EEENS0_18inequality_wrapperIZN2at6native12_GLOBAL__N_124unique_dim_cuda_templateIsEESt5tupleIJNSF_6TensorESK_SK_EERKSK_lbbbEUlllE0_EEPmJS9_EEE10hipError_tPvRmT3_T4_T5_T6_T7_T9_mT8_P12ihipStream_tbDpT10_ENKUlT_T0_E_clISt17integral_constantIbLb0EES19_IbLb1EEEEDaS15_S16_EUlS15_E_NS1_11comp_targetILNS1_3genE10ELNS1_11target_archE1200ELNS1_3gpuE4ELNS1_3repE0EEENS1_30default_config_static_selectorELNS0_4arch9wavefront6targetE1EEEvT1_,"axG",@progbits,_ZN7rocprim17ROCPRIM_400000_NS6detail17trampoline_kernelINS0_14default_configENS1_25partition_config_selectorILNS1_17partition_subalgoE9EllbEEZZNS1_14partition_implILS5_9ELb0ES3_jPlS8_PNS0_10empty_typeENS0_5tupleIJS8_S9_EEENSB_IJS8_SA_EEENS0_18inequality_wrapperIZN2at6native12_GLOBAL__N_124unique_dim_cuda_templateIsEESt5tupleIJNSF_6TensorESK_SK_EERKSK_lbbbEUlllE0_EEPmJS9_EEE10hipError_tPvRmT3_T4_T5_T6_T7_T9_mT8_P12ihipStream_tbDpT10_ENKUlT_T0_E_clISt17integral_constantIbLb0EES19_IbLb1EEEEDaS15_S16_EUlS15_E_NS1_11comp_targetILNS1_3genE10ELNS1_11target_archE1200ELNS1_3gpuE4ELNS1_3repE0EEENS1_30default_config_static_selectorELNS0_4arch9wavefront6targetE1EEEvT1_,comdat
.Lfunc_end751:
	.size	_ZN7rocprim17ROCPRIM_400000_NS6detail17trampoline_kernelINS0_14default_configENS1_25partition_config_selectorILNS1_17partition_subalgoE9EllbEEZZNS1_14partition_implILS5_9ELb0ES3_jPlS8_PNS0_10empty_typeENS0_5tupleIJS8_S9_EEENSB_IJS8_SA_EEENS0_18inequality_wrapperIZN2at6native12_GLOBAL__N_124unique_dim_cuda_templateIsEESt5tupleIJNSF_6TensorESK_SK_EERKSK_lbbbEUlllE0_EEPmJS9_EEE10hipError_tPvRmT3_T4_T5_T6_T7_T9_mT8_P12ihipStream_tbDpT10_ENKUlT_T0_E_clISt17integral_constantIbLb0EES19_IbLb1EEEEDaS15_S16_EUlS15_E_NS1_11comp_targetILNS1_3genE10ELNS1_11target_archE1200ELNS1_3gpuE4ELNS1_3repE0EEENS1_30default_config_static_selectorELNS0_4arch9wavefront6targetE1EEEvT1_, .Lfunc_end751-_ZN7rocprim17ROCPRIM_400000_NS6detail17trampoline_kernelINS0_14default_configENS1_25partition_config_selectorILNS1_17partition_subalgoE9EllbEEZZNS1_14partition_implILS5_9ELb0ES3_jPlS8_PNS0_10empty_typeENS0_5tupleIJS8_S9_EEENSB_IJS8_SA_EEENS0_18inequality_wrapperIZN2at6native12_GLOBAL__N_124unique_dim_cuda_templateIsEESt5tupleIJNSF_6TensorESK_SK_EERKSK_lbbbEUlllE0_EEPmJS9_EEE10hipError_tPvRmT3_T4_T5_T6_T7_T9_mT8_P12ihipStream_tbDpT10_ENKUlT_T0_E_clISt17integral_constantIbLb0EES19_IbLb1EEEEDaS15_S16_EUlS15_E_NS1_11comp_targetILNS1_3genE10ELNS1_11target_archE1200ELNS1_3gpuE4ELNS1_3repE0EEENS1_30default_config_static_selectorELNS0_4arch9wavefront6targetE1EEEvT1_
                                        ; -- End function
	.section	.AMDGPU.csdata,"",@progbits
; Kernel info:
; codeLenInByte = 0
; NumSgprs: 6
; NumVgprs: 0
; NumAgprs: 0
; TotalNumVgprs: 0
; ScratchSize: 0
; MemoryBound: 0
; FloatMode: 240
; IeeeMode: 1
; LDSByteSize: 0 bytes/workgroup (compile time only)
; SGPRBlocks: 0
; VGPRBlocks: 0
; NumSGPRsForWavesPerEU: 6
; NumVGPRsForWavesPerEU: 1
; AccumOffset: 4
; Occupancy: 8
; WaveLimiterHint : 0
; COMPUTE_PGM_RSRC2:SCRATCH_EN: 0
; COMPUTE_PGM_RSRC2:USER_SGPR: 2
; COMPUTE_PGM_RSRC2:TRAP_HANDLER: 0
; COMPUTE_PGM_RSRC2:TGID_X_EN: 1
; COMPUTE_PGM_RSRC2:TGID_Y_EN: 0
; COMPUTE_PGM_RSRC2:TGID_Z_EN: 0
; COMPUTE_PGM_RSRC2:TIDIG_COMP_CNT: 0
; COMPUTE_PGM_RSRC3_GFX90A:ACCUM_OFFSET: 0
; COMPUTE_PGM_RSRC3_GFX90A:TG_SPLIT: 0
	.section	.text._ZN7rocprim17ROCPRIM_400000_NS6detail17trampoline_kernelINS0_14default_configENS1_25partition_config_selectorILNS1_17partition_subalgoE9EllbEEZZNS1_14partition_implILS5_9ELb0ES3_jPlS8_PNS0_10empty_typeENS0_5tupleIJS8_S9_EEENSB_IJS8_SA_EEENS0_18inequality_wrapperIZN2at6native12_GLOBAL__N_124unique_dim_cuda_templateIsEESt5tupleIJNSF_6TensorESK_SK_EERKSK_lbbbEUlllE0_EEPmJS9_EEE10hipError_tPvRmT3_T4_T5_T6_T7_T9_mT8_P12ihipStream_tbDpT10_ENKUlT_T0_E_clISt17integral_constantIbLb0EES19_IbLb1EEEEDaS15_S16_EUlS15_E_NS1_11comp_targetILNS1_3genE9ELNS1_11target_archE1100ELNS1_3gpuE3ELNS1_3repE0EEENS1_30default_config_static_selectorELNS0_4arch9wavefront6targetE1EEEvT1_,"axG",@progbits,_ZN7rocprim17ROCPRIM_400000_NS6detail17trampoline_kernelINS0_14default_configENS1_25partition_config_selectorILNS1_17partition_subalgoE9EllbEEZZNS1_14partition_implILS5_9ELb0ES3_jPlS8_PNS0_10empty_typeENS0_5tupleIJS8_S9_EEENSB_IJS8_SA_EEENS0_18inequality_wrapperIZN2at6native12_GLOBAL__N_124unique_dim_cuda_templateIsEESt5tupleIJNSF_6TensorESK_SK_EERKSK_lbbbEUlllE0_EEPmJS9_EEE10hipError_tPvRmT3_T4_T5_T6_T7_T9_mT8_P12ihipStream_tbDpT10_ENKUlT_T0_E_clISt17integral_constantIbLb0EES19_IbLb1EEEEDaS15_S16_EUlS15_E_NS1_11comp_targetILNS1_3genE9ELNS1_11target_archE1100ELNS1_3gpuE3ELNS1_3repE0EEENS1_30default_config_static_selectorELNS0_4arch9wavefront6targetE1EEEvT1_,comdat
	.globl	_ZN7rocprim17ROCPRIM_400000_NS6detail17trampoline_kernelINS0_14default_configENS1_25partition_config_selectorILNS1_17partition_subalgoE9EllbEEZZNS1_14partition_implILS5_9ELb0ES3_jPlS8_PNS0_10empty_typeENS0_5tupleIJS8_S9_EEENSB_IJS8_SA_EEENS0_18inequality_wrapperIZN2at6native12_GLOBAL__N_124unique_dim_cuda_templateIsEESt5tupleIJNSF_6TensorESK_SK_EERKSK_lbbbEUlllE0_EEPmJS9_EEE10hipError_tPvRmT3_T4_T5_T6_T7_T9_mT8_P12ihipStream_tbDpT10_ENKUlT_T0_E_clISt17integral_constantIbLb0EES19_IbLb1EEEEDaS15_S16_EUlS15_E_NS1_11comp_targetILNS1_3genE9ELNS1_11target_archE1100ELNS1_3gpuE3ELNS1_3repE0EEENS1_30default_config_static_selectorELNS0_4arch9wavefront6targetE1EEEvT1_ ; -- Begin function _ZN7rocprim17ROCPRIM_400000_NS6detail17trampoline_kernelINS0_14default_configENS1_25partition_config_selectorILNS1_17partition_subalgoE9EllbEEZZNS1_14partition_implILS5_9ELb0ES3_jPlS8_PNS0_10empty_typeENS0_5tupleIJS8_S9_EEENSB_IJS8_SA_EEENS0_18inequality_wrapperIZN2at6native12_GLOBAL__N_124unique_dim_cuda_templateIsEESt5tupleIJNSF_6TensorESK_SK_EERKSK_lbbbEUlllE0_EEPmJS9_EEE10hipError_tPvRmT3_T4_T5_T6_T7_T9_mT8_P12ihipStream_tbDpT10_ENKUlT_T0_E_clISt17integral_constantIbLb0EES19_IbLb1EEEEDaS15_S16_EUlS15_E_NS1_11comp_targetILNS1_3genE9ELNS1_11target_archE1100ELNS1_3gpuE3ELNS1_3repE0EEENS1_30default_config_static_selectorELNS0_4arch9wavefront6targetE1EEEvT1_
	.p2align	8
	.type	_ZN7rocprim17ROCPRIM_400000_NS6detail17trampoline_kernelINS0_14default_configENS1_25partition_config_selectorILNS1_17partition_subalgoE9EllbEEZZNS1_14partition_implILS5_9ELb0ES3_jPlS8_PNS0_10empty_typeENS0_5tupleIJS8_S9_EEENSB_IJS8_SA_EEENS0_18inequality_wrapperIZN2at6native12_GLOBAL__N_124unique_dim_cuda_templateIsEESt5tupleIJNSF_6TensorESK_SK_EERKSK_lbbbEUlllE0_EEPmJS9_EEE10hipError_tPvRmT3_T4_T5_T6_T7_T9_mT8_P12ihipStream_tbDpT10_ENKUlT_T0_E_clISt17integral_constantIbLb0EES19_IbLb1EEEEDaS15_S16_EUlS15_E_NS1_11comp_targetILNS1_3genE9ELNS1_11target_archE1100ELNS1_3gpuE3ELNS1_3repE0EEENS1_30default_config_static_selectorELNS0_4arch9wavefront6targetE1EEEvT1_,@function
_ZN7rocprim17ROCPRIM_400000_NS6detail17trampoline_kernelINS0_14default_configENS1_25partition_config_selectorILNS1_17partition_subalgoE9EllbEEZZNS1_14partition_implILS5_9ELb0ES3_jPlS8_PNS0_10empty_typeENS0_5tupleIJS8_S9_EEENSB_IJS8_SA_EEENS0_18inequality_wrapperIZN2at6native12_GLOBAL__N_124unique_dim_cuda_templateIsEESt5tupleIJNSF_6TensorESK_SK_EERKSK_lbbbEUlllE0_EEPmJS9_EEE10hipError_tPvRmT3_T4_T5_T6_T7_T9_mT8_P12ihipStream_tbDpT10_ENKUlT_T0_E_clISt17integral_constantIbLb0EES19_IbLb1EEEEDaS15_S16_EUlS15_E_NS1_11comp_targetILNS1_3genE9ELNS1_11target_archE1100ELNS1_3gpuE3ELNS1_3repE0EEENS1_30default_config_static_selectorELNS0_4arch9wavefront6targetE1EEEvT1_: ; @_ZN7rocprim17ROCPRIM_400000_NS6detail17trampoline_kernelINS0_14default_configENS1_25partition_config_selectorILNS1_17partition_subalgoE9EllbEEZZNS1_14partition_implILS5_9ELb0ES3_jPlS8_PNS0_10empty_typeENS0_5tupleIJS8_S9_EEENSB_IJS8_SA_EEENS0_18inequality_wrapperIZN2at6native12_GLOBAL__N_124unique_dim_cuda_templateIsEESt5tupleIJNSF_6TensorESK_SK_EERKSK_lbbbEUlllE0_EEPmJS9_EEE10hipError_tPvRmT3_T4_T5_T6_T7_T9_mT8_P12ihipStream_tbDpT10_ENKUlT_T0_E_clISt17integral_constantIbLb0EES19_IbLb1EEEEDaS15_S16_EUlS15_E_NS1_11comp_targetILNS1_3genE9ELNS1_11target_archE1100ELNS1_3gpuE3ELNS1_3repE0EEENS1_30default_config_static_selectorELNS0_4arch9wavefront6targetE1EEEvT1_
; %bb.0:
	.section	.rodata,"a",@progbits
	.p2align	6, 0x0
	.amdhsa_kernel _ZN7rocprim17ROCPRIM_400000_NS6detail17trampoline_kernelINS0_14default_configENS1_25partition_config_selectorILNS1_17partition_subalgoE9EllbEEZZNS1_14partition_implILS5_9ELb0ES3_jPlS8_PNS0_10empty_typeENS0_5tupleIJS8_S9_EEENSB_IJS8_SA_EEENS0_18inequality_wrapperIZN2at6native12_GLOBAL__N_124unique_dim_cuda_templateIsEESt5tupleIJNSF_6TensorESK_SK_EERKSK_lbbbEUlllE0_EEPmJS9_EEE10hipError_tPvRmT3_T4_T5_T6_T7_T9_mT8_P12ihipStream_tbDpT10_ENKUlT_T0_E_clISt17integral_constantIbLb0EES19_IbLb1EEEEDaS15_S16_EUlS15_E_NS1_11comp_targetILNS1_3genE9ELNS1_11target_archE1100ELNS1_3gpuE3ELNS1_3repE0EEENS1_30default_config_static_selectorELNS0_4arch9wavefront6targetE1EEEvT1_
		.amdhsa_group_segment_fixed_size 0
		.amdhsa_private_segment_fixed_size 0
		.amdhsa_kernarg_size 136
		.amdhsa_user_sgpr_count 2
		.amdhsa_user_sgpr_dispatch_ptr 0
		.amdhsa_user_sgpr_queue_ptr 0
		.amdhsa_user_sgpr_kernarg_segment_ptr 1
		.amdhsa_user_sgpr_dispatch_id 0
		.amdhsa_user_sgpr_kernarg_preload_length 0
		.amdhsa_user_sgpr_kernarg_preload_offset 0
		.amdhsa_user_sgpr_private_segment_size 0
		.amdhsa_uses_dynamic_stack 0
		.amdhsa_enable_private_segment 0
		.amdhsa_system_sgpr_workgroup_id_x 1
		.amdhsa_system_sgpr_workgroup_id_y 0
		.amdhsa_system_sgpr_workgroup_id_z 0
		.amdhsa_system_sgpr_workgroup_info 0
		.amdhsa_system_vgpr_workitem_id 0
		.amdhsa_next_free_vgpr 1
		.amdhsa_next_free_sgpr 0
		.amdhsa_accum_offset 4
		.amdhsa_reserve_vcc 0
		.amdhsa_float_round_mode_32 0
		.amdhsa_float_round_mode_16_64 0
		.amdhsa_float_denorm_mode_32 3
		.amdhsa_float_denorm_mode_16_64 3
		.amdhsa_dx10_clamp 1
		.amdhsa_ieee_mode 1
		.amdhsa_fp16_overflow 0
		.amdhsa_tg_split 0
		.amdhsa_exception_fp_ieee_invalid_op 0
		.amdhsa_exception_fp_denorm_src 0
		.amdhsa_exception_fp_ieee_div_zero 0
		.amdhsa_exception_fp_ieee_overflow 0
		.amdhsa_exception_fp_ieee_underflow 0
		.amdhsa_exception_fp_ieee_inexact 0
		.amdhsa_exception_int_div_zero 0
	.end_amdhsa_kernel
	.section	.text._ZN7rocprim17ROCPRIM_400000_NS6detail17trampoline_kernelINS0_14default_configENS1_25partition_config_selectorILNS1_17partition_subalgoE9EllbEEZZNS1_14partition_implILS5_9ELb0ES3_jPlS8_PNS0_10empty_typeENS0_5tupleIJS8_S9_EEENSB_IJS8_SA_EEENS0_18inequality_wrapperIZN2at6native12_GLOBAL__N_124unique_dim_cuda_templateIsEESt5tupleIJNSF_6TensorESK_SK_EERKSK_lbbbEUlllE0_EEPmJS9_EEE10hipError_tPvRmT3_T4_T5_T6_T7_T9_mT8_P12ihipStream_tbDpT10_ENKUlT_T0_E_clISt17integral_constantIbLb0EES19_IbLb1EEEEDaS15_S16_EUlS15_E_NS1_11comp_targetILNS1_3genE9ELNS1_11target_archE1100ELNS1_3gpuE3ELNS1_3repE0EEENS1_30default_config_static_selectorELNS0_4arch9wavefront6targetE1EEEvT1_,"axG",@progbits,_ZN7rocprim17ROCPRIM_400000_NS6detail17trampoline_kernelINS0_14default_configENS1_25partition_config_selectorILNS1_17partition_subalgoE9EllbEEZZNS1_14partition_implILS5_9ELb0ES3_jPlS8_PNS0_10empty_typeENS0_5tupleIJS8_S9_EEENSB_IJS8_SA_EEENS0_18inequality_wrapperIZN2at6native12_GLOBAL__N_124unique_dim_cuda_templateIsEESt5tupleIJNSF_6TensorESK_SK_EERKSK_lbbbEUlllE0_EEPmJS9_EEE10hipError_tPvRmT3_T4_T5_T6_T7_T9_mT8_P12ihipStream_tbDpT10_ENKUlT_T0_E_clISt17integral_constantIbLb0EES19_IbLb1EEEEDaS15_S16_EUlS15_E_NS1_11comp_targetILNS1_3genE9ELNS1_11target_archE1100ELNS1_3gpuE3ELNS1_3repE0EEENS1_30default_config_static_selectorELNS0_4arch9wavefront6targetE1EEEvT1_,comdat
.Lfunc_end752:
	.size	_ZN7rocprim17ROCPRIM_400000_NS6detail17trampoline_kernelINS0_14default_configENS1_25partition_config_selectorILNS1_17partition_subalgoE9EllbEEZZNS1_14partition_implILS5_9ELb0ES3_jPlS8_PNS0_10empty_typeENS0_5tupleIJS8_S9_EEENSB_IJS8_SA_EEENS0_18inequality_wrapperIZN2at6native12_GLOBAL__N_124unique_dim_cuda_templateIsEESt5tupleIJNSF_6TensorESK_SK_EERKSK_lbbbEUlllE0_EEPmJS9_EEE10hipError_tPvRmT3_T4_T5_T6_T7_T9_mT8_P12ihipStream_tbDpT10_ENKUlT_T0_E_clISt17integral_constantIbLb0EES19_IbLb1EEEEDaS15_S16_EUlS15_E_NS1_11comp_targetILNS1_3genE9ELNS1_11target_archE1100ELNS1_3gpuE3ELNS1_3repE0EEENS1_30default_config_static_selectorELNS0_4arch9wavefront6targetE1EEEvT1_, .Lfunc_end752-_ZN7rocprim17ROCPRIM_400000_NS6detail17trampoline_kernelINS0_14default_configENS1_25partition_config_selectorILNS1_17partition_subalgoE9EllbEEZZNS1_14partition_implILS5_9ELb0ES3_jPlS8_PNS0_10empty_typeENS0_5tupleIJS8_S9_EEENSB_IJS8_SA_EEENS0_18inequality_wrapperIZN2at6native12_GLOBAL__N_124unique_dim_cuda_templateIsEESt5tupleIJNSF_6TensorESK_SK_EERKSK_lbbbEUlllE0_EEPmJS9_EEE10hipError_tPvRmT3_T4_T5_T6_T7_T9_mT8_P12ihipStream_tbDpT10_ENKUlT_T0_E_clISt17integral_constantIbLb0EES19_IbLb1EEEEDaS15_S16_EUlS15_E_NS1_11comp_targetILNS1_3genE9ELNS1_11target_archE1100ELNS1_3gpuE3ELNS1_3repE0EEENS1_30default_config_static_selectorELNS0_4arch9wavefront6targetE1EEEvT1_
                                        ; -- End function
	.section	.AMDGPU.csdata,"",@progbits
; Kernel info:
; codeLenInByte = 0
; NumSgprs: 6
; NumVgprs: 0
; NumAgprs: 0
; TotalNumVgprs: 0
; ScratchSize: 0
; MemoryBound: 0
; FloatMode: 240
; IeeeMode: 1
; LDSByteSize: 0 bytes/workgroup (compile time only)
; SGPRBlocks: 0
; VGPRBlocks: 0
; NumSGPRsForWavesPerEU: 6
; NumVGPRsForWavesPerEU: 1
; AccumOffset: 4
; Occupancy: 8
; WaveLimiterHint : 0
; COMPUTE_PGM_RSRC2:SCRATCH_EN: 0
; COMPUTE_PGM_RSRC2:USER_SGPR: 2
; COMPUTE_PGM_RSRC2:TRAP_HANDLER: 0
; COMPUTE_PGM_RSRC2:TGID_X_EN: 1
; COMPUTE_PGM_RSRC2:TGID_Y_EN: 0
; COMPUTE_PGM_RSRC2:TGID_Z_EN: 0
; COMPUTE_PGM_RSRC2:TIDIG_COMP_CNT: 0
; COMPUTE_PGM_RSRC3_GFX90A:ACCUM_OFFSET: 0
; COMPUTE_PGM_RSRC3_GFX90A:TG_SPLIT: 0
	.section	.text._ZN7rocprim17ROCPRIM_400000_NS6detail17trampoline_kernelINS0_14default_configENS1_25partition_config_selectorILNS1_17partition_subalgoE9EllbEEZZNS1_14partition_implILS5_9ELb0ES3_jPlS8_PNS0_10empty_typeENS0_5tupleIJS8_S9_EEENSB_IJS8_SA_EEENS0_18inequality_wrapperIZN2at6native12_GLOBAL__N_124unique_dim_cuda_templateIsEESt5tupleIJNSF_6TensorESK_SK_EERKSK_lbbbEUlllE0_EEPmJS9_EEE10hipError_tPvRmT3_T4_T5_T6_T7_T9_mT8_P12ihipStream_tbDpT10_ENKUlT_T0_E_clISt17integral_constantIbLb0EES19_IbLb1EEEEDaS15_S16_EUlS15_E_NS1_11comp_targetILNS1_3genE8ELNS1_11target_archE1030ELNS1_3gpuE2ELNS1_3repE0EEENS1_30default_config_static_selectorELNS0_4arch9wavefront6targetE1EEEvT1_,"axG",@progbits,_ZN7rocprim17ROCPRIM_400000_NS6detail17trampoline_kernelINS0_14default_configENS1_25partition_config_selectorILNS1_17partition_subalgoE9EllbEEZZNS1_14partition_implILS5_9ELb0ES3_jPlS8_PNS0_10empty_typeENS0_5tupleIJS8_S9_EEENSB_IJS8_SA_EEENS0_18inequality_wrapperIZN2at6native12_GLOBAL__N_124unique_dim_cuda_templateIsEESt5tupleIJNSF_6TensorESK_SK_EERKSK_lbbbEUlllE0_EEPmJS9_EEE10hipError_tPvRmT3_T4_T5_T6_T7_T9_mT8_P12ihipStream_tbDpT10_ENKUlT_T0_E_clISt17integral_constantIbLb0EES19_IbLb1EEEEDaS15_S16_EUlS15_E_NS1_11comp_targetILNS1_3genE8ELNS1_11target_archE1030ELNS1_3gpuE2ELNS1_3repE0EEENS1_30default_config_static_selectorELNS0_4arch9wavefront6targetE1EEEvT1_,comdat
	.globl	_ZN7rocprim17ROCPRIM_400000_NS6detail17trampoline_kernelINS0_14default_configENS1_25partition_config_selectorILNS1_17partition_subalgoE9EllbEEZZNS1_14partition_implILS5_9ELb0ES3_jPlS8_PNS0_10empty_typeENS0_5tupleIJS8_S9_EEENSB_IJS8_SA_EEENS0_18inequality_wrapperIZN2at6native12_GLOBAL__N_124unique_dim_cuda_templateIsEESt5tupleIJNSF_6TensorESK_SK_EERKSK_lbbbEUlllE0_EEPmJS9_EEE10hipError_tPvRmT3_T4_T5_T6_T7_T9_mT8_P12ihipStream_tbDpT10_ENKUlT_T0_E_clISt17integral_constantIbLb0EES19_IbLb1EEEEDaS15_S16_EUlS15_E_NS1_11comp_targetILNS1_3genE8ELNS1_11target_archE1030ELNS1_3gpuE2ELNS1_3repE0EEENS1_30default_config_static_selectorELNS0_4arch9wavefront6targetE1EEEvT1_ ; -- Begin function _ZN7rocprim17ROCPRIM_400000_NS6detail17trampoline_kernelINS0_14default_configENS1_25partition_config_selectorILNS1_17partition_subalgoE9EllbEEZZNS1_14partition_implILS5_9ELb0ES3_jPlS8_PNS0_10empty_typeENS0_5tupleIJS8_S9_EEENSB_IJS8_SA_EEENS0_18inequality_wrapperIZN2at6native12_GLOBAL__N_124unique_dim_cuda_templateIsEESt5tupleIJNSF_6TensorESK_SK_EERKSK_lbbbEUlllE0_EEPmJS9_EEE10hipError_tPvRmT3_T4_T5_T6_T7_T9_mT8_P12ihipStream_tbDpT10_ENKUlT_T0_E_clISt17integral_constantIbLb0EES19_IbLb1EEEEDaS15_S16_EUlS15_E_NS1_11comp_targetILNS1_3genE8ELNS1_11target_archE1030ELNS1_3gpuE2ELNS1_3repE0EEENS1_30default_config_static_selectorELNS0_4arch9wavefront6targetE1EEEvT1_
	.p2align	8
	.type	_ZN7rocprim17ROCPRIM_400000_NS6detail17trampoline_kernelINS0_14default_configENS1_25partition_config_selectorILNS1_17partition_subalgoE9EllbEEZZNS1_14partition_implILS5_9ELb0ES3_jPlS8_PNS0_10empty_typeENS0_5tupleIJS8_S9_EEENSB_IJS8_SA_EEENS0_18inequality_wrapperIZN2at6native12_GLOBAL__N_124unique_dim_cuda_templateIsEESt5tupleIJNSF_6TensorESK_SK_EERKSK_lbbbEUlllE0_EEPmJS9_EEE10hipError_tPvRmT3_T4_T5_T6_T7_T9_mT8_P12ihipStream_tbDpT10_ENKUlT_T0_E_clISt17integral_constantIbLb0EES19_IbLb1EEEEDaS15_S16_EUlS15_E_NS1_11comp_targetILNS1_3genE8ELNS1_11target_archE1030ELNS1_3gpuE2ELNS1_3repE0EEENS1_30default_config_static_selectorELNS0_4arch9wavefront6targetE1EEEvT1_,@function
_ZN7rocprim17ROCPRIM_400000_NS6detail17trampoline_kernelINS0_14default_configENS1_25partition_config_selectorILNS1_17partition_subalgoE9EllbEEZZNS1_14partition_implILS5_9ELb0ES3_jPlS8_PNS0_10empty_typeENS0_5tupleIJS8_S9_EEENSB_IJS8_SA_EEENS0_18inequality_wrapperIZN2at6native12_GLOBAL__N_124unique_dim_cuda_templateIsEESt5tupleIJNSF_6TensorESK_SK_EERKSK_lbbbEUlllE0_EEPmJS9_EEE10hipError_tPvRmT3_T4_T5_T6_T7_T9_mT8_P12ihipStream_tbDpT10_ENKUlT_T0_E_clISt17integral_constantIbLb0EES19_IbLb1EEEEDaS15_S16_EUlS15_E_NS1_11comp_targetILNS1_3genE8ELNS1_11target_archE1030ELNS1_3gpuE2ELNS1_3repE0EEENS1_30default_config_static_selectorELNS0_4arch9wavefront6targetE1EEEvT1_: ; @_ZN7rocprim17ROCPRIM_400000_NS6detail17trampoline_kernelINS0_14default_configENS1_25partition_config_selectorILNS1_17partition_subalgoE9EllbEEZZNS1_14partition_implILS5_9ELb0ES3_jPlS8_PNS0_10empty_typeENS0_5tupleIJS8_S9_EEENSB_IJS8_SA_EEENS0_18inequality_wrapperIZN2at6native12_GLOBAL__N_124unique_dim_cuda_templateIsEESt5tupleIJNSF_6TensorESK_SK_EERKSK_lbbbEUlllE0_EEPmJS9_EEE10hipError_tPvRmT3_T4_T5_T6_T7_T9_mT8_P12ihipStream_tbDpT10_ENKUlT_T0_E_clISt17integral_constantIbLb0EES19_IbLb1EEEEDaS15_S16_EUlS15_E_NS1_11comp_targetILNS1_3genE8ELNS1_11target_archE1030ELNS1_3gpuE2ELNS1_3repE0EEENS1_30default_config_static_selectorELNS0_4arch9wavefront6targetE1EEEvT1_
; %bb.0:
	.section	.rodata,"a",@progbits
	.p2align	6, 0x0
	.amdhsa_kernel _ZN7rocprim17ROCPRIM_400000_NS6detail17trampoline_kernelINS0_14default_configENS1_25partition_config_selectorILNS1_17partition_subalgoE9EllbEEZZNS1_14partition_implILS5_9ELb0ES3_jPlS8_PNS0_10empty_typeENS0_5tupleIJS8_S9_EEENSB_IJS8_SA_EEENS0_18inequality_wrapperIZN2at6native12_GLOBAL__N_124unique_dim_cuda_templateIsEESt5tupleIJNSF_6TensorESK_SK_EERKSK_lbbbEUlllE0_EEPmJS9_EEE10hipError_tPvRmT3_T4_T5_T6_T7_T9_mT8_P12ihipStream_tbDpT10_ENKUlT_T0_E_clISt17integral_constantIbLb0EES19_IbLb1EEEEDaS15_S16_EUlS15_E_NS1_11comp_targetILNS1_3genE8ELNS1_11target_archE1030ELNS1_3gpuE2ELNS1_3repE0EEENS1_30default_config_static_selectorELNS0_4arch9wavefront6targetE1EEEvT1_
		.amdhsa_group_segment_fixed_size 0
		.amdhsa_private_segment_fixed_size 0
		.amdhsa_kernarg_size 136
		.amdhsa_user_sgpr_count 2
		.amdhsa_user_sgpr_dispatch_ptr 0
		.amdhsa_user_sgpr_queue_ptr 0
		.amdhsa_user_sgpr_kernarg_segment_ptr 1
		.amdhsa_user_sgpr_dispatch_id 0
		.amdhsa_user_sgpr_kernarg_preload_length 0
		.amdhsa_user_sgpr_kernarg_preload_offset 0
		.amdhsa_user_sgpr_private_segment_size 0
		.amdhsa_uses_dynamic_stack 0
		.amdhsa_enable_private_segment 0
		.amdhsa_system_sgpr_workgroup_id_x 1
		.amdhsa_system_sgpr_workgroup_id_y 0
		.amdhsa_system_sgpr_workgroup_id_z 0
		.amdhsa_system_sgpr_workgroup_info 0
		.amdhsa_system_vgpr_workitem_id 0
		.amdhsa_next_free_vgpr 1
		.amdhsa_next_free_sgpr 0
		.amdhsa_accum_offset 4
		.amdhsa_reserve_vcc 0
		.amdhsa_float_round_mode_32 0
		.amdhsa_float_round_mode_16_64 0
		.amdhsa_float_denorm_mode_32 3
		.amdhsa_float_denorm_mode_16_64 3
		.amdhsa_dx10_clamp 1
		.amdhsa_ieee_mode 1
		.amdhsa_fp16_overflow 0
		.amdhsa_tg_split 0
		.amdhsa_exception_fp_ieee_invalid_op 0
		.amdhsa_exception_fp_denorm_src 0
		.amdhsa_exception_fp_ieee_div_zero 0
		.amdhsa_exception_fp_ieee_overflow 0
		.amdhsa_exception_fp_ieee_underflow 0
		.amdhsa_exception_fp_ieee_inexact 0
		.amdhsa_exception_int_div_zero 0
	.end_amdhsa_kernel
	.section	.text._ZN7rocprim17ROCPRIM_400000_NS6detail17trampoline_kernelINS0_14default_configENS1_25partition_config_selectorILNS1_17partition_subalgoE9EllbEEZZNS1_14partition_implILS5_9ELb0ES3_jPlS8_PNS0_10empty_typeENS0_5tupleIJS8_S9_EEENSB_IJS8_SA_EEENS0_18inequality_wrapperIZN2at6native12_GLOBAL__N_124unique_dim_cuda_templateIsEESt5tupleIJNSF_6TensorESK_SK_EERKSK_lbbbEUlllE0_EEPmJS9_EEE10hipError_tPvRmT3_T4_T5_T6_T7_T9_mT8_P12ihipStream_tbDpT10_ENKUlT_T0_E_clISt17integral_constantIbLb0EES19_IbLb1EEEEDaS15_S16_EUlS15_E_NS1_11comp_targetILNS1_3genE8ELNS1_11target_archE1030ELNS1_3gpuE2ELNS1_3repE0EEENS1_30default_config_static_selectorELNS0_4arch9wavefront6targetE1EEEvT1_,"axG",@progbits,_ZN7rocprim17ROCPRIM_400000_NS6detail17trampoline_kernelINS0_14default_configENS1_25partition_config_selectorILNS1_17partition_subalgoE9EllbEEZZNS1_14partition_implILS5_9ELb0ES3_jPlS8_PNS0_10empty_typeENS0_5tupleIJS8_S9_EEENSB_IJS8_SA_EEENS0_18inequality_wrapperIZN2at6native12_GLOBAL__N_124unique_dim_cuda_templateIsEESt5tupleIJNSF_6TensorESK_SK_EERKSK_lbbbEUlllE0_EEPmJS9_EEE10hipError_tPvRmT3_T4_T5_T6_T7_T9_mT8_P12ihipStream_tbDpT10_ENKUlT_T0_E_clISt17integral_constantIbLb0EES19_IbLb1EEEEDaS15_S16_EUlS15_E_NS1_11comp_targetILNS1_3genE8ELNS1_11target_archE1030ELNS1_3gpuE2ELNS1_3repE0EEENS1_30default_config_static_selectorELNS0_4arch9wavefront6targetE1EEEvT1_,comdat
.Lfunc_end753:
	.size	_ZN7rocprim17ROCPRIM_400000_NS6detail17trampoline_kernelINS0_14default_configENS1_25partition_config_selectorILNS1_17partition_subalgoE9EllbEEZZNS1_14partition_implILS5_9ELb0ES3_jPlS8_PNS0_10empty_typeENS0_5tupleIJS8_S9_EEENSB_IJS8_SA_EEENS0_18inequality_wrapperIZN2at6native12_GLOBAL__N_124unique_dim_cuda_templateIsEESt5tupleIJNSF_6TensorESK_SK_EERKSK_lbbbEUlllE0_EEPmJS9_EEE10hipError_tPvRmT3_T4_T5_T6_T7_T9_mT8_P12ihipStream_tbDpT10_ENKUlT_T0_E_clISt17integral_constantIbLb0EES19_IbLb1EEEEDaS15_S16_EUlS15_E_NS1_11comp_targetILNS1_3genE8ELNS1_11target_archE1030ELNS1_3gpuE2ELNS1_3repE0EEENS1_30default_config_static_selectorELNS0_4arch9wavefront6targetE1EEEvT1_, .Lfunc_end753-_ZN7rocprim17ROCPRIM_400000_NS6detail17trampoline_kernelINS0_14default_configENS1_25partition_config_selectorILNS1_17partition_subalgoE9EllbEEZZNS1_14partition_implILS5_9ELb0ES3_jPlS8_PNS0_10empty_typeENS0_5tupleIJS8_S9_EEENSB_IJS8_SA_EEENS0_18inequality_wrapperIZN2at6native12_GLOBAL__N_124unique_dim_cuda_templateIsEESt5tupleIJNSF_6TensorESK_SK_EERKSK_lbbbEUlllE0_EEPmJS9_EEE10hipError_tPvRmT3_T4_T5_T6_T7_T9_mT8_P12ihipStream_tbDpT10_ENKUlT_T0_E_clISt17integral_constantIbLb0EES19_IbLb1EEEEDaS15_S16_EUlS15_E_NS1_11comp_targetILNS1_3genE8ELNS1_11target_archE1030ELNS1_3gpuE2ELNS1_3repE0EEENS1_30default_config_static_selectorELNS0_4arch9wavefront6targetE1EEEvT1_
                                        ; -- End function
	.section	.AMDGPU.csdata,"",@progbits
; Kernel info:
; codeLenInByte = 0
; NumSgprs: 6
; NumVgprs: 0
; NumAgprs: 0
; TotalNumVgprs: 0
; ScratchSize: 0
; MemoryBound: 0
; FloatMode: 240
; IeeeMode: 1
; LDSByteSize: 0 bytes/workgroup (compile time only)
; SGPRBlocks: 0
; VGPRBlocks: 0
; NumSGPRsForWavesPerEU: 6
; NumVGPRsForWavesPerEU: 1
; AccumOffset: 4
; Occupancy: 8
; WaveLimiterHint : 0
; COMPUTE_PGM_RSRC2:SCRATCH_EN: 0
; COMPUTE_PGM_RSRC2:USER_SGPR: 2
; COMPUTE_PGM_RSRC2:TRAP_HANDLER: 0
; COMPUTE_PGM_RSRC2:TGID_X_EN: 1
; COMPUTE_PGM_RSRC2:TGID_Y_EN: 0
; COMPUTE_PGM_RSRC2:TGID_Z_EN: 0
; COMPUTE_PGM_RSRC2:TIDIG_COMP_CNT: 0
; COMPUTE_PGM_RSRC3_GFX90A:ACCUM_OFFSET: 0
; COMPUTE_PGM_RSRC3_GFX90A:TG_SPLIT: 0
	.section	.text._ZN7rocprim17ROCPRIM_400000_NS6detail17trampoline_kernelINS0_14default_configENS1_37merge_sort_block_sort_config_selectorIlNS0_10empty_typeEEEZNS1_21merge_sort_block_sortIS3_PlS8_PS5_S9_ZN2at6native12_GLOBAL__N_124unique_dim_cuda_templateIdEESt5tupleIJNSA_6TensorESF_SF_EERKSF_lbbbEUlllE_EE10hipError_tT0_T1_T2_T3_mRjT4_P12ihipStream_tbNS1_7vsmem_tEEUlT_E_NS1_11comp_targetILNS1_3genE0ELNS1_11target_archE4294967295ELNS1_3gpuE0ELNS1_3repE0EEENS1_30default_config_static_selectorELNS0_4arch9wavefront6targetE1EEEvSM_,"axG",@progbits,_ZN7rocprim17ROCPRIM_400000_NS6detail17trampoline_kernelINS0_14default_configENS1_37merge_sort_block_sort_config_selectorIlNS0_10empty_typeEEEZNS1_21merge_sort_block_sortIS3_PlS8_PS5_S9_ZN2at6native12_GLOBAL__N_124unique_dim_cuda_templateIdEESt5tupleIJNSA_6TensorESF_SF_EERKSF_lbbbEUlllE_EE10hipError_tT0_T1_T2_T3_mRjT4_P12ihipStream_tbNS1_7vsmem_tEEUlT_E_NS1_11comp_targetILNS1_3genE0ELNS1_11target_archE4294967295ELNS1_3gpuE0ELNS1_3repE0EEENS1_30default_config_static_selectorELNS0_4arch9wavefront6targetE1EEEvSM_,comdat
	.globl	_ZN7rocprim17ROCPRIM_400000_NS6detail17trampoline_kernelINS0_14default_configENS1_37merge_sort_block_sort_config_selectorIlNS0_10empty_typeEEEZNS1_21merge_sort_block_sortIS3_PlS8_PS5_S9_ZN2at6native12_GLOBAL__N_124unique_dim_cuda_templateIdEESt5tupleIJNSA_6TensorESF_SF_EERKSF_lbbbEUlllE_EE10hipError_tT0_T1_T2_T3_mRjT4_P12ihipStream_tbNS1_7vsmem_tEEUlT_E_NS1_11comp_targetILNS1_3genE0ELNS1_11target_archE4294967295ELNS1_3gpuE0ELNS1_3repE0EEENS1_30default_config_static_selectorELNS0_4arch9wavefront6targetE1EEEvSM_ ; -- Begin function _ZN7rocprim17ROCPRIM_400000_NS6detail17trampoline_kernelINS0_14default_configENS1_37merge_sort_block_sort_config_selectorIlNS0_10empty_typeEEEZNS1_21merge_sort_block_sortIS3_PlS8_PS5_S9_ZN2at6native12_GLOBAL__N_124unique_dim_cuda_templateIdEESt5tupleIJNSA_6TensorESF_SF_EERKSF_lbbbEUlllE_EE10hipError_tT0_T1_T2_T3_mRjT4_P12ihipStream_tbNS1_7vsmem_tEEUlT_E_NS1_11comp_targetILNS1_3genE0ELNS1_11target_archE4294967295ELNS1_3gpuE0ELNS1_3repE0EEENS1_30default_config_static_selectorELNS0_4arch9wavefront6targetE1EEEvSM_
	.p2align	8
	.type	_ZN7rocprim17ROCPRIM_400000_NS6detail17trampoline_kernelINS0_14default_configENS1_37merge_sort_block_sort_config_selectorIlNS0_10empty_typeEEEZNS1_21merge_sort_block_sortIS3_PlS8_PS5_S9_ZN2at6native12_GLOBAL__N_124unique_dim_cuda_templateIdEESt5tupleIJNSA_6TensorESF_SF_EERKSF_lbbbEUlllE_EE10hipError_tT0_T1_T2_T3_mRjT4_P12ihipStream_tbNS1_7vsmem_tEEUlT_E_NS1_11comp_targetILNS1_3genE0ELNS1_11target_archE4294967295ELNS1_3gpuE0ELNS1_3repE0EEENS1_30default_config_static_selectorELNS0_4arch9wavefront6targetE1EEEvSM_,@function
_ZN7rocprim17ROCPRIM_400000_NS6detail17trampoline_kernelINS0_14default_configENS1_37merge_sort_block_sort_config_selectorIlNS0_10empty_typeEEEZNS1_21merge_sort_block_sortIS3_PlS8_PS5_S9_ZN2at6native12_GLOBAL__N_124unique_dim_cuda_templateIdEESt5tupleIJNSA_6TensorESF_SF_EERKSF_lbbbEUlllE_EE10hipError_tT0_T1_T2_T3_mRjT4_P12ihipStream_tbNS1_7vsmem_tEEUlT_E_NS1_11comp_targetILNS1_3genE0ELNS1_11target_archE4294967295ELNS1_3gpuE0ELNS1_3repE0EEENS1_30default_config_static_selectorELNS0_4arch9wavefront6targetE1EEEvSM_: ; @_ZN7rocprim17ROCPRIM_400000_NS6detail17trampoline_kernelINS0_14default_configENS1_37merge_sort_block_sort_config_selectorIlNS0_10empty_typeEEEZNS1_21merge_sort_block_sortIS3_PlS8_PS5_S9_ZN2at6native12_GLOBAL__N_124unique_dim_cuda_templateIdEESt5tupleIJNSA_6TensorESF_SF_EERKSF_lbbbEUlllE_EE10hipError_tT0_T1_T2_T3_mRjT4_P12ihipStream_tbNS1_7vsmem_tEEUlT_E_NS1_11comp_targetILNS1_3genE0ELNS1_11target_archE4294967295ELNS1_3gpuE0ELNS1_3repE0EEENS1_30default_config_static_selectorELNS0_4arch9wavefront6targetE1EEEvSM_
; %bb.0:
	.section	.rodata,"a",@progbits
	.p2align	6, 0x0
	.amdhsa_kernel _ZN7rocprim17ROCPRIM_400000_NS6detail17trampoline_kernelINS0_14default_configENS1_37merge_sort_block_sort_config_selectorIlNS0_10empty_typeEEEZNS1_21merge_sort_block_sortIS3_PlS8_PS5_S9_ZN2at6native12_GLOBAL__N_124unique_dim_cuda_templateIdEESt5tupleIJNSA_6TensorESF_SF_EERKSF_lbbbEUlllE_EE10hipError_tT0_T1_T2_T3_mRjT4_P12ihipStream_tbNS1_7vsmem_tEEUlT_E_NS1_11comp_targetILNS1_3genE0ELNS1_11target_archE4294967295ELNS1_3gpuE0ELNS1_3repE0EEENS1_30default_config_static_selectorELNS0_4arch9wavefront6targetE1EEEvSM_
		.amdhsa_group_segment_fixed_size 0
		.amdhsa_private_segment_fixed_size 0
		.amdhsa_kernarg_size 72
		.amdhsa_user_sgpr_count 2
		.amdhsa_user_sgpr_dispatch_ptr 0
		.amdhsa_user_sgpr_queue_ptr 0
		.amdhsa_user_sgpr_kernarg_segment_ptr 1
		.amdhsa_user_sgpr_dispatch_id 0
		.amdhsa_user_sgpr_kernarg_preload_length 0
		.amdhsa_user_sgpr_kernarg_preload_offset 0
		.amdhsa_user_sgpr_private_segment_size 0
		.amdhsa_uses_dynamic_stack 0
		.amdhsa_enable_private_segment 0
		.amdhsa_system_sgpr_workgroup_id_x 1
		.amdhsa_system_sgpr_workgroup_id_y 0
		.amdhsa_system_sgpr_workgroup_id_z 0
		.amdhsa_system_sgpr_workgroup_info 0
		.amdhsa_system_vgpr_workitem_id 0
		.amdhsa_next_free_vgpr 1
		.amdhsa_next_free_sgpr 0
		.amdhsa_accum_offset 4
		.amdhsa_reserve_vcc 0
		.amdhsa_float_round_mode_32 0
		.amdhsa_float_round_mode_16_64 0
		.amdhsa_float_denorm_mode_32 3
		.amdhsa_float_denorm_mode_16_64 3
		.amdhsa_dx10_clamp 1
		.amdhsa_ieee_mode 1
		.amdhsa_fp16_overflow 0
		.amdhsa_tg_split 0
		.amdhsa_exception_fp_ieee_invalid_op 0
		.amdhsa_exception_fp_denorm_src 0
		.amdhsa_exception_fp_ieee_div_zero 0
		.amdhsa_exception_fp_ieee_overflow 0
		.amdhsa_exception_fp_ieee_underflow 0
		.amdhsa_exception_fp_ieee_inexact 0
		.amdhsa_exception_int_div_zero 0
	.end_amdhsa_kernel
	.section	.text._ZN7rocprim17ROCPRIM_400000_NS6detail17trampoline_kernelINS0_14default_configENS1_37merge_sort_block_sort_config_selectorIlNS0_10empty_typeEEEZNS1_21merge_sort_block_sortIS3_PlS8_PS5_S9_ZN2at6native12_GLOBAL__N_124unique_dim_cuda_templateIdEESt5tupleIJNSA_6TensorESF_SF_EERKSF_lbbbEUlllE_EE10hipError_tT0_T1_T2_T3_mRjT4_P12ihipStream_tbNS1_7vsmem_tEEUlT_E_NS1_11comp_targetILNS1_3genE0ELNS1_11target_archE4294967295ELNS1_3gpuE0ELNS1_3repE0EEENS1_30default_config_static_selectorELNS0_4arch9wavefront6targetE1EEEvSM_,"axG",@progbits,_ZN7rocprim17ROCPRIM_400000_NS6detail17trampoline_kernelINS0_14default_configENS1_37merge_sort_block_sort_config_selectorIlNS0_10empty_typeEEEZNS1_21merge_sort_block_sortIS3_PlS8_PS5_S9_ZN2at6native12_GLOBAL__N_124unique_dim_cuda_templateIdEESt5tupleIJNSA_6TensorESF_SF_EERKSF_lbbbEUlllE_EE10hipError_tT0_T1_T2_T3_mRjT4_P12ihipStream_tbNS1_7vsmem_tEEUlT_E_NS1_11comp_targetILNS1_3genE0ELNS1_11target_archE4294967295ELNS1_3gpuE0ELNS1_3repE0EEENS1_30default_config_static_selectorELNS0_4arch9wavefront6targetE1EEEvSM_,comdat
.Lfunc_end754:
	.size	_ZN7rocprim17ROCPRIM_400000_NS6detail17trampoline_kernelINS0_14default_configENS1_37merge_sort_block_sort_config_selectorIlNS0_10empty_typeEEEZNS1_21merge_sort_block_sortIS3_PlS8_PS5_S9_ZN2at6native12_GLOBAL__N_124unique_dim_cuda_templateIdEESt5tupleIJNSA_6TensorESF_SF_EERKSF_lbbbEUlllE_EE10hipError_tT0_T1_T2_T3_mRjT4_P12ihipStream_tbNS1_7vsmem_tEEUlT_E_NS1_11comp_targetILNS1_3genE0ELNS1_11target_archE4294967295ELNS1_3gpuE0ELNS1_3repE0EEENS1_30default_config_static_selectorELNS0_4arch9wavefront6targetE1EEEvSM_, .Lfunc_end754-_ZN7rocprim17ROCPRIM_400000_NS6detail17trampoline_kernelINS0_14default_configENS1_37merge_sort_block_sort_config_selectorIlNS0_10empty_typeEEEZNS1_21merge_sort_block_sortIS3_PlS8_PS5_S9_ZN2at6native12_GLOBAL__N_124unique_dim_cuda_templateIdEESt5tupleIJNSA_6TensorESF_SF_EERKSF_lbbbEUlllE_EE10hipError_tT0_T1_T2_T3_mRjT4_P12ihipStream_tbNS1_7vsmem_tEEUlT_E_NS1_11comp_targetILNS1_3genE0ELNS1_11target_archE4294967295ELNS1_3gpuE0ELNS1_3repE0EEENS1_30default_config_static_selectorELNS0_4arch9wavefront6targetE1EEEvSM_
                                        ; -- End function
	.section	.AMDGPU.csdata,"",@progbits
; Kernel info:
; codeLenInByte = 0
; NumSgprs: 6
; NumVgprs: 0
; NumAgprs: 0
; TotalNumVgprs: 0
; ScratchSize: 0
; MemoryBound: 0
; FloatMode: 240
; IeeeMode: 1
; LDSByteSize: 0 bytes/workgroup (compile time only)
; SGPRBlocks: 0
; VGPRBlocks: 0
; NumSGPRsForWavesPerEU: 6
; NumVGPRsForWavesPerEU: 1
; AccumOffset: 4
; Occupancy: 8
; WaveLimiterHint : 0
; COMPUTE_PGM_RSRC2:SCRATCH_EN: 0
; COMPUTE_PGM_RSRC2:USER_SGPR: 2
; COMPUTE_PGM_RSRC2:TRAP_HANDLER: 0
; COMPUTE_PGM_RSRC2:TGID_X_EN: 1
; COMPUTE_PGM_RSRC2:TGID_Y_EN: 0
; COMPUTE_PGM_RSRC2:TGID_Z_EN: 0
; COMPUTE_PGM_RSRC2:TIDIG_COMP_CNT: 0
; COMPUTE_PGM_RSRC3_GFX90A:ACCUM_OFFSET: 0
; COMPUTE_PGM_RSRC3_GFX90A:TG_SPLIT: 0
	.text
	.p2align	2                               ; -- Begin function _ZN7rocprim17ROCPRIM_400000_NS6detail15block_sort_implIlNS0_10empty_typeELj256ELj8ELNS0_4arch9wavefront6targetE1EvE4sortIPlS9_PS3_SA_ZN2at6native12_GLOBAL__N_124unique_dim_cuda_templateIdEESt5tupleIJNSB_6TensorESG_SG_EERKSG_lbbbEUlllE_EEvjbT_T0_T1_T2_T3_RNS7_12storage_typeE
	.type	_ZN7rocprim17ROCPRIM_400000_NS6detail15block_sort_implIlNS0_10empty_typeELj256ELj8ELNS0_4arch9wavefront6targetE1EvE4sortIPlS9_PS3_SA_ZN2at6native12_GLOBAL__N_124unique_dim_cuda_templateIdEESt5tupleIJNSB_6TensorESG_SG_EERKSG_lbbbEUlllE_EEvjbT_T0_T1_T2_T3_RNS7_12storage_typeE,@function
_ZN7rocprim17ROCPRIM_400000_NS6detail15block_sort_implIlNS0_10empty_typeELj256ELj8ELNS0_4arch9wavefront6targetE1EvE4sortIPlS9_PS3_SA_ZN2at6native12_GLOBAL__N_124unique_dim_cuda_templateIdEESt5tupleIJNSB_6TensorESG_SG_EERKSG_lbbbEUlllE_EEvjbT_T0_T1_T2_T3_RNS7_12storage_typeE: ; @_ZN7rocprim17ROCPRIM_400000_NS6detail15block_sort_implIlNS0_10empty_typeELj256ELj8ELNS0_4arch9wavefront6targetE1EvE4sortIPlS9_PS3_SA_ZN2at6native12_GLOBAL__N_124unique_dim_cuda_templateIdEESt5tupleIJNSB_6TensorESG_SG_EERKSG_lbbbEUlllE_EEvjbT_T0_T1_T2_T3_RNS7_12storage_typeE
; %bb.0:
	s_waitcnt vmcnt(0) expcnt(0) lgkmcnt(0)
	s_or_saveexec_b64 s[0:1], -1
	scratch_store_dword off, v40, s32       ; 4-byte Folded Spill
	s_mov_b64 exec, s[0:1]
	v_writelane_b32 v40, s34, 0
	v_writelane_b32 v40, s35, 1
	;; [unrolled: 1-line block ×38, first 2 shown]
	s_nop 1
	v_writelane_b32 v40, s31, 38
	v_and_b32_e32 v1, 1, v1
	v_cmp_eq_u32_e32 vcc, 1, v1
	v_and_b32_e32 v28, 0x3ff, v31
	s_xor_b64 s[0:1], vcc, -1
	s_mov_b64 s[24:25], 0
	v_bfe_u32 v64, v31, 10, 10
	v_bfe_u32 v65, v31, 20, 10
	v_lshlrev_b32_e32 v30, 3, v28
	v_lshrrev_b32_e32 v32, 5, v28
	v_lshrrev_b32_e32 v1, 2, v28
                                        ; implicit-def: $vgpr12_vgpr13
	s_and_saveexec_b64 s[2:3], s[0:1]
	s_xor_b64 s[14:15], exec, s[2:3]
	s_cbranch_execnz .LBB755_5
; %bb.1:
	s_andn2_saveexec_b64 s[26:27], s[14:15]
	s_cbranch_execnz .LBB755_641
.LBB755_2:
	s_or_b64 exec, exec, s[26:27]
	s_and_saveexec_b64 s[0:1], s[24:25]
	s_cbranch_execz .LBB755_4
.LBB755_3:
	s_waitcnt vmcnt(0) lgkmcnt(0)
	v_lshl_add_u64 v[0:1], v[28:29], 3, v[4:5]
	v_add_co_u32_e32 v0, vcc, 0x3000, v0
	s_nop 1
	v_addc_co_u32_e32 v1, vcc, 0, v1, vcc
	flat_store_dwordx2 v[0:1], v[12:13] offset:2048
.LBB755_4:
	s_or_b64 exec, exec, s[0:1]
	v_readlane_b32 s30, v40, 37
	v_readlane_b32 s31, v40, 38
	;; [unrolled: 1-line block ×39, first 2 shown]
	s_or_saveexec_b64 s[0:1], -1
	scratch_load_dword v40, off, s32        ; 4-byte Folded Reload
	s_mov_b64 exec, s[0:1]
	s_waitcnt vmcnt(0) lgkmcnt(0)
	s_setpc_b64 s[30:31]
.LBB755_5:
	v_mov_b32_e32 v29, 0
	v_mov_b32_e32 v31, v29
	v_lshl_add_u64 v[2:3], v[2:3], 0, v[30:31]
	v_add_co_u32_e32 v12, vcc, 0x1000, v2
	v_add_u32_e32 v26, 0x200, v28
	s_nop 0
	v_addc_co_u32_e32 v13, vcc, 0, v3, vcc
	flat_load_dwordx2 v[14:15], v[2:3]
	flat_load_dwordx2 v[16:17], v[2:3] offset:2048
	flat_load_dwordx2 v[18:19], v[12:13]
	flat_load_dwordx2 v[20:21], v[12:13] offset:2048
	v_add_co_u32_e32 v12, vcc, 0x2000, v2
	v_add_u32_e32 v31, 0x300, v28
	s_nop 0
	v_addc_co_u32_e32 v13, vcc, 0, v3, vcc
	v_add_co_u32_e32 v2, vcc, 0x3000, v2
	v_or_b32_e32 v34, 0x400, v28
	s_nop 0
	v_addc_co_u32_e32 v3, vcc, 0, v3, vcc
	flat_load_dwordx2 v[22:23], v[12:13]
	flat_load_dwordx2 v[54:55], v[12:13] offset:2048
	flat_load_dwordx2 v[66:67], v[2:3]
	flat_load_dwordx2 v[68:69], v[2:3] offset:2048
	v_add_u32_e32 v3, 0x100, v28
	v_add_u32_e32 v35, 0x500, v28
	;; [unrolled: 1-line block ×4, first 2 shown]
	v_add_lshl_u32 v0, v32, v28, 3
	v_add_lshl_u32 v2, v1, v30, 3
	v_mov_b32_e32 v1, v29
	v_lshrrev_b32_e32 v12, 5, v3
	v_lshrrev_b32_e32 v32, 5, v26
	;; [unrolled: 1-line block ×7, first 2 shown]
	v_mov_b32_e32 v3, v29
	v_mov_b32_e32 v13, v29
	;; [unrolled: 1-line block ×8, first 2 shown]
	v_lshl_add_u64 v[24:25], v[10:11], 0, v[0:1]
	v_add_lshl_u32 v12, v12, v28, 3
	v_add_lshl_u32 v26, v32, v26, 3
	;; [unrolled: 1-line block ×7, first 2 shown]
	v_lshl_add_u64 v[52:53], v[10:11], 0, v[2:3]
	v_lshl_add_u64 v[34:35], v[10:11], 0, v[12:13]
	;; [unrolled: 1-line block ×8, first 2 shown]
	v_cmp_lt_i64_e32 vcc, 0, v[6:7]
	s_waitcnt vmcnt(0) lgkmcnt(0)
	flat_store_dwordx2 v[24:25], v[14:15]
	flat_store_dwordx2 v[34:35], v[16:17] offset:2048
	flat_store_dwordx2 v[26:27], v[18:19]
	flat_store_dwordx2 v[48:49], v[20:21]
	flat_store_dwordx2 v[36:37], v[22:23]
	flat_store_dwordx2 v[32:33], v[54:55]
	flat_store_dwordx2 v[50:51], v[66:67]
	flat_store_dwordx2 v[38:39], v[68:69]
	s_waitcnt lgkmcnt(0)
	s_barrier
	flat_load_dwordx4 v[20:23], v[52:53]
	flat_load_dwordx4 v[16:19], v[52:53] offset:16
	flat_load_dwordx4 v[12:15], v[52:53] offset:32
	;; [unrolled: 1-line block ×3, first 2 shown]
	s_waitcnt lgkmcnt(0)
	s_barrier
	s_load_dwordx2 s[0:1], s[8:9], 0x0
	s_waitcnt lgkmcnt(0)
	s_cmp_lt_u32 s12, s0
	s_cselect_b32 s2, 12, 18
	s_cmp_lt_u32 s13, s1
	s_cselect_b32 s0, 14, 20
	s_add_u32 s0, s8, s0
	s_addc_u32 s1, s9, 0
	s_add_u32 s2, s8, s2
	s_addc_u32 s3, s9, 0
	global_load_ushort v31, v29, s[0:1]
	global_load_ushort v54, v29, s[2:3]
	s_movk_i32 s0, 0x800
	s_waitcnt vmcnt(0)
	v_mad_u32_u24 v31, v65, v31, v64
	v_mul_lo_u32 v31, v31, v54
	v_add_lshl_u32 v31, v31, v28, 3
	v_cmp_gt_u32_e64 s[0:1], s0, v31
	s_and_saveexec_b64 s[6:7], s[0:1]
	s_cbranch_execz .LBB755_227
; %bb.6:
	s_and_saveexec_b64 s[10:11], vcc
	s_cbranch_execnz .LBB755_32
; %bb.7:
	s_or_b64 exec, exec, s[10:11]
	s_and_saveexec_b64 s[10:11], vcc
	s_cbranch_execnz .LBB755_39
.LBB755_8:
	s_or_b64 exec, exec, s[10:11]
	s_and_saveexec_b64 s[10:11], vcc
	s_cbranch_execnz .LBB755_46
.LBB755_9:
	s_or_b64 exec, exec, s[10:11]
	s_and_saveexec_b64 s[10:11], vcc
	s_cbranch_execnz .LBB755_53
.LBB755_10:
	s_or_b64 exec, exec, s[10:11]
	s_and_saveexec_b64 s[0:1], vcc
	s_xor_b64 s[10:11], exec, s[0:1]
	s_cbranch_execnz .LBB755_60
.LBB755_11:
	s_or_b64 exec, exec, s[10:11]
	s_and_saveexec_b64 s[10:11], vcc
	s_cbranch_execnz .LBB755_67
.LBB755_12:
	s_or_b64 exec, exec, s[10:11]
	s_and_saveexec_b64 s[10:11], vcc
	s_cbranch_execnz .LBB755_74
.LBB755_13:
	s_or_b64 exec, exec, s[10:11]
	s_and_saveexec_b64 s[10:11], vcc
	s_cbranch_execnz .LBB755_81
.LBB755_14:
	s_or_b64 exec, exec, s[10:11]
	s_and_saveexec_b64 s[10:11], vcc
	s_cbranch_execnz .LBB755_88
.LBB755_15:
	s_or_b64 exec, exec, s[10:11]
	s_and_saveexec_b64 s[10:11], vcc
	s_cbranch_execnz .LBB755_95
.LBB755_16:
	s_or_b64 exec, exec, s[10:11]
	s_and_saveexec_b64 s[10:11], vcc
	s_cbranch_execnz .LBB755_102
.LBB755_17:
	s_or_b64 exec, exec, s[10:11]
	s_and_saveexec_b64 s[10:11], vcc
	s_cbranch_execnz .LBB755_109
.LBB755_18:
	s_or_b64 exec, exec, s[10:11]
	s_and_saveexec_b64 s[10:11], vcc
	s_cbranch_execnz .LBB755_116
.LBB755_19:
	s_or_b64 exec, exec, s[10:11]
	s_and_saveexec_b64 s[10:11], vcc
	s_cbranch_execnz .LBB755_123
.LBB755_20:
	s_or_b64 exec, exec, s[10:11]
	s_and_saveexec_b64 s[10:11], vcc
	s_cbranch_execnz .LBB755_130
.LBB755_21:
	s_or_b64 exec, exec, s[10:11]
	s_and_saveexec_b64 s[10:11], vcc
	s_cbranch_execnz .LBB755_137
.LBB755_22:
	s_or_b64 exec, exec, s[10:11]
	s_and_saveexec_b64 s[10:11], vcc
	s_cbranch_execnz .LBB755_144
.LBB755_23:
	s_or_b64 exec, exec, s[10:11]
	s_and_saveexec_b64 s[10:11], vcc
	s_cbranch_execnz .LBB755_151
.LBB755_24:
	s_or_b64 exec, exec, s[10:11]
	s_and_saveexec_b64 s[10:11], vcc
	s_cbranch_execnz .LBB755_158
.LBB755_25:
	s_or_b64 exec, exec, s[10:11]
	s_and_saveexec_b64 s[10:11], vcc
	s_cbranch_execnz .LBB755_165
.LBB755_26:
	s_or_b64 exec, exec, s[10:11]
	s_and_saveexec_b64 s[10:11], vcc
	s_cbranch_execnz .LBB755_172
.LBB755_27:
	s_or_b64 exec, exec, s[10:11]
	s_and_saveexec_b64 s[10:11], vcc
	s_cbranch_execnz .LBB755_179
.LBB755_28:
	s_or_b64 exec, exec, s[10:11]
	s_and_saveexec_b64 s[10:11], vcc
	s_cbranch_execnz .LBB755_186
.LBB755_29:
	s_or_b64 exec, exec, s[10:11]
	s_and_saveexec_b64 s[10:11], vcc
	s_cbranch_execnz .LBB755_193
.LBB755_30:
	s_or_b64 exec, exec, s[10:11]
	s_and_saveexec_b64 s[10:11], vcc
	s_cbranch_execnz .LBB755_200
.LBB755_31:
	s_or_b64 exec, exec, s[10:11]
	s_and_saveexec_b64 s[10:11], vcc
	s_cbranch_execnz .LBB755_207
	s_branch .LBB755_226
.LBB755_32:
	v_mul_lo_u32 v64, v21, v6
	v_mul_lo_u32 v65, v20, v7
	v_mad_u64_u32 v[54:55], s[0:1], v20, v6, 0
	v_add3_u32 v55, v55, v65, v64
	v_mul_lo_u32 v66, v23, v6
	v_mul_lo_u32 v67, v22, v7
	v_mad_u64_u32 v[64:65], s[0:1], v22, v6, 0
	v_add3_u32 v65, v65, v67, v66
	v_lshl_add_u64 v[54:55], v[54:55], 3, v[8:9]
	v_lshl_add_u64 v[64:65], v[64:65], 3, v[8:9]
	s_mov_b64 s[18:19], 0
	v_mov_b64_e32 v[66:67], v[6:7]
                                        ; implicit-def: $sgpr16_sgpr17
                                        ; implicit-def: $sgpr20_sgpr21
                                        ; implicit-def: $sgpr24_sgpr25
                                        ; implicit-def: $sgpr22_sgpr23
                                        ; implicit-def: $sgpr26_sgpr27
                                        ; implicit-def: $sgpr28_sgpr29
	s_branch .LBB755_34
.LBB755_33:                             ;   in Loop: Header=BB755_34 Depth=1
	s_or_b64 exec, exec, s[30:31]
	s_and_b64 s[0:1], exec, s[24:25]
	s_or_b64 s[18:19], s[0:1], s[18:19]
	s_andn2_b64 s[0:1], s[28:29], exec
	s_and_b64 s[4:5], s[26:27], exec
	s_or_b64 s[28:29], s[0:1], s[4:5]
	s_andn2_b64 s[0:1], s[20:21], exec
	s_and_b64 s[4:5], s[22:23], exec
	;; [unrolled: 3-line block ×3, first 2 shown]
	s_or_b64 s[16:17], s[0:1], s[2:3]
	s_andn2_b64 exec, exec, s[18:19]
	s_cbranch_execz .LBB755_36
.LBB755_34:                             ; =>This Inner Loop Header: Depth=1
	flat_load_dwordx2 v[68:69], v[64:65]
	flat_load_dwordx2 v[70:71], v[54:55]
	s_andn2_b64 s[26:27], s[26:27], exec
	s_or_b64 s[22:23], s[22:23], exec
	s_or_b64 s[24:25], s[24:25], exec
	s_waitcnt vmcnt(0) lgkmcnt(0)
	v_cmp_ngt_f64_e64 s[2:3], v[68:69], v[70:71]
	v_cmp_lt_f64_e64 s[0:1], v[68:69], v[70:71]
	s_and_b64 s[2:3], s[2:3], s[28:29]
	v_cmp_nlg_f64_e64 s[4:5], v[68:69], v[70:71]
	s_or_b64 s[2:3], s[0:1], s[2:3]
	s_and_saveexec_b64 s[30:31], s[4:5]
	s_cbranch_execz .LBB755_33
; %bb.35:                               ;   in Loop: Header=BB755_34 Depth=1
	v_lshl_add_u64 v[66:67], v[66:67], 0, -1
	v_cmp_eq_u64_e64 s[0:1], 0, v[66:67]
	s_andn2_b64 s[4:5], s[26:27], exec
	s_and_b64 s[26:27], s[2:3], exec
	s_or_b64 s[26:27], s[4:5], s[26:27]
	s_andn2_b64 s[4:5], s[24:25], exec
	s_and_b64 s[0:1], s[0:1], exec
	v_lshl_add_u64 v[54:55], v[54:55], 0, 8
	v_lshl_add_u64 v[64:65], v[64:65], 0, 8
	s_andn2_b64 s[22:23], s[22:23], exec
	s_or_b64 s[24:25], s[4:5], s[0:1]
                                        ; implicit-def: $sgpr28_sgpr29
	s_branch .LBB755_33
.LBB755_36:
	s_or_b64 exec, exec, s[18:19]
	s_and_saveexec_b64 s[0:1], s[20:21]
	s_xor_b64 s[0:1], exec, s[0:1]
; %bb.37:
	v_cndmask_b32_e64 v55, v23, v21, s[16:17]
	v_cndmask_b32_e64 v54, v22, v20, s[16:17]
	;; [unrolled: 1-line block ×4, first 2 shown]
	v_mov_b64_e32 v[22:23], v[54:55]
; %bb.38:
	s_or_b64 exec, exec, s[0:1]
	s_or_b64 exec, exec, s[10:11]
	s_and_saveexec_b64 s[10:11], vcc
	s_cbranch_execz .LBB755_8
.LBB755_39:
	v_mul_lo_u32 v64, v17, v6
	v_mul_lo_u32 v65, v16, v7
	v_mad_u64_u32 v[54:55], s[0:1], v16, v6, 0
	v_add3_u32 v55, v55, v65, v64
	v_mul_lo_u32 v66, v19, v6
	v_mul_lo_u32 v67, v18, v7
	v_mad_u64_u32 v[64:65], s[0:1], v18, v6, 0
	v_add3_u32 v65, v65, v67, v66
	v_lshl_add_u64 v[54:55], v[54:55], 3, v[8:9]
	v_lshl_add_u64 v[64:65], v[64:65], 3, v[8:9]
	s_mov_b64 s[18:19], 0
	v_mov_b64_e32 v[66:67], v[6:7]
                                        ; implicit-def: $sgpr16_sgpr17
                                        ; implicit-def: $sgpr20_sgpr21
                                        ; implicit-def: $sgpr24_sgpr25
                                        ; implicit-def: $sgpr22_sgpr23
                                        ; implicit-def: $sgpr26_sgpr27
                                        ; implicit-def: $sgpr28_sgpr29
	s_branch .LBB755_41
.LBB755_40:                             ;   in Loop: Header=BB755_41 Depth=1
	s_or_b64 exec, exec, s[30:31]
	s_and_b64 s[0:1], exec, s[24:25]
	s_or_b64 s[18:19], s[0:1], s[18:19]
	s_andn2_b64 s[0:1], s[28:29], exec
	s_and_b64 s[4:5], s[26:27], exec
	s_or_b64 s[28:29], s[0:1], s[4:5]
	s_andn2_b64 s[0:1], s[20:21], exec
	s_and_b64 s[4:5], s[22:23], exec
	;; [unrolled: 3-line block ×3, first 2 shown]
	s_or_b64 s[16:17], s[0:1], s[2:3]
	s_andn2_b64 exec, exec, s[18:19]
	s_cbranch_execz .LBB755_43
.LBB755_41:                             ; =>This Inner Loop Header: Depth=1
	flat_load_dwordx2 v[68:69], v[64:65]
	flat_load_dwordx2 v[70:71], v[54:55]
	s_andn2_b64 s[26:27], s[26:27], exec
	s_or_b64 s[22:23], s[22:23], exec
	s_or_b64 s[24:25], s[24:25], exec
	s_waitcnt vmcnt(0) lgkmcnt(0)
	v_cmp_ngt_f64_e64 s[2:3], v[68:69], v[70:71]
	v_cmp_lt_f64_e64 s[0:1], v[68:69], v[70:71]
	s_and_b64 s[2:3], s[2:3], s[28:29]
	v_cmp_nlg_f64_e64 s[4:5], v[68:69], v[70:71]
	s_or_b64 s[2:3], s[0:1], s[2:3]
	s_and_saveexec_b64 s[30:31], s[4:5]
	s_cbranch_execz .LBB755_40
; %bb.42:                               ;   in Loop: Header=BB755_41 Depth=1
	v_lshl_add_u64 v[66:67], v[66:67], 0, -1
	v_cmp_eq_u64_e64 s[0:1], 0, v[66:67]
	s_andn2_b64 s[4:5], s[26:27], exec
	s_and_b64 s[26:27], s[2:3], exec
	s_or_b64 s[26:27], s[4:5], s[26:27]
	s_andn2_b64 s[4:5], s[24:25], exec
	s_and_b64 s[0:1], s[0:1], exec
	v_lshl_add_u64 v[54:55], v[54:55], 0, 8
	v_lshl_add_u64 v[64:65], v[64:65], 0, 8
	s_andn2_b64 s[22:23], s[22:23], exec
	s_or_b64 s[24:25], s[4:5], s[0:1]
                                        ; implicit-def: $sgpr28_sgpr29
	s_branch .LBB755_40
.LBB755_43:
	s_or_b64 exec, exec, s[18:19]
	s_and_saveexec_b64 s[0:1], s[20:21]
	s_xor_b64 s[0:1], exec, s[0:1]
; %bb.44:
	v_cndmask_b32_e64 v55, v17, v19, s[16:17]
	v_cndmask_b32_e64 v54, v16, v18, s[16:17]
	;; [unrolled: 1-line block ×4, first 2 shown]
	v_mov_b64_e32 v[16:17], v[54:55]
; %bb.45:
	s_or_b64 exec, exec, s[0:1]
	s_or_b64 exec, exec, s[10:11]
	s_and_saveexec_b64 s[10:11], vcc
	s_cbranch_execz .LBB755_9
.LBB755_46:
	v_mul_lo_u32 v64, v13, v6
	v_mul_lo_u32 v65, v12, v7
	v_mad_u64_u32 v[54:55], s[0:1], v12, v6, 0
	v_add3_u32 v55, v55, v65, v64
	v_mul_lo_u32 v66, v15, v6
	v_mul_lo_u32 v67, v14, v7
	v_mad_u64_u32 v[64:65], s[0:1], v14, v6, 0
	v_add3_u32 v65, v65, v67, v66
	v_lshl_add_u64 v[54:55], v[54:55], 3, v[8:9]
	v_lshl_add_u64 v[64:65], v[64:65], 3, v[8:9]
	s_mov_b64 s[18:19], 0
	v_mov_b64_e32 v[66:67], v[6:7]
                                        ; implicit-def: $sgpr16_sgpr17
                                        ; implicit-def: $sgpr20_sgpr21
                                        ; implicit-def: $sgpr24_sgpr25
                                        ; implicit-def: $sgpr22_sgpr23
                                        ; implicit-def: $sgpr26_sgpr27
                                        ; implicit-def: $sgpr28_sgpr29
	s_branch .LBB755_48
.LBB755_47:                             ;   in Loop: Header=BB755_48 Depth=1
	s_or_b64 exec, exec, s[30:31]
	s_and_b64 s[0:1], exec, s[24:25]
	s_or_b64 s[18:19], s[0:1], s[18:19]
	s_andn2_b64 s[0:1], s[28:29], exec
	s_and_b64 s[4:5], s[26:27], exec
	s_or_b64 s[28:29], s[0:1], s[4:5]
	s_andn2_b64 s[0:1], s[20:21], exec
	s_and_b64 s[4:5], s[22:23], exec
	s_or_b64 s[20:21], s[0:1], s[4:5]
	s_andn2_b64 s[0:1], s[16:17], exec
	s_and_b64 s[2:3], s[2:3], exec
	s_or_b64 s[16:17], s[0:1], s[2:3]
	s_andn2_b64 exec, exec, s[18:19]
	s_cbranch_execz .LBB755_50
.LBB755_48:                             ; =>This Inner Loop Header: Depth=1
	flat_load_dwordx2 v[68:69], v[64:65]
	flat_load_dwordx2 v[70:71], v[54:55]
	s_andn2_b64 s[26:27], s[26:27], exec
	s_or_b64 s[22:23], s[22:23], exec
	s_or_b64 s[24:25], s[24:25], exec
	s_waitcnt vmcnt(0) lgkmcnt(0)
	v_cmp_ngt_f64_e64 s[2:3], v[68:69], v[70:71]
	v_cmp_lt_f64_e64 s[0:1], v[68:69], v[70:71]
	s_and_b64 s[2:3], s[2:3], s[28:29]
	v_cmp_nlg_f64_e64 s[4:5], v[68:69], v[70:71]
	s_or_b64 s[2:3], s[0:1], s[2:3]
	s_and_saveexec_b64 s[30:31], s[4:5]
	s_cbranch_execz .LBB755_47
; %bb.49:                               ;   in Loop: Header=BB755_48 Depth=1
	v_lshl_add_u64 v[66:67], v[66:67], 0, -1
	v_cmp_eq_u64_e64 s[0:1], 0, v[66:67]
	s_andn2_b64 s[4:5], s[26:27], exec
	s_and_b64 s[26:27], s[2:3], exec
	s_or_b64 s[26:27], s[4:5], s[26:27]
	s_andn2_b64 s[4:5], s[24:25], exec
	s_and_b64 s[0:1], s[0:1], exec
	v_lshl_add_u64 v[54:55], v[54:55], 0, 8
	v_lshl_add_u64 v[64:65], v[64:65], 0, 8
	s_andn2_b64 s[22:23], s[22:23], exec
	s_or_b64 s[24:25], s[4:5], s[0:1]
                                        ; implicit-def: $sgpr28_sgpr29
	s_branch .LBB755_47
.LBB755_50:
	s_or_b64 exec, exec, s[18:19]
	s_and_saveexec_b64 s[0:1], s[20:21]
	s_xor_b64 s[0:1], exec, s[0:1]
; %bb.51:
	v_cndmask_b32_e64 v55, v13, v15, s[16:17]
	v_cndmask_b32_e64 v54, v12, v14, s[16:17]
	;; [unrolled: 1-line block ×4, first 2 shown]
	v_mov_b64_e32 v[12:13], v[54:55]
; %bb.52:
	s_or_b64 exec, exec, s[0:1]
	s_or_b64 exec, exec, s[10:11]
	s_and_saveexec_b64 s[10:11], vcc
	s_cbranch_execz .LBB755_10
.LBB755_53:
	v_mul_lo_u32 v64, v1, v6
	v_mul_lo_u32 v65, v0, v7
	v_mad_u64_u32 v[54:55], s[0:1], v0, v6, 0
	v_add3_u32 v55, v55, v65, v64
	v_mul_lo_u32 v66, v3, v6
	v_mul_lo_u32 v67, v2, v7
	v_mad_u64_u32 v[64:65], s[0:1], v2, v6, 0
	v_add3_u32 v65, v65, v67, v66
	v_lshl_add_u64 v[54:55], v[54:55], 3, v[8:9]
	v_lshl_add_u64 v[64:65], v[64:65], 3, v[8:9]
	s_mov_b64 s[18:19], 0
	v_mov_b64_e32 v[66:67], v[6:7]
                                        ; implicit-def: $sgpr16_sgpr17
                                        ; implicit-def: $sgpr20_sgpr21
                                        ; implicit-def: $sgpr24_sgpr25
                                        ; implicit-def: $sgpr22_sgpr23
                                        ; implicit-def: $sgpr26_sgpr27
                                        ; implicit-def: $sgpr28_sgpr29
	s_branch .LBB755_55
.LBB755_54:                             ;   in Loop: Header=BB755_55 Depth=1
	s_or_b64 exec, exec, s[30:31]
	s_and_b64 s[0:1], exec, s[24:25]
	s_or_b64 s[18:19], s[0:1], s[18:19]
	s_andn2_b64 s[0:1], s[28:29], exec
	s_and_b64 s[4:5], s[26:27], exec
	s_or_b64 s[28:29], s[0:1], s[4:5]
	s_andn2_b64 s[0:1], s[20:21], exec
	s_and_b64 s[4:5], s[22:23], exec
	;; [unrolled: 3-line block ×3, first 2 shown]
	s_or_b64 s[16:17], s[0:1], s[2:3]
	s_andn2_b64 exec, exec, s[18:19]
	s_cbranch_execz .LBB755_57
.LBB755_55:                             ; =>This Inner Loop Header: Depth=1
	flat_load_dwordx2 v[68:69], v[64:65]
	flat_load_dwordx2 v[70:71], v[54:55]
	s_andn2_b64 s[26:27], s[26:27], exec
	s_or_b64 s[22:23], s[22:23], exec
	s_or_b64 s[24:25], s[24:25], exec
	s_waitcnt vmcnt(0) lgkmcnt(0)
	v_cmp_ngt_f64_e64 s[2:3], v[68:69], v[70:71]
	v_cmp_lt_f64_e64 s[0:1], v[68:69], v[70:71]
	s_and_b64 s[2:3], s[2:3], s[28:29]
	v_cmp_nlg_f64_e64 s[4:5], v[68:69], v[70:71]
	s_or_b64 s[2:3], s[0:1], s[2:3]
	s_and_saveexec_b64 s[30:31], s[4:5]
	s_cbranch_execz .LBB755_54
; %bb.56:                               ;   in Loop: Header=BB755_55 Depth=1
	v_lshl_add_u64 v[66:67], v[66:67], 0, -1
	v_cmp_eq_u64_e64 s[0:1], 0, v[66:67]
	s_andn2_b64 s[4:5], s[26:27], exec
	s_and_b64 s[26:27], s[2:3], exec
	s_or_b64 s[26:27], s[4:5], s[26:27]
	s_andn2_b64 s[4:5], s[24:25], exec
	s_and_b64 s[0:1], s[0:1], exec
	v_lshl_add_u64 v[54:55], v[54:55], 0, 8
	v_lshl_add_u64 v[64:65], v[64:65], 0, 8
	s_andn2_b64 s[22:23], s[22:23], exec
	s_or_b64 s[24:25], s[4:5], s[0:1]
                                        ; implicit-def: $sgpr28_sgpr29
	s_branch .LBB755_54
.LBB755_57:
	s_or_b64 exec, exec, s[18:19]
	s_and_saveexec_b64 s[0:1], s[20:21]
	s_xor_b64 s[0:1], exec, s[0:1]
; %bb.58:
	v_cndmask_b32_e64 v55, v1, v3, s[16:17]
	v_cndmask_b32_e64 v54, v0, v2, s[16:17]
	;; [unrolled: 1-line block ×4, first 2 shown]
	v_mov_b64_e32 v[0:1], v[54:55]
; %bb.59:
	s_or_b64 exec, exec, s[0:1]
	s_or_b64 exec, exec, s[10:11]
	s_and_saveexec_b64 s[0:1], vcc
	s_xor_b64 s[10:11], exec, s[0:1]
	s_cbranch_execz .LBB755_11
.LBB755_60:
	v_mul_lo_u32 v64, v23, v6
	v_mul_lo_u32 v65, v22, v7
	v_mad_u64_u32 v[54:55], s[0:1], v22, v6, 0
	v_add3_u32 v55, v55, v65, v64
	v_mul_lo_u32 v66, v17, v6
	v_mul_lo_u32 v67, v16, v7
	v_mad_u64_u32 v[64:65], s[0:1], v16, v6, 0
	v_add3_u32 v65, v65, v67, v66
	v_lshl_add_u64 v[54:55], v[54:55], 3, v[8:9]
	v_lshl_add_u64 v[64:65], v[64:65], 3, v[8:9]
	s_mov_b64 s[18:19], 0
	v_mov_b64_e32 v[66:67], v[6:7]
                                        ; implicit-def: $sgpr16_sgpr17
                                        ; implicit-def: $sgpr20_sgpr21
                                        ; implicit-def: $sgpr24_sgpr25
                                        ; implicit-def: $sgpr22_sgpr23
                                        ; implicit-def: $sgpr26_sgpr27
                                        ; implicit-def: $sgpr28_sgpr29
	s_branch .LBB755_62
.LBB755_61:                             ;   in Loop: Header=BB755_62 Depth=1
	s_or_b64 exec, exec, s[30:31]
	s_and_b64 s[0:1], exec, s[24:25]
	s_or_b64 s[18:19], s[0:1], s[18:19]
	s_andn2_b64 s[0:1], s[28:29], exec
	s_and_b64 s[4:5], s[26:27], exec
	s_or_b64 s[28:29], s[0:1], s[4:5]
	s_andn2_b64 s[0:1], s[20:21], exec
	s_and_b64 s[4:5], s[22:23], exec
	;; [unrolled: 3-line block ×3, first 2 shown]
	s_or_b64 s[16:17], s[0:1], s[2:3]
	s_andn2_b64 exec, exec, s[18:19]
	s_cbranch_execz .LBB755_64
.LBB755_62:                             ; =>This Inner Loop Header: Depth=1
	flat_load_dwordx2 v[68:69], v[64:65]
	flat_load_dwordx2 v[70:71], v[54:55]
	s_andn2_b64 s[26:27], s[26:27], exec
	s_or_b64 s[22:23], s[22:23], exec
	s_or_b64 s[24:25], s[24:25], exec
	s_waitcnt vmcnt(0) lgkmcnt(0)
	v_cmp_ngt_f64_e64 s[2:3], v[68:69], v[70:71]
	v_cmp_lt_f64_e64 s[0:1], v[68:69], v[70:71]
	s_and_b64 s[2:3], s[2:3], s[28:29]
	v_cmp_nlg_f64_e64 s[4:5], v[68:69], v[70:71]
	s_or_b64 s[2:3], s[0:1], s[2:3]
	s_and_saveexec_b64 s[30:31], s[4:5]
	s_cbranch_execz .LBB755_61
; %bb.63:                               ;   in Loop: Header=BB755_62 Depth=1
	v_lshl_add_u64 v[66:67], v[66:67], 0, -1
	v_cmp_eq_u64_e64 s[0:1], 0, v[66:67]
	s_andn2_b64 s[4:5], s[26:27], exec
	s_and_b64 s[26:27], s[2:3], exec
	s_or_b64 s[26:27], s[4:5], s[26:27]
	s_andn2_b64 s[4:5], s[24:25], exec
	s_and_b64 s[0:1], s[0:1], exec
	v_lshl_add_u64 v[54:55], v[54:55], 0, 8
	v_lshl_add_u64 v[64:65], v[64:65], 0, 8
	s_andn2_b64 s[22:23], s[22:23], exec
	s_or_b64 s[24:25], s[4:5], s[0:1]
                                        ; implicit-def: $sgpr28_sgpr29
	s_branch .LBB755_61
.LBB755_64:
	s_or_b64 exec, exec, s[18:19]
	s_and_saveexec_b64 s[0:1], s[20:21]
	s_xor_b64 s[0:1], exec, s[0:1]
; %bb.65:
	v_cndmask_b32_e64 v55, v23, v17, s[16:17]
	v_cndmask_b32_e64 v54, v22, v16, s[16:17]
	;; [unrolled: 1-line block ×4, first 2 shown]
	v_mov_b64_e32 v[22:23], v[54:55]
; %bb.66:
	s_or_b64 exec, exec, s[0:1]
	s_or_b64 exec, exec, s[10:11]
	s_and_saveexec_b64 s[10:11], vcc
	s_cbranch_execz .LBB755_12
.LBB755_67:
	v_mul_lo_u32 v64, v19, v6
	v_mul_lo_u32 v65, v18, v7
	v_mad_u64_u32 v[54:55], s[0:1], v18, v6, 0
	v_add3_u32 v55, v55, v65, v64
	v_mul_lo_u32 v66, v13, v6
	v_mul_lo_u32 v67, v12, v7
	v_mad_u64_u32 v[64:65], s[0:1], v12, v6, 0
	v_add3_u32 v65, v65, v67, v66
	v_lshl_add_u64 v[54:55], v[54:55], 3, v[8:9]
	v_lshl_add_u64 v[64:65], v[64:65], 3, v[8:9]
	s_mov_b64 s[18:19], 0
	v_mov_b64_e32 v[66:67], v[6:7]
                                        ; implicit-def: $sgpr16_sgpr17
                                        ; implicit-def: $sgpr20_sgpr21
                                        ; implicit-def: $sgpr24_sgpr25
                                        ; implicit-def: $sgpr22_sgpr23
                                        ; implicit-def: $sgpr26_sgpr27
                                        ; implicit-def: $sgpr28_sgpr29
	s_branch .LBB755_69
.LBB755_68:                             ;   in Loop: Header=BB755_69 Depth=1
	s_or_b64 exec, exec, s[30:31]
	s_and_b64 s[0:1], exec, s[24:25]
	s_or_b64 s[18:19], s[0:1], s[18:19]
	s_andn2_b64 s[0:1], s[28:29], exec
	s_and_b64 s[4:5], s[26:27], exec
	s_or_b64 s[28:29], s[0:1], s[4:5]
	s_andn2_b64 s[0:1], s[20:21], exec
	s_and_b64 s[4:5], s[22:23], exec
	;; [unrolled: 3-line block ×3, first 2 shown]
	s_or_b64 s[16:17], s[0:1], s[2:3]
	s_andn2_b64 exec, exec, s[18:19]
	s_cbranch_execz .LBB755_71
.LBB755_69:                             ; =>This Inner Loop Header: Depth=1
	flat_load_dwordx2 v[68:69], v[64:65]
	flat_load_dwordx2 v[70:71], v[54:55]
	s_andn2_b64 s[26:27], s[26:27], exec
	s_or_b64 s[22:23], s[22:23], exec
	s_or_b64 s[24:25], s[24:25], exec
	s_waitcnt vmcnt(0) lgkmcnt(0)
	v_cmp_ngt_f64_e64 s[2:3], v[68:69], v[70:71]
	v_cmp_lt_f64_e64 s[0:1], v[68:69], v[70:71]
	s_and_b64 s[2:3], s[2:3], s[28:29]
	v_cmp_nlg_f64_e64 s[4:5], v[68:69], v[70:71]
	s_or_b64 s[2:3], s[0:1], s[2:3]
	s_and_saveexec_b64 s[30:31], s[4:5]
	s_cbranch_execz .LBB755_68
; %bb.70:                               ;   in Loop: Header=BB755_69 Depth=1
	v_lshl_add_u64 v[66:67], v[66:67], 0, -1
	v_cmp_eq_u64_e64 s[0:1], 0, v[66:67]
	s_andn2_b64 s[4:5], s[26:27], exec
	s_and_b64 s[26:27], s[2:3], exec
	s_or_b64 s[26:27], s[4:5], s[26:27]
	s_andn2_b64 s[4:5], s[24:25], exec
	s_and_b64 s[0:1], s[0:1], exec
	v_lshl_add_u64 v[54:55], v[54:55], 0, 8
	v_lshl_add_u64 v[64:65], v[64:65], 0, 8
	s_andn2_b64 s[22:23], s[22:23], exec
	s_or_b64 s[24:25], s[4:5], s[0:1]
                                        ; implicit-def: $sgpr28_sgpr29
	s_branch .LBB755_68
.LBB755_71:
	s_or_b64 exec, exec, s[18:19]
	s_and_saveexec_b64 s[0:1], s[20:21]
	s_xor_b64 s[0:1], exec, s[0:1]
; %bb.72:
	v_cndmask_b32_e64 v55, v19, v13, s[16:17]
	v_cndmask_b32_e64 v54, v18, v12, s[16:17]
	;; [unrolled: 1-line block ×4, first 2 shown]
	v_mov_b64_e32 v[18:19], v[54:55]
; %bb.73:
	s_or_b64 exec, exec, s[0:1]
	s_or_b64 exec, exec, s[10:11]
	s_and_saveexec_b64 s[10:11], vcc
	s_cbranch_execz .LBB755_13
.LBB755_74:
	v_mul_lo_u32 v64, v15, v6
	v_mul_lo_u32 v65, v14, v7
	v_mad_u64_u32 v[54:55], s[0:1], v14, v6, 0
	v_add3_u32 v55, v55, v65, v64
	v_mul_lo_u32 v66, v1, v6
	v_mul_lo_u32 v67, v0, v7
	v_mad_u64_u32 v[64:65], s[0:1], v0, v6, 0
	v_add3_u32 v65, v65, v67, v66
	v_lshl_add_u64 v[54:55], v[54:55], 3, v[8:9]
	v_lshl_add_u64 v[64:65], v[64:65], 3, v[8:9]
	s_mov_b64 s[18:19], 0
	v_mov_b64_e32 v[66:67], v[6:7]
                                        ; implicit-def: $sgpr16_sgpr17
                                        ; implicit-def: $sgpr20_sgpr21
                                        ; implicit-def: $sgpr24_sgpr25
                                        ; implicit-def: $sgpr22_sgpr23
                                        ; implicit-def: $sgpr26_sgpr27
                                        ; implicit-def: $sgpr28_sgpr29
	s_branch .LBB755_76
.LBB755_75:                             ;   in Loop: Header=BB755_76 Depth=1
	s_or_b64 exec, exec, s[30:31]
	s_and_b64 s[0:1], exec, s[24:25]
	s_or_b64 s[18:19], s[0:1], s[18:19]
	s_andn2_b64 s[0:1], s[28:29], exec
	s_and_b64 s[4:5], s[26:27], exec
	s_or_b64 s[28:29], s[0:1], s[4:5]
	s_andn2_b64 s[0:1], s[20:21], exec
	s_and_b64 s[4:5], s[22:23], exec
	;; [unrolled: 3-line block ×3, first 2 shown]
	s_or_b64 s[16:17], s[0:1], s[2:3]
	s_andn2_b64 exec, exec, s[18:19]
	s_cbranch_execz .LBB755_78
.LBB755_76:                             ; =>This Inner Loop Header: Depth=1
	flat_load_dwordx2 v[68:69], v[64:65]
	flat_load_dwordx2 v[70:71], v[54:55]
	s_andn2_b64 s[26:27], s[26:27], exec
	s_or_b64 s[22:23], s[22:23], exec
	s_or_b64 s[24:25], s[24:25], exec
	s_waitcnt vmcnt(0) lgkmcnt(0)
	v_cmp_ngt_f64_e64 s[2:3], v[68:69], v[70:71]
	v_cmp_lt_f64_e64 s[0:1], v[68:69], v[70:71]
	s_and_b64 s[2:3], s[2:3], s[28:29]
	v_cmp_nlg_f64_e64 s[4:5], v[68:69], v[70:71]
	s_or_b64 s[2:3], s[0:1], s[2:3]
	s_and_saveexec_b64 s[30:31], s[4:5]
	s_cbranch_execz .LBB755_75
; %bb.77:                               ;   in Loop: Header=BB755_76 Depth=1
	v_lshl_add_u64 v[66:67], v[66:67], 0, -1
	v_cmp_eq_u64_e64 s[0:1], 0, v[66:67]
	s_andn2_b64 s[4:5], s[26:27], exec
	s_and_b64 s[26:27], s[2:3], exec
	s_or_b64 s[26:27], s[4:5], s[26:27]
	s_andn2_b64 s[4:5], s[24:25], exec
	s_and_b64 s[0:1], s[0:1], exec
	v_lshl_add_u64 v[54:55], v[54:55], 0, 8
	v_lshl_add_u64 v[64:65], v[64:65], 0, 8
	s_andn2_b64 s[22:23], s[22:23], exec
	s_or_b64 s[24:25], s[4:5], s[0:1]
                                        ; implicit-def: $sgpr28_sgpr29
	s_branch .LBB755_75
.LBB755_78:
	s_or_b64 exec, exec, s[18:19]
	s_and_saveexec_b64 s[0:1], s[20:21]
	s_xor_b64 s[0:1], exec, s[0:1]
; %bb.79:
	v_cndmask_b32_e64 v55, v15, v1, s[16:17]
	v_cndmask_b32_e64 v54, v14, v0, s[16:17]
	;; [unrolled: 1-line block ×4, first 2 shown]
	v_mov_b64_e32 v[14:15], v[54:55]
; %bb.80:
	s_or_b64 exec, exec, s[0:1]
	s_or_b64 exec, exec, s[10:11]
	s_and_saveexec_b64 s[10:11], vcc
	s_cbranch_execz .LBB755_14
.LBB755_81:
	v_mul_lo_u32 v64, v21, v6
	v_mul_lo_u32 v65, v20, v7
	v_mad_u64_u32 v[54:55], s[0:1], v20, v6, 0
	v_add3_u32 v55, v55, v65, v64
	v_mul_lo_u32 v66, v23, v6
	v_mul_lo_u32 v67, v22, v7
	v_mad_u64_u32 v[64:65], s[0:1], v22, v6, 0
	v_add3_u32 v65, v65, v67, v66
	v_lshl_add_u64 v[54:55], v[54:55], 3, v[8:9]
	v_lshl_add_u64 v[64:65], v[64:65], 3, v[8:9]
	s_mov_b64 s[18:19], 0
	v_mov_b64_e32 v[66:67], v[6:7]
                                        ; implicit-def: $sgpr16_sgpr17
                                        ; implicit-def: $sgpr20_sgpr21
                                        ; implicit-def: $sgpr24_sgpr25
                                        ; implicit-def: $sgpr22_sgpr23
                                        ; implicit-def: $sgpr26_sgpr27
                                        ; implicit-def: $sgpr28_sgpr29
	s_branch .LBB755_83
.LBB755_82:                             ;   in Loop: Header=BB755_83 Depth=1
	s_or_b64 exec, exec, s[30:31]
	s_and_b64 s[0:1], exec, s[24:25]
	s_or_b64 s[18:19], s[0:1], s[18:19]
	s_andn2_b64 s[0:1], s[28:29], exec
	s_and_b64 s[4:5], s[26:27], exec
	s_or_b64 s[28:29], s[0:1], s[4:5]
	s_andn2_b64 s[0:1], s[20:21], exec
	s_and_b64 s[4:5], s[22:23], exec
	;; [unrolled: 3-line block ×3, first 2 shown]
	s_or_b64 s[16:17], s[0:1], s[2:3]
	s_andn2_b64 exec, exec, s[18:19]
	s_cbranch_execz .LBB755_85
.LBB755_83:                             ; =>This Inner Loop Header: Depth=1
	flat_load_dwordx2 v[68:69], v[64:65]
	flat_load_dwordx2 v[70:71], v[54:55]
	s_andn2_b64 s[26:27], s[26:27], exec
	s_or_b64 s[22:23], s[22:23], exec
	s_or_b64 s[24:25], s[24:25], exec
	s_waitcnt vmcnt(0) lgkmcnt(0)
	v_cmp_ngt_f64_e64 s[2:3], v[68:69], v[70:71]
	v_cmp_lt_f64_e64 s[0:1], v[68:69], v[70:71]
	s_and_b64 s[2:3], s[2:3], s[28:29]
	v_cmp_nlg_f64_e64 s[4:5], v[68:69], v[70:71]
	s_or_b64 s[2:3], s[0:1], s[2:3]
	s_and_saveexec_b64 s[30:31], s[4:5]
	s_cbranch_execz .LBB755_82
; %bb.84:                               ;   in Loop: Header=BB755_83 Depth=1
	v_lshl_add_u64 v[66:67], v[66:67], 0, -1
	v_cmp_eq_u64_e64 s[0:1], 0, v[66:67]
	s_andn2_b64 s[4:5], s[26:27], exec
	s_and_b64 s[26:27], s[2:3], exec
	s_or_b64 s[26:27], s[4:5], s[26:27]
	s_andn2_b64 s[4:5], s[24:25], exec
	s_and_b64 s[0:1], s[0:1], exec
	v_lshl_add_u64 v[54:55], v[54:55], 0, 8
	v_lshl_add_u64 v[64:65], v[64:65], 0, 8
	s_andn2_b64 s[22:23], s[22:23], exec
	s_or_b64 s[24:25], s[4:5], s[0:1]
                                        ; implicit-def: $sgpr28_sgpr29
	s_branch .LBB755_82
.LBB755_85:
	s_or_b64 exec, exec, s[18:19]
	s_and_saveexec_b64 s[0:1], s[20:21]
	s_xor_b64 s[0:1], exec, s[0:1]
; %bb.86:
	v_cndmask_b32_e64 v55, v23, v21, s[16:17]
	v_cndmask_b32_e64 v54, v22, v20, s[16:17]
	;; [unrolled: 1-line block ×4, first 2 shown]
	v_mov_b64_e32 v[22:23], v[54:55]
; %bb.87:
	s_or_b64 exec, exec, s[0:1]
	s_or_b64 exec, exec, s[10:11]
	s_and_saveexec_b64 s[10:11], vcc
	s_cbranch_execz .LBB755_15
.LBB755_88:
	v_mul_lo_u32 v64, v17, v6
	v_mul_lo_u32 v65, v16, v7
	v_mad_u64_u32 v[54:55], s[0:1], v16, v6, 0
	v_add3_u32 v55, v55, v65, v64
	v_mul_lo_u32 v66, v19, v6
	v_mul_lo_u32 v67, v18, v7
	v_mad_u64_u32 v[64:65], s[0:1], v18, v6, 0
	v_add3_u32 v65, v65, v67, v66
	v_lshl_add_u64 v[54:55], v[54:55], 3, v[8:9]
	v_lshl_add_u64 v[64:65], v[64:65], 3, v[8:9]
	s_mov_b64 s[18:19], 0
	v_mov_b64_e32 v[66:67], v[6:7]
                                        ; implicit-def: $sgpr16_sgpr17
                                        ; implicit-def: $sgpr20_sgpr21
                                        ; implicit-def: $sgpr24_sgpr25
                                        ; implicit-def: $sgpr22_sgpr23
                                        ; implicit-def: $sgpr26_sgpr27
                                        ; implicit-def: $sgpr28_sgpr29
	s_branch .LBB755_90
.LBB755_89:                             ;   in Loop: Header=BB755_90 Depth=1
	s_or_b64 exec, exec, s[30:31]
	s_and_b64 s[0:1], exec, s[24:25]
	s_or_b64 s[18:19], s[0:1], s[18:19]
	s_andn2_b64 s[0:1], s[28:29], exec
	s_and_b64 s[4:5], s[26:27], exec
	s_or_b64 s[28:29], s[0:1], s[4:5]
	s_andn2_b64 s[0:1], s[20:21], exec
	s_and_b64 s[4:5], s[22:23], exec
	;; [unrolled: 3-line block ×3, first 2 shown]
	s_or_b64 s[16:17], s[0:1], s[2:3]
	s_andn2_b64 exec, exec, s[18:19]
	s_cbranch_execz .LBB755_92
.LBB755_90:                             ; =>This Inner Loop Header: Depth=1
	flat_load_dwordx2 v[68:69], v[64:65]
	flat_load_dwordx2 v[70:71], v[54:55]
	s_andn2_b64 s[26:27], s[26:27], exec
	s_or_b64 s[22:23], s[22:23], exec
	s_or_b64 s[24:25], s[24:25], exec
	s_waitcnt vmcnt(0) lgkmcnt(0)
	v_cmp_ngt_f64_e64 s[2:3], v[68:69], v[70:71]
	v_cmp_lt_f64_e64 s[0:1], v[68:69], v[70:71]
	s_and_b64 s[2:3], s[2:3], s[28:29]
	v_cmp_nlg_f64_e64 s[4:5], v[68:69], v[70:71]
	s_or_b64 s[2:3], s[0:1], s[2:3]
	s_and_saveexec_b64 s[30:31], s[4:5]
	s_cbranch_execz .LBB755_89
; %bb.91:                               ;   in Loop: Header=BB755_90 Depth=1
	v_lshl_add_u64 v[66:67], v[66:67], 0, -1
	v_cmp_eq_u64_e64 s[0:1], 0, v[66:67]
	s_andn2_b64 s[4:5], s[26:27], exec
	s_and_b64 s[26:27], s[2:3], exec
	s_or_b64 s[26:27], s[4:5], s[26:27]
	s_andn2_b64 s[4:5], s[24:25], exec
	s_and_b64 s[0:1], s[0:1], exec
	v_lshl_add_u64 v[54:55], v[54:55], 0, 8
	v_lshl_add_u64 v[64:65], v[64:65], 0, 8
	s_andn2_b64 s[22:23], s[22:23], exec
	s_or_b64 s[24:25], s[4:5], s[0:1]
                                        ; implicit-def: $sgpr28_sgpr29
	s_branch .LBB755_89
.LBB755_92:
	s_or_b64 exec, exec, s[18:19]
	s_and_saveexec_b64 s[0:1], s[20:21]
	s_xor_b64 s[0:1], exec, s[0:1]
; %bb.93:
	v_cndmask_b32_e64 v55, v17, v19, s[16:17]
	v_cndmask_b32_e64 v54, v16, v18, s[16:17]
	;; [unrolled: 1-line block ×4, first 2 shown]
	v_mov_b64_e32 v[16:17], v[54:55]
; %bb.94:
	s_or_b64 exec, exec, s[0:1]
	s_or_b64 exec, exec, s[10:11]
	s_and_saveexec_b64 s[10:11], vcc
	s_cbranch_execz .LBB755_16
.LBB755_95:
	v_mul_lo_u32 v64, v13, v6
	v_mul_lo_u32 v65, v12, v7
	v_mad_u64_u32 v[54:55], s[0:1], v12, v6, 0
	v_add3_u32 v55, v55, v65, v64
	v_mul_lo_u32 v66, v15, v6
	v_mul_lo_u32 v67, v14, v7
	v_mad_u64_u32 v[64:65], s[0:1], v14, v6, 0
	v_add3_u32 v65, v65, v67, v66
	v_lshl_add_u64 v[54:55], v[54:55], 3, v[8:9]
	v_lshl_add_u64 v[64:65], v[64:65], 3, v[8:9]
	s_mov_b64 s[18:19], 0
	v_mov_b64_e32 v[66:67], v[6:7]
                                        ; implicit-def: $sgpr16_sgpr17
                                        ; implicit-def: $sgpr20_sgpr21
                                        ; implicit-def: $sgpr24_sgpr25
                                        ; implicit-def: $sgpr22_sgpr23
                                        ; implicit-def: $sgpr26_sgpr27
                                        ; implicit-def: $sgpr28_sgpr29
	s_branch .LBB755_97
.LBB755_96:                             ;   in Loop: Header=BB755_97 Depth=1
	s_or_b64 exec, exec, s[30:31]
	s_and_b64 s[0:1], exec, s[24:25]
	s_or_b64 s[18:19], s[0:1], s[18:19]
	s_andn2_b64 s[0:1], s[28:29], exec
	s_and_b64 s[4:5], s[26:27], exec
	s_or_b64 s[28:29], s[0:1], s[4:5]
	s_andn2_b64 s[0:1], s[20:21], exec
	s_and_b64 s[4:5], s[22:23], exec
	s_or_b64 s[20:21], s[0:1], s[4:5]
	s_andn2_b64 s[0:1], s[16:17], exec
	s_and_b64 s[2:3], s[2:3], exec
	s_or_b64 s[16:17], s[0:1], s[2:3]
	s_andn2_b64 exec, exec, s[18:19]
	s_cbranch_execz .LBB755_99
.LBB755_97:                             ; =>This Inner Loop Header: Depth=1
	flat_load_dwordx2 v[68:69], v[64:65]
	flat_load_dwordx2 v[70:71], v[54:55]
	s_andn2_b64 s[26:27], s[26:27], exec
	s_or_b64 s[22:23], s[22:23], exec
	s_or_b64 s[24:25], s[24:25], exec
	s_waitcnt vmcnt(0) lgkmcnt(0)
	v_cmp_ngt_f64_e64 s[2:3], v[68:69], v[70:71]
	v_cmp_lt_f64_e64 s[0:1], v[68:69], v[70:71]
	s_and_b64 s[2:3], s[2:3], s[28:29]
	v_cmp_nlg_f64_e64 s[4:5], v[68:69], v[70:71]
	s_or_b64 s[2:3], s[0:1], s[2:3]
	s_and_saveexec_b64 s[30:31], s[4:5]
	s_cbranch_execz .LBB755_96
; %bb.98:                               ;   in Loop: Header=BB755_97 Depth=1
	v_lshl_add_u64 v[66:67], v[66:67], 0, -1
	v_cmp_eq_u64_e64 s[0:1], 0, v[66:67]
	s_andn2_b64 s[4:5], s[26:27], exec
	s_and_b64 s[26:27], s[2:3], exec
	s_or_b64 s[26:27], s[4:5], s[26:27]
	s_andn2_b64 s[4:5], s[24:25], exec
	s_and_b64 s[0:1], s[0:1], exec
	v_lshl_add_u64 v[54:55], v[54:55], 0, 8
	v_lshl_add_u64 v[64:65], v[64:65], 0, 8
	s_andn2_b64 s[22:23], s[22:23], exec
	s_or_b64 s[24:25], s[4:5], s[0:1]
                                        ; implicit-def: $sgpr28_sgpr29
	s_branch .LBB755_96
.LBB755_99:
	s_or_b64 exec, exec, s[18:19]
	s_and_saveexec_b64 s[0:1], s[20:21]
	s_xor_b64 s[0:1], exec, s[0:1]
; %bb.100:
	v_cndmask_b32_e64 v55, v13, v15, s[16:17]
	v_cndmask_b32_e64 v54, v12, v14, s[16:17]
	;; [unrolled: 1-line block ×4, first 2 shown]
	v_mov_b64_e32 v[12:13], v[54:55]
; %bb.101:
	s_or_b64 exec, exec, s[0:1]
	s_or_b64 exec, exec, s[10:11]
	s_and_saveexec_b64 s[10:11], vcc
	s_cbranch_execz .LBB755_17
.LBB755_102:
	v_mul_lo_u32 v64, v1, v6
	v_mul_lo_u32 v65, v0, v7
	v_mad_u64_u32 v[54:55], s[0:1], v0, v6, 0
	v_add3_u32 v55, v55, v65, v64
	v_mul_lo_u32 v66, v3, v6
	v_mul_lo_u32 v67, v2, v7
	v_mad_u64_u32 v[64:65], s[0:1], v2, v6, 0
	v_add3_u32 v65, v65, v67, v66
	v_lshl_add_u64 v[54:55], v[54:55], 3, v[8:9]
	v_lshl_add_u64 v[64:65], v[64:65], 3, v[8:9]
	s_mov_b64 s[18:19], 0
	v_mov_b64_e32 v[66:67], v[6:7]
                                        ; implicit-def: $sgpr16_sgpr17
                                        ; implicit-def: $sgpr20_sgpr21
                                        ; implicit-def: $sgpr24_sgpr25
                                        ; implicit-def: $sgpr22_sgpr23
                                        ; implicit-def: $sgpr26_sgpr27
                                        ; implicit-def: $sgpr28_sgpr29
	s_branch .LBB755_104
.LBB755_103:                            ;   in Loop: Header=BB755_104 Depth=1
	s_or_b64 exec, exec, s[30:31]
	s_and_b64 s[0:1], exec, s[24:25]
	s_or_b64 s[18:19], s[0:1], s[18:19]
	s_andn2_b64 s[0:1], s[28:29], exec
	s_and_b64 s[4:5], s[26:27], exec
	s_or_b64 s[28:29], s[0:1], s[4:5]
	s_andn2_b64 s[0:1], s[20:21], exec
	s_and_b64 s[4:5], s[22:23], exec
	;; [unrolled: 3-line block ×3, first 2 shown]
	s_or_b64 s[16:17], s[0:1], s[2:3]
	s_andn2_b64 exec, exec, s[18:19]
	s_cbranch_execz .LBB755_106
.LBB755_104:                            ; =>This Inner Loop Header: Depth=1
	flat_load_dwordx2 v[68:69], v[64:65]
	flat_load_dwordx2 v[70:71], v[54:55]
	s_andn2_b64 s[26:27], s[26:27], exec
	s_or_b64 s[22:23], s[22:23], exec
	s_or_b64 s[24:25], s[24:25], exec
	s_waitcnt vmcnt(0) lgkmcnt(0)
	v_cmp_ngt_f64_e64 s[2:3], v[68:69], v[70:71]
	v_cmp_lt_f64_e64 s[0:1], v[68:69], v[70:71]
	s_and_b64 s[2:3], s[2:3], s[28:29]
	v_cmp_nlg_f64_e64 s[4:5], v[68:69], v[70:71]
	s_or_b64 s[2:3], s[0:1], s[2:3]
	s_and_saveexec_b64 s[30:31], s[4:5]
	s_cbranch_execz .LBB755_103
; %bb.105:                              ;   in Loop: Header=BB755_104 Depth=1
	v_lshl_add_u64 v[66:67], v[66:67], 0, -1
	v_cmp_eq_u64_e64 s[0:1], 0, v[66:67]
	s_andn2_b64 s[4:5], s[26:27], exec
	s_and_b64 s[26:27], s[2:3], exec
	s_or_b64 s[26:27], s[4:5], s[26:27]
	s_andn2_b64 s[4:5], s[24:25], exec
	s_and_b64 s[0:1], s[0:1], exec
	v_lshl_add_u64 v[54:55], v[54:55], 0, 8
	v_lshl_add_u64 v[64:65], v[64:65], 0, 8
	s_andn2_b64 s[22:23], s[22:23], exec
	s_or_b64 s[24:25], s[4:5], s[0:1]
                                        ; implicit-def: $sgpr28_sgpr29
	s_branch .LBB755_103
.LBB755_106:
	s_or_b64 exec, exec, s[18:19]
	s_and_saveexec_b64 s[0:1], s[20:21]
	s_xor_b64 s[0:1], exec, s[0:1]
; %bb.107:
	v_cndmask_b32_e64 v55, v1, v3, s[16:17]
	v_cndmask_b32_e64 v54, v0, v2, s[16:17]
	;; [unrolled: 1-line block ×4, first 2 shown]
	v_mov_b64_e32 v[0:1], v[54:55]
; %bb.108:
	s_or_b64 exec, exec, s[0:1]
	s_or_b64 exec, exec, s[10:11]
	s_and_saveexec_b64 s[10:11], vcc
	s_cbranch_execz .LBB755_18
.LBB755_109:
	v_mul_lo_u32 v64, v23, v6
	v_mul_lo_u32 v65, v22, v7
	v_mad_u64_u32 v[54:55], s[0:1], v22, v6, 0
	v_add3_u32 v55, v55, v65, v64
	v_mul_lo_u32 v66, v17, v6
	v_mul_lo_u32 v67, v16, v7
	v_mad_u64_u32 v[64:65], s[0:1], v16, v6, 0
	v_add3_u32 v65, v65, v67, v66
	v_lshl_add_u64 v[54:55], v[54:55], 3, v[8:9]
	v_lshl_add_u64 v[64:65], v[64:65], 3, v[8:9]
	s_mov_b64 s[18:19], 0
	v_mov_b64_e32 v[66:67], v[6:7]
                                        ; implicit-def: $sgpr16_sgpr17
                                        ; implicit-def: $sgpr20_sgpr21
                                        ; implicit-def: $sgpr24_sgpr25
                                        ; implicit-def: $sgpr22_sgpr23
                                        ; implicit-def: $sgpr26_sgpr27
                                        ; implicit-def: $sgpr28_sgpr29
	s_branch .LBB755_111
.LBB755_110:                            ;   in Loop: Header=BB755_111 Depth=1
	s_or_b64 exec, exec, s[30:31]
	s_and_b64 s[0:1], exec, s[24:25]
	s_or_b64 s[18:19], s[0:1], s[18:19]
	s_andn2_b64 s[0:1], s[28:29], exec
	s_and_b64 s[4:5], s[26:27], exec
	s_or_b64 s[28:29], s[0:1], s[4:5]
	s_andn2_b64 s[0:1], s[20:21], exec
	s_and_b64 s[4:5], s[22:23], exec
	;; [unrolled: 3-line block ×3, first 2 shown]
	s_or_b64 s[16:17], s[0:1], s[2:3]
	s_andn2_b64 exec, exec, s[18:19]
	s_cbranch_execz .LBB755_113
.LBB755_111:                            ; =>This Inner Loop Header: Depth=1
	flat_load_dwordx2 v[68:69], v[64:65]
	flat_load_dwordx2 v[70:71], v[54:55]
	s_andn2_b64 s[26:27], s[26:27], exec
	s_or_b64 s[22:23], s[22:23], exec
	s_or_b64 s[24:25], s[24:25], exec
	s_waitcnt vmcnt(0) lgkmcnt(0)
	v_cmp_ngt_f64_e64 s[2:3], v[68:69], v[70:71]
	v_cmp_lt_f64_e64 s[0:1], v[68:69], v[70:71]
	s_and_b64 s[2:3], s[2:3], s[28:29]
	v_cmp_nlg_f64_e64 s[4:5], v[68:69], v[70:71]
	s_or_b64 s[2:3], s[0:1], s[2:3]
	s_and_saveexec_b64 s[30:31], s[4:5]
	s_cbranch_execz .LBB755_110
; %bb.112:                              ;   in Loop: Header=BB755_111 Depth=1
	v_lshl_add_u64 v[66:67], v[66:67], 0, -1
	v_cmp_eq_u64_e64 s[0:1], 0, v[66:67]
	s_andn2_b64 s[4:5], s[26:27], exec
	s_and_b64 s[26:27], s[2:3], exec
	s_or_b64 s[26:27], s[4:5], s[26:27]
	s_andn2_b64 s[4:5], s[24:25], exec
	s_and_b64 s[0:1], s[0:1], exec
	v_lshl_add_u64 v[54:55], v[54:55], 0, 8
	v_lshl_add_u64 v[64:65], v[64:65], 0, 8
	s_andn2_b64 s[22:23], s[22:23], exec
	s_or_b64 s[24:25], s[4:5], s[0:1]
                                        ; implicit-def: $sgpr28_sgpr29
	s_branch .LBB755_110
.LBB755_113:
	s_or_b64 exec, exec, s[18:19]
	s_and_saveexec_b64 s[0:1], s[20:21]
	s_xor_b64 s[0:1], exec, s[0:1]
; %bb.114:
	v_cndmask_b32_e64 v55, v23, v17, s[16:17]
	v_cndmask_b32_e64 v54, v22, v16, s[16:17]
	;; [unrolled: 1-line block ×4, first 2 shown]
	v_mov_b64_e32 v[22:23], v[54:55]
; %bb.115:
	s_or_b64 exec, exec, s[0:1]
	s_or_b64 exec, exec, s[10:11]
	s_and_saveexec_b64 s[10:11], vcc
	s_cbranch_execz .LBB755_19
.LBB755_116:
	v_mul_lo_u32 v64, v19, v6
	v_mul_lo_u32 v65, v18, v7
	v_mad_u64_u32 v[54:55], s[0:1], v18, v6, 0
	v_add3_u32 v55, v55, v65, v64
	v_mul_lo_u32 v66, v13, v6
	v_mul_lo_u32 v67, v12, v7
	v_mad_u64_u32 v[64:65], s[0:1], v12, v6, 0
	v_add3_u32 v65, v65, v67, v66
	v_lshl_add_u64 v[54:55], v[54:55], 3, v[8:9]
	v_lshl_add_u64 v[64:65], v[64:65], 3, v[8:9]
	s_mov_b64 s[18:19], 0
	v_mov_b64_e32 v[66:67], v[6:7]
                                        ; implicit-def: $sgpr16_sgpr17
                                        ; implicit-def: $sgpr20_sgpr21
                                        ; implicit-def: $sgpr24_sgpr25
                                        ; implicit-def: $sgpr22_sgpr23
                                        ; implicit-def: $sgpr26_sgpr27
                                        ; implicit-def: $sgpr28_sgpr29
	s_branch .LBB755_118
.LBB755_117:                            ;   in Loop: Header=BB755_118 Depth=1
	s_or_b64 exec, exec, s[30:31]
	s_and_b64 s[0:1], exec, s[24:25]
	s_or_b64 s[18:19], s[0:1], s[18:19]
	s_andn2_b64 s[0:1], s[28:29], exec
	s_and_b64 s[4:5], s[26:27], exec
	s_or_b64 s[28:29], s[0:1], s[4:5]
	s_andn2_b64 s[0:1], s[20:21], exec
	s_and_b64 s[4:5], s[22:23], exec
	;; [unrolled: 3-line block ×3, first 2 shown]
	s_or_b64 s[16:17], s[0:1], s[2:3]
	s_andn2_b64 exec, exec, s[18:19]
	s_cbranch_execz .LBB755_120
.LBB755_118:                            ; =>This Inner Loop Header: Depth=1
	flat_load_dwordx2 v[68:69], v[64:65]
	flat_load_dwordx2 v[70:71], v[54:55]
	s_andn2_b64 s[26:27], s[26:27], exec
	s_or_b64 s[22:23], s[22:23], exec
	s_or_b64 s[24:25], s[24:25], exec
	s_waitcnt vmcnt(0) lgkmcnt(0)
	v_cmp_ngt_f64_e64 s[2:3], v[68:69], v[70:71]
	v_cmp_lt_f64_e64 s[0:1], v[68:69], v[70:71]
	s_and_b64 s[2:3], s[2:3], s[28:29]
	v_cmp_nlg_f64_e64 s[4:5], v[68:69], v[70:71]
	s_or_b64 s[2:3], s[0:1], s[2:3]
	s_and_saveexec_b64 s[30:31], s[4:5]
	s_cbranch_execz .LBB755_117
; %bb.119:                              ;   in Loop: Header=BB755_118 Depth=1
	v_lshl_add_u64 v[66:67], v[66:67], 0, -1
	v_cmp_eq_u64_e64 s[0:1], 0, v[66:67]
	s_andn2_b64 s[4:5], s[26:27], exec
	s_and_b64 s[26:27], s[2:3], exec
	s_or_b64 s[26:27], s[4:5], s[26:27]
	s_andn2_b64 s[4:5], s[24:25], exec
	s_and_b64 s[0:1], s[0:1], exec
	v_lshl_add_u64 v[54:55], v[54:55], 0, 8
	v_lshl_add_u64 v[64:65], v[64:65], 0, 8
	s_andn2_b64 s[22:23], s[22:23], exec
	s_or_b64 s[24:25], s[4:5], s[0:1]
                                        ; implicit-def: $sgpr28_sgpr29
	s_branch .LBB755_117
.LBB755_120:
	s_or_b64 exec, exec, s[18:19]
	s_and_saveexec_b64 s[0:1], s[20:21]
	s_xor_b64 s[0:1], exec, s[0:1]
; %bb.121:
	v_cndmask_b32_e64 v55, v19, v13, s[16:17]
	v_cndmask_b32_e64 v54, v18, v12, s[16:17]
	;; [unrolled: 1-line block ×4, first 2 shown]
	v_mov_b64_e32 v[18:19], v[54:55]
; %bb.122:
	s_or_b64 exec, exec, s[0:1]
	s_or_b64 exec, exec, s[10:11]
	s_and_saveexec_b64 s[10:11], vcc
	s_cbranch_execz .LBB755_20
.LBB755_123:
	v_mul_lo_u32 v64, v15, v6
	v_mul_lo_u32 v65, v14, v7
	v_mad_u64_u32 v[54:55], s[0:1], v14, v6, 0
	v_add3_u32 v55, v55, v65, v64
	v_mul_lo_u32 v66, v1, v6
	v_mul_lo_u32 v67, v0, v7
	v_mad_u64_u32 v[64:65], s[0:1], v0, v6, 0
	v_add3_u32 v65, v65, v67, v66
	v_lshl_add_u64 v[54:55], v[54:55], 3, v[8:9]
	v_lshl_add_u64 v[64:65], v[64:65], 3, v[8:9]
	s_mov_b64 s[18:19], 0
	v_mov_b64_e32 v[66:67], v[6:7]
                                        ; implicit-def: $sgpr16_sgpr17
                                        ; implicit-def: $sgpr20_sgpr21
                                        ; implicit-def: $sgpr24_sgpr25
                                        ; implicit-def: $sgpr22_sgpr23
                                        ; implicit-def: $sgpr26_sgpr27
                                        ; implicit-def: $sgpr28_sgpr29
	s_branch .LBB755_125
.LBB755_124:                            ;   in Loop: Header=BB755_125 Depth=1
	s_or_b64 exec, exec, s[30:31]
	s_and_b64 s[0:1], exec, s[24:25]
	s_or_b64 s[18:19], s[0:1], s[18:19]
	s_andn2_b64 s[0:1], s[28:29], exec
	s_and_b64 s[4:5], s[26:27], exec
	s_or_b64 s[28:29], s[0:1], s[4:5]
	s_andn2_b64 s[0:1], s[20:21], exec
	s_and_b64 s[4:5], s[22:23], exec
	;; [unrolled: 3-line block ×3, first 2 shown]
	s_or_b64 s[16:17], s[0:1], s[2:3]
	s_andn2_b64 exec, exec, s[18:19]
	s_cbranch_execz .LBB755_127
.LBB755_125:                            ; =>This Inner Loop Header: Depth=1
	flat_load_dwordx2 v[68:69], v[64:65]
	flat_load_dwordx2 v[70:71], v[54:55]
	s_andn2_b64 s[26:27], s[26:27], exec
	s_or_b64 s[22:23], s[22:23], exec
	s_or_b64 s[24:25], s[24:25], exec
	s_waitcnt vmcnt(0) lgkmcnt(0)
	v_cmp_ngt_f64_e64 s[2:3], v[68:69], v[70:71]
	v_cmp_lt_f64_e64 s[0:1], v[68:69], v[70:71]
	s_and_b64 s[2:3], s[2:3], s[28:29]
	v_cmp_nlg_f64_e64 s[4:5], v[68:69], v[70:71]
	s_or_b64 s[2:3], s[0:1], s[2:3]
	s_and_saveexec_b64 s[30:31], s[4:5]
	s_cbranch_execz .LBB755_124
; %bb.126:                              ;   in Loop: Header=BB755_125 Depth=1
	v_lshl_add_u64 v[66:67], v[66:67], 0, -1
	v_cmp_eq_u64_e64 s[0:1], 0, v[66:67]
	s_andn2_b64 s[4:5], s[26:27], exec
	s_and_b64 s[26:27], s[2:3], exec
	s_or_b64 s[26:27], s[4:5], s[26:27]
	s_andn2_b64 s[4:5], s[24:25], exec
	s_and_b64 s[0:1], s[0:1], exec
	v_lshl_add_u64 v[54:55], v[54:55], 0, 8
	v_lshl_add_u64 v[64:65], v[64:65], 0, 8
	s_andn2_b64 s[22:23], s[22:23], exec
	s_or_b64 s[24:25], s[4:5], s[0:1]
                                        ; implicit-def: $sgpr28_sgpr29
	s_branch .LBB755_124
.LBB755_127:
	s_or_b64 exec, exec, s[18:19]
	s_and_saveexec_b64 s[0:1], s[20:21]
	s_xor_b64 s[0:1], exec, s[0:1]
; %bb.128:
	v_cndmask_b32_e64 v55, v15, v1, s[16:17]
	v_cndmask_b32_e64 v54, v14, v0, s[16:17]
	;; [unrolled: 1-line block ×4, first 2 shown]
	v_mov_b64_e32 v[14:15], v[54:55]
; %bb.129:
	s_or_b64 exec, exec, s[0:1]
	s_or_b64 exec, exec, s[10:11]
	s_and_saveexec_b64 s[10:11], vcc
	s_cbranch_execz .LBB755_21
.LBB755_130:
	v_mul_lo_u32 v64, v21, v6
	v_mul_lo_u32 v65, v20, v7
	v_mad_u64_u32 v[54:55], s[0:1], v20, v6, 0
	v_add3_u32 v55, v55, v65, v64
	v_mul_lo_u32 v66, v23, v6
	v_mul_lo_u32 v67, v22, v7
	v_mad_u64_u32 v[64:65], s[0:1], v22, v6, 0
	v_add3_u32 v65, v65, v67, v66
	v_lshl_add_u64 v[54:55], v[54:55], 3, v[8:9]
	v_lshl_add_u64 v[64:65], v[64:65], 3, v[8:9]
	s_mov_b64 s[18:19], 0
	v_mov_b64_e32 v[66:67], v[6:7]
                                        ; implicit-def: $sgpr16_sgpr17
                                        ; implicit-def: $sgpr20_sgpr21
                                        ; implicit-def: $sgpr24_sgpr25
                                        ; implicit-def: $sgpr22_sgpr23
                                        ; implicit-def: $sgpr26_sgpr27
                                        ; implicit-def: $sgpr28_sgpr29
	s_branch .LBB755_132
.LBB755_131:                            ;   in Loop: Header=BB755_132 Depth=1
	s_or_b64 exec, exec, s[30:31]
	s_and_b64 s[0:1], exec, s[24:25]
	s_or_b64 s[18:19], s[0:1], s[18:19]
	s_andn2_b64 s[0:1], s[28:29], exec
	s_and_b64 s[4:5], s[26:27], exec
	s_or_b64 s[28:29], s[0:1], s[4:5]
	s_andn2_b64 s[0:1], s[20:21], exec
	s_and_b64 s[4:5], s[22:23], exec
	;; [unrolled: 3-line block ×3, first 2 shown]
	s_or_b64 s[16:17], s[0:1], s[2:3]
	s_andn2_b64 exec, exec, s[18:19]
	s_cbranch_execz .LBB755_134
.LBB755_132:                            ; =>This Inner Loop Header: Depth=1
	flat_load_dwordx2 v[68:69], v[64:65]
	flat_load_dwordx2 v[70:71], v[54:55]
	s_andn2_b64 s[26:27], s[26:27], exec
	s_or_b64 s[22:23], s[22:23], exec
	s_or_b64 s[24:25], s[24:25], exec
	s_waitcnt vmcnt(0) lgkmcnt(0)
	v_cmp_ngt_f64_e64 s[2:3], v[68:69], v[70:71]
	v_cmp_lt_f64_e64 s[0:1], v[68:69], v[70:71]
	s_and_b64 s[2:3], s[2:3], s[28:29]
	v_cmp_nlg_f64_e64 s[4:5], v[68:69], v[70:71]
	s_or_b64 s[2:3], s[0:1], s[2:3]
	s_and_saveexec_b64 s[30:31], s[4:5]
	s_cbranch_execz .LBB755_131
; %bb.133:                              ;   in Loop: Header=BB755_132 Depth=1
	v_lshl_add_u64 v[66:67], v[66:67], 0, -1
	v_cmp_eq_u64_e64 s[0:1], 0, v[66:67]
	s_andn2_b64 s[4:5], s[26:27], exec
	s_and_b64 s[26:27], s[2:3], exec
	s_or_b64 s[26:27], s[4:5], s[26:27]
	s_andn2_b64 s[4:5], s[24:25], exec
	s_and_b64 s[0:1], s[0:1], exec
	v_lshl_add_u64 v[54:55], v[54:55], 0, 8
	v_lshl_add_u64 v[64:65], v[64:65], 0, 8
	s_andn2_b64 s[22:23], s[22:23], exec
	s_or_b64 s[24:25], s[4:5], s[0:1]
                                        ; implicit-def: $sgpr28_sgpr29
	s_branch .LBB755_131
.LBB755_134:
	s_or_b64 exec, exec, s[18:19]
	s_and_saveexec_b64 s[0:1], s[20:21]
	s_xor_b64 s[0:1], exec, s[0:1]
; %bb.135:
	v_cndmask_b32_e64 v55, v23, v21, s[16:17]
	v_cndmask_b32_e64 v54, v22, v20, s[16:17]
	;; [unrolled: 1-line block ×4, first 2 shown]
	v_mov_b64_e32 v[22:23], v[54:55]
; %bb.136:
	s_or_b64 exec, exec, s[0:1]
	s_or_b64 exec, exec, s[10:11]
	s_and_saveexec_b64 s[10:11], vcc
	s_cbranch_execz .LBB755_22
.LBB755_137:
	v_mul_lo_u32 v64, v17, v6
	v_mul_lo_u32 v65, v16, v7
	v_mad_u64_u32 v[54:55], s[0:1], v16, v6, 0
	v_add3_u32 v55, v55, v65, v64
	v_mul_lo_u32 v66, v19, v6
	v_mul_lo_u32 v67, v18, v7
	v_mad_u64_u32 v[64:65], s[0:1], v18, v6, 0
	v_add3_u32 v65, v65, v67, v66
	v_lshl_add_u64 v[54:55], v[54:55], 3, v[8:9]
	v_lshl_add_u64 v[64:65], v[64:65], 3, v[8:9]
	s_mov_b64 s[18:19], 0
	v_mov_b64_e32 v[66:67], v[6:7]
                                        ; implicit-def: $sgpr16_sgpr17
                                        ; implicit-def: $sgpr20_sgpr21
                                        ; implicit-def: $sgpr24_sgpr25
                                        ; implicit-def: $sgpr22_sgpr23
                                        ; implicit-def: $sgpr26_sgpr27
                                        ; implicit-def: $sgpr28_sgpr29
	s_branch .LBB755_139
.LBB755_138:                            ;   in Loop: Header=BB755_139 Depth=1
	s_or_b64 exec, exec, s[30:31]
	s_and_b64 s[0:1], exec, s[24:25]
	s_or_b64 s[18:19], s[0:1], s[18:19]
	s_andn2_b64 s[0:1], s[28:29], exec
	s_and_b64 s[4:5], s[26:27], exec
	s_or_b64 s[28:29], s[0:1], s[4:5]
	s_andn2_b64 s[0:1], s[20:21], exec
	s_and_b64 s[4:5], s[22:23], exec
	;; [unrolled: 3-line block ×3, first 2 shown]
	s_or_b64 s[16:17], s[0:1], s[2:3]
	s_andn2_b64 exec, exec, s[18:19]
	s_cbranch_execz .LBB755_141
.LBB755_139:                            ; =>This Inner Loop Header: Depth=1
	flat_load_dwordx2 v[68:69], v[64:65]
	flat_load_dwordx2 v[70:71], v[54:55]
	s_andn2_b64 s[26:27], s[26:27], exec
	s_or_b64 s[22:23], s[22:23], exec
	s_or_b64 s[24:25], s[24:25], exec
	s_waitcnt vmcnt(0) lgkmcnt(0)
	v_cmp_ngt_f64_e64 s[2:3], v[68:69], v[70:71]
	v_cmp_lt_f64_e64 s[0:1], v[68:69], v[70:71]
	s_and_b64 s[2:3], s[2:3], s[28:29]
	v_cmp_nlg_f64_e64 s[4:5], v[68:69], v[70:71]
	s_or_b64 s[2:3], s[0:1], s[2:3]
	s_and_saveexec_b64 s[30:31], s[4:5]
	s_cbranch_execz .LBB755_138
; %bb.140:                              ;   in Loop: Header=BB755_139 Depth=1
	v_lshl_add_u64 v[66:67], v[66:67], 0, -1
	v_cmp_eq_u64_e64 s[0:1], 0, v[66:67]
	s_andn2_b64 s[4:5], s[26:27], exec
	s_and_b64 s[26:27], s[2:3], exec
	s_or_b64 s[26:27], s[4:5], s[26:27]
	s_andn2_b64 s[4:5], s[24:25], exec
	s_and_b64 s[0:1], s[0:1], exec
	v_lshl_add_u64 v[54:55], v[54:55], 0, 8
	v_lshl_add_u64 v[64:65], v[64:65], 0, 8
	s_andn2_b64 s[22:23], s[22:23], exec
	s_or_b64 s[24:25], s[4:5], s[0:1]
                                        ; implicit-def: $sgpr28_sgpr29
	s_branch .LBB755_138
.LBB755_141:
	s_or_b64 exec, exec, s[18:19]
	s_and_saveexec_b64 s[0:1], s[20:21]
	s_xor_b64 s[0:1], exec, s[0:1]
; %bb.142:
	v_cndmask_b32_e64 v55, v17, v19, s[16:17]
	v_cndmask_b32_e64 v54, v16, v18, s[16:17]
	;; [unrolled: 1-line block ×4, first 2 shown]
	v_mov_b64_e32 v[16:17], v[54:55]
; %bb.143:
	s_or_b64 exec, exec, s[0:1]
	s_or_b64 exec, exec, s[10:11]
	s_and_saveexec_b64 s[10:11], vcc
	s_cbranch_execz .LBB755_23
.LBB755_144:
	v_mul_lo_u32 v64, v13, v6
	v_mul_lo_u32 v65, v12, v7
	v_mad_u64_u32 v[54:55], s[0:1], v12, v6, 0
	v_add3_u32 v55, v55, v65, v64
	v_mul_lo_u32 v66, v15, v6
	v_mul_lo_u32 v67, v14, v7
	v_mad_u64_u32 v[64:65], s[0:1], v14, v6, 0
	v_add3_u32 v65, v65, v67, v66
	v_lshl_add_u64 v[54:55], v[54:55], 3, v[8:9]
	v_lshl_add_u64 v[64:65], v[64:65], 3, v[8:9]
	s_mov_b64 s[18:19], 0
	v_mov_b64_e32 v[66:67], v[6:7]
                                        ; implicit-def: $sgpr16_sgpr17
                                        ; implicit-def: $sgpr20_sgpr21
                                        ; implicit-def: $sgpr24_sgpr25
                                        ; implicit-def: $sgpr22_sgpr23
                                        ; implicit-def: $sgpr26_sgpr27
                                        ; implicit-def: $sgpr28_sgpr29
	s_branch .LBB755_146
.LBB755_145:                            ;   in Loop: Header=BB755_146 Depth=1
	s_or_b64 exec, exec, s[30:31]
	s_and_b64 s[0:1], exec, s[24:25]
	s_or_b64 s[18:19], s[0:1], s[18:19]
	s_andn2_b64 s[0:1], s[28:29], exec
	s_and_b64 s[4:5], s[26:27], exec
	s_or_b64 s[28:29], s[0:1], s[4:5]
	s_andn2_b64 s[0:1], s[20:21], exec
	s_and_b64 s[4:5], s[22:23], exec
	;; [unrolled: 3-line block ×3, first 2 shown]
	s_or_b64 s[16:17], s[0:1], s[2:3]
	s_andn2_b64 exec, exec, s[18:19]
	s_cbranch_execz .LBB755_148
.LBB755_146:                            ; =>This Inner Loop Header: Depth=1
	flat_load_dwordx2 v[68:69], v[64:65]
	flat_load_dwordx2 v[70:71], v[54:55]
	s_andn2_b64 s[26:27], s[26:27], exec
	s_or_b64 s[22:23], s[22:23], exec
	s_or_b64 s[24:25], s[24:25], exec
	s_waitcnt vmcnt(0) lgkmcnt(0)
	v_cmp_ngt_f64_e64 s[2:3], v[68:69], v[70:71]
	v_cmp_lt_f64_e64 s[0:1], v[68:69], v[70:71]
	s_and_b64 s[2:3], s[2:3], s[28:29]
	v_cmp_nlg_f64_e64 s[4:5], v[68:69], v[70:71]
	s_or_b64 s[2:3], s[0:1], s[2:3]
	s_and_saveexec_b64 s[30:31], s[4:5]
	s_cbranch_execz .LBB755_145
; %bb.147:                              ;   in Loop: Header=BB755_146 Depth=1
	v_lshl_add_u64 v[66:67], v[66:67], 0, -1
	v_cmp_eq_u64_e64 s[0:1], 0, v[66:67]
	s_andn2_b64 s[4:5], s[26:27], exec
	s_and_b64 s[26:27], s[2:3], exec
	s_or_b64 s[26:27], s[4:5], s[26:27]
	s_andn2_b64 s[4:5], s[24:25], exec
	s_and_b64 s[0:1], s[0:1], exec
	v_lshl_add_u64 v[54:55], v[54:55], 0, 8
	v_lshl_add_u64 v[64:65], v[64:65], 0, 8
	s_andn2_b64 s[22:23], s[22:23], exec
	s_or_b64 s[24:25], s[4:5], s[0:1]
                                        ; implicit-def: $sgpr28_sgpr29
	s_branch .LBB755_145
.LBB755_148:
	s_or_b64 exec, exec, s[18:19]
	s_and_saveexec_b64 s[0:1], s[20:21]
	s_xor_b64 s[0:1], exec, s[0:1]
; %bb.149:
	v_cndmask_b32_e64 v55, v13, v15, s[16:17]
	v_cndmask_b32_e64 v54, v12, v14, s[16:17]
	;; [unrolled: 1-line block ×4, first 2 shown]
	v_mov_b64_e32 v[12:13], v[54:55]
; %bb.150:
	s_or_b64 exec, exec, s[0:1]
	s_or_b64 exec, exec, s[10:11]
	s_and_saveexec_b64 s[10:11], vcc
	s_cbranch_execz .LBB755_24
.LBB755_151:
	v_mul_lo_u32 v64, v1, v6
	v_mul_lo_u32 v65, v0, v7
	v_mad_u64_u32 v[54:55], s[0:1], v0, v6, 0
	v_add3_u32 v55, v55, v65, v64
	v_mul_lo_u32 v66, v3, v6
	v_mul_lo_u32 v67, v2, v7
	v_mad_u64_u32 v[64:65], s[0:1], v2, v6, 0
	v_add3_u32 v65, v65, v67, v66
	v_lshl_add_u64 v[54:55], v[54:55], 3, v[8:9]
	v_lshl_add_u64 v[64:65], v[64:65], 3, v[8:9]
	s_mov_b64 s[18:19], 0
	v_mov_b64_e32 v[66:67], v[6:7]
                                        ; implicit-def: $sgpr16_sgpr17
                                        ; implicit-def: $sgpr20_sgpr21
                                        ; implicit-def: $sgpr24_sgpr25
                                        ; implicit-def: $sgpr22_sgpr23
                                        ; implicit-def: $sgpr26_sgpr27
                                        ; implicit-def: $sgpr28_sgpr29
	s_branch .LBB755_153
.LBB755_152:                            ;   in Loop: Header=BB755_153 Depth=1
	s_or_b64 exec, exec, s[30:31]
	s_and_b64 s[0:1], exec, s[24:25]
	s_or_b64 s[18:19], s[0:1], s[18:19]
	s_andn2_b64 s[0:1], s[28:29], exec
	s_and_b64 s[4:5], s[26:27], exec
	s_or_b64 s[28:29], s[0:1], s[4:5]
	s_andn2_b64 s[0:1], s[20:21], exec
	s_and_b64 s[4:5], s[22:23], exec
	;; [unrolled: 3-line block ×3, first 2 shown]
	s_or_b64 s[16:17], s[0:1], s[2:3]
	s_andn2_b64 exec, exec, s[18:19]
	s_cbranch_execz .LBB755_155
.LBB755_153:                            ; =>This Inner Loop Header: Depth=1
	flat_load_dwordx2 v[68:69], v[64:65]
	flat_load_dwordx2 v[70:71], v[54:55]
	s_andn2_b64 s[26:27], s[26:27], exec
	s_or_b64 s[22:23], s[22:23], exec
	s_or_b64 s[24:25], s[24:25], exec
	s_waitcnt vmcnt(0) lgkmcnt(0)
	v_cmp_ngt_f64_e64 s[2:3], v[68:69], v[70:71]
	v_cmp_lt_f64_e64 s[0:1], v[68:69], v[70:71]
	s_and_b64 s[2:3], s[2:3], s[28:29]
	v_cmp_nlg_f64_e64 s[4:5], v[68:69], v[70:71]
	s_or_b64 s[2:3], s[0:1], s[2:3]
	s_and_saveexec_b64 s[30:31], s[4:5]
	s_cbranch_execz .LBB755_152
; %bb.154:                              ;   in Loop: Header=BB755_153 Depth=1
	v_lshl_add_u64 v[66:67], v[66:67], 0, -1
	v_cmp_eq_u64_e64 s[0:1], 0, v[66:67]
	s_andn2_b64 s[4:5], s[26:27], exec
	s_and_b64 s[26:27], s[2:3], exec
	s_or_b64 s[26:27], s[4:5], s[26:27]
	s_andn2_b64 s[4:5], s[24:25], exec
	s_and_b64 s[0:1], s[0:1], exec
	v_lshl_add_u64 v[54:55], v[54:55], 0, 8
	v_lshl_add_u64 v[64:65], v[64:65], 0, 8
	s_andn2_b64 s[22:23], s[22:23], exec
	s_or_b64 s[24:25], s[4:5], s[0:1]
                                        ; implicit-def: $sgpr28_sgpr29
	s_branch .LBB755_152
.LBB755_155:
	s_or_b64 exec, exec, s[18:19]
	s_and_saveexec_b64 s[0:1], s[20:21]
	s_xor_b64 s[0:1], exec, s[0:1]
; %bb.156:
	v_cndmask_b32_e64 v55, v1, v3, s[16:17]
	v_cndmask_b32_e64 v54, v0, v2, s[16:17]
	;; [unrolled: 1-line block ×4, first 2 shown]
	v_mov_b64_e32 v[0:1], v[54:55]
; %bb.157:
	s_or_b64 exec, exec, s[0:1]
	s_or_b64 exec, exec, s[10:11]
	s_and_saveexec_b64 s[10:11], vcc
	s_cbranch_execz .LBB755_25
.LBB755_158:
	v_mul_lo_u32 v64, v23, v6
	v_mul_lo_u32 v65, v22, v7
	v_mad_u64_u32 v[54:55], s[0:1], v22, v6, 0
	v_add3_u32 v55, v55, v65, v64
	v_mul_lo_u32 v66, v17, v6
	v_mul_lo_u32 v67, v16, v7
	v_mad_u64_u32 v[64:65], s[0:1], v16, v6, 0
	v_add3_u32 v65, v65, v67, v66
	v_lshl_add_u64 v[54:55], v[54:55], 3, v[8:9]
	v_lshl_add_u64 v[64:65], v[64:65], 3, v[8:9]
	s_mov_b64 s[18:19], 0
	v_mov_b64_e32 v[66:67], v[6:7]
                                        ; implicit-def: $sgpr16_sgpr17
                                        ; implicit-def: $sgpr20_sgpr21
                                        ; implicit-def: $sgpr24_sgpr25
                                        ; implicit-def: $sgpr22_sgpr23
                                        ; implicit-def: $sgpr26_sgpr27
                                        ; implicit-def: $sgpr28_sgpr29
	s_branch .LBB755_160
.LBB755_159:                            ;   in Loop: Header=BB755_160 Depth=1
	s_or_b64 exec, exec, s[30:31]
	s_and_b64 s[0:1], exec, s[24:25]
	s_or_b64 s[18:19], s[0:1], s[18:19]
	s_andn2_b64 s[0:1], s[28:29], exec
	s_and_b64 s[4:5], s[26:27], exec
	s_or_b64 s[28:29], s[0:1], s[4:5]
	s_andn2_b64 s[0:1], s[20:21], exec
	s_and_b64 s[4:5], s[22:23], exec
	;; [unrolled: 3-line block ×3, first 2 shown]
	s_or_b64 s[16:17], s[0:1], s[2:3]
	s_andn2_b64 exec, exec, s[18:19]
	s_cbranch_execz .LBB755_162
.LBB755_160:                            ; =>This Inner Loop Header: Depth=1
	flat_load_dwordx2 v[68:69], v[64:65]
	flat_load_dwordx2 v[70:71], v[54:55]
	s_andn2_b64 s[26:27], s[26:27], exec
	s_or_b64 s[22:23], s[22:23], exec
	s_or_b64 s[24:25], s[24:25], exec
	s_waitcnt vmcnt(0) lgkmcnt(0)
	v_cmp_ngt_f64_e64 s[2:3], v[68:69], v[70:71]
	v_cmp_lt_f64_e64 s[0:1], v[68:69], v[70:71]
	s_and_b64 s[2:3], s[2:3], s[28:29]
	v_cmp_nlg_f64_e64 s[4:5], v[68:69], v[70:71]
	s_or_b64 s[2:3], s[0:1], s[2:3]
	s_and_saveexec_b64 s[30:31], s[4:5]
	s_cbranch_execz .LBB755_159
; %bb.161:                              ;   in Loop: Header=BB755_160 Depth=1
	v_lshl_add_u64 v[66:67], v[66:67], 0, -1
	v_cmp_eq_u64_e64 s[0:1], 0, v[66:67]
	s_andn2_b64 s[4:5], s[26:27], exec
	s_and_b64 s[26:27], s[2:3], exec
	s_or_b64 s[26:27], s[4:5], s[26:27]
	s_andn2_b64 s[4:5], s[24:25], exec
	s_and_b64 s[0:1], s[0:1], exec
	v_lshl_add_u64 v[54:55], v[54:55], 0, 8
	v_lshl_add_u64 v[64:65], v[64:65], 0, 8
	s_andn2_b64 s[22:23], s[22:23], exec
	s_or_b64 s[24:25], s[4:5], s[0:1]
                                        ; implicit-def: $sgpr28_sgpr29
	s_branch .LBB755_159
.LBB755_162:
	s_or_b64 exec, exec, s[18:19]
	s_and_saveexec_b64 s[0:1], s[20:21]
	s_xor_b64 s[0:1], exec, s[0:1]
; %bb.163:
	v_cndmask_b32_e64 v55, v23, v17, s[16:17]
	v_cndmask_b32_e64 v54, v22, v16, s[16:17]
	;; [unrolled: 1-line block ×4, first 2 shown]
	v_mov_b64_e32 v[22:23], v[54:55]
; %bb.164:
	s_or_b64 exec, exec, s[0:1]
	s_or_b64 exec, exec, s[10:11]
	s_and_saveexec_b64 s[10:11], vcc
	s_cbranch_execz .LBB755_26
.LBB755_165:
	v_mul_lo_u32 v64, v19, v6
	v_mul_lo_u32 v65, v18, v7
	v_mad_u64_u32 v[54:55], s[0:1], v18, v6, 0
	v_add3_u32 v55, v55, v65, v64
	v_mul_lo_u32 v66, v13, v6
	v_mul_lo_u32 v67, v12, v7
	v_mad_u64_u32 v[64:65], s[0:1], v12, v6, 0
	v_add3_u32 v65, v65, v67, v66
	v_lshl_add_u64 v[54:55], v[54:55], 3, v[8:9]
	v_lshl_add_u64 v[64:65], v[64:65], 3, v[8:9]
	s_mov_b64 s[18:19], 0
	v_mov_b64_e32 v[66:67], v[6:7]
                                        ; implicit-def: $sgpr16_sgpr17
                                        ; implicit-def: $sgpr20_sgpr21
                                        ; implicit-def: $sgpr24_sgpr25
                                        ; implicit-def: $sgpr22_sgpr23
                                        ; implicit-def: $sgpr26_sgpr27
                                        ; implicit-def: $sgpr28_sgpr29
	s_branch .LBB755_167
.LBB755_166:                            ;   in Loop: Header=BB755_167 Depth=1
	s_or_b64 exec, exec, s[30:31]
	s_and_b64 s[0:1], exec, s[24:25]
	s_or_b64 s[18:19], s[0:1], s[18:19]
	s_andn2_b64 s[0:1], s[28:29], exec
	s_and_b64 s[4:5], s[26:27], exec
	s_or_b64 s[28:29], s[0:1], s[4:5]
	s_andn2_b64 s[0:1], s[20:21], exec
	s_and_b64 s[4:5], s[22:23], exec
	;; [unrolled: 3-line block ×3, first 2 shown]
	s_or_b64 s[16:17], s[0:1], s[2:3]
	s_andn2_b64 exec, exec, s[18:19]
	s_cbranch_execz .LBB755_169
.LBB755_167:                            ; =>This Inner Loop Header: Depth=1
	flat_load_dwordx2 v[68:69], v[64:65]
	flat_load_dwordx2 v[70:71], v[54:55]
	s_andn2_b64 s[26:27], s[26:27], exec
	s_or_b64 s[22:23], s[22:23], exec
	s_or_b64 s[24:25], s[24:25], exec
	s_waitcnt vmcnt(0) lgkmcnt(0)
	v_cmp_ngt_f64_e64 s[2:3], v[68:69], v[70:71]
	v_cmp_lt_f64_e64 s[0:1], v[68:69], v[70:71]
	s_and_b64 s[2:3], s[2:3], s[28:29]
	v_cmp_nlg_f64_e64 s[4:5], v[68:69], v[70:71]
	s_or_b64 s[2:3], s[0:1], s[2:3]
	s_and_saveexec_b64 s[30:31], s[4:5]
	s_cbranch_execz .LBB755_166
; %bb.168:                              ;   in Loop: Header=BB755_167 Depth=1
	v_lshl_add_u64 v[66:67], v[66:67], 0, -1
	v_cmp_eq_u64_e64 s[0:1], 0, v[66:67]
	s_andn2_b64 s[4:5], s[26:27], exec
	s_and_b64 s[26:27], s[2:3], exec
	s_or_b64 s[26:27], s[4:5], s[26:27]
	s_andn2_b64 s[4:5], s[24:25], exec
	s_and_b64 s[0:1], s[0:1], exec
	v_lshl_add_u64 v[54:55], v[54:55], 0, 8
	v_lshl_add_u64 v[64:65], v[64:65], 0, 8
	s_andn2_b64 s[22:23], s[22:23], exec
	s_or_b64 s[24:25], s[4:5], s[0:1]
                                        ; implicit-def: $sgpr28_sgpr29
	s_branch .LBB755_166
.LBB755_169:
	s_or_b64 exec, exec, s[18:19]
	s_and_saveexec_b64 s[0:1], s[20:21]
	s_xor_b64 s[0:1], exec, s[0:1]
; %bb.170:
	v_cndmask_b32_e64 v55, v19, v13, s[16:17]
	v_cndmask_b32_e64 v54, v18, v12, s[16:17]
	v_cndmask_b32_e64 v13, v13, v19, s[16:17]
	v_cndmask_b32_e64 v12, v12, v18, s[16:17]
	v_mov_b64_e32 v[18:19], v[54:55]
; %bb.171:
	s_or_b64 exec, exec, s[0:1]
	s_or_b64 exec, exec, s[10:11]
	s_and_saveexec_b64 s[10:11], vcc
	s_cbranch_execz .LBB755_27
.LBB755_172:
	v_mul_lo_u32 v64, v15, v6
	v_mul_lo_u32 v65, v14, v7
	v_mad_u64_u32 v[54:55], s[0:1], v14, v6, 0
	v_add3_u32 v55, v55, v65, v64
	v_mul_lo_u32 v66, v1, v6
	v_mul_lo_u32 v67, v0, v7
	v_mad_u64_u32 v[64:65], s[0:1], v0, v6, 0
	v_add3_u32 v65, v65, v67, v66
	v_lshl_add_u64 v[54:55], v[54:55], 3, v[8:9]
	v_lshl_add_u64 v[64:65], v[64:65], 3, v[8:9]
	s_mov_b64 s[18:19], 0
	v_mov_b64_e32 v[66:67], v[6:7]
                                        ; implicit-def: $sgpr16_sgpr17
                                        ; implicit-def: $sgpr20_sgpr21
                                        ; implicit-def: $sgpr24_sgpr25
                                        ; implicit-def: $sgpr22_sgpr23
                                        ; implicit-def: $sgpr26_sgpr27
                                        ; implicit-def: $sgpr28_sgpr29
	s_branch .LBB755_174
.LBB755_173:                            ;   in Loop: Header=BB755_174 Depth=1
	s_or_b64 exec, exec, s[30:31]
	s_and_b64 s[0:1], exec, s[24:25]
	s_or_b64 s[18:19], s[0:1], s[18:19]
	s_andn2_b64 s[0:1], s[28:29], exec
	s_and_b64 s[4:5], s[26:27], exec
	s_or_b64 s[28:29], s[0:1], s[4:5]
	s_andn2_b64 s[0:1], s[20:21], exec
	s_and_b64 s[4:5], s[22:23], exec
	;; [unrolled: 3-line block ×3, first 2 shown]
	s_or_b64 s[16:17], s[0:1], s[2:3]
	s_andn2_b64 exec, exec, s[18:19]
	s_cbranch_execz .LBB755_176
.LBB755_174:                            ; =>This Inner Loop Header: Depth=1
	flat_load_dwordx2 v[68:69], v[64:65]
	flat_load_dwordx2 v[70:71], v[54:55]
	s_andn2_b64 s[26:27], s[26:27], exec
	s_or_b64 s[22:23], s[22:23], exec
	s_or_b64 s[24:25], s[24:25], exec
	s_waitcnt vmcnt(0) lgkmcnt(0)
	v_cmp_ngt_f64_e64 s[2:3], v[68:69], v[70:71]
	v_cmp_lt_f64_e64 s[0:1], v[68:69], v[70:71]
	s_and_b64 s[2:3], s[2:3], s[28:29]
	v_cmp_nlg_f64_e64 s[4:5], v[68:69], v[70:71]
	s_or_b64 s[2:3], s[0:1], s[2:3]
	s_and_saveexec_b64 s[30:31], s[4:5]
	s_cbranch_execz .LBB755_173
; %bb.175:                              ;   in Loop: Header=BB755_174 Depth=1
	v_lshl_add_u64 v[66:67], v[66:67], 0, -1
	v_cmp_eq_u64_e64 s[0:1], 0, v[66:67]
	s_andn2_b64 s[4:5], s[26:27], exec
	s_and_b64 s[26:27], s[2:3], exec
	s_or_b64 s[26:27], s[4:5], s[26:27]
	s_andn2_b64 s[4:5], s[24:25], exec
	s_and_b64 s[0:1], s[0:1], exec
	v_lshl_add_u64 v[54:55], v[54:55], 0, 8
	v_lshl_add_u64 v[64:65], v[64:65], 0, 8
	s_andn2_b64 s[22:23], s[22:23], exec
	s_or_b64 s[24:25], s[4:5], s[0:1]
                                        ; implicit-def: $sgpr28_sgpr29
	s_branch .LBB755_173
.LBB755_176:
	s_or_b64 exec, exec, s[18:19]
	s_and_saveexec_b64 s[0:1], s[20:21]
	s_xor_b64 s[0:1], exec, s[0:1]
; %bb.177:
	v_cndmask_b32_e64 v55, v15, v1, s[16:17]
	v_cndmask_b32_e64 v54, v14, v0, s[16:17]
	;; [unrolled: 1-line block ×4, first 2 shown]
	v_mov_b64_e32 v[14:15], v[54:55]
; %bb.178:
	s_or_b64 exec, exec, s[0:1]
	s_or_b64 exec, exec, s[10:11]
	s_and_saveexec_b64 s[10:11], vcc
	s_cbranch_execz .LBB755_28
.LBB755_179:
	v_mul_lo_u32 v64, v21, v6
	v_mul_lo_u32 v65, v20, v7
	v_mad_u64_u32 v[54:55], s[0:1], v20, v6, 0
	v_add3_u32 v55, v55, v65, v64
	v_mul_lo_u32 v66, v23, v6
	v_mul_lo_u32 v67, v22, v7
	v_mad_u64_u32 v[64:65], s[0:1], v22, v6, 0
	v_add3_u32 v65, v65, v67, v66
	v_lshl_add_u64 v[54:55], v[54:55], 3, v[8:9]
	v_lshl_add_u64 v[64:65], v[64:65], 3, v[8:9]
	s_mov_b64 s[18:19], 0
	v_mov_b64_e32 v[66:67], v[6:7]
                                        ; implicit-def: $sgpr16_sgpr17
                                        ; implicit-def: $sgpr20_sgpr21
                                        ; implicit-def: $sgpr24_sgpr25
                                        ; implicit-def: $sgpr22_sgpr23
                                        ; implicit-def: $sgpr26_sgpr27
                                        ; implicit-def: $sgpr28_sgpr29
	s_branch .LBB755_181
.LBB755_180:                            ;   in Loop: Header=BB755_181 Depth=1
	s_or_b64 exec, exec, s[30:31]
	s_and_b64 s[0:1], exec, s[24:25]
	s_or_b64 s[18:19], s[0:1], s[18:19]
	s_andn2_b64 s[0:1], s[28:29], exec
	s_and_b64 s[4:5], s[26:27], exec
	s_or_b64 s[28:29], s[0:1], s[4:5]
	s_andn2_b64 s[0:1], s[20:21], exec
	s_and_b64 s[4:5], s[22:23], exec
	;; [unrolled: 3-line block ×3, first 2 shown]
	s_or_b64 s[16:17], s[0:1], s[2:3]
	s_andn2_b64 exec, exec, s[18:19]
	s_cbranch_execz .LBB755_183
.LBB755_181:                            ; =>This Inner Loop Header: Depth=1
	flat_load_dwordx2 v[68:69], v[64:65]
	flat_load_dwordx2 v[70:71], v[54:55]
	s_andn2_b64 s[26:27], s[26:27], exec
	s_or_b64 s[22:23], s[22:23], exec
	s_or_b64 s[24:25], s[24:25], exec
	s_waitcnt vmcnt(0) lgkmcnt(0)
	v_cmp_ngt_f64_e64 s[2:3], v[68:69], v[70:71]
	v_cmp_lt_f64_e64 s[0:1], v[68:69], v[70:71]
	s_and_b64 s[2:3], s[2:3], s[28:29]
	v_cmp_nlg_f64_e64 s[4:5], v[68:69], v[70:71]
	s_or_b64 s[2:3], s[0:1], s[2:3]
	s_and_saveexec_b64 s[30:31], s[4:5]
	s_cbranch_execz .LBB755_180
; %bb.182:                              ;   in Loop: Header=BB755_181 Depth=1
	v_lshl_add_u64 v[66:67], v[66:67], 0, -1
	v_cmp_eq_u64_e64 s[0:1], 0, v[66:67]
	s_andn2_b64 s[4:5], s[26:27], exec
	s_and_b64 s[26:27], s[2:3], exec
	s_or_b64 s[26:27], s[4:5], s[26:27]
	s_andn2_b64 s[4:5], s[24:25], exec
	s_and_b64 s[0:1], s[0:1], exec
	v_lshl_add_u64 v[54:55], v[54:55], 0, 8
	v_lshl_add_u64 v[64:65], v[64:65], 0, 8
	s_andn2_b64 s[22:23], s[22:23], exec
	s_or_b64 s[24:25], s[4:5], s[0:1]
                                        ; implicit-def: $sgpr28_sgpr29
	s_branch .LBB755_180
.LBB755_183:
	s_or_b64 exec, exec, s[18:19]
	s_and_saveexec_b64 s[0:1], s[20:21]
	s_xor_b64 s[0:1], exec, s[0:1]
; %bb.184:
	v_cndmask_b32_e64 v55, v23, v21, s[16:17]
	v_cndmask_b32_e64 v54, v22, v20, s[16:17]
	;; [unrolled: 1-line block ×4, first 2 shown]
	v_mov_b64_e32 v[22:23], v[54:55]
; %bb.185:
	s_or_b64 exec, exec, s[0:1]
	s_or_b64 exec, exec, s[10:11]
	s_and_saveexec_b64 s[10:11], vcc
	s_cbranch_execz .LBB755_29
.LBB755_186:
	v_mul_lo_u32 v64, v17, v6
	v_mul_lo_u32 v65, v16, v7
	v_mad_u64_u32 v[54:55], s[0:1], v16, v6, 0
	v_add3_u32 v55, v55, v65, v64
	v_mul_lo_u32 v66, v19, v6
	v_mul_lo_u32 v67, v18, v7
	v_mad_u64_u32 v[64:65], s[0:1], v18, v6, 0
	v_add3_u32 v65, v65, v67, v66
	v_lshl_add_u64 v[54:55], v[54:55], 3, v[8:9]
	v_lshl_add_u64 v[64:65], v[64:65], 3, v[8:9]
	s_mov_b64 s[18:19], 0
	v_mov_b64_e32 v[66:67], v[6:7]
                                        ; implicit-def: $sgpr16_sgpr17
                                        ; implicit-def: $sgpr20_sgpr21
                                        ; implicit-def: $sgpr24_sgpr25
                                        ; implicit-def: $sgpr22_sgpr23
                                        ; implicit-def: $sgpr26_sgpr27
                                        ; implicit-def: $sgpr28_sgpr29
	s_branch .LBB755_188
.LBB755_187:                            ;   in Loop: Header=BB755_188 Depth=1
	s_or_b64 exec, exec, s[30:31]
	s_and_b64 s[0:1], exec, s[24:25]
	s_or_b64 s[18:19], s[0:1], s[18:19]
	s_andn2_b64 s[0:1], s[28:29], exec
	s_and_b64 s[4:5], s[26:27], exec
	s_or_b64 s[28:29], s[0:1], s[4:5]
	s_andn2_b64 s[0:1], s[20:21], exec
	s_and_b64 s[4:5], s[22:23], exec
	;; [unrolled: 3-line block ×3, first 2 shown]
	s_or_b64 s[16:17], s[0:1], s[2:3]
	s_andn2_b64 exec, exec, s[18:19]
	s_cbranch_execz .LBB755_190
.LBB755_188:                            ; =>This Inner Loop Header: Depth=1
	flat_load_dwordx2 v[68:69], v[64:65]
	flat_load_dwordx2 v[70:71], v[54:55]
	s_andn2_b64 s[26:27], s[26:27], exec
	s_or_b64 s[22:23], s[22:23], exec
	s_or_b64 s[24:25], s[24:25], exec
	s_waitcnt vmcnt(0) lgkmcnt(0)
	v_cmp_ngt_f64_e64 s[2:3], v[68:69], v[70:71]
	v_cmp_lt_f64_e64 s[0:1], v[68:69], v[70:71]
	s_and_b64 s[2:3], s[2:3], s[28:29]
	v_cmp_nlg_f64_e64 s[4:5], v[68:69], v[70:71]
	s_or_b64 s[2:3], s[0:1], s[2:3]
	s_and_saveexec_b64 s[30:31], s[4:5]
	s_cbranch_execz .LBB755_187
; %bb.189:                              ;   in Loop: Header=BB755_188 Depth=1
	v_lshl_add_u64 v[66:67], v[66:67], 0, -1
	v_cmp_eq_u64_e64 s[0:1], 0, v[66:67]
	s_andn2_b64 s[4:5], s[26:27], exec
	s_and_b64 s[26:27], s[2:3], exec
	s_or_b64 s[26:27], s[4:5], s[26:27]
	s_andn2_b64 s[4:5], s[24:25], exec
	s_and_b64 s[0:1], s[0:1], exec
	v_lshl_add_u64 v[54:55], v[54:55], 0, 8
	v_lshl_add_u64 v[64:65], v[64:65], 0, 8
	s_andn2_b64 s[22:23], s[22:23], exec
	s_or_b64 s[24:25], s[4:5], s[0:1]
                                        ; implicit-def: $sgpr28_sgpr29
	s_branch .LBB755_187
.LBB755_190:
	s_or_b64 exec, exec, s[18:19]
	s_and_saveexec_b64 s[0:1], s[20:21]
	s_xor_b64 s[0:1], exec, s[0:1]
; %bb.191:
	v_cndmask_b32_e64 v55, v17, v19, s[16:17]
	v_cndmask_b32_e64 v54, v16, v18, s[16:17]
	;; [unrolled: 1-line block ×4, first 2 shown]
	v_mov_b64_e32 v[16:17], v[54:55]
; %bb.192:
	s_or_b64 exec, exec, s[0:1]
	s_or_b64 exec, exec, s[10:11]
	s_and_saveexec_b64 s[10:11], vcc
	s_cbranch_execz .LBB755_30
.LBB755_193:
	v_mul_lo_u32 v64, v13, v6
	v_mul_lo_u32 v65, v12, v7
	v_mad_u64_u32 v[54:55], s[0:1], v12, v6, 0
	v_add3_u32 v55, v55, v65, v64
	v_mul_lo_u32 v66, v15, v6
	v_mul_lo_u32 v67, v14, v7
	v_mad_u64_u32 v[64:65], s[0:1], v14, v6, 0
	v_add3_u32 v65, v65, v67, v66
	v_lshl_add_u64 v[54:55], v[54:55], 3, v[8:9]
	v_lshl_add_u64 v[64:65], v[64:65], 3, v[8:9]
	s_mov_b64 s[18:19], 0
	v_mov_b64_e32 v[66:67], v[6:7]
                                        ; implicit-def: $sgpr16_sgpr17
                                        ; implicit-def: $sgpr20_sgpr21
                                        ; implicit-def: $sgpr24_sgpr25
                                        ; implicit-def: $sgpr22_sgpr23
                                        ; implicit-def: $sgpr26_sgpr27
                                        ; implicit-def: $sgpr28_sgpr29
	s_branch .LBB755_195
.LBB755_194:                            ;   in Loop: Header=BB755_195 Depth=1
	s_or_b64 exec, exec, s[30:31]
	s_and_b64 s[0:1], exec, s[24:25]
	s_or_b64 s[18:19], s[0:1], s[18:19]
	s_andn2_b64 s[0:1], s[28:29], exec
	s_and_b64 s[4:5], s[26:27], exec
	s_or_b64 s[28:29], s[0:1], s[4:5]
	s_andn2_b64 s[0:1], s[20:21], exec
	s_and_b64 s[4:5], s[22:23], exec
	;; [unrolled: 3-line block ×3, first 2 shown]
	s_or_b64 s[16:17], s[0:1], s[2:3]
	s_andn2_b64 exec, exec, s[18:19]
	s_cbranch_execz .LBB755_197
.LBB755_195:                            ; =>This Inner Loop Header: Depth=1
	flat_load_dwordx2 v[68:69], v[64:65]
	flat_load_dwordx2 v[70:71], v[54:55]
	s_andn2_b64 s[26:27], s[26:27], exec
	s_or_b64 s[22:23], s[22:23], exec
	s_or_b64 s[24:25], s[24:25], exec
	s_waitcnt vmcnt(0) lgkmcnt(0)
	v_cmp_ngt_f64_e64 s[2:3], v[68:69], v[70:71]
	v_cmp_lt_f64_e64 s[0:1], v[68:69], v[70:71]
	s_and_b64 s[2:3], s[2:3], s[28:29]
	v_cmp_nlg_f64_e64 s[4:5], v[68:69], v[70:71]
	s_or_b64 s[2:3], s[0:1], s[2:3]
	s_and_saveexec_b64 s[30:31], s[4:5]
	s_cbranch_execz .LBB755_194
; %bb.196:                              ;   in Loop: Header=BB755_195 Depth=1
	v_lshl_add_u64 v[66:67], v[66:67], 0, -1
	v_cmp_eq_u64_e64 s[0:1], 0, v[66:67]
	s_andn2_b64 s[4:5], s[26:27], exec
	s_and_b64 s[26:27], s[2:3], exec
	s_or_b64 s[26:27], s[4:5], s[26:27]
	s_andn2_b64 s[4:5], s[24:25], exec
	s_and_b64 s[0:1], s[0:1], exec
	v_lshl_add_u64 v[54:55], v[54:55], 0, 8
	v_lshl_add_u64 v[64:65], v[64:65], 0, 8
	s_andn2_b64 s[22:23], s[22:23], exec
	s_or_b64 s[24:25], s[4:5], s[0:1]
                                        ; implicit-def: $sgpr28_sgpr29
	s_branch .LBB755_194
.LBB755_197:
	s_or_b64 exec, exec, s[18:19]
	s_and_saveexec_b64 s[0:1], s[20:21]
	s_xor_b64 s[0:1], exec, s[0:1]
; %bb.198:
	v_cndmask_b32_e64 v55, v13, v15, s[16:17]
	v_cndmask_b32_e64 v54, v12, v14, s[16:17]
	;; [unrolled: 1-line block ×4, first 2 shown]
	v_mov_b64_e32 v[12:13], v[54:55]
; %bb.199:
	s_or_b64 exec, exec, s[0:1]
	s_or_b64 exec, exec, s[10:11]
	s_and_saveexec_b64 s[10:11], vcc
	s_cbranch_execz .LBB755_31
.LBB755_200:
	v_mul_lo_u32 v64, v1, v6
	v_mul_lo_u32 v65, v0, v7
	v_mad_u64_u32 v[54:55], s[0:1], v0, v6, 0
	v_add3_u32 v55, v55, v65, v64
	v_mul_lo_u32 v66, v3, v6
	v_mul_lo_u32 v67, v2, v7
	v_mad_u64_u32 v[64:65], s[0:1], v2, v6, 0
	v_add3_u32 v65, v65, v67, v66
	v_lshl_add_u64 v[54:55], v[54:55], 3, v[8:9]
	v_lshl_add_u64 v[64:65], v[64:65], 3, v[8:9]
	s_mov_b64 s[18:19], 0
	v_mov_b64_e32 v[66:67], v[6:7]
                                        ; implicit-def: $sgpr16_sgpr17
                                        ; implicit-def: $sgpr20_sgpr21
                                        ; implicit-def: $sgpr24_sgpr25
                                        ; implicit-def: $sgpr22_sgpr23
                                        ; implicit-def: $sgpr26_sgpr27
                                        ; implicit-def: $sgpr28_sgpr29
	s_branch .LBB755_202
.LBB755_201:                            ;   in Loop: Header=BB755_202 Depth=1
	s_or_b64 exec, exec, s[30:31]
	s_and_b64 s[0:1], exec, s[24:25]
	s_or_b64 s[18:19], s[0:1], s[18:19]
	s_andn2_b64 s[0:1], s[28:29], exec
	s_and_b64 s[4:5], s[26:27], exec
	s_or_b64 s[28:29], s[0:1], s[4:5]
	s_andn2_b64 s[0:1], s[20:21], exec
	s_and_b64 s[4:5], s[22:23], exec
	;; [unrolled: 3-line block ×3, first 2 shown]
	s_or_b64 s[16:17], s[0:1], s[2:3]
	s_andn2_b64 exec, exec, s[18:19]
	s_cbranch_execz .LBB755_204
.LBB755_202:                            ; =>This Inner Loop Header: Depth=1
	flat_load_dwordx2 v[68:69], v[64:65]
	flat_load_dwordx2 v[70:71], v[54:55]
	s_andn2_b64 s[26:27], s[26:27], exec
	s_or_b64 s[22:23], s[22:23], exec
	s_or_b64 s[24:25], s[24:25], exec
	s_waitcnt vmcnt(0) lgkmcnt(0)
	v_cmp_ngt_f64_e64 s[2:3], v[68:69], v[70:71]
	v_cmp_lt_f64_e64 s[0:1], v[68:69], v[70:71]
	s_and_b64 s[2:3], s[2:3], s[28:29]
	v_cmp_nlg_f64_e64 s[4:5], v[68:69], v[70:71]
	s_or_b64 s[2:3], s[0:1], s[2:3]
	s_and_saveexec_b64 s[30:31], s[4:5]
	s_cbranch_execz .LBB755_201
; %bb.203:                              ;   in Loop: Header=BB755_202 Depth=1
	v_lshl_add_u64 v[66:67], v[66:67], 0, -1
	v_cmp_eq_u64_e64 s[0:1], 0, v[66:67]
	s_andn2_b64 s[4:5], s[26:27], exec
	s_and_b64 s[26:27], s[2:3], exec
	s_or_b64 s[26:27], s[4:5], s[26:27]
	s_andn2_b64 s[4:5], s[24:25], exec
	s_and_b64 s[0:1], s[0:1], exec
	v_lshl_add_u64 v[54:55], v[54:55], 0, 8
	v_lshl_add_u64 v[64:65], v[64:65], 0, 8
	s_andn2_b64 s[22:23], s[22:23], exec
	s_or_b64 s[24:25], s[4:5], s[0:1]
                                        ; implicit-def: $sgpr28_sgpr29
	s_branch .LBB755_201
.LBB755_204:
	s_or_b64 exec, exec, s[18:19]
	s_and_saveexec_b64 s[0:1], s[20:21]
	s_xor_b64 s[0:1], exec, s[0:1]
; %bb.205:
	v_cndmask_b32_e64 v55, v1, v3, s[16:17]
	v_cndmask_b32_e64 v54, v0, v2, s[16:17]
	;; [unrolled: 1-line block ×4, first 2 shown]
	v_mov_b64_e32 v[0:1], v[54:55]
; %bb.206:
	s_or_b64 exec, exec, s[0:1]
	s_or_b64 exec, exec, s[10:11]
	s_and_saveexec_b64 s[10:11], vcc
	s_cbranch_execz .LBB755_226
.LBB755_207:
	v_mul_lo_u32 v64, v23, v6
	v_mul_lo_u32 v65, v22, v7
	v_mad_u64_u32 v[54:55], s[0:1], v22, v6, 0
	v_add3_u32 v55, v55, v65, v64
	v_mul_lo_u32 v66, v17, v6
	v_mul_lo_u32 v67, v16, v7
	v_mad_u64_u32 v[64:65], s[0:1], v16, v6, 0
	v_add3_u32 v65, v65, v67, v66
	v_lshl_add_u64 v[54:55], v[54:55], 3, v[8:9]
	v_lshl_add_u64 v[64:65], v[64:65], 3, v[8:9]
	s_mov_b64 s[18:19], 0
	v_mov_b64_e32 v[66:67], v[6:7]
                                        ; implicit-def: $sgpr16_sgpr17
                                        ; implicit-def: $sgpr20_sgpr21
                                        ; implicit-def: $sgpr24_sgpr25
                                        ; implicit-def: $sgpr22_sgpr23
                                        ; implicit-def: $sgpr26_sgpr27
                                        ; implicit-def: $sgpr28_sgpr29
	s_branch .LBB755_209
.LBB755_208:                            ;   in Loop: Header=BB755_209 Depth=1
	s_or_b64 exec, exec, s[30:31]
	s_and_b64 s[0:1], exec, s[24:25]
	s_or_b64 s[18:19], s[0:1], s[18:19]
	s_andn2_b64 s[0:1], s[28:29], exec
	s_and_b64 s[4:5], s[26:27], exec
	s_or_b64 s[28:29], s[0:1], s[4:5]
	s_andn2_b64 s[0:1], s[20:21], exec
	s_and_b64 s[4:5], s[22:23], exec
	;; [unrolled: 3-line block ×3, first 2 shown]
	s_or_b64 s[16:17], s[0:1], s[2:3]
	s_andn2_b64 exec, exec, s[18:19]
	s_cbranch_execz .LBB755_211
.LBB755_209:                            ; =>This Inner Loop Header: Depth=1
	flat_load_dwordx2 v[68:69], v[64:65]
	flat_load_dwordx2 v[70:71], v[54:55]
	s_andn2_b64 s[26:27], s[26:27], exec
	s_or_b64 s[22:23], s[22:23], exec
	s_or_b64 s[24:25], s[24:25], exec
	s_waitcnt vmcnt(0) lgkmcnt(0)
	v_cmp_ngt_f64_e64 s[2:3], v[68:69], v[70:71]
	v_cmp_lt_f64_e64 s[0:1], v[68:69], v[70:71]
	s_and_b64 s[2:3], s[2:3], s[28:29]
	v_cmp_nlg_f64_e64 s[4:5], v[68:69], v[70:71]
	s_or_b64 s[2:3], s[0:1], s[2:3]
	s_and_saveexec_b64 s[30:31], s[4:5]
	s_cbranch_execz .LBB755_208
; %bb.210:                              ;   in Loop: Header=BB755_209 Depth=1
	v_lshl_add_u64 v[66:67], v[66:67], 0, -1
	v_cmp_eq_u64_e64 s[0:1], 0, v[66:67]
	s_andn2_b64 s[4:5], s[26:27], exec
	s_and_b64 s[26:27], s[2:3], exec
	s_or_b64 s[26:27], s[4:5], s[26:27]
	s_andn2_b64 s[4:5], s[24:25], exec
	s_and_b64 s[0:1], s[0:1], exec
	v_lshl_add_u64 v[54:55], v[54:55], 0, 8
	v_lshl_add_u64 v[64:65], v[64:65], 0, 8
	s_andn2_b64 s[22:23], s[22:23], exec
	s_or_b64 s[24:25], s[4:5], s[0:1]
                                        ; implicit-def: $sgpr28_sgpr29
	s_branch .LBB755_208
.LBB755_211:
	s_or_b64 exec, exec, s[18:19]
	s_and_saveexec_b64 s[0:1], s[20:21]
	s_xor_b64 s[0:1], exec, s[0:1]
; %bb.212:
	v_cndmask_b32_e64 v55, v23, v17, s[16:17]
	v_cndmask_b32_e64 v54, v22, v16, s[16:17]
	;; [unrolled: 1-line block ×4, first 2 shown]
	v_mov_b64_e32 v[22:23], v[54:55]
; %bb.213:
	s_or_b64 exec, exec, s[0:1]
	v_mul_lo_u32 v64, v19, v6
	v_mul_lo_u32 v65, v18, v7
	v_mad_u64_u32 v[54:55], s[0:1], v18, v6, 0
	v_add3_u32 v55, v55, v65, v64
	v_mul_lo_u32 v66, v13, v6
	v_mul_lo_u32 v67, v12, v7
	v_mad_u64_u32 v[64:65], s[0:1], v12, v6, 0
	v_add3_u32 v65, v65, v67, v66
	v_lshl_add_u64 v[54:55], v[54:55], 3, v[8:9]
	v_lshl_add_u64 v[64:65], v[64:65], 3, v[8:9]
	s_mov_b64 s[18:19], 0
	v_mov_b64_e32 v[66:67], v[6:7]
                                        ; implicit-def: $sgpr16_sgpr17
                                        ; implicit-def: $sgpr20_sgpr21
                                        ; implicit-def: $sgpr24_sgpr25
                                        ; implicit-def: $sgpr22_sgpr23
                                        ; implicit-def: $sgpr26_sgpr27
                                        ; implicit-def: $sgpr28_sgpr29
	s_branch .LBB755_215
.LBB755_214:                            ;   in Loop: Header=BB755_215 Depth=1
	s_or_b64 exec, exec, s[30:31]
	s_and_b64 s[0:1], exec, s[24:25]
	s_or_b64 s[18:19], s[0:1], s[18:19]
	s_andn2_b64 s[0:1], s[28:29], exec
	s_and_b64 s[4:5], s[26:27], exec
	s_or_b64 s[28:29], s[0:1], s[4:5]
	s_andn2_b64 s[0:1], s[20:21], exec
	s_and_b64 s[4:5], s[22:23], exec
	;; [unrolled: 3-line block ×3, first 2 shown]
	s_or_b64 s[16:17], s[0:1], s[2:3]
	s_andn2_b64 exec, exec, s[18:19]
	s_cbranch_execz .LBB755_217
.LBB755_215:                            ; =>This Inner Loop Header: Depth=1
	flat_load_dwordx2 v[68:69], v[64:65]
	flat_load_dwordx2 v[70:71], v[54:55]
	s_andn2_b64 s[26:27], s[26:27], exec
	s_or_b64 s[22:23], s[22:23], exec
	s_or_b64 s[24:25], s[24:25], exec
	s_waitcnt vmcnt(0) lgkmcnt(0)
	v_cmp_ngt_f64_e64 s[2:3], v[68:69], v[70:71]
	v_cmp_lt_f64_e64 s[0:1], v[68:69], v[70:71]
	s_and_b64 s[2:3], s[2:3], s[28:29]
	v_cmp_nlg_f64_e64 s[4:5], v[68:69], v[70:71]
	s_or_b64 s[2:3], s[0:1], s[2:3]
	s_and_saveexec_b64 s[30:31], s[4:5]
	s_cbranch_execz .LBB755_214
; %bb.216:                              ;   in Loop: Header=BB755_215 Depth=1
	v_lshl_add_u64 v[66:67], v[66:67], 0, -1
	v_cmp_eq_u64_e64 s[0:1], 0, v[66:67]
	s_andn2_b64 s[4:5], s[26:27], exec
	s_and_b64 s[26:27], s[2:3], exec
	s_or_b64 s[26:27], s[4:5], s[26:27]
	s_andn2_b64 s[4:5], s[24:25], exec
	s_and_b64 s[0:1], s[0:1], exec
	v_lshl_add_u64 v[54:55], v[54:55], 0, 8
	v_lshl_add_u64 v[64:65], v[64:65], 0, 8
	s_andn2_b64 s[22:23], s[22:23], exec
	s_or_b64 s[24:25], s[4:5], s[0:1]
                                        ; implicit-def: $sgpr28_sgpr29
	s_branch .LBB755_214
.LBB755_217:
	s_or_b64 exec, exec, s[18:19]
	s_and_saveexec_b64 s[0:1], s[20:21]
	s_xor_b64 s[0:1], exec, s[0:1]
; %bb.218:
	v_cndmask_b32_e64 v55, v19, v13, s[16:17]
	v_cndmask_b32_e64 v54, v18, v12, s[16:17]
	;; [unrolled: 1-line block ×4, first 2 shown]
	v_mov_b64_e32 v[18:19], v[54:55]
; %bb.219:
	s_or_b64 exec, exec, s[0:1]
	v_mul_lo_u32 v64, v15, v6
	v_mul_lo_u32 v65, v14, v7
	v_mad_u64_u32 v[54:55], s[0:1], v14, v6, 0
	v_add3_u32 v55, v55, v65, v64
	v_mul_lo_u32 v66, v1, v6
	v_mul_lo_u32 v67, v0, v7
	v_mad_u64_u32 v[64:65], s[0:1], v0, v6, 0
	v_add3_u32 v65, v65, v67, v66
	v_lshl_add_u64 v[54:55], v[54:55], 3, v[8:9]
	v_lshl_add_u64 v[64:65], v[64:65], 3, v[8:9]
	s_mov_b64 s[20:21], 0
	v_mov_b64_e32 v[66:67], v[6:7]
                                        ; implicit-def: $sgpr16_sgpr17
                                        ; implicit-def: $sgpr18_sgpr19
                                        ; implicit-def: $sgpr24_sgpr25
                                        ; implicit-def: $sgpr22_sgpr23
                                        ; implicit-def: $sgpr26_sgpr27
                                        ; implicit-def: $sgpr28_sgpr29
	s_branch .LBB755_221
.LBB755_220:                            ;   in Loop: Header=BB755_221 Depth=1
	s_or_b64 exec, exec, s[30:31]
	s_and_b64 s[0:1], exec, s[24:25]
	s_or_b64 s[20:21], s[0:1], s[20:21]
	s_andn2_b64 s[0:1], s[28:29], exec
	s_and_b64 s[4:5], s[26:27], exec
	s_or_b64 s[28:29], s[0:1], s[4:5]
	s_andn2_b64 s[0:1], s[18:19], exec
	s_and_b64 s[4:5], s[22:23], exec
	;; [unrolled: 3-line block ×3, first 2 shown]
	s_or_b64 s[16:17], s[0:1], s[2:3]
	s_andn2_b64 exec, exec, s[20:21]
	s_cbranch_execz .LBB755_223
.LBB755_221:                            ; =>This Inner Loop Header: Depth=1
	flat_load_dwordx2 v[68:69], v[64:65]
	flat_load_dwordx2 v[70:71], v[54:55]
	s_andn2_b64 s[26:27], s[26:27], exec
	s_or_b64 s[22:23], s[22:23], exec
	s_or_b64 s[24:25], s[24:25], exec
	s_waitcnt vmcnt(0) lgkmcnt(0)
	v_cmp_ngt_f64_e64 s[2:3], v[68:69], v[70:71]
	v_cmp_lt_f64_e64 s[0:1], v[68:69], v[70:71]
	s_and_b64 s[2:3], s[2:3], s[28:29]
	v_cmp_nlg_f64_e64 s[4:5], v[68:69], v[70:71]
	s_or_b64 s[2:3], s[0:1], s[2:3]
	s_and_saveexec_b64 s[30:31], s[4:5]
	s_cbranch_execz .LBB755_220
; %bb.222:                              ;   in Loop: Header=BB755_221 Depth=1
	v_lshl_add_u64 v[66:67], v[66:67], 0, -1
	v_cmp_eq_u64_e64 s[0:1], 0, v[66:67]
	s_andn2_b64 s[4:5], s[26:27], exec
	s_and_b64 s[26:27], s[2:3], exec
	s_or_b64 s[26:27], s[4:5], s[26:27]
	s_andn2_b64 s[4:5], s[24:25], exec
	s_and_b64 s[0:1], s[0:1], exec
	v_lshl_add_u64 v[54:55], v[54:55], 0, 8
	v_lshl_add_u64 v[64:65], v[64:65], 0, 8
	s_andn2_b64 s[22:23], s[22:23], exec
	s_or_b64 s[24:25], s[4:5], s[0:1]
                                        ; implicit-def: $sgpr28_sgpr29
	s_branch .LBB755_220
.LBB755_223:
	s_or_b64 exec, exec, s[20:21]
	s_and_saveexec_b64 s[0:1], s[18:19]
	s_xor_b64 s[0:1], exec, s[0:1]
; %bb.224:
	v_cndmask_b32_e64 v55, v15, v1, s[16:17]
	v_cndmask_b32_e64 v54, v14, v0, s[16:17]
	;; [unrolled: 1-line block ×4, first 2 shown]
	v_mov_b64_e32 v[14:15], v[54:55]
; %bb.225:
	s_or_b64 exec, exec, s[0:1]
.LBB755_226:
	s_or_b64 exec, exec, s[10:11]
.LBB755_227:
	s_or_b64 exec, exec, s[6:7]
	v_mbcnt_lo_u32_b32 v54, -1, 0
	v_mbcnt_hi_u32_b32 v64, -1, v54
	v_and_b32_e32 v66, 0xfffffe00, v31
	s_movk_i32 s0, 0x800
	v_mov_b32_e32 v67, 0
	v_sub_u32_e64 v31, s0, v66 clamp
	v_lshl_add_u64 v[54:55], v[66:67], 3, v[10:11]
	v_lshlrev_b32_e32 v98, 3, v64
	v_lshlrev_b32_e32 v66, 6, v64
	v_lshl_add_u64 v[64:65], v[54:55], 0, v[66:67]
	v_or_b32_e32 v66, 8, v98
	v_min_u32_e32 v99, v31, v66
	v_add_u32_e32 v66, 8, v99
	v_and_b32_e32 v101, 0x3f0, v98
	v_min_u32_e32 v100, v31, v66
	v_and_b32_e32 v66, 8, v98
	v_min_u32_e32 v102, v31, v66
	v_sub_u32_e32 v66, v99, v101
	v_sub_u32_e32 v68, v100, v99
	v_sub_u32_e64 v103, v102, v68 clamp
	v_min_u32_e32 v112, v102, v66
	v_cmp_lt_u32_e64 s[0:1], v103, v112
	flat_store_dwordx4 v[64:65], v[20:23]
	flat_store_dwordx4 v[64:65], v[16:19] offset:16
	flat_store_dwordx4 v[64:65], v[12:15] offset:32
	;; [unrolled: 1-line block ×3, first 2 shown]
	; wave barrier
	s_and_saveexec_b64 s[6:7], s[0:1]
	s_cbranch_execz .LBB755_237
; %bb.228:
	v_lshlrev_b32_e32 v66, 3, v101
	v_lshl_add_u64 v[68:69], v[54:55], 0, v[66:67]
	v_lshlrev_b32_e32 v66, 3, v99
	v_lshl_add_u64 v[70:71], v[54:55], 0, v[66:67]
	v_lshlrev_b64 v[80:81], 3, v[6:7]
	s_mov_b64 s[10:11], 0
	s_branch .LBB755_231
.LBB755_229:                            ;   in Loop: Header=BB755_231 Depth=1
	s_or_b64 exec, exec, s[18:19]
	s_and_b64 s[0:1], s[20:21], exec
.LBB755_230:                            ;   in Loop: Header=BB755_231 Depth=1
	s_or_b64 exec, exec, s[16:17]
	v_add_u32_e32 v66, 1, v82
	v_cndmask_b32_e64 v112, v112, v82, s[0:1]
	v_cndmask_b32_e64 v103, v66, v103, s[0:1]
	v_cmp_ge_u32_e64 s[0:1], v103, v112
	s_or_b64 s[10:11], s[0:1], s[10:11]
	s_andn2_b64 exec, exec, s[10:11]
	s_cbranch_execz .LBB755_236
.LBB755_231:                            ; =>This Loop Header: Depth=1
                                        ;     Child Loop BB755_234 Depth 2
	v_add_u32_e32 v66, v112, v103
	v_lshrrev_b32_e32 v82, 1, v66
	s_mov_b64 s[0:1], 0
	s_and_saveexec_b64 s[16:17], vcc
	s_cbranch_execz .LBB755_230
; %bb.232:                              ;   in Loop: Header=BB755_231 Depth=1
	v_mov_b32_e32 v83, v67
	v_xad_u32 v66, v82, -1, v102
	v_lshl_add_u64 v[84:85], v[82:83], 3, v[68:69]
	v_lshl_add_u64 v[86:87], v[66:67], 3, v[70:71]
	flat_load_dwordx2 v[84:85], v[84:85]
	s_mov_b64 s[18:19], 0
	flat_load_dwordx2 v[86:87], v[86:87]
                                        ; implicit-def: $sgpr20_sgpr21
                                        ; implicit-def: $sgpr22_sgpr23
                                        ; implicit-def: $sgpr24_sgpr25
                                        ; implicit-def: $sgpr2_sgpr3
                                        ; implicit-def: $sgpr26_sgpr27
	s_waitcnt vmcnt(0) lgkmcnt(0)
	v_mul_lo_u32 v66, v80, v85
	v_mul_lo_u32 v83, v81, v84
	v_mad_u64_u32 v[84:85], s[0:1], v80, v84, v[8:9]
	v_mul_lo_u32 v96, v80, v87
	v_mul_lo_u32 v97, v81, v86
	v_mad_u64_u32 v[86:87], s[0:1], v80, v86, v[8:9]
	v_add3_u32 v85, v83, v85, v66
	v_add3_u32 v87, v97, v87, v96
	v_mov_b64_e32 v[96:97], v[6:7]
	s_branch .LBB755_234
.LBB755_233:                            ;   in Loop: Header=BB755_234 Depth=2
	s_or_b64 exec, exec, s[28:29]
	s_and_b64 s[0:1], exec, s[22:23]
	s_or_b64 s[18:19], s[0:1], s[18:19]
	s_andn2_b64 s[0:1], s[26:27], exec
	s_and_b64 s[4:5], s[24:25], exec
	s_or_b64 s[26:27], s[0:1], s[4:5]
	s_andn2_b64 s[0:1], s[20:21], exec
	s_and_b64 s[4:5], s[2:3], exec
	s_or_b64 s[20:21], s[0:1], s[4:5]
	s_andn2_b64 exec, exec, s[18:19]
	s_cbranch_execz .LBB755_229
.LBB755_234:                            ;   Parent Loop BB755_231 Depth=1
                                        ; =>  This Inner Loop Header: Depth=2
	flat_load_dwordx2 v[114:115], v[86:87]
	flat_load_dwordx2 v[116:117], v[84:85]
	s_andn2_b64 s[28:29], s[2:3], exec
	s_andn2_b64 s[24:25], s[24:25], exec
	s_or_b64 s[22:23], s[22:23], exec
	s_waitcnt vmcnt(0) lgkmcnt(0)
	v_cmp_ngt_f64_e64 s[2:3], v[114:115], v[116:117]
	v_cmp_lt_f64_e64 s[0:1], v[114:115], v[116:117]
	s_and_b64 s[2:3], s[2:3], s[26:27]
	s_or_b64 s[30:31], s[0:1], s[2:3]
	s_and_b64 s[0:1], s[30:31], exec
	v_cmp_nlg_f64_e64 s[4:5], v[114:115], v[116:117]
	s_or_b64 s[2:3], s[28:29], s[0:1]
	s_and_saveexec_b64 s[28:29], s[4:5]
	s_cbranch_execz .LBB755_233
; %bb.235:                              ;   in Loop: Header=BB755_234 Depth=2
	v_lshl_add_u64 v[96:97], v[96:97], 0, -1
	v_cmp_eq_u64_e64 s[0:1], 0, v[96:97]
	s_andn2_b64 s[4:5], s[24:25], exec
	s_and_b64 s[24:25], s[30:31], exec
	s_or_b64 s[24:25], s[4:5], s[24:25]
	s_andn2_b64 s[4:5], s[22:23], exec
	s_and_b64 s[0:1], s[0:1], exec
	v_lshl_add_u64 v[84:85], v[84:85], 0, 8
	v_lshl_add_u64 v[86:87], v[86:87], 0, 8
	s_andn2_b64 s[2:3], s[2:3], exec
	s_or_b64 s[22:23], s[4:5], s[0:1]
                                        ; implicit-def: $sgpr26_sgpr27
	s_branch .LBB755_233
.LBB755_236:
	s_or_b64 exec, exec, s[10:11]
.LBB755_237:
	s_or_b64 exec, exec, s[6:7]
	v_add_u32_e32 v67, v99, v102
	v_add_u32_e32 v66, v103, v101
	v_sub_u32_e32 v68, v67, v103
	v_cmp_le_u32_e64 s[4:5], v66, v99
	v_cmp_le_u32_e64 s[6:7], v68, v100
	v_cmp_gt_i64_e64 s[0:1], 1, v[6:7]
	v_cmp_lt_i64_e64 s[2:3], 0, v[6:7]
	s_or_b64 s[4:5], s[4:5], s[6:7]
	s_and_saveexec_b64 s[16:17], s[4:5]
	s_cbranch_execz .LBB755_309
; %bb.238:
	v_cmp_ge_u32_e64 s[4:5], v66, v99
	v_cmp_lt_u32_e64 s[6:7], v66, v99
                                        ; implicit-def: $vgpr0_vgpr1
	s_and_saveexec_b64 s[10:11], s[6:7]
	s_cbranch_execz .LBB755_240
; %bb.239:
	v_mov_b32_e32 v67, 0
	v_lshl_add_u64 v[0:1], v[66:67], 3, v[54:55]
	flat_load_dwordx2 v[0:1], v[0:1]
.LBB755_240:
	s_or_b64 exec, exec, s[10:11]
	v_cmp_ge_u32_e64 s[18:19], v68, v100
	v_cmp_lt_u32_e64 s[6:7], v68, v100
                                        ; implicit-def: $vgpr2_vgpr3
	s_and_saveexec_b64 s[10:11], s[6:7]
	s_cbranch_execz .LBB755_242
; %bb.241:
	v_mov_b32_e32 v69, 0
	v_lshl_add_u64 v[2:3], v[68:69], 3, v[54:55]
	flat_load_dwordx2 v[2:3], v[2:3]
.LBB755_242:
	s_or_b64 exec, exec, s[10:11]
	s_or_b64 s[4:5], s[4:5], s[18:19]
	s_xor_b64 s[4:5], s[4:5], -1
	s_and_saveexec_b64 s[20:21], s[4:5]
	s_cbranch_execz .LBB755_250
; %bb.243:
	s_mov_b64 s[4:5], 0
	s_and_saveexec_b64 s[22:23], s[2:3]
	s_cbranch_execz .LBB755_249
; %bb.244:
	s_waitcnt vmcnt(0) lgkmcnt(0)
	v_mul_lo_u32 v14, v1, v6
	v_mul_lo_u32 v15, v0, v7
	v_mad_u64_u32 v[12:13], s[4:5], v0, v6, 0
	v_add3_u32 v13, v13, v15, v14
	v_mul_lo_u32 v16, v3, v6
	v_mul_lo_u32 v17, v2, v7
	v_mad_u64_u32 v[14:15], s[4:5], v2, v6, 0
	v_add3_u32 v15, v15, v17, v16
	v_lshl_add_u64 v[12:13], v[12:13], 3, v[8:9]
	v_lshl_add_u64 v[14:15], v[14:15], 3, v[8:9]
	s_mov_b64 s[24:25], 0
	v_mov_b64_e32 v[16:17], v[6:7]
                                        ; implicit-def: $sgpr26_sgpr27
                                        ; implicit-def: $sgpr28_sgpr29
                                        ; implicit-def: $sgpr30_sgpr31
                                        ; implicit-def: $sgpr6_sgpr7
                                        ; implicit-def: $sgpr34_sgpr35
	s_branch .LBB755_246
.LBB755_245:                            ;   in Loop: Header=BB755_246 Depth=1
	s_or_b64 exec, exec, s[36:37]
	s_and_b64 s[4:5], exec, s[28:29]
	s_or_b64 s[24:25], s[4:5], s[24:25]
	s_andn2_b64 s[4:5], s[34:35], exec
	s_and_b64 s[10:11], s[30:31], exec
	s_or_b64 s[34:35], s[4:5], s[10:11]
	s_andn2_b64 s[4:5], s[26:27], exec
	s_and_b64 s[10:11], s[6:7], exec
	s_or_b64 s[26:27], s[4:5], s[10:11]
	s_andn2_b64 exec, exec, s[24:25]
	s_cbranch_execz .LBB755_248
.LBB755_246:                            ; =>This Inner Loop Header: Depth=1
	flat_load_dwordx2 v[18:19], v[14:15]
	flat_load_dwordx2 v[20:21], v[12:13]
	s_andn2_b64 s[36:37], s[6:7], exec
	s_andn2_b64 s[30:31], s[30:31], exec
	s_or_b64 s[28:29], s[28:29], exec
	s_waitcnt vmcnt(0) lgkmcnt(0)
	v_cmp_ngt_f64_e64 s[6:7], v[18:19], v[20:21]
	v_cmp_lt_f64_e64 s[4:5], v[18:19], v[20:21]
	s_and_b64 s[6:7], s[6:7], s[34:35]
	s_or_b64 s[38:39], s[4:5], s[6:7]
	s_and_b64 s[4:5], s[38:39], exec
	v_cmp_nlg_f64_e64 s[10:11], v[18:19], v[20:21]
	s_or_b64 s[6:7], s[36:37], s[4:5]
	s_and_saveexec_b64 s[36:37], s[10:11]
	s_cbranch_execz .LBB755_245
; %bb.247:                              ;   in Loop: Header=BB755_246 Depth=1
	v_lshl_add_u64 v[16:17], v[16:17], 0, -1
	v_cmp_eq_u64_e64 s[4:5], 0, v[16:17]
	s_andn2_b64 s[10:11], s[30:31], exec
	s_and_b64 s[30:31], s[38:39], exec
	s_or_b64 s[30:31], s[10:11], s[30:31]
	s_andn2_b64 s[10:11], s[28:29], exec
	s_and_b64 s[4:5], s[4:5], exec
	v_lshl_add_u64 v[12:13], v[12:13], 0, 8
	v_lshl_add_u64 v[14:15], v[14:15], 0, 8
	s_andn2_b64 s[6:7], s[6:7], exec
	s_or_b64 s[28:29], s[10:11], s[4:5]
                                        ; implicit-def: $sgpr34_sgpr35
	s_branch .LBB755_245
.LBB755_248:
	s_or_b64 exec, exec, s[24:25]
	s_and_b64 s[4:5], s[26:27], exec
.LBB755_249:
	s_or_b64 exec, exec, s[22:23]
	s_xor_b64 s[4:5], s[4:5], -1
	s_andn2_b64 s[6:7], s[18:19], exec
	s_and_b64 s[4:5], s[4:5], exec
	s_or_b64 s[18:19], s[6:7], s[4:5]
.LBB755_250:
	s_or_b64 exec, exec, s[20:21]
	v_cndmask_b32_e64 v12, v68, v66, s[18:19]
	v_cndmask_b32_e64 v13, v100, v99, s[18:19]
	v_add_u32_e32 v16, 1, v12
	v_add_u32_e32 v12, -1, v13
	v_min_u32_e32 v12, v16, v12
	v_mov_b32_e32 v13, 0
	v_lshl_add_u64 v[14:15], v[12:13], 3, v[54:55]
	flat_load_dwordx2 v[14:15], v[14:15]
	v_cndmask_b32_e64 v23, v16, v68, s[18:19]
	s_mov_b64 s[20:21], -1
	v_cndmask_b32_e64 v66, v66, v16, s[18:19]
	v_cmp_lt_u32_e64 s[4:5], v23, v100
	s_mov_b64 s[22:23], -1
	s_waitcnt vmcnt(0) lgkmcnt(0)
	v_cndmask_b32_e64 v20, v15, v3, s[18:19]
	v_cndmask_b32_e64 v21, v14, v2, s[18:19]
	;; [unrolled: 1-line block ×4, first 2 shown]
	s_and_saveexec_b64 s[24:25], s[4:5]
	s_cbranch_execz .LBB755_260
; %bb.251:
	v_cmp_lt_u32_e64 s[4:5], v66, v99
	s_mov_b64 s[6:7], 0
	s_and_saveexec_b64 s[22:23], s[4:5]
	s_cbranch_execz .LBB755_259
; %bb.252:
	s_mov_b64 s[4:5], 0
	s_and_saveexec_b64 s[26:27], s[2:3]
	s_cbranch_execz .LBB755_258
; %bb.253:
	v_mul_lo_u32 v12, v22, v6
	v_mul_lo_u32 v16, v68, v7
	v_mad_u64_u32 v[14:15], s[4:5], v68, v6, 0
	v_add3_u32 v15, v15, v16, v12
	v_mul_lo_u32 v12, v20, v6
	v_mul_lo_u32 v18, v21, v7
	v_mad_u64_u32 v[16:17], s[4:5], v21, v6, 0
	v_add3_u32 v17, v17, v18, v12
	v_lshl_add_u64 v[14:15], v[14:15], 3, v[8:9]
	v_lshl_add_u64 v[16:17], v[16:17], 3, v[8:9]
	s_mov_b64 s[28:29], 0
	v_mov_b64_e32 v[18:19], v[6:7]
                                        ; implicit-def: $sgpr30_sgpr31
                                        ; implicit-def: $sgpr34_sgpr35
                                        ; implicit-def: $sgpr36_sgpr37
                                        ; implicit-def: $sgpr6_sgpr7
                                        ; implicit-def: $sgpr38_sgpr39
	s_branch .LBB755_255
.LBB755_254:                            ;   in Loop: Header=BB755_255 Depth=1
	s_or_b64 exec, exec, s[40:41]
	s_and_b64 s[4:5], exec, s[34:35]
	s_or_b64 s[28:29], s[4:5], s[28:29]
	s_andn2_b64 s[4:5], s[38:39], exec
	s_and_b64 s[10:11], s[36:37], exec
	s_or_b64 s[38:39], s[4:5], s[10:11]
	s_andn2_b64 s[4:5], s[30:31], exec
	s_and_b64 s[10:11], s[6:7], exec
	s_or_b64 s[30:31], s[4:5], s[10:11]
	s_andn2_b64 exec, exec, s[28:29]
	s_cbranch_execz .LBB755_257
.LBB755_255:                            ; =>This Inner Loop Header: Depth=1
	flat_load_dwordx2 v[70:71], v[16:17]
	flat_load_dwordx2 v[80:81], v[14:15]
	s_andn2_b64 s[40:41], s[6:7], exec
	s_andn2_b64 s[36:37], s[36:37], exec
	s_or_b64 s[34:35], s[34:35], exec
	s_waitcnt vmcnt(0) lgkmcnt(0)
	v_cmp_ngt_f64_e64 s[6:7], v[70:71], v[80:81]
	v_cmp_lt_f64_e64 s[4:5], v[70:71], v[80:81]
	s_and_b64 s[6:7], s[6:7], s[38:39]
	s_or_b64 s[42:43], s[4:5], s[6:7]
	s_and_b64 s[4:5], s[42:43], exec
	v_cmp_nlg_f64_e64 s[10:11], v[70:71], v[80:81]
	s_or_b64 s[6:7], s[40:41], s[4:5]
	s_and_saveexec_b64 s[40:41], s[10:11]
	s_cbranch_execz .LBB755_254
; %bb.256:                              ;   in Loop: Header=BB755_255 Depth=1
	v_lshl_add_u64 v[18:19], v[18:19], 0, -1
	v_cmp_eq_u64_e64 s[4:5], 0, v[18:19]
	s_andn2_b64 s[10:11], s[36:37], exec
	s_and_b64 s[36:37], s[42:43], exec
	s_or_b64 s[36:37], s[10:11], s[36:37]
	s_andn2_b64 s[10:11], s[34:35], exec
	s_and_b64 s[4:5], s[4:5], exec
	v_lshl_add_u64 v[14:15], v[14:15], 0, 8
	v_lshl_add_u64 v[16:17], v[16:17], 0, 8
	s_andn2_b64 s[6:7], s[6:7], exec
	s_or_b64 s[34:35], s[10:11], s[4:5]
                                        ; implicit-def: $sgpr38_sgpr39
	s_branch .LBB755_254
.LBB755_257:
	s_or_b64 exec, exec, s[28:29]
	s_and_b64 s[4:5], s[30:31], exec
.LBB755_258:
	s_or_b64 exec, exec, s[26:27]
	s_xor_b64 s[4:5], s[4:5], -1
	s_and_b64 s[6:7], s[4:5], exec
.LBB755_259:
	s_or_b64 exec, exec, s[22:23]
	s_orn2_b64 s[22:23], s[6:7], exec
.LBB755_260:
	s_or_b64 exec, exec, s[24:25]
	v_cndmask_b32_e64 v12, v23, v66, s[22:23]
	v_cndmask_b32_e64 v14, v100, v99, s[22:23]
	v_add_u32_e32 v15, 1, v12
	v_add_u32_e32 v12, -1, v14
	v_min_u32_e32 v12, v15, v12
	v_lshl_add_u64 v[12:13], v[12:13], 3, v[54:55]
	flat_load_dwordx2 v[12:13], v[12:13]
	v_cndmask_b32_e64 v18, v15, v23, s[22:23]
	v_cndmask_b32_e64 v19, v66, v15, s[22:23]
	v_cmp_lt_u32_e64 s[4:5], v18, v100
	s_waitcnt vmcnt(0) lgkmcnt(0)
	v_cndmask_b32_e64 v23, v13, v20, s[22:23]
	v_cndmask_b32_e64 v69, v12, v21, s[22:23]
	v_cndmask_b32_e64 v70, v22, v13, s[22:23]
	v_cndmask_b32_e64 v71, v68, v12, s[22:23]
	s_and_saveexec_b64 s[24:25], s[4:5]
	s_cbranch_execz .LBB755_268
; %bb.261:
	v_cmp_lt_u32_e64 s[20:21], v19, v99
	s_xor_b64 s[4:5], s[0:1], -1
	s_and_b64 s[4:5], s[20:21], s[4:5]
	s_and_saveexec_b64 s[26:27], s[4:5]
	s_cbranch_execz .LBB755_267
; %bb.262:
	v_mul_lo_u32 v14, v70, v6
	v_mul_lo_u32 v15, v71, v7
	v_mad_u64_u32 v[12:13], s[4:5], v71, v6, 0
	v_add3_u32 v13, v13, v15, v14
	v_mul_lo_u32 v16, v23, v6
	v_mul_lo_u32 v17, v69, v7
	v_mad_u64_u32 v[14:15], s[4:5], v69, v6, 0
	v_add3_u32 v15, v15, v17, v16
	v_lshl_add_u64 v[12:13], v[12:13], 3, v[8:9]
	v_lshl_add_u64 v[14:15], v[14:15], 3, v[8:9]
	s_mov_b64 s[28:29], 0
	v_mov_b64_e32 v[16:17], v[6:7]
                                        ; implicit-def: $sgpr30_sgpr31
                                        ; implicit-def: $sgpr34_sgpr35
                                        ; implicit-def: $sgpr6_sgpr7
                                        ; implicit-def: $sgpr36_sgpr37
                                        ; implicit-def: $sgpr38_sgpr39
	s_branch .LBB755_264
.LBB755_263:                            ;   in Loop: Header=BB755_264 Depth=1
	s_or_b64 exec, exec, s[40:41]
	s_and_b64 s[4:5], exec, s[34:35]
	s_or_b64 s[28:29], s[4:5], s[28:29]
	s_andn2_b64 s[4:5], s[38:39], exec
	s_and_b64 s[10:11], s[36:37], exec
	s_or_b64 s[38:39], s[4:5], s[10:11]
	s_andn2_b64 s[4:5], s[30:31], exec
	s_and_b64 s[10:11], s[6:7], exec
	s_or_b64 s[30:31], s[4:5], s[10:11]
	s_andn2_b64 exec, exec, s[28:29]
	s_cbranch_execz .LBB755_266
.LBB755_264:                            ; =>This Inner Loop Header: Depth=1
	flat_load_dwordx2 v[66:67], v[14:15]
	flat_load_dwordx2 v[80:81], v[12:13]
	s_andn2_b64 s[40:41], s[6:7], exec
	s_andn2_b64 s[36:37], s[36:37], exec
	s_or_b64 s[34:35], s[34:35], exec
	s_waitcnt vmcnt(0) lgkmcnt(0)
	v_cmp_ngt_f64_e64 s[6:7], v[66:67], v[80:81]
	v_cmp_lt_f64_e64 s[4:5], v[66:67], v[80:81]
	s_and_b64 s[6:7], s[6:7], s[38:39]
	s_or_b64 s[42:43], s[4:5], s[6:7]
	s_and_b64 s[4:5], s[42:43], exec
	v_cmp_nlg_f64_e64 s[10:11], v[66:67], v[80:81]
	s_or_b64 s[6:7], s[40:41], s[4:5]
	s_and_saveexec_b64 s[40:41], s[10:11]
	s_cbranch_execz .LBB755_263
; %bb.265:                              ;   in Loop: Header=BB755_264 Depth=1
	v_lshl_add_u64 v[16:17], v[16:17], 0, -1
	v_cmp_eq_u64_e64 s[4:5], 0, v[16:17]
	s_andn2_b64 s[10:11], s[36:37], exec
	s_and_b64 s[36:37], s[42:43], exec
	s_or_b64 s[36:37], s[10:11], s[36:37]
	s_andn2_b64 s[10:11], s[34:35], exec
	s_and_b64 s[4:5], s[4:5], exec
	v_lshl_add_u64 v[12:13], v[12:13], 0, 8
	v_lshl_add_u64 v[14:15], v[14:15], 0, 8
	s_andn2_b64 s[6:7], s[6:7], exec
	s_or_b64 s[34:35], s[10:11], s[4:5]
                                        ; implicit-def: $sgpr38_sgpr39
	s_branch .LBB755_263
.LBB755_266:
	s_or_b64 exec, exec, s[28:29]
	s_xor_b64 s[4:5], s[30:31], -1
	s_andn2_b64 s[6:7], s[20:21], exec
	s_and_b64 s[4:5], s[4:5], exec
	s_or_b64 s[20:21], s[6:7], s[4:5]
.LBB755_267:
	s_or_b64 exec, exec, s[26:27]
	s_orn2_b64 s[20:21], s[20:21], exec
.LBB755_268:
	s_or_b64 exec, exec, s[24:25]
	v_cndmask_b32_e64 v12, v18, v19, s[20:21]
	v_cndmask_b32_e64 v13, v100, v99, s[20:21]
	v_add_u32_e32 v16, 1, v12
	v_add_u32_e32 v12, -1, v13
	v_min_u32_e32 v12, v16, v12
	v_mov_b32_e32 v13, 0
	v_lshl_add_u64 v[14:15], v[12:13], 3, v[54:55]
	flat_load_dwordx2 v[14:15], v[14:15]
	v_cndmask_b32_e64 v66, v16, v18, s[20:21]
	s_mov_b64 s[24:25], -1
	v_cndmask_b32_e64 v67, v19, v16, s[20:21]
	v_cmp_lt_u32_e64 s[4:5], v66, v100
	s_mov_b64 s[26:27], -1
	s_waitcnt vmcnt(0) lgkmcnt(0)
	v_cndmask_b32_e64 v80, v15, v23, s[20:21]
	v_cndmask_b32_e64 v81, v14, v69, s[20:21]
	;; [unrolled: 1-line block ×4, first 2 shown]
	s_and_saveexec_b64 s[28:29], s[4:5]
	s_cbranch_execz .LBB755_276
; %bb.269:
	v_cmp_lt_u32_e64 s[26:27], v67, v99
	s_xor_b64 s[4:5], s[0:1], -1
	s_and_b64 s[4:5], s[26:27], s[4:5]
	s_and_saveexec_b64 s[30:31], s[4:5]
	s_cbranch_execz .LBB755_275
; %bb.270:
	v_mul_lo_u32 v12, v82, v6
	v_mul_lo_u32 v16, v83, v7
	v_mad_u64_u32 v[14:15], s[4:5], v83, v6, 0
	v_add3_u32 v15, v15, v16, v12
	v_mul_lo_u32 v12, v80, v6
	v_mul_lo_u32 v18, v81, v7
	v_mad_u64_u32 v[16:17], s[4:5], v81, v6, 0
	v_add3_u32 v17, v17, v18, v12
	v_lshl_add_u64 v[14:15], v[14:15], 3, v[8:9]
	v_lshl_add_u64 v[16:17], v[16:17], 3, v[8:9]
	s_mov_b64 s[34:35], 0
	v_mov_b64_e32 v[18:19], v[6:7]
                                        ; implicit-def: $sgpr36_sgpr37
                                        ; implicit-def: $sgpr38_sgpr39
                                        ; implicit-def: $sgpr6_sgpr7
                                        ; implicit-def: $sgpr40_sgpr41
                                        ; implicit-def: $sgpr42_sgpr43
	s_branch .LBB755_272
.LBB755_271:                            ;   in Loop: Header=BB755_272 Depth=1
	s_or_b64 exec, exec, s[44:45]
	s_and_b64 s[4:5], exec, s[38:39]
	s_or_b64 s[34:35], s[4:5], s[34:35]
	s_andn2_b64 s[4:5], s[42:43], exec
	s_and_b64 s[10:11], s[40:41], exec
	s_or_b64 s[42:43], s[4:5], s[10:11]
	s_andn2_b64 s[4:5], s[36:37], exec
	s_and_b64 s[10:11], s[6:7], exec
	s_or_b64 s[36:37], s[4:5], s[10:11]
	s_andn2_b64 exec, exec, s[34:35]
	s_cbranch_execz .LBB755_274
.LBB755_272:                            ; =>This Inner Loop Header: Depth=1
	flat_load_dwordx2 v[84:85], v[16:17]
	flat_load_dwordx2 v[86:87], v[14:15]
	s_andn2_b64 s[44:45], s[6:7], exec
	s_andn2_b64 s[40:41], s[40:41], exec
	s_or_b64 s[38:39], s[38:39], exec
	s_waitcnt vmcnt(0) lgkmcnt(0)
	v_cmp_ngt_f64_e64 s[6:7], v[84:85], v[86:87]
	v_cmp_lt_f64_e64 s[4:5], v[84:85], v[86:87]
	s_and_b64 s[6:7], s[6:7], s[42:43]
	s_or_b64 s[46:47], s[4:5], s[6:7]
	s_and_b64 s[4:5], s[46:47], exec
	v_cmp_nlg_f64_e64 s[10:11], v[84:85], v[86:87]
	s_or_b64 s[6:7], s[44:45], s[4:5]
	s_and_saveexec_b64 s[44:45], s[10:11]
	s_cbranch_execz .LBB755_271
; %bb.273:                              ;   in Loop: Header=BB755_272 Depth=1
	v_lshl_add_u64 v[18:19], v[18:19], 0, -1
	v_cmp_eq_u64_e64 s[4:5], 0, v[18:19]
	s_andn2_b64 s[10:11], s[40:41], exec
	s_and_b64 s[40:41], s[46:47], exec
	s_or_b64 s[40:41], s[10:11], s[40:41]
	s_andn2_b64 s[10:11], s[38:39], exec
	s_and_b64 s[4:5], s[4:5], exec
	v_lshl_add_u64 v[14:15], v[14:15], 0, 8
	v_lshl_add_u64 v[16:17], v[16:17], 0, 8
	s_andn2_b64 s[6:7], s[6:7], exec
	s_or_b64 s[38:39], s[10:11], s[4:5]
                                        ; implicit-def: $sgpr42_sgpr43
	s_branch .LBB755_271
.LBB755_274:
	s_or_b64 exec, exec, s[34:35]
	s_xor_b64 s[4:5], s[36:37], -1
	s_andn2_b64 s[6:7], s[26:27], exec
	s_and_b64 s[4:5], s[4:5], exec
	s_or_b64 s[26:27], s[6:7], s[4:5]
.LBB755_275:
	s_or_b64 exec, exec, s[30:31]
	s_orn2_b64 s[26:27], s[26:27], exec
.LBB755_276:
	s_or_b64 exec, exec, s[28:29]
	v_cndmask_b32_e64 v12, v66, v67, s[26:27]
	v_cndmask_b32_e64 v14, v100, v99, s[26:27]
	v_add_u32_e32 v15, 1, v12
	v_add_u32_e32 v12, -1, v14
	v_min_u32_e32 v12, v15, v12
	v_lshl_add_u64 v[12:13], v[12:13], 3, v[54:55]
	flat_load_dwordx2 v[12:13], v[12:13]
	v_cndmask_b32_e64 v18, v15, v66, s[26:27]
	v_cndmask_b32_e64 v19, v67, v15, s[26:27]
	v_cmp_lt_u32_e64 s[4:5], v18, v100
	s_waitcnt vmcnt(0) lgkmcnt(0)
	v_cndmask_b32_e64 v84, v13, v80, s[26:27]
	v_cndmask_b32_e64 v85, v12, v81, s[26:27]
	;; [unrolled: 1-line block ×4, first 2 shown]
	s_and_saveexec_b64 s[28:29], s[4:5]
	s_cbranch_execz .LBB755_284
; %bb.277:
	v_cmp_lt_u32_e64 s[24:25], v19, v99
	s_xor_b64 s[4:5], s[0:1], -1
	s_and_b64 s[4:5], s[24:25], s[4:5]
	s_and_saveexec_b64 s[30:31], s[4:5]
	s_cbranch_execz .LBB755_283
; %bb.278:
	v_mul_lo_u32 v14, v86, v6
	v_mul_lo_u32 v15, v87, v7
	v_mad_u64_u32 v[12:13], s[4:5], v87, v6, 0
	v_add3_u32 v13, v13, v15, v14
	v_mul_lo_u32 v16, v84, v6
	v_mul_lo_u32 v17, v85, v7
	v_mad_u64_u32 v[14:15], s[4:5], v85, v6, 0
	v_add3_u32 v15, v15, v17, v16
	v_lshl_add_u64 v[12:13], v[12:13], 3, v[8:9]
	v_lshl_add_u64 v[14:15], v[14:15], 3, v[8:9]
	s_mov_b64 s[34:35], 0
	v_mov_b64_e32 v[16:17], v[6:7]
                                        ; implicit-def: $sgpr36_sgpr37
                                        ; implicit-def: $sgpr38_sgpr39
                                        ; implicit-def: $sgpr6_sgpr7
                                        ; implicit-def: $sgpr40_sgpr41
                                        ; implicit-def: $sgpr42_sgpr43
	s_branch .LBB755_280
.LBB755_279:                            ;   in Loop: Header=BB755_280 Depth=1
	s_or_b64 exec, exec, s[44:45]
	s_and_b64 s[4:5], exec, s[38:39]
	s_or_b64 s[34:35], s[4:5], s[34:35]
	s_andn2_b64 s[4:5], s[42:43], exec
	s_and_b64 s[10:11], s[40:41], exec
	s_or_b64 s[42:43], s[4:5], s[10:11]
	s_andn2_b64 s[4:5], s[36:37], exec
	s_and_b64 s[10:11], s[6:7], exec
	s_or_b64 s[36:37], s[4:5], s[10:11]
	s_andn2_b64 exec, exec, s[34:35]
	s_cbranch_execz .LBB755_282
.LBB755_280:                            ; =>This Inner Loop Header: Depth=1
	flat_load_dwordx2 v[66:67], v[14:15]
	flat_load_dwordx2 v[96:97], v[12:13]
	s_andn2_b64 s[44:45], s[6:7], exec
	s_andn2_b64 s[40:41], s[40:41], exec
	s_or_b64 s[38:39], s[38:39], exec
	s_waitcnt vmcnt(0) lgkmcnt(0)
	v_cmp_ngt_f64_e64 s[6:7], v[66:67], v[96:97]
	v_cmp_lt_f64_e64 s[4:5], v[66:67], v[96:97]
	s_and_b64 s[6:7], s[6:7], s[42:43]
	s_or_b64 s[46:47], s[4:5], s[6:7]
	s_and_b64 s[4:5], s[46:47], exec
	v_cmp_nlg_f64_e64 s[10:11], v[66:67], v[96:97]
	s_or_b64 s[6:7], s[44:45], s[4:5]
	s_and_saveexec_b64 s[44:45], s[10:11]
	s_cbranch_execz .LBB755_279
; %bb.281:                              ;   in Loop: Header=BB755_280 Depth=1
	v_lshl_add_u64 v[16:17], v[16:17], 0, -1
	v_cmp_eq_u64_e64 s[4:5], 0, v[16:17]
	s_andn2_b64 s[10:11], s[40:41], exec
	s_and_b64 s[40:41], s[46:47], exec
	s_or_b64 s[40:41], s[10:11], s[40:41]
	s_andn2_b64 s[10:11], s[38:39], exec
	s_and_b64 s[4:5], s[4:5], exec
	v_lshl_add_u64 v[12:13], v[12:13], 0, 8
	v_lshl_add_u64 v[14:15], v[14:15], 0, 8
	s_andn2_b64 s[6:7], s[6:7], exec
	s_or_b64 s[38:39], s[10:11], s[4:5]
                                        ; implicit-def: $sgpr42_sgpr43
	s_branch .LBB755_279
.LBB755_282:
	s_or_b64 exec, exec, s[34:35]
	s_xor_b64 s[4:5], s[36:37], -1
	s_andn2_b64 s[6:7], s[24:25], exec
	s_and_b64 s[4:5], s[4:5], exec
	s_or_b64 s[24:25], s[6:7], s[4:5]
.LBB755_283:
	s_or_b64 exec, exec, s[30:31]
	s_orn2_b64 s[24:25], s[24:25], exec
.LBB755_284:
	s_or_b64 exec, exec, s[28:29]
	v_cndmask_b32_e64 v12, v18, v19, s[24:25]
	v_cndmask_b32_e64 v13, v100, v99, s[24:25]
	v_add_u32_e32 v16, 1, v12
	v_add_u32_e32 v12, -1, v13
	v_min_u32_e32 v12, v16, v12
	v_mov_b32_e32 v13, 0
	v_lshl_add_u64 v[14:15], v[12:13], 3, v[54:55]
	flat_load_dwordx2 v[14:15], v[14:15]
	v_cndmask_b32_e64 v66, v16, v18, s[24:25]
	s_mov_b64 s[28:29], -1
	v_cndmask_b32_e64 v67, v19, v16, s[24:25]
	v_cmp_lt_u32_e64 s[4:5], v66, v100
	s_mov_b64 s[30:31], -1
	s_waitcnt vmcnt(0) lgkmcnt(0)
	v_cndmask_b32_e64 v96, v15, v84, s[24:25]
	v_cndmask_b32_e64 v97, v14, v85, s[24:25]
	;; [unrolled: 1-line block ×4, first 2 shown]
	s_and_saveexec_b64 s[34:35], s[4:5]
	s_cbranch_execz .LBB755_292
; %bb.285:
	v_cmp_lt_u32_e64 s[30:31], v67, v99
	s_xor_b64 s[4:5], s[0:1], -1
	s_and_b64 s[4:5], s[30:31], s[4:5]
	s_and_saveexec_b64 s[36:37], s[4:5]
	s_cbranch_execz .LBB755_291
; %bb.286:
	v_mul_lo_u32 v12, v101, v6
	v_mul_lo_u32 v16, v102, v7
	v_mad_u64_u32 v[14:15], s[4:5], v102, v6, 0
	v_add3_u32 v15, v15, v16, v12
	v_mul_lo_u32 v12, v96, v6
	v_mul_lo_u32 v18, v97, v7
	v_mad_u64_u32 v[16:17], s[4:5], v97, v6, 0
	v_add3_u32 v17, v17, v18, v12
	v_lshl_add_u64 v[14:15], v[14:15], 3, v[8:9]
	v_lshl_add_u64 v[16:17], v[16:17], 3, v[8:9]
	s_mov_b64 s[38:39], 0
	v_mov_b64_e32 v[18:19], v[6:7]
                                        ; implicit-def: $sgpr40_sgpr41
                                        ; implicit-def: $sgpr42_sgpr43
                                        ; implicit-def: $sgpr6_sgpr7
                                        ; implicit-def: $sgpr44_sgpr45
                                        ; implicit-def: $sgpr46_sgpr47
	s_branch .LBB755_288
.LBB755_287:                            ;   in Loop: Header=BB755_288 Depth=1
	s_or_b64 exec, exec, s[48:49]
	s_and_b64 s[4:5], exec, s[42:43]
	s_or_b64 s[38:39], s[4:5], s[38:39]
	s_andn2_b64 s[4:5], s[46:47], exec
	s_and_b64 s[10:11], s[44:45], exec
	s_or_b64 s[46:47], s[4:5], s[10:11]
	s_andn2_b64 s[4:5], s[40:41], exec
	s_and_b64 s[10:11], s[6:7], exec
	s_or_b64 s[40:41], s[4:5], s[10:11]
	s_andn2_b64 exec, exec, s[38:39]
	s_cbranch_execz .LBB755_290
.LBB755_288:                            ; =>This Inner Loop Header: Depth=1
	flat_load_dwordx2 v[112:113], v[16:17]
	flat_load_dwordx2 v[114:115], v[14:15]
	s_andn2_b64 s[48:49], s[6:7], exec
	s_andn2_b64 s[44:45], s[44:45], exec
	s_or_b64 s[42:43], s[42:43], exec
	s_waitcnt vmcnt(0) lgkmcnt(0)
	v_cmp_ngt_f64_e64 s[6:7], v[112:113], v[114:115]
	v_cmp_lt_f64_e64 s[4:5], v[112:113], v[114:115]
	s_and_b64 s[6:7], s[6:7], s[46:47]
	s_or_b64 s[50:51], s[4:5], s[6:7]
	s_and_b64 s[4:5], s[50:51], exec
	v_cmp_nlg_f64_e64 s[10:11], v[112:113], v[114:115]
	s_or_b64 s[6:7], s[48:49], s[4:5]
	s_and_saveexec_b64 s[48:49], s[10:11]
	s_cbranch_execz .LBB755_287
; %bb.289:                              ;   in Loop: Header=BB755_288 Depth=1
	v_lshl_add_u64 v[18:19], v[18:19], 0, -1
	v_cmp_eq_u64_e64 s[4:5], 0, v[18:19]
	s_andn2_b64 s[10:11], s[44:45], exec
	s_and_b64 s[44:45], s[50:51], exec
	s_or_b64 s[44:45], s[10:11], s[44:45]
	s_andn2_b64 s[10:11], s[42:43], exec
	s_and_b64 s[4:5], s[4:5], exec
	v_lshl_add_u64 v[14:15], v[14:15], 0, 8
	v_lshl_add_u64 v[16:17], v[16:17], 0, 8
	s_andn2_b64 s[6:7], s[6:7], exec
	s_or_b64 s[42:43], s[10:11], s[4:5]
                                        ; implicit-def: $sgpr46_sgpr47
	s_branch .LBB755_287
.LBB755_290:
	s_or_b64 exec, exec, s[38:39]
	s_xor_b64 s[4:5], s[40:41], -1
	s_andn2_b64 s[6:7], s[30:31], exec
	s_and_b64 s[4:5], s[4:5], exec
	s_or_b64 s[30:31], s[6:7], s[4:5]
.LBB755_291:
	s_or_b64 exec, exec, s[36:37]
	s_orn2_b64 s[30:31], s[30:31], exec
.LBB755_292:
	s_or_b64 exec, exec, s[34:35]
	v_cndmask_b32_e64 v12, v66, v67, s[30:31]
	v_cndmask_b32_e64 v14, v100, v99, s[30:31]
	v_add_u32_e32 v15, 1, v12
	v_add_u32_e32 v12, -1, v14
	v_min_u32_e32 v12, v15, v12
	v_lshl_add_u64 v[12:13], v[12:13], 3, v[54:55]
	flat_load_dwordx2 v[12:13], v[12:13]
	v_cndmask_b32_e64 v114, v15, v66, s[30:31]
	v_cndmask_b32_e64 v103, v67, v15, s[30:31]
	v_cmp_lt_u32_e64 s[4:5], v114, v100
	s_waitcnt vmcnt(0) lgkmcnt(0)
	v_cndmask_b32_e64 v112, v13, v96, s[30:31]
	v_cndmask_b32_e64 v113, v12, v97, s[30:31]
	;; [unrolled: 1-line block ×4, first 2 shown]
	s_and_saveexec_b64 s[34:35], s[4:5]
	s_cbranch_execz .LBB755_300
; %bb.293:
	v_cmp_lt_u32_e64 s[28:29], v103, v99
	s_xor_b64 s[4:5], s[0:1], -1
	s_and_b64 s[4:5], s[28:29], s[4:5]
	s_and_saveexec_b64 s[36:37], s[4:5]
	s_cbranch_execz .LBB755_299
; %bb.294:
	v_mul_lo_u32 v14, v115, v6
	v_mul_lo_u32 v15, v116, v7
	v_mad_u64_u32 v[12:13], s[4:5], v116, v6, 0
	v_add3_u32 v13, v13, v15, v14
	v_mul_lo_u32 v16, v112, v6
	v_mul_lo_u32 v17, v113, v7
	v_mad_u64_u32 v[14:15], s[4:5], v113, v6, 0
	v_add3_u32 v15, v15, v17, v16
	v_lshl_add_u64 v[12:13], v[12:13], 3, v[8:9]
	v_lshl_add_u64 v[14:15], v[14:15], 3, v[8:9]
	s_mov_b64 s[38:39], 0
	v_mov_b64_e32 v[16:17], v[6:7]
                                        ; implicit-def: $sgpr40_sgpr41
                                        ; implicit-def: $sgpr42_sgpr43
                                        ; implicit-def: $sgpr6_sgpr7
                                        ; implicit-def: $sgpr44_sgpr45
                                        ; implicit-def: $sgpr46_sgpr47
	s_branch .LBB755_296
.LBB755_295:                            ;   in Loop: Header=BB755_296 Depth=1
	s_or_b64 exec, exec, s[48:49]
	s_and_b64 s[4:5], exec, s[42:43]
	s_or_b64 s[38:39], s[4:5], s[38:39]
	s_andn2_b64 s[4:5], s[46:47], exec
	s_and_b64 s[10:11], s[44:45], exec
	s_or_b64 s[46:47], s[4:5], s[10:11]
	s_andn2_b64 s[4:5], s[40:41], exec
	s_and_b64 s[10:11], s[6:7], exec
	s_or_b64 s[40:41], s[4:5], s[10:11]
	s_andn2_b64 exec, exec, s[38:39]
	s_cbranch_execz .LBB755_298
.LBB755_296:                            ; =>This Inner Loop Header: Depth=1
	flat_load_dwordx2 v[18:19], v[14:15]
	flat_load_dwordx2 v[66:67], v[12:13]
	s_andn2_b64 s[48:49], s[6:7], exec
	s_andn2_b64 s[44:45], s[44:45], exec
	s_or_b64 s[42:43], s[42:43], exec
	s_waitcnt vmcnt(0) lgkmcnt(0)
	v_cmp_ngt_f64_e64 s[6:7], v[18:19], v[66:67]
	v_cmp_lt_f64_e64 s[4:5], v[18:19], v[66:67]
	s_and_b64 s[6:7], s[6:7], s[46:47]
	s_or_b64 s[50:51], s[4:5], s[6:7]
	s_and_b64 s[4:5], s[50:51], exec
	v_cmp_nlg_f64_e64 s[10:11], v[18:19], v[66:67]
	s_or_b64 s[6:7], s[48:49], s[4:5]
	s_and_saveexec_b64 s[48:49], s[10:11]
	s_cbranch_execz .LBB755_295
; %bb.297:                              ;   in Loop: Header=BB755_296 Depth=1
	v_lshl_add_u64 v[16:17], v[16:17], 0, -1
	v_cmp_eq_u64_e64 s[4:5], 0, v[16:17]
	s_andn2_b64 s[10:11], s[44:45], exec
	s_and_b64 s[44:45], s[50:51], exec
	s_or_b64 s[44:45], s[10:11], s[44:45]
	s_andn2_b64 s[10:11], s[42:43], exec
	s_and_b64 s[4:5], s[4:5], exec
	v_lshl_add_u64 v[12:13], v[12:13], 0, 8
	v_lshl_add_u64 v[14:15], v[14:15], 0, 8
	s_andn2_b64 s[6:7], s[6:7], exec
	s_or_b64 s[42:43], s[10:11], s[4:5]
                                        ; implicit-def: $sgpr46_sgpr47
	s_branch .LBB755_295
.LBB755_298:
	s_or_b64 exec, exec, s[38:39]
	s_xor_b64 s[4:5], s[40:41], -1
	s_andn2_b64 s[6:7], s[28:29], exec
	s_and_b64 s[4:5], s[4:5], exec
	s_or_b64 s[28:29], s[6:7], s[4:5]
.LBB755_299:
	s_or_b64 exec, exec, s[36:37]
	s_orn2_b64 s[28:29], s[28:29], exec
.LBB755_300:
	s_or_b64 exec, exec, s[34:35]
	v_cndmask_b32_e64 v12, v114, v103, s[28:29]
	v_cndmask_b32_e64 v13, v100, v99, s[28:29]
	v_add_u32_e32 v117, 1, v12
	v_add_u32_e32 v12, -1, v13
	v_min_u32_e32 v12, v117, v12
	v_mov_b32_e32 v13, 0
	v_lshl_add_u64 v[12:13], v[12:13], 3, v[54:55]
	flat_load_dwordx2 v[66:67], v[12:13]
	v_cndmask_b32_e64 v17, v23, v70, s[20:21]
	v_cndmask_b32_e64 v23, v20, v22, s[22:23]
	;; [unrolled: 1-line block ×15, first 2 shown]
	v_cmp_lt_u32_e64 s[4:5], v68, v100
	s_waitcnt vmcnt(0) lgkmcnt(0)
	v_cndmask_b32_e64 v3, v115, v67, s[28:29]
	v_cndmask_b32_e64 v2, v116, v66, s[28:29]
	s_and_saveexec_b64 s[18:19], s[4:5]
	s_cbranch_execz .LBB755_308
; %bb.301:
	v_cndmask_b32_e64 v81, v66, v113, s[28:29]
	v_cndmask_b32_e64 v66, v103, v117, s[28:29]
	v_cmp_ge_u32_e64 s[4:5], v66, v99
	v_cndmask_b32_e64 v80, v67, v112, s[28:29]
	s_or_b64 s[6:7], s[4:5], s[0:1]
	v_cndmask_b32_e64 v67, v3, v80, s[4:5]
	s_xor_b64 s[6:7], s[6:7], -1
	v_cndmask_b32_e64 v66, v2, v81, s[4:5]
	s_and_saveexec_b64 s[20:21], s[6:7]
	s_cbranch_execz .LBB755_307
; %bb.302:
	v_mul_lo_u32 v68, v3, v6
	v_mul_lo_u32 v69, v2, v7
	v_mad_u64_u32 v[66:67], s[4:5], v2, v6, 0
	v_add3_u32 v67, v67, v69, v68
	v_mul_lo_u32 v70, v80, v6
	v_mul_lo_u32 v71, v81, v7
	v_mad_u64_u32 v[68:69], s[4:5], v81, v6, 0
	v_add3_u32 v69, v69, v71, v70
	v_lshl_add_u64 v[66:67], v[66:67], 3, v[8:9]
	v_lshl_add_u64 v[68:69], v[68:69], 3, v[8:9]
	s_mov_b64 s[22:23], 0
	v_mov_b64_e32 v[70:71], v[6:7]
                                        ; implicit-def: $sgpr24_sgpr25
                                        ; implicit-def: $sgpr26_sgpr27
                                        ; implicit-def: $sgpr6_sgpr7
                                        ; implicit-def: $sgpr28_sgpr29
                                        ; implicit-def: $sgpr30_sgpr31
	s_branch .LBB755_304
.LBB755_303:                            ;   in Loop: Header=BB755_304 Depth=1
	s_or_b64 exec, exec, s[34:35]
	s_and_b64 s[4:5], exec, s[26:27]
	s_or_b64 s[22:23], s[4:5], s[22:23]
	s_andn2_b64 s[4:5], s[30:31], exec
	s_and_b64 s[10:11], s[28:29], exec
	s_or_b64 s[30:31], s[4:5], s[10:11]
	s_andn2_b64 s[4:5], s[24:25], exec
	s_and_b64 s[10:11], s[6:7], exec
	s_or_b64 s[24:25], s[4:5], s[10:11]
	s_andn2_b64 exec, exec, s[22:23]
	s_cbranch_execz .LBB755_306
.LBB755_304:                            ; =>This Inner Loop Header: Depth=1
	flat_load_dwordx2 v[82:83], v[68:69]
	flat_load_dwordx2 v[84:85], v[66:67]
	s_andn2_b64 s[34:35], s[6:7], exec
	s_andn2_b64 s[28:29], s[28:29], exec
	s_or_b64 s[26:27], s[26:27], exec
	s_waitcnt vmcnt(0) lgkmcnt(0)
	v_cmp_ngt_f64_e64 s[6:7], v[82:83], v[84:85]
	v_cmp_lt_f64_e64 s[4:5], v[82:83], v[84:85]
	s_and_b64 s[6:7], s[6:7], s[30:31]
	s_or_b64 s[36:37], s[4:5], s[6:7]
	s_and_b64 s[4:5], s[36:37], exec
	v_cmp_nlg_f64_e64 s[10:11], v[82:83], v[84:85]
	s_or_b64 s[6:7], s[34:35], s[4:5]
	s_and_saveexec_b64 s[34:35], s[10:11]
	s_cbranch_execz .LBB755_303
; %bb.305:                              ;   in Loop: Header=BB755_304 Depth=1
	v_lshl_add_u64 v[70:71], v[70:71], 0, -1
	v_cmp_eq_u64_e64 s[4:5], 0, v[70:71]
	s_andn2_b64 s[10:11], s[28:29], exec
	s_and_b64 s[28:29], s[36:37], exec
	s_or_b64 s[28:29], s[10:11], s[28:29]
	s_andn2_b64 s[10:11], s[26:27], exec
	s_and_b64 s[4:5], s[4:5], exec
	v_lshl_add_u64 v[66:67], v[66:67], 0, 8
	v_lshl_add_u64 v[68:69], v[68:69], 0, 8
	s_andn2_b64 s[6:7], s[6:7], exec
	s_or_b64 s[26:27], s[10:11], s[4:5]
                                        ; implicit-def: $sgpr30_sgpr31
	s_branch .LBB755_303
.LBB755_306:
	s_or_b64 exec, exec, s[22:23]
	v_cndmask_b32_e64 v67, v3, v80, s[24:25]
	v_cndmask_b32_e64 v66, v2, v81, s[24:25]
.LBB755_307:
	s_or_b64 exec, exec, s[20:21]
	v_mov_b64_e32 v[2:3], v[66:67]
.LBB755_308:
	s_or_b64 exec, exec, s[18:19]
.LBB755_309:
	s_or_b64 exec, exec, s[16:17]
	v_and_b32_e32 v101, 0x3e0, v98
	v_or_b32_e32 v66, 16, v101
	v_min_u32_e32 v99, v31, v66
	v_add_u32_e32 v66, 16, v99
	v_min_u32_e32 v100, v31, v66
	v_and_b32_e32 v66, 24, v98
	v_min_u32_e32 v102, v31, v66
	v_sub_u32_e32 v66, v99, v101
	v_sub_u32_e32 v67, v100, v99
	v_sub_u32_e64 v103, v102, v67 clamp
	v_min_u32_e32 v112, v102, v66
	v_cmp_lt_u32_e64 s[4:5], v103, v112
	; wave barrier
	flat_store_dwordx4 v[64:65], v[20:23]
	flat_store_dwordx4 v[64:65], v[16:19] offset:16
	flat_store_dwordx4 v[64:65], v[12:15] offset:32
	flat_store_dwordx4 v[64:65], v[0:3] offset:48
	; wave barrier
	s_and_saveexec_b64 s[16:17], s[4:5]
	s_cbranch_execz .LBB755_319
; %bb.310:
	v_lshlrev_b32_e32 v66, 3, v101
	v_mov_b32_e32 v67, 0
	v_lshl_add_u64 v[68:69], v[54:55], 0, v[66:67]
	v_lshlrev_b32_e32 v66, 3, v99
	v_lshl_add_u64 v[70:71], v[54:55], 0, v[66:67]
	v_lshlrev_b64 v[80:81], 3, v[6:7]
	s_mov_b64 s[18:19], 0
	s_branch .LBB755_313
.LBB755_311:                            ;   in Loop: Header=BB755_313 Depth=1
	s_or_b64 exec, exec, s[22:23]
	s_and_b64 s[4:5], s[24:25], exec
.LBB755_312:                            ;   in Loop: Header=BB755_313 Depth=1
	s_or_b64 exec, exec, s[20:21]
	v_add_u32_e32 v66, 1, v82
	v_cndmask_b32_e64 v112, v112, v82, s[4:5]
	v_cndmask_b32_e64 v103, v66, v103, s[4:5]
	v_cmp_ge_u32_e64 s[4:5], v103, v112
	s_or_b64 s[18:19], s[4:5], s[18:19]
	s_andn2_b64 exec, exec, s[18:19]
	s_cbranch_execz .LBB755_318
.LBB755_313:                            ; =>This Loop Header: Depth=1
                                        ;     Child Loop BB755_316 Depth 2
	v_add_u32_e32 v66, v112, v103
	v_lshrrev_b32_e32 v82, 1, v66
	s_mov_b64 s[4:5], 0
	s_and_saveexec_b64 s[20:21], vcc
	s_cbranch_execz .LBB755_312
; %bb.314:                              ;   in Loop: Header=BB755_313 Depth=1
	v_mov_b32_e32 v83, v67
	v_xad_u32 v66, v82, -1, v102
	v_lshl_add_u64 v[84:85], v[82:83], 3, v[68:69]
	v_lshl_add_u64 v[86:87], v[66:67], 3, v[70:71]
	flat_load_dwordx2 v[84:85], v[84:85]
	s_mov_b64 s[22:23], 0
	flat_load_dwordx2 v[86:87], v[86:87]
                                        ; implicit-def: $sgpr24_sgpr25
                                        ; implicit-def: $sgpr26_sgpr27
                                        ; implicit-def: $sgpr28_sgpr29
                                        ; implicit-def: $sgpr6_sgpr7
                                        ; implicit-def: $sgpr30_sgpr31
	s_waitcnt vmcnt(0) lgkmcnt(0)
	v_mul_lo_u32 v66, v80, v85
	v_mul_lo_u32 v83, v81, v84
	v_mad_u64_u32 v[84:85], s[4:5], v80, v84, v[8:9]
	v_mul_lo_u32 v96, v80, v87
	v_mul_lo_u32 v97, v81, v86
	v_mad_u64_u32 v[86:87], s[4:5], v80, v86, v[8:9]
	v_add3_u32 v85, v83, v85, v66
	v_add3_u32 v87, v97, v87, v96
	v_mov_b64_e32 v[96:97], v[6:7]
	s_branch .LBB755_316
.LBB755_315:                            ;   in Loop: Header=BB755_316 Depth=2
	s_or_b64 exec, exec, s[34:35]
	s_and_b64 s[4:5], exec, s[26:27]
	s_or_b64 s[22:23], s[4:5], s[22:23]
	s_andn2_b64 s[4:5], s[30:31], exec
	s_and_b64 s[10:11], s[28:29], exec
	s_or_b64 s[30:31], s[4:5], s[10:11]
	s_andn2_b64 s[4:5], s[24:25], exec
	s_and_b64 s[10:11], s[6:7], exec
	s_or_b64 s[24:25], s[4:5], s[10:11]
	s_andn2_b64 exec, exec, s[22:23]
	s_cbranch_execz .LBB755_311
.LBB755_316:                            ;   Parent Loop BB755_313 Depth=1
                                        ; =>  This Inner Loop Header: Depth=2
	flat_load_dwordx2 v[114:115], v[86:87]
	flat_load_dwordx2 v[116:117], v[84:85]
	s_andn2_b64 s[34:35], s[6:7], exec
	s_andn2_b64 s[28:29], s[28:29], exec
	s_or_b64 s[26:27], s[26:27], exec
	s_waitcnt vmcnt(0) lgkmcnt(0)
	v_cmp_ngt_f64_e64 s[6:7], v[114:115], v[116:117]
	v_cmp_lt_f64_e64 s[4:5], v[114:115], v[116:117]
	s_and_b64 s[6:7], s[6:7], s[30:31]
	s_or_b64 s[36:37], s[4:5], s[6:7]
	s_and_b64 s[4:5], s[36:37], exec
	v_cmp_nlg_f64_e64 s[10:11], v[114:115], v[116:117]
	s_or_b64 s[6:7], s[34:35], s[4:5]
	s_and_saveexec_b64 s[34:35], s[10:11]
	s_cbranch_execz .LBB755_315
; %bb.317:                              ;   in Loop: Header=BB755_316 Depth=2
	v_lshl_add_u64 v[96:97], v[96:97], 0, -1
	v_cmp_eq_u64_e64 s[4:5], 0, v[96:97]
	s_andn2_b64 s[10:11], s[28:29], exec
	s_and_b64 s[28:29], s[36:37], exec
	s_or_b64 s[28:29], s[10:11], s[28:29]
	s_andn2_b64 s[10:11], s[26:27], exec
	s_and_b64 s[4:5], s[4:5], exec
	v_lshl_add_u64 v[84:85], v[84:85], 0, 8
	v_lshl_add_u64 v[86:87], v[86:87], 0, 8
	s_andn2_b64 s[6:7], s[6:7], exec
	s_or_b64 s[26:27], s[10:11], s[4:5]
                                        ; implicit-def: $sgpr30_sgpr31
	s_branch .LBB755_315
.LBB755_318:
	s_or_b64 exec, exec, s[18:19]
.LBB755_319:
	s_or_b64 exec, exec, s[16:17]
	v_add_u32_e32 v67, v99, v102
	v_add_u32_e32 v66, v103, v101
	v_sub_u32_e32 v68, v67, v103
	v_cmp_le_u32_e64 s[4:5], v66, v99
	v_cmp_le_u32_e64 s[6:7], v68, v100
	s_or_b64 s[4:5], s[4:5], s[6:7]
	s_and_saveexec_b64 s[16:17], s[4:5]
	s_cbranch_execz .LBB755_391
; %bb.320:
	v_cmp_ge_u32_e64 s[4:5], v66, v99
	v_cmp_lt_u32_e64 s[6:7], v66, v99
                                        ; implicit-def: $vgpr0_vgpr1
	s_and_saveexec_b64 s[10:11], s[6:7]
	s_cbranch_execz .LBB755_322
; %bb.321:
	v_mov_b32_e32 v67, 0
	v_lshl_add_u64 v[0:1], v[66:67], 3, v[54:55]
	flat_load_dwordx2 v[0:1], v[0:1]
.LBB755_322:
	s_or_b64 exec, exec, s[10:11]
	v_cmp_ge_u32_e64 s[18:19], v68, v100
	v_cmp_lt_u32_e64 s[6:7], v68, v100
                                        ; implicit-def: $vgpr2_vgpr3
	s_and_saveexec_b64 s[10:11], s[6:7]
	s_cbranch_execz .LBB755_324
; %bb.323:
	v_mov_b32_e32 v69, 0
	v_lshl_add_u64 v[2:3], v[68:69], 3, v[54:55]
	flat_load_dwordx2 v[2:3], v[2:3]
.LBB755_324:
	s_or_b64 exec, exec, s[10:11]
	s_or_b64 s[4:5], s[4:5], s[18:19]
	s_xor_b64 s[4:5], s[4:5], -1
	s_and_saveexec_b64 s[20:21], s[4:5]
	s_cbranch_execz .LBB755_332
; %bb.325:
	s_mov_b64 s[4:5], 0
	s_and_saveexec_b64 s[22:23], s[2:3]
	s_cbranch_execz .LBB755_331
; %bb.326:
	s_waitcnt vmcnt(0) lgkmcnt(0)
	v_mul_lo_u32 v14, v1, v6
	v_mul_lo_u32 v15, v0, v7
	v_mad_u64_u32 v[12:13], s[4:5], v0, v6, 0
	v_add3_u32 v13, v13, v15, v14
	v_mul_lo_u32 v16, v3, v6
	v_mul_lo_u32 v17, v2, v7
	v_mad_u64_u32 v[14:15], s[4:5], v2, v6, 0
	v_add3_u32 v15, v15, v17, v16
	v_lshl_add_u64 v[12:13], v[12:13], 3, v[8:9]
	v_lshl_add_u64 v[14:15], v[14:15], 3, v[8:9]
	s_mov_b64 s[24:25], 0
	v_mov_b64_e32 v[16:17], v[6:7]
                                        ; implicit-def: $sgpr26_sgpr27
                                        ; implicit-def: $sgpr28_sgpr29
                                        ; implicit-def: $sgpr30_sgpr31
                                        ; implicit-def: $sgpr6_sgpr7
                                        ; implicit-def: $sgpr34_sgpr35
	s_branch .LBB755_328
.LBB755_327:                            ;   in Loop: Header=BB755_328 Depth=1
	s_or_b64 exec, exec, s[36:37]
	s_and_b64 s[4:5], exec, s[28:29]
	s_or_b64 s[24:25], s[4:5], s[24:25]
	s_andn2_b64 s[4:5], s[34:35], exec
	s_and_b64 s[10:11], s[30:31], exec
	s_or_b64 s[34:35], s[4:5], s[10:11]
	s_andn2_b64 s[4:5], s[26:27], exec
	s_and_b64 s[10:11], s[6:7], exec
	s_or_b64 s[26:27], s[4:5], s[10:11]
	s_andn2_b64 exec, exec, s[24:25]
	s_cbranch_execz .LBB755_330
.LBB755_328:                            ; =>This Inner Loop Header: Depth=1
	flat_load_dwordx2 v[18:19], v[14:15]
	flat_load_dwordx2 v[20:21], v[12:13]
	s_andn2_b64 s[36:37], s[6:7], exec
	s_andn2_b64 s[30:31], s[30:31], exec
	s_or_b64 s[28:29], s[28:29], exec
	s_waitcnt vmcnt(0) lgkmcnt(0)
	v_cmp_ngt_f64_e64 s[6:7], v[18:19], v[20:21]
	v_cmp_lt_f64_e64 s[4:5], v[18:19], v[20:21]
	s_and_b64 s[6:7], s[6:7], s[34:35]
	s_or_b64 s[38:39], s[4:5], s[6:7]
	s_and_b64 s[4:5], s[38:39], exec
	v_cmp_nlg_f64_e64 s[10:11], v[18:19], v[20:21]
	s_or_b64 s[6:7], s[36:37], s[4:5]
	s_and_saveexec_b64 s[36:37], s[10:11]
	s_cbranch_execz .LBB755_327
; %bb.329:                              ;   in Loop: Header=BB755_328 Depth=1
	v_lshl_add_u64 v[16:17], v[16:17], 0, -1
	v_cmp_eq_u64_e64 s[4:5], 0, v[16:17]
	s_andn2_b64 s[10:11], s[30:31], exec
	s_and_b64 s[30:31], s[38:39], exec
	s_or_b64 s[30:31], s[10:11], s[30:31]
	s_andn2_b64 s[10:11], s[28:29], exec
	s_and_b64 s[4:5], s[4:5], exec
	v_lshl_add_u64 v[12:13], v[12:13], 0, 8
	v_lshl_add_u64 v[14:15], v[14:15], 0, 8
	s_andn2_b64 s[6:7], s[6:7], exec
	s_or_b64 s[28:29], s[10:11], s[4:5]
                                        ; implicit-def: $sgpr34_sgpr35
	s_branch .LBB755_327
.LBB755_330:
	s_or_b64 exec, exec, s[24:25]
	s_and_b64 s[4:5], s[26:27], exec
.LBB755_331:
	s_or_b64 exec, exec, s[22:23]
	s_xor_b64 s[4:5], s[4:5], -1
	s_andn2_b64 s[6:7], s[18:19], exec
	s_and_b64 s[4:5], s[4:5], exec
	s_or_b64 s[18:19], s[6:7], s[4:5]
.LBB755_332:
	s_or_b64 exec, exec, s[20:21]
	v_cndmask_b32_e64 v12, v68, v66, s[18:19]
	v_cndmask_b32_e64 v13, v100, v99, s[18:19]
	v_add_u32_e32 v16, 1, v12
	v_add_u32_e32 v12, -1, v13
	v_min_u32_e32 v12, v16, v12
	v_mov_b32_e32 v13, 0
	v_lshl_add_u64 v[14:15], v[12:13], 3, v[54:55]
	flat_load_dwordx2 v[14:15], v[14:15]
	v_cndmask_b32_e64 v23, v16, v68, s[18:19]
	s_mov_b64 s[20:21], -1
	v_cndmask_b32_e64 v66, v66, v16, s[18:19]
	v_cmp_lt_u32_e64 s[4:5], v23, v100
	s_mov_b64 s[22:23], -1
	s_waitcnt vmcnt(0) lgkmcnt(0)
	v_cndmask_b32_e64 v20, v15, v3, s[18:19]
	v_cndmask_b32_e64 v21, v14, v2, s[18:19]
	;; [unrolled: 1-line block ×4, first 2 shown]
	s_and_saveexec_b64 s[24:25], s[4:5]
	s_cbranch_execz .LBB755_342
; %bb.333:
	v_cmp_lt_u32_e64 s[4:5], v66, v99
	s_mov_b64 s[6:7], 0
	s_and_saveexec_b64 s[22:23], s[4:5]
	s_cbranch_execz .LBB755_341
; %bb.334:
	s_mov_b64 s[4:5], 0
	s_and_saveexec_b64 s[26:27], s[2:3]
	s_cbranch_execz .LBB755_340
; %bb.335:
	v_mul_lo_u32 v12, v22, v6
	v_mul_lo_u32 v16, v68, v7
	v_mad_u64_u32 v[14:15], s[4:5], v68, v6, 0
	v_add3_u32 v15, v15, v16, v12
	v_mul_lo_u32 v12, v20, v6
	v_mul_lo_u32 v18, v21, v7
	v_mad_u64_u32 v[16:17], s[4:5], v21, v6, 0
	v_add3_u32 v17, v17, v18, v12
	v_lshl_add_u64 v[14:15], v[14:15], 3, v[8:9]
	v_lshl_add_u64 v[16:17], v[16:17], 3, v[8:9]
	s_mov_b64 s[28:29], 0
	v_mov_b64_e32 v[18:19], v[6:7]
                                        ; implicit-def: $sgpr30_sgpr31
                                        ; implicit-def: $sgpr34_sgpr35
                                        ; implicit-def: $sgpr36_sgpr37
                                        ; implicit-def: $sgpr6_sgpr7
                                        ; implicit-def: $sgpr38_sgpr39
	s_branch .LBB755_337
.LBB755_336:                            ;   in Loop: Header=BB755_337 Depth=1
	s_or_b64 exec, exec, s[40:41]
	s_and_b64 s[4:5], exec, s[34:35]
	s_or_b64 s[28:29], s[4:5], s[28:29]
	s_andn2_b64 s[4:5], s[38:39], exec
	s_and_b64 s[10:11], s[36:37], exec
	s_or_b64 s[38:39], s[4:5], s[10:11]
	s_andn2_b64 s[4:5], s[30:31], exec
	s_and_b64 s[10:11], s[6:7], exec
	s_or_b64 s[30:31], s[4:5], s[10:11]
	s_andn2_b64 exec, exec, s[28:29]
	s_cbranch_execz .LBB755_339
.LBB755_337:                            ; =>This Inner Loop Header: Depth=1
	flat_load_dwordx2 v[70:71], v[16:17]
	flat_load_dwordx2 v[80:81], v[14:15]
	s_andn2_b64 s[40:41], s[6:7], exec
	s_andn2_b64 s[36:37], s[36:37], exec
	s_or_b64 s[34:35], s[34:35], exec
	s_waitcnt vmcnt(0) lgkmcnt(0)
	v_cmp_ngt_f64_e64 s[6:7], v[70:71], v[80:81]
	v_cmp_lt_f64_e64 s[4:5], v[70:71], v[80:81]
	s_and_b64 s[6:7], s[6:7], s[38:39]
	s_or_b64 s[42:43], s[4:5], s[6:7]
	s_and_b64 s[4:5], s[42:43], exec
	v_cmp_nlg_f64_e64 s[10:11], v[70:71], v[80:81]
	s_or_b64 s[6:7], s[40:41], s[4:5]
	s_and_saveexec_b64 s[40:41], s[10:11]
	s_cbranch_execz .LBB755_336
; %bb.338:                              ;   in Loop: Header=BB755_337 Depth=1
	v_lshl_add_u64 v[18:19], v[18:19], 0, -1
	v_cmp_eq_u64_e64 s[4:5], 0, v[18:19]
	s_andn2_b64 s[10:11], s[36:37], exec
	s_and_b64 s[36:37], s[42:43], exec
	s_or_b64 s[36:37], s[10:11], s[36:37]
	s_andn2_b64 s[10:11], s[34:35], exec
	s_and_b64 s[4:5], s[4:5], exec
	v_lshl_add_u64 v[14:15], v[14:15], 0, 8
	v_lshl_add_u64 v[16:17], v[16:17], 0, 8
	s_andn2_b64 s[6:7], s[6:7], exec
	s_or_b64 s[34:35], s[10:11], s[4:5]
                                        ; implicit-def: $sgpr38_sgpr39
	s_branch .LBB755_336
.LBB755_339:
	s_or_b64 exec, exec, s[28:29]
	s_and_b64 s[4:5], s[30:31], exec
.LBB755_340:
	s_or_b64 exec, exec, s[26:27]
	s_xor_b64 s[4:5], s[4:5], -1
	s_and_b64 s[6:7], s[4:5], exec
.LBB755_341:
	s_or_b64 exec, exec, s[22:23]
	s_orn2_b64 s[22:23], s[6:7], exec
.LBB755_342:
	s_or_b64 exec, exec, s[24:25]
	v_cndmask_b32_e64 v12, v23, v66, s[22:23]
	v_cndmask_b32_e64 v14, v100, v99, s[22:23]
	v_add_u32_e32 v15, 1, v12
	v_add_u32_e32 v12, -1, v14
	v_min_u32_e32 v12, v15, v12
	v_lshl_add_u64 v[12:13], v[12:13], 3, v[54:55]
	flat_load_dwordx2 v[12:13], v[12:13]
	v_cndmask_b32_e64 v18, v15, v23, s[22:23]
	v_cndmask_b32_e64 v19, v66, v15, s[22:23]
	v_cmp_lt_u32_e64 s[4:5], v18, v100
	s_waitcnt vmcnt(0) lgkmcnt(0)
	v_cndmask_b32_e64 v23, v13, v20, s[22:23]
	v_cndmask_b32_e64 v69, v12, v21, s[22:23]
	v_cndmask_b32_e64 v70, v22, v13, s[22:23]
	v_cndmask_b32_e64 v71, v68, v12, s[22:23]
	s_and_saveexec_b64 s[24:25], s[4:5]
	s_cbranch_execz .LBB755_350
; %bb.343:
	v_cmp_lt_u32_e64 s[20:21], v19, v99
	s_xor_b64 s[4:5], s[0:1], -1
	s_and_b64 s[4:5], s[20:21], s[4:5]
	s_and_saveexec_b64 s[26:27], s[4:5]
	s_cbranch_execz .LBB755_349
; %bb.344:
	v_mul_lo_u32 v14, v70, v6
	v_mul_lo_u32 v15, v71, v7
	v_mad_u64_u32 v[12:13], s[4:5], v71, v6, 0
	v_add3_u32 v13, v13, v15, v14
	v_mul_lo_u32 v16, v23, v6
	v_mul_lo_u32 v17, v69, v7
	v_mad_u64_u32 v[14:15], s[4:5], v69, v6, 0
	v_add3_u32 v15, v15, v17, v16
	v_lshl_add_u64 v[12:13], v[12:13], 3, v[8:9]
	v_lshl_add_u64 v[14:15], v[14:15], 3, v[8:9]
	s_mov_b64 s[28:29], 0
	v_mov_b64_e32 v[16:17], v[6:7]
                                        ; implicit-def: $sgpr30_sgpr31
                                        ; implicit-def: $sgpr34_sgpr35
                                        ; implicit-def: $sgpr6_sgpr7
                                        ; implicit-def: $sgpr36_sgpr37
                                        ; implicit-def: $sgpr38_sgpr39
	s_branch .LBB755_346
.LBB755_345:                            ;   in Loop: Header=BB755_346 Depth=1
	s_or_b64 exec, exec, s[40:41]
	s_and_b64 s[4:5], exec, s[34:35]
	s_or_b64 s[28:29], s[4:5], s[28:29]
	s_andn2_b64 s[4:5], s[38:39], exec
	s_and_b64 s[10:11], s[36:37], exec
	s_or_b64 s[38:39], s[4:5], s[10:11]
	s_andn2_b64 s[4:5], s[30:31], exec
	s_and_b64 s[10:11], s[6:7], exec
	s_or_b64 s[30:31], s[4:5], s[10:11]
	s_andn2_b64 exec, exec, s[28:29]
	s_cbranch_execz .LBB755_348
.LBB755_346:                            ; =>This Inner Loop Header: Depth=1
	flat_load_dwordx2 v[66:67], v[14:15]
	flat_load_dwordx2 v[80:81], v[12:13]
	s_andn2_b64 s[40:41], s[6:7], exec
	s_andn2_b64 s[36:37], s[36:37], exec
	s_or_b64 s[34:35], s[34:35], exec
	s_waitcnt vmcnt(0) lgkmcnt(0)
	v_cmp_ngt_f64_e64 s[6:7], v[66:67], v[80:81]
	v_cmp_lt_f64_e64 s[4:5], v[66:67], v[80:81]
	s_and_b64 s[6:7], s[6:7], s[38:39]
	s_or_b64 s[42:43], s[4:5], s[6:7]
	s_and_b64 s[4:5], s[42:43], exec
	v_cmp_nlg_f64_e64 s[10:11], v[66:67], v[80:81]
	s_or_b64 s[6:7], s[40:41], s[4:5]
	s_and_saveexec_b64 s[40:41], s[10:11]
	s_cbranch_execz .LBB755_345
; %bb.347:                              ;   in Loop: Header=BB755_346 Depth=1
	v_lshl_add_u64 v[16:17], v[16:17], 0, -1
	v_cmp_eq_u64_e64 s[4:5], 0, v[16:17]
	s_andn2_b64 s[10:11], s[36:37], exec
	s_and_b64 s[36:37], s[42:43], exec
	s_or_b64 s[36:37], s[10:11], s[36:37]
	s_andn2_b64 s[10:11], s[34:35], exec
	s_and_b64 s[4:5], s[4:5], exec
	v_lshl_add_u64 v[12:13], v[12:13], 0, 8
	v_lshl_add_u64 v[14:15], v[14:15], 0, 8
	s_andn2_b64 s[6:7], s[6:7], exec
	s_or_b64 s[34:35], s[10:11], s[4:5]
                                        ; implicit-def: $sgpr38_sgpr39
	s_branch .LBB755_345
.LBB755_348:
	s_or_b64 exec, exec, s[28:29]
	s_xor_b64 s[4:5], s[30:31], -1
	s_andn2_b64 s[6:7], s[20:21], exec
	s_and_b64 s[4:5], s[4:5], exec
	s_or_b64 s[20:21], s[6:7], s[4:5]
.LBB755_349:
	s_or_b64 exec, exec, s[26:27]
	s_orn2_b64 s[20:21], s[20:21], exec
.LBB755_350:
	s_or_b64 exec, exec, s[24:25]
	v_cndmask_b32_e64 v12, v18, v19, s[20:21]
	v_cndmask_b32_e64 v13, v100, v99, s[20:21]
	v_add_u32_e32 v16, 1, v12
	v_add_u32_e32 v12, -1, v13
	v_min_u32_e32 v12, v16, v12
	v_mov_b32_e32 v13, 0
	v_lshl_add_u64 v[14:15], v[12:13], 3, v[54:55]
	flat_load_dwordx2 v[14:15], v[14:15]
	v_cndmask_b32_e64 v66, v16, v18, s[20:21]
	s_mov_b64 s[24:25], -1
	v_cndmask_b32_e64 v67, v19, v16, s[20:21]
	v_cmp_lt_u32_e64 s[4:5], v66, v100
	s_mov_b64 s[26:27], -1
	s_waitcnt vmcnt(0) lgkmcnt(0)
	v_cndmask_b32_e64 v80, v15, v23, s[20:21]
	v_cndmask_b32_e64 v81, v14, v69, s[20:21]
	;; [unrolled: 1-line block ×4, first 2 shown]
	s_and_saveexec_b64 s[28:29], s[4:5]
	s_cbranch_execz .LBB755_358
; %bb.351:
	v_cmp_lt_u32_e64 s[26:27], v67, v99
	s_xor_b64 s[4:5], s[0:1], -1
	s_and_b64 s[4:5], s[26:27], s[4:5]
	s_and_saveexec_b64 s[30:31], s[4:5]
	s_cbranch_execz .LBB755_357
; %bb.352:
	v_mul_lo_u32 v12, v82, v6
	v_mul_lo_u32 v16, v83, v7
	v_mad_u64_u32 v[14:15], s[4:5], v83, v6, 0
	v_add3_u32 v15, v15, v16, v12
	v_mul_lo_u32 v12, v80, v6
	v_mul_lo_u32 v18, v81, v7
	v_mad_u64_u32 v[16:17], s[4:5], v81, v6, 0
	v_add3_u32 v17, v17, v18, v12
	v_lshl_add_u64 v[14:15], v[14:15], 3, v[8:9]
	v_lshl_add_u64 v[16:17], v[16:17], 3, v[8:9]
	s_mov_b64 s[34:35], 0
	v_mov_b64_e32 v[18:19], v[6:7]
                                        ; implicit-def: $sgpr36_sgpr37
                                        ; implicit-def: $sgpr38_sgpr39
                                        ; implicit-def: $sgpr6_sgpr7
                                        ; implicit-def: $sgpr40_sgpr41
                                        ; implicit-def: $sgpr42_sgpr43
	s_branch .LBB755_354
.LBB755_353:                            ;   in Loop: Header=BB755_354 Depth=1
	s_or_b64 exec, exec, s[44:45]
	s_and_b64 s[4:5], exec, s[38:39]
	s_or_b64 s[34:35], s[4:5], s[34:35]
	s_andn2_b64 s[4:5], s[42:43], exec
	s_and_b64 s[10:11], s[40:41], exec
	s_or_b64 s[42:43], s[4:5], s[10:11]
	s_andn2_b64 s[4:5], s[36:37], exec
	s_and_b64 s[10:11], s[6:7], exec
	s_or_b64 s[36:37], s[4:5], s[10:11]
	s_andn2_b64 exec, exec, s[34:35]
	s_cbranch_execz .LBB755_356
.LBB755_354:                            ; =>This Inner Loop Header: Depth=1
	flat_load_dwordx2 v[84:85], v[16:17]
	flat_load_dwordx2 v[86:87], v[14:15]
	s_andn2_b64 s[44:45], s[6:7], exec
	s_andn2_b64 s[40:41], s[40:41], exec
	s_or_b64 s[38:39], s[38:39], exec
	s_waitcnt vmcnt(0) lgkmcnt(0)
	v_cmp_ngt_f64_e64 s[6:7], v[84:85], v[86:87]
	v_cmp_lt_f64_e64 s[4:5], v[84:85], v[86:87]
	s_and_b64 s[6:7], s[6:7], s[42:43]
	s_or_b64 s[46:47], s[4:5], s[6:7]
	s_and_b64 s[4:5], s[46:47], exec
	v_cmp_nlg_f64_e64 s[10:11], v[84:85], v[86:87]
	s_or_b64 s[6:7], s[44:45], s[4:5]
	s_and_saveexec_b64 s[44:45], s[10:11]
	s_cbranch_execz .LBB755_353
; %bb.355:                              ;   in Loop: Header=BB755_354 Depth=1
	v_lshl_add_u64 v[18:19], v[18:19], 0, -1
	v_cmp_eq_u64_e64 s[4:5], 0, v[18:19]
	s_andn2_b64 s[10:11], s[40:41], exec
	s_and_b64 s[40:41], s[46:47], exec
	s_or_b64 s[40:41], s[10:11], s[40:41]
	s_andn2_b64 s[10:11], s[38:39], exec
	s_and_b64 s[4:5], s[4:5], exec
	v_lshl_add_u64 v[14:15], v[14:15], 0, 8
	v_lshl_add_u64 v[16:17], v[16:17], 0, 8
	s_andn2_b64 s[6:7], s[6:7], exec
	s_or_b64 s[38:39], s[10:11], s[4:5]
                                        ; implicit-def: $sgpr42_sgpr43
	s_branch .LBB755_353
.LBB755_356:
	s_or_b64 exec, exec, s[34:35]
	s_xor_b64 s[4:5], s[36:37], -1
	s_andn2_b64 s[6:7], s[26:27], exec
	s_and_b64 s[4:5], s[4:5], exec
	s_or_b64 s[26:27], s[6:7], s[4:5]
.LBB755_357:
	s_or_b64 exec, exec, s[30:31]
	s_orn2_b64 s[26:27], s[26:27], exec
.LBB755_358:
	s_or_b64 exec, exec, s[28:29]
	v_cndmask_b32_e64 v12, v66, v67, s[26:27]
	v_cndmask_b32_e64 v14, v100, v99, s[26:27]
	v_add_u32_e32 v15, 1, v12
	v_add_u32_e32 v12, -1, v14
	v_min_u32_e32 v12, v15, v12
	v_lshl_add_u64 v[12:13], v[12:13], 3, v[54:55]
	flat_load_dwordx2 v[12:13], v[12:13]
	v_cndmask_b32_e64 v18, v15, v66, s[26:27]
	v_cndmask_b32_e64 v19, v67, v15, s[26:27]
	v_cmp_lt_u32_e64 s[4:5], v18, v100
	s_waitcnt vmcnt(0) lgkmcnt(0)
	v_cndmask_b32_e64 v84, v13, v80, s[26:27]
	v_cndmask_b32_e64 v85, v12, v81, s[26:27]
	;; [unrolled: 1-line block ×4, first 2 shown]
	s_and_saveexec_b64 s[28:29], s[4:5]
	s_cbranch_execz .LBB755_366
; %bb.359:
	v_cmp_lt_u32_e64 s[24:25], v19, v99
	s_xor_b64 s[4:5], s[0:1], -1
	s_and_b64 s[4:5], s[24:25], s[4:5]
	s_and_saveexec_b64 s[30:31], s[4:5]
	s_cbranch_execz .LBB755_365
; %bb.360:
	v_mul_lo_u32 v14, v86, v6
	v_mul_lo_u32 v15, v87, v7
	v_mad_u64_u32 v[12:13], s[4:5], v87, v6, 0
	v_add3_u32 v13, v13, v15, v14
	v_mul_lo_u32 v16, v84, v6
	v_mul_lo_u32 v17, v85, v7
	v_mad_u64_u32 v[14:15], s[4:5], v85, v6, 0
	v_add3_u32 v15, v15, v17, v16
	v_lshl_add_u64 v[12:13], v[12:13], 3, v[8:9]
	v_lshl_add_u64 v[14:15], v[14:15], 3, v[8:9]
	s_mov_b64 s[34:35], 0
	v_mov_b64_e32 v[16:17], v[6:7]
                                        ; implicit-def: $sgpr36_sgpr37
                                        ; implicit-def: $sgpr38_sgpr39
                                        ; implicit-def: $sgpr6_sgpr7
                                        ; implicit-def: $sgpr40_sgpr41
                                        ; implicit-def: $sgpr42_sgpr43
	s_branch .LBB755_362
.LBB755_361:                            ;   in Loop: Header=BB755_362 Depth=1
	s_or_b64 exec, exec, s[44:45]
	s_and_b64 s[4:5], exec, s[38:39]
	s_or_b64 s[34:35], s[4:5], s[34:35]
	s_andn2_b64 s[4:5], s[42:43], exec
	s_and_b64 s[10:11], s[40:41], exec
	s_or_b64 s[42:43], s[4:5], s[10:11]
	s_andn2_b64 s[4:5], s[36:37], exec
	s_and_b64 s[10:11], s[6:7], exec
	s_or_b64 s[36:37], s[4:5], s[10:11]
	s_andn2_b64 exec, exec, s[34:35]
	s_cbranch_execz .LBB755_364
.LBB755_362:                            ; =>This Inner Loop Header: Depth=1
	flat_load_dwordx2 v[66:67], v[14:15]
	flat_load_dwordx2 v[96:97], v[12:13]
	s_andn2_b64 s[44:45], s[6:7], exec
	s_andn2_b64 s[40:41], s[40:41], exec
	s_or_b64 s[38:39], s[38:39], exec
	s_waitcnt vmcnt(0) lgkmcnt(0)
	v_cmp_ngt_f64_e64 s[6:7], v[66:67], v[96:97]
	v_cmp_lt_f64_e64 s[4:5], v[66:67], v[96:97]
	s_and_b64 s[6:7], s[6:7], s[42:43]
	s_or_b64 s[46:47], s[4:5], s[6:7]
	s_and_b64 s[4:5], s[46:47], exec
	v_cmp_nlg_f64_e64 s[10:11], v[66:67], v[96:97]
	s_or_b64 s[6:7], s[44:45], s[4:5]
	s_and_saveexec_b64 s[44:45], s[10:11]
	s_cbranch_execz .LBB755_361
; %bb.363:                              ;   in Loop: Header=BB755_362 Depth=1
	v_lshl_add_u64 v[16:17], v[16:17], 0, -1
	v_cmp_eq_u64_e64 s[4:5], 0, v[16:17]
	s_andn2_b64 s[10:11], s[40:41], exec
	s_and_b64 s[40:41], s[46:47], exec
	s_or_b64 s[40:41], s[10:11], s[40:41]
	s_andn2_b64 s[10:11], s[38:39], exec
	s_and_b64 s[4:5], s[4:5], exec
	v_lshl_add_u64 v[12:13], v[12:13], 0, 8
	v_lshl_add_u64 v[14:15], v[14:15], 0, 8
	s_andn2_b64 s[6:7], s[6:7], exec
	s_or_b64 s[38:39], s[10:11], s[4:5]
                                        ; implicit-def: $sgpr42_sgpr43
	s_branch .LBB755_361
.LBB755_364:
	s_or_b64 exec, exec, s[34:35]
	s_xor_b64 s[4:5], s[36:37], -1
	s_andn2_b64 s[6:7], s[24:25], exec
	s_and_b64 s[4:5], s[4:5], exec
	s_or_b64 s[24:25], s[6:7], s[4:5]
.LBB755_365:
	s_or_b64 exec, exec, s[30:31]
	s_orn2_b64 s[24:25], s[24:25], exec
.LBB755_366:
	s_or_b64 exec, exec, s[28:29]
	v_cndmask_b32_e64 v12, v18, v19, s[24:25]
	v_cndmask_b32_e64 v13, v100, v99, s[24:25]
	v_add_u32_e32 v16, 1, v12
	v_add_u32_e32 v12, -1, v13
	v_min_u32_e32 v12, v16, v12
	v_mov_b32_e32 v13, 0
	v_lshl_add_u64 v[14:15], v[12:13], 3, v[54:55]
	flat_load_dwordx2 v[14:15], v[14:15]
	v_cndmask_b32_e64 v66, v16, v18, s[24:25]
	s_mov_b64 s[28:29], -1
	v_cndmask_b32_e64 v67, v19, v16, s[24:25]
	v_cmp_lt_u32_e64 s[4:5], v66, v100
	s_mov_b64 s[30:31], -1
	s_waitcnt vmcnt(0) lgkmcnt(0)
	v_cndmask_b32_e64 v96, v15, v84, s[24:25]
	v_cndmask_b32_e64 v97, v14, v85, s[24:25]
	;; [unrolled: 1-line block ×4, first 2 shown]
	s_and_saveexec_b64 s[34:35], s[4:5]
	s_cbranch_execz .LBB755_374
; %bb.367:
	v_cmp_lt_u32_e64 s[30:31], v67, v99
	s_xor_b64 s[4:5], s[0:1], -1
	s_and_b64 s[4:5], s[30:31], s[4:5]
	s_and_saveexec_b64 s[36:37], s[4:5]
	s_cbranch_execz .LBB755_373
; %bb.368:
	v_mul_lo_u32 v12, v101, v6
	v_mul_lo_u32 v16, v102, v7
	v_mad_u64_u32 v[14:15], s[4:5], v102, v6, 0
	v_add3_u32 v15, v15, v16, v12
	v_mul_lo_u32 v12, v96, v6
	v_mul_lo_u32 v18, v97, v7
	v_mad_u64_u32 v[16:17], s[4:5], v97, v6, 0
	v_add3_u32 v17, v17, v18, v12
	v_lshl_add_u64 v[14:15], v[14:15], 3, v[8:9]
	v_lshl_add_u64 v[16:17], v[16:17], 3, v[8:9]
	s_mov_b64 s[38:39], 0
	v_mov_b64_e32 v[18:19], v[6:7]
                                        ; implicit-def: $sgpr40_sgpr41
                                        ; implicit-def: $sgpr42_sgpr43
                                        ; implicit-def: $sgpr6_sgpr7
                                        ; implicit-def: $sgpr44_sgpr45
                                        ; implicit-def: $sgpr46_sgpr47
	s_branch .LBB755_370
.LBB755_369:                            ;   in Loop: Header=BB755_370 Depth=1
	s_or_b64 exec, exec, s[48:49]
	s_and_b64 s[4:5], exec, s[42:43]
	s_or_b64 s[38:39], s[4:5], s[38:39]
	s_andn2_b64 s[4:5], s[46:47], exec
	s_and_b64 s[10:11], s[44:45], exec
	s_or_b64 s[46:47], s[4:5], s[10:11]
	s_andn2_b64 s[4:5], s[40:41], exec
	s_and_b64 s[10:11], s[6:7], exec
	s_or_b64 s[40:41], s[4:5], s[10:11]
	s_andn2_b64 exec, exec, s[38:39]
	s_cbranch_execz .LBB755_372
.LBB755_370:                            ; =>This Inner Loop Header: Depth=1
	flat_load_dwordx2 v[112:113], v[16:17]
	flat_load_dwordx2 v[114:115], v[14:15]
	s_andn2_b64 s[48:49], s[6:7], exec
	s_andn2_b64 s[44:45], s[44:45], exec
	s_or_b64 s[42:43], s[42:43], exec
	s_waitcnt vmcnt(0) lgkmcnt(0)
	v_cmp_ngt_f64_e64 s[6:7], v[112:113], v[114:115]
	v_cmp_lt_f64_e64 s[4:5], v[112:113], v[114:115]
	s_and_b64 s[6:7], s[6:7], s[46:47]
	s_or_b64 s[50:51], s[4:5], s[6:7]
	s_and_b64 s[4:5], s[50:51], exec
	v_cmp_nlg_f64_e64 s[10:11], v[112:113], v[114:115]
	s_or_b64 s[6:7], s[48:49], s[4:5]
	s_and_saveexec_b64 s[48:49], s[10:11]
	s_cbranch_execz .LBB755_369
; %bb.371:                              ;   in Loop: Header=BB755_370 Depth=1
	v_lshl_add_u64 v[18:19], v[18:19], 0, -1
	v_cmp_eq_u64_e64 s[4:5], 0, v[18:19]
	s_andn2_b64 s[10:11], s[44:45], exec
	s_and_b64 s[44:45], s[50:51], exec
	s_or_b64 s[44:45], s[10:11], s[44:45]
	s_andn2_b64 s[10:11], s[42:43], exec
	s_and_b64 s[4:5], s[4:5], exec
	v_lshl_add_u64 v[14:15], v[14:15], 0, 8
	v_lshl_add_u64 v[16:17], v[16:17], 0, 8
	s_andn2_b64 s[6:7], s[6:7], exec
	s_or_b64 s[42:43], s[10:11], s[4:5]
                                        ; implicit-def: $sgpr46_sgpr47
	s_branch .LBB755_369
.LBB755_372:
	s_or_b64 exec, exec, s[38:39]
	s_xor_b64 s[4:5], s[40:41], -1
	s_andn2_b64 s[6:7], s[30:31], exec
	s_and_b64 s[4:5], s[4:5], exec
	s_or_b64 s[30:31], s[6:7], s[4:5]
.LBB755_373:
	s_or_b64 exec, exec, s[36:37]
	s_orn2_b64 s[30:31], s[30:31], exec
.LBB755_374:
	s_or_b64 exec, exec, s[34:35]
	v_cndmask_b32_e64 v12, v66, v67, s[30:31]
	v_cndmask_b32_e64 v14, v100, v99, s[30:31]
	v_add_u32_e32 v15, 1, v12
	v_add_u32_e32 v12, -1, v14
	v_min_u32_e32 v12, v15, v12
	v_lshl_add_u64 v[12:13], v[12:13], 3, v[54:55]
	flat_load_dwordx2 v[12:13], v[12:13]
	v_cndmask_b32_e64 v114, v15, v66, s[30:31]
	v_cndmask_b32_e64 v103, v67, v15, s[30:31]
	v_cmp_lt_u32_e64 s[4:5], v114, v100
	s_waitcnt vmcnt(0) lgkmcnt(0)
	v_cndmask_b32_e64 v112, v13, v96, s[30:31]
	v_cndmask_b32_e64 v113, v12, v97, s[30:31]
	;; [unrolled: 1-line block ×4, first 2 shown]
	s_and_saveexec_b64 s[34:35], s[4:5]
	s_cbranch_execz .LBB755_382
; %bb.375:
	v_cmp_lt_u32_e64 s[28:29], v103, v99
	s_xor_b64 s[4:5], s[0:1], -1
	s_and_b64 s[4:5], s[28:29], s[4:5]
	s_and_saveexec_b64 s[36:37], s[4:5]
	s_cbranch_execz .LBB755_381
; %bb.376:
	v_mul_lo_u32 v14, v115, v6
	v_mul_lo_u32 v15, v116, v7
	v_mad_u64_u32 v[12:13], s[4:5], v116, v6, 0
	v_add3_u32 v13, v13, v15, v14
	v_mul_lo_u32 v16, v112, v6
	v_mul_lo_u32 v17, v113, v7
	v_mad_u64_u32 v[14:15], s[4:5], v113, v6, 0
	v_add3_u32 v15, v15, v17, v16
	v_lshl_add_u64 v[12:13], v[12:13], 3, v[8:9]
	v_lshl_add_u64 v[14:15], v[14:15], 3, v[8:9]
	s_mov_b64 s[38:39], 0
	v_mov_b64_e32 v[16:17], v[6:7]
                                        ; implicit-def: $sgpr40_sgpr41
                                        ; implicit-def: $sgpr42_sgpr43
                                        ; implicit-def: $sgpr6_sgpr7
                                        ; implicit-def: $sgpr44_sgpr45
                                        ; implicit-def: $sgpr46_sgpr47
	s_branch .LBB755_378
.LBB755_377:                            ;   in Loop: Header=BB755_378 Depth=1
	s_or_b64 exec, exec, s[48:49]
	s_and_b64 s[4:5], exec, s[42:43]
	s_or_b64 s[38:39], s[4:5], s[38:39]
	s_andn2_b64 s[4:5], s[46:47], exec
	s_and_b64 s[10:11], s[44:45], exec
	s_or_b64 s[46:47], s[4:5], s[10:11]
	s_andn2_b64 s[4:5], s[40:41], exec
	s_and_b64 s[10:11], s[6:7], exec
	s_or_b64 s[40:41], s[4:5], s[10:11]
	s_andn2_b64 exec, exec, s[38:39]
	s_cbranch_execz .LBB755_380
.LBB755_378:                            ; =>This Inner Loop Header: Depth=1
	flat_load_dwordx2 v[18:19], v[14:15]
	flat_load_dwordx2 v[66:67], v[12:13]
	s_andn2_b64 s[48:49], s[6:7], exec
	s_andn2_b64 s[44:45], s[44:45], exec
	s_or_b64 s[42:43], s[42:43], exec
	s_waitcnt vmcnt(0) lgkmcnt(0)
	v_cmp_ngt_f64_e64 s[6:7], v[18:19], v[66:67]
	v_cmp_lt_f64_e64 s[4:5], v[18:19], v[66:67]
	s_and_b64 s[6:7], s[6:7], s[46:47]
	s_or_b64 s[50:51], s[4:5], s[6:7]
	s_and_b64 s[4:5], s[50:51], exec
	v_cmp_nlg_f64_e64 s[10:11], v[18:19], v[66:67]
	s_or_b64 s[6:7], s[48:49], s[4:5]
	s_and_saveexec_b64 s[48:49], s[10:11]
	s_cbranch_execz .LBB755_377
; %bb.379:                              ;   in Loop: Header=BB755_378 Depth=1
	v_lshl_add_u64 v[16:17], v[16:17], 0, -1
	v_cmp_eq_u64_e64 s[4:5], 0, v[16:17]
	s_andn2_b64 s[10:11], s[44:45], exec
	s_and_b64 s[44:45], s[50:51], exec
	s_or_b64 s[44:45], s[10:11], s[44:45]
	s_andn2_b64 s[10:11], s[42:43], exec
	s_and_b64 s[4:5], s[4:5], exec
	v_lshl_add_u64 v[12:13], v[12:13], 0, 8
	v_lshl_add_u64 v[14:15], v[14:15], 0, 8
	s_andn2_b64 s[6:7], s[6:7], exec
	s_or_b64 s[42:43], s[10:11], s[4:5]
                                        ; implicit-def: $sgpr46_sgpr47
	s_branch .LBB755_377
.LBB755_380:
	s_or_b64 exec, exec, s[38:39]
	s_xor_b64 s[4:5], s[40:41], -1
	s_andn2_b64 s[6:7], s[28:29], exec
	s_and_b64 s[4:5], s[4:5], exec
	s_or_b64 s[28:29], s[6:7], s[4:5]
.LBB755_381:
	s_or_b64 exec, exec, s[36:37]
	s_orn2_b64 s[28:29], s[28:29], exec
.LBB755_382:
	s_or_b64 exec, exec, s[34:35]
	v_cndmask_b32_e64 v12, v114, v103, s[28:29]
	v_cndmask_b32_e64 v13, v100, v99, s[28:29]
	v_add_u32_e32 v117, 1, v12
	v_add_u32_e32 v12, -1, v13
	v_min_u32_e32 v12, v117, v12
	v_mov_b32_e32 v13, 0
	v_lshl_add_u64 v[12:13], v[12:13], 3, v[54:55]
	flat_load_dwordx2 v[66:67], v[12:13]
	v_cndmask_b32_e64 v17, v23, v70, s[20:21]
	v_cndmask_b32_e64 v23, v20, v22, s[22:23]
	;; [unrolled: 1-line block ×15, first 2 shown]
	v_cmp_lt_u32_e64 s[4:5], v68, v100
	s_waitcnt vmcnt(0) lgkmcnt(0)
	v_cndmask_b32_e64 v3, v115, v67, s[28:29]
	v_cndmask_b32_e64 v2, v116, v66, s[28:29]
	s_and_saveexec_b64 s[18:19], s[4:5]
	s_cbranch_execz .LBB755_390
; %bb.383:
	v_cndmask_b32_e64 v81, v66, v113, s[28:29]
	v_cndmask_b32_e64 v66, v103, v117, s[28:29]
	v_cmp_ge_u32_e64 s[4:5], v66, v99
	v_cndmask_b32_e64 v80, v67, v112, s[28:29]
	s_or_b64 s[6:7], s[4:5], s[0:1]
	v_cndmask_b32_e64 v67, v3, v80, s[4:5]
	s_xor_b64 s[6:7], s[6:7], -1
	v_cndmask_b32_e64 v66, v2, v81, s[4:5]
	s_and_saveexec_b64 s[20:21], s[6:7]
	s_cbranch_execz .LBB755_389
; %bb.384:
	v_mul_lo_u32 v68, v3, v6
	v_mul_lo_u32 v69, v2, v7
	v_mad_u64_u32 v[66:67], s[4:5], v2, v6, 0
	v_add3_u32 v67, v67, v69, v68
	v_mul_lo_u32 v70, v80, v6
	v_mul_lo_u32 v71, v81, v7
	v_mad_u64_u32 v[68:69], s[4:5], v81, v6, 0
	v_add3_u32 v69, v69, v71, v70
	v_lshl_add_u64 v[66:67], v[66:67], 3, v[8:9]
	v_lshl_add_u64 v[68:69], v[68:69], 3, v[8:9]
	s_mov_b64 s[22:23], 0
	v_mov_b64_e32 v[70:71], v[6:7]
                                        ; implicit-def: $sgpr24_sgpr25
                                        ; implicit-def: $sgpr26_sgpr27
                                        ; implicit-def: $sgpr6_sgpr7
                                        ; implicit-def: $sgpr28_sgpr29
                                        ; implicit-def: $sgpr30_sgpr31
	s_branch .LBB755_386
.LBB755_385:                            ;   in Loop: Header=BB755_386 Depth=1
	s_or_b64 exec, exec, s[34:35]
	s_and_b64 s[4:5], exec, s[26:27]
	s_or_b64 s[22:23], s[4:5], s[22:23]
	s_andn2_b64 s[4:5], s[30:31], exec
	s_and_b64 s[10:11], s[28:29], exec
	s_or_b64 s[30:31], s[4:5], s[10:11]
	s_andn2_b64 s[4:5], s[24:25], exec
	s_and_b64 s[10:11], s[6:7], exec
	s_or_b64 s[24:25], s[4:5], s[10:11]
	s_andn2_b64 exec, exec, s[22:23]
	s_cbranch_execz .LBB755_388
.LBB755_386:                            ; =>This Inner Loop Header: Depth=1
	flat_load_dwordx2 v[82:83], v[68:69]
	flat_load_dwordx2 v[84:85], v[66:67]
	s_andn2_b64 s[34:35], s[6:7], exec
	s_andn2_b64 s[28:29], s[28:29], exec
	s_or_b64 s[26:27], s[26:27], exec
	s_waitcnt vmcnt(0) lgkmcnt(0)
	v_cmp_ngt_f64_e64 s[6:7], v[82:83], v[84:85]
	v_cmp_lt_f64_e64 s[4:5], v[82:83], v[84:85]
	s_and_b64 s[6:7], s[6:7], s[30:31]
	s_or_b64 s[36:37], s[4:5], s[6:7]
	s_and_b64 s[4:5], s[36:37], exec
	v_cmp_nlg_f64_e64 s[10:11], v[82:83], v[84:85]
	s_or_b64 s[6:7], s[34:35], s[4:5]
	s_and_saveexec_b64 s[34:35], s[10:11]
	s_cbranch_execz .LBB755_385
; %bb.387:                              ;   in Loop: Header=BB755_386 Depth=1
	v_lshl_add_u64 v[70:71], v[70:71], 0, -1
	v_cmp_eq_u64_e64 s[4:5], 0, v[70:71]
	s_andn2_b64 s[10:11], s[28:29], exec
	s_and_b64 s[28:29], s[36:37], exec
	s_or_b64 s[28:29], s[10:11], s[28:29]
	s_andn2_b64 s[10:11], s[26:27], exec
	s_and_b64 s[4:5], s[4:5], exec
	v_lshl_add_u64 v[66:67], v[66:67], 0, 8
	v_lshl_add_u64 v[68:69], v[68:69], 0, 8
	s_andn2_b64 s[6:7], s[6:7], exec
	s_or_b64 s[26:27], s[10:11], s[4:5]
                                        ; implicit-def: $sgpr30_sgpr31
	s_branch .LBB755_385
.LBB755_388:
	s_or_b64 exec, exec, s[22:23]
	v_cndmask_b32_e64 v67, v3, v80, s[24:25]
	v_cndmask_b32_e64 v66, v2, v81, s[24:25]
.LBB755_389:
	s_or_b64 exec, exec, s[20:21]
	v_mov_b64_e32 v[2:3], v[66:67]
.LBB755_390:
	s_or_b64 exec, exec, s[18:19]
.LBB755_391:
	s_or_b64 exec, exec, s[16:17]
	v_and_b32_e32 v101, 0x3c0, v98
	v_or_b32_e32 v66, 32, v101
	v_min_u32_e32 v99, v31, v66
	v_add_u32_e32 v66, 32, v99
	v_min_u32_e32 v100, v31, v66
	v_and_b32_e32 v66, 56, v98
	v_min_u32_e32 v102, v31, v66
	v_sub_u32_e32 v66, v99, v101
	v_sub_u32_e32 v67, v100, v99
	v_sub_u32_e64 v103, v102, v67 clamp
	v_min_u32_e32 v112, v102, v66
	v_cmp_lt_u32_e64 s[4:5], v103, v112
	; wave barrier
	flat_store_dwordx4 v[64:65], v[20:23]
	flat_store_dwordx4 v[64:65], v[16:19] offset:16
	flat_store_dwordx4 v[64:65], v[12:15] offset:32
	flat_store_dwordx4 v[64:65], v[0:3] offset:48
	; wave barrier
	s_and_saveexec_b64 s[16:17], s[4:5]
	s_cbranch_execz .LBB755_401
; %bb.392:
	v_lshlrev_b32_e32 v66, 3, v101
	v_mov_b32_e32 v67, 0
	v_lshl_add_u64 v[68:69], v[54:55], 0, v[66:67]
	v_lshlrev_b32_e32 v66, 3, v99
	v_lshl_add_u64 v[70:71], v[54:55], 0, v[66:67]
	v_lshlrev_b64 v[80:81], 3, v[6:7]
	s_mov_b64 s[18:19], 0
	s_branch .LBB755_395
.LBB755_393:                            ;   in Loop: Header=BB755_395 Depth=1
	s_or_b64 exec, exec, s[22:23]
	s_and_b64 s[4:5], s[24:25], exec
.LBB755_394:                            ;   in Loop: Header=BB755_395 Depth=1
	s_or_b64 exec, exec, s[20:21]
	v_add_u32_e32 v66, 1, v82
	v_cndmask_b32_e64 v112, v112, v82, s[4:5]
	v_cndmask_b32_e64 v103, v66, v103, s[4:5]
	v_cmp_ge_u32_e64 s[4:5], v103, v112
	s_or_b64 s[18:19], s[4:5], s[18:19]
	s_andn2_b64 exec, exec, s[18:19]
	s_cbranch_execz .LBB755_400
.LBB755_395:                            ; =>This Loop Header: Depth=1
                                        ;     Child Loop BB755_398 Depth 2
	v_add_u32_e32 v66, v112, v103
	v_lshrrev_b32_e32 v82, 1, v66
	s_mov_b64 s[4:5], 0
	s_and_saveexec_b64 s[20:21], vcc
	s_cbranch_execz .LBB755_394
; %bb.396:                              ;   in Loop: Header=BB755_395 Depth=1
	v_mov_b32_e32 v83, v67
	v_xad_u32 v66, v82, -1, v102
	v_lshl_add_u64 v[84:85], v[82:83], 3, v[68:69]
	v_lshl_add_u64 v[86:87], v[66:67], 3, v[70:71]
	flat_load_dwordx2 v[84:85], v[84:85]
	s_mov_b64 s[22:23], 0
	flat_load_dwordx2 v[86:87], v[86:87]
                                        ; implicit-def: $sgpr24_sgpr25
                                        ; implicit-def: $sgpr26_sgpr27
                                        ; implicit-def: $sgpr28_sgpr29
                                        ; implicit-def: $sgpr6_sgpr7
                                        ; implicit-def: $sgpr30_sgpr31
	s_waitcnt vmcnt(0) lgkmcnt(0)
	v_mul_lo_u32 v66, v80, v85
	v_mul_lo_u32 v83, v81, v84
	v_mad_u64_u32 v[84:85], s[4:5], v80, v84, v[8:9]
	v_mul_lo_u32 v96, v80, v87
	v_mul_lo_u32 v97, v81, v86
	v_mad_u64_u32 v[86:87], s[4:5], v80, v86, v[8:9]
	v_add3_u32 v85, v83, v85, v66
	v_add3_u32 v87, v97, v87, v96
	v_mov_b64_e32 v[96:97], v[6:7]
	s_branch .LBB755_398
.LBB755_397:                            ;   in Loop: Header=BB755_398 Depth=2
	s_or_b64 exec, exec, s[34:35]
	s_and_b64 s[4:5], exec, s[26:27]
	s_or_b64 s[22:23], s[4:5], s[22:23]
	s_andn2_b64 s[4:5], s[30:31], exec
	s_and_b64 s[10:11], s[28:29], exec
	s_or_b64 s[30:31], s[4:5], s[10:11]
	s_andn2_b64 s[4:5], s[24:25], exec
	s_and_b64 s[10:11], s[6:7], exec
	s_or_b64 s[24:25], s[4:5], s[10:11]
	s_andn2_b64 exec, exec, s[22:23]
	s_cbranch_execz .LBB755_393
.LBB755_398:                            ;   Parent Loop BB755_395 Depth=1
                                        ; =>  This Inner Loop Header: Depth=2
	flat_load_dwordx2 v[114:115], v[86:87]
	flat_load_dwordx2 v[116:117], v[84:85]
	s_andn2_b64 s[34:35], s[6:7], exec
	s_andn2_b64 s[28:29], s[28:29], exec
	s_or_b64 s[26:27], s[26:27], exec
	s_waitcnt vmcnt(0) lgkmcnt(0)
	v_cmp_ngt_f64_e64 s[6:7], v[114:115], v[116:117]
	v_cmp_lt_f64_e64 s[4:5], v[114:115], v[116:117]
	s_and_b64 s[6:7], s[6:7], s[30:31]
	s_or_b64 s[36:37], s[4:5], s[6:7]
	s_and_b64 s[4:5], s[36:37], exec
	v_cmp_nlg_f64_e64 s[10:11], v[114:115], v[116:117]
	s_or_b64 s[6:7], s[34:35], s[4:5]
	s_and_saveexec_b64 s[34:35], s[10:11]
	s_cbranch_execz .LBB755_397
; %bb.399:                              ;   in Loop: Header=BB755_398 Depth=2
	v_lshl_add_u64 v[96:97], v[96:97], 0, -1
	v_cmp_eq_u64_e64 s[4:5], 0, v[96:97]
	s_andn2_b64 s[10:11], s[28:29], exec
	s_and_b64 s[28:29], s[36:37], exec
	s_or_b64 s[28:29], s[10:11], s[28:29]
	s_andn2_b64 s[10:11], s[26:27], exec
	s_and_b64 s[4:5], s[4:5], exec
	v_lshl_add_u64 v[84:85], v[84:85], 0, 8
	v_lshl_add_u64 v[86:87], v[86:87], 0, 8
	s_andn2_b64 s[6:7], s[6:7], exec
	s_or_b64 s[26:27], s[10:11], s[4:5]
                                        ; implicit-def: $sgpr30_sgpr31
	s_branch .LBB755_397
.LBB755_400:
	s_or_b64 exec, exec, s[18:19]
.LBB755_401:
	s_or_b64 exec, exec, s[16:17]
	v_add_u32_e32 v67, v99, v102
	v_add_u32_e32 v66, v103, v101
	v_sub_u32_e32 v68, v67, v103
	v_cmp_le_u32_e64 s[4:5], v66, v99
	v_cmp_le_u32_e64 s[6:7], v68, v100
	s_or_b64 s[4:5], s[4:5], s[6:7]
	s_and_saveexec_b64 s[16:17], s[4:5]
	s_cbranch_execz .LBB755_473
; %bb.402:
	v_cmp_ge_u32_e64 s[4:5], v66, v99
	v_cmp_lt_u32_e64 s[6:7], v66, v99
                                        ; implicit-def: $vgpr0_vgpr1
	s_and_saveexec_b64 s[10:11], s[6:7]
	s_cbranch_execz .LBB755_404
; %bb.403:
	v_mov_b32_e32 v67, 0
	v_lshl_add_u64 v[0:1], v[66:67], 3, v[54:55]
	flat_load_dwordx2 v[0:1], v[0:1]
.LBB755_404:
	s_or_b64 exec, exec, s[10:11]
	v_cmp_ge_u32_e64 s[18:19], v68, v100
	v_cmp_lt_u32_e64 s[6:7], v68, v100
                                        ; implicit-def: $vgpr2_vgpr3
	s_and_saveexec_b64 s[10:11], s[6:7]
	s_cbranch_execz .LBB755_406
; %bb.405:
	v_mov_b32_e32 v69, 0
	v_lshl_add_u64 v[2:3], v[68:69], 3, v[54:55]
	flat_load_dwordx2 v[2:3], v[2:3]
.LBB755_406:
	s_or_b64 exec, exec, s[10:11]
	s_or_b64 s[4:5], s[4:5], s[18:19]
	s_xor_b64 s[4:5], s[4:5], -1
	s_and_saveexec_b64 s[20:21], s[4:5]
	s_cbranch_execz .LBB755_414
; %bb.407:
	s_mov_b64 s[4:5], 0
	s_and_saveexec_b64 s[22:23], s[2:3]
	s_cbranch_execz .LBB755_413
; %bb.408:
	s_waitcnt vmcnt(0) lgkmcnt(0)
	v_mul_lo_u32 v14, v1, v6
	v_mul_lo_u32 v15, v0, v7
	v_mad_u64_u32 v[12:13], s[4:5], v0, v6, 0
	v_add3_u32 v13, v13, v15, v14
	v_mul_lo_u32 v16, v3, v6
	v_mul_lo_u32 v17, v2, v7
	v_mad_u64_u32 v[14:15], s[4:5], v2, v6, 0
	v_add3_u32 v15, v15, v17, v16
	v_lshl_add_u64 v[12:13], v[12:13], 3, v[8:9]
	v_lshl_add_u64 v[14:15], v[14:15], 3, v[8:9]
	s_mov_b64 s[24:25], 0
	v_mov_b64_e32 v[16:17], v[6:7]
                                        ; implicit-def: $sgpr26_sgpr27
                                        ; implicit-def: $sgpr28_sgpr29
                                        ; implicit-def: $sgpr30_sgpr31
                                        ; implicit-def: $sgpr6_sgpr7
                                        ; implicit-def: $sgpr34_sgpr35
	s_branch .LBB755_410
.LBB755_409:                            ;   in Loop: Header=BB755_410 Depth=1
	s_or_b64 exec, exec, s[36:37]
	s_and_b64 s[4:5], exec, s[28:29]
	s_or_b64 s[24:25], s[4:5], s[24:25]
	s_andn2_b64 s[4:5], s[34:35], exec
	s_and_b64 s[10:11], s[30:31], exec
	s_or_b64 s[34:35], s[4:5], s[10:11]
	s_andn2_b64 s[4:5], s[26:27], exec
	s_and_b64 s[10:11], s[6:7], exec
	s_or_b64 s[26:27], s[4:5], s[10:11]
	s_andn2_b64 exec, exec, s[24:25]
	s_cbranch_execz .LBB755_412
.LBB755_410:                            ; =>This Inner Loop Header: Depth=1
	flat_load_dwordx2 v[18:19], v[14:15]
	flat_load_dwordx2 v[20:21], v[12:13]
	s_andn2_b64 s[36:37], s[6:7], exec
	s_andn2_b64 s[30:31], s[30:31], exec
	s_or_b64 s[28:29], s[28:29], exec
	s_waitcnt vmcnt(0) lgkmcnt(0)
	v_cmp_ngt_f64_e64 s[6:7], v[18:19], v[20:21]
	v_cmp_lt_f64_e64 s[4:5], v[18:19], v[20:21]
	s_and_b64 s[6:7], s[6:7], s[34:35]
	s_or_b64 s[38:39], s[4:5], s[6:7]
	s_and_b64 s[4:5], s[38:39], exec
	v_cmp_nlg_f64_e64 s[10:11], v[18:19], v[20:21]
	s_or_b64 s[6:7], s[36:37], s[4:5]
	s_and_saveexec_b64 s[36:37], s[10:11]
	s_cbranch_execz .LBB755_409
; %bb.411:                              ;   in Loop: Header=BB755_410 Depth=1
	v_lshl_add_u64 v[16:17], v[16:17], 0, -1
	v_cmp_eq_u64_e64 s[4:5], 0, v[16:17]
	s_andn2_b64 s[10:11], s[30:31], exec
	s_and_b64 s[30:31], s[38:39], exec
	s_or_b64 s[30:31], s[10:11], s[30:31]
	s_andn2_b64 s[10:11], s[28:29], exec
	s_and_b64 s[4:5], s[4:5], exec
	v_lshl_add_u64 v[12:13], v[12:13], 0, 8
	v_lshl_add_u64 v[14:15], v[14:15], 0, 8
	s_andn2_b64 s[6:7], s[6:7], exec
	s_or_b64 s[28:29], s[10:11], s[4:5]
                                        ; implicit-def: $sgpr34_sgpr35
	s_branch .LBB755_409
.LBB755_412:
	s_or_b64 exec, exec, s[24:25]
	s_and_b64 s[4:5], s[26:27], exec
.LBB755_413:
	s_or_b64 exec, exec, s[22:23]
	s_xor_b64 s[4:5], s[4:5], -1
	s_andn2_b64 s[6:7], s[18:19], exec
	s_and_b64 s[4:5], s[4:5], exec
	s_or_b64 s[18:19], s[6:7], s[4:5]
.LBB755_414:
	s_or_b64 exec, exec, s[20:21]
	v_cndmask_b32_e64 v12, v68, v66, s[18:19]
	v_cndmask_b32_e64 v13, v100, v99, s[18:19]
	v_add_u32_e32 v16, 1, v12
	v_add_u32_e32 v12, -1, v13
	v_min_u32_e32 v12, v16, v12
	v_mov_b32_e32 v13, 0
	v_lshl_add_u64 v[14:15], v[12:13], 3, v[54:55]
	flat_load_dwordx2 v[14:15], v[14:15]
	v_cndmask_b32_e64 v23, v16, v68, s[18:19]
	s_mov_b64 s[20:21], -1
	v_cndmask_b32_e64 v66, v66, v16, s[18:19]
	v_cmp_lt_u32_e64 s[4:5], v23, v100
	s_mov_b64 s[22:23], -1
	s_waitcnt vmcnt(0) lgkmcnt(0)
	v_cndmask_b32_e64 v20, v15, v3, s[18:19]
	v_cndmask_b32_e64 v21, v14, v2, s[18:19]
	;; [unrolled: 1-line block ×4, first 2 shown]
	s_and_saveexec_b64 s[24:25], s[4:5]
	s_cbranch_execz .LBB755_424
; %bb.415:
	v_cmp_lt_u32_e64 s[4:5], v66, v99
	s_mov_b64 s[6:7], 0
	s_and_saveexec_b64 s[22:23], s[4:5]
	s_cbranch_execz .LBB755_423
; %bb.416:
	s_mov_b64 s[4:5], 0
	s_and_saveexec_b64 s[26:27], s[2:3]
	s_cbranch_execz .LBB755_422
; %bb.417:
	v_mul_lo_u32 v12, v22, v6
	v_mul_lo_u32 v16, v68, v7
	v_mad_u64_u32 v[14:15], s[4:5], v68, v6, 0
	v_add3_u32 v15, v15, v16, v12
	v_mul_lo_u32 v12, v20, v6
	v_mul_lo_u32 v18, v21, v7
	v_mad_u64_u32 v[16:17], s[4:5], v21, v6, 0
	v_add3_u32 v17, v17, v18, v12
	v_lshl_add_u64 v[14:15], v[14:15], 3, v[8:9]
	v_lshl_add_u64 v[16:17], v[16:17], 3, v[8:9]
	s_mov_b64 s[28:29], 0
	v_mov_b64_e32 v[18:19], v[6:7]
                                        ; implicit-def: $sgpr30_sgpr31
                                        ; implicit-def: $sgpr34_sgpr35
                                        ; implicit-def: $sgpr36_sgpr37
                                        ; implicit-def: $sgpr6_sgpr7
                                        ; implicit-def: $sgpr38_sgpr39
	s_branch .LBB755_419
.LBB755_418:                            ;   in Loop: Header=BB755_419 Depth=1
	s_or_b64 exec, exec, s[40:41]
	s_and_b64 s[4:5], exec, s[34:35]
	s_or_b64 s[28:29], s[4:5], s[28:29]
	s_andn2_b64 s[4:5], s[38:39], exec
	s_and_b64 s[10:11], s[36:37], exec
	s_or_b64 s[38:39], s[4:5], s[10:11]
	s_andn2_b64 s[4:5], s[30:31], exec
	s_and_b64 s[10:11], s[6:7], exec
	s_or_b64 s[30:31], s[4:5], s[10:11]
	s_andn2_b64 exec, exec, s[28:29]
	s_cbranch_execz .LBB755_421
.LBB755_419:                            ; =>This Inner Loop Header: Depth=1
	flat_load_dwordx2 v[70:71], v[16:17]
	flat_load_dwordx2 v[80:81], v[14:15]
	s_andn2_b64 s[40:41], s[6:7], exec
	s_andn2_b64 s[36:37], s[36:37], exec
	s_or_b64 s[34:35], s[34:35], exec
	s_waitcnt vmcnt(0) lgkmcnt(0)
	v_cmp_ngt_f64_e64 s[6:7], v[70:71], v[80:81]
	v_cmp_lt_f64_e64 s[4:5], v[70:71], v[80:81]
	s_and_b64 s[6:7], s[6:7], s[38:39]
	s_or_b64 s[42:43], s[4:5], s[6:7]
	s_and_b64 s[4:5], s[42:43], exec
	v_cmp_nlg_f64_e64 s[10:11], v[70:71], v[80:81]
	s_or_b64 s[6:7], s[40:41], s[4:5]
	s_and_saveexec_b64 s[40:41], s[10:11]
	s_cbranch_execz .LBB755_418
; %bb.420:                              ;   in Loop: Header=BB755_419 Depth=1
	v_lshl_add_u64 v[18:19], v[18:19], 0, -1
	v_cmp_eq_u64_e64 s[4:5], 0, v[18:19]
	s_andn2_b64 s[10:11], s[36:37], exec
	s_and_b64 s[36:37], s[42:43], exec
	s_or_b64 s[36:37], s[10:11], s[36:37]
	s_andn2_b64 s[10:11], s[34:35], exec
	s_and_b64 s[4:5], s[4:5], exec
	v_lshl_add_u64 v[14:15], v[14:15], 0, 8
	v_lshl_add_u64 v[16:17], v[16:17], 0, 8
	s_andn2_b64 s[6:7], s[6:7], exec
	s_or_b64 s[34:35], s[10:11], s[4:5]
                                        ; implicit-def: $sgpr38_sgpr39
	s_branch .LBB755_418
.LBB755_421:
	s_or_b64 exec, exec, s[28:29]
	s_and_b64 s[4:5], s[30:31], exec
.LBB755_422:
	s_or_b64 exec, exec, s[26:27]
	s_xor_b64 s[4:5], s[4:5], -1
	s_and_b64 s[6:7], s[4:5], exec
.LBB755_423:
	s_or_b64 exec, exec, s[22:23]
	s_orn2_b64 s[22:23], s[6:7], exec
.LBB755_424:
	s_or_b64 exec, exec, s[24:25]
	v_cndmask_b32_e64 v12, v23, v66, s[22:23]
	v_cndmask_b32_e64 v14, v100, v99, s[22:23]
	v_add_u32_e32 v15, 1, v12
	v_add_u32_e32 v12, -1, v14
	v_min_u32_e32 v12, v15, v12
	v_lshl_add_u64 v[12:13], v[12:13], 3, v[54:55]
	flat_load_dwordx2 v[12:13], v[12:13]
	v_cndmask_b32_e64 v18, v15, v23, s[22:23]
	v_cndmask_b32_e64 v19, v66, v15, s[22:23]
	v_cmp_lt_u32_e64 s[4:5], v18, v100
	s_waitcnt vmcnt(0) lgkmcnt(0)
	v_cndmask_b32_e64 v23, v13, v20, s[22:23]
	v_cndmask_b32_e64 v69, v12, v21, s[22:23]
	;; [unrolled: 1-line block ×4, first 2 shown]
	s_and_saveexec_b64 s[24:25], s[4:5]
	s_cbranch_execz .LBB755_432
; %bb.425:
	v_cmp_lt_u32_e64 s[20:21], v19, v99
	s_xor_b64 s[4:5], s[0:1], -1
	s_and_b64 s[4:5], s[20:21], s[4:5]
	s_and_saveexec_b64 s[26:27], s[4:5]
	s_cbranch_execz .LBB755_431
; %bb.426:
	v_mul_lo_u32 v14, v70, v6
	v_mul_lo_u32 v15, v71, v7
	v_mad_u64_u32 v[12:13], s[4:5], v71, v6, 0
	v_add3_u32 v13, v13, v15, v14
	v_mul_lo_u32 v16, v23, v6
	v_mul_lo_u32 v17, v69, v7
	v_mad_u64_u32 v[14:15], s[4:5], v69, v6, 0
	v_add3_u32 v15, v15, v17, v16
	v_lshl_add_u64 v[12:13], v[12:13], 3, v[8:9]
	v_lshl_add_u64 v[14:15], v[14:15], 3, v[8:9]
	s_mov_b64 s[28:29], 0
	v_mov_b64_e32 v[16:17], v[6:7]
                                        ; implicit-def: $sgpr30_sgpr31
                                        ; implicit-def: $sgpr34_sgpr35
                                        ; implicit-def: $sgpr6_sgpr7
                                        ; implicit-def: $sgpr36_sgpr37
                                        ; implicit-def: $sgpr38_sgpr39
	s_branch .LBB755_428
.LBB755_427:                            ;   in Loop: Header=BB755_428 Depth=1
	s_or_b64 exec, exec, s[40:41]
	s_and_b64 s[4:5], exec, s[34:35]
	s_or_b64 s[28:29], s[4:5], s[28:29]
	s_andn2_b64 s[4:5], s[38:39], exec
	s_and_b64 s[10:11], s[36:37], exec
	s_or_b64 s[38:39], s[4:5], s[10:11]
	s_andn2_b64 s[4:5], s[30:31], exec
	s_and_b64 s[10:11], s[6:7], exec
	s_or_b64 s[30:31], s[4:5], s[10:11]
	s_andn2_b64 exec, exec, s[28:29]
	s_cbranch_execz .LBB755_430
.LBB755_428:                            ; =>This Inner Loop Header: Depth=1
	flat_load_dwordx2 v[66:67], v[14:15]
	flat_load_dwordx2 v[80:81], v[12:13]
	s_andn2_b64 s[40:41], s[6:7], exec
	s_andn2_b64 s[36:37], s[36:37], exec
	s_or_b64 s[34:35], s[34:35], exec
	s_waitcnt vmcnt(0) lgkmcnt(0)
	v_cmp_ngt_f64_e64 s[6:7], v[66:67], v[80:81]
	v_cmp_lt_f64_e64 s[4:5], v[66:67], v[80:81]
	s_and_b64 s[6:7], s[6:7], s[38:39]
	s_or_b64 s[42:43], s[4:5], s[6:7]
	s_and_b64 s[4:5], s[42:43], exec
	v_cmp_nlg_f64_e64 s[10:11], v[66:67], v[80:81]
	s_or_b64 s[6:7], s[40:41], s[4:5]
	s_and_saveexec_b64 s[40:41], s[10:11]
	s_cbranch_execz .LBB755_427
; %bb.429:                              ;   in Loop: Header=BB755_428 Depth=1
	v_lshl_add_u64 v[16:17], v[16:17], 0, -1
	v_cmp_eq_u64_e64 s[4:5], 0, v[16:17]
	s_andn2_b64 s[10:11], s[36:37], exec
	s_and_b64 s[36:37], s[42:43], exec
	s_or_b64 s[36:37], s[10:11], s[36:37]
	s_andn2_b64 s[10:11], s[34:35], exec
	s_and_b64 s[4:5], s[4:5], exec
	v_lshl_add_u64 v[12:13], v[12:13], 0, 8
	v_lshl_add_u64 v[14:15], v[14:15], 0, 8
	s_andn2_b64 s[6:7], s[6:7], exec
	s_or_b64 s[34:35], s[10:11], s[4:5]
                                        ; implicit-def: $sgpr38_sgpr39
	s_branch .LBB755_427
.LBB755_430:
	s_or_b64 exec, exec, s[28:29]
	s_xor_b64 s[4:5], s[30:31], -1
	s_andn2_b64 s[6:7], s[20:21], exec
	s_and_b64 s[4:5], s[4:5], exec
	s_or_b64 s[20:21], s[6:7], s[4:5]
.LBB755_431:
	s_or_b64 exec, exec, s[26:27]
	s_orn2_b64 s[20:21], s[20:21], exec
.LBB755_432:
	s_or_b64 exec, exec, s[24:25]
	v_cndmask_b32_e64 v12, v18, v19, s[20:21]
	v_cndmask_b32_e64 v13, v100, v99, s[20:21]
	v_add_u32_e32 v16, 1, v12
	v_add_u32_e32 v12, -1, v13
	v_min_u32_e32 v12, v16, v12
	v_mov_b32_e32 v13, 0
	v_lshl_add_u64 v[14:15], v[12:13], 3, v[54:55]
	flat_load_dwordx2 v[14:15], v[14:15]
	v_cndmask_b32_e64 v66, v16, v18, s[20:21]
	s_mov_b64 s[24:25], -1
	v_cndmask_b32_e64 v67, v19, v16, s[20:21]
	v_cmp_lt_u32_e64 s[4:5], v66, v100
	s_mov_b64 s[26:27], -1
	s_waitcnt vmcnt(0) lgkmcnt(0)
	v_cndmask_b32_e64 v80, v15, v23, s[20:21]
	v_cndmask_b32_e64 v81, v14, v69, s[20:21]
	;; [unrolled: 1-line block ×4, first 2 shown]
	s_and_saveexec_b64 s[28:29], s[4:5]
	s_cbranch_execz .LBB755_440
; %bb.433:
	v_cmp_lt_u32_e64 s[26:27], v67, v99
	s_xor_b64 s[4:5], s[0:1], -1
	s_and_b64 s[4:5], s[26:27], s[4:5]
	s_and_saveexec_b64 s[30:31], s[4:5]
	s_cbranch_execz .LBB755_439
; %bb.434:
	v_mul_lo_u32 v12, v82, v6
	v_mul_lo_u32 v16, v83, v7
	v_mad_u64_u32 v[14:15], s[4:5], v83, v6, 0
	v_add3_u32 v15, v15, v16, v12
	v_mul_lo_u32 v12, v80, v6
	v_mul_lo_u32 v18, v81, v7
	v_mad_u64_u32 v[16:17], s[4:5], v81, v6, 0
	v_add3_u32 v17, v17, v18, v12
	v_lshl_add_u64 v[14:15], v[14:15], 3, v[8:9]
	v_lshl_add_u64 v[16:17], v[16:17], 3, v[8:9]
	s_mov_b64 s[34:35], 0
	v_mov_b64_e32 v[18:19], v[6:7]
                                        ; implicit-def: $sgpr36_sgpr37
                                        ; implicit-def: $sgpr38_sgpr39
                                        ; implicit-def: $sgpr6_sgpr7
                                        ; implicit-def: $sgpr40_sgpr41
                                        ; implicit-def: $sgpr42_sgpr43
	s_branch .LBB755_436
.LBB755_435:                            ;   in Loop: Header=BB755_436 Depth=1
	s_or_b64 exec, exec, s[44:45]
	s_and_b64 s[4:5], exec, s[38:39]
	s_or_b64 s[34:35], s[4:5], s[34:35]
	s_andn2_b64 s[4:5], s[42:43], exec
	s_and_b64 s[10:11], s[40:41], exec
	s_or_b64 s[42:43], s[4:5], s[10:11]
	s_andn2_b64 s[4:5], s[36:37], exec
	s_and_b64 s[10:11], s[6:7], exec
	s_or_b64 s[36:37], s[4:5], s[10:11]
	s_andn2_b64 exec, exec, s[34:35]
	s_cbranch_execz .LBB755_438
.LBB755_436:                            ; =>This Inner Loop Header: Depth=1
	flat_load_dwordx2 v[84:85], v[16:17]
	flat_load_dwordx2 v[86:87], v[14:15]
	s_andn2_b64 s[44:45], s[6:7], exec
	s_andn2_b64 s[40:41], s[40:41], exec
	s_or_b64 s[38:39], s[38:39], exec
	s_waitcnt vmcnt(0) lgkmcnt(0)
	v_cmp_ngt_f64_e64 s[6:7], v[84:85], v[86:87]
	v_cmp_lt_f64_e64 s[4:5], v[84:85], v[86:87]
	s_and_b64 s[6:7], s[6:7], s[42:43]
	s_or_b64 s[46:47], s[4:5], s[6:7]
	s_and_b64 s[4:5], s[46:47], exec
	v_cmp_nlg_f64_e64 s[10:11], v[84:85], v[86:87]
	s_or_b64 s[6:7], s[44:45], s[4:5]
	s_and_saveexec_b64 s[44:45], s[10:11]
	s_cbranch_execz .LBB755_435
; %bb.437:                              ;   in Loop: Header=BB755_436 Depth=1
	v_lshl_add_u64 v[18:19], v[18:19], 0, -1
	v_cmp_eq_u64_e64 s[4:5], 0, v[18:19]
	s_andn2_b64 s[10:11], s[40:41], exec
	s_and_b64 s[40:41], s[46:47], exec
	s_or_b64 s[40:41], s[10:11], s[40:41]
	s_andn2_b64 s[10:11], s[38:39], exec
	s_and_b64 s[4:5], s[4:5], exec
	v_lshl_add_u64 v[14:15], v[14:15], 0, 8
	v_lshl_add_u64 v[16:17], v[16:17], 0, 8
	s_andn2_b64 s[6:7], s[6:7], exec
	s_or_b64 s[38:39], s[10:11], s[4:5]
                                        ; implicit-def: $sgpr42_sgpr43
	s_branch .LBB755_435
.LBB755_438:
	s_or_b64 exec, exec, s[34:35]
	s_xor_b64 s[4:5], s[36:37], -1
	s_andn2_b64 s[6:7], s[26:27], exec
	s_and_b64 s[4:5], s[4:5], exec
	s_or_b64 s[26:27], s[6:7], s[4:5]
.LBB755_439:
	s_or_b64 exec, exec, s[30:31]
	s_orn2_b64 s[26:27], s[26:27], exec
.LBB755_440:
	s_or_b64 exec, exec, s[28:29]
	v_cndmask_b32_e64 v12, v66, v67, s[26:27]
	v_cndmask_b32_e64 v14, v100, v99, s[26:27]
	v_add_u32_e32 v15, 1, v12
	v_add_u32_e32 v12, -1, v14
	v_min_u32_e32 v12, v15, v12
	v_lshl_add_u64 v[12:13], v[12:13], 3, v[54:55]
	flat_load_dwordx2 v[12:13], v[12:13]
	v_cndmask_b32_e64 v18, v15, v66, s[26:27]
	v_cndmask_b32_e64 v19, v67, v15, s[26:27]
	v_cmp_lt_u32_e64 s[4:5], v18, v100
	s_waitcnt vmcnt(0) lgkmcnt(0)
	v_cndmask_b32_e64 v84, v13, v80, s[26:27]
	v_cndmask_b32_e64 v85, v12, v81, s[26:27]
	;; [unrolled: 1-line block ×4, first 2 shown]
	s_and_saveexec_b64 s[28:29], s[4:5]
	s_cbranch_execz .LBB755_448
; %bb.441:
	v_cmp_lt_u32_e64 s[24:25], v19, v99
	s_xor_b64 s[4:5], s[0:1], -1
	s_and_b64 s[4:5], s[24:25], s[4:5]
	s_and_saveexec_b64 s[30:31], s[4:5]
	s_cbranch_execz .LBB755_447
; %bb.442:
	v_mul_lo_u32 v14, v86, v6
	v_mul_lo_u32 v15, v87, v7
	v_mad_u64_u32 v[12:13], s[4:5], v87, v6, 0
	v_add3_u32 v13, v13, v15, v14
	v_mul_lo_u32 v16, v84, v6
	v_mul_lo_u32 v17, v85, v7
	v_mad_u64_u32 v[14:15], s[4:5], v85, v6, 0
	v_add3_u32 v15, v15, v17, v16
	v_lshl_add_u64 v[12:13], v[12:13], 3, v[8:9]
	v_lshl_add_u64 v[14:15], v[14:15], 3, v[8:9]
	s_mov_b64 s[34:35], 0
	v_mov_b64_e32 v[16:17], v[6:7]
                                        ; implicit-def: $sgpr36_sgpr37
                                        ; implicit-def: $sgpr38_sgpr39
                                        ; implicit-def: $sgpr6_sgpr7
                                        ; implicit-def: $sgpr40_sgpr41
                                        ; implicit-def: $sgpr42_sgpr43
	s_branch .LBB755_444
.LBB755_443:                            ;   in Loop: Header=BB755_444 Depth=1
	s_or_b64 exec, exec, s[44:45]
	s_and_b64 s[4:5], exec, s[38:39]
	s_or_b64 s[34:35], s[4:5], s[34:35]
	s_andn2_b64 s[4:5], s[42:43], exec
	s_and_b64 s[10:11], s[40:41], exec
	s_or_b64 s[42:43], s[4:5], s[10:11]
	s_andn2_b64 s[4:5], s[36:37], exec
	s_and_b64 s[10:11], s[6:7], exec
	s_or_b64 s[36:37], s[4:5], s[10:11]
	s_andn2_b64 exec, exec, s[34:35]
	s_cbranch_execz .LBB755_446
.LBB755_444:                            ; =>This Inner Loop Header: Depth=1
	flat_load_dwordx2 v[66:67], v[14:15]
	flat_load_dwordx2 v[96:97], v[12:13]
	s_andn2_b64 s[44:45], s[6:7], exec
	s_andn2_b64 s[40:41], s[40:41], exec
	s_or_b64 s[38:39], s[38:39], exec
	s_waitcnt vmcnt(0) lgkmcnt(0)
	v_cmp_ngt_f64_e64 s[6:7], v[66:67], v[96:97]
	v_cmp_lt_f64_e64 s[4:5], v[66:67], v[96:97]
	s_and_b64 s[6:7], s[6:7], s[42:43]
	s_or_b64 s[46:47], s[4:5], s[6:7]
	s_and_b64 s[4:5], s[46:47], exec
	v_cmp_nlg_f64_e64 s[10:11], v[66:67], v[96:97]
	s_or_b64 s[6:7], s[44:45], s[4:5]
	s_and_saveexec_b64 s[44:45], s[10:11]
	s_cbranch_execz .LBB755_443
; %bb.445:                              ;   in Loop: Header=BB755_444 Depth=1
	v_lshl_add_u64 v[16:17], v[16:17], 0, -1
	v_cmp_eq_u64_e64 s[4:5], 0, v[16:17]
	s_andn2_b64 s[10:11], s[40:41], exec
	s_and_b64 s[40:41], s[46:47], exec
	s_or_b64 s[40:41], s[10:11], s[40:41]
	s_andn2_b64 s[10:11], s[38:39], exec
	s_and_b64 s[4:5], s[4:5], exec
	v_lshl_add_u64 v[12:13], v[12:13], 0, 8
	v_lshl_add_u64 v[14:15], v[14:15], 0, 8
	s_andn2_b64 s[6:7], s[6:7], exec
	s_or_b64 s[38:39], s[10:11], s[4:5]
                                        ; implicit-def: $sgpr42_sgpr43
	s_branch .LBB755_443
.LBB755_446:
	s_or_b64 exec, exec, s[34:35]
	s_xor_b64 s[4:5], s[36:37], -1
	s_andn2_b64 s[6:7], s[24:25], exec
	s_and_b64 s[4:5], s[4:5], exec
	s_or_b64 s[24:25], s[6:7], s[4:5]
.LBB755_447:
	s_or_b64 exec, exec, s[30:31]
	s_orn2_b64 s[24:25], s[24:25], exec
.LBB755_448:
	s_or_b64 exec, exec, s[28:29]
	v_cndmask_b32_e64 v12, v18, v19, s[24:25]
	v_cndmask_b32_e64 v13, v100, v99, s[24:25]
	v_add_u32_e32 v16, 1, v12
	v_add_u32_e32 v12, -1, v13
	v_min_u32_e32 v12, v16, v12
	v_mov_b32_e32 v13, 0
	v_lshl_add_u64 v[14:15], v[12:13], 3, v[54:55]
	flat_load_dwordx2 v[14:15], v[14:15]
	v_cndmask_b32_e64 v66, v16, v18, s[24:25]
	s_mov_b64 s[28:29], -1
	v_cndmask_b32_e64 v67, v19, v16, s[24:25]
	v_cmp_lt_u32_e64 s[4:5], v66, v100
	s_mov_b64 s[30:31], -1
	s_waitcnt vmcnt(0) lgkmcnt(0)
	v_cndmask_b32_e64 v96, v15, v84, s[24:25]
	v_cndmask_b32_e64 v97, v14, v85, s[24:25]
	v_cndmask_b32_e64 v101, v86, v15, s[24:25]
	v_cndmask_b32_e64 v102, v87, v14, s[24:25]
	s_and_saveexec_b64 s[34:35], s[4:5]
	s_cbranch_execz .LBB755_456
; %bb.449:
	v_cmp_lt_u32_e64 s[30:31], v67, v99
	s_xor_b64 s[4:5], s[0:1], -1
	s_and_b64 s[4:5], s[30:31], s[4:5]
	s_and_saveexec_b64 s[36:37], s[4:5]
	s_cbranch_execz .LBB755_455
; %bb.450:
	v_mul_lo_u32 v12, v101, v6
	v_mul_lo_u32 v16, v102, v7
	v_mad_u64_u32 v[14:15], s[4:5], v102, v6, 0
	v_add3_u32 v15, v15, v16, v12
	v_mul_lo_u32 v12, v96, v6
	v_mul_lo_u32 v18, v97, v7
	v_mad_u64_u32 v[16:17], s[4:5], v97, v6, 0
	v_add3_u32 v17, v17, v18, v12
	v_lshl_add_u64 v[14:15], v[14:15], 3, v[8:9]
	v_lshl_add_u64 v[16:17], v[16:17], 3, v[8:9]
	s_mov_b64 s[38:39], 0
	v_mov_b64_e32 v[18:19], v[6:7]
                                        ; implicit-def: $sgpr40_sgpr41
                                        ; implicit-def: $sgpr42_sgpr43
                                        ; implicit-def: $sgpr6_sgpr7
                                        ; implicit-def: $sgpr44_sgpr45
                                        ; implicit-def: $sgpr46_sgpr47
	s_branch .LBB755_452
.LBB755_451:                            ;   in Loop: Header=BB755_452 Depth=1
	s_or_b64 exec, exec, s[48:49]
	s_and_b64 s[4:5], exec, s[42:43]
	s_or_b64 s[38:39], s[4:5], s[38:39]
	s_andn2_b64 s[4:5], s[46:47], exec
	s_and_b64 s[10:11], s[44:45], exec
	s_or_b64 s[46:47], s[4:5], s[10:11]
	s_andn2_b64 s[4:5], s[40:41], exec
	s_and_b64 s[10:11], s[6:7], exec
	s_or_b64 s[40:41], s[4:5], s[10:11]
	s_andn2_b64 exec, exec, s[38:39]
	s_cbranch_execz .LBB755_454
.LBB755_452:                            ; =>This Inner Loop Header: Depth=1
	flat_load_dwordx2 v[112:113], v[16:17]
	flat_load_dwordx2 v[114:115], v[14:15]
	s_andn2_b64 s[48:49], s[6:7], exec
	s_andn2_b64 s[44:45], s[44:45], exec
	s_or_b64 s[42:43], s[42:43], exec
	s_waitcnt vmcnt(0) lgkmcnt(0)
	v_cmp_ngt_f64_e64 s[6:7], v[112:113], v[114:115]
	v_cmp_lt_f64_e64 s[4:5], v[112:113], v[114:115]
	s_and_b64 s[6:7], s[6:7], s[46:47]
	s_or_b64 s[50:51], s[4:5], s[6:7]
	s_and_b64 s[4:5], s[50:51], exec
	v_cmp_nlg_f64_e64 s[10:11], v[112:113], v[114:115]
	s_or_b64 s[6:7], s[48:49], s[4:5]
	s_and_saveexec_b64 s[48:49], s[10:11]
	s_cbranch_execz .LBB755_451
; %bb.453:                              ;   in Loop: Header=BB755_452 Depth=1
	v_lshl_add_u64 v[18:19], v[18:19], 0, -1
	v_cmp_eq_u64_e64 s[4:5], 0, v[18:19]
	s_andn2_b64 s[10:11], s[44:45], exec
	s_and_b64 s[44:45], s[50:51], exec
	s_or_b64 s[44:45], s[10:11], s[44:45]
	s_andn2_b64 s[10:11], s[42:43], exec
	s_and_b64 s[4:5], s[4:5], exec
	v_lshl_add_u64 v[14:15], v[14:15], 0, 8
	v_lshl_add_u64 v[16:17], v[16:17], 0, 8
	s_andn2_b64 s[6:7], s[6:7], exec
	s_or_b64 s[42:43], s[10:11], s[4:5]
                                        ; implicit-def: $sgpr46_sgpr47
	s_branch .LBB755_451
.LBB755_454:
	s_or_b64 exec, exec, s[38:39]
	s_xor_b64 s[4:5], s[40:41], -1
	s_andn2_b64 s[6:7], s[30:31], exec
	s_and_b64 s[4:5], s[4:5], exec
	s_or_b64 s[30:31], s[6:7], s[4:5]
.LBB755_455:
	s_or_b64 exec, exec, s[36:37]
	s_orn2_b64 s[30:31], s[30:31], exec
.LBB755_456:
	s_or_b64 exec, exec, s[34:35]
	v_cndmask_b32_e64 v12, v66, v67, s[30:31]
	v_cndmask_b32_e64 v14, v100, v99, s[30:31]
	v_add_u32_e32 v15, 1, v12
	v_add_u32_e32 v12, -1, v14
	v_min_u32_e32 v12, v15, v12
	v_lshl_add_u64 v[12:13], v[12:13], 3, v[54:55]
	flat_load_dwordx2 v[12:13], v[12:13]
	v_cndmask_b32_e64 v114, v15, v66, s[30:31]
	v_cndmask_b32_e64 v103, v67, v15, s[30:31]
	v_cmp_lt_u32_e64 s[4:5], v114, v100
	s_waitcnt vmcnt(0) lgkmcnt(0)
	v_cndmask_b32_e64 v112, v13, v96, s[30:31]
	v_cndmask_b32_e64 v113, v12, v97, s[30:31]
	;; [unrolled: 1-line block ×4, first 2 shown]
	s_and_saveexec_b64 s[34:35], s[4:5]
	s_cbranch_execz .LBB755_464
; %bb.457:
	v_cmp_lt_u32_e64 s[28:29], v103, v99
	s_xor_b64 s[4:5], s[0:1], -1
	s_and_b64 s[4:5], s[28:29], s[4:5]
	s_and_saveexec_b64 s[36:37], s[4:5]
	s_cbranch_execz .LBB755_463
; %bb.458:
	v_mul_lo_u32 v14, v115, v6
	v_mul_lo_u32 v15, v116, v7
	v_mad_u64_u32 v[12:13], s[4:5], v116, v6, 0
	v_add3_u32 v13, v13, v15, v14
	v_mul_lo_u32 v16, v112, v6
	v_mul_lo_u32 v17, v113, v7
	v_mad_u64_u32 v[14:15], s[4:5], v113, v6, 0
	v_add3_u32 v15, v15, v17, v16
	v_lshl_add_u64 v[12:13], v[12:13], 3, v[8:9]
	v_lshl_add_u64 v[14:15], v[14:15], 3, v[8:9]
	s_mov_b64 s[38:39], 0
	v_mov_b64_e32 v[16:17], v[6:7]
                                        ; implicit-def: $sgpr40_sgpr41
                                        ; implicit-def: $sgpr42_sgpr43
                                        ; implicit-def: $sgpr6_sgpr7
                                        ; implicit-def: $sgpr44_sgpr45
                                        ; implicit-def: $sgpr46_sgpr47
	s_branch .LBB755_460
.LBB755_459:                            ;   in Loop: Header=BB755_460 Depth=1
	s_or_b64 exec, exec, s[48:49]
	s_and_b64 s[4:5], exec, s[42:43]
	s_or_b64 s[38:39], s[4:5], s[38:39]
	s_andn2_b64 s[4:5], s[46:47], exec
	s_and_b64 s[10:11], s[44:45], exec
	s_or_b64 s[46:47], s[4:5], s[10:11]
	s_andn2_b64 s[4:5], s[40:41], exec
	s_and_b64 s[10:11], s[6:7], exec
	s_or_b64 s[40:41], s[4:5], s[10:11]
	s_andn2_b64 exec, exec, s[38:39]
	s_cbranch_execz .LBB755_462
.LBB755_460:                            ; =>This Inner Loop Header: Depth=1
	flat_load_dwordx2 v[18:19], v[14:15]
	flat_load_dwordx2 v[66:67], v[12:13]
	s_andn2_b64 s[48:49], s[6:7], exec
	s_andn2_b64 s[44:45], s[44:45], exec
	s_or_b64 s[42:43], s[42:43], exec
	s_waitcnt vmcnt(0) lgkmcnt(0)
	v_cmp_ngt_f64_e64 s[6:7], v[18:19], v[66:67]
	v_cmp_lt_f64_e64 s[4:5], v[18:19], v[66:67]
	s_and_b64 s[6:7], s[6:7], s[46:47]
	s_or_b64 s[50:51], s[4:5], s[6:7]
	s_and_b64 s[4:5], s[50:51], exec
	v_cmp_nlg_f64_e64 s[10:11], v[18:19], v[66:67]
	s_or_b64 s[6:7], s[48:49], s[4:5]
	s_and_saveexec_b64 s[48:49], s[10:11]
	s_cbranch_execz .LBB755_459
; %bb.461:                              ;   in Loop: Header=BB755_460 Depth=1
	v_lshl_add_u64 v[16:17], v[16:17], 0, -1
	v_cmp_eq_u64_e64 s[4:5], 0, v[16:17]
	s_andn2_b64 s[10:11], s[44:45], exec
	s_and_b64 s[44:45], s[50:51], exec
	s_or_b64 s[44:45], s[10:11], s[44:45]
	s_andn2_b64 s[10:11], s[42:43], exec
	s_and_b64 s[4:5], s[4:5], exec
	v_lshl_add_u64 v[12:13], v[12:13], 0, 8
	v_lshl_add_u64 v[14:15], v[14:15], 0, 8
	s_andn2_b64 s[6:7], s[6:7], exec
	s_or_b64 s[42:43], s[10:11], s[4:5]
                                        ; implicit-def: $sgpr46_sgpr47
	s_branch .LBB755_459
.LBB755_462:
	s_or_b64 exec, exec, s[38:39]
	s_xor_b64 s[4:5], s[40:41], -1
	s_andn2_b64 s[6:7], s[28:29], exec
	s_and_b64 s[4:5], s[4:5], exec
	s_or_b64 s[28:29], s[6:7], s[4:5]
.LBB755_463:
	s_or_b64 exec, exec, s[36:37]
	s_orn2_b64 s[28:29], s[28:29], exec
.LBB755_464:
	s_or_b64 exec, exec, s[34:35]
	v_cndmask_b32_e64 v12, v114, v103, s[28:29]
	v_cndmask_b32_e64 v13, v100, v99, s[28:29]
	v_add_u32_e32 v117, 1, v12
	v_add_u32_e32 v12, -1, v13
	v_min_u32_e32 v12, v117, v12
	v_mov_b32_e32 v13, 0
	v_lshl_add_u64 v[12:13], v[12:13], 3, v[54:55]
	flat_load_dwordx2 v[66:67], v[12:13]
	v_cndmask_b32_e64 v17, v23, v70, s[20:21]
	v_cndmask_b32_e64 v23, v20, v22, s[22:23]
	;; [unrolled: 1-line block ×15, first 2 shown]
	v_cmp_lt_u32_e64 s[4:5], v68, v100
	s_waitcnt vmcnt(0) lgkmcnt(0)
	v_cndmask_b32_e64 v3, v115, v67, s[28:29]
	v_cndmask_b32_e64 v2, v116, v66, s[28:29]
	s_and_saveexec_b64 s[18:19], s[4:5]
	s_cbranch_execz .LBB755_472
; %bb.465:
	v_cndmask_b32_e64 v81, v66, v113, s[28:29]
	v_cndmask_b32_e64 v66, v103, v117, s[28:29]
	v_cmp_ge_u32_e64 s[4:5], v66, v99
	v_cndmask_b32_e64 v80, v67, v112, s[28:29]
	s_or_b64 s[6:7], s[4:5], s[0:1]
	v_cndmask_b32_e64 v67, v3, v80, s[4:5]
	s_xor_b64 s[6:7], s[6:7], -1
	v_cndmask_b32_e64 v66, v2, v81, s[4:5]
	s_and_saveexec_b64 s[20:21], s[6:7]
	s_cbranch_execz .LBB755_471
; %bb.466:
	v_mul_lo_u32 v68, v3, v6
	v_mul_lo_u32 v69, v2, v7
	v_mad_u64_u32 v[66:67], s[4:5], v2, v6, 0
	v_add3_u32 v67, v67, v69, v68
	v_mul_lo_u32 v70, v80, v6
	v_mul_lo_u32 v71, v81, v7
	v_mad_u64_u32 v[68:69], s[4:5], v81, v6, 0
	v_add3_u32 v69, v69, v71, v70
	v_lshl_add_u64 v[66:67], v[66:67], 3, v[8:9]
	v_lshl_add_u64 v[68:69], v[68:69], 3, v[8:9]
	s_mov_b64 s[22:23], 0
	v_mov_b64_e32 v[70:71], v[6:7]
                                        ; implicit-def: $sgpr24_sgpr25
                                        ; implicit-def: $sgpr26_sgpr27
                                        ; implicit-def: $sgpr6_sgpr7
                                        ; implicit-def: $sgpr28_sgpr29
                                        ; implicit-def: $sgpr30_sgpr31
	s_branch .LBB755_468
.LBB755_467:                            ;   in Loop: Header=BB755_468 Depth=1
	s_or_b64 exec, exec, s[34:35]
	s_and_b64 s[4:5], exec, s[26:27]
	s_or_b64 s[22:23], s[4:5], s[22:23]
	s_andn2_b64 s[4:5], s[30:31], exec
	s_and_b64 s[10:11], s[28:29], exec
	s_or_b64 s[30:31], s[4:5], s[10:11]
	s_andn2_b64 s[4:5], s[24:25], exec
	s_and_b64 s[10:11], s[6:7], exec
	s_or_b64 s[24:25], s[4:5], s[10:11]
	s_andn2_b64 exec, exec, s[22:23]
	s_cbranch_execz .LBB755_470
.LBB755_468:                            ; =>This Inner Loop Header: Depth=1
	flat_load_dwordx2 v[82:83], v[68:69]
	flat_load_dwordx2 v[84:85], v[66:67]
	s_andn2_b64 s[34:35], s[6:7], exec
	s_andn2_b64 s[28:29], s[28:29], exec
	s_or_b64 s[26:27], s[26:27], exec
	s_waitcnt vmcnt(0) lgkmcnt(0)
	v_cmp_ngt_f64_e64 s[6:7], v[82:83], v[84:85]
	v_cmp_lt_f64_e64 s[4:5], v[82:83], v[84:85]
	s_and_b64 s[6:7], s[6:7], s[30:31]
	s_or_b64 s[36:37], s[4:5], s[6:7]
	s_and_b64 s[4:5], s[36:37], exec
	v_cmp_nlg_f64_e64 s[10:11], v[82:83], v[84:85]
	s_or_b64 s[6:7], s[34:35], s[4:5]
	s_and_saveexec_b64 s[34:35], s[10:11]
	s_cbranch_execz .LBB755_467
; %bb.469:                              ;   in Loop: Header=BB755_468 Depth=1
	v_lshl_add_u64 v[70:71], v[70:71], 0, -1
	v_cmp_eq_u64_e64 s[4:5], 0, v[70:71]
	s_andn2_b64 s[10:11], s[28:29], exec
	s_and_b64 s[28:29], s[36:37], exec
	s_or_b64 s[28:29], s[10:11], s[28:29]
	s_andn2_b64 s[10:11], s[26:27], exec
	s_and_b64 s[4:5], s[4:5], exec
	v_lshl_add_u64 v[66:67], v[66:67], 0, 8
	v_lshl_add_u64 v[68:69], v[68:69], 0, 8
	s_andn2_b64 s[6:7], s[6:7], exec
	s_or_b64 s[26:27], s[10:11], s[4:5]
                                        ; implicit-def: $sgpr30_sgpr31
	s_branch .LBB755_467
.LBB755_470:
	s_or_b64 exec, exec, s[22:23]
	v_cndmask_b32_e64 v67, v3, v80, s[24:25]
	v_cndmask_b32_e64 v66, v2, v81, s[24:25]
.LBB755_471:
	s_or_b64 exec, exec, s[20:21]
	v_mov_b64_e32 v[2:3], v[66:67]
.LBB755_472:
	s_or_b64 exec, exec, s[18:19]
.LBB755_473:
	s_or_b64 exec, exec, s[16:17]
	v_and_b32_e32 v99, 0x380, v98
	; wave barrier
	flat_store_dwordx4 v[64:65], v[20:23]
	flat_store_dwordx4 v[64:65], v[16:19] offset:16
	flat_store_dwordx4 v[64:65], v[12:15] offset:32
	;; [unrolled: 1-line block ×3, first 2 shown]
	v_or_b32_e32 v64, 64, v99
	v_min_u32_e32 v96, v31, v64
	v_add_u32_e32 v64, 64, v96
	v_min_u32_e32 v97, v31, v64
	v_and_b32_e32 v64, 0x78, v98
	v_min_u32_e32 v31, v31, v64
	v_sub_u32_e32 v64, v96, v99
	v_sub_u32_e32 v65, v97, v96
	v_sub_u32_e64 v98, v31, v65 clamp
	v_min_u32_e32 v100, v31, v64
	v_cmp_lt_u32_e64 s[4:5], v98, v100
	; wave barrier
	s_and_saveexec_b64 s[16:17], s[4:5]
	s_cbranch_execz .LBB755_483
; %bb.474:
	v_lshlrev_b32_e32 v64, 3, v99
	v_mov_b32_e32 v65, 0
	v_lshl_add_u64 v[66:67], v[54:55], 0, v[64:65]
	v_lshlrev_b32_e32 v64, 3, v96
	v_lshl_add_u64 v[68:69], v[54:55], 0, v[64:65]
	v_lshlrev_b64 v[70:71], 3, v[6:7]
	s_mov_b64 s[18:19], 0
	s_branch .LBB755_477
.LBB755_475:                            ;   in Loop: Header=BB755_477 Depth=1
	s_or_b64 exec, exec, s[22:23]
	s_and_b64 s[4:5], s[24:25], exec
.LBB755_476:                            ;   in Loop: Header=BB755_477 Depth=1
	s_or_b64 exec, exec, s[20:21]
	v_add_u32_e32 v64, 1, v80
	v_cndmask_b32_e64 v100, v100, v80, s[4:5]
	v_cndmask_b32_e64 v98, v64, v98, s[4:5]
	v_cmp_ge_u32_e64 s[4:5], v98, v100
	s_or_b64 s[18:19], s[4:5], s[18:19]
	s_andn2_b64 exec, exec, s[18:19]
	s_cbranch_execz .LBB755_482
.LBB755_477:                            ; =>This Loop Header: Depth=1
                                        ;     Child Loop BB755_480 Depth 2
	v_add_u32_e32 v64, v100, v98
	v_lshrrev_b32_e32 v80, 1, v64
	s_mov_b64 s[4:5], 0
	s_and_saveexec_b64 s[20:21], vcc
	s_cbranch_execz .LBB755_476
; %bb.478:                              ;   in Loop: Header=BB755_477 Depth=1
	v_mov_b32_e32 v81, v65
	v_xad_u32 v64, v80, -1, v31
	v_lshl_add_u64 v[82:83], v[80:81], 3, v[66:67]
	v_lshl_add_u64 v[84:85], v[64:65], 3, v[68:69]
	flat_load_dwordx2 v[82:83], v[82:83]
	s_mov_b64 s[22:23], 0
	flat_load_dwordx2 v[84:85], v[84:85]
                                        ; implicit-def: $sgpr24_sgpr25
                                        ; implicit-def: $sgpr26_sgpr27
                                        ; implicit-def: $sgpr28_sgpr29
                                        ; implicit-def: $sgpr6_sgpr7
                                        ; implicit-def: $sgpr30_sgpr31
	s_waitcnt vmcnt(0) lgkmcnt(0)
	v_mul_lo_u32 v64, v70, v83
	v_mul_lo_u32 v81, v71, v82
	v_mad_u64_u32 v[82:83], s[4:5], v70, v82, v[8:9]
	v_mul_lo_u32 v86, v70, v85
	v_mul_lo_u32 v87, v71, v84
	v_mad_u64_u32 v[84:85], s[4:5], v70, v84, v[8:9]
	v_add3_u32 v83, v81, v83, v64
	v_add3_u32 v85, v87, v85, v86
	v_mov_b64_e32 v[86:87], v[6:7]
	s_branch .LBB755_480
.LBB755_479:                            ;   in Loop: Header=BB755_480 Depth=2
	s_or_b64 exec, exec, s[34:35]
	s_and_b64 s[4:5], exec, s[26:27]
	s_or_b64 s[22:23], s[4:5], s[22:23]
	s_andn2_b64 s[4:5], s[30:31], exec
	s_and_b64 s[10:11], s[28:29], exec
	s_or_b64 s[30:31], s[4:5], s[10:11]
	s_andn2_b64 s[4:5], s[24:25], exec
	s_and_b64 s[10:11], s[6:7], exec
	s_or_b64 s[24:25], s[4:5], s[10:11]
	s_andn2_b64 exec, exec, s[22:23]
	s_cbranch_execz .LBB755_475
.LBB755_480:                            ;   Parent Loop BB755_477 Depth=1
                                        ; =>  This Inner Loop Header: Depth=2
	flat_load_dwordx2 v[102:103], v[84:85]
	flat_load_dwordx2 v[112:113], v[82:83]
	s_andn2_b64 s[34:35], s[6:7], exec
	s_andn2_b64 s[28:29], s[28:29], exec
	s_or_b64 s[26:27], s[26:27], exec
	s_waitcnt vmcnt(0) lgkmcnt(0)
	v_cmp_ngt_f64_e64 s[6:7], v[102:103], v[112:113]
	v_cmp_lt_f64_e64 s[4:5], v[102:103], v[112:113]
	s_and_b64 s[6:7], s[6:7], s[30:31]
	s_or_b64 s[36:37], s[4:5], s[6:7]
	s_and_b64 s[4:5], s[36:37], exec
	v_cmp_nlg_f64_e64 s[10:11], v[102:103], v[112:113]
	s_or_b64 s[6:7], s[34:35], s[4:5]
	s_and_saveexec_b64 s[34:35], s[10:11]
	s_cbranch_execz .LBB755_479
; %bb.481:                              ;   in Loop: Header=BB755_480 Depth=2
	v_lshl_add_u64 v[86:87], v[86:87], 0, -1
	v_cmp_eq_u64_e64 s[4:5], 0, v[86:87]
	s_andn2_b64 s[10:11], s[28:29], exec
	s_and_b64 s[28:29], s[36:37], exec
	s_or_b64 s[28:29], s[10:11], s[28:29]
	s_andn2_b64 s[10:11], s[26:27], exec
	s_and_b64 s[4:5], s[4:5], exec
	v_lshl_add_u64 v[82:83], v[82:83], 0, 8
	v_lshl_add_u64 v[84:85], v[84:85], 0, 8
	s_andn2_b64 s[6:7], s[6:7], exec
	s_or_b64 s[26:27], s[10:11], s[4:5]
                                        ; implicit-def: $sgpr30_sgpr31
	s_branch .LBB755_479
.LBB755_482:
	s_or_b64 exec, exec, s[18:19]
.LBB755_483:
	s_or_b64 exec, exec, s[16:17]
	v_add_u32_e32 v31, v96, v31
	v_add_u32_e32 v64, v98, v99
	v_sub_u32_e32 v66, v31, v98
	v_cmp_le_u32_e64 s[4:5], v64, v96
	v_cmp_le_u32_e64 s[6:7], v66, v97
	s_or_b64 s[4:5], s[4:5], s[6:7]
	s_and_saveexec_b64 s[16:17], s[4:5]
	s_cbranch_execz .LBB755_555
; %bb.484:
	v_cmp_ge_u32_e64 s[4:5], v64, v96
	v_cmp_lt_u32_e64 s[6:7], v64, v96
                                        ; implicit-def: $vgpr0_vgpr1
	s_and_saveexec_b64 s[10:11], s[6:7]
	s_cbranch_execz .LBB755_486
; %bb.485:
	v_mov_b32_e32 v65, 0
	v_lshl_add_u64 v[0:1], v[64:65], 3, v[54:55]
	flat_load_dwordx2 v[0:1], v[0:1]
.LBB755_486:
	s_or_b64 exec, exec, s[10:11]
	v_cmp_ge_u32_e64 s[18:19], v66, v97
	v_cmp_lt_u32_e64 s[6:7], v66, v97
                                        ; implicit-def: $vgpr2_vgpr3
	s_and_saveexec_b64 s[10:11], s[6:7]
	s_cbranch_execz .LBB755_488
; %bb.487:
	v_mov_b32_e32 v67, 0
	v_lshl_add_u64 v[2:3], v[66:67], 3, v[54:55]
	flat_load_dwordx2 v[2:3], v[2:3]
.LBB755_488:
	s_or_b64 exec, exec, s[10:11]
	s_or_b64 s[4:5], s[4:5], s[18:19]
	s_xor_b64 s[4:5], s[4:5], -1
	s_and_saveexec_b64 s[20:21], s[4:5]
	s_cbranch_execz .LBB755_496
; %bb.489:
	s_mov_b64 s[4:5], 0
	s_and_saveexec_b64 s[22:23], s[2:3]
	s_cbranch_execz .LBB755_495
; %bb.490:
	s_waitcnt vmcnt(0) lgkmcnt(0)
	v_mul_lo_u32 v14, v1, v6
	v_mul_lo_u32 v15, v0, v7
	v_mad_u64_u32 v[12:13], s[4:5], v0, v6, 0
	v_add3_u32 v13, v13, v15, v14
	v_mul_lo_u32 v16, v3, v6
	v_mul_lo_u32 v17, v2, v7
	v_mad_u64_u32 v[14:15], s[4:5], v2, v6, 0
	v_add3_u32 v15, v15, v17, v16
	v_lshl_add_u64 v[12:13], v[12:13], 3, v[8:9]
	v_lshl_add_u64 v[14:15], v[14:15], 3, v[8:9]
	s_mov_b64 s[24:25], 0
	v_mov_b64_e32 v[16:17], v[6:7]
                                        ; implicit-def: $sgpr26_sgpr27
                                        ; implicit-def: $sgpr28_sgpr29
                                        ; implicit-def: $sgpr30_sgpr31
                                        ; implicit-def: $sgpr6_sgpr7
                                        ; implicit-def: $sgpr34_sgpr35
	s_branch .LBB755_492
.LBB755_491:                            ;   in Loop: Header=BB755_492 Depth=1
	s_or_b64 exec, exec, s[36:37]
	s_and_b64 s[4:5], exec, s[28:29]
	s_or_b64 s[24:25], s[4:5], s[24:25]
	s_andn2_b64 s[4:5], s[34:35], exec
	s_and_b64 s[10:11], s[30:31], exec
	s_or_b64 s[34:35], s[4:5], s[10:11]
	s_andn2_b64 s[4:5], s[26:27], exec
	s_and_b64 s[10:11], s[6:7], exec
	s_or_b64 s[26:27], s[4:5], s[10:11]
	s_andn2_b64 exec, exec, s[24:25]
	s_cbranch_execz .LBB755_494
.LBB755_492:                            ; =>This Inner Loop Header: Depth=1
	flat_load_dwordx2 v[18:19], v[14:15]
	flat_load_dwordx2 v[20:21], v[12:13]
	s_andn2_b64 s[36:37], s[6:7], exec
	s_andn2_b64 s[30:31], s[30:31], exec
	s_or_b64 s[28:29], s[28:29], exec
	s_waitcnt vmcnt(0) lgkmcnt(0)
	v_cmp_ngt_f64_e64 s[6:7], v[18:19], v[20:21]
	v_cmp_lt_f64_e64 s[4:5], v[18:19], v[20:21]
	s_and_b64 s[6:7], s[6:7], s[34:35]
	s_or_b64 s[38:39], s[4:5], s[6:7]
	s_and_b64 s[4:5], s[38:39], exec
	v_cmp_nlg_f64_e64 s[10:11], v[18:19], v[20:21]
	s_or_b64 s[6:7], s[36:37], s[4:5]
	s_and_saveexec_b64 s[36:37], s[10:11]
	s_cbranch_execz .LBB755_491
; %bb.493:                              ;   in Loop: Header=BB755_492 Depth=1
	v_lshl_add_u64 v[16:17], v[16:17], 0, -1
	v_cmp_eq_u64_e64 s[4:5], 0, v[16:17]
	s_andn2_b64 s[10:11], s[30:31], exec
	s_and_b64 s[30:31], s[38:39], exec
	s_or_b64 s[30:31], s[10:11], s[30:31]
	s_andn2_b64 s[10:11], s[28:29], exec
	s_and_b64 s[4:5], s[4:5], exec
	v_lshl_add_u64 v[12:13], v[12:13], 0, 8
	v_lshl_add_u64 v[14:15], v[14:15], 0, 8
	s_andn2_b64 s[6:7], s[6:7], exec
	s_or_b64 s[28:29], s[10:11], s[4:5]
                                        ; implicit-def: $sgpr34_sgpr35
	s_branch .LBB755_491
.LBB755_494:
	s_or_b64 exec, exec, s[24:25]
	s_and_b64 s[4:5], s[26:27], exec
.LBB755_495:
	s_or_b64 exec, exec, s[22:23]
	s_xor_b64 s[4:5], s[4:5], -1
	s_andn2_b64 s[6:7], s[18:19], exec
	s_and_b64 s[4:5], s[4:5], exec
	s_or_b64 s[18:19], s[6:7], s[4:5]
.LBB755_496:
	s_or_b64 exec, exec, s[20:21]
	v_cndmask_b32_e64 v12, v66, v64, s[18:19]
	v_cndmask_b32_e64 v13, v97, v96, s[18:19]
	v_add_u32_e32 v16, 1, v12
	v_add_u32_e32 v12, -1, v13
	v_min_u32_e32 v12, v16, v12
	v_mov_b32_e32 v13, 0
	v_lshl_add_u64 v[14:15], v[12:13], 3, v[54:55]
	flat_load_dwordx2 v[14:15], v[14:15]
	v_cndmask_b32_e64 v23, v16, v66, s[18:19]
	s_mov_b64 s[20:21], -1
	v_cndmask_b32_e64 v64, v64, v16, s[18:19]
	v_cmp_lt_u32_e64 s[4:5], v23, v97
	s_mov_b64 s[22:23], -1
	s_waitcnt vmcnt(0) lgkmcnt(0)
	v_cndmask_b32_e64 v20, v15, v3, s[18:19]
	v_cndmask_b32_e64 v21, v14, v2, s[18:19]
	;; [unrolled: 1-line block ×4, first 2 shown]
	s_and_saveexec_b64 s[24:25], s[4:5]
	s_cbranch_execz .LBB755_506
; %bb.497:
	v_cmp_lt_u32_e64 s[4:5], v64, v96
	s_mov_b64 s[6:7], 0
	s_and_saveexec_b64 s[22:23], s[4:5]
	s_cbranch_execz .LBB755_505
; %bb.498:
	s_mov_b64 s[4:5], 0
	s_and_saveexec_b64 s[26:27], s[2:3]
	s_cbranch_execz .LBB755_504
; %bb.499:
	v_mul_lo_u32 v12, v22, v6
	v_mul_lo_u32 v16, v31, v7
	v_mad_u64_u32 v[14:15], s[4:5], v31, v6, 0
	v_add3_u32 v15, v15, v16, v12
	v_mul_lo_u32 v12, v20, v6
	v_mul_lo_u32 v18, v21, v7
	v_mad_u64_u32 v[16:17], s[4:5], v21, v6, 0
	v_add3_u32 v17, v17, v18, v12
	v_lshl_add_u64 v[14:15], v[14:15], 3, v[8:9]
	v_lshl_add_u64 v[16:17], v[16:17], 3, v[8:9]
	s_mov_b64 s[28:29], 0
	v_mov_b64_e32 v[18:19], v[6:7]
                                        ; implicit-def: $sgpr30_sgpr31
                                        ; implicit-def: $sgpr34_sgpr35
                                        ; implicit-def: $sgpr36_sgpr37
                                        ; implicit-def: $sgpr6_sgpr7
                                        ; implicit-def: $sgpr38_sgpr39
	s_branch .LBB755_501
.LBB755_500:                            ;   in Loop: Header=BB755_501 Depth=1
	s_or_b64 exec, exec, s[40:41]
	s_and_b64 s[4:5], exec, s[34:35]
	s_or_b64 s[28:29], s[4:5], s[28:29]
	s_andn2_b64 s[4:5], s[38:39], exec
	s_and_b64 s[10:11], s[36:37], exec
	s_or_b64 s[38:39], s[4:5], s[10:11]
	s_andn2_b64 s[4:5], s[30:31], exec
	s_and_b64 s[10:11], s[6:7], exec
	s_or_b64 s[30:31], s[4:5], s[10:11]
	s_andn2_b64 exec, exec, s[28:29]
	s_cbranch_execz .LBB755_503
.LBB755_501:                            ; =>This Inner Loop Header: Depth=1
	flat_load_dwordx2 v[66:67], v[16:17]
	flat_load_dwordx2 v[68:69], v[14:15]
	s_andn2_b64 s[40:41], s[6:7], exec
	s_andn2_b64 s[36:37], s[36:37], exec
	s_or_b64 s[34:35], s[34:35], exec
	s_waitcnt vmcnt(0) lgkmcnt(0)
	v_cmp_ngt_f64_e64 s[6:7], v[66:67], v[68:69]
	v_cmp_lt_f64_e64 s[4:5], v[66:67], v[68:69]
	s_and_b64 s[6:7], s[6:7], s[38:39]
	s_or_b64 s[42:43], s[4:5], s[6:7]
	s_and_b64 s[4:5], s[42:43], exec
	v_cmp_nlg_f64_e64 s[10:11], v[66:67], v[68:69]
	s_or_b64 s[6:7], s[40:41], s[4:5]
	s_and_saveexec_b64 s[40:41], s[10:11]
	s_cbranch_execz .LBB755_500
; %bb.502:                              ;   in Loop: Header=BB755_501 Depth=1
	v_lshl_add_u64 v[18:19], v[18:19], 0, -1
	v_cmp_eq_u64_e64 s[4:5], 0, v[18:19]
	s_andn2_b64 s[10:11], s[36:37], exec
	s_and_b64 s[36:37], s[42:43], exec
	s_or_b64 s[36:37], s[10:11], s[36:37]
	s_andn2_b64 s[10:11], s[34:35], exec
	s_and_b64 s[4:5], s[4:5], exec
	v_lshl_add_u64 v[14:15], v[14:15], 0, 8
	v_lshl_add_u64 v[16:17], v[16:17], 0, 8
	s_andn2_b64 s[6:7], s[6:7], exec
	s_or_b64 s[34:35], s[10:11], s[4:5]
                                        ; implicit-def: $sgpr38_sgpr39
	s_branch .LBB755_500
.LBB755_503:
	s_or_b64 exec, exec, s[28:29]
	s_and_b64 s[4:5], s[30:31], exec
.LBB755_504:
	s_or_b64 exec, exec, s[26:27]
	s_xor_b64 s[4:5], s[4:5], -1
	s_and_b64 s[6:7], s[4:5], exec
.LBB755_505:
	s_or_b64 exec, exec, s[22:23]
	s_orn2_b64 s[22:23], s[6:7], exec
.LBB755_506:
	s_or_b64 exec, exec, s[24:25]
	v_cndmask_b32_e64 v12, v23, v64, s[22:23]
	v_cndmask_b32_e64 v14, v97, v96, s[22:23]
	v_add_u32_e32 v15, 1, v12
	v_add_u32_e32 v12, -1, v14
	v_min_u32_e32 v12, v15, v12
	v_lshl_add_u64 v[12:13], v[12:13], 3, v[54:55]
	flat_load_dwordx2 v[12:13], v[12:13]
	v_cndmask_b32_e64 v18, v15, v23, s[22:23]
	v_cndmask_b32_e64 v19, v64, v15, s[22:23]
	v_cmp_lt_u32_e64 s[4:5], v18, v97
	s_waitcnt vmcnt(0) lgkmcnt(0)
	v_cndmask_b32_e64 v23, v13, v20, s[22:23]
	v_cndmask_b32_e64 v64, v12, v21, s[22:23]
	;; [unrolled: 1-line block ×4, first 2 shown]
	s_and_saveexec_b64 s[24:25], s[4:5]
	s_cbranch_execz .LBB755_514
; %bb.507:
	v_cmp_lt_u32_e64 s[20:21], v19, v96
	s_xor_b64 s[4:5], s[0:1], -1
	s_and_b64 s[4:5], s[20:21], s[4:5]
	s_and_saveexec_b64 s[26:27], s[4:5]
	s_cbranch_execz .LBB755_513
; %bb.508:
	v_mul_lo_u32 v14, v65, v6
	v_mul_lo_u32 v15, v66, v7
	v_mad_u64_u32 v[12:13], s[4:5], v66, v6, 0
	v_add3_u32 v13, v13, v15, v14
	v_mul_lo_u32 v16, v23, v6
	v_mul_lo_u32 v17, v64, v7
	v_mad_u64_u32 v[14:15], s[4:5], v64, v6, 0
	v_add3_u32 v15, v15, v17, v16
	v_lshl_add_u64 v[12:13], v[12:13], 3, v[8:9]
	v_lshl_add_u64 v[14:15], v[14:15], 3, v[8:9]
	s_mov_b64 s[28:29], 0
	v_mov_b64_e32 v[16:17], v[6:7]
                                        ; implicit-def: $sgpr30_sgpr31
                                        ; implicit-def: $sgpr34_sgpr35
                                        ; implicit-def: $sgpr6_sgpr7
                                        ; implicit-def: $sgpr36_sgpr37
                                        ; implicit-def: $sgpr38_sgpr39
	s_branch .LBB755_510
.LBB755_509:                            ;   in Loop: Header=BB755_510 Depth=1
	s_or_b64 exec, exec, s[40:41]
	s_and_b64 s[4:5], exec, s[34:35]
	s_or_b64 s[28:29], s[4:5], s[28:29]
	s_andn2_b64 s[4:5], s[38:39], exec
	s_and_b64 s[10:11], s[36:37], exec
	s_or_b64 s[38:39], s[4:5], s[10:11]
	s_andn2_b64 s[4:5], s[30:31], exec
	s_and_b64 s[10:11], s[6:7], exec
	s_or_b64 s[30:31], s[4:5], s[10:11]
	s_andn2_b64 exec, exec, s[28:29]
	s_cbranch_execz .LBB755_512
.LBB755_510:                            ; =>This Inner Loop Header: Depth=1
	flat_load_dwordx2 v[68:69], v[14:15]
	flat_load_dwordx2 v[70:71], v[12:13]
	s_andn2_b64 s[40:41], s[6:7], exec
	s_andn2_b64 s[36:37], s[36:37], exec
	s_or_b64 s[34:35], s[34:35], exec
	s_waitcnt vmcnt(0) lgkmcnt(0)
	v_cmp_ngt_f64_e64 s[6:7], v[68:69], v[70:71]
	v_cmp_lt_f64_e64 s[4:5], v[68:69], v[70:71]
	s_and_b64 s[6:7], s[6:7], s[38:39]
	s_or_b64 s[42:43], s[4:5], s[6:7]
	s_and_b64 s[4:5], s[42:43], exec
	v_cmp_nlg_f64_e64 s[10:11], v[68:69], v[70:71]
	s_or_b64 s[6:7], s[40:41], s[4:5]
	s_and_saveexec_b64 s[40:41], s[10:11]
	s_cbranch_execz .LBB755_509
; %bb.511:                              ;   in Loop: Header=BB755_510 Depth=1
	v_lshl_add_u64 v[16:17], v[16:17], 0, -1
	v_cmp_eq_u64_e64 s[4:5], 0, v[16:17]
	s_andn2_b64 s[10:11], s[36:37], exec
	s_and_b64 s[36:37], s[42:43], exec
	s_or_b64 s[36:37], s[10:11], s[36:37]
	s_andn2_b64 s[10:11], s[34:35], exec
	s_and_b64 s[4:5], s[4:5], exec
	v_lshl_add_u64 v[12:13], v[12:13], 0, 8
	v_lshl_add_u64 v[14:15], v[14:15], 0, 8
	s_andn2_b64 s[6:7], s[6:7], exec
	s_or_b64 s[34:35], s[10:11], s[4:5]
                                        ; implicit-def: $sgpr38_sgpr39
	s_branch .LBB755_509
.LBB755_512:
	s_or_b64 exec, exec, s[28:29]
	s_xor_b64 s[4:5], s[30:31], -1
	s_andn2_b64 s[6:7], s[20:21], exec
	s_and_b64 s[4:5], s[4:5], exec
	s_or_b64 s[20:21], s[6:7], s[4:5]
.LBB755_513:
	s_or_b64 exec, exec, s[26:27]
	s_orn2_b64 s[20:21], s[20:21], exec
.LBB755_514:
	s_or_b64 exec, exec, s[24:25]
	v_cndmask_b32_e64 v12, v18, v19, s[20:21]
	v_cndmask_b32_e64 v13, v97, v96, s[20:21]
	v_add_u32_e32 v16, 1, v12
	v_add_u32_e32 v12, -1, v13
	v_min_u32_e32 v12, v16, v12
	v_mov_b32_e32 v13, 0
	v_lshl_add_u64 v[14:15], v[12:13], 3, v[54:55]
	flat_load_dwordx2 v[14:15], v[14:15]
	v_cndmask_b32_e64 v71, v16, v18, s[20:21]
	s_mov_b64 s[24:25], -1
	v_cndmask_b32_e64 v80, v19, v16, s[20:21]
	v_cmp_lt_u32_e64 s[4:5], v71, v97
	s_mov_b64 s[26:27], -1
	s_waitcnt vmcnt(0) lgkmcnt(0)
	v_cndmask_b32_e64 v67, v15, v23, s[20:21]
	v_cndmask_b32_e64 v68, v14, v64, s[20:21]
	;; [unrolled: 1-line block ×4, first 2 shown]
	s_and_saveexec_b64 s[28:29], s[4:5]
	s_cbranch_execz .LBB755_522
; %bb.515:
	v_cmp_lt_u32_e64 s[26:27], v80, v96
	s_xor_b64 s[4:5], s[0:1], -1
	s_and_b64 s[4:5], s[26:27], s[4:5]
	s_and_saveexec_b64 s[30:31], s[4:5]
	s_cbranch_execz .LBB755_521
; %bb.516:
	v_mul_lo_u32 v12, v69, v6
	v_mul_lo_u32 v16, v70, v7
	v_mad_u64_u32 v[14:15], s[4:5], v70, v6, 0
	v_add3_u32 v15, v15, v16, v12
	v_mul_lo_u32 v12, v67, v6
	v_mul_lo_u32 v18, v68, v7
	v_mad_u64_u32 v[16:17], s[4:5], v68, v6, 0
	v_add3_u32 v17, v17, v18, v12
	v_lshl_add_u64 v[14:15], v[14:15], 3, v[8:9]
	v_lshl_add_u64 v[16:17], v[16:17], 3, v[8:9]
	s_mov_b64 s[34:35], 0
	v_mov_b64_e32 v[18:19], v[6:7]
                                        ; implicit-def: $sgpr36_sgpr37
                                        ; implicit-def: $sgpr38_sgpr39
                                        ; implicit-def: $sgpr6_sgpr7
                                        ; implicit-def: $sgpr40_sgpr41
                                        ; implicit-def: $sgpr42_sgpr43
	s_branch .LBB755_518
.LBB755_517:                            ;   in Loop: Header=BB755_518 Depth=1
	s_or_b64 exec, exec, s[44:45]
	s_and_b64 s[4:5], exec, s[38:39]
	s_or_b64 s[34:35], s[4:5], s[34:35]
	s_andn2_b64 s[4:5], s[42:43], exec
	s_and_b64 s[10:11], s[40:41], exec
	s_or_b64 s[42:43], s[4:5], s[10:11]
	s_andn2_b64 s[4:5], s[36:37], exec
	s_and_b64 s[10:11], s[6:7], exec
	s_or_b64 s[36:37], s[4:5], s[10:11]
	s_andn2_b64 exec, exec, s[34:35]
	s_cbranch_execz .LBB755_520
.LBB755_518:                            ; =>This Inner Loop Header: Depth=1
	flat_load_dwordx2 v[82:83], v[16:17]
	flat_load_dwordx2 v[84:85], v[14:15]
	s_andn2_b64 s[44:45], s[6:7], exec
	s_andn2_b64 s[40:41], s[40:41], exec
	s_or_b64 s[38:39], s[38:39], exec
	s_waitcnt vmcnt(0) lgkmcnt(0)
	v_cmp_ngt_f64_e64 s[6:7], v[82:83], v[84:85]
	v_cmp_lt_f64_e64 s[4:5], v[82:83], v[84:85]
	s_and_b64 s[6:7], s[6:7], s[42:43]
	s_or_b64 s[46:47], s[4:5], s[6:7]
	s_and_b64 s[4:5], s[46:47], exec
	v_cmp_nlg_f64_e64 s[10:11], v[82:83], v[84:85]
	s_or_b64 s[6:7], s[44:45], s[4:5]
	s_and_saveexec_b64 s[44:45], s[10:11]
	s_cbranch_execz .LBB755_517
; %bb.519:                              ;   in Loop: Header=BB755_518 Depth=1
	v_lshl_add_u64 v[18:19], v[18:19], 0, -1
	v_cmp_eq_u64_e64 s[4:5], 0, v[18:19]
	s_andn2_b64 s[10:11], s[40:41], exec
	s_and_b64 s[40:41], s[46:47], exec
	s_or_b64 s[40:41], s[10:11], s[40:41]
	s_andn2_b64 s[10:11], s[38:39], exec
	s_and_b64 s[4:5], s[4:5], exec
	v_lshl_add_u64 v[14:15], v[14:15], 0, 8
	v_lshl_add_u64 v[16:17], v[16:17], 0, 8
	s_andn2_b64 s[6:7], s[6:7], exec
	s_or_b64 s[38:39], s[10:11], s[4:5]
                                        ; implicit-def: $sgpr42_sgpr43
	s_branch .LBB755_517
.LBB755_520:
	s_or_b64 exec, exec, s[34:35]
	s_xor_b64 s[4:5], s[36:37], -1
	s_andn2_b64 s[6:7], s[26:27], exec
	s_and_b64 s[4:5], s[4:5], exec
	s_or_b64 s[26:27], s[6:7], s[4:5]
.LBB755_521:
	s_or_b64 exec, exec, s[30:31]
	s_orn2_b64 s[26:27], s[26:27], exec
.LBB755_522:
	s_or_b64 exec, exec, s[28:29]
	v_cndmask_b32_e64 v12, v71, v80, s[26:27]
	v_cndmask_b32_e64 v14, v97, v96, s[26:27]
	v_add_u32_e32 v15, 1, v12
	v_add_u32_e32 v12, -1, v14
	v_min_u32_e32 v12, v15, v12
	v_lshl_add_u64 v[12:13], v[12:13], 3, v[54:55]
	flat_load_dwordx2 v[12:13], v[12:13]
	v_cndmask_b32_e64 v18, v15, v71, s[26:27]
	v_cndmask_b32_e64 v19, v80, v15, s[26:27]
	v_cmp_lt_u32_e64 s[4:5], v18, v97
	s_waitcnt vmcnt(0) lgkmcnt(0)
	v_cndmask_b32_e64 v71, v13, v67, s[26:27]
	v_cndmask_b32_e64 v80, v12, v68, s[26:27]
	;; [unrolled: 1-line block ×4, first 2 shown]
	s_and_saveexec_b64 s[28:29], s[4:5]
	s_cbranch_execz .LBB755_530
; %bb.523:
	v_cmp_lt_u32_e64 s[24:25], v19, v96
	s_xor_b64 s[4:5], s[0:1], -1
	s_and_b64 s[4:5], s[24:25], s[4:5]
	s_and_saveexec_b64 s[30:31], s[4:5]
	s_cbranch_execz .LBB755_529
; %bb.524:
	v_mul_lo_u32 v14, v81, v6
	v_mul_lo_u32 v15, v82, v7
	v_mad_u64_u32 v[12:13], s[4:5], v82, v6, 0
	v_add3_u32 v13, v13, v15, v14
	v_mul_lo_u32 v16, v71, v6
	v_mul_lo_u32 v17, v80, v7
	v_mad_u64_u32 v[14:15], s[4:5], v80, v6, 0
	v_add3_u32 v15, v15, v17, v16
	v_lshl_add_u64 v[12:13], v[12:13], 3, v[8:9]
	v_lshl_add_u64 v[14:15], v[14:15], 3, v[8:9]
	s_mov_b64 s[34:35], 0
	v_mov_b64_e32 v[16:17], v[6:7]
                                        ; implicit-def: $sgpr36_sgpr37
                                        ; implicit-def: $sgpr38_sgpr39
                                        ; implicit-def: $sgpr6_sgpr7
                                        ; implicit-def: $sgpr40_sgpr41
                                        ; implicit-def: $sgpr42_sgpr43
	s_branch .LBB755_526
.LBB755_525:                            ;   in Loop: Header=BB755_526 Depth=1
	s_or_b64 exec, exec, s[44:45]
	s_and_b64 s[4:5], exec, s[38:39]
	s_or_b64 s[34:35], s[4:5], s[34:35]
	s_andn2_b64 s[4:5], s[42:43], exec
	s_and_b64 s[10:11], s[40:41], exec
	s_or_b64 s[42:43], s[4:5], s[10:11]
	s_andn2_b64 s[4:5], s[36:37], exec
	s_and_b64 s[10:11], s[6:7], exec
	s_or_b64 s[36:37], s[4:5], s[10:11]
	s_andn2_b64 exec, exec, s[34:35]
	s_cbranch_execz .LBB755_528
.LBB755_526:                            ; =>This Inner Loop Header: Depth=1
	flat_load_dwordx2 v[84:85], v[14:15]
	flat_load_dwordx2 v[86:87], v[12:13]
	s_andn2_b64 s[44:45], s[6:7], exec
	s_andn2_b64 s[40:41], s[40:41], exec
	s_or_b64 s[38:39], s[38:39], exec
	s_waitcnt vmcnt(0) lgkmcnt(0)
	v_cmp_ngt_f64_e64 s[6:7], v[84:85], v[86:87]
	v_cmp_lt_f64_e64 s[4:5], v[84:85], v[86:87]
	s_and_b64 s[6:7], s[6:7], s[42:43]
	s_or_b64 s[46:47], s[4:5], s[6:7]
	s_and_b64 s[4:5], s[46:47], exec
	v_cmp_nlg_f64_e64 s[10:11], v[84:85], v[86:87]
	s_or_b64 s[6:7], s[44:45], s[4:5]
	s_and_saveexec_b64 s[44:45], s[10:11]
	s_cbranch_execz .LBB755_525
; %bb.527:                              ;   in Loop: Header=BB755_526 Depth=1
	v_lshl_add_u64 v[16:17], v[16:17], 0, -1
	v_cmp_eq_u64_e64 s[4:5], 0, v[16:17]
	s_andn2_b64 s[10:11], s[40:41], exec
	s_and_b64 s[40:41], s[46:47], exec
	s_or_b64 s[40:41], s[10:11], s[40:41]
	s_andn2_b64 s[10:11], s[38:39], exec
	s_and_b64 s[4:5], s[4:5], exec
	v_lshl_add_u64 v[12:13], v[12:13], 0, 8
	v_lshl_add_u64 v[14:15], v[14:15], 0, 8
	s_andn2_b64 s[6:7], s[6:7], exec
	s_or_b64 s[38:39], s[10:11], s[4:5]
                                        ; implicit-def: $sgpr42_sgpr43
	s_branch .LBB755_525
.LBB755_528:
	s_or_b64 exec, exec, s[34:35]
	s_xor_b64 s[4:5], s[36:37], -1
	s_andn2_b64 s[6:7], s[24:25], exec
	s_and_b64 s[4:5], s[4:5], exec
	s_or_b64 s[24:25], s[6:7], s[4:5]
.LBB755_529:
	s_or_b64 exec, exec, s[30:31]
	s_orn2_b64 s[24:25], s[24:25], exec
.LBB755_530:
	s_or_b64 exec, exec, s[28:29]
	v_cndmask_b32_e64 v12, v18, v19, s[24:25]
	v_cndmask_b32_e64 v13, v97, v96, s[24:25]
	v_add_u32_e32 v16, 1, v12
	v_add_u32_e32 v12, -1, v13
	v_min_u32_e32 v12, v16, v12
	v_mov_b32_e32 v13, 0
	v_lshl_add_u64 v[14:15], v[12:13], 3, v[54:55]
	flat_load_dwordx2 v[14:15], v[14:15]
	v_cndmask_b32_e64 v87, v16, v18, s[24:25]
	s_mov_b64 s[28:29], -1
	v_cndmask_b32_e64 v98, v19, v16, s[24:25]
	v_cmp_lt_u32_e64 s[4:5], v87, v97
	s_mov_b64 s[30:31], -1
	s_waitcnt vmcnt(0) lgkmcnt(0)
	v_cndmask_b32_e64 v83, v15, v71, s[24:25]
	v_cndmask_b32_e64 v84, v14, v80, s[24:25]
	;; [unrolled: 1-line block ×4, first 2 shown]
	s_and_saveexec_b64 s[34:35], s[4:5]
	s_cbranch_execz .LBB755_538
; %bb.531:
	v_cmp_lt_u32_e64 s[30:31], v98, v96
	s_xor_b64 s[4:5], s[0:1], -1
	s_and_b64 s[4:5], s[30:31], s[4:5]
	s_and_saveexec_b64 s[36:37], s[4:5]
	s_cbranch_execz .LBB755_537
; %bb.532:
	v_mul_lo_u32 v12, v85, v6
	v_mul_lo_u32 v16, v86, v7
	v_mad_u64_u32 v[14:15], s[4:5], v86, v6, 0
	v_add3_u32 v15, v15, v16, v12
	v_mul_lo_u32 v12, v83, v6
	v_mul_lo_u32 v18, v84, v7
	v_mad_u64_u32 v[16:17], s[4:5], v84, v6, 0
	v_add3_u32 v17, v17, v18, v12
	v_lshl_add_u64 v[14:15], v[14:15], 3, v[8:9]
	v_lshl_add_u64 v[16:17], v[16:17], 3, v[8:9]
	s_mov_b64 s[38:39], 0
	v_mov_b64_e32 v[18:19], v[6:7]
                                        ; implicit-def: $sgpr40_sgpr41
                                        ; implicit-def: $sgpr42_sgpr43
                                        ; implicit-def: $sgpr6_sgpr7
                                        ; implicit-def: $sgpr44_sgpr45
                                        ; implicit-def: $sgpr46_sgpr47
	s_branch .LBB755_534
.LBB755_533:                            ;   in Loop: Header=BB755_534 Depth=1
	s_or_b64 exec, exec, s[48:49]
	s_and_b64 s[4:5], exec, s[42:43]
	s_or_b64 s[38:39], s[4:5], s[38:39]
	s_andn2_b64 s[4:5], s[46:47], exec
	s_and_b64 s[10:11], s[44:45], exec
	s_or_b64 s[46:47], s[4:5], s[10:11]
	s_andn2_b64 s[4:5], s[40:41], exec
	s_and_b64 s[10:11], s[6:7], exec
	s_or_b64 s[40:41], s[4:5], s[10:11]
	s_andn2_b64 exec, exec, s[38:39]
	s_cbranch_execz .LBB755_536
.LBB755_534:                            ; =>This Inner Loop Header: Depth=1
	flat_load_dwordx2 v[100:101], v[16:17]
	flat_load_dwordx2 v[102:103], v[14:15]
	s_andn2_b64 s[48:49], s[6:7], exec
	s_andn2_b64 s[44:45], s[44:45], exec
	s_or_b64 s[42:43], s[42:43], exec
	s_waitcnt vmcnt(0) lgkmcnt(0)
	v_cmp_ngt_f64_e64 s[6:7], v[100:101], v[102:103]
	v_cmp_lt_f64_e64 s[4:5], v[100:101], v[102:103]
	s_and_b64 s[6:7], s[6:7], s[46:47]
	s_or_b64 s[50:51], s[4:5], s[6:7]
	s_and_b64 s[4:5], s[50:51], exec
	v_cmp_nlg_f64_e64 s[10:11], v[100:101], v[102:103]
	s_or_b64 s[6:7], s[48:49], s[4:5]
	s_and_saveexec_b64 s[48:49], s[10:11]
	s_cbranch_execz .LBB755_533
; %bb.535:                              ;   in Loop: Header=BB755_534 Depth=1
	v_lshl_add_u64 v[18:19], v[18:19], 0, -1
	v_cmp_eq_u64_e64 s[4:5], 0, v[18:19]
	s_andn2_b64 s[10:11], s[44:45], exec
	s_and_b64 s[44:45], s[50:51], exec
	s_or_b64 s[44:45], s[10:11], s[44:45]
	s_andn2_b64 s[10:11], s[42:43], exec
	s_and_b64 s[4:5], s[4:5], exec
	v_lshl_add_u64 v[14:15], v[14:15], 0, 8
	v_lshl_add_u64 v[16:17], v[16:17], 0, 8
	s_andn2_b64 s[6:7], s[6:7], exec
	s_or_b64 s[42:43], s[10:11], s[4:5]
                                        ; implicit-def: $sgpr46_sgpr47
	s_branch .LBB755_533
.LBB755_536:
	s_or_b64 exec, exec, s[38:39]
	s_xor_b64 s[4:5], s[40:41], -1
	s_andn2_b64 s[6:7], s[30:31], exec
	s_and_b64 s[4:5], s[4:5], exec
	s_or_b64 s[30:31], s[6:7], s[4:5]
.LBB755_537:
	s_or_b64 exec, exec, s[36:37]
	s_orn2_b64 s[30:31], s[30:31], exec
.LBB755_538:
	s_or_b64 exec, exec, s[34:35]
	v_cndmask_b32_e64 v12, v87, v98, s[30:31]
	v_cndmask_b32_e64 v14, v97, v96, s[30:31]
	v_add_u32_e32 v15, 1, v12
	v_add_u32_e32 v12, -1, v14
	v_min_u32_e32 v12, v15, v12
	v_lshl_add_u64 v[12:13], v[12:13], 3, v[54:55]
	flat_load_dwordx2 v[12:13], v[12:13]
	v_cndmask_b32_e64 v100, v15, v87, s[30:31]
	v_cndmask_b32_e64 v87, v98, v15, s[30:31]
	v_cmp_lt_u32_e64 s[4:5], v100, v97
	s_waitcnt vmcnt(0) lgkmcnt(0)
	v_cndmask_b32_e64 v98, v13, v83, s[30:31]
	v_cndmask_b32_e64 v99, v12, v84, s[30:31]
	;; [unrolled: 1-line block ×4, first 2 shown]
	s_and_saveexec_b64 s[34:35], s[4:5]
	s_cbranch_execz .LBB755_546
; %bb.539:
	v_cmp_lt_u32_e64 s[28:29], v87, v96
	s_xor_b64 s[4:5], s[0:1], -1
	s_and_b64 s[4:5], s[28:29], s[4:5]
	s_and_saveexec_b64 s[36:37], s[4:5]
	s_cbranch_execz .LBB755_545
; %bb.540:
	v_mul_lo_u32 v14, v101, v6
	v_mul_lo_u32 v15, v102, v7
	v_mad_u64_u32 v[12:13], s[4:5], v102, v6, 0
	v_add3_u32 v13, v13, v15, v14
	v_mul_lo_u32 v16, v98, v6
	v_mul_lo_u32 v17, v99, v7
	v_mad_u64_u32 v[14:15], s[4:5], v99, v6, 0
	v_add3_u32 v15, v15, v17, v16
	v_lshl_add_u64 v[12:13], v[12:13], 3, v[8:9]
	v_lshl_add_u64 v[14:15], v[14:15], 3, v[8:9]
	s_mov_b64 s[38:39], 0
	v_mov_b64_e32 v[16:17], v[6:7]
                                        ; implicit-def: $sgpr40_sgpr41
                                        ; implicit-def: $sgpr42_sgpr43
                                        ; implicit-def: $sgpr6_sgpr7
                                        ; implicit-def: $sgpr44_sgpr45
                                        ; implicit-def: $sgpr46_sgpr47
	s_branch .LBB755_542
.LBB755_541:                            ;   in Loop: Header=BB755_542 Depth=1
	s_or_b64 exec, exec, s[48:49]
	s_and_b64 s[4:5], exec, s[42:43]
	s_or_b64 s[38:39], s[4:5], s[38:39]
	s_andn2_b64 s[4:5], s[46:47], exec
	s_and_b64 s[10:11], s[44:45], exec
	s_or_b64 s[46:47], s[4:5], s[10:11]
	s_andn2_b64 s[4:5], s[40:41], exec
	s_and_b64 s[10:11], s[6:7], exec
	s_or_b64 s[40:41], s[4:5], s[10:11]
	s_andn2_b64 exec, exec, s[38:39]
	s_cbranch_execz .LBB755_544
.LBB755_542:                            ; =>This Inner Loop Header: Depth=1
	flat_load_dwordx2 v[18:19], v[14:15]
	flat_load_dwordx2 v[112:113], v[12:13]
	s_andn2_b64 s[48:49], s[6:7], exec
	s_andn2_b64 s[44:45], s[44:45], exec
	s_or_b64 s[42:43], s[42:43], exec
	s_waitcnt vmcnt(0) lgkmcnt(0)
	v_cmp_ngt_f64_e64 s[6:7], v[18:19], v[112:113]
	v_cmp_lt_f64_e64 s[4:5], v[18:19], v[112:113]
	s_and_b64 s[6:7], s[6:7], s[46:47]
	s_or_b64 s[50:51], s[4:5], s[6:7]
	s_and_b64 s[4:5], s[50:51], exec
	v_cmp_nlg_f64_e64 s[10:11], v[18:19], v[112:113]
	s_or_b64 s[6:7], s[48:49], s[4:5]
	s_and_saveexec_b64 s[48:49], s[10:11]
	s_cbranch_execz .LBB755_541
; %bb.543:                              ;   in Loop: Header=BB755_542 Depth=1
	v_lshl_add_u64 v[16:17], v[16:17], 0, -1
	v_cmp_eq_u64_e64 s[4:5], 0, v[16:17]
	s_andn2_b64 s[10:11], s[44:45], exec
	s_and_b64 s[44:45], s[50:51], exec
	s_or_b64 s[44:45], s[10:11], s[44:45]
	s_andn2_b64 s[10:11], s[42:43], exec
	s_and_b64 s[4:5], s[4:5], exec
	v_lshl_add_u64 v[12:13], v[12:13], 0, 8
	v_lshl_add_u64 v[14:15], v[14:15], 0, 8
	s_andn2_b64 s[6:7], s[6:7], exec
	s_or_b64 s[42:43], s[10:11], s[4:5]
                                        ; implicit-def: $sgpr46_sgpr47
	s_branch .LBB755_541
.LBB755_544:
	s_or_b64 exec, exec, s[38:39]
	s_xor_b64 s[4:5], s[40:41], -1
	s_andn2_b64 s[6:7], s[28:29], exec
	s_and_b64 s[4:5], s[4:5], exec
	s_or_b64 s[28:29], s[6:7], s[4:5]
.LBB755_545:
	s_or_b64 exec, exec, s[36:37]
	s_orn2_b64 s[28:29], s[28:29], exec
.LBB755_546:
	s_or_b64 exec, exec, s[34:35]
	v_cndmask_b32_e64 v12, v100, v87, s[28:29]
	v_cndmask_b32_e64 v13, v97, v96, s[28:29]
	v_add_u32_e32 v103, 1, v12
	v_add_u32_e32 v12, -1, v13
	v_min_u32_e32 v12, v103, v12
	v_mov_b32_e32 v13, 0
	v_lshl_add_u64 v[12:13], v[12:13], 3, v[54:55]
	flat_load_dwordx2 v[54:55], v[12:13]
	v_cndmask_b32_e64 v17, v23, v65, s[20:21]
	v_cndmask_b32_e64 v23, v20, v22, s[22:23]
	v_cndmask_b32_e64 v22, v21, v31, s[22:23]
	v_cndmask_b32_e64 v31, v103, v100, s[28:29]
	v_cndmask_b32_e64 v15, v83, v85, s[30:31]
	v_cndmask_b32_e64 v14, v84, v86, s[30:31]
	v_cndmask_b32_e64 v13, v71, v81, s[24:25]
	v_cndmask_b32_e64 v12, v80, v82, s[24:25]
	v_cndmask_b32_e64 v19, v67, v69, s[26:27]
	v_cndmask_b32_e64 v18, v68, v70, s[26:27]
	v_cndmask_b32_e64 v16, v64, v66, s[20:21]
	v_cndmask_b32_e64 v21, v3, v1, s[18:19]
	v_cndmask_b32_e64 v20, v2, v0, s[18:19]
	v_cndmask_b32_e64 v1, v98, v101, s[28:29]
	v_cndmask_b32_e64 v0, v99, v102, s[28:29]
	v_cmp_lt_u32_e64 s[4:5], v31, v97
	s_waitcnt vmcnt(0) lgkmcnt(0)
	v_cndmask_b32_e64 v3, v101, v55, s[28:29]
	v_cndmask_b32_e64 v2, v102, v54, s[28:29]
	s_and_saveexec_b64 s[18:19], s[4:5]
	s_cbranch_execz .LBB755_554
; %bb.547:
	v_cndmask_b32_e64 v68, v54, v99, s[28:29]
	v_cndmask_b32_e64 v54, v87, v103, s[28:29]
	v_cmp_ge_u32_e64 s[4:5], v54, v96
	v_cndmask_b32_e64 v31, v55, v98, s[28:29]
	s_or_b64 s[6:7], s[4:5], s[0:1]
	v_cndmask_b32_e64 v55, v3, v31, s[4:5]
	s_xor_b64 s[6:7], s[6:7], -1
	v_cndmask_b32_e64 v54, v2, v68, s[4:5]
	s_and_saveexec_b64 s[20:21], s[6:7]
	s_cbranch_execz .LBB755_553
; %bb.548:
	v_mul_lo_u32 v64, v3, v6
	v_mul_lo_u32 v65, v2, v7
	v_mad_u64_u32 v[54:55], s[4:5], v2, v6, 0
	v_add3_u32 v55, v55, v65, v64
	v_mul_lo_u32 v66, v31, v6
	v_mul_lo_u32 v67, v68, v7
	v_mad_u64_u32 v[64:65], s[4:5], v68, v6, 0
	v_add3_u32 v65, v65, v67, v66
	v_lshl_add_u64 v[54:55], v[54:55], 3, v[8:9]
	v_lshl_add_u64 v[64:65], v[64:65], 3, v[8:9]
	s_mov_b64 s[22:23], 0
	v_mov_b64_e32 v[66:67], v[6:7]
                                        ; implicit-def: $sgpr24_sgpr25
                                        ; implicit-def: $sgpr26_sgpr27
                                        ; implicit-def: $sgpr6_sgpr7
                                        ; implicit-def: $sgpr28_sgpr29
                                        ; implicit-def: $sgpr30_sgpr31
	s_branch .LBB755_550
.LBB755_549:                            ;   in Loop: Header=BB755_550 Depth=1
	s_or_b64 exec, exec, s[34:35]
	s_and_b64 s[4:5], exec, s[26:27]
	s_or_b64 s[22:23], s[4:5], s[22:23]
	s_andn2_b64 s[4:5], s[30:31], exec
	s_and_b64 s[10:11], s[28:29], exec
	s_or_b64 s[30:31], s[4:5], s[10:11]
	s_andn2_b64 s[4:5], s[24:25], exec
	s_and_b64 s[10:11], s[6:7], exec
	s_or_b64 s[24:25], s[4:5], s[10:11]
	s_andn2_b64 exec, exec, s[22:23]
	s_cbranch_execz .LBB755_552
.LBB755_550:                            ; =>This Inner Loop Header: Depth=1
	flat_load_dwordx2 v[70:71], v[64:65]
	flat_load_dwordx2 v[80:81], v[54:55]
	s_andn2_b64 s[34:35], s[6:7], exec
	s_andn2_b64 s[28:29], s[28:29], exec
	s_or_b64 s[26:27], s[26:27], exec
	s_waitcnt vmcnt(0) lgkmcnt(0)
	v_cmp_ngt_f64_e64 s[6:7], v[70:71], v[80:81]
	v_cmp_lt_f64_e64 s[4:5], v[70:71], v[80:81]
	s_and_b64 s[6:7], s[6:7], s[30:31]
	s_or_b64 s[36:37], s[4:5], s[6:7]
	s_and_b64 s[4:5], s[36:37], exec
	v_cmp_nlg_f64_e64 s[10:11], v[70:71], v[80:81]
	s_or_b64 s[6:7], s[34:35], s[4:5]
	s_and_saveexec_b64 s[34:35], s[10:11]
	s_cbranch_execz .LBB755_549
; %bb.551:                              ;   in Loop: Header=BB755_550 Depth=1
	v_lshl_add_u64 v[66:67], v[66:67], 0, -1
	v_cmp_eq_u64_e64 s[4:5], 0, v[66:67]
	s_andn2_b64 s[10:11], s[28:29], exec
	s_and_b64 s[28:29], s[36:37], exec
	s_or_b64 s[28:29], s[10:11], s[28:29]
	s_andn2_b64 s[10:11], s[26:27], exec
	s_and_b64 s[4:5], s[4:5], exec
	v_lshl_add_u64 v[54:55], v[54:55], 0, 8
	v_lshl_add_u64 v[64:65], v[64:65], 0, 8
	s_andn2_b64 s[6:7], s[6:7], exec
	s_or_b64 s[26:27], s[10:11], s[4:5]
                                        ; implicit-def: $sgpr30_sgpr31
	s_branch .LBB755_549
.LBB755_552:
	s_or_b64 exec, exec, s[22:23]
	v_cndmask_b32_e64 v55, v3, v31, s[24:25]
	v_cndmask_b32_e64 v54, v2, v68, s[24:25]
.LBB755_553:
	s_or_b64 exec, exec, s[20:21]
	v_mov_b64_e32 v[2:3], v[54:55]
.LBB755_554:
	s_or_b64 exec, exec, s[18:19]
.LBB755_555:
	s_or_b64 exec, exec, s[16:17]
	v_lshlrev_b32_e32 v54, 3, v30
	v_mov_b32_e32 v55, 0
	v_lshl_add_u64 v[64:65], v[10:11], 0, v[54:55]
	v_lshlrev_b64 v[66:67], 3, v[6:7]
	s_movk_i32 s52, 0x80
	; wave barrier
	s_waitcnt lgkmcnt(0)
	s_barrier
.LBB755_556:                            ; =>This Loop Header: Depth=1
                                        ;     Child Loop BB755_560 Depth 2
                                        ;       Child Loop BB755_563 Depth 3
                                        ;     Child Loop BB755_575 Depth 2
                                        ;     Child Loop BB755_584 Depth 2
	;; [unrolled: 1-line block ×8, first 2 shown]
	s_lshl_b32 s53, s52, 1
	s_sub_i32 s5, 0, s53
	v_and_b32_e32 v97, s5, v30
	v_add_u32_e32 v31, s52, v97
	v_min_u32_e32 v31, 0x800, v31
	s_add_i32 s4, s53, -1
	v_add_u32_e32 v54, s52, v31
	v_min_u32_e32 v96, 0x800, v54
	v_and_b32_e32 v54, s4, v30
	v_min_u32_e32 v98, 0x800, v54
	v_sub_u32_e32 v54, v31, v97
	v_sub_u32_e32 v68, v96, v31
	v_sub_u32_e64 v99, v98, v68 clamp
	v_min_u32_e32 v100, v98, v54
	v_cmp_lt_u32_e64 s[4:5], v99, v100
	flat_store_dwordx4 v[64:65], v[20:23]
	flat_store_dwordx4 v[64:65], v[16:19] offset:16
	flat_store_dwordx4 v[64:65], v[12:15] offset:32
	;; [unrolled: 1-line block ×3, first 2 shown]
	s_waitcnt lgkmcnt(0)
	s_barrier
	s_and_saveexec_b64 s[16:17], s[4:5]
	s_cbranch_execz .LBB755_566
; %bb.557:                              ;   in Loop: Header=BB755_556 Depth=1
	v_lshlrev_b32_e32 v54, 3, v97
	v_lshl_add_u64 v[68:69], v[10:11], 0, v[54:55]
	v_lshlrev_b32_e32 v54, 3, v31
	v_lshl_add_u64 v[70:71], v[10:11], 0, v[54:55]
	s_mov_b64 s[18:19], 0
	s_branch .LBB755_560
.LBB755_558:                            ;   in Loop: Header=BB755_560 Depth=2
	s_or_b64 exec, exec, s[22:23]
	s_and_b64 s[4:5], s[24:25], exec
.LBB755_559:                            ;   in Loop: Header=BB755_560 Depth=2
	s_or_b64 exec, exec, s[20:21]
	v_add_u32_e32 v54, 1, v80
	v_cndmask_b32_e64 v100, v100, v80, s[4:5]
	v_cndmask_b32_e64 v99, v54, v99, s[4:5]
	v_cmp_ge_u32_e64 s[4:5], v99, v100
	s_or_b64 s[18:19], s[4:5], s[18:19]
	s_andn2_b64 exec, exec, s[18:19]
	s_cbranch_execz .LBB755_565
.LBB755_560:                            ;   Parent Loop BB755_556 Depth=1
                                        ; =>  This Loop Header: Depth=2
                                        ;       Child Loop BB755_563 Depth 3
	v_add_u32_e32 v54, v100, v99
	v_lshrrev_b32_e32 v80, 1, v54
	s_mov_b64 s[4:5], 0
	s_and_saveexec_b64 s[20:21], vcc
	s_cbranch_execz .LBB755_559
; %bb.561:                              ;   in Loop: Header=BB755_560 Depth=2
	v_mov_b32_e32 v81, v55
	v_xad_u32 v54, v80, -1, v98
	v_lshl_add_u64 v[82:83], v[80:81], 3, v[68:69]
	v_lshl_add_u64 v[84:85], v[54:55], 3, v[70:71]
	flat_load_dwordx2 v[82:83], v[82:83]
	s_mov_b64 s[22:23], 0
	flat_load_dwordx2 v[84:85], v[84:85]
                                        ; implicit-def: $sgpr24_sgpr25
                                        ; implicit-def: $sgpr26_sgpr27
                                        ; implicit-def: $sgpr28_sgpr29
                                        ; implicit-def: $sgpr6_sgpr7
                                        ; implicit-def: $sgpr30_sgpr31
	s_waitcnt vmcnt(0) lgkmcnt(0)
	v_mul_lo_u32 v54, v66, v83
	v_mul_lo_u32 v81, v67, v82
	v_mad_u64_u32 v[82:83], s[4:5], v66, v82, v[8:9]
	v_mul_lo_u32 v86, v66, v85
	v_mul_lo_u32 v87, v67, v84
	v_mad_u64_u32 v[84:85], s[4:5], v66, v84, v[8:9]
	v_add3_u32 v83, v81, v83, v54
	v_add3_u32 v85, v87, v85, v86
	v_mov_b64_e32 v[86:87], v[6:7]
	s_branch .LBB755_563
.LBB755_562:                            ;   in Loop: Header=BB755_563 Depth=3
	s_or_b64 exec, exec, s[34:35]
	s_and_b64 s[4:5], exec, s[26:27]
	s_or_b64 s[22:23], s[4:5], s[22:23]
	s_andn2_b64 s[4:5], s[30:31], exec
	s_and_b64 s[10:11], s[28:29], exec
	s_or_b64 s[30:31], s[4:5], s[10:11]
	s_andn2_b64 s[4:5], s[24:25], exec
	s_and_b64 s[10:11], s[6:7], exec
	s_or_b64 s[24:25], s[4:5], s[10:11]
	s_andn2_b64 exec, exec, s[22:23]
	s_cbranch_execz .LBB755_558
.LBB755_563:                            ;   Parent Loop BB755_556 Depth=1
                                        ;     Parent Loop BB755_560 Depth=2
                                        ; =>    This Inner Loop Header: Depth=3
	flat_load_dwordx2 v[102:103], v[84:85]
	flat_load_dwordx2 v[112:113], v[82:83]
	s_andn2_b64 s[34:35], s[6:7], exec
	s_andn2_b64 s[28:29], s[28:29], exec
	s_or_b64 s[26:27], s[26:27], exec
	s_waitcnt vmcnt(0) lgkmcnt(0)
	v_cmp_ngt_f64_e64 s[6:7], v[102:103], v[112:113]
	v_cmp_lt_f64_e64 s[4:5], v[102:103], v[112:113]
	s_and_b64 s[6:7], s[6:7], s[30:31]
	s_or_b64 s[36:37], s[4:5], s[6:7]
	s_and_b64 s[4:5], s[36:37], exec
	v_cmp_nlg_f64_e64 s[10:11], v[102:103], v[112:113]
	s_or_b64 s[6:7], s[34:35], s[4:5]
	s_and_saveexec_b64 s[34:35], s[10:11]
	s_cbranch_execz .LBB755_562
; %bb.564:                              ;   in Loop: Header=BB755_563 Depth=3
	v_lshl_add_u64 v[86:87], v[86:87], 0, -1
	v_cmp_eq_u64_e64 s[4:5], 0, v[86:87]
	s_andn2_b64 s[10:11], s[28:29], exec
	s_and_b64 s[28:29], s[36:37], exec
	s_or_b64 s[28:29], s[10:11], s[28:29]
	s_andn2_b64 s[10:11], s[26:27], exec
	s_and_b64 s[4:5], s[4:5], exec
	v_lshl_add_u64 v[82:83], v[82:83], 0, 8
	v_lshl_add_u64 v[84:85], v[84:85], 0, 8
	s_andn2_b64 s[6:7], s[6:7], exec
	s_or_b64 s[26:27], s[10:11], s[4:5]
                                        ; implicit-def: $sgpr30_sgpr31
	s_branch .LBB755_562
.LBB755_565:                            ;   in Loop: Header=BB755_556 Depth=1
	s_or_b64 exec, exec, s[18:19]
.LBB755_566:                            ;   in Loop: Header=BB755_556 Depth=1
	s_or_b64 exec, exec, s[16:17]
	v_sub_u32_e32 v54, v98, v99
	v_add_u32_e32 v68, v99, v97
	v_add_u32_e32 v70, v54, v31
	v_cmp_le_u32_e64 s[4:5], v68, v31
	v_cmp_le_u32_e64 s[6:7], v70, v96
	s_or_b64 s[4:5], s[4:5], s[6:7]
	s_and_saveexec_b64 s[16:17], s[4:5]
	s_cbranch_execz .LBB755_638
; %bb.567:                              ;   in Loop: Header=BB755_556 Depth=1
	v_cmp_ge_u32_e64 s[4:5], v68, v31
	v_cmp_lt_u32_e64 s[6:7], v68, v31
                                        ; implicit-def: $vgpr0_vgpr1
	s_and_saveexec_b64 s[10:11], s[6:7]
	s_cbranch_execz .LBB755_569
; %bb.568:                              ;   in Loop: Header=BB755_556 Depth=1
	v_mov_b32_e32 v69, v55
	v_lshl_add_u64 v[0:1], v[68:69], 3, v[10:11]
	flat_load_dwordx2 v[0:1], v[0:1]
.LBB755_569:                            ;   in Loop: Header=BB755_556 Depth=1
	s_or_b64 exec, exec, s[10:11]
	v_cmp_ge_u32_e64 s[18:19], v70, v96
	v_cmp_lt_u32_e64 s[6:7], v70, v96
                                        ; implicit-def: $vgpr20_vgpr21
	s_and_saveexec_b64 s[10:11], s[6:7]
	s_cbranch_execz .LBB755_571
; %bb.570:                              ;   in Loop: Header=BB755_556 Depth=1
	v_mov_b32_e32 v71, v55
	v_lshl_add_u64 v[2:3], v[70:71], 3, v[10:11]
	flat_load_dwordx2 v[20:21], v[2:3]
.LBB755_571:                            ;   in Loop: Header=BB755_556 Depth=1
	s_or_b64 exec, exec, s[10:11]
	s_or_b64 s[4:5], s[4:5], s[18:19]
	s_xor_b64 s[4:5], s[4:5], -1
	s_and_saveexec_b64 s[20:21], s[4:5]
	s_cbranch_execz .LBB755_579
; %bb.572:                              ;   in Loop: Header=BB755_556 Depth=1
	s_mov_b64 s[4:5], 0
	s_and_saveexec_b64 s[22:23], s[2:3]
	s_cbranch_execz .LBB755_578
; %bb.573:                              ;   in Loop: Header=BB755_556 Depth=1
	s_waitcnt vmcnt(0) lgkmcnt(0)
	v_mad_u64_u32 v[2:3], s[4:5], v66, v0, v[8:9]
	v_mul_lo_u32 v12, v66, v1
	v_mul_lo_u32 v13, v67, v0
	v_add3_u32 v3, v13, v3, v12
	v_mad_u64_u32 v[12:13], s[4:5], v66, v20, v[8:9]
	v_mul_lo_u32 v14, v66, v21
	v_mul_lo_u32 v15, v67, v20
	v_add3_u32 v13, v15, v13, v14
	s_mov_b64 s[24:25], 0
	v_mov_b64_e32 v[14:15], v[6:7]
                                        ; implicit-def: $sgpr26_sgpr27
                                        ; implicit-def: $sgpr28_sgpr29
                                        ; implicit-def: $sgpr30_sgpr31
                                        ; implicit-def: $sgpr6_sgpr7
                                        ; implicit-def: $sgpr34_sgpr35
	s_branch .LBB755_575
.LBB755_574:                            ;   in Loop: Header=BB755_575 Depth=2
	s_or_b64 exec, exec, s[36:37]
	s_and_b64 s[4:5], exec, s[28:29]
	s_or_b64 s[24:25], s[4:5], s[24:25]
	s_andn2_b64 s[4:5], s[34:35], exec
	s_and_b64 s[10:11], s[30:31], exec
	s_or_b64 s[34:35], s[4:5], s[10:11]
	s_andn2_b64 s[4:5], s[26:27], exec
	s_and_b64 s[10:11], s[6:7], exec
	s_or_b64 s[26:27], s[4:5], s[10:11]
	s_andn2_b64 exec, exec, s[24:25]
	s_cbranch_execz .LBB755_577
.LBB755_575:                            ;   Parent Loop BB755_556 Depth=1
                                        ; =>  This Inner Loop Header: Depth=2
	flat_load_dwordx2 v[16:17], v[12:13]
	flat_load_dwordx2 v[18:19], v[2:3]
	s_andn2_b64 s[36:37], s[6:7], exec
	s_andn2_b64 s[30:31], s[30:31], exec
	s_or_b64 s[28:29], s[28:29], exec
	s_waitcnt vmcnt(0) lgkmcnt(0)
	v_cmp_ngt_f64_e64 s[6:7], v[16:17], v[18:19]
	v_cmp_lt_f64_e64 s[4:5], v[16:17], v[18:19]
	s_and_b64 s[6:7], s[6:7], s[34:35]
	s_or_b64 s[38:39], s[4:5], s[6:7]
	s_and_b64 s[4:5], s[38:39], exec
	v_cmp_nlg_f64_e64 s[10:11], v[16:17], v[18:19]
	s_or_b64 s[6:7], s[36:37], s[4:5]
	s_and_saveexec_b64 s[36:37], s[10:11]
	s_cbranch_execz .LBB755_574
; %bb.576:                              ;   in Loop: Header=BB755_575 Depth=2
	v_lshl_add_u64 v[14:15], v[14:15], 0, -1
	v_cmp_eq_u64_e64 s[4:5], 0, v[14:15]
	s_andn2_b64 s[10:11], s[30:31], exec
	s_and_b64 s[30:31], s[38:39], exec
	s_or_b64 s[30:31], s[10:11], s[30:31]
	s_andn2_b64 s[10:11], s[28:29], exec
	s_and_b64 s[4:5], s[4:5], exec
	v_lshl_add_u64 v[2:3], v[2:3], 0, 8
	v_lshl_add_u64 v[12:13], v[12:13], 0, 8
	s_andn2_b64 s[6:7], s[6:7], exec
	s_or_b64 s[28:29], s[10:11], s[4:5]
                                        ; implicit-def: $sgpr34_sgpr35
	s_branch .LBB755_574
.LBB755_577:                            ;   in Loop: Header=BB755_556 Depth=1
	s_or_b64 exec, exec, s[24:25]
	s_and_b64 s[4:5], s[26:27], exec
.LBB755_578:                            ;   in Loop: Header=BB755_556 Depth=1
	s_or_b64 exec, exec, s[22:23]
	s_xor_b64 s[4:5], s[4:5], -1
	s_andn2_b64 s[6:7], s[18:19], exec
	s_and_b64 s[4:5], s[4:5], exec
	s_or_b64 s[18:19], s[6:7], s[4:5]
.LBB755_579:                            ;   in Loop: Header=BB755_556 Depth=1
	s_or_b64 exec, exec, s[20:21]
	v_cndmask_b32_e64 v2, v70, v68, s[18:19]
	v_cndmask_b32_e64 v3, v96, v31, s[18:19]
	v_add_u32_e32 v12, 1, v2
	v_add_u32_e32 v2, -1, v3
	v_min_u32_e32 v54, v12, v2
	v_lshl_add_u64 v[2:3], v[54:55], 3, v[10:11]
	flat_load_dwordx2 v[2:3], v[2:3]
	v_cndmask_b32_e64 v16, v12, v70, s[18:19]
	s_mov_b64 s[20:21], -1
	v_cndmask_b32_e64 v17, v68, v12, s[18:19]
	v_cmp_lt_u32_e64 s[4:5], v16, v96
	s_mov_b64 s[22:23], -1
	s_waitcnt vmcnt(0) lgkmcnt(0)
	v_cndmask_b32_e64 v22, v3, v21, s[18:19]
	v_cndmask_b32_e64 v68, v2, v20, s[18:19]
	;; [unrolled: 1-line block ×4, first 2 shown]
	s_and_saveexec_b64 s[24:25], s[4:5]
	s_cbranch_execz .LBB755_589
; %bb.580:                              ;   in Loop: Header=BB755_556 Depth=1
	v_cmp_lt_u32_e64 s[4:5], v17, v31
	s_mov_b64 s[6:7], 0
	s_and_saveexec_b64 s[22:23], s[4:5]
	s_cbranch_execz .LBB755_588
; %bb.581:                              ;   in Loop: Header=BB755_556 Depth=1
	s_mov_b64 s[4:5], 0
	s_and_saveexec_b64 s[26:27], s[2:3]
	s_cbranch_execz .LBB755_587
; %bb.582:                              ;   in Loop: Header=BB755_556 Depth=1
	v_mad_u64_u32 v[2:3], s[4:5], v66, v69, v[8:9]
	v_mul_lo_u32 v12, v66, v23
	v_mul_lo_u32 v13, v67, v69
	v_add3_u32 v3, v13, v3, v12
	v_mad_u64_u32 v[12:13], s[4:5], v66, v68, v[8:9]
	v_mul_lo_u32 v14, v66, v22
	v_mul_lo_u32 v15, v67, v68
	v_add3_u32 v13, v15, v13, v14
	s_mov_b64 s[28:29], 0
	v_mov_b64_e32 v[14:15], v[6:7]
                                        ; implicit-def: $sgpr30_sgpr31
                                        ; implicit-def: $sgpr34_sgpr35
                                        ; implicit-def: $sgpr36_sgpr37
                                        ; implicit-def: $sgpr6_sgpr7
                                        ; implicit-def: $sgpr38_sgpr39
	s_branch .LBB755_584
.LBB755_583:                            ;   in Loop: Header=BB755_584 Depth=2
	s_or_b64 exec, exec, s[40:41]
	s_and_b64 s[4:5], exec, s[34:35]
	s_or_b64 s[28:29], s[4:5], s[28:29]
	s_andn2_b64 s[4:5], s[38:39], exec
	s_and_b64 s[10:11], s[36:37], exec
	s_or_b64 s[38:39], s[4:5], s[10:11]
	s_andn2_b64 s[4:5], s[30:31], exec
	s_and_b64 s[10:11], s[6:7], exec
	s_or_b64 s[30:31], s[4:5], s[10:11]
	s_andn2_b64 exec, exec, s[28:29]
	s_cbranch_execz .LBB755_586
.LBB755_584:                            ;   Parent Loop BB755_556 Depth=1
                                        ; =>  This Inner Loop Header: Depth=2
	flat_load_dwordx2 v[18:19], v[12:13]
	flat_load_dwordx2 v[70:71], v[2:3]
	s_andn2_b64 s[40:41], s[6:7], exec
	s_andn2_b64 s[36:37], s[36:37], exec
	s_or_b64 s[34:35], s[34:35], exec
	s_waitcnt vmcnt(0) lgkmcnt(0)
	v_cmp_ngt_f64_e64 s[6:7], v[18:19], v[70:71]
	v_cmp_lt_f64_e64 s[4:5], v[18:19], v[70:71]
	s_and_b64 s[6:7], s[6:7], s[38:39]
	s_or_b64 s[42:43], s[4:5], s[6:7]
	s_and_b64 s[4:5], s[42:43], exec
	v_cmp_nlg_f64_e64 s[10:11], v[18:19], v[70:71]
	s_or_b64 s[6:7], s[40:41], s[4:5]
	s_and_saveexec_b64 s[40:41], s[10:11]
	s_cbranch_execz .LBB755_583
; %bb.585:                              ;   in Loop: Header=BB755_584 Depth=2
	v_lshl_add_u64 v[14:15], v[14:15], 0, -1
	v_cmp_eq_u64_e64 s[4:5], 0, v[14:15]
	s_andn2_b64 s[10:11], s[36:37], exec
	s_and_b64 s[36:37], s[42:43], exec
	s_or_b64 s[36:37], s[10:11], s[36:37]
	s_andn2_b64 s[10:11], s[34:35], exec
	s_and_b64 s[4:5], s[4:5], exec
	v_lshl_add_u64 v[2:3], v[2:3], 0, 8
	v_lshl_add_u64 v[12:13], v[12:13], 0, 8
	s_andn2_b64 s[6:7], s[6:7], exec
	s_or_b64 s[34:35], s[10:11], s[4:5]
                                        ; implicit-def: $sgpr38_sgpr39
	s_branch .LBB755_583
.LBB755_586:                            ;   in Loop: Header=BB755_556 Depth=1
	s_or_b64 exec, exec, s[28:29]
	s_and_b64 s[4:5], s[30:31], exec
.LBB755_587:                            ;   in Loop: Header=BB755_556 Depth=1
	s_or_b64 exec, exec, s[26:27]
	s_xor_b64 s[4:5], s[4:5], -1
	s_and_b64 s[6:7], s[4:5], exec
.LBB755_588:                            ;   in Loop: Header=BB755_556 Depth=1
	s_or_b64 exec, exec, s[22:23]
	s_orn2_b64 s[22:23], s[6:7], exec
.LBB755_589:                            ;   in Loop: Header=BB755_556 Depth=1
	s_or_b64 exec, exec, s[24:25]
	v_cndmask_b32_e64 v2, v16, v17, s[22:23]
	v_cndmask_b32_e64 v3, v96, v31, s[22:23]
	v_add_u32_e32 v12, 1, v2
	v_add_u32_e32 v2, -1, v3
	v_min_u32_e32 v54, v12, v2
	v_lshl_add_u64 v[2:3], v[54:55], 3, v[10:11]
	flat_load_dwordx2 v[2:3], v[2:3]
	v_cndmask_b32_e64 v16, v12, v16, s[22:23]
	v_cndmask_b32_e64 v17, v17, v12, s[22:23]
	v_cmp_lt_u32_e64 s[4:5], v16, v96
	s_waitcnt vmcnt(0) lgkmcnt(0)
	v_cndmask_b32_e64 v70, v3, v22, s[22:23]
	v_cndmask_b32_e64 v71, v2, v68, s[22:23]
	;; [unrolled: 1-line block ×4, first 2 shown]
	s_and_saveexec_b64 s[24:25], s[4:5]
	s_cbranch_execz .LBB755_597
; %bb.590:                              ;   in Loop: Header=BB755_556 Depth=1
	v_cmp_lt_u32_e64 s[20:21], v17, v31
	s_xor_b64 s[4:5], s[0:1], -1
	s_and_b64 s[4:5], s[20:21], s[4:5]
	s_and_saveexec_b64 s[26:27], s[4:5]
	s_cbranch_execz .LBB755_596
; %bb.591:                              ;   in Loop: Header=BB755_556 Depth=1
	v_mad_u64_u32 v[2:3], s[4:5], v66, v81, v[8:9]
	v_mul_lo_u32 v12, v66, v80
	v_mul_lo_u32 v13, v67, v81
	v_add3_u32 v3, v13, v3, v12
	v_mad_u64_u32 v[12:13], s[4:5], v66, v71, v[8:9]
	v_mul_lo_u32 v14, v66, v70
	v_mul_lo_u32 v15, v67, v71
	v_add3_u32 v13, v15, v13, v14
	s_mov_b64 s[28:29], 0
	v_mov_b64_e32 v[14:15], v[6:7]
                                        ; implicit-def: $sgpr30_sgpr31
                                        ; implicit-def: $sgpr34_sgpr35
                                        ; implicit-def: $sgpr6_sgpr7
                                        ; implicit-def: $sgpr36_sgpr37
                                        ; implicit-def: $sgpr38_sgpr39
	s_branch .LBB755_593
.LBB755_592:                            ;   in Loop: Header=BB755_593 Depth=2
	s_or_b64 exec, exec, s[40:41]
	s_and_b64 s[4:5], exec, s[34:35]
	s_or_b64 s[28:29], s[4:5], s[28:29]
	s_andn2_b64 s[4:5], s[38:39], exec
	s_and_b64 s[10:11], s[36:37], exec
	s_or_b64 s[38:39], s[4:5], s[10:11]
	s_andn2_b64 s[4:5], s[30:31], exec
	s_and_b64 s[10:11], s[6:7], exec
	s_or_b64 s[30:31], s[4:5], s[10:11]
	s_andn2_b64 exec, exec, s[28:29]
	s_cbranch_execz .LBB755_595
.LBB755_593:                            ;   Parent Loop BB755_556 Depth=1
                                        ; =>  This Inner Loop Header: Depth=2
	flat_load_dwordx2 v[18:19], v[12:13]
	flat_load_dwordx2 v[82:83], v[2:3]
	s_andn2_b64 s[40:41], s[6:7], exec
	s_andn2_b64 s[36:37], s[36:37], exec
	s_or_b64 s[34:35], s[34:35], exec
	s_waitcnt vmcnt(0) lgkmcnt(0)
	v_cmp_ngt_f64_e64 s[6:7], v[18:19], v[82:83]
	v_cmp_lt_f64_e64 s[4:5], v[18:19], v[82:83]
	s_and_b64 s[6:7], s[6:7], s[38:39]
	s_or_b64 s[42:43], s[4:5], s[6:7]
	s_and_b64 s[4:5], s[42:43], exec
	v_cmp_nlg_f64_e64 s[10:11], v[18:19], v[82:83]
	s_or_b64 s[6:7], s[40:41], s[4:5]
	s_and_saveexec_b64 s[40:41], s[10:11]
	s_cbranch_execz .LBB755_592
; %bb.594:                              ;   in Loop: Header=BB755_593 Depth=2
	v_lshl_add_u64 v[14:15], v[14:15], 0, -1
	v_cmp_eq_u64_e64 s[4:5], 0, v[14:15]
	s_andn2_b64 s[10:11], s[36:37], exec
	s_and_b64 s[36:37], s[42:43], exec
	s_or_b64 s[36:37], s[10:11], s[36:37]
	s_andn2_b64 s[10:11], s[34:35], exec
	s_and_b64 s[4:5], s[4:5], exec
	v_lshl_add_u64 v[2:3], v[2:3], 0, 8
	v_lshl_add_u64 v[12:13], v[12:13], 0, 8
	s_andn2_b64 s[6:7], s[6:7], exec
	s_or_b64 s[34:35], s[10:11], s[4:5]
                                        ; implicit-def: $sgpr38_sgpr39
	s_branch .LBB755_592
.LBB755_595:                            ;   in Loop: Header=BB755_556 Depth=1
	s_or_b64 exec, exec, s[28:29]
	s_xor_b64 s[4:5], s[30:31], -1
	s_andn2_b64 s[6:7], s[20:21], exec
	s_and_b64 s[4:5], s[4:5], exec
	s_or_b64 s[20:21], s[6:7], s[4:5]
.LBB755_596:                            ;   in Loop: Header=BB755_556 Depth=1
	s_or_b64 exec, exec, s[26:27]
	s_orn2_b64 s[20:21], s[20:21], exec
.LBB755_597:                            ;   in Loop: Header=BB755_556 Depth=1
	s_or_b64 exec, exec, s[24:25]
	v_cndmask_b32_e64 v2, v16, v17, s[20:21]
	v_cndmask_b32_e64 v3, v96, v31, s[20:21]
	v_add_u32_e32 v12, 1, v2
	v_add_u32_e32 v2, -1, v3
	v_min_u32_e32 v54, v12, v2
	v_lshl_add_u64 v[2:3], v[54:55], 3, v[10:11]
	flat_load_dwordx2 v[2:3], v[2:3]
	v_cndmask_b32_e64 v16, v12, v16, s[20:21]
	s_mov_b64 s[24:25], -1
	v_cndmask_b32_e64 v17, v17, v12, s[20:21]
	v_cmp_lt_u32_e64 s[4:5], v16, v96
	s_mov_b64 s[26:27], -1
	s_waitcnt vmcnt(0) lgkmcnt(0)
	v_cndmask_b32_e64 v18, v3, v70, s[20:21]
	v_cndmask_b32_e64 v82, v2, v71, s[20:21]
	;; [unrolled: 1-line block ×4, first 2 shown]
	s_and_saveexec_b64 s[28:29], s[4:5]
	s_cbranch_execz .LBB755_605
; %bb.598:                              ;   in Loop: Header=BB755_556 Depth=1
	v_cmp_lt_u32_e64 s[26:27], v17, v31
	s_xor_b64 s[4:5], s[0:1], -1
	s_and_b64 s[4:5], s[26:27], s[4:5]
	s_and_saveexec_b64 s[30:31], s[4:5]
	s_cbranch_execz .LBB755_604
; %bb.599:                              ;   in Loop: Header=BB755_556 Depth=1
	v_mad_u64_u32 v[2:3], s[4:5], v66, v83, v[8:9]
	v_mul_lo_u32 v12, v66, v19
	v_mul_lo_u32 v13, v67, v83
	v_add3_u32 v3, v13, v3, v12
	v_mad_u64_u32 v[12:13], s[4:5], v66, v82, v[8:9]
	v_mul_lo_u32 v14, v66, v18
	v_mul_lo_u32 v15, v67, v82
	v_add3_u32 v13, v15, v13, v14
	s_mov_b64 s[34:35], 0
	v_mov_b64_e32 v[14:15], v[6:7]
                                        ; implicit-def: $sgpr36_sgpr37
                                        ; implicit-def: $sgpr38_sgpr39
                                        ; implicit-def: $sgpr6_sgpr7
                                        ; implicit-def: $sgpr40_sgpr41
                                        ; implicit-def: $sgpr42_sgpr43
	s_branch .LBB755_601
.LBB755_600:                            ;   in Loop: Header=BB755_601 Depth=2
	s_or_b64 exec, exec, s[44:45]
	s_and_b64 s[4:5], exec, s[38:39]
	s_or_b64 s[34:35], s[4:5], s[34:35]
	s_andn2_b64 s[4:5], s[42:43], exec
	s_and_b64 s[10:11], s[40:41], exec
	s_or_b64 s[42:43], s[4:5], s[10:11]
	s_andn2_b64 s[4:5], s[36:37], exec
	s_and_b64 s[10:11], s[6:7], exec
	s_or_b64 s[36:37], s[4:5], s[10:11]
	s_andn2_b64 exec, exec, s[34:35]
	s_cbranch_execz .LBB755_603
.LBB755_601:                            ;   Parent Loop BB755_556 Depth=1
                                        ; =>  This Inner Loop Header: Depth=2
	flat_load_dwordx2 v[84:85], v[12:13]
	flat_load_dwordx2 v[86:87], v[2:3]
	s_andn2_b64 s[44:45], s[6:7], exec
	s_andn2_b64 s[40:41], s[40:41], exec
	s_or_b64 s[38:39], s[38:39], exec
	s_waitcnt vmcnt(0) lgkmcnt(0)
	v_cmp_ngt_f64_e64 s[6:7], v[84:85], v[86:87]
	v_cmp_lt_f64_e64 s[4:5], v[84:85], v[86:87]
	s_and_b64 s[6:7], s[6:7], s[42:43]
	s_or_b64 s[46:47], s[4:5], s[6:7]
	s_and_b64 s[4:5], s[46:47], exec
	v_cmp_nlg_f64_e64 s[10:11], v[84:85], v[86:87]
	s_or_b64 s[6:7], s[44:45], s[4:5]
	s_and_saveexec_b64 s[44:45], s[10:11]
	s_cbranch_execz .LBB755_600
; %bb.602:                              ;   in Loop: Header=BB755_601 Depth=2
	v_lshl_add_u64 v[14:15], v[14:15], 0, -1
	v_cmp_eq_u64_e64 s[4:5], 0, v[14:15]
	s_andn2_b64 s[10:11], s[40:41], exec
	s_and_b64 s[40:41], s[46:47], exec
	s_or_b64 s[40:41], s[10:11], s[40:41]
	s_andn2_b64 s[10:11], s[38:39], exec
	s_and_b64 s[4:5], s[4:5], exec
	v_lshl_add_u64 v[2:3], v[2:3], 0, 8
	v_lshl_add_u64 v[12:13], v[12:13], 0, 8
	s_andn2_b64 s[6:7], s[6:7], exec
	s_or_b64 s[38:39], s[10:11], s[4:5]
                                        ; implicit-def: $sgpr42_sgpr43
	s_branch .LBB755_600
.LBB755_603:                            ;   in Loop: Header=BB755_556 Depth=1
	s_or_b64 exec, exec, s[34:35]
	s_xor_b64 s[4:5], s[36:37], -1
	s_andn2_b64 s[6:7], s[26:27], exec
	s_and_b64 s[4:5], s[4:5], exec
	s_or_b64 s[26:27], s[6:7], s[4:5]
.LBB755_604:                            ;   in Loop: Header=BB755_556 Depth=1
	s_or_b64 exec, exec, s[30:31]
	s_orn2_b64 s[26:27], s[26:27], exec
.LBB755_605:                            ;   in Loop: Header=BB755_556 Depth=1
	s_or_b64 exec, exec, s[28:29]
	v_cndmask_b32_e64 v2, v16, v17, s[26:27]
	v_cndmask_b32_e64 v3, v96, v31, s[26:27]
	v_add_u32_e32 v12, 1, v2
	v_add_u32_e32 v2, -1, v3
	v_min_u32_e32 v54, v12, v2
	v_lshl_add_u64 v[2:3], v[54:55], 3, v[10:11]
	flat_load_dwordx2 v[2:3], v[2:3]
	v_cndmask_b32_e64 v16, v12, v16, s[26:27]
	v_cndmask_b32_e64 v17, v17, v12, s[26:27]
	v_cmp_lt_u32_e64 s[4:5], v16, v96
	s_waitcnt vmcnt(0) lgkmcnt(0)
	v_cndmask_b32_e64 v84, v3, v18, s[26:27]
	v_cndmask_b32_e64 v85, v2, v82, s[26:27]
	;; [unrolled: 1-line block ×4, first 2 shown]
	s_and_saveexec_b64 s[28:29], s[4:5]
	s_cbranch_execz .LBB755_613
; %bb.606:                              ;   in Loop: Header=BB755_556 Depth=1
	v_cmp_lt_u32_e64 s[24:25], v17, v31
	s_xor_b64 s[4:5], s[0:1], -1
	s_and_b64 s[4:5], s[24:25], s[4:5]
	s_and_saveexec_b64 s[30:31], s[4:5]
	s_cbranch_execz .LBB755_612
; %bb.607:                              ;   in Loop: Header=BB755_556 Depth=1
	v_mad_u64_u32 v[2:3], s[4:5], v66, v87, v[8:9]
	v_mul_lo_u32 v12, v66, v86
	v_mul_lo_u32 v13, v67, v87
	v_add3_u32 v3, v13, v3, v12
	v_mad_u64_u32 v[12:13], s[4:5], v66, v85, v[8:9]
	v_mul_lo_u32 v14, v66, v84
	v_mul_lo_u32 v15, v67, v85
	v_add3_u32 v13, v15, v13, v14
	s_mov_b64 s[34:35], 0
	v_mov_b64_e32 v[14:15], v[6:7]
                                        ; implicit-def: $sgpr36_sgpr37
                                        ; implicit-def: $sgpr38_sgpr39
                                        ; implicit-def: $sgpr6_sgpr7
                                        ; implicit-def: $sgpr40_sgpr41
                                        ; implicit-def: $sgpr42_sgpr43
	s_branch .LBB755_609
.LBB755_608:                            ;   in Loop: Header=BB755_609 Depth=2
	s_or_b64 exec, exec, s[44:45]
	s_and_b64 s[4:5], exec, s[38:39]
	s_or_b64 s[34:35], s[4:5], s[34:35]
	s_andn2_b64 s[4:5], s[42:43], exec
	s_and_b64 s[10:11], s[40:41], exec
	s_or_b64 s[42:43], s[4:5], s[10:11]
	s_andn2_b64 s[4:5], s[36:37], exec
	s_and_b64 s[10:11], s[6:7], exec
	s_or_b64 s[36:37], s[4:5], s[10:11]
	s_andn2_b64 exec, exec, s[34:35]
	s_cbranch_execz .LBB755_611
.LBB755_609:                            ;   Parent Loop BB755_556 Depth=1
                                        ; =>  This Inner Loop Header: Depth=2
	flat_load_dwordx2 v[98:99], v[12:13]
	flat_load_dwordx2 v[100:101], v[2:3]
	s_andn2_b64 s[44:45], s[6:7], exec
	s_andn2_b64 s[40:41], s[40:41], exec
	s_or_b64 s[38:39], s[38:39], exec
	s_waitcnt vmcnt(0) lgkmcnt(0)
	v_cmp_ngt_f64_e64 s[6:7], v[98:99], v[100:101]
	v_cmp_lt_f64_e64 s[4:5], v[98:99], v[100:101]
	s_and_b64 s[6:7], s[6:7], s[42:43]
	s_or_b64 s[46:47], s[4:5], s[6:7]
	s_and_b64 s[4:5], s[46:47], exec
	v_cmp_nlg_f64_e64 s[10:11], v[98:99], v[100:101]
	s_or_b64 s[6:7], s[44:45], s[4:5]
	s_and_saveexec_b64 s[44:45], s[10:11]
	s_cbranch_execz .LBB755_608
; %bb.610:                              ;   in Loop: Header=BB755_609 Depth=2
	v_lshl_add_u64 v[14:15], v[14:15], 0, -1
	v_cmp_eq_u64_e64 s[4:5], 0, v[14:15]
	s_andn2_b64 s[10:11], s[40:41], exec
	s_and_b64 s[40:41], s[46:47], exec
	s_or_b64 s[40:41], s[10:11], s[40:41]
	s_andn2_b64 s[10:11], s[38:39], exec
	s_and_b64 s[4:5], s[4:5], exec
	v_lshl_add_u64 v[2:3], v[2:3], 0, 8
	v_lshl_add_u64 v[12:13], v[12:13], 0, 8
	s_andn2_b64 s[6:7], s[6:7], exec
	s_or_b64 s[38:39], s[10:11], s[4:5]
                                        ; implicit-def: $sgpr42_sgpr43
	s_branch .LBB755_608
.LBB755_611:                            ;   in Loop: Header=BB755_556 Depth=1
	s_or_b64 exec, exec, s[34:35]
	s_xor_b64 s[4:5], s[36:37], -1
	s_andn2_b64 s[6:7], s[24:25], exec
	s_and_b64 s[4:5], s[4:5], exec
	s_or_b64 s[24:25], s[6:7], s[4:5]
.LBB755_612:                            ;   in Loop: Header=BB755_556 Depth=1
	s_or_b64 exec, exec, s[30:31]
	s_orn2_b64 s[24:25], s[24:25], exec
.LBB755_613:                            ;   in Loop: Header=BB755_556 Depth=1
	s_or_b64 exec, exec, s[28:29]
	v_cndmask_b32_e64 v2, v16, v17, s[24:25]
	v_cndmask_b32_e64 v3, v96, v31, s[24:25]
	v_add_u32_e32 v12, 1, v2
	v_add_u32_e32 v2, -1, v3
	v_min_u32_e32 v54, v12, v2
	v_lshl_add_u64 v[2:3], v[54:55], 3, v[10:11]
	flat_load_dwordx2 v[2:3], v[2:3]
	v_cndmask_b32_e64 v16, v12, v16, s[24:25]
	s_mov_b64 s[28:29], -1
	v_cndmask_b32_e64 v17, v17, v12, s[24:25]
	v_cmp_lt_u32_e64 s[4:5], v16, v96
	s_mov_b64 s[30:31], -1
	s_waitcnt vmcnt(0) lgkmcnt(0)
	v_cndmask_b32_e64 v97, v3, v84, s[24:25]
	v_cndmask_b32_e64 v98, v2, v85, s[24:25]
	;; [unrolled: 1-line block ×4, first 2 shown]
	s_and_saveexec_b64 s[34:35], s[4:5]
	s_cbranch_execz .LBB755_621
; %bb.614:                              ;   in Loop: Header=BB755_556 Depth=1
	v_cmp_lt_u32_e64 s[30:31], v17, v31
	s_xor_b64 s[4:5], s[0:1], -1
	s_and_b64 s[4:5], s[30:31], s[4:5]
	s_and_saveexec_b64 s[36:37], s[4:5]
	s_cbranch_execz .LBB755_620
; %bb.615:                              ;   in Loop: Header=BB755_556 Depth=1
	v_mad_u64_u32 v[2:3], s[4:5], v66, v100, v[8:9]
	v_mul_lo_u32 v12, v66, v99
	v_mul_lo_u32 v13, v67, v100
	v_add3_u32 v3, v13, v3, v12
	v_mad_u64_u32 v[12:13], s[4:5], v66, v98, v[8:9]
	v_mul_lo_u32 v14, v66, v97
	v_mul_lo_u32 v15, v67, v98
	v_add3_u32 v13, v15, v13, v14
	s_mov_b64 s[38:39], 0
	v_mov_b64_e32 v[14:15], v[6:7]
                                        ; implicit-def: $sgpr40_sgpr41
                                        ; implicit-def: $sgpr42_sgpr43
                                        ; implicit-def: $sgpr6_sgpr7
                                        ; implicit-def: $sgpr44_sgpr45
                                        ; implicit-def: $sgpr46_sgpr47
	s_branch .LBB755_617
.LBB755_616:                            ;   in Loop: Header=BB755_617 Depth=2
	s_or_b64 exec, exec, s[48:49]
	s_and_b64 s[4:5], exec, s[42:43]
	s_or_b64 s[38:39], s[4:5], s[38:39]
	s_andn2_b64 s[4:5], s[46:47], exec
	s_and_b64 s[10:11], s[44:45], exec
	s_or_b64 s[46:47], s[4:5], s[10:11]
	s_andn2_b64 s[4:5], s[40:41], exec
	s_and_b64 s[10:11], s[6:7], exec
	s_or_b64 s[40:41], s[4:5], s[10:11]
	s_andn2_b64 exec, exec, s[38:39]
	s_cbranch_execz .LBB755_619
.LBB755_617:                            ;   Parent Loop BB755_556 Depth=1
                                        ; =>  This Inner Loop Header: Depth=2
	flat_load_dwordx2 v[102:103], v[12:13]
	flat_load_dwordx2 v[112:113], v[2:3]
	s_andn2_b64 s[48:49], s[6:7], exec
	s_andn2_b64 s[44:45], s[44:45], exec
	s_or_b64 s[42:43], s[42:43], exec
	s_waitcnt vmcnt(0) lgkmcnt(0)
	v_cmp_ngt_f64_e64 s[6:7], v[102:103], v[112:113]
	v_cmp_lt_f64_e64 s[4:5], v[102:103], v[112:113]
	s_and_b64 s[6:7], s[6:7], s[46:47]
	s_or_b64 s[50:51], s[4:5], s[6:7]
	s_and_b64 s[4:5], s[50:51], exec
	v_cmp_nlg_f64_e64 s[10:11], v[102:103], v[112:113]
	s_or_b64 s[6:7], s[48:49], s[4:5]
	s_and_saveexec_b64 s[48:49], s[10:11]
	s_cbranch_execz .LBB755_616
; %bb.618:                              ;   in Loop: Header=BB755_617 Depth=2
	v_lshl_add_u64 v[14:15], v[14:15], 0, -1
	v_cmp_eq_u64_e64 s[4:5], 0, v[14:15]
	s_andn2_b64 s[10:11], s[44:45], exec
	s_and_b64 s[44:45], s[50:51], exec
	s_or_b64 s[44:45], s[10:11], s[44:45]
	s_andn2_b64 s[10:11], s[42:43], exec
	s_and_b64 s[4:5], s[4:5], exec
	v_lshl_add_u64 v[2:3], v[2:3], 0, 8
	v_lshl_add_u64 v[12:13], v[12:13], 0, 8
	s_andn2_b64 s[6:7], s[6:7], exec
	s_or_b64 s[42:43], s[10:11], s[4:5]
                                        ; implicit-def: $sgpr46_sgpr47
	s_branch .LBB755_616
.LBB755_619:                            ;   in Loop: Header=BB755_556 Depth=1
	s_or_b64 exec, exec, s[38:39]
	s_xor_b64 s[4:5], s[40:41], -1
	s_andn2_b64 s[6:7], s[30:31], exec
	s_and_b64 s[4:5], s[4:5], exec
	s_or_b64 s[30:31], s[6:7], s[4:5]
.LBB755_620:                            ;   in Loop: Header=BB755_556 Depth=1
	s_or_b64 exec, exec, s[36:37]
	s_orn2_b64 s[30:31], s[30:31], exec
.LBB755_621:                            ;   in Loop: Header=BB755_556 Depth=1
	s_or_b64 exec, exec, s[34:35]
	v_cndmask_b32_e64 v2, v16, v17, s[30:31]
	v_cndmask_b32_e64 v3, v96, v31, s[30:31]
	v_add_u32_e32 v12, 1, v2
	v_add_u32_e32 v2, -1, v3
	v_min_u32_e32 v54, v12, v2
	v_lshl_add_u64 v[2:3], v[54:55], 3, v[10:11]
	flat_load_dwordx2 v[2:3], v[2:3]
	v_cndmask_b32_e64 v113, v12, v16, s[30:31]
	v_cndmask_b32_e64 v16, v17, v12, s[30:31]
	v_cmp_lt_u32_e64 s[4:5], v113, v96
	s_waitcnt vmcnt(0) lgkmcnt(0)
	v_cndmask_b32_e64 v101, v3, v97, s[30:31]
	v_cndmask_b32_e64 v102, v2, v98, s[30:31]
	;; [unrolled: 1-line block ×4, first 2 shown]
	s_and_saveexec_b64 s[34:35], s[4:5]
	s_cbranch_execz .LBB755_629
; %bb.622:                              ;   in Loop: Header=BB755_556 Depth=1
	v_cmp_lt_u32_e64 s[28:29], v16, v31
	s_xor_b64 s[4:5], s[0:1], -1
	s_and_b64 s[4:5], s[28:29], s[4:5]
	s_and_saveexec_b64 s[36:37], s[4:5]
	s_cbranch_execz .LBB755_628
; %bb.623:                              ;   in Loop: Header=BB755_556 Depth=1
	v_mad_u64_u32 v[2:3], s[4:5], v66, v112, v[8:9]
	v_mul_lo_u32 v12, v66, v103
	v_mul_lo_u32 v13, v67, v112
	v_add3_u32 v3, v13, v3, v12
	v_mad_u64_u32 v[12:13], s[4:5], v66, v102, v[8:9]
	v_mul_lo_u32 v14, v66, v101
	v_mul_lo_u32 v15, v67, v102
	v_add3_u32 v13, v15, v13, v14
	s_mov_b64 s[38:39], 0
	v_mov_b64_e32 v[14:15], v[6:7]
                                        ; implicit-def: $sgpr40_sgpr41
                                        ; implicit-def: $sgpr42_sgpr43
                                        ; implicit-def: $sgpr6_sgpr7
                                        ; implicit-def: $sgpr44_sgpr45
                                        ; implicit-def: $sgpr46_sgpr47
	s_branch .LBB755_625
.LBB755_624:                            ;   in Loop: Header=BB755_625 Depth=2
	s_or_b64 exec, exec, s[48:49]
	s_and_b64 s[4:5], exec, s[42:43]
	s_or_b64 s[38:39], s[4:5], s[38:39]
	s_andn2_b64 s[4:5], s[46:47], exec
	s_and_b64 s[10:11], s[44:45], exec
	s_or_b64 s[46:47], s[4:5], s[10:11]
	s_andn2_b64 s[4:5], s[40:41], exec
	s_and_b64 s[10:11], s[6:7], exec
	s_or_b64 s[40:41], s[4:5], s[10:11]
	s_andn2_b64 exec, exec, s[38:39]
	s_cbranch_execz .LBB755_627
.LBB755_625:                            ;   Parent Loop BB755_556 Depth=1
                                        ; =>  This Inner Loop Header: Depth=2
	flat_load_dwordx2 v[114:115], v[12:13]
	flat_load_dwordx2 v[116:117], v[2:3]
	s_andn2_b64 s[48:49], s[6:7], exec
	s_andn2_b64 s[44:45], s[44:45], exec
	s_or_b64 s[42:43], s[42:43], exec
	s_waitcnt vmcnt(0) lgkmcnt(0)
	v_cmp_ngt_f64_e64 s[6:7], v[114:115], v[116:117]
	v_cmp_lt_f64_e64 s[4:5], v[114:115], v[116:117]
	s_and_b64 s[6:7], s[6:7], s[46:47]
	s_or_b64 s[50:51], s[4:5], s[6:7]
	s_and_b64 s[4:5], s[50:51], exec
	v_cmp_nlg_f64_e64 s[10:11], v[114:115], v[116:117]
	s_or_b64 s[6:7], s[48:49], s[4:5]
	s_and_saveexec_b64 s[48:49], s[10:11]
	s_cbranch_execz .LBB755_624
; %bb.626:                              ;   in Loop: Header=BB755_625 Depth=2
	v_lshl_add_u64 v[14:15], v[14:15], 0, -1
	v_cmp_eq_u64_e64 s[4:5], 0, v[14:15]
	s_andn2_b64 s[10:11], s[44:45], exec
	s_and_b64 s[44:45], s[50:51], exec
	s_or_b64 s[44:45], s[10:11], s[44:45]
	s_andn2_b64 s[10:11], s[42:43], exec
	s_and_b64 s[4:5], s[4:5], exec
	v_lshl_add_u64 v[2:3], v[2:3], 0, 8
	v_lshl_add_u64 v[12:13], v[12:13], 0, 8
	s_andn2_b64 s[6:7], s[6:7], exec
	s_or_b64 s[42:43], s[10:11], s[4:5]
                                        ; implicit-def: $sgpr46_sgpr47
	s_branch .LBB755_624
.LBB755_627:                            ;   in Loop: Header=BB755_556 Depth=1
	s_or_b64 exec, exec, s[38:39]
	s_xor_b64 s[4:5], s[40:41], -1
	s_andn2_b64 s[6:7], s[28:29], exec
	s_and_b64 s[4:5], s[4:5], exec
	s_or_b64 s[28:29], s[6:7], s[4:5]
.LBB755_628:                            ;   in Loop: Header=BB755_556 Depth=1
	s_or_b64 exec, exec, s[36:37]
	s_orn2_b64 s[28:29], s[28:29], exec
.LBB755_629:                            ;   in Loop: Header=BB755_556 Depth=1
	s_or_b64 exec, exec, s[34:35]
	v_cndmask_b32_e64 v2, v113, v16, s[28:29]
	v_cndmask_b32_e64 v3, v96, v31, s[28:29]
	v_add_u32_e32 v14, 1, v2
	v_add_u32_e32 v2, -1, v3
	v_min_u32_e32 v54, v14, v2
	v_lshl_add_u64 v[2:3], v[54:55], 3, v[10:11]
	flat_load_dwordx2 v[12:13], v[2:3]
	v_cndmask_b32_e64 v15, v14, v113, s[28:29]
	v_cmp_lt_u32_e64 s[4:5], v15, v96
	s_waitcnt vmcnt(0) lgkmcnt(0)
	v_cndmask_b32_e64 v3, v103, v13, s[28:29]
	v_cndmask_b32_e64 v2, v112, v12, s[28:29]
	s_and_saveexec_b64 s[34:35], s[4:5]
	s_cbranch_execz .LBB755_637
; %bb.630:                              ;   in Loop: Header=BB755_556 Depth=1
	v_cndmask_b32_e64 v96, v12, v102, s[28:29]
	v_cndmask_b32_e64 v12, v16, v14, s[28:29]
	v_cmp_ge_u32_e64 s[4:5], v12, v31
	v_cndmask_b32_e64 v54, v13, v101, s[28:29]
	s_or_b64 s[6:7], s[4:5], s[0:1]
	v_cndmask_b32_e64 v13, v3, v54, s[4:5]
	s_xor_b64 s[6:7], s[6:7], -1
	v_cndmask_b32_e64 v12, v2, v96, s[4:5]
	s_and_saveexec_b64 s[36:37], s[6:7]
	s_cbranch_execz .LBB755_636
; %bb.631:                              ;   in Loop: Header=BB755_556 Depth=1
	v_mad_u64_u32 v[12:13], s[4:5], v66, v2, v[8:9]
	v_mul_lo_u32 v14, v66, v3
	v_mul_lo_u32 v15, v67, v2
	v_add3_u32 v13, v15, v13, v14
	v_mad_u64_u32 v[14:15], s[4:5], v66, v96, v[8:9]
	v_mul_lo_u32 v16, v66, v54
	v_mul_lo_u32 v17, v67, v96
	v_add3_u32 v15, v17, v15, v16
	s_mov_b64 s[38:39], 0
	v_mov_b64_e32 v[16:17], v[6:7]
                                        ; implicit-def: $sgpr40_sgpr41
                                        ; implicit-def: $sgpr42_sgpr43
                                        ; implicit-def: $sgpr6_sgpr7
                                        ; implicit-def: $sgpr44_sgpr45
                                        ; implicit-def: $sgpr46_sgpr47
	s_branch .LBB755_633
.LBB755_632:                            ;   in Loop: Header=BB755_633 Depth=2
	s_or_b64 exec, exec, s[48:49]
	s_and_b64 s[4:5], exec, s[42:43]
	s_or_b64 s[38:39], s[4:5], s[38:39]
	s_andn2_b64 s[4:5], s[46:47], exec
	s_and_b64 s[10:11], s[44:45], exec
	s_or_b64 s[46:47], s[4:5], s[10:11]
	s_andn2_b64 s[4:5], s[40:41], exec
	s_and_b64 s[10:11], s[6:7], exec
	s_or_b64 s[40:41], s[4:5], s[10:11]
	s_andn2_b64 exec, exec, s[38:39]
	s_cbranch_execz .LBB755_635
.LBB755_633:                            ;   Parent Loop BB755_556 Depth=1
                                        ; =>  This Inner Loop Header: Depth=2
	flat_load_dwordx2 v[114:115], v[14:15]
	flat_load_dwordx2 v[116:117], v[12:13]
	s_andn2_b64 s[48:49], s[6:7], exec
	s_andn2_b64 s[44:45], s[44:45], exec
	s_or_b64 s[42:43], s[42:43], exec
	s_waitcnt vmcnt(0) lgkmcnt(0)
	v_cmp_ngt_f64_e64 s[6:7], v[114:115], v[116:117]
	v_cmp_lt_f64_e64 s[4:5], v[114:115], v[116:117]
	s_and_b64 s[6:7], s[6:7], s[46:47]
	s_or_b64 s[50:51], s[4:5], s[6:7]
	s_and_b64 s[4:5], s[50:51], exec
	v_cmp_nlg_f64_e64 s[10:11], v[114:115], v[116:117]
	s_or_b64 s[6:7], s[48:49], s[4:5]
	s_and_saveexec_b64 s[48:49], s[10:11]
	s_cbranch_execz .LBB755_632
; %bb.634:                              ;   in Loop: Header=BB755_633 Depth=2
	v_lshl_add_u64 v[16:17], v[16:17], 0, -1
	v_cmp_eq_u64_e64 s[4:5], 0, v[16:17]
	s_andn2_b64 s[10:11], s[44:45], exec
	s_and_b64 s[44:45], s[50:51], exec
	s_or_b64 s[44:45], s[10:11], s[44:45]
	s_andn2_b64 s[10:11], s[42:43], exec
	s_and_b64 s[4:5], s[4:5], exec
	v_lshl_add_u64 v[12:13], v[12:13], 0, 8
	v_lshl_add_u64 v[14:15], v[14:15], 0, 8
	s_andn2_b64 s[6:7], s[6:7], exec
	s_or_b64 s[42:43], s[10:11], s[4:5]
                                        ; implicit-def: $sgpr46_sgpr47
	s_branch .LBB755_632
.LBB755_635:                            ;   in Loop: Header=BB755_556 Depth=1
	s_or_b64 exec, exec, s[38:39]
	v_cndmask_b32_e64 v13, v3, v54, s[40:41]
	v_cndmask_b32_e64 v12, v2, v96, s[40:41]
.LBB755_636:                            ;   in Loop: Header=BB755_556 Depth=1
	s_or_b64 exec, exec, s[36:37]
	v_mov_b64_e32 v[2:3], v[12:13]
.LBB755_637:                            ;   in Loop: Header=BB755_556 Depth=1
	s_or_b64 exec, exec, s[34:35]
	v_cndmask_b32_e64 v15, v97, v99, s[30:31]
	v_cndmask_b32_e64 v14, v98, v100, s[30:31]
	;; [unrolled: 1-line block ×14, first 2 shown]
.LBB755_638:                            ;   in Loop: Header=BB755_556 Depth=1
	s_or_b64 exec, exec, s[16:17]
	s_cmpk_lt_u32 s52, 0x400
	s_barrier
	s_cbranch_scc0 .LBB755_640
; %bb.639:                              ;   in Loop: Header=BB755_556 Depth=1
	s_mov_b32 s52, s53
	s_branch .LBB755_556
.LBB755_640:
	s_barrier
	flat_store_dwordx4 v[52:53], v[20:23]
	flat_store_dwordx4 v[52:53], v[16:19] offset:16
	flat_store_dwordx4 v[52:53], v[12:15] offset:32
	;; [unrolled: 1-line block ×3, first 2 shown]
	s_waitcnt lgkmcnt(0)
	s_barrier
	flat_load_dwordx2 v[0:1], v[24:25]
	flat_load_dwordx2 v[2:3], v[34:35] offset:2048
	flat_load_dwordx2 v[6:7], v[26:27]
	flat_load_dwordx2 v[8:9], v[48:49]
	;; [unrolled: 1-line block ×6, first 2 shown]
	v_mov_b32_e32 v31, 0
	s_movk_i32 s0, 0x1000
	v_lshl_add_u64 v[18:19], v[4:5], 0, v[30:31]
	v_add_co_u32_e32 v20, vcc, s0, v18
	s_mov_b64 s[24:25], exec
	s_nop 0
	v_addc_co_u32_e32 v21, vcc, 0, v19, vcc
	v_add_co_u32_e32 v22, vcc, 0x2000, v18
                                        ; implicit-def: $vgpr64
                                        ; implicit-def: $vgpr65
                                        ; implicit-def: $vgpr30
                                        ; implicit-def: $vgpr32
	s_nop 1
	v_addc_co_u32_e32 v23, vcc, 0, v19, vcc
	v_add_co_u32_e32 v24, vcc, 0x3000, v18
	s_nop 1
	v_addc_co_u32_e32 v25, vcc, 0, v19, vcc
	s_waitcnt vmcnt(0) lgkmcnt(0)
	flat_store_dwordx2 v[18:19], v[0:1]
	flat_store_dwordx2 v[18:19], v[2:3] offset:2048
	flat_store_dwordx2 v[20:21], v[6:7]
	flat_store_dwordx2 v[20:21], v[8:9] offset:2048
	;; [unrolled: 2-line block ×3, first 2 shown]
	flat_store_dwordx2 v[24:25], v[16:17]
                                        ; implicit-def: $vgpr0
                                        ; implicit-def: $vgpr6_vgpr7
                                        ; implicit-def: $vgpr2_vgpr3
                                        ; implicit-def: $vgpr8_vgpr9
                                        ; implicit-def: $vgpr10_vgpr11
                                        ; implicit-def: $vgpr1
	s_andn2_saveexec_b64 s[26:27], s[14:15]
	s_cbranch_execz .LBB755_2
.LBB755_641:
	v_cmp_lt_u32_e32 vcc, v28, v0
                                        ; implicit-def: $vgpr12_vgpr13
	s_and_saveexec_b64 s[0:1], vcc
	s_cbranch_execz .LBB755_643
; %bb.642:
	v_mov_b32_e32 v31, 0
	v_lshl_add_u64 v[12:13], v[2:3], 0, v[30:31]
	flat_load_dwordx2 v[12:13], v[12:13]
.LBB755_643:
	s_or_b64 exec, exec, s[0:1]
	v_add_u32_e32 v33, 0x100, v28
	v_cmp_lt_u32_e64 s[0:1], v33, v0
                                        ; implicit-def: $vgpr14_vgpr15
	s_and_saveexec_b64 s[2:3], s[0:1]
	s_cbranch_execz .LBB755_645
; %bb.644:
	v_mov_b32_e32 v31, 0
	v_lshl_add_u64 v[14:15], v[2:3], 0, v[30:31]
	flat_load_dwordx2 v[14:15], v[14:15] offset:2048
.LBB755_645:
	s_or_b64 exec, exec, s[2:3]
	v_add_u32_e32 v31, 0x200, v28
	v_cmp_lt_u32_e64 s[2:3], v31, v0
                                        ; implicit-def: $vgpr16_vgpr17
	s_and_saveexec_b64 s[4:5], s[2:3]
	s_cbranch_execz .LBB755_647
; %bb.646:
	v_lshlrev_b32_e32 v16, 3, v31
	v_mov_b32_e32 v17, 0
	v_lshl_add_u64 v[16:17], v[2:3], 0, v[16:17]
	flat_load_dwordx2 v[16:17], v[16:17]
.LBB755_647:
	s_or_b64 exec, exec, s[4:5]
	v_add_u32_e32 v36, 0x300, v28
	v_cmp_lt_u32_e64 s[4:5], v36, v0
                                        ; implicit-def: $vgpr18_vgpr19
	s_and_saveexec_b64 s[6:7], s[4:5]
	s_cbranch_execz .LBB755_649
; %bb.648:
	v_lshlrev_b32_e32 v18, 3, v36
	v_mov_b32_e32 v19, 0
	v_lshl_add_u64 v[18:19], v[2:3], 0, v[18:19]
	flat_load_dwordx2 v[18:19], v[18:19]
.LBB755_649:
	s_or_b64 exec, exec, s[6:7]
	v_or_b32_e32 v38, 0x400, v28
	v_cmp_lt_u32_e64 s[6:7], v38, v0
                                        ; implicit-def: $vgpr20_vgpr21
	s_and_saveexec_b64 s[10:11], s[6:7]
	s_cbranch_execz .LBB755_651
; %bb.650:
	v_lshlrev_b32_e32 v20, 3, v38
	v_mov_b32_e32 v21, 0
	v_lshl_add_u64 v[20:21], v[2:3], 0, v[20:21]
	flat_load_dwordx2 v[20:21], v[20:21]
.LBB755_651:
	s_or_b64 exec, exec, s[10:11]
	v_add_u32_e32 v48, 0x500, v28
	v_cmp_lt_u32_e64 s[10:11], v48, v0
                                        ; implicit-def: $vgpr22_vgpr23
	s_and_saveexec_b64 s[14:15], s[10:11]
	s_cbranch_execz .LBB755_653
; %bb.652:
	v_lshlrev_b32_e32 v22, 3, v48
	v_mov_b32_e32 v23, 0
	v_lshl_add_u64 v[22:23], v[2:3], 0, v[22:23]
	flat_load_dwordx2 v[22:23], v[22:23]
.LBB755_653:
	s_or_b64 exec, exec, s[14:15]
	v_add_u32_e32 v50, 0x600, v28
	v_cmp_lt_u32_e64 s[20:21], v50, v0
                                        ; implicit-def: $vgpr24_vgpr25
	s_and_saveexec_b64 s[14:15], s[20:21]
	s_cbranch_execz .LBB755_655
; %bb.654:
	v_lshlrev_b32_e32 v24, 3, v50
	v_mov_b32_e32 v25, 0
	v_lshl_add_u64 v[24:25], v[2:3], 0, v[24:25]
	flat_load_dwordx2 v[24:25], v[24:25]
.LBB755_655:
	s_or_b64 exec, exec, s[14:15]
	v_add_u32_e32 v52, 0x700, v28
	v_cmp_lt_u32_e64 s[14:15], v52, v0
                                        ; implicit-def: $vgpr26_vgpr27
	s_and_saveexec_b64 s[16:17], s[14:15]
	s_cbranch_execz .LBB755_657
; %bb.656:
	v_lshlrev_b32_e32 v26, 3, v52
	v_mov_b32_e32 v27, 0
	v_lshl_add_u64 v[2:3], v[2:3], 0, v[26:27]
	flat_load_dwordx2 v[26:27], v[2:3]
.LBB755_657:
	s_or_b64 exec, exec, s[16:17]
	v_mov_b32_e32 v29, 0
	v_add_lshl_u32 v2, v32, v28, 3
	v_mov_b32_e32 v3, v29
	v_lshl_add_u64 v[2:3], v[10:11], 0, v[2:3]
	s_waitcnt vmcnt(0) lgkmcnt(0)
	flat_store_dwordx2 v[2:3], v[12:13]
	v_lshrrev_b32_e32 v12, 5, v33
	v_add_lshl_u32 v12, v12, v28, 3
	v_mov_b32_e32 v13, v29
	v_lshl_add_u64 v[32:33], v[10:11], 0, v[12:13]
	v_lshrrev_b32_e32 v12, 5, v31
	v_add_lshl_u32 v12, v12, v31, 3
	v_lshl_add_u64 v[34:35], v[10:11], 0, v[12:13]
	v_lshrrev_b32_e32 v12, 5, v36
	v_add_lshl_u32 v12, v12, v36, 3
	;; [unrolled: 3-line block ×6, first 2 shown]
	v_lshl_add_u64 v[52:53], v[10:11], 0, v[12:13]
	v_add_lshl_u32 v12, v1, v30, 3
	v_lshl_add_u64 v[54:55], v[10:11], 0, v[12:13]
	flat_store_dwordx2 v[32:33], v[14:15] offset:2048
	flat_store_dwordx2 v[34:35], v[16:17]
	flat_store_dwordx2 v[36:37], v[18:19]
	;; [unrolled: 1-line block ×6, first 2 shown]
	s_waitcnt lgkmcnt(0)
	s_barrier
	flat_load_dwordx4 v[24:27], v[54:55]
	flat_load_dwordx4 v[20:23], v[54:55] offset:16
	flat_load_dwordx4 v[16:19], v[54:55] offset:32
	;; [unrolled: 1-line block ×3, first 2 shown]
	s_waitcnt lgkmcnt(0)
	s_barrier
	s_load_dwordx2 s[16:17], s[8:9], 0x0
	s_mov_b64 s[34:35], 0
	s_waitcnt lgkmcnt(0)
	s_cmp_lt_u32 s12, s16
	s_cselect_b32 s16, 12, 18
	s_cmp_lt_u32 s13, s17
	s_cselect_b32 s12, 14, 20
	s_add_u32 s12, s8, s12
	s_addc_u32 s13, s9, 0
	s_add_u32 s8, s8, s16
	s_addc_u32 s9, s9, 0
	global_load_ushort v1, v29, s[12:13]
	global_load_ushort v31, v29, s[8:9]
	v_cmp_lt_i64_e64 s[16:17], 0, v[6:7]
	v_cmp_gt_i64_e64 s[8:9], 1, v[6:7]
	s_waitcnt vmcnt(0)
	v_mad_u32_u24 v1, v65, v1, v64
	v_mul_lo_u32 v1, v1, v31
	v_add_lshl_u32 v1, v1, v28, 3
	v_sub_u32_e64 v31, v0, v1 clamp
	v_cmp_lt_u32_e64 s[12:13], 1, v31
	s_and_b64 s[30:31], s[12:13], s[16:17]
	s_and_saveexec_b64 s[28:29], s[30:31]
	s_cbranch_execz .LBB755_665
; %bb.658:
	v_mul_lo_u32 v66, v25, v6
	v_mul_lo_u32 v67, v24, v7
	v_mad_u64_u32 v[64:65], s[12:13], v24, v6, 0
	v_add3_u32 v65, v65, v67, v66
	v_mul_lo_u32 v68, v27, v6
	v_mul_lo_u32 v69, v26, v7
	v_mad_u64_u32 v[66:67], s[12:13], v26, v6, 0
	v_add3_u32 v67, v67, v69, v68
	v_lshl_add_u64 v[64:65], v[64:65], 3, v[8:9]
	v_lshl_add_u64 v[66:67], v[66:67], 3, v[8:9]
	v_mov_b64_e32 v[68:69], v[6:7]
                                        ; implicit-def: $sgpr36_sgpr37
                                        ; implicit-def: $sgpr38_sgpr39
                                        ; implicit-def: $sgpr42_sgpr43
                                        ; implicit-def: $sgpr40_sgpr41
                                        ; implicit-def: $sgpr44_sgpr45
                                        ; implicit-def: $sgpr46_sgpr47
	s_branch .LBB755_660
.LBB755_659:                            ;   in Loop: Header=BB755_660 Depth=1
	s_or_b64 exec, exec, s[48:49]
	s_and_b64 s[12:13], exec, s[42:43]
	s_or_b64 s[34:35], s[12:13], s[34:35]
	s_andn2_b64 s[12:13], s[46:47], exec
	s_and_b64 s[22:23], s[44:45], exec
	s_or_b64 s[46:47], s[12:13], s[22:23]
	s_andn2_b64 s[12:13], s[38:39], exec
	s_and_b64 s[22:23], s[40:41], exec
	s_or_b64 s[38:39], s[12:13], s[22:23]
	s_andn2_b64 s[12:13], s[36:37], exec
	s_and_b64 s[18:19], s[18:19], exec
	s_or_b64 s[36:37], s[12:13], s[18:19]
	s_andn2_b64 exec, exec, s[34:35]
	s_cbranch_execz .LBB755_662
.LBB755_660:                            ; =>This Inner Loop Header: Depth=1
	flat_load_dwordx2 v[70:71], v[66:67]
	flat_load_dwordx2 v[80:81], v[64:65]
	s_andn2_b64 s[44:45], s[44:45], exec
	s_or_b64 s[40:41], s[40:41], exec
	s_or_b64 s[42:43], s[42:43], exec
	s_waitcnt vmcnt(0) lgkmcnt(0)
	v_cmp_ngt_f64_e64 s[18:19], v[70:71], v[80:81]
	v_cmp_lt_f64_e64 s[12:13], v[70:71], v[80:81]
	s_and_b64 s[18:19], s[18:19], s[46:47]
	v_cmp_nlg_f64_e64 s[22:23], v[70:71], v[80:81]
	s_or_b64 s[18:19], s[12:13], s[18:19]
	s_and_saveexec_b64 s[48:49], s[22:23]
	s_cbranch_execz .LBB755_659
; %bb.661:                              ;   in Loop: Header=BB755_660 Depth=1
	v_lshl_add_u64 v[68:69], v[68:69], 0, -1
	v_cmp_eq_u64_e64 s[12:13], 0, v[68:69]
	s_andn2_b64 s[22:23], s[44:45], exec
	s_and_b64 s[44:45], s[18:19], exec
	s_or_b64 s[44:45], s[22:23], s[44:45]
	s_andn2_b64 s[22:23], s[42:43], exec
	s_and_b64 s[12:13], s[12:13], exec
	v_lshl_add_u64 v[64:65], v[64:65], 0, 8
	v_lshl_add_u64 v[66:67], v[66:67], 0, 8
	s_andn2_b64 s[40:41], s[40:41], exec
	s_or_b64 s[42:43], s[22:23], s[12:13]
                                        ; implicit-def: $sgpr46_sgpr47
	s_branch .LBB755_659
.LBB755_662:
	s_or_b64 exec, exec, s[34:35]
	s_and_saveexec_b64 s[12:13], s[38:39]
	s_xor_b64 s[12:13], exec, s[12:13]
; %bb.663:
	v_cndmask_b32_e64 v65, v27, v25, s[36:37]
	v_cndmask_b32_e64 v64, v26, v24, s[36:37]
	;; [unrolled: 1-line block ×4, first 2 shown]
	v_mov_b64_e32 v[26:27], v[64:65]
; %bb.664:
	s_or_b64 exec, exec, s[12:13]
.LBB755_665:
	s_or_b64 exec, exec, s[28:29]
	v_cmp_lt_u32_e64 s[12:13], 3, v31
	s_xor_b64 s[28:29], s[8:9], -1
	s_and_b64 s[34:35], s[12:13], s[28:29]
	s_and_saveexec_b64 s[36:37], s[34:35]
	s_cbranch_execz .LBB755_673
; %bb.666:
	v_mul_lo_u32 v66, v21, v6
	v_mul_lo_u32 v67, v20, v7
	v_mad_u64_u32 v[64:65], s[12:13], v20, v6, 0
	v_add3_u32 v65, v65, v67, v66
	v_mul_lo_u32 v68, v23, v6
	v_mul_lo_u32 v69, v22, v7
	v_mad_u64_u32 v[66:67], s[12:13], v22, v6, 0
	v_add3_u32 v67, v67, v69, v68
	v_lshl_add_u64 v[64:65], v[64:65], 3, v[8:9]
	v_lshl_add_u64 v[66:67], v[66:67], 3, v[8:9]
	s_mov_b64 s[40:41], 0
	v_mov_b64_e32 v[68:69], v[6:7]
                                        ; implicit-def: $sgpr38_sgpr39
                                        ; implicit-def: $sgpr42_sgpr43
                                        ; implicit-def: $sgpr46_sgpr47
                                        ; implicit-def: $sgpr44_sgpr45
                                        ; implicit-def: $sgpr48_sgpr49
                                        ; implicit-def: $sgpr50_sgpr51
	s_branch .LBB755_668
.LBB755_667:                            ;   in Loop: Header=BB755_668 Depth=1
	s_or_b64 exec, exec, s[52:53]
	s_and_b64 s[12:13], exec, s[46:47]
	s_or_b64 s[40:41], s[12:13], s[40:41]
	s_andn2_b64 s[12:13], s[50:51], exec
	s_and_b64 s[22:23], s[48:49], exec
	s_or_b64 s[50:51], s[12:13], s[22:23]
	s_andn2_b64 s[12:13], s[42:43], exec
	s_and_b64 s[22:23], s[44:45], exec
	;; [unrolled: 3-line block ×3, first 2 shown]
	s_or_b64 s[38:39], s[12:13], s[18:19]
	s_andn2_b64 exec, exec, s[40:41]
	s_cbranch_execz .LBB755_670
.LBB755_668:                            ; =>This Inner Loop Header: Depth=1
	flat_load_dwordx2 v[70:71], v[66:67]
	flat_load_dwordx2 v[80:81], v[64:65]
	s_andn2_b64 s[48:49], s[48:49], exec
	s_or_b64 s[44:45], s[44:45], exec
	s_or_b64 s[46:47], s[46:47], exec
	s_waitcnt vmcnt(0) lgkmcnt(0)
	v_cmp_ngt_f64_e64 s[18:19], v[70:71], v[80:81]
	v_cmp_lt_f64_e64 s[12:13], v[70:71], v[80:81]
	s_and_b64 s[18:19], s[18:19], s[50:51]
	v_cmp_nlg_f64_e64 s[22:23], v[70:71], v[80:81]
	s_or_b64 s[18:19], s[12:13], s[18:19]
	s_and_saveexec_b64 s[52:53], s[22:23]
	s_cbranch_execz .LBB755_667
; %bb.669:                              ;   in Loop: Header=BB755_668 Depth=1
	v_lshl_add_u64 v[68:69], v[68:69], 0, -1
	v_cmp_eq_u64_e64 s[12:13], 0, v[68:69]
	s_andn2_b64 s[22:23], s[48:49], exec
	s_and_b64 s[48:49], s[18:19], exec
	s_or_b64 s[48:49], s[22:23], s[48:49]
	s_andn2_b64 s[22:23], s[46:47], exec
	s_and_b64 s[12:13], s[12:13], exec
	v_lshl_add_u64 v[64:65], v[64:65], 0, 8
	v_lshl_add_u64 v[66:67], v[66:67], 0, 8
	s_andn2_b64 s[44:45], s[44:45], exec
	s_or_b64 s[46:47], s[22:23], s[12:13]
                                        ; implicit-def: $sgpr50_sgpr51
	s_branch .LBB755_667
.LBB755_670:
	s_or_b64 exec, exec, s[40:41]
	s_and_saveexec_b64 s[12:13], s[42:43]
	s_xor_b64 s[12:13], exec, s[12:13]
; %bb.671:
	v_cndmask_b32_e64 v65, v21, v23, s[38:39]
	v_cndmask_b32_e64 v64, v20, v22, s[38:39]
	;; [unrolled: 1-line block ×4, first 2 shown]
	v_mov_b64_e32 v[20:21], v[64:65]
; %bb.672:
	s_or_b64 exec, exec, s[12:13]
.LBB755_673:
	s_or_b64 exec, exec, s[36:37]
	v_cmp_lt_u32_e64 s[12:13], 5, v31
	s_and_b64 s[36:37], s[12:13], s[28:29]
	s_and_saveexec_b64 s[38:39], s[36:37]
	s_cbranch_execz .LBB755_681
; %bb.674:
	v_mul_lo_u32 v66, v17, v6
	v_mul_lo_u32 v67, v16, v7
	v_mad_u64_u32 v[64:65], s[12:13], v16, v6, 0
	v_add3_u32 v65, v65, v67, v66
	v_mul_lo_u32 v68, v19, v6
	v_mul_lo_u32 v69, v18, v7
	v_mad_u64_u32 v[66:67], s[12:13], v18, v6, 0
	v_add3_u32 v67, v67, v69, v68
	v_lshl_add_u64 v[64:65], v[64:65], 3, v[8:9]
	v_lshl_add_u64 v[66:67], v[66:67], 3, v[8:9]
	s_mov_b64 s[42:43], 0
	v_mov_b64_e32 v[68:69], v[6:7]
                                        ; implicit-def: $sgpr40_sgpr41
                                        ; implicit-def: $sgpr44_sgpr45
                                        ; implicit-def: $sgpr48_sgpr49
                                        ; implicit-def: $sgpr46_sgpr47
                                        ; implicit-def: $sgpr50_sgpr51
                                        ; implicit-def: $sgpr52_sgpr53
	s_branch .LBB755_676
.LBB755_675:                            ;   in Loop: Header=BB755_676 Depth=1
	s_or_b64 exec, exec, s[54:55]
	s_and_b64 s[12:13], exec, s[48:49]
	s_or_b64 s[42:43], s[12:13], s[42:43]
	s_andn2_b64 s[12:13], s[52:53], exec
	s_and_b64 s[22:23], s[50:51], exec
	s_or_b64 s[52:53], s[12:13], s[22:23]
	s_andn2_b64 s[12:13], s[44:45], exec
	s_and_b64 s[22:23], s[46:47], exec
	;; [unrolled: 3-line block ×3, first 2 shown]
	s_or_b64 s[40:41], s[12:13], s[18:19]
	s_andn2_b64 exec, exec, s[42:43]
	s_cbranch_execz .LBB755_678
.LBB755_676:                            ; =>This Inner Loop Header: Depth=1
	flat_load_dwordx2 v[70:71], v[66:67]
	flat_load_dwordx2 v[80:81], v[64:65]
	s_andn2_b64 s[50:51], s[50:51], exec
	s_or_b64 s[46:47], s[46:47], exec
	s_or_b64 s[48:49], s[48:49], exec
	s_waitcnt vmcnt(0) lgkmcnt(0)
	v_cmp_ngt_f64_e64 s[18:19], v[70:71], v[80:81]
	v_cmp_lt_f64_e64 s[12:13], v[70:71], v[80:81]
	s_and_b64 s[18:19], s[18:19], s[52:53]
	v_cmp_nlg_f64_e64 s[22:23], v[70:71], v[80:81]
	s_or_b64 s[18:19], s[12:13], s[18:19]
	s_and_saveexec_b64 s[54:55], s[22:23]
	s_cbranch_execz .LBB755_675
; %bb.677:                              ;   in Loop: Header=BB755_676 Depth=1
	v_lshl_add_u64 v[68:69], v[68:69], 0, -1
	v_cmp_eq_u64_e64 s[12:13], 0, v[68:69]
	s_andn2_b64 s[22:23], s[50:51], exec
	s_and_b64 s[50:51], s[18:19], exec
	s_or_b64 s[50:51], s[22:23], s[50:51]
	s_andn2_b64 s[22:23], s[48:49], exec
	s_and_b64 s[12:13], s[12:13], exec
	v_lshl_add_u64 v[64:65], v[64:65], 0, 8
	v_lshl_add_u64 v[66:67], v[66:67], 0, 8
	s_andn2_b64 s[46:47], s[46:47], exec
	s_or_b64 s[48:49], s[22:23], s[12:13]
                                        ; implicit-def: $sgpr52_sgpr53
	s_branch .LBB755_675
.LBB755_678:
	s_or_b64 exec, exec, s[42:43]
	s_and_saveexec_b64 s[12:13], s[44:45]
	s_xor_b64 s[12:13], exec, s[12:13]
; %bb.679:
	v_cndmask_b32_e64 v65, v17, v19, s[40:41]
	v_cndmask_b32_e64 v64, v16, v18, s[40:41]
	;; [unrolled: 1-line block ×4, first 2 shown]
	v_mov_b64_e32 v[16:17], v[64:65]
; %bb.680:
	s_or_b64 exec, exec, s[12:13]
.LBB755_681:
	s_or_b64 exec, exec, s[38:39]
	v_cmp_lt_u32_e64 s[12:13], 7, v31
	s_and_b64 s[38:39], s[12:13], s[28:29]
	s_and_saveexec_b64 s[40:41], s[38:39]
	s_cbranch_execz .LBB755_689
; %bb.682:
	v_mul_lo_u32 v66, v13, v6
	v_mul_lo_u32 v67, v12, v7
	v_mad_u64_u32 v[64:65], s[12:13], v12, v6, 0
	v_add3_u32 v65, v65, v67, v66
	v_mul_lo_u32 v68, v15, v6
	v_mul_lo_u32 v69, v14, v7
	v_mad_u64_u32 v[66:67], s[12:13], v14, v6, 0
	v_add3_u32 v67, v67, v69, v68
	v_lshl_add_u64 v[64:65], v[64:65], 3, v[8:9]
	v_lshl_add_u64 v[66:67], v[66:67], 3, v[8:9]
	s_mov_b64 s[44:45], 0
	v_mov_b64_e32 v[68:69], v[6:7]
                                        ; implicit-def: $sgpr42_sgpr43
                                        ; implicit-def: $sgpr46_sgpr47
                                        ; implicit-def: $sgpr50_sgpr51
                                        ; implicit-def: $sgpr48_sgpr49
                                        ; implicit-def: $sgpr52_sgpr53
                                        ; implicit-def: $sgpr54_sgpr55
	s_branch .LBB755_684
.LBB755_683:                            ;   in Loop: Header=BB755_684 Depth=1
	s_or_b64 exec, exec, s[56:57]
	s_and_b64 s[12:13], exec, s[50:51]
	s_or_b64 s[44:45], s[12:13], s[44:45]
	s_andn2_b64 s[12:13], s[54:55], exec
	s_and_b64 s[22:23], s[52:53], exec
	s_or_b64 s[54:55], s[12:13], s[22:23]
	s_andn2_b64 s[12:13], s[46:47], exec
	s_and_b64 s[22:23], s[48:49], exec
	;; [unrolled: 3-line block ×3, first 2 shown]
	s_or_b64 s[42:43], s[12:13], s[18:19]
	s_andn2_b64 exec, exec, s[44:45]
	s_cbranch_execz .LBB755_686
.LBB755_684:                            ; =>This Inner Loop Header: Depth=1
	flat_load_dwordx2 v[70:71], v[66:67]
	flat_load_dwordx2 v[80:81], v[64:65]
	s_andn2_b64 s[52:53], s[52:53], exec
	s_or_b64 s[48:49], s[48:49], exec
	s_or_b64 s[50:51], s[50:51], exec
	s_waitcnt vmcnt(0) lgkmcnt(0)
	v_cmp_ngt_f64_e64 s[18:19], v[70:71], v[80:81]
	v_cmp_lt_f64_e64 s[12:13], v[70:71], v[80:81]
	s_and_b64 s[18:19], s[18:19], s[54:55]
	v_cmp_nlg_f64_e64 s[22:23], v[70:71], v[80:81]
	s_or_b64 s[18:19], s[12:13], s[18:19]
	s_and_saveexec_b64 s[56:57], s[22:23]
	s_cbranch_execz .LBB755_683
; %bb.685:                              ;   in Loop: Header=BB755_684 Depth=1
	v_lshl_add_u64 v[68:69], v[68:69], 0, -1
	v_cmp_eq_u64_e64 s[12:13], 0, v[68:69]
	s_andn2_b64 s[22:23], s[52:53], exec
	s_and_b64 s[52:53], s[18:19], exec
	s_or_b64 s[52:53], s[22:23], s[52:53]
	s_andn2_b64 s[22:23], s[50:51], exec
	s_and_b64 s[12:13], s[12:13], exec
	v_lshl_add_u64 v[64:65], v[64:65], 0, 8
	v_lshl_add_u64 v[66:67], v[66:67], 0, 8
	s_andn2_b64 s[48:49], s[48:49], exec
	s_or_b64 s[50:51], s[22:23], s[12:13]
                                        ; implicit-def: $sgpr54_sgpr55
	s_branch .LBB755_683
.LBB755_686:
	s_or_b64 exec, exec, s[44:45]
	s_and_saveexec_b64 s[12:13], s[46:47]
	s_xor_b64 s[12:13], exec, s[12:13]
; %bb.687:
	v_cndmask_b32_e64 v65, v13, v15, s[42:43]
	v_cndmask_b32_e64 v64, v12, v14, s[42:43]
	;; [unrolled: 1-line block ×4, first 2 shown]
	v_mov_b64_e32 v[12:13], v[64:65]
; %bb.688:
	s_or_b64 exec, exec, s[12:13]
.LBB755_689:
	s_or_b64 exec, exec, s[40:41]
	v_cmp_lt_u32_e64 s[12:13], 2, v31
	s_and_b64 s[40:41], s[12:13], s[28:29]
	s_and_saveexec_b64 s[12:13], s[40:41]
	s_xor_b64 s[42:43], exec, s[12:13]
	s_cbranch_execz .LBB755_697
; %bb.690:
	v_mul_lo_u32 v66, v27, v6
	v_mul_lo_u32 v67, v26, v7
	v_mad_u64_u32 v[64:65], s[12:13], v26, v6, 0
	v_add3_u32 v65, v65, v67, v66
	v_mul_lo_u32 v68, v21, v6
	v_mul_lo_u32 v69, v20, v7
	v_mad_u64_u32 v[66:67], s[12:13], v20, v6, 0
	v_add3_u32 v67, v67, v69, v68
	v_lshl_add_u64 v[64:65], v[64:65], 3, v[8:9]
	v_lshl_add_u64 v[66:67], v[66:67], 3, v[8:9]
	s_mov_b64 s[46:47], 0
	v_mov_b64_e32 v[68:69], v[6:7]
                                        ; implicit-def: $sgpr44_sgpr45
                                        ; implicit-def: $sgpr48_sgpr49
                                        ; implicit-def: $sgpr52_sgpr53
                                        ; implicit-def: $sgpr50_sgpr51
                                        ; implicit-def: $sgpr54_sgpr55
                                        ; implicit-def: $sgpr56_sgpr57
	s_branch .LBB755_692
.LBB755_691:                            ;   in Loop: Header=BB755_692 Depth=1
	s_or_b64 exec, exec, s[58:59]
	s_and_b64 s[12:13], exec, s[52:53]
	s_or_b64 s[46:47], s[12:13], s[46:47]
	s_andn2_b64 s[12:13], s[56:57], exec
	s_and_b64 s[22:23], s[54:55], exec
	s_or_b64 s[56:57], s[12:13], s[22:23]
	s_andn2_b64 s[12:13], s[48:49], exec
	s_and_b64 s[22:23], s[50:51], exec
	;; [unrolled: 3-line block ×3, first 2 shown]
	s_or_b64 s[44:45], s[12:13], s[18:19]
	s_andn2_b64 exec, exec, s[46:47]
	s_cbranch_execz .LBB755_694
.LBB755_692:                            ; =>This Inner Loop Header: Depth=1
	flat_load_dwordx2 v[70:71], v[66:67]
	flat_load_dwordx2 v[80:81], v[64:65]
	s_andn2_b64 s[54:55], s[54:55], exec
	s_or_b64 s[50:51], s[50:51], exec
	s_or_b64 s[52:53], s[52:53], exec
	s_waitcnt vmcnt(0) lgkmcnt(0)
	v_cmp_ngt_f64_e64 s[18:19], v[70:71], v[80:81]
	v_cmp_lt_f64_e64 s[12:13], v[70:71], v[80:81]
	s_and_b64 s[18:19], s[18:19], s[56:57]
	v_cmp_nlg_f64_e64 s[22:23], v[70:71], v[80:81]
	s_or_b64 s[18:19], s[12:13], s[18:19]
	s_and_saveexec_b64 s[58:59], s[22:23]
	s_cbranch_execz .LBB755_691
; %bb.693:                              ;   in Loop: Header=BB755_692 Depth=1
	v_lshl_add_u64 v[68:69], v[68:69], 0, -1
	v_cmp_eq_u64_e64 s[12:13], 0, v[68:69]
	s_andn2_b64 s[22:23], s[54:55], exec
	s_and_b64 s[54:55], s[18:19], exec
	s_or_b64 s[54:55], s[22:23], s[54:55]
	s_andn2_b64 s[22:23], s[52:53], exec
	s_and_b64 s[12:13], s[12:13], exec
	v_lshl_add_u64 v[64:65], v[64:65], 0, 8
	v_lshl_add_u64 v[66:67], v[66:67], 0, 8
	s_andn2_b64 s[50:51], s[50:51], exec
	s_or_b64 s[52:53], s[22:23], s[12:13]
                                        ; implicit-def: $sgpr56_sgpr57
	s_branch .LBB755_691
.LBB755_694:
	s_or_b64 exec, exec, s[46:47]
	s_and_saveexec_b64 s[12:13], s[48:49]
	s_xor_b64 s[12:13], exec, s[12:13]
; %bb.695:
	v_cndmask_b32_e64 v65, v27, v21, s[44:45]
	v_cndmask_b32_e64 v64, v26, v20, s[44:45]
	;; [unrolled: 1-line block ×4, first 2 shown]
	v_mov_b64_e32 v[26:27], v[64:65]
; %bb.696:
	s_or_b64 exec, exec, s[12:13]
.LBB755_697:
	s_or_b64 exec, exec, s[42:43]
	v_cmp_lt_u32_e64 s[12:13], 4, v31
	s_and_b64 s[42:43], s[12:13], s[28:29]
	s_and_saveexec_b64 s[44:45], s[42:43]
	s_cbranch_execz .LBB755_705
; %bb.698:
	v_mul_lo_u32 v66, v23, v6
	v_mul_lo_u32 v67, v22, v7
	v_mad_u64_u32 v[64:65], s[12:13], v22, v6, 0
	v_add3_u32 v65, v65, v67, v66
	v_mul_lo_u32 v68, v17, v6
	v_mul_lo_u32 v69, v16, v7
	v_mad_u64_u32 v[66:67], s[12:13], v16, v6, 0
	v_add3_u32 v67, v67, v69, v68
	v_lshl_add_u64 v[64:65], v[64:65], 3, v[8:9]
	v_lshl_add_u64 v[66:67], v[66:67], 3, v[8:9]
	s_mov_b64 s[48:49], 0
	v_mov_b64_e32 v[68:69], v[6:7]
                                        ; implicit-def: $sgpr46_sgpr47
                                        ; implicit-def: $sgpr50_sgpr51
                                        ; implicit-def: $sgpr54_sgpr55
                                        ; implicit-def: $sgpr52_sgpr53
                                        ; implicit-def: $sgpr56_sgpr57
                                        ; implicit-def: $sgpr58_sgpr59
	s_branch .LBB755_700
.LBB755_699:                            ;   in Loop: Header=BB755_700 Depth=1
	s_or_b64 exec, exec, s[60:61]
	s_and_b64 s[12:13], exec, s[54:55]
	s_or_b64 s[48:49], s[12:13], s[48:49]
	s_andn2_b64 s[12:13], s[58:59], exec
	s_and_b64 s[22:23], s[56:57], exec
	s_or_b64 s[58:59], s[12:13], s[22:23]
	s_andn2_b64 s[12:13], s[50:51], exec
	s_and_b64 s[22:23], s[52:53], exec
	;; [unrolled: 3-line block ×3, first 2 shown]
	s_or_b64 s[46:47], s[12:13], s[18:19]
	s_andn2_b64 exec, exec, s[48:49]
	s_cbranch_execz .LBB755_702
.LBB755_700:                            ; =>This Inner Loop Header: Depth=1
	flat_load_dwordx2 v[70:71], v[66:67]
	flat_load_dwordx2 v[80:81], v[64:65]
	s_andn2_b64 s[56:57], s[56:57], exec
	s_or_b64 s[52:53], s[52:53], exec
	s_or_b64 s[54:55], s[54:55], exec
	s_waitcnt vmcnt(0) lgkmcnt(0)
	v_cmp_ngt_f64_e64 s[18:19], v[70:71], v[80:81]
	v_cmp_lt_f64_e64 s[12:13], v[70:71], v[80:81]
	s_and_b64 s[18:19], s[18:19], s[58:59]
	v_cmp_nlg_f64_e64 s[22:23], v[70:71], v[80:81]
	s_or_b64 s[18:19], s[12:13], s[18:19]
	s_and_saveexec_b64 s[60:61], s[22:23]
	s_cbranch_execz .LBB755_699
; %bb.701:                              ;   in Loop: Header=BB755_700 Depth=1
	v_lshl_add_u64 v[68:69], v[68:69], 0, -1
	v_cmp_eq_u64_e64 s[12:13], 0, v[68:69]
	s_andn2_b64 s[22:23], s[56:57], exec
	s_and_b64 s[56:57], s[18:19], exec
	s_or_b64 s[56:57], s[22:23], s[56:57]
	s_andn2_b64 s[22:23], s[54:55], exec
	s_and_b64 s[12:13], s[12:13], exec
	v_lshl_add_u64 v[64:65], v[64:65], 0, 8
	v_lshl_add_u64 v[66:67], v[66:67], 0, 8
	s_andn2_b64 s[52:53], s[52:53], exec
	s_or_b64 s[54:55], s[22:23], s[12:13]
                                        ; implicit-def: $sgpr58_sgpr59
	s_branch .LBB755_699
.LBB755_702:
	s_or_b64 exec, exec, s[48:49]
	s_and_saveexec_b64 s[12:13], s[50:51]
	s_xor_b64 s[12:13], exec, s[12:13]
; %bb.703:
	v_cndmask_b32_e64 v65, v23, v17, s[46:47]
	v_cndmask_b32_e64 v64, v22, v16, s[46:47]
	;; [unrolled: 1-line block ×4, first 2 shown]
	v_mov_b64_e32 v[22:23], v[64:65]
; %bb.704:
	s_or_b64 exec, exec, s[12:13]
.LBB755_705:
	s_or_b64 exec, exec, s[44:45]
	v_cmp_lt_u32_e64 s[12:13], 6, v31
	s_and_b64 s[44:45], s[12:13], s[28:29]
	s_and_saveexec_b64 s[46:47], s[44:45]
	s_cbranch_execnz .LBB755_727
; %bb.706:
	s_or_b64 exec, exec, s[46:47]
	s_and_saveexec_b64 s[46:47], s[30:31]
	s_cbranch_execnz .LBB755_734
.LBB755_707:
	s_or_b64 exec, exec, s[46:47]
	s_and_saveexec_b64 s[46:47], s[34:35]
	s_cbranch_execnz .LBB755_741
.LBB755_708:
	s_or_b64 exec, exec, s[46:47]
	s_and_saveexec_b64 s[46:47], s[36:37]
	s_cbranch_execnz .LBB755_748
.LBB755_709:
	s_or_b64 exec, exec, s[46:47]
	s_and_saveexec_b64 s[46:47], s[38:39]
	s_cbranch_execnz .LBB755_755
.LBB755_710:
	s_or_b64 exec, exec, s[46:47]
	s_and_saveexec_b64 s[46:47], s[40:41]
	s_cbranch_execnz .LBB755_762
.LBB755_711:
	s_or_b64 exec, exec, s[46:47]
	s_and_saveexec_b64 s[46:47], s[42:43]
	s_cbranch_execnz .LBB755_769
.LBB755_712:
	s_or_b64 exec, exec, s[46:47]
	s_and_saveexec_b64 s[46:47], s[44:45]
	s_cbranch_execnz .LBB755_776
.LBB755_713:
	s_or_b64 exec, exec, s[46:47]
	s_and_saveexec_b64 s[46:47], s[30:31]
	s_cbranch_execnz .LBB755_783
.LBB755_714:
	s_or_b64 exec, exec, s[46:47]
	s_and_saveexec_b64 s[46:47], s[34:35]
	s_cbranch_execnz .LBB755_790
.LBB755_715:
	s_or_b64 exec, exec, s[46:47]
	s_and_saveexec_b64 s[46:47], s[36:37]
	s_cbranch_execnz .LBB755_797
.LBB755_716:
	s_or_b64 exec, exec, s[46:47]
	s_and_saveexec_b64 s[46:47], s[38:39]
	s_cbranch_execnz .LBB755_804
.LBB755_717:
	s_or_b64 exec, exec, s[46:47]
	s_and_saveexec_b64 s[46:47], s[40:41]
	s_cbranch_execnz .LBB755_811
.LBB755_718:
	s_or_b64 exec, exec, s[46:47]
	s_and_saveexec_b64 s[46:47], s[42:43]
	s_cbranch_execnz .LBB755_818
.LBB755_719:
	s_or_b64 exec, exec, s[46:47]
	s_and_saveexec_b64 s[46:47], s[44:45]
	s_cbranch_execnz .LBB755_825
.LBB755_720:
	s_or_b64 exec, exec, s[46:47]
	s_and_saveexec_b64 s[46:47], s[30:31]
	s_cbranch_execnz .LBB755_832
.LBB755_721:
	s_or_b64 exec, exec, s[46:47]
	s_and_saveexec_b64 s[30:31], s[34:35]
	s_cbranch_execnz .LBB755_839
.LBB755_722:
	s_or_b64 exec, exec, s[30:31]
	s_and_saveexec_b64 s[30:31], s[36:37]
	s_cbranch_execnz .LBB755_846
.LBB755_723:
	s_or_b64 exec, exec, s[30:31]
	s_and_saveexec_b64 s[30:31], s[38:39]
	s_cbranch_execnz .LBB755_853
.LBB755_724:
	s_or_b64 exec, exec, s[30:31]
	s_and_saveexec_b64 s[30:31], s[40:41]
	s_cbranch_execnz .LBB755_860
.LBB755_725:
	s_or_b64 exec, exec, s[30:31]
	s_and_saveexec_b64 s[30:31], s[42:43]
	s_cbranch_execnz .LBB755_867
.LBB755_726:
	s_or_b64 exec, exec, s[30:31]
	s_and_saveexec_b64 s[30:31], s[44:45]
	s_cbranch_execnz .LBB755_874
	s_branch .LBB755_881
.LBB755_727:
	v_mul_lo_u32 v31, v19, v6
	v_mul_lo_u32 v66, v18, v7
	v_mad_u64_u32 v[64:65], s[12:13], v18, v6, 0
	v_add3_u32 v65, v65, v66, v31
	v_mul_lo_u32 v31, v13, v6
	v_mul_lo_u32 v68, v12, v7
	v_mad_u64_u32 v[66:67], s[12:13], v12, v6, 0
	v_add3_u32 v67, v67, v68, v31
	v_lshl_add_u64 v[64:65], v[64:65], 3, v[8:9]
	v_lshl_add_u64 v[66:67], v[66:67], 3, v[8:9]
	s_mov_b64 s[50:51], 0
	v_mov_b64_e32 v[68:69], v[6:7]
                                        ; implicit-def: $sgpr48_sgpr49
                                        ; implicit-def: $sgpr52_sgpr53
                                        ; implicit-def: $sgpr56_sgpr57
                                        ; implicit-def: $sgpr54_sgpr55
                                        ; implicit-def: $sgpr58_sgpr59
                                        ; implicit-def: $sgpr60_sgpr61
	s_branch .LBB755_729
.LBB755_728:                            ;   in Loop: Header=BB755_729 Depth=1
	s_or_b64 exec, exec, s[62:63]
	s_and_b64 s[12:13], exec, s[56:57]
	s_or_b64 s[50:51], s[12:13], s[50:51]
	s_andn2_b64 s[12:13], s[60:61], exec
	s_and_b64 s[22:23], s[58:59], exec
	s_or_b64 s[60:61], s[12:13], s[22:23]
	s_andn2_b64 s[12:13], s[52:53], exec
	s_and_b64 s[22:23], s[54:55], exec
	;; [unrolled: 3-line block ×3, first 2 shown]
	s_or_b64 s[48:49], s[12:13], s[18:19]
	s_andn2_b64 exec, exec, s[50:51]
	s_cbranch_execz .LBB755_731
.LBB755_729:                            ; =>This Inner Loop Header: Depth=1
	flat_load_dwordx2 v[70:71], v[66:67]
	flat_load_dwordx2 v[80:81], v[64:65]
	s_andn2_b64 s[58:59], s[58:59], exec
	s_or_b64 s[54:55], s[54:55], exec
	s_or_b64 s[56:57], s[56:57], exec
	s_waitcnt vmcnt(0) lgkmcnt(0)
	v_cmp_ngt_f64_e64 s[18:19], v[70:71], v[80:81]
	v_cmp_lt_f64_e64 s[12:13], v[70:71], v[80:81]
	s_and_b64 s[18:19], s[18:19], s[60:61]
	v_cmp_nlg_f64_e64 s[22:23], v[70:71], v[80:81]
	s_or_b64 s[18:19], s[12:13], s[18:19]
	s_and_saveexec_b64 s[62:63], s[22:23]
	s_cbranch_execz .LBB755_728
; %bb.730:                              ;   in Loop: Header=BB755_729 Depth=1
	v_lshl_add_u64 v[68:69], v[68:69], 0, -1
	v_cmp_eq_u64_e64 s[12:13], 0, v[68:69]
	s_andn2_b64 s[22:23], s[58:59], exec
	s_and_b64 s[58:59], s[18:19], exec
	s_or_b64 s[58:59], s[22:23], s[58:59]
	s_andn2_b64 s[22:23], s[56:57], exec
	s_and_b64 s[12:13], s[12:13], exec
	v_lshl_add_u64 v[64:65], v[64:65], 0, 8
	v_lshl_add_u64 v[66:67], v[66:67], 0, 8
	s_andn2_b64 s[54:55], s[54:55], exec
	s_or_b64 s[56:57], s[22:23], s[12:13]
                                        ; implicit-def: $sgpr60_sgpr61
	s_branch .LBB755_728
.LBB755_731:
	s_or_b64 exec, exec, s[50:51]
	s_and_saveexec_b64 s[12:13], s[52:53]
	s_xor_b64 s[12:13], exec, s[12:13]
; %bb.732:
	v_cndmask_b32_e64 v65, v19, v13, s[48:49]
	v_cndmask_b32_e64 v64, v18, v12, s[48:49]
	;; [unrolled: 1-line block ×4, first 2 shown]
	v_mov_b64_e32 v[18:19], v[64:65]
; %bb.733:
	s_or_b64 exec, exec, s[12:13]
	s_or_b64 exec, exec, s[46:47]
	s_and_saveexec_b64 s[46:47], s[30:31]
	s_cbranch_execz .LBB755_707
.LBB755_734:
	v_mul_lo_u32 v31, v25, v6
	v_mul_lo_u32 v66, v24, v7
	v_mad_u64_u32 v[64:65], s[12:13], v24, v6, 0
	v_add3_u32 v65, v65, v66, v31
	v_mul_lo_u32 v31, v27, v6
	v_mul_lo_u32 v68, v26, v7
	v_mad_u64_u32 v[66:67], s[12:13], v26, v6, 0
	v_add3_u32 v67, v67, v68, v31
	v_lshl_add_u64 v[64:65], v[64:65], 3, v[8:9]
	v_lshl_add_u64 v[66:67], v[66:67], 3, v[8:9]
	s_mov_b64 s[50:51], 0
	v_mov_b64_e32 v[68:69], v[6:7]
                                        ; implicit-def: $sgpr48_sgpr49
                                        ; implicit-def: $sgpr52_sgpr53
                                        ; implicit-def: $sgpr56_sgpr57
                                        ; implicit-def: $sgpr54_sgpr55
                                        ; implicit-def: $sgpr58_sgpr59
                                        ; implicit-def: $sgpr60_sgpr61
	s_branch .LBB755_736
.LBB755_735:                            ;   in Loop: Header=BB755_736 Depth=1
	s_or_b64 exec, exec, s[62:63]
	s_and_b64 s[12:13], exec, s[56:57]
	s_or_b64 s[50:51], s[12:13], s[50:51]
	s_andn2_b64 s[12:13], s[60:61], exec
	s_and_b64 s[22:23], s[58:59], exec
	s_or_b64 s[60:61], s[12:13], s[22:23]
	s_andn2_b64 s[12:13], s[52:53], exec
	s_and_b64 s[22:23], s[54:55], exec
	;; [unrolled: 3-line block ×3, first 2 shown]
	s_or_b64 s[48:49], s[12:13], s[18:19]
	s_andn2_b64 exec, exec, s[50:51]
	s_cbranch_execz .LBB755_738
.LBB755_736:                            ; =>This Inner Loop Header: Depth=1
	flat_load_dwordx2 v[70:71], v[66:67]
	flat_load_dwordx2 v[80:81], v[64:65]
	s_andn2_b64 s[58:59], s[58:59], exec
	s_or_b64 s[54:55], s[54:55], exec
	s_or_b64 s[56:57], s[56:57], exec
	s_waitcnt vmcnt(0) lgkmcnt(0)
	v_cmp_ngt_f64_e64 s[18:19], v[70:71], v[80:81]
	v_cmp_lt_f64_e64 s[12:13], v[70:71], v[80:81]
	s_and_b64 s[18:19], s[18:19], s[60:61]
	v_cmp_nlg_f64_e64 s[22:23], v[70:71], v[80:81]
	s_or_b64 s[18:19], s[12:13], s[18:19]
	s_and_saveexec_b64 s[62:63], s[22:23]
	s_cbranch_execz .LBB755_735
; %bb.737:                              ;   in Loop: Header=BB755_736 Depth=1
	v_lshl_add_u64 v[68:69], v[68:69], 0, -1
	v_cmp_eq_u64_e64 s[12:13], 0, v[68:69]
	s_andn2_b64 s[22:23], s[58:59], exec
	s_and_b64 s[58:59], s[18:19], exec
	s_or_b64 s[58:59], s[22:23], s[58:59]
	s_andn2_b64 s[22:23], s[56:57], exec
	s_and_b64 s[12:13], s[12:13], exec
	v_lshl_add_u64 v[64:65], v[64:65], 0, 8
	v_lshl_add_u64 v[66:67], v[66:67], 0, 8
	s_andn2_b64 s[54:55], s[54:55], exec
	s_or_b64 s[56:57], s[22:23], s[12:13]
                                        ; implicit-def: $sgpr60_sgpr61
	s_branch .LBB755_735
.LBB755_738:
	s_or_b64 exec, exec, s[50:51]
	s_and_saveexec_b64 s[12:13], s[52:53]
	s_xor_b64 s[12:13], exec, s[12:13]
; %bb.739:
	v_cndmask_b32_e64 v65, v27, v25, s[48:49]
	v_cndmask_b32_e64 v64, v26, v24, s[48:49]
	;; [unrolled: 1-line block ×4, first 2 shown]
	v_mov_b64_e32 v[26:27], v[64:65]
; %bb.740:
	s_or_b64 exec, exec, s[12:13]
	s_or_b64 exec, exec, s[46:47]
	s_and_saveexec_b64 s[46:47], s[34:35]
	s_cbranch_execz .LBB755_708
.LBB755_741:
	v_mul_lo_u32 v31, v21, v6
	v_mul_lo_u32 v66, v20, v7
	v_mad_u64_u32 v[64:65], s[12:13], v20, v6, 0
	v_add3_u32 v65, v65, v66, v31
	v_mul_lo_u32 v31, v23, v6
	v_mul_lo_u32 v68, v22, v7
	v_mad_u64_u32 v[66:67], s[12:13], v22, v6, 0
	v_add3_u32 v67, v67, v68, v31
	v_lshl_add_u64 v[64:65], v[64:65], 3, v[8:9]
	v_lshl_add_u64 v[66:67], v[66:67], 3, v[8:9]
	s_mov_b64 s[50:51], 0
	v_mov_b64_e32 v[68:69], v[6:7]
                                        ; implicit-def: $sgpr48_sgpr49
                                        ; implicit-def: $sgpr52_sgpr53
                                        ; implicit-def: $sgpr56_sgpr57
                                        ; implicit-def: $sgpr54_sgpr55
                                        ; implicit-def: $sgpr58_sgpr59
                                        ; implicit-def: $sgpr60_sgpr61
	s_branch .LBB755_743
.LBB755_742:                            ;   in Loop: Header=BB755_743 Depth=1
	s_or_b64 exec, exec, s[62:63]
	s_and_b64 s[12:13], exec, s[56:57]
	s_or_b64 s[50:51], s[12:13], s[50:51]
	s_andn2_b64 s[12:13], s[60:61], exec
	s_and_b64 s[22:23], s[58:59], exec
	s_or_b64 s[60:61], s[12:13], s[22:23]
	s_andn2_b64 s[12:13], s[52:53], exec
	s_and_b64 s[22:23], s[54:55], exec
	;; [unrolled: 3-line block ×3, first 2 shown]
	s_or_b64 s[48:49], s[12:13], s[18:19]
	s_andn2_b64 exec, exec, s[50:51]
	s_cbranch_execz .LBB755_745
.LBB755_743:                            ; =>This Inner Loop Header: Depth=1
	flat_load_dwordx2 v[70:71], v[66:67]
	flat_load_dwordx2 v[80:81], v[64:65]
	s_andn2_b64 s[58:59], s[58:59], exec
	s_or_b64 s[54:55], s[54:55], exec
	s_or_b64 s[56:57], s[56:57], exec
	s_waitcnt vmcnt(0) lgkmcnt(0)
	v_cmp_ngt_f64_e64 s[18:19], v[70:71], v[80:81]
	v_cmp_lt_f64_e64 s[12:13], v[70:71], v[80:81]
	s_and_b64 s[18:19], s[18:19], s[60:61]
	v_cmp_nlg_f64_e64 s[22:23], v[70:71], v[80:81]
	s_or_b64 s[18:19], s[12:13], s[18:19]
	s_and_saveexec_b64 s[62:63], s[22:23]
	s_cbranch_execz .LBB755_742
; %bb.744:                              ;   in Loop: Header=BB755_743 Depth=1
	v_lshl_add_u64 v[68:69], v[68:69], 0, -1
	v_cmp_eq_u64_e64 s[12:13], 0, v[68:69]
	s_andn2_b64 s[22:23], s[58:59], exec
	s_and_b64 s[58:59], s[18:19], exec
	s_or_b64 s[58:59], s[22:23], s[58:59]
	s_andn2_b64 s[22:23], s[56:57], exec
	s_and_b64 s[12:13], s[12:13], exec
	v_lshl_add_u64 v[64:65], v[64:65], 0, 8
	v_lshl_add_u64 v[66:67], v[66:67], 0, 8
	s_andn2_b64 s[54:55], s[54:55], exec
	s_or_b64 s[56:57], s[22:23], s[12:13]
                                        ; implicit-def: $sgpr60_sgpr61
	s_branch .LBB755_742
.LBB755_745:
	s_or_b64 exec, exec, s[50:51]
	s_and_saveexec_b64 s[12:13], s[52:53]
	s_xor_b64 s[12:13], exec, s[12:13]
; %bb.746:
	v_cndmask_b32_e64 v65, v21, v23, s[48:49]
	v_cndmask_b32_e64 v64, v20, v22, s[48:49]
	;; [unrolled: 1-line block ×4, first 2 shown]
	v_mov_b64_e32 v[20:21], v[64:65]
; %bb.747:
	s_or_b64 exec, exec, s[12:13]
	s_or_b64 exec, exec, s[46:47]
	s_and_saveexec_b64 s[46:47], s[36:37]
	s_cbranch_execz .LBB755_709
.LBB755_748:
	v_mul_lo_u32 v31, v17, v6
	v_mul_lo_u32 v66, v16, v7
	v_mad_u64_u32 v[64:65], s[12:13], v16, v6, 0
	v_add3_u32 v65, v65, v66, v31
	v_mul_lo_u32 v31, v19, v6
	v_mul_lo_u32 v68, v18, v7
	v_mad_u64_u32 v[66:67], s[12:13], v18, v6, 0
	v_add3_u32 v67, v67, v68, v31
	v_lshl_add_u64 v[64:65], v[64:65], 3, v[8:9]
	v_lshl_add_u64 v[66:67], v[66:67], 3, v[8:9]
	s_mov_b64 s[50:51], 0
	v_mov_b64_e32 v[68:69], v[6:7]
                                        ; implicit-def: $sgpr48_sgpr49
                                        ; implicit-def: $sgpr52_sgpr53
                                        ; implicit-def: $sgpr56_sgpr57
                                        ; implicit-def: $sgpr54_sgpr55
                                        ; implicit-def: $sgpr58_sgpr59
                                        ; implicit-def: $sgpr60_sgpr61
	s_branch .LBB755_750
.LBB755_749:                            ;   in Loop: Header=BB755_750 Depth=1
	s_or_b64 exec, exec, s[62:63]
	s_and_b64 s[12:13], exec, s[56:57]
	s_or_b64 s[50:51], s[12:13], s[50:51]
	s_andn2_b64 s[12:13], s[60:61], exec
	s_and_b64 s[22:23], s[58:59], exec
	s_or_b64 s[60:61], s[12:13], s[22:23]
	s_andn2_b64 s[12:13], s[52:53], exec
	s_and_b64 s[22:23], s[54:55], exec
	;; [unrolled: 3-line block ×3, first 2 shown]
	s_or_b64 s[48:49], s[12:13], s[18:19]
	s_andn2_b64 exec, exec, s[50:51]
	s_cbranch_execz .LBB755_752
.LBB755_750:                            ; =>This Inner Loop Header: Depth=1
	flat_load_dwordx2 v[70:71], v[66:67]
	flat_load_dwordx2 v[80:81], v[64:65]
	s_andn2_b64 s[58:59], s[58:59], exec
	s_or_b64 s[54:55], s[54:55], exec
	s_or_b64 s[56:57], s[56:57], exec
	s_waitcnt vmcnt(0) lgkmcnt(0)
	v_cmp_ngt_f64_e64 s[18:19], v[70:71], v[80:81]
	v_cmp_lt_f64_e64 s[12:13], v[70:71], v[80:81]
	s_and_b64 s[18:19], s[18:19], s[60:61]
	v_cmp_nlg_f64_e64 s[22:23], v[70:71], v[80:81]
	s_or_b64 s[18:19], s[12:13], s[18:19]
	s_and_saveexec_b64 s[62:63], s[22:23]
	s_cbranch_execz .LBB755_749
; %bb.751:                              ;   in Loop: Header=BB755_750 Depth=1
	v_lshl_add_u64 v[68:69], v[68:69], 0, -1
	v_cmp_eq_u64_e64 s[12:13], 0, v[68:69]
	s_andn2_b64 s[22:23], s[58:59], exec
	s_and_b64 s[58:59], s[18:19], exec
	s_or_b64 s[58:59], s[22:23], s[58:59]
	s_andn2_b64 s[22:23], s[56:57], exec
	s_and_b64 s[12:13], s[12:13], exec
	v_lshl_add_u64 v[64:65], v[64:65], 0, 8
	v_lshl_add_u64 v[66:67], v[66:67], 0, 8
	s_andn2_b64 s[54:55], s[54:55], exec
	s_or_b64 s[56:57], s[22:23], s[12:13]
                                        ; implicit-def: $sgpr60_sgpr61
	s_branch .LBB755_749
.LBB755_752:
	s_or_b64 exec, exec, s[50:51]
	s_and_saveexec_b64 s[12:13], s[52:53]
	s_xor_b64 s[12:13], exec, s[12:13]
; %bb.753:
	v_cndmask_b32_e64 v65, v17, v19, s[48:49]
	v_cndmask_b32_e64 v64, v16, v18, s[48:49]
	v_cndmask_b32_e64 v19, v19, v17, s[48:49]
	v_cndmask_b32_e64 v18, v18, v16, s[48:49]
	v_mov_b64_e32 v[16:17], v[64:65]
; %bb.754:
	s_or_b64 exec, exec, s[12:13]
	s_or_b64 exec, exec, s[46:47]
	s_and_saveexec_b64 s[46:47], s[38:39]
	s_cbranch_execz .LBB755_710
.LBB755_755:
	v_mul_lo_u32 v31, v13, v6
	v_mul_lo_u32 v66, v12, v7
	v_mad_u64_u32 v[64:65], s[12:13], v12, v6, 0
	v_add3_u32 v65, v65, v66, v31
	v_mul_lo_u32 v31, v15, v6
	v_mul_lo_u32 v68, v14, v7
	v_mad_u64_u32 v[66:67], s[12:13], v14, v6, 0
	v_add3_u32 v67, v67, v68, v31
	v_lshl_add_u64 v[64:65], v[64:65], 3, v[8:9]
	v_lshl_add_u64 v[66:67], v[66:67], 3, v[8:9]
	s_mov_b64 s[50:51], 0
	v_mov_b64_e32 v[68:69], v[6:7]
                                        ; implicit-def: $sgpr48_sgpr49
                                        ; implicit-def: $sgpr52_sgpr53
                                        ; implicit-def: $sgpr56_sgpr57
                                        ; implicit-def: $sgpr54_sgpr55
                                        ; implicit-def: $sgpr58_sgpr59
                                        ; implicit-def: $sgpr60_sgpr61
	s_branch .LBB755_757
.LBB755_756:                            ;   in Loop: Header=BB755_757 Depth=1
	s_or_b64 exec, exec, s[62:63]
	s_and_b64 s[12:13], exec, s[56:57]
	s_or_b64 s[50:51], s[12:13], s[50:51]
	s_andn2_b64 s[12:13], s[60:61], exec
	s_and_b64 s[22:23], s[58:59], exec
	s_or_b64 s[60:61], s[12:13], s[22:23]
	s_andn2_b64 s[12:13], s[52:53], exec
	s_and_b64 s[22:23], s[54:55], exec
	;; [unrolled: 3-line block ×3, first 2 shown]
	s_or_b64 s[48:49], s[12:13], s[18:19]
	s_andn2_b64 exec, exec, s[50:51]
	s_cbranch_execz .LBB755_759
.LBB755_757:                            ; =>This Inner Loop Header: Depth=1
	flat_load_dwordx2 v[70:71], v[66:67]
	flat_load_dwordx2 v[80:81], v[64:65]
	s_andn2_b64 s[58:59], s[58:59], exec
	s_or_b64 s[54:55], s[54:55], exec
	s_or_b64 s[56:57], s[56:57], exec
	s_waitcnt vmcnt(0) lgkmcnt(0)
	v_cmp_ngt_f64_e64 s[18:19], v[70:71], v[80:81]
	v_cmp_lt_f64_e64 s[12:13], v[70:71], v[80:81]
	s_and_b64 s[18:19], s[18:19], s[60:61]
	v_cmp_nlg_f64_e64 s[22:23], v[70:71], v[80:81]
	s_or_b64 s[18:19], s[12:13], s[18:19]
	s_and_saveexec_b64 s[62:63], s[22:23]
	s_cbranch_execz .LBB755_756
; %bb.758:                              ;   in Loop: Header=BB755_757 Depth=1
	v_lshl_add_u64 v[68:69], v[68:69], 0, -1
	v_cmp_eq_u64_e64 s[12:13], 0, v[68:69]
	s_andn2_b64 s[22:23], s[58:59], exec
	s_and_b64 s[58:59], s[18:19], exec
	s_or_b64 s[58:59], s[22:23], s[58:59]
	s_andn2_b64 s[22:23], s[56:57], exec
	s_and_b64 s[12:13], s[12:13], exec
	v_lshl_add_u64 v[64:65], v[64:65], 0, 8
	v_lshl_add_u64 v[66:67], v[66:67], 0, 8
	s_andn2_b64 s[54:55], s[54:55], exec
	s_or_b64 s[56:57], s[22:23], s[12:13]
                                        ; implicit-def: $sgpr60_sgpr61
	s_branch .LBB755_756
.LBB755_759:
	s_or_b64 exec, exec, s[50:51]
	s_and_saveexec_b64 s[12:13], s[52:53]
	s_xor_b64 s[12:13], exec, s[12:13]
; %bb.760:
	v_cndmask_b32_e64 v65, v13, v15, s[48:49]
	v_cndmask_b32_e64 v64, v12, v14, s[48:49]
	v_cndmask_b32_e64 v15, v15, v13, s[48:49]
	v_cndmask_b32_e64 v14, v14, v12, s[48:49]
	v_mov_b64_e32 v[12:13], v[64:65]
; %bb.761:
	s_or_b64 exec, exec, s[12:13]
	s_or_b64 exec, exec, s[46:47]
	s_and_saveexec_b64 s[46:47], s[40:41]
	s_cbranch_execz .LBB755_711
.LBB755_762:
	v_mul_lo_u32 v31, v27, v6
	v_mul_lo_u32 v66, v26, v7
	v_mad_u64_u32 v[64:65], s[12:13], v26, v6, 0
	v_add3_u32 v65, v65, v66, v31
	v_mul_lo_u32 v31, v21, v6
	v_mul_lo_u32 v68, v20, v7
	v_mad_u64_u32 v[66:67], s[12:13], v20, v6, 0
	v_add3_u32 v67, v67, v68, v31
	v_lshl_add_u64 v[64:65], v[64:65], 3, v[8:9]
	v_lshl_add_u64 v[66:67], v[66:67], 3, v[8:9]
	s_mov_b64 s[50:51], 0
	v_mov_b64_e32 v[68:69], v[6:7]
                                        ; implicit-def: $sgpr48_sgpr49
                                        ; implicit-def: $sgpr52_sgpr53
                                        ; implicit-def: $sgpr56_sgpr57
                                        ; implicit-def: $sgpr54_sgpr55
                                        ; implicit-def: $sgpr58_sgpr59
                                        ; implicit-def: $sgpr60_sgpr61
	s_branch .LBB755_764
.LBB755_763:                            ;   in Loop: Header=BB755_764 Depth=1
	s_or_b64 exec, exec, s[62:63]
	s_and_b64 s[12:13], exec, s[56:57]
	s_or_b64 s[50:51], s[12:13], s[50:51]
	s_andn2_b64 s[12:13], s[60:61], exec
	s_and_b64 s[22:23], s[58:59], exec
	s_or_b64 s[60:61], s[12:13], s[22:23]
	s_andn2_b64 s[12:13], s[52:53], exec
	s_and_b64 s[22:23], s[54:55], exec
	;; [unrolled: 3-line block ×3, first 2 shown]
	s_or_b64 s[48:49], s[12:13], s[18:19]
	s_andn2_b64 exec, exec, s[50:51]
	s_cbranch_execz .LBB755_766
.LBB755_764:                            ; =>This Inner Loop Header: Depth=1
	flat_load_dwordx2 v[70:71], v[66:67]
	flat_load_dwordx2 v[80:81], v[64:65]
	s_andn2_b64 s[58:59], s[58:59], exec
	s_or_b64 s[54:55], s[54:55], exec
	s_or_b64 s[56:57], s[56:57], exec
	s_waitcnt vmcnt(0) lgkmcnt(0)
	v_cmp_ngt_f64_e64 s[18:19], v[70:71], v[80:81]
	v_cmp_lt_f64_e64 s[12:13], v[70:71], v[80:81]
	s_and_b64 s[18:19], s[18:19], s[60:61]
	v_cmp_nlg_f64_e64 s[22:23], v[70:71], v[80:81]
	s_or_b64 s[18:19], s[12:13], s[18:19]
	s_and_saveexec_b64 s[62:63], s[22:23]
	s_cbranch_execz .LBB755_763
; %bb.765:                              ;   in Loop: Header=BB755_764 Depth=1
	v_lshl_add_u64 v[68:69], v[68:69], 0, -1
	v_cmp_eq_u64_e64 s[12:13], 0, v[68:69]
	s_andn2_b64 s[22:23], s[58:59], exec
	s_and_b64 s[58:59], s[18:19], exec
	s_or_b64 s[58:59], s[22:23], s[58:59]
	s_andn2_b64 s[22:23], s[56:57], exec
	s_and_b64 s[12:13], s[12:13], exec
	v_lshl_add_u64 v[64:65], v[64:65], 0, 8
	v_lshl_add_u64 v[66:67], v[66:67], 0, 8
	s_andn2_b64 s[54:55], s[54:55], exec
	s_or_b64 s[56:57], s[22:23], s[12:13]
                                        ; implicit-def: $sgpr60_sgpr61
	s_branch .LBB755_763
.LBB755_766:
	s_or_b64 exec, exec, s[50:51]
	s_and_saveexec_b64 s[12:13], s[52:53]
	s_xor_b64 s[12:13], exec, s[12:13]
; %bb.767:
	v_cndmask_b32_e64 v65, v27, v21, s[48:49]
	v_cndmask_b32_e64 v64, v26, v20, s[48:49]
	;; [unrolled: 1-line block ×4, first 2 shown]
	v_mov_b64_e32 v[26:27], v[64:65]
; %bb.768:
	s_or_b64 exec, exec, s[12:13]
	s_or_b64 exec, exec, s[46:47]
	s_and_saveexec_b64 s[46:47], s[42:43]
	s_cbranch_execz .LBB755_712
.LBB755_769:
	v_mul_lo_u32 v31, v23, v6
	v_mul_lo_u32 v66, v22, v7
	v_mad_u64_u32 v[64:65], s[12:13], v22, v6, 0
	v_add3_u32 v65, v65, v66, v31
	v_mul_lo_u32 v31, v17, v6
	v_mul_lo_u32 v68, v16, v7
	v_mad_u64_u32 v[66:67], s[12:13], v16, v6, 0
	v_add3_u32 v67, v67, v68, v31
	v_lshl_add_u64 v[64:65], v[64:65], 3, v[8:9]
	v_lshl_add_u64 v[66:67], v[66:67], 3, v[8:9]
	s_mov_b64 s[50:51], 0
	v_mov_b64_e32 v[68:69], v[6:7]
                                        ; implicit-def: $sgpr48_sgpr49
                                        ; implicit-def: $sgpr52_sgpr53
                                        ; implicit-def: $sgpr56_sgpr57
                                        ; implicit-def: $sgpr54_sgpr55
                                        ; implicit-def: $sgpr58_sgpr59
                                        ; implicit-def: $sgpr60_sgpr61
	s_branch .LBB755_771
.LBB755_770:                            ;   in Loop: Header=BB755_771 Depth=1
	s_or_b64 exec, exec, s[62:63]
	s_and_b64 s[12:13], exec, s[56:57]
	s_or_b64 s[50:51], s[12:13], s[50:51]
	s_andn2_b64 s[12:13], s[60:61], exec
	s_and_b64 s[22:23], s[58:59], exec
	s_or_b64 s[60:61], s[12:13], s[22:23]
	s_andn2_b64 s[12:13], s[52:53], exec
	s_and_b64 s[22:23], s[54:55], exec
	;; [unrolled: 3-line block ×3, first 2 shown]
	s_or_b64 s[48:49], s[12:13], s[18:19]
	s_andn2_b64 exec, exec, s[50:51]
	s_cbranch_execz .LBB755_773
.LBB755_771:                            ; =>This Inner Loop Header: Depth=1
	flat_load_dwordx2 v[70:71], v[66:67]
	flat_load_dwordx2 v[80:81], v[64:65]
	s_andn2_b64 s[58:59], s[58:59], exec
	s_or_b64 s[54:55], s[54:55], exec
	s_or_b64 s[56:57], s[56:57], exec
	s_waitcnt vmcnt(0) lgkmcnt(0)
	v_cmp_ngt_f64_e64 s[18:19], v[70:71], v[80:81]
	v_cmp_lt_f64_e64 s[12:13], v[70:71], v[80:81]
	s_and_b64 s[18:19], s[18:19], s[60:61]
	v_cmp_nlg_f64_e64 s[22:23], v[70:71], v[80:81]
	s_or_b64 s[18:19], s[12:13], s[18:19]
	s_and_saveexec_b64 s[62:63], s[22:23]
	s_cbranch_execz .LBB755_770
; %bb.772:                              ;   in Loop: Header=BB755_771 Depth=1
	v_lshl_add_u64 v[68:69], v[68:69], 0, -1
	v_cmp_eq_u64_e64 s[12:13], 0, v[68:69]
	s_andn2_b64 s[22:23], s[58:59], exec
	s_and_b64 s[58:59], s[18:19], exec
	s_or_b64 s[58:59], s[22:23], s[58:59]
	s_andn2_b64 s[22:23], s[56:57], exec
	s_and_b64 s[12:13], s[12:13], exec
	v_lshl_add_u64 v[64:65], v[64:65], 0, 8
	v_lshl_add_u64 v[66:67], v[66:67], 0, 8
	s_andn2_b64 s[54:55], s[54:55], exec
	s_or_b64 s[56:57], s[22:23], s[12:13]
                                        ; implicit-def: $sgpr60_sgpr61
	s_branch .LBB755_770
.LBB755_773:
	s_or_b64 exec, exec, s[50:51]
	s_and_saveexec_b64 s[12:13], s[52:53]
	s_xor_b64 s[12:13], exec, s[12:13]
; %bb.774:
	v_cndmask_b32_e64 v65, v23, v17, s[48:49]
	v_cndmask_b32_e64 v64, v22, v16, s[48:49]
	;; [unrolled: 1-line block ×4, first 2 shown]
	v_mov_b64_e32 v[22:23], v[64:65]
; %bb.775:
	s_or_b64 exec, exec, s[12:13]
	s_or_b64 exec, exec, s[46:47]
	s_and_saveexec_b64 s[46:47], s[44:45]
	s_cbranch_execz .LBB755_713
.LBB755_776:
	v_mul_lo_u32 v31, v19, v6
	v_mul_lo_u32 v66, v18, v7
	v_mad_u64_u32 v[64:65], s[12:13], v18, v6, 0
	v_add3_u32 v65, v65, v66, v31
	v_mul_lo_u32 v31, v13, v6
	v_mul_lo_u32 v68, v12, v7
	v_mad_u64_u32 v[66:67], s[12:13], v12, v6, 0
	v_add3_u32 v67, v67, v68, v31
	v_lshl_add_u64 v[64:65], v[64:65], 3, v[8:9]
	v_lshl_add_u64 v[66:67], v[66:67], 3, v[8:9]
	s_mov_b64 s[50:51], 0
	v_mov_b64_e32 v[68:69], v[6:7]
                                        ; implicit-def: $sgpr48_sgpr49
                                        ; implicit-def: $sgpr52_sgpr53
                                        ; implicit-def: $sgpr56_sgpr57
                                        ; implicit-def: $sgpr54_sgpr55
                                        ; implicit-def: $sgpr58_sgpr59
                                        ; implicit-def: $sgpr60_sgpr61
	s_branch .LBB755_778
.LBB755_777:                            ;   in Loop: Header=BB755_778 Depth=1
	s_or_b64 exec, exec, s[62:63]
	s_and_b64 s[12:13], exec, s[56:57]
	s_or_b64 s[50:51], s[12:13], s[50:51]
	s_andn2_b64 s[12:13], s[60:61], exec
	s_and_b64 s[22:23], s[58:59], exec
	s_or_b64 s[60:61], s[12:13], s[22:23]
	s_andn2_b64 s[12:13], s[52:53], exec
	s_and_b64 s[22:23], s[54:55], exec
	;; [unrolled: 3-line block ×3, first 2 shown]
	s_or_b64 s[48:49], s[12:13], s[18:19]
	s_andn2_b64 exec, exec, s[50:51]
	s_cbranch_execz .LBB755_780
.LBB755_778:                            ; =>This Inner Loop Header: Depth=1
	flat_load_dwordx2 v[70:71], v[66:67]
	flat_load_dwordx2 v[80:81], v[64:65]
	s_andn2_b64 s[58:59], s[58:59], exec
	s_or_b64 s[54:55], s[54:55], exec
	s_or_b64 s[56:57], s[56:57], exec
	s_waitcnt vmcnt(0) lgkmcnt(0)
	v_cmp_ngt_f64_e64 s[18:19], v[70:71], v[80:81]
	v_cmp_lt_f64_e64 s[12:13], v[70:71], v[80:81]
	s_and_b64 s[18:19], s[18:19], s[60:61]
	v_cmp_nlg_f64_e64 s[22:23], v[70:71], v[80:81]
	s_or_b64 s[18:19], s[12:13], s[18:19]
	s_and_saveexec_b64 s[62:63], s[22:23]
	s_cbranch_execz .LBB755_777
; %bb.779:                              ;   in Loop: Header=BB755_778 Depth=1
	v_lshl_add_u64 v[68:69], v[68:69], 0, -1
	v_cmp_eq_u64_e64 s[12:13], 0, v[68:69]
	s_andn2_b64 s[22:23], s[58:59], exec
	s_and_b64 s[58:59], s[18:19], exec
	s_or_b64 s[58:59], s[22:23], s[58:59]
	s_andn2_b64 s[22:23], s[56:57], exec
	s_and_b64 s[12:13], s[12:13], exec
	v_lshl_add_u64 v[64:65], v[64:65], 0, 8
	v_lshl_add_u64 v[66:67], v[66:67], 0, 8
	s_andn2_b64 s[54:55], s[54:55], exec
	s_or_b64 s[56:57], s[22:23], s[12:13]
                                        ; implicit-def: $sgpr60_sgpr61
	s_branch .LBB755_777
.LBB755_780:
	s_or_b64 exec, exec, s[50:51]
	s_and_saveexec_b64 s[12:13], s[52:53]
	s_xor_b64 s[12:13], exec, s[12:13]
; %bb.781:
	v_cndmask_b32_e64 v65, v19, v13, s[48:49]
	v_cndmask_b32_e64 v64, v18, v12, s[48:49]
	;; [unrolled: 1-line block ×4, first 2 shown]
	v_mov_b64_e32 v[18:19], v[64:65]
; %bb.782:
	s_or_b64 exec, exec, s[12:13]
	s_or_b64 exec, exec, s[46:47]
	s_and_saveexec_b64 s[46:47], s[30:31]
	s_cbranch_execz .LBB755_714
.LBB755_783:
	v_mul_lo_u32 v31, v25, v6
	v_mul_lo_u32 v66, v24, v7
	v_mad_u64_u32 v[64:65], s[12:13], v24, v6, 0
	v_add3_u32 v65, v65, v66, v31
	v_mul_lo_u32 v31, v27, v6
	v_mul_lo_u32 v68, v26, v7
	v_mad_u64_u32 v[66:67], s[12:13], v26, v6, 0
	v_add3_u32 v67, v67, v68, v31
	v_lshl_add_u64 v[64:65], v[64:65], 3, v[8:9]
	v_lshl_add_u64 v[66:67], v[66:67], 3, v[8:9]
	s_mov_b64 s[50:51], 0
	v_mov_b64_e32 v[68:69], v[6:7]
                                        ; implicit-def: $sgpr48_sgpr49
                                        ; implicit-def: $sgpr52_sgpr53
                                        ; implicit-def: $sgpr56_sgpr57
                                        ; implicit-def: $sgpr54_sgpr55
                                        ; implicit-def: $sgpr58_sgpr59
                                        ; implicit-def: $sgpr60_sgpr61
	s_branch .LBB755_785
.LBB755_784:                            ;   in Loop: Header=BB755_785 Depth=1
	s_or_b64 exec, exec, s[62:63]
	s_and_b64 s[12:13], exec, s[56:57]
	s_or_b64 s[50:51], s[12:13], s[50:51]
	s_andn2_b64 s[12:13], s[60:61], exec
	s_and_b64 s[22:23], s[58:59], exec
	s_or_b64 s[60:61], s[12:13], s[22:23]
	s_andn2_b64 s[12:13], s[52:53], exec
	s_and_b64 s[22:23], s[54:55], exec
	;; [unrolled: 3-line block ×3, first 2 shown]
	s_or_b64 s[48:49], s[12:13], s[18:19]
	s_andn2_b64 exec, exec, s[50:51]
	s_cbranch_execz .LBB755_787
.LBB755_785:                            ; =>This Inner Loop Header: Depth=1
	flat_load_dwordx2 v[70:71], v[66:67]
	flat_load_dwordx2 v[80:81], v[64:65]
	s_andn2_b64 s[58:59], s[58:59], exec
	s_or_b64 s[54:55], s[54:55], exec
	s_or_b64 s[56:57], s[56:57], exec
	s_waitcnt vmcnt(0) lgkmcnt(0)
	v_cmp_ngt_f64_e64 s[18:19], v[70:71], v[80:81]
	v_cmp_lt_f64_e64 s[12:13], v[70:71], v[80:81]
	s_and_b64 s[18:19], s[18:19], s[60:61]
	v_cmp_nlg_f64_e64 s[22:23], v[70:71], v[80:81]
	s_or_b64 s[18:19], s[12:13], s[18:19]
	s_and_saveexec_b64 s[62:63], s[22:23]
	s_cbranch_execz .LBB755_784
; %bb.786:                              ;   in Loop: Header=BB755_785 Depth=1
	v_lshl_add_u64 v[68:69], v[68:69], 0, -1
	v_cmp_eq_u64_e64 s[12:13], 0, v[68:69]
	s_andn2_b64 s[22:23], s[58:59], exec
	s_and_b64 s[58:59], s[18:19], exec
	s_or_b64 s[58:59], s[22:23], s[58:59]
	s_andn2_b64 s[22:23], s[56:57], exec
	s_and_b64 s[12:13], s[12:13], exec
	v_lshl_add_u64 v[64:65], v[64:65], 0, 8
	v_lshl_add_u64 v[66:67], v[66:67], 0, 8
	s_andn2_b64 s[54:55], s[54:55], exec
	s_or_b64 s[56:57], s[22:23], s[12:13]
                                        ; implicit-def: $sgpr60_sgpr61
	s_branch .LBB755_784
.LBB755_787:
	s_or_b64 exec, exec, s[50:51]
	s_and_saveexec_b64 s[12:13], s[52:53]
	s_xor_b64 s[12:13], exec, s[12:13]
; %bb.788:
	v_cndmask_b32_e64 v65, v27, v25, s[48:49]
	v_cndmask_b32_e64 v64, v26, v24, s[48:49]
	;; [unrolled: 1-line block ×4, first 2 shown]
	v_mov_b64_e32 v[26:27], v[64:65]
; %bb.789:
	s_or_b64 exec, exec, s[12:13]
	s_or_b64 exec, exec, s[46:47]
	s_and_saveexec_b64 s[46:47], s[34:35]
	s_cbranch_execz .LBB755_715
.LBB755_790:
	v_mul_lo_u32 v31, v21, v6
	v_mul_lo_u32 v66, v20, v7
	v_mad_u64_u32 v[64:65], s[12:13], v20, v6, 0
	v_add3_u32 v65, v65, v66, v31
	v_mul_lo_u32 v31, v23, v6
	v_mul_lo_u32 v68, v22, v7
	v_mad_u64_u32 v[66:67], s[12:13], v22, v6, 0
	v_add3_u32 v67, v67, v68, v31
	v_lshl_add_u64 v[64:65], v[64:65], 3, v[8:9]
	v_lshl_add_u64 v[66:67], v[66:67], 3, v[8:9]
	s_mov_b64 s[50:51], 0
	v_mov_b64_e32 v[68:69], v[6:7]
                                        ; implicit-def: $sgpr48_sgpr49
                                        ; implicit-def: $sgpr52_sgpr53
                                        ; implicit-def: $sgpr56_sgpr57
                                        ; implicit-def: $sgpr54_sgpr55
                                        ; implicit-def: $sgpr58_sgpr59
                                        ; implicit-def: $sgpr60_sgpr61
	s_branch .LBB755_792
.LBB755_791:                            ;   in Loop: Header=BB755_792 Depth=1
	s_or_b64 exec, exec, s[62:63]
	s_and_b64 s[12:13], exec, s[56:57]
	s_or_b64 s[50:51], s[12:13], s[50:51]
	s_andn2_b64 s[12:13], s[60:61], exec
	s_and_b64 s[22:23], s[58:59], exec
	s_or_b64 s[60:61], s[12:13], s[22:23]
	s_andn2_b64 s[12:13], s[52:53], exec
	s_and_b64 s[22:23], s[54:55], exec
	;; [unrolled: 3-line block ×3, first 2 shown]
	s_or_b64 s[48:49], s[12:13], s[18:19]
	s_andn2_b64 exec, exec, s[50:51]
	s_cbranch_execz .LBB755_794
.LBB755_792:                            ; =>This Inner Loop Header: Depth=1
	flat_load_dwordx2 v[70:71], v[66:67]
	flat_load_dwordx2 v[80:81], v[64:65]
	s_andn2_b64 s[58:59], s[58:59], exec
	s_or_b64 s[54:55], s[54:55], exec
	s_or_b64 s[56:57], s[56:57], exec
	s_waitcnt vmcnt(0) lgkmcnt(0)
	v_cmp_ngt_f64_e64 s[18:19], v[70:71], v[80:81]
	v_cmp_lt_f64_e64 s[12:13], v[70:71], v[80:81]
	s_and_b64 s[18:19], s[18:19], s[60:61]
	v_cmp_nlg_f64_e64 s[22:23], v[70:71], v[80:81]
	s_or_b64 s[18:19], s[12:13], s[18:19]
	s_and_saveexec_b64 s[62:63], s[22:23]
	s_cbranch_execz .LBB755_791
; %bb.793:                              ;   in Loop: Header=BB755_792 Depth=1
	v_lshl_add_u64 v[68:69], v[68:69], 0, -1
	v_cmp_eq_u64_e64 s[12:13], 0, v[68:69]
	s_andn2_b64 s[22:23], s[58:59], exec
	s_and_b64 s[58:59], s[18:19], exec
	s_or_b64 s[58:59], s[22:23], s[58:59]
	s_andn2_b64 s[22:23], s[56:57], exec
	s_and_b64 s[12:13], s[12:13], exec
	v_lshl_add_u64 v[64:65], v[64:65], 0, 8
	v_lshl_add_u64 v[66:67], v[66:67], 0, 8
	s_andn2_b64 s[54:55], s[54:55], exec
	s_or_b64 s[56:57], s[22:23], s[12:13]
                                        ; implicit-def: $sgpr60_sgpr61
	s_branch .LBB755_791
.LBB755_794:
	s_or_b64 exec, exec, s[50:51]
	s_and_saveexec_b64 s[12:13], s[52:53]
	s_xor_b64 s[12:13], exec, s[12:13]
; %bb.795:
	v_cndmask_b32_e64 v65, v21, v23, s[48:49]
	v_cndmask_b32_e64 v64, v20, v22, s[48:49]
	;; [unrolled: 1-line block ×4, first 2 shown]
	v_mov_b64_e32 v[20:21], v[64:65]
; %bb.796:
	s_or_b64 exec, exec, s[12:13]
	s_or_b64 exec, exec, s[46:47]
	s_and_saveexec_b64 s[46:47], s[36:37]
	s_cbranch_execz .LBB755_716
.LBB755_797:
	v_mul_lo_u32 v31, v17, v6
	v_mul_lo_u32 v66, v16, v7
	v_mad_u64_u32 v[64:65], s[12:13], v16, v6, 0
	v_add3_u32 v65, v65, v66, v31
	v_mul_lo_u32 v31, v19, v6
	v_mul_lo_u32 v68, v18, v7
	v_mad_u64_u32 v[66:67], s[12:13], v18, v6, 0
	v_add3_u32 v67, v67, v68, v31
	v_lshl_add_u64 v[64:65], v[64:65], 3, v[8:9]
	v_lshl_add_u64 v[66:67], v[66:67], 3, v[8:9]
	s_mov_b64 s[50:51], 0
	v_mov_b64_e32 v[68:69], v[6:7]
                                        ; implicit-def: $sgpr48_sgpr49
                                        ; implicit-def: $sgpr52_sgpr53
                                        ; implicit-def: $sgpr56_sgpr57
                                        ; implicit-def: $sgpr54_sgpr55
                                        ; implicit-def: $sgpr58_sgpr59
                                        ; implicit-def: $sgpr60_sgpr61
	s_branch .LBB755_799
.LBB755_798:                            ;   in Loop: Header=BB755_799 Depth=1
	s_or_b64 exec, exec, s[62:63]
	s_and_b64 s[12:13], exec, s[56:57]
	s_or_b64 s[50:51], s[12:13], s[50:51]
	s_andn2_b64 s[12:13], s[60:61], exec
	s_and_b64 s[22:23], s[58:59], exec
	s_or_b64 s[60:61], s[12:13], s[22:23]
	s_andn2_b64 s[12:13], s[52:53], exec
	s_and_b64 s[22:23], s[54:55], exec
	s_or_b64 s[52:53], s[12:13], s[22:23]
	s_andn2_b64 s[12:13], s[48:49], exec
	s_and_b64 s[18:19], s[18:19], exec
	s_or_b64 s[48:49], s[12:13], s[18:19]
	s_andn2_b64 exec, exec, s[50:51]
	s_cbranch_execz .LBB755_801
.LBB755_799:                            ; =>This Inner Loop Header: Depth=1
	flat_load_dwordx2 v[70:71], v[66:67]
	flat_load_dwordx2 v[80:81], v[64:65]
	s_andn2_b64 s[58:59], s[58:59], exec
	s_or_b64 s[54:55], s[54:55], exec
	s_or_b64 s[56:57], s[56:57], exec
	s_waitcnt vmcnt(0) lgkmcnt(0)
	v_cmp_ngt_f64_e64 s[18:19], v[70:71], v[80:81]
	v_cmp_lt_f64_e64 s[12:13], v[70:71], v[80:81]
	s_and_b64 s[18:19], s[18:19], s[60:61]
	v_cmp_nlg_f64_e64 s[22:23], v[70:71], v[80:81]
	s_or_b64 s[18:19], s[12:13], s[18:19]
	s_and_saveexec_b64 s[62:63], s[22:23]
	s_cbranch_execz .LBB755_798
; %bb.800:                              ;   in Loop: Header=BB755_799 Depth=1
	v_lshl_add_u64 v[68:69], v[68:69], 0, -1
	v_cmp_eq_u64_e64 s[12:13], 0, v[68:69]
	s_andn2_b64 s[22:23], s[58:59], exec
	s_and_b64 s[58:59], s[18:19], exec
	s_or_b64 s[58:59], s[22:23], s[58:59]
	s_andn2_b64 s[22:23], s[56:57], exec
	s_and_b64 s[12:13], s[12:13], exec
	v_lshl_add_u64 v[64:65], v[64:65], 0, 8
	v_lshl_add_u64 v[66:67], v[66:67], 0, 8
	s_andn2_b64 s[54:55], s[54:55], exec
	s_or_b64 s[56:57], s[22:23], s[12:13]
                                        ; implicit-def: $sgpr60_sgpr61
	s_branch .LBB755_798
.LBB755_801:
	s_or_b64 exec, exec, s[50:51]
	s_and_saveexec_b64 s[12:13], s[52:53]
	s_xor_b64 s[12:13], exec, s[12:13]
; %bb.802:
	v_cndmask_b32_e64 v65, v17, v19, s[48:49]
	v_cndmask_b32_e64 v64, v16, v18, s[48:49]
	v_cndmask_b32_e64 v19, v19, v17, s[48:49]
	v_cndmask_b32_e64 v18, v18, v16, s[48:49]
	v_mov_b64_e32 v[16:17], v[64:65]
; %bb.803:
	s_or_b64 exec, exec, s[12:13]
	s_or_b64 exec, exec, s[46:47]
	s_and_saveexec_b64 s[46:47], s[38:39]
	s_cbranch_execz .LBB755_717
.LBB755_804:
	v_mul_lo_u32 v31, v13, v6
	v_mul_lo_u32 v66, v12, v7
	v_mad_u64_u32 v[64:65], s[12:13], v12, v6, 0
	v_add3_u32 v65, v65, v66, v31
	v_mul_lo_u32 v31, v15, v6
	v_mul_lo_u32 v68, v14, v7
	v_mad_u64_u32 v[66:67], s[12:13], v14, v6, 0
	v_add3_u32 v67, v67, v68, v31
	v_lshl_add_u64 v[64:65], v[64:65], 3, v[8:9]
	v_lshl_add_u64 v[66:67], v[66:67], 3, v[8:9]
	s_mov_b64 s[50:51], 0
	v_mov_b64_e32 v[68:69], v[6:7]
                                        ; implicit-def: $sgpr48_sgpr49
                                        ; implicit-def: $sgpr52_sgpr53
                                        ; implicit-def: $sgpr56_sgpr57
                                        ; implicit-def: $sgpr54_sgpr55
                                        ; implicit-def: $sgpr58_sgpr59
                                        ; implicit-def: $sgpr60_sgpr61
	s_branch .LBB755_806
.LBB755_805:                            ;   in Loop: Header=BB755_806 Depth=1
	s_or_b64 exec, exec, s[62:63]
	s_and_b64 s[12:13], exec, s[56:57]
	s_or_b64 s[50:51], s[12:13], s[50:51]
	s_andn2_b64 s[12:13], s[60:61], exec
	s_and_b64 s[22:23], s[58:59], exec
	s_or_b64 s[60:61], s[12:13], s[22:23]
	s_andn2_b64 s[12:13], s[52:53], exec
	s_and_b64 s[22:23], s[54:55], exec
	;; [unrolled: 3-line block ×3, first 2 shown]
	s_or_b64 s[48:49], s[12:13], s[18:19]
	s_andn2_b64 exec, exec, s[50:51]
	s_cbranch_execz .LBB755_808
.LBB755_806:                            ; =>This Inner Loop Header: Depth=1
	flat_load_dwordx2 v[70:71], v[66:67]
	flat_load_dwordx2 v[80:81], v[64:65]
	s_andn2_b64 s[58:59], s[58:59], exec
	s_or_b64 s[54:55], s[54:55], exec
	s_or_b64 s[56:57], s[56:57], exec
	s_waitcnt vmcnt(0) lgkmcnt(0)
	v_cmp_ngt_f64_e64 s[18:19], v[70:71], v[80:81]
	v_cmp_lt_f64_e64 s[12:13], v[70:71], v[80:81]
	s_and_b64 s[18:19], s[18:19], s[60:61]
	v_cmp_nlg_f64_e64 s[22:23], v[70:71], v[80:81]
	s_or_b64 s[18:19], s[12:13], s[18:19]
	s_and_saveexec_b64 s[62:63], s[22:23]
	s_cbranch_execz .LBB755_805
; %bb.807:                              ;   in Loop: Header=BB755_806 Depth=1
	v_lshl_add_u64 v[68:69], v[68:69], 0, -1
	v_cmp_eq_u64_e64 s[12:13], 0, v[68:69]
	s_andn2_b64 s[22:23], s[58:59], exec
	s_and_b64 s[58:59], s[18:19], exec
	s_or_b64 s[58:59], s[22:23], s[58:59]
	s_andn2_b64 s[22:23], s[56:57], exec
	s_and_b64 s[12:13], s[12:13], exec
	v_lshl_add_u64 v[64:65], v[64:65], 0, 8
	v_lshl_add_u64 v[66:67], v[66:67], 0, 8
	s_andn2_b64 s[54:55], s[54:55], exec
	s_or_b64 s[56:57], s[22:23], s[12:13]
                                        ; implicit-def: $sgpr60_sgpr61
	s_branch .LBB755_805
.LBB755_808:
	s_or_b64 exec, exec, s[50:51]
	s_and_saveexec_b64 s[12:13], s[52:53]
	s_xor_b64 s[12:13], exec, s[12:13]
; %bb.809:
	v_cndmask_b32_e64 v65, v13, v15, s[48:49]
	v_cndmask_b32_e64 v64, v12, v14, s[48:49]
	;; [unrolled: 1-line block ×4, first 2 shown]
	v_mov_b64_e32 v[12:13], v[64:65]
; %bb.810:
	s_or_b64 exec, exec, s[12:13]
	s_or_b64 exec, exec, s[46:47]
	s_and_saveexec_b64 s[46:47], s[40:41]
	s_cbranch_execz .LBB755_718
.LBB755_811:
	v_mul_lo_u32 v31, v27, v6
	v_mul_lo_u32 v66, v26, v7
	v_mad_u64_u32 v[64:65], s[12:13], v26, v6, 0
	v_add3_u32 v65, v65, v66, v31
	v_mul_lo_u32 v31, v21, v6
	v_mul_lo_u32 v68, v20, v7
	v_mad_u64_u32 v[66:67], s[12:13], v20, v6, 0
	v_add3_u32 v67, v67, v68, v31
	v_lshl_add_u64 v[64:65], v[64:65], 3, v[8:9]
	v_lshl_add_u64 v[66:67], v[66:67], 3, v[8:9]
	s_mov_b64 s[50:51], 0
	v_mov_b64_e32 v[68:69], v[6:7]
                                        ; implicit-def: $sgpr48_sgpr49
                                        ; implicit-def: $sgpr52_sgpr53
                                        ; implicit-def: $sgpr56_sgpr57
                                        ; implicit-def: $sgpr54_sgpr55
                                        ; implicit-def: $sgpr58_sgpr59
                                        ; implicit-def: $sgpr60_sgpr61
	s_branch .LBB755_813
.LBB755_812:                            ;   in Loop: Header=BB755_813 Depth=1
	s_or_b64 exec, exec, s[62:63]
	s_and_b64 s[12:13], exec, s[56:57]
	s_or_b64 s[50:51], s[12:13], s[50:51]
	s_andn2_b64 s[12:13], s[60:61], exec
	s_and_b64 s[22:23], s[58:59], exec
	s_or_b64 s[60:61], s[12:13], s[22:23]
	s_andn2_b64 s[12:13], s[52:53], exec
	s_and_b64 s[22:23], s[54:55], exec
	;; [unrolled: 3-line block ×3, first 2 shown]
	s_or_b64 s[48:49], s[12:13], s[18:19]
	s_andn2_b64 exec, exec, s[50:51]
	s_cbranch_execz .LBB755_815
.LBB755_813:                            ; =>This Inner Loop Header: Depth=1
	flat_load_dwordx2 v[70:71], v[66:67]
	flat_load_dwordx2 v[80:81], v[64:65]
	s_andn2_b64 s[58:59], s[58:59], exec
	s_or_b64 s[54:55], s[54:55], exec
	s_or_b64 s[56:57], s[56:57], exec
	s_waitcnt vmcnt(0) lgkmcnt(0)
	v_cmp_ngt_f64_e64 s[18:19], v[70:71], v[80:81]
	v_cmp_lt_f64_e64 s[12:13], v[70:71], v[80:81]
	s_and_b64 s[18:19], s[18:19], s[60:61]
	v_cmp_nlg_f64_e64 s[22:23], v[70:71], v[80:81]
	s_or_b64 s[18:19], s[12:13], s[18:19]
	s_and_saveexec_b64 s[62:63], s[22:23]
	s_cbranch_execz .LBB755_812
; %bb.814:                              ;   in Loop: Header=BB755_813 Depth=1
	v_lshl_add_u64 v[68:69], v[68:69], 0, -1
	v_cmp_eq_u64_e64 s[12:13], 0, v[68:69]
	s_andn2_b64 s[22:23], s[58:59], exec
	s_and_b64 s[58:59], s[18:19], exec
	s_or_b64 s[58:59], s[22:23], s[58:59]
	s_andn2_b64 s[22:23], s[56:57], exec
	s_and_b64 s[12:13], s[12:13], exec
	v_lshl_add_u64 v[64:65], v[64:65], 0, 8
	v_lshl_add_u64 v[66:67], v[66:67], 0, 8
	s_andn2_b64 s[54:55], s[54:55], exec
	s_or_b64 s[56:57], s[22:23], s[12:13]
                                        ; implicit-def: $sgpr60_sgpr61
	s_branch .LBB755_812
.LBB755_815:
	s_or_b64 exec, exec, s[50:51]
	s_and_saveexec_b64 s[12:13], s[52:53]
	s_xor_b64 s[12:13], exec, s[12:13]
; %bb.816:
	v_cndmask_b32_e64 v65, v27, v21, s[48:49]
	v_cndmask_b32_e64 v64, v26, v20, s[48:49]
	;; [unrolled: 1-line block ×4, first 2 shown]
	v_mov_b64_e32 v[26:27], v[64:65]
; %bb.817:
	s_or_b64 exec, exec, s[12:13]
	s_or_b64 exec, exec, s[46:47]
	s_and_saveexec_b64 s[46:47], s[42:43]
	s_cbranch_execz .LBB755_719
.LBB755_818:
	v_mul_lo_u32 v31, v23, v6
	v_mul_lo_u32 v66, v22, v7
	v_mad_u64_u32 v[64:65], s[12:13], v22, v6, 0
	v_add3_u32 v65, v65, v66, v31
	v_mul_lo_u32 v31, v17, v6
	v_mul_lo_u32 v68, v16, v7
	v_mad_u64_u32 v[66:67], s[12:13], v16, v6, 0
	v_add3_u32 v67, v67, v68, v31
	v_lshl_add_u64 v[64:65], v[64:65], 3, v[8:9]
	v_lshl_add_u64 v[66:67], v[66:67], 3, v[8:9]
	s_mov_b64 s[50:51], 0
	v_mov_b64_e32 v[68:69], v[6:7]
                                        ; implicit-def: $sgpr48_sgpr49
                                        ; implicit-def: $sgpr52_sgpr53
                                        ; implicit-def: $sgpr56_sgpr57
                                        ; implicit-def: $sgpr54_sgpr55
                                        ; implicit-def: $sgpr58_sgpr59
                                        ; implicit-def: $sgpr60_sgpr61
	s_branch .LBB755_820
.LBB755_819:                            ;   in Loop: Header=BB755_820 Depth=1
	s_or_b64 exec, exec, s[62:63]
	s_and_b64 s[12:13], exec, s[56:57]
	s_or_b64 s[50:51], s[12:13], s[50:51]
	s_andn2_b64 s[12:13], s[60:61], exec
	s_and_b64 s[22:23], s[58:59], exec
	s_or_b64 s[60:61], s[12:13], s[22:23]
	s_andn2_b64 s[12:13], s[52:53], exec
	s_and_b64 s[22:23], s[54:55], exec
	;; [unrolled: 3-line block ×3, first 2 shown]
	s_or_b64 s[48:49], s[12:13], s[18:19]
	s_andn2_b64 exec, exec, s[50:51]
	s_cbranch_execz .LBB755_822
.LBB755_820:                            ; =>This Inner Loop Header: Depth=1
	flat_load_dwordx2 v[70:71], v[66:67]
	flat_load_dwordx2 v[80:81], v[64:65]
	s_andn2_b64 s[58:59], s[58:59], exec
	s_or_b64 s[54:55], s[54:55], exec
	s_or_b64 s[56:57], s[56:57], exec
	s_waitcnt vmcnt(0) lgkmcnt(0)
	v_cmp_ngt_f64_e64 s[18:19], v[70:71], v[80:81]
	v_cmp_lt_f64_e64 s[12:13], v[70:71], v[80:81]
	s_and_b64 s[18:19], s[18:19], s[60:61]
	v_cmp_nlg_f64_e64 s[22:23], v[70:71], v[80:81]
	s_or_b64 s[18:19], s[12:13], s[18:19]
	s_and_saveexec_b64 s[62:63], s[22:23]
	s_cbranch_execz .LBB755_819
; %bb.821:                              ;   in Loop: Header=BB755_820 Depth=1
	v_lshl_add_u64 v[68:69], v[68:69], 0, -1
	v_cmp_eq_u64_e64 s[12:13], 0, v[68:69]
	s_andn2_b64 s[22:23], s[58:59], exec
	s_and_b64 s[58:59], s[18:19], exec
	s_or_b64 s[58:59], s[22:23], s[58:59]
	s_andn2_b64 s[22:23], s[56:57], exec
	s_and_b64 s[12:13], s[12:13], exec
	v_lshl_add_u64 v[64:65], v[64:65], 0, 8
	v_lshl_add_u64 v[66:67], v[66:67], 0, 8
	s_andn2_b64 s[54:55], s[54:55], exec
	s_or_b64 s[56:57], s[22:23], s[12:13]
                                        ; implicit-def: $sgpr60_sgpr61
	s_branch .LBB755_819
.LBB755_822:
	s_or_b64 exec, exec, s[50:51]
	s_and_saveexec_b64 s[12:13], s[52:53]
	s_xor_b64 s[12:13], exec, s[12:13]
; %bb.823:
	v_cndmask_b32_e64 v65, v23, v17, s[48:49]
	v_cndmask_b32_e64 v64, v22, v16, s[48:49]
	;; [unrolled: 1-line block ×4, first 2 shown]
	v_mov_b64_e32 v[22:23], v[64:65]
; %bb.824:
	s_or_b64 exec, exec, s[12:13]
	s_or_b64 exec, exec, s[46:47]
	s_and_saveexec_b64 s[46:47], s[44:45]
	s_cbranch_execz .LBB755_720
.LBB755_825:
	v_mul_lo_u32 v31, v19, v6
	v_mul_lo_u32 v66, v18, v7
	v_mad_u64_u32 v[64:65], s[12:13], v18, v6, 0
	v_add3_u32 v65, v65, v66, v31
	v_mul_lo_u32 v31, v13, v6
	v_mul_lo_u32 v68, v12, v7
	v_mad_u64_u32 v[66:67], s[12:13], v12, v6, 0
	v_add3_u32 v67, v67, v68, v31
	v_lshl_add_u64 v[64:65], v[64:65], 3, v[8:9]
	v_lshl_add_u64 v[66:67], v[66:67], 3, v[8:9]
	s_mov_b64 s[50:51], 0
	v_mov_b64_e32 v[68:69], v[6:7]
                                        ; implicit-def: $sgpr48_sgpr49
                                        ; implicit-def: $sgpr52_sgpr53
                                        ; implicit-def: $sgpr56_sgpr57
                                        ; implicit-def: $sgpr54_sgpr55
                                        ; implicit-def: $sgpr58_sgpr59
                                        ; implicit-def: $sgpr60_sgpr61
	s_branch .LBB755_827
.LBB755_826:                            ;   in Loop: Header=BB755_827 Depth=1
	s_or_b64 exec, exec, s[62:63]
	s_and_b64 s[12:13], exec, s[56:57]
	s_or_b64 s[50:51], s[12:13], s[50:51]
	s_andn2_b64 s[12:13], s[60:61], exec
	s_and_b64 s[22:23], s[58:59], exec
	s_or_b64 s[60:61], s[12:13], s[22:23]
	s_andn2_b64 s[12:13], s[52:53], exec
	s_and_b64 s[22:23], s[54:55], exec
	;; [unrolled: 3-line block ×3, first 2 shown]
	s_or_b64 s[48:49], s[12:13], s[18:19]
	s_andn2_b64 exec, exec, s[50:51]
	s_cbranch_execz .LBB755_829
.LBB755_827:                            ; =>This Inner Loop Header: Depth=1
	flat_load_dwordx2 v[70:71], v[66:67]
	flat_load_dwordx2 v[80:81], v[64:65]
	s_andn2_b64 s[58:59], s[58:59], exec
	s_or_b64 s[54:55], s[54:55], exec
	s_or_b64 s[56:57], s[56:57], exec
	s_waitcnt vmcnt(0) lgkmcnt(0)
	v_cmp_ngt_f64_e64 s[18:19], v[70:71], v[80:81]
	v_cmp_lt_f64_e64 s[12:13], v[70:71], v[80:81]
	s_and_b64 s[18:19], s[18:19], s[60:61]
	v_cmp_nlg_f64_e64 s[22:23], v[70:71], v[80:81]
	s_or_b64 s[18:19], s[12:13], s[18:19]
	s_and_saveexec_b64 s[62:63], s[22:23]
	s_cbranch_execz .LBB755_826
; %bb.828:                              ;   in Loop: Header=BB755_827 Depth=1
	v_lshl_add_u64 v[68:69], v[68:69], 0, -1
	v_cmp_eq_u64_e64 s[12:13], 0, v[68:69]
	s_andn2_b64 s[22:23], s[58:59], exec
	s_and_b64 s[58:59], s[18:19], exec
	s_or_b64 s[58:59], s[22:23], s[58:59]
	s_andn2_b64 s[22:23], s[56:57], exec
	s_and_b64 s[12:13], s[12:13], exec
	v_lshl_add_u64 v[64:65], v[64:65], 0, 8
	v_lshl_add_u64 v[66:67], v[66:67], 0, 8
	s_andn2_b64 s[54:55], s[54:55], exec
	s_or_b64 s[56:57], s[22:23], s[12:13]
                                        ; implicit-def: $sgpr60_sgpr61
	s_branch .LBB755_826
.LBB755_829:
	s_or_b64 exec, exec, s[50:51]
	s_and_saveexec_b64 s[12:13], s[52:53]
	s_xor_b64 s[12:13], exec, s[12:13]
; %bb.830:
	v_cndmask_b32_e64 v65, v19, v13, s[48:49]
	v_cndmask_b32_e64 v64, v18, v12, s[48:49]
	;; [unrolled: 1-line block ×4, first 2 shown]
	v_mov_b64_e32 v[18:19], v[64:65]
; %bb.831:
	s_or_b64 exec, exec, s[12:13]
	s_or_b64 exec, exec, s[46:47]
	s_and_saveexec_b64 s[46:47], s[30:31]
	s_cbranch_execz .LBB755_721
.LBB755_832:
	v_mul_lo_u32 v31, v25, v6
	v_mul_lo_u32 v66, v24, v7
	v_mad_u64_u32 v[64:65], s[12:13], v24, v6, 0
	v_add3_u32 v65, v65, v66, v31
	v_mul_lo_u32 v31, v27, v6
	v_mul_lo_u32 v68, v26, v7
	v_mad_u64_u32 v[66:67], s[12:13], v26, v6, 0
	v_add3_u32 v67, v67, v68, v31
	v_lshl_add_u64 v[64:65], v[64:65], 3, v[8:9]
	v_lshl_add_u64 v[66:67], v[66:67], 3, v[8:9]
	s_mov_b64 s[48:49], 0
	v_mov_b64_e32 v[68:69], v[6:7]
                                        ; implicit-def: $sgpr30_sgpr31
                                        ; implicit-def: $sgpr50_sgpr51
                                        ; implicit-def: $sgpr54_sgpr55
                                        ; implicit-def: $sgpr52_sgpr53
                                        ; implicit-def: $sgpr56_sgpr57
                                        ; implicit-def: $sgpr58_sgpr59
	s_branch .LBB755_834
.LBB755_833:                            ;   in Loop: Header=BB755_834 Depth=1
	s_or_b64 exec, exec, s[60:61]
	s_and_b64 s[12:13], exec, s[54:55]
	s_or_b64 s[48:49], s[12:13], s[48:49]
	s_andn2_b64 s[12:13], s[58:59], exec
	s_and_b64 s[22:23], s[56:57], exec
	s_or_b64 s[58:59], s[12:13], s[22:23]
	s_andn2_b64 s[12:13], s[50:51], exec
	s_and_b64 s[22:23], s[52:53], exec
	;; [unrolled: 3-line block ×3, first 2 shown]
	s_or_b64 s[30:31], s[12:13], s[18:19]
	s_andn2_b64 exec, exec, s[48:49]
	s_cbranch_execz .LBB755_836
.LBB755_834:                            ; =>This Inner Loop Header: Depth=1
	flat_load_dwordx2 v[70:71], v[66:67]
	flat_load_dwordx2 v[80:81], v[64:65]
	s_andn2_b64 s[56:57], s[56:57], exec
	s_or_b64 s[52:53], s[52:53], exec
	s_or_b64 s[54:55], s[54:55], exec
	s_waitcnt vmcnt(0) lgkmcnt(0)
	v_cmp_ngt_f64_e64 s[18:19], v[70:71], v[80:81]
	v_cmp_lt_f64_e64 s[12:13], v[70:71], v[80:81]
	s_and_b64 s[18:19], s[18:19], s[58:59]
	v_cmp_nlg_f64_e64 s[22:23], v[70:71], v[80:81]
	s_or_b64 s[18:19], s[12:13], s[18:19]
	s_and_saveexec_b64 s[60:61], s[22:23]
	s_cbranch_execz .LBB755_833
; %bb.835:                              ;   in Loop: Header=BB755_834 Depth=1
	v_lshl_add_u64 v[68:69], v[68:69], 0, -1
	v_cmp_eq_u64_e64 s[12:13], 0, v[68:69]
	s_andn2_b64 s[22:23], s[56:57], exec
	s_and_b64 s[56:57], s[18:19], exec
	s_or_b64 s[56:57], s[22:23], s[56:57]
	s_andn2_b64 s[22:23], s[54:55], exec
	s_and_b64 s[12:13], s[12:13], exec
	v_lshl_add_u64 v[64:65], v[64:65], 0, 8
	v_lshl_add_u64 v[66:67], v[66:67], 0, 8
	s_andn2_b64 s[52:53], s[52:53], exec
	s_or_b64 s[54:55], s[22:23], s[12:13]
                                        ; implicit-def: $sgpr58_sgpr59
	s_branch .LBB755_833
.LBB755_836:
	s_or_b64 exec, exec, s[48:49]
	s_and_saveexec_b64 s[12:13], s[50:51]
	s_xor_b64 s[12:13], exec, s[12:13]
; %bb.837:
	v_cndmask_b32_e64 v65, v27, v25, s[30:31]
	v_cndmask_b32_e64 v64, v26, v24, s[30:31]
	;; [unrolled: 1-line block ×4, first 2 shown]
	v_mov_b64_e32 v[26:27], v[64:65]
; %bb.838:
	s_or_b64 exec, exec, s[12:13]
	s_or_b64 exec, exec, s[46:47]
	s_and_saveexec_b64 s[30:31], s[34:35]
	s_cbranch_execz .LBB755_722
.LBB755_839:
	v_mul_lo_u32 v31, v21, v6
	v_mul_lo_u32 v66, v20, v7
	v_mad_u64_u32 v[64:65], s[12:13], v20, v6, 0
	v_add3_u32 v65, v65, v66, v31
	v_mul_lo_u32 v31, v23, v6
	v_mul_lo_u32 v68, v22, v7
	v_mad_u64_u32 v[66:67], s[12:13], v22, v6, 0
	v_add3_u32 v67, v67, v68, v31
	v_lshl_add_u64 v[64:65], v[64:65], 3, v[8:9]
	v_lshl_add_u64 v[66:67], v[66:67], 3, v[8:9]
	s_mov_b64 s[46:47], 0
	v_mov_b64_e32 v[68:69], v[6:7]
                                        ; implicit-def: $sgpr34_sgpr35
                                        ; implicit-def: $sgpr48_sgpr49
                                        ; implicit-def: $sgpr52_sgpr53
                                        ; implicit-def: $sgpr50_sgpr51
                                        ; implicit-def: $sgpr54_sgpr55
                                        ; implicit-def: $sgpr56_sgpr57
	s_branch .LBB755_841
.LBB755_840:                            ;   in Loop: Header=BB755_841 Depth=1
	s_or_b64 exec, exec, s[58:59]
	s_and_b64 s[12:13], exec, s[52:53]
	s_or_b64 s[46:47], s[12:13], s[46:47]
	s_andn2_b64 s[12:13], s[56:57], exec
	s_and_b64 s[22:23], s[54:55], exec
	s_or_b64 s[56:57], s[12:13], s[22:23]
	s_andn2_b64 s[12:13], s[48:49], exec
	s_and_b64 s[22:23], s[50:51], exec
	;; [unrolled: 3-line block ×3, first 2 shown]
	s_or_b64 s[34:35], s[12:13], s[18:19]
	s_andn2_b64 exec, exec, s[46:47]
	s_cbranch_execz .LBB755_843
.LBB755_841:                            ; =>This Inner Loop Header: Depth=1
	flat_load_dwordx2 v[70:71], v[66:67]
	flat_load_dwordx2 v[80:81], v[64:65]
	s_andn2_b64 s[54:55], s[54:55], exec
	s_or_b64 s[50:51], s[50:51], exec
	s_or_b64 s[52:53], s[52:53], exec
	s_waitcnt vmcnt(0) lgkmcnt(0)
	v_cmp_ngt_f64_e64 s[18:19], v[70:71], v[80:81]
	v_cmp_lt_f64_e64 s[12:13], v[70:71], v[80:81]
	s_and_b64 s[18:19], s[18:19], s[56:57]
	v_cmp_nlg_f64_e64 s[22:23], v[70:71], v[80:81]
	s_or_b64 s[18:19], s[12:13], s[18:19]
	s_and_saveexec_b64 s[58:59], s[22:23]
	s_cbranch_execz .LBB755_840
; %bb.842:                              ;   in Loop: Header=BB755_841 Depth=1
	v_lshl_add_u64 v[68:69], v[68:69], 0, -1
	v_cmp_eq_u64_e64 s[12:13], 0, v[68:69]
	s_andn2_b64 s[22:23], s[54:55], exec
	s_and_b64 s[54:55], s[18:19], exec
	s_or_b64 s[54:55], s[22:23], s[54:55]
	s_andn2_b64 s[22:23], s[52:53], exec
	s_and_b64 s[12:13], s[12:13], exec
	v_lshl_add_u64 v[64:65], v[64:65], 0, 8
	v_lshl_add_u64 v[66:67], v[66:67], 0, 8
	s_andn2_b64 s[50:51], s[50:51], exec
	s_or_b64 s[52:53], s[22:23], s[12:13]
                                        ; implicit-def: $sgpr56_sgpr57
	s_branch .LBB755_840
.LBB755_843:
	s_or_b64 exec, exec, s[46:47]
	s_and_saveexec_b64 s[12:13], s[48:49]
	s_xor_b64 s[12:13], exec, s[12:13]
; %bb.844:
	v_cndmask_b32_e64 v65, v21, v23, s[34:35]
	v_cndmask_b32_e64 v64, v20, v22, s[34:35]
	;; [unrolled: 1-line block ×4, first 2 shown]
	v_mov_b64_e32 v[20:21], v[64:65]
; %bb.845:
	s_or_b64 exec, exec, s[12:13]
	s_or_b64 exec, exec, s[30:31]
	s_and_saveexec_b64 s[30:31], s[36:37]
	s_cbranch_execz .LBB755_723
.LBB755_846:
	v_mul_lo_u32 v31, v17, v6
	v_mul_lo_u32 v66, v16, v7
	v_mad_u64_u32 v[64:65], s[12:13], v16, v6, 0
	v_add3_u32 v65, v65, v66, v31
	v_mul_lo_u32 v31, v19, v6
	v_mul_lo_u32 v68, v18, v7
	v_mad_u64_u32 v[66:67], s[12:13], v18, v6, 0
	v_add3_u32 v67, v67, v68, v31
	v_lshl_add_u64 v[64:65], v[64:65], 3, v[8:9]
	v_lshl_add_u64 v[66:67], v[66:67], 3, v[8:9]
	s_mov_b64 s[36:37], 0
	v_mov_b64_e32 v[68:69], v[6:7]
                                        ; implicit-def: $sgpr34_sgpr35
                                        ; implicit-def: $sgpr46_sgpr47
                                        ; implicit-def: $sgpr50_sgpr51
                                        ; implicit-def: $sgpr48_sgpr49
                                        ; implicit-def: $sgpr52_sgpr53
                                        ; implicit-def: $sgpr54_sgpr55
	s_branch .LBB755_848
.LBB755_847:                            ;   in Loop: Header=BB755_848 Depth=1
	s_or_b64 exec, exec, s[56:57]
	s_and_b64 s[12:13], exec, s[50:51]
	s_or_b64 s[36:37], s[12:13], s[36:37]
	s_andn2_b64 s[12:13], s[54:55], exec
	s_and_b64 s[22:23], s[52:53], exec
	s_or_b64 s[54:55], s[12:13], s[22:23]
	s_andn2_b64 s[12:13], s[46:47], exec
	s_and_b64 s[22:23], s[48:49], exec
	;; [unrolled: 3-line block ×3, first 2 shown]
	s_or_b64 s[34:35], s[12:13], s[18:19]
	s_andn2_b64 exec, exec, s[36:37]
	s_cbranch_execz .LBB755_850
.LBB755_848:                            ; =>This Inner Loop Header: Depth=1
	flat_load_dwordx2 v[70:71], v[66:67]
	flat_load_dwordx2 v[80:81], v[64:65]
	s_andn2_b64 s[52:53], s[52:53], exec
	s_or_b64 s[48:49], s[48:49], exec
	s_or_b64 s[50:51], s[50:51], exec
	s_waitcnt vmcnt(0) lgkmcnt(0)
	v_cmp_ngt_f64_e64 s[18:19], v[70:71], v[80:81]
	v_cmp_lt_f64_e64 s[12:13], v[70:71], v[80:81]
	s_and_b64 s[18:19], s[18:19], s[54:55]
	v_cmp_nlg_f64_e64 s[22:23], v[70:71], v[80:81]
	s_or_b64 s[18:19], s[12:13], s[18:19]
	s_and_saveexec_b64 s[56:57], s[22:23]
	s_cbranch_execz .LBB755_847
; %bb.849:                              ;   in Loop: Header=BB755_848 Depth=1
	v_lshl_add_u64 v[68:69], v[68:69], 0, -1
	v_cmp_eq_u64_e64 s[12:13], 0, v[68:69]
	s_andn2_b64 s[22:23], s[52:53], exec
	s_and_b64 s[52:53], s[18:19], exec
	s_or_b64 s[52:53], s[22:23], s[52:53]
	s_andn2_b64 s[22:23], s[50:51], exec
	s_and_b64 s[12:13], s[12:13], exec
	v_lshl_add_u64 v[64:65], v[64:65], 0, 8
	v_lshl_add_u64 v[66:67], v[66:67], 0, 8
	s_andn2_b64 s[48:49], s[48:49], exec
	s_or_b64 s[50:51], s[22:23], s[12:13]
                                        ; implicit-def: $sgpr54_sgpr55
	s_branch .LBB755_847
.LBB755_850:
	s_or_b64 exec, exec, s[36:37]
	s_and_saveexec_b64 s[12:13], s[46:47]
	s_xor_b64 s[12:13], exec, s[12:13]
; %bb.851:
	v_cndmask_b32_e64 v65, v17, v19, s[34:35]
	v_cndmask_b32_e64 v64, v16, v18, s[34:35]
	;; [unrolled: 1-line block ×4, first 2 shown]
	v_mov_b64_e32 v[16:17], v[64:65]
; %bb.852:
	s_or_b64 exec, exec, s[12:13]
	s_or_b64 exec, exec, s[30:31]
	s_and_saveexec_b64 s[30:31], s[38:39]
	s_cbranch_execz .LBB755_724
.LBB755_853:
	v_mul_lo_u32 v31, v13, v6
	v_mul_lo_u32 v66, v12, v7
	v_mad_u64_u32 v[64:65], s[12:13], v12, v6, 0
	v_add3_u32 v65, v65, v66, v31
	v_mul_lo_u32 v31, v15, v6
	v_mul_lo_u32 v68, v14, v7
	v_mad_u64_u32 v[66:67], s[12:13], v14, v6, 0
	v_add3_u32 v67, v67, v68, v31
	v_lshl_add_u64 v[64:65], v[64:65], 3, v[8:9]
	v_lshl_add_u64 v[66:67], v[66:67], 3, v[8:9]
	s_mov_b64 s[36:37], 0
	v_mov_b64_e32 v[68:69], v[6:7]
                                        ; implicit-def: $sgpr34_sgpr35
                                        ; implicit-def: $sgpr38_sgpr39
                                        ; implicit-def: $sgpr48_sgpr49
                                        ; implicit-def: $sgpr46_sgpr47
                                        ; implicit-def: $sgpr50_sgpr51
                                        ; implicit-def: $sgpr52_sgpr53
	s_branch .LBB755_855
.LBB755_854:                            ;   in Loop: Header=BB755_855 Depth=1
	s_or_b64 exec, exec, s[54:55]
	s_and_b64 s[12:13], exec, s[48:49]
	s_or_b64 s[36:37], s[12:13], s[36:37]
	s_andn2_b64 s[12:13], s[52:53], exec
	s_and_b64 s[22:23], s[50:51], exec
	s_or_b64 s[52:53], s[12:13], s[22:23]
	s_andn2_b64 s[12:13], s[38:39], exec
	s_and_b64 s[22:23], s[46:47], exec
	;; [unrolled: 3-line block ×3, first 2 shown]
	s_or_b64 s[34:35], s[12:13], s[18:19]
	s_andn2_b64 exec, exec, s[36:37]
	s_cbranch_execz .LBB755_857
.LBB755_855:                            ; =>This Inner Loop Header: Depth=1
	flat_load_dwordx2 v[70:71], v[66:67]
	flat_load_dwordx2 v[80:81], v[64:65]
	s_andn2_b64 s[50:51], s[50:51], exec
	s_or_b64 s[46:47], s[46:47], exec
	s_or_b64 s[48:49], s[48:49], exec
	s_waitcnt vmcnt(0) lgkmcnt(0)
	v_cmp_ngt_f64_e64 s[18:19], v[70:71], v[80:81]
	v_cmp_lt_f64_e64 s[12:13], v[70:71], v[80:81]
	s_and_b64 s[18:19], s[18:19], s[52:53]
	v_cmp_nlg_f64_e64 s[22:23], v[70:71], v[80:81]
	s_or_b64 s[18:19], s[12:13], s[18:19]
	s_and_saveexec_b64 s[54:55], s[22:23]
	s_cbranch_execz .LBB755_854
; %bb.856:                              ;   in Loop: Header=BB755_855 Depth=1
	v_lshl_add_u64 v[68:69], v[68:69], 0, -1
	v_cmp_eq_u64_e64 s[12:13], 0, v[68:69]
	s_andn2_b64 s[22:23], s[50:51], exec
	s_and_b64 s[50:51], s[18:19], exec
	s_or_b64 s[50:51], s[22:23], s[50:51]
	s_andn2_b64 s[22:23], s[48:49], exec
	s_and_b64 s[12:13], s[12:13], exec
	v_lshl_add_u64 v[64:65], v[64:65], 0, 8
	v_lshl_add_u64 v[66:67], v[66:67], 0, 8
	s_andn2_b64 s[46:47], s[46:47], exec
	s_or_b64 s[48:49], s[22:23], s[12:13]
                                        ; implicit-def: $sgpr52_sgpr53
	s_branch .LBB755_854
.LBB755_857:
	s_or_b64 exec, exec, s[36:37]
	s_and_saveexec_b64 s[12:13], s[38:39]
	s_xor_b64 s[12:13], exec, s[12:13]
; %bb.858:
	v_cndmask_b32_e64 v65, v13, v15, s[34:35]
	v_cndmask_b32_e64 v64, v12, v14, s[34:35]
	;; [unrolled: 1-line block ×4, first 2 shown]
	v_mov_b64_e32 v[12:13], v[64:65]
; %bb.859:
	s_or_b64 exec, exec, s[12:13]
	s_or_b64 exec, exec, s[30:31]
	s_and_saveexec_b64 s[30:31], s[40:41]
	s_cbranch_execz .LBB755_725
.LBB755_860:
	v_mul_lo_u32 v31, v27, v6
	v_mul_lo_u32 v66, v26, v7
	v_mad_u64_u32 v[64:65], s[12:13], v26, v6, 0
	v_add3_u32 v65, v65, v66, v31
	v_mul_lo_u32 v31, v21, v6
	v_mul_lo_u32 v68, v20, v7
	v_mad_u64_u32 v[66:67], s[12:13], v20, v6, 0
	v_add3_u32 v67, v67, v68, v31
	v_lshl_add_u64 v[64:65], v[64:65], 3, v[8:9]
	v_lshl_add_u64 v[66:67], v[66:67], 3, v[8:9]
	s_mov_b64 s[36:37], 0
	v_mov_b64_e32 v[68:69], v[6:7]
                                        ; implicit-def: $sgpr34_sgpr35
                                        ; implicit-def: $sgpr38_sgpr39
                                        ; implicit-def: $sgpr46_sgpr47
                                        ; implicit-def: $sgpr40_sgpr41
                                        ; implicit-def: $sgpr48_sgpr49
                                        ; implicit-def: $sgpr50_sgpr51
	s_branch .LBB755_862
.LBB755_861:                            ;   in Loop: Header=BB755_862 Depth=1
	s_or_b64 exec, exec, s[52:53]
	s_and_b64 s[12:13], exec, s[46:47]
	s_or_b64 s[36:37], s[12:13], s[36:37]
	s_andn2_b64 s[12:13], s[50:51], exec
	s_and_b64 s[22:23], s[48:49], exec
	s_or_b64 s[50:51], s[12:13], s[22:23]
	s_andn2_b64 s[12:13], s[38:39], exec
	s_and_b64 s[22:23], s[40:41], exec
	;; [unrolled: 3-line block ×3, first 2 shown]
	s_or_b64 s[34:35], s[12:13], s[18:19]
	s_andn2_b64 exec, exec, s[36:37]
	s_cbranch_execz .LBB755_864
.LBB755_862:                            ; =>This Inner Loop Header: Depth=1
	flat_load_dwordx2 v[70:71], v[66:67]
	flat_load_dwordx2 v[80:81], v[64:65]
	s_andn2_b64 s[48:49], s[48:49], exec
	s_or_b64 s[40:41], s[40:41], exec
	s_or_b64 s[46:47], s[46:47], exec
	s_waitcnt vmcnt(0) lgkmcnt(0)
	v_cmp_ngt_f64_e64 s[18:19], v[70:71], v[80:81]
	v_cmp_lt_f64_e64 s[12:13], v[70:71], v[80:81]
	s_and_b64 s[18:19], s[18:19], s[50:51]
	v_cmp_nlg_f64_e64 s[22:23], v[70:71], v[80:81]
	s_or_b64 s[18:19], s[12:13], s[18:19]
	s_and_saveexec_b64 s[52:53], s[22:23]
	s_cbranch_execz .LBB755_861
; %bb.863:                              ;   in Loop: Header=BB755_862 Depth=1
	v_lshl_add_u64 v[68:69], v[68:69], 0, -1
	v_cmp_eq_u64_e64 s[12:13], 0, v[68:69]
	s_andn2_b64 s[22:23], s[48:49], exec
	s_and_b64 s[48:49], s[18:19], exec
	s_or_b64 s[48:49], s[22:23], s[48:49]
	s_andn2_b64 s[22:23], s[46:47], exec
	s_and_b64 s[12:13], s[12:13], exec
	v_lshl_add_u64 v[64:65], v[64:65], 0, 8
	v_lshl_add_u64 v[66:67], v[66:67], 0, 8
	s_andn2_b64 s[40:41], s[40:41], exec
	s_or_b64 s[46:47], s[22:23], s[12:13]
                                        ; implicit-def: $sgpr50_sgpr51
	s_branch .LBB755_861
.LBB755_864:
	s_or_b64 exec, exec, s[36:37]
	s_and_saveexec_b64 s[12:13], s[38:39]
	s_xor_b64 s[12:13], exec, s[12:13]
; %bb.865:
	v_cndmask_b32_e64 v65, v27, v21, s[34:35]
	v_cndmask_b32_e64 v64, v26, v20, s[34:35]
	;; [unrolled: 1-line block ×4, first 2 shown]
	v_mov_b64_e32 v[26:27], v[64:65]
; %bb.866:
	s_or_b64 exec, exec, s[12:13]
	s_or_b64 exec, exec, s[30:31]
	s_and_saveexec_b64 s[30:31], s[42:43]
	s_cbranch_execz .LBB755_726
.LBB755_867:
	v_mul_lo_u32 v31, v23, v6
	v_mul_lo_u32 v66, v22, v7
	v_mad_u64_u32 v[64:65], s[12:13], v22, v6, 0
	v_add3_u32 v65, v65, v66, v31
	v_mul_lo_u32 v31, v17, v6
	v_mul_lo_u32 v68, v16, v7
	v_mad_u64_u32 v[66:67], s[12:13], v16, v6, 0
	v_add3_u32 v67, v67, v68, v31
	v_lshl_add_u64 v[64:65], v[64:65], 3, v[8:9]
	v_lshl_add_u64 v[66:67], v[66:67], 3, v[8:9]
	s_mov_b64 s[36:37], 0
	v_mov_b64_e32 v[68:69], v[6:7]
                                        ; implicit-def: $sgpr34_sgpr35
                                        ; implicit-def: $sgpr38_sgpr39
                                        ; implicit-def: $sgpr42_sgpr43
                                        ; implicit-def: $sgpr40_sgpr41
                                        ; implicit-def: $sgpr46_sgpr47
                                        ; implicit-def: $sgpr48_sgpr49
	s_branch .LBB755_869
.LBB755_868:                            ;   in Loop: Header=BB755_869 Depth=1
	s_or_b64 exec, exec, s[50:51]
	s_and_b64 s[12:13], exec, s[42:43]
	s_or_b64 s[36:37], s[12:13], s[36:37]
	s_andn2_b64 s[12:13], s[48:49], exec
	s_and_b64 s[22:23], s[46:47], exec
	s_or_b64 s[48:49], s[12:13], s[22:23]
	s_andn2_b64 s[12:13], s[38:39], exec
	s_and_b64 s[22:23], s[40:41], exec
	;; [unrolled: 3-line block ×3, first 2 shown]
	s_or_b64 s[34:35], s[12:13], s[18:19]
	s_andn2_b64 exec, exec, s[36:37]
	s_cbranch_execz .LBB755_871
.LBB755_869:                            ; =>This Inner Loop Header: Depth=1
	flat_load_dwordx2 v[70:71], v[66:67]
	flat_load_dwordx2 v[80:81], v[64:65]
	s_andn2_b64 s[46:47], s[46:47], exec
	s_or_b64 s[40:41], s[40:41], exec
	s_or_b64 s[42:43], s[42:43], exec
	s_waitcnt vmcnt(0) lgkmcnt(0)
	v_cmp_ngt_f64_e64 s[18:19], v[70:71], v[80:81]
	v_cmp_lt_f64_e64 s[12:13], v[70:71], v[80:81]
	s_and_b64 s[18:19], s[18:19], s[48:49]
	v_cmp_nlg_f64_e64 s[22:23], v[70:71], v[80:81]
	s_or_b64 s[18:19], s[12:13], s[18:19]
	s_and_saveexec_b64 s[50:51], s[22:23]
	s_cbranch_execz .LBB755_868
; %bb.870:                              ;   in Loop: Header=BB755_869 Depth=1
	v_lshl_add_u64 v[68:69], v[68:69], 0, -1
	v_cmp_eq_u64_e64 s[12:13], 0, v[68:69]
	s_andn2_b64 s[22:23], s[46:47], exec
	s_and_b64 s[46:47], s[18:19], exec
	s_or_b64 s[46:47], s[22:23], s[46:47]
	s_andn2_b64 s[22:23], s[42:43], exec
	s_and_b64 s[12:13], s[12:13], exec
	v_lshl_add_u64 v[64:65], v[64:65], 0, 8
	v_lshl_add_u64 v[66:67], v[66:67], 0, 8
	s_andn2_b64 s[40:41], s[40:41], exec
	s_or_b64 s[42:43], s[22:23], s[12:13]
                                        ; implicit-def: $sgpr48_sgpr49
	s_branch .LBB755_868
.LBB755_871:
	s_or_b64 exec, exec, s[36:37]
	s_and_saveexec_b64 s[12:13], s[38:39]
	s_xor_b64 s[12:13], exec, s[12:13]
; %bb.872:
	v_cndmask_b32_e64 v65, v23, v17, s[34:35]
	v_cndmask_b32_e64 v64, v22, v16, s[34:35]
	;; [unrolled: 1-line block ×4, first 2 shown]
	v_mov_b64_e32 v[22:23], v[64:65]
; %bb.873:
	s_or_b64 exec, exec, s[12:13]
	s_or_b64 exec, exec, s[30:31]
	s_and_saveexec_b64 s[30:31], s[44:45]
	s_cbranch_execz .LBB755_881
.LBB755_874:
	v_mul_lo_u32 v31, v19, v6
	v_mul_lo_u32 v66, v18, v7
	v_mad_u64_u32 v[64:65], s[12:13], v18, v6, 0
	v_add3_u32 v65, v65, v66, v31
	v_mul_lo_u32 v31, v13, v6
	v_mul_lo_u32 v68, v12, v7
	v_mad_u64_u32 v[66:67], s[12:13], v12, v6, 0
	v_add3_u32 v67, v67, v68, v31
	v_lshl_add_u64 v[64:65], v[64:65], 3, v[8:9]
	v_lshl_add_u64 v[66:67], v[66:67], 3, v[8:9]
	s_mov_b64 s[36:37], 0
	v_mov_b64_e32 v[68:69], v[6:7]
                                        ; implicit-def: $sgpr34_sgpr35
                                        ; implicit-def: $sgpr38_sgpr39
                                        ; implicit-def: $sgpr42_sgpr43
                                        ; implicit-def: $sgpr40_sgpr41
                                        ; implicit-def: $sgpr44_sgpr45
                                        ; implicit-def: $sgpr46_sgpr47
	s_branch .LBB755_876
.LBB755_875:                            ;   in Loop: Header=BB755_876 Depth=1
	s_or_b64 exec, exec, s[48:49]
	s_and_b64 s[12:13], exec, s[42:43]
	s_or_b64 s[36:37], s[12:13], s[36:37]
	s_andn2_b64 s[12:13], s[46:47], exec
	s_and_b64 s[22:23], s[44:45], exec
	s_or_b64 s[46:47], s[12:13], s[22:23]
	s_andn2_b64 s[12:13], s[38:39], exec
	s_and_b64 s[22:23], s[40:41], exec
	;; [unrolled: 3-line block ×3, first 2 shown]
	s_or_b64 s[34:35], s[12:13], s[18:19]
	s_andn2_b64 exec, exec, s[36:37]
	s_cbranch_execz .LBB755_878
.LBB755_876:                            ; =>This Inner Loop Header: Depth=1
	flat_load_dwordx2 v[70:71], v[66:67]
	flat_load_dwordx2 v[80:81], v[64:65]
	s_andn2_b64 s[44:45], s[44:45], exec
	s_or_b64 s[40:41], s[40:41], exec
	s_or_b64 s[42:43], s[42:43], exec
	s_waitcnt vmcnt(0) lgkmcnt(0)
	v_cmp_ngt_f64_e64 s[18:19], v[70:71], v[80:81]
	v_cmp_lt_f64_e64 s[12:13], v[70:71], v[80:81]
	s_and_b64 s[18:19], s[18:19], s[46:47]
	v_cmp_nlg_f64_e64 s[22:23], v[70:71], v[80:81]
	s_or_b64 s[18:19], s[12:13], s[18:19]
	s_and_saveexec_b64 s[48:49], s[22:23]
	s_cbranch_execz .LBB755_875
; %bb.877:                              ;   in Loop: Header=BB755_876 Depth=1
	v_lshl_add_u64 v[68:69], v[68:69], 0, -1
	v_cmp_eq_u64_e64 s[12:13], 0, v[68:69]
	s_andn2_b64 s[22:23], s[44:45], exec
	s_and_b64 s[44:45], s[18:19], exec
	s_or_b64 s[44:45], s[22:23], s[44:45]
	s_andn2_b64 s[22:23], s[42:43], exec
	s_and_b64 s[12:13], s[12:13], exec
	v_lshl_add_u64 v[64:65], v[64:65], 0, 8
	v_lshl_add_u64 v[66:67], v[66:67], 0, 8
	s_andn2_b64 s[40:41], s[40:41], exec
	s_or_b64 s[42:43], s[22:23], s[12:13]
                                        ; implicit-def: $sgpr46_sgpr47
	s_branch .LBB755_875
.LBB755_878:
	s_or_b64 exec, exec, s[36:37]
	s_and_saveexec_b64 s[12:13], s[38:39]
	s_xor_b64 s[12:13], exec, s[12:13]
; %bb.879:
	v_cndmask_b32_e64 v65, v19, v13, s[34:35]
	v_cndmask_b32_e64 v64, v18, v12, s[34:35]
	;; [unrolled: 1-line block ×4, first 2 shown]
	v_mov_b64_e32 v[18:19], v[64:65]
; %bb.880:
	s_or_b64 exec, exec, s[12:13]
.LBB755_881:
	s_or_b64 exec, exec, s[30:31]
	v_mbcnt_lo_u32_b32 v31, -1, 0
	v_mbcnt_hi_u32_b32 v64, -1, v31
	v_and_b32_e32 v70, 0xfffffe00, v1
	v_mov_b32_e32 v71, 0
	v_lshlrev_b32_e32 v31, 3, v64
	v_sub_u32_e64 v1, v0, v70 clamp
	v_lshl_add_u64 v[66:67], v[70:71], 3, v[10:11]
	v_lshlrev_b32_e32 v70, 6, v64
	v_or_b32_e32 v64, 8, v31
	v_min_u32_e32 v100, v1, v64
	v_add_u32_e32 v64, 8, v100
	v_and_b32_e32 v102, 0x3f0, v31
	v_min_u32_e32 v101, v1, v64
	v_and_b32_e32 v64, 8, v31
	v_min_u32_e32 v103, v1, v64
	v_sub_u32_e32 v64, v100, v102
	v_sub_u32_e32 v65, v101, v100
	v_sub_u32_e64 v112, v103, v65 clamp
	v_min_u32_e32 v113, v103, v64
	v_lshl_add_u64 v[68:69], v[66:67], 0, v[70:71]
	v_cmp_lt_u32_e64 s[12:13], v112, v113
	v_lshlrev_b64 v[64:65], 3, v[6:7]
	flat_store_dwordx4 v[68:69], v[24:27]
	flat_store_dwordx4 v[68:69], v[20:23] offset:16
	flat_store_dwordx4 v[68:69], v[16:19] offset:32
	;; [unrolled: 1-line block ×3, first 2 shown]
	; wave barrier
	s_and_saveexec_b64 s[30:31], s[12:13]
	s_cbranch_execz .LBB755_891
; %bb.882:
	v_lshlrev_b32_e32 v70, 3, v102
	v_lshl_add_u64 v[80:81], v[66:67], 0, v[70:71]
	v_lshlrev_b32_e32 v70, 3, v100
	v_lshl_add_u64 v[82:83], v[66:67], 0, v[70:71]
	s_mov_b64 s[34:35], 0
	s_branch .LBB755_885
.LBB755_883:                            ;   in Loop: Header=BB755_885 Depth=1
	s_or_b64 exec, exec, s[38:39]
	s_and_b64 s[12:13], s[40:41], exec
.LBB755_884:                            ;   in Loop: Header=BB755_885 Depth=1
	s_or_b64 exec, exec, s[36:37]
	v_add_u32_e32 v70, 1, v84
	v_cndmask_b32_e64 v113, v113, v84, s[12:13]
	v_cndmask_b32_e64 v112, v70, v112, s[12:13]
	v_cmp_ge_u32_e64 s[12:13], v112, v113
	s_or_b64 s[34:35], s[12:13], s[34:35]
	s_andn2_b64 exec, exec, s[34:35]
	s_cbranch_execz .LBB755_890
.LBB755_885:                            ; =>This Loop Header: Depth=1
                                        ;     Child Loop BB755_888 Depth 2
	v_add_u32_e32 v70, v113, v112
	v_lshrrev_b32_e32 v84, 1, v70
	s_mov_b64 s[12:13], 0
	s_and_saveexec_b64 s[36:37], s[16:17]
	s_cbranch_execz .LBB755_884
; %bb.886:                              ;   in Loop: Header=BB755_885 Depth=1
	v_mov_b32_e32 v85, v71
	v_xad_u32 v70, v84, -1, v103
	v_lshl_add_u64 v[86:87], v[84:85], 3, v[80:81]
	v_lshl_add_u64 v[96:97], v[70:71], 3, v[82:83]
	flat_load_dwordx2 v[86:87], v[86:87]
	s_mov_b64 s[38:39], 0
	flat_load_dwordx2 v[96:97], v[96:97]
                                        ; implicit-def: $sgpr40_sgpr41
                                        ; implicit-def: $sgpr42_sgpr43
                                        ; implicit-def: $sgpr44_sgpr45
                                        ; implicit-def: $sgpr18_sgpr19
                                        ; implicit-def: $sgpr46_sgpr47
	s_waitcnt vmcnt(0) lgkmcnt(0)
	v_mul_lo_u32 v70, v64, v87
	v_mul_lo_u32 v85, v65, v86
	v_mad_u64_u32 v[86:87], s[12:13], v64, v86, v[8:9]
	v_mul_lo_u32 v98, v64, v97
	v_mul_lo_u32 v99, v65, v96
	v_mad_u64_u32 v[96:97], s[12:13], v64, v96, v[8:9]
	v_add3_u32 v87, v85, v87, v70
	v_add3_u32 v97, v99, v97, v98
	v_mov_b64_e32 v[98:99], v[6:7]
	s_branch .LBB755_888
.LBB755_887:                            ;   in Loop: Header=BB755_888 Depth=2
	s_or_b64 exec, exec, s[48:49]
	s_and_b64 s[12:13], exec, s[42:43]
	s_or_b64 s[38:39], s[12:13], s[38:39]
	s_andn2_b64 s[12:13], s[46:47], exec
	s_and_b64 s[22:23], s[44:45], exec
	s_or_b64 s[46:47], s[12:13], s[22:23]
	s_andn2_b64 s[12:13], s[40:41], exec
	s_and_b64 s[22:23], s[18:19], exec
	s_or_b64 s[40:41], s[12:13], s[22:23]
	s_andn2_b64 exec, exec, s[38:39]
	s_cbranch_execz .LBB755_883
.LBB755_888:                            ;   Parent Loop BB755_885 Depth=1
                                        ; =>  This Inner Loop Header: Depth=2
	flat_load_dwordx2 v[114:115], v[96:97]
	flat_load_dwordx2 v[116:117], v[86:87]
	s_andn2_b64 s[48:49], s[18:19], exec
	s_andn2_b64 s[44:45], s[44:45], exec
	s_or_b64 s[42:43], s[42:43], exec
	s_waitcnt vmcnt(0) lgkmcnt(0)
	v_cmp_ngt_f64_e64 s[18:19], v[114:115], v[116:117]
	v_cmp_lt_f64_e64 s[12:13], v[114:115], v[116:117]
	s_and_b64 s[18:19], s[18:19], s[46:47]
	s_or_b64 s[50:51], s[12:13], s[18:19]
	s_and_b64 s[12:13], s[50:51], exec
	v_cmp_nlg_f64_e64 s[22:23], v[114:115], v[116:117]
	s_or_b64 s[18:19], s[48:49], s[12:13]
	s_and_saveexec_b64 s[48:49], s[22:23]
	s_cbranch_execz .LBB755_887
; %bb.889:                              ;   in Loop: Header=BB755_888 Depth=2
	v_lshl_add_u64 v[98:99], v[98:99], 0, -1
	v_cmp_eq_u64_e64 s[12:13], 0, v[98:99]
	s_andn2_b64 s[22:23], s[44:45], exec
	s_and_b64 s[44:45], s[50:51], exec
	s_or_b64 s[44:45], s[22:23], s[44:45]
	s_andn2_b64 s[22:23], s[42:43], exec
	s_and_b64 s[12:13], s[12:13], exec
	v_lshl_add_u64 v[86:87], v[86:87], 0, 8
	v_lshl_add_u64 v[96:97], v[96:97], 0, 8
	s_andn2_b64 s[18:19], s[18:19], exec
	s_or_b64 s[42:43], s[22:23], s[12:13]
                                        ; implicit-def: $sgpr46_sgpr47
	s_branch .LBB755_887
.LBB755_890:
	s_or_b64 exec, exec, s[34:35]
.LBB755_891:
	s_or_b64 exec, exec, s[30:31]
	v_add_u32_e32 v71, v100, v103
	v_add_u32_e32 v70, v112, v102
	v_sub_u32_e32 v80, v71, v112
	v_cmp_le_u32_e64 s[12:13], v70, v100
	v_cmp_le_u32_e64 s[18:19], v80, v101
	s_or_b64 s[12:13], s[12:13], s[18:19]
	s_and_saveexec_b64 s[30:31], s[12:13]
	s_cbranch_execz .LBB755_963
; %bb.892:
	v_cmp_ge_u32_e64 s[18:19], v70, v100
	v_cmp_lt_u32_e64 s[12:13], v70, v100
                                        ; implicit-def: $vgpr12_vgpr13
	s_and_saveexec_b64 s[22:23], s[12:13]
	s_cbranch_execz .LBB755_894
; %bb.893:
	v_mov_b32_e32 v71, 0
	v_lshl_add_u64 v[12:13], v[70:71], 3, v[66:67]
	flat_load_dwordx2 v[12:13], v[12:13]
.LBB755_894:
	s_or_b64 exec, exec, s[22:23]
	v_cmp_ge_u32_e64 s[34:35], v80, v101
	v_cmp_lt_u32_e64 s[12:13], v80, v101
                                        ; implicit-def: $vgpr14_vgpr15
	s_and_saveexec_b64 s[22:23], s[12:13]
	s_cbranch_execz .LBB755_896
; %bb.895:
	v_mov_b32_e32 v81, 0
	v_lshl_add_u64 v[14:15], v[80:81], 3, v[66:67]
	flat_load_dwordx2 v[14:15], v[14:15]
.LBB755_896:
	s_or_b64 exec, exec, s[22:23]
	s_or_b64 s[12:13], s[18:19], s[34:35]
	s_xor_b64 s[12:13], s[12:13], -1
	s_and_saveexec_b64 s[36:37], s[12:13]
	s_cbranch_execz .LBB755_904
; %bb.897:
	s_mov_b64 s[12:13], 0
	s_and_saveexec_b64 s[38:39], s[16:17]
	s_cbranch_execz .LBB755_903
; %bb.898:
	s_waitcnt vmcnt(0) lgkmcnt(0)
	v_mul_lo_u32 v18, v13, v6
	v_mul_lo_u32 v19, v12, v7
	v_mad_u64_u32 v[16:17], s[12:13], v12, v6, 0
	v_add3_u32 v17, v17, v19, v18
	v_mul_lo_u32 v20, v15, v6
	v_mul_lo_u32 v21, v14, v7
	v_mad_u64_u32 v[18:19], s[12:13], v14, v6, 0
	v_add3_u32 v19, v19, v21, v20
	v_lshl_add_u64 v[16:17], v[16:17], 3, v[8:9]
	v_lshl_add_u64 v[18:19], v[18:19], 3, v[8:9]
	s_mov_b64 s[40:41], 0
	v_mov_b64_e32 v[20:21], v[6:7]
                                        ; implicit-def: $sgpr42_sgpr43
                                        ; implicit-def: $sgpr44_sgpr45
                                        ; implicit-def: $sgpr46_sgpr47
                                        ; implicit-def: $sgpr18_sgpr19
                                        ; implicit-def: $sgpr48_sgpr49
	s_branch .LBB755_900
.LBB755_899:                            ;   in Loop: Header=BB755_900 Depth=1
	s_or_b64 exec, exec, s[50:51]
	s_and_b64 s[12:13], exec, s[44:45]
	s_or_b64 s[40:41], s[12:13], s[40:41]
	s_andn2_b64 s[12:13], s[48:49], exec
	s_and_b64 s[22:23], s[46:47], exec
	s_or_b64 s[48:49], s[12:13], s[22:23]
	s_andn2_b64 s[12:13], s[42:43], exec
	s_and_b64 s[22:23], s[18:19], exec
	s_or_b64 s[42:43], s[12:13], s[22:23]
	s_andn2_b64 exec, exec, s[40:41]
	s_cbranch_execz .LBB755_902
.LBB755_900:                            ; =>This Inner Loop Header: Depth=1
	flat_load_dwordx2 v[22:23], v[18:19]
	flat_load_dwordx2 v[24:25], v[16:17]
	s_andn2_b64 s[50:51], s[18:19], exec
	s_andn2_b64 s[46:47], s[46:47], exec
	s_or_b64 s[44:45], s[44:45], exec
	s_waitcnt vmcnt(0) lgkmcnt(0)
	v_cmp_ngt_f64_e64 s[18:19], v[22:23], v[24:25]
	v_cmp_lt_f64_e64 s[12:13], v[22:23], v[24:25]
	s_and_b64 s[18:19], s[18:19], s[48:49]
	s_or_b64 s[52:53], s[12:13], s[18:19]
	s_and_b64 s[12:13], s[52:53], exec
	v_cmp_nlg_f64_e64 s[22:23], v[22:23], v[24:25]
	s_or_b64 s[18:19], s[50:51], s[12:13]
	s_and_saveexec_b64 s[50:51], s[22:23]
	s_cbranch_execz .LBB755_899
; %bb.901:                              ;   in Loop: Header=BB755_900 Depth=1
	v_lshl_add_u64 v[20:21], v[20:21], 0, -1
	v_cmp_eq_u64_e64 s[12:13], 0, v[20:21]
	s_andn2_b64 s[22:23], s[46:47], exec
	s_and_b64 s[46:47], s[52:53], exec
	s_or_b64 s[46:47], s[22:23], s[46:47]
	s_andn2_b64 s[22:23], s[44:45], exec
	s_and_b64 s[12:13], s[12:13], exec
	v_lshl_add_u64 v[16:17], v[16:17], 0, 8
	v_lshl_add_u64 v[18:19], v[18:19], 0, 8
	s_andn2_b64 s[18:19], s[18:19], exec
	s_or_b64 s[44:45], s[22:23], s[12:13]
                                        ; implicit-def: $sgpr48_sgpr49
	s_branch .LBB755_899
.LBB755_902:
	s_or_b64 exec, exec, s[40:41]
	s_and_b64 s[12:13], s[42:43], exec
.LBB755_903:
	s_or_b64 exec, exec, s[38:39]
	s_xor_b64 s[12:13], s[12:13], -1
	s_andn2_b64 s[18:19], s[34:35], exec
	s_and_b64 s[12:13], s[12:13], exec
	s_or_b64 s[34:35], s[18:19], s[12:13]
.LBB755_904:
	s_or_b64 exec, exec, s[36:37]
	v_cndmask_b32_e64 v16, v80, v70, s[34:35]
	v_cndmask_b32_e64 v17, v101, v100, s[34:35]
	v_add_u32_e32 v20, 1, v16
	v_add_u32_e32 v16, -1, v17
	v_min_u32_e32 v16, v20, v16
	v_mov_b32_e32 v17, 0
	v_lshl_add_u64 v[18:19], v[16:17], 3, v[66:67]
	flat_load_dwordx2 v[18:19], v[18:19]
	v_cndmask_b32_e64 v27, v20, v80, s[34:35]
	s_mov_b64 s[36:37], -1
	v_cndmask_b32_e64 v70, v70, v20, s[34:35]
	v_cmp_lt_u32_e64 s[12:13], v27, v101
	s_mov_b64 s[38:39], -1
	s_waitcnt vmcnt(0) lgkmcnt(0)
	v_cndmask_b32_e64 v24, v19, v15, s[34:35]
	v_cndmask_b32_e64 v25, v18, v14, s[34:35]
	;; [unrolled: 1-line block ×4, first 2 shown]
	s_and_saveexec_b64 s[40:41], s[12:13]
	s_cbranch_execz .LBB755_914
; %bb.905:
	v_cmp_lt_u32_e64 s[12:13], v70, v100
	s_mov_b64 s[18:19], 0
	s_and_saveexec_b64 s[38:39], s[12:13]
	s_cbranch_execz .LBB755_913
; %bb.906:
	s_mov_b64 s[12:13], 0
	s_and_saveexec_b64 s[42:43], s[16:17]
	s_cbranch_execz .LBB755_912
; %bb.907:
	v_mul_lo_u32 v16, v26, v6
	v_mul_lo_u32 v20, v80, v7
	v_mad_u64_u32 v[18:19], s[12:13], v80, v6, 0
	v_add3_u32 v19, v19, v20, v16
	v_mul_lo_u32 v16, v24, v6
	v_mul_lo_u32 v22, v25, v7
	v_mad_u64_u32 v[20:21], s[12:13], v25, v6, 0
	v_add3_u32 v21, v21, v22, v16
	v_lshl_add_u64 v[18:19], v[18:19], 3, v[8:9]
	v_lshl_add_u64 v[20:21], v[20:21], 3, v[8:9]
	s_mov_b64 s[44:45], 0
	v_mov_b64_e32 v[22:23], v[6:7]
                                        ; implicit-def: $sgpr46_sgpr47
                                        ; implicit-def: $sgpr48_sgpr49
                                        ; implicit-def: $sgpr50_sgpr51
                                        ; implicit-def: $sgpr18_sgpr19
                                        ; implicit-def: $sgpr52_sgpr53
	s_branch .LBB755_909
.LBB755_908:                            ;   in Loop: Header=BB755_909 Depth=1
	s_or_b64 exec, exec, s[54:55]
	s_and_b64 s[12:13], exec, s[48:49]
	s_or_b64 s[44:45], s[12:13], s[44:45]
	s_andn2_b64 s[12:13], s[52:53], exec
	s_and_b64 s[22:23], s[50:51], exec
	s_or_b64 s[52:53], s[12:13], s[22:23]
	s_andn2_b64 s[12:13], s[46:47], exec
	s_and_b64 s[22:23], s[18:19], exec
	s_or_b64 s[46:47], s[12:13], s[22:23]
	s_andn2_b64 exec, exec, s[44:45]
	s_cbranch_execz .LBB755_911
.LBB755_909:                            ; =>This Inner Loop Header: Depth=1
	flat_load_dwordx2 v[82:83], v[20:21]
	flat_load_dwordx2 v[84:85], v[18:19]
	s_andn2_b64 s[54:55], s[18:19], exec
	s_andn2_b64 s[50:51], s[50:51], exec
	s_or_b64 s[48:49], s[48:49], exec
	s_waitcnt vmcnt(0) lgkmcnt(0)
	v_cmp_ngt_f64_e64 s[18:19], v[82:83], v[84:85]
	v_cmp_lt_f64_e64 s[12:13], v[82:83], v[84:85]
	s_and_b64 s[18:19], s[18:19], s[52:53]
	s_or_b64 s[56:57], s[12:13], s[18:19]
	s_and_b64 s[12:13], s[56:57], exec
	v_cmp_nlg_f64_e64 s[22:23], v[82:83], v[84:85]
	s_or_b64 s[18:19], s[54:55], s[12:13]
	s_and_saveexec_b64 s[54:55], s[22:23]
	s_cbranch_execz .LBB755_908
; %bb.910:                              ;   in Loop: Header=BB755_909 Depth=1
	v_lshl_add_u64 v[22:23], v[22:23], 0, -1
	v_cmp_eq_u64_e64 s[12:13], 0, v[22:23]
	s_andn2_b64 s[22:23], s[50:51], exec
	s_and_b64 s[50:51], s[56:57], exec
	s_or_b64 s[50:51], s[22:23], s[50:51]
	s_andn2_b64 s[22:23], s[48:49], exec
	s_and_b64 s[12:13], s[12:13], exec
	v_lshl_add_u64 v[18:19], v[18:19], 0, 8
	v_lshl_add_u64 v[20:21], v[20:21], 0, 8
	s_andn2_b64 s[18:19], s[18:19], exec
	s_or_b64 s[48:49], s[22:23], s[12:13]
                                        ; implicit-def: $sgpr52_sgpr53
	s_branch .LBB755_908
.LBB755_911:
	s_or_b64 exec, exec, s[44:45]
	s_and_b64 s[12:13], s[46:47], exec
.LBB755_912:
	s_or_b64 exec, exec, s[42:43]
	s_xor_b64 s[12:13], s[12:13], -1
	s_and_b64 s[18:19], s[12:13], exec
.LBB755_913:
	s_or_b64 exec, exec, s[38:39]
	s_orn2_b64 s[38:39], s[18:19], exec
.LBB755_914:
	s_or_b64 exec, exec, s[40:41]
	v_cndmask_b32_e64 v16, v27, v70, s[38:39]
	v_cndmask_b32_e64 v18, v101, v100, s[38:39]
	v_add_u32_e32 v19, 1, v16
	v_add_u32_e32 v16, -1, v18
	v_min_u32_e32 v16, v19, v16
	v_lshl_add_u64 v[16:17], v[16:17], 3, v[66:67]
	flat_load_dwordx2 v[16:17], v[16:17]
	v_cndmask_b32_e64 v22, v19, v27, s[38:39]
	v_cndmask_b32_e64 v23, v70, v19, s[38:39]
	v_cmp_lt_u32_e64 s[12:13], v22, v101
	s_waitcnt vmcnt(0) lgkmcnt(0)
	v_cndmask_b32_e64 v27, v17, v24, s[38:39]
	v_cndmask_b32_e64 v81, v16, v25, s[38:39]
	;; [unrolled: 1-line block ×4, first 2 shown]
	s_and_saveexec_b64 s[40:41], s[12:13]
	s_cbranch_execz .LBB755_922
; %bb.915:
	v_cmp_lt_u32_e64 s[36:37], v23, v100
	s_and_b64 s[12:13], s[36:37], s[28:29]
	s_and_saveexec_b64 s[42:43], s[12:13]
	s_cbranch_execz .LBB755_921
; %bb.916:
	v_mul_lo_u32 v18, v82, v6
	v_mul_lo_u32 v19, v83, v7
	v_mad_u64_u32 v[16:17], s[12:13], v83, v6, 0
	v_add3_u32 v17, v17, v19, v18
	v_mul_lo_u32 v20, v27, v6
	v_mul_lo_u32 v21, v81, v7
	v_mad_u64_u32 v[18:19], s[12:13], v81, v6, 0
	v_add3_u32 v19, v19, v21, v20
	v_lshl_add_u64 v[16:17], v[16:17], 3, v[8:9]
	v_lshl_add_u64 v[18:19], v[18:19], 3, v[8:9]
	s_mov_b64 s[44:45], 0
	v_mov_b64_e32 v[20:21], v[6:7]
                                        ; implicit-def: $sgpr46_sgpr47
                                        ; implicit-def: $sgpr48_sgpr49
                                        ; implicit-def: $sgpr18_sgpr19
                                        ; implicit-def: $sgpr50_sgpr51
                                        ; implicit-def: $sgpr52_sgpr53
	s_branch .LBB755_918
.LBB755_917:                            ;   in Loop: Header=BB755_918 Depth=1
	s_or_b64 exec, exec, s[54:55]
	s_and_b64 s[12:13], exec, s[48:49]
	s_or_b64 s[44:45], s[12:13], s[44:45]
	s_andn2_b64 s[12:13], s[52:53], exec
	s_and_b64 s[22:23], s[50:51], exec
	s_or_b64 s[52:53], s[12:13], s[22:23]
	s_andn2_b64 s[12:13], s[46:47], exec
	s_and_b64 s[22:23], s[18:19], exec
	s_or_b64 s[46:47], s[12:13], s[22:23]
	s_andn2_b64 exec, exec, s[44:45]
	s_cbranch_execz .LBB755_920
.LBB755_918:                            ; =>This Inner Loop Header: Depth=1
	flat_load_dwordx2 v[70:71], v[18:19]
	flat_load_dwordx2 v[84:85], v[16:17]
	s_andn2_b64 s[54:55], s[18:19], exec
	s_andn2_b64 s[50:51], s[50:51], exec
	s_or_b64 s[48:49], s[48:49], exec
	s_waitcnt vmcnt(0) lgkmcnt(0)
	v_cmp_ngt_f64_e64 s[18:19], v[70:71], v[84:85]
	v_cmp_lt_f64_e64 s[12:13], v[70:71], v[84:85]
	s_and_b64 s[18:19], s[18:19], s[52:53]
	s_or_b64 s[56:57], s[12:13], s[18:19]
	s_and_b64 s[12:13], s[56:57], exec
	v_cmp_nlg_f64_e64 s[22:23], v[70:71], v[84:85]
	s_or_b64 s[18:19], s[54:55], s[12:13]
	s_and_saveexec_b64 s[54:55], s[22:23]
	s_cbranch_execz .LBB755_917
; %bb.919:                              ;   in Loop: Header=BB755_918 Depth=1
	v_lshl_add_u64 v[20:21], v[20:21], 0, -1
	v_cmp_eq_u64_e64 s[12:13], 0, v[20:21]
	s_andn2_b64 s[22:23], s[50:51], exec
	s_and_b64 s[50:51], s[56:57], exec
	s_or_b64 s[50:51], s[22:23], s[50:51]
	s_andn2_b64 s[22:23], s[48:49], exec
	s_and_b64 s[12:13], s[12:13], exec
	v_lshl_add_u64 v[16:17], v[16:17], 0, 8
	v_lshl_add_u64 v[18:19], v[18:19], 0, 8
	s_andn2_b64 s[18:19], s[18:19], exec
	s_or_b64 s[48:49], s[22:23], s[12:13]
                                        ; implicit-def: $sgpr52_sgpr53
	s_branch .LBB755_917
.LBB755_920:
	s_or_b64 exec, exec, s[44:45]
	s_xor_b64 s[12:13], s[46:47], -1
	s_andn2_b64 s[18:19], s[36:37], exec
	s_and_b64 s[12:13], s[12:13], exec
	s_or_b64 s[36:37], s[18:19], s[12:13]
.LBB755_921:
	s_or_b64 exec, exec, s[42:43]
	s_orn2_b64 s[36:37], s[36:37], exec
.LBB755_922:
	s_or_b64 exec, exec, s[40:41]
	v_cndmask_b32_e64 v16, v22, v23, s[36:37]
	v_cndmask_b32_e64 v17, v101, v100, s[36:37]
	v_add_u32_e32 v20, 1, v16
	v_add_u32_e32 v16, -1, v17
	v_min_u32_e32 v16, v20, v16
	v_mov_b32_e32 v17, 0
	v_lshl_add_u64 v[18:19], v[16:17], 3, v[66:67]
	flat_load_dwordx2 v[18:19], v[18:19]
	v_cndmask_b32_e64 v70, v20, v22, s[36:37]
	s_mov_b64 s[40:41], -1
	v_cndmask_b32_e64 v71, v23, v20, s[36:37]
	v_cmp_lt_u32_e64 s[12:13], v70, v101
	s_mov_b64 s[42:43], -1
	s_waitcnt vmcnt(0) lgkmcnt(0)
	v_cndmask_b32_e64 v84, v19, v27, s[36:37]
	v_cndmask_b32_e64 v85, v18, v81, s[36:37]
	v_cndmask_b32_e64 v86, v82, v19, s[36:37]
	v_cndmask_b32_e64 v87, v83, v18, s[36:37]
	s_and_saveexec_b64 s[44:45], s[12:13]
	s_cbranch_execz .LBB755_930
; %bb.923:
	v_cmp_lt_u32_e64 s[42:43], v71, v100
	s_and_b64 s[12:13], s[42:43], s[28:29]
	s_and_saveexec_b64 s[46:47], s[12:13]
	s_cbranch_execz .LBB755_929
; %bb.924:
	v_mul_lo_u32 v16, v86, v6
	v_mul_lo_u32 v20, v87, v7
	v_mad_u64_u32 v[18:19], s[12:13], v87, v6, 0
	v_add3_u32 v19, v19, v20, v16
	v_mul_lo_u32 v16, v84, v6
	v_mul_lo_u32 v22, v85, v7
	v_mad_u64_u32 v[20:21], s[12:13], v85, v6, 0
	v_add3_u32 v21, v21, v22, v16
	v_lshl_add_u64 v[18:19], v[18:19], 3, v[8:9]
	v_lshl_add_u64 v[20:21], v[20:21], 3, v[8:9]
	s_mov_b64 s[48:49], 0
	v_mov_b64_e32 v[22:23], v[6:7]
                                        ; implicit-def: $sgpr50_sgpr51
                                        ; implicit-def: $sgpr52_sgpr53
                                        ; implicit-def: $sgpr18_sgpr19
                                        ; implicit-def: $sgpr54_sgpr55
                                        ; implicit-def: $sgpr56_sgpr57
	s_branch .LBB755_926
.LBB755_925:                            ;   in Loop: Header=BB755_926 Depth=1
	s_or_b64 exec, exec, s[58:59]
	s_and_b64 s[12:13], exec, s[52:53]
	s_or_b64 s[48:49], s[12:13], s[48:49]
	s_andn2_b64 s[12:13], s[56:57], exec
	s_and_b64 s[22:23], s[54:55], exec
	s_or_b64 s[56:57], s[12:13], s[22:23]
	s_andn2_b64 s[12:13], s[50:51], exec
	s_and_b64 s[22:23], s[18:19], exec
	s_or_b64 s[50:51], s[12:13], s[22:23]
	s_andn2_b64 exec, exec, s[48:49]
	s_cbranch_execz .LBB755_928
.LBB755_926:                            ; =>This Inner Loop Header: Depth=1
	flat_load_dwordx2 v[96:97], v[20:21]
	flat_load_dwordx2 v[98:99], v[18:19]
	s_andn2_b64 s[58:59], s[18:19], exec
	s_andn2_b64 s[54:55], s[54:55], exec
	s_or_b64 s[52:53], s[52:53], exec
	s_waitcnt vmcnt(0) lgkmcnt(0)
	v_cmp_ngt_f64_e64 s[18:19], v[96:97], v[98:99]
	v_cmp_lt_f64_e64 s[12:13], v[96:97], v[98:99]
	s_and_b64 s[18:19], s[18:19], s[56:57]
	s_or_b64 s[60:61], s[12:13], s[18:19]
	s_and_b64 s[12:13], s[60:61], exec
	v_cmp_nlg_f64_e64 s[22:23], v[96:97], v[98:99]
	s_or_b64 s[18:19], s[58:59], s[12:13]
	s_and_saveexec_b64 s[58:59], s[22:23]
	s_cbranch_execz .LBB755_925
; %bb.927:                              ;   in Loop: Header=BB755_926 Depth=1
	v_lshl_add_u64 v[22:23], v[22:23], 0, -1
	v_cmp_eq_u64_e64 s[12:13], 0, v[22:23]
	s_andn2_b64 s[22:23], s[54:55], exec
	s_and_b64 s[54:55], s[60:61], exec
	s_or_b64 s[54:55], s[22:23], s[54:55]
	s_andn2_b64 s[22:23], s[52:53], exec
	s_and_b64 s[12:13], s[12:13], exec
	v_lshl_add_u64 v[18:19], v[18:19], 0, 8
	v_lshl_add_u64 v[20:21], v[20:21], 0, 8
	s_andn2_b64 s[18:19], s[18:19], exec
	s_or_b64 s[52:53], s[22:23], s[12:13]
                                        ; implicit-def: $sgpr56_sgpr57
	s_branch .LBB755_925
.LBB755_928:
	s_or_b64 exec, exec, s[48:49]
	s_xor_b64 s[12:13], s[50:51], -1
	s_andn2_b64 s[18:19], s[42:43], exec
	s_and_b64 s[12:13], s[12:13], exec
	s_or_b64 s[42:43], s[18:19], s[12:13]
.LBB755_929:
	s_or_b64 exec, exec, s[46:47]
	s_orn2_b64 s[42:43], s[42:43], exec
.LBB755_930:
	s_or_b64 exec, exec, s[44:45]
	v_cndmask_b32_e64 v16, v70, v71, s[42:43]
	v_cndmask_b32_e64 v18, v101, v100, s[42:43]
	v_add_u32_e32 v19, 1, v16
	v_add_u32_e32 v16, -1, v18
	v_min_u32_e32 v16, v19, v16
	v_lshl_add_u64 v[16:17], v[16:17], 3, v[66:67]
	flat_load_dwordx2 v[16:17], v[16:17]
	v_cndmask_b32_e64 v22, v19, v70, s[42:43]
	v_cndmask_b32_e64 v23, v71, v19, s[42:43]
	v_cmp_lt_u32_e64 s[12:13], v22, v101
	s_waitcnt vmcnt(0) lgkmcnt(0)
	v_cndmask_b32_e64 v96, v17, v84, s[42:43]
	v_cndmask_b32_e64 v97, v16, v85, s[42:43]
	;; [unrolled: 1-line block ×4, first 2 shown]
	s_and_saveexec_b64 s[44:45], s[12:13]
	s_cbranch_execz .LBB755_938
; %bb.931:
	v_cmp_lt_u32_e64 s[40:41], v23, v100
	s_and_b64 s[12:13], s[40:41], s[28:29]
	s_and_saveexec_b64 s[46:47], s[12:13]
	s_cbranch_execz .LBB755_937
; %bb.932:
	v_mul_lo_u32 v18, v98, v6
	v_mul_lo_u32 v19, v99, v7
	v_mad_u64_u32 v[16:17], s[12:13], v99, v6, 0
	v_add3_u32 v17, v17, v19, v18
	v_mul_lo_u32 v20, v96, v6
	v_mul_lo_u32 v21, v97, v7
	v_mad_u64_u32 v[18:19], s[12:13], v97, v6, 0
	v_add3_u32 v19, v19, v21, v20
	v_lshl_add_u64 v[16:17], v[16:17], 3, v[8:9]
	v_lshl_add_u64 v[18:19], v[18:19], 3, v[8:9]
	s_mov_b64 s[48:49], 0
	v_mov_b64_e32 v[20:21], v[6:7]
                                        ; implicit-def: $sgpr50_sgpr51
                                        ; implicit-def: $sgpr52_sgpr53
                                        ; implicit-def: $sgpr18_sgpr19
                                        ; implicit-def: $sgpr54_sgpr55
                                        ; implicit-def: $sgpr56_sgpr57
	s_branch .LBB755_934
.LBB755_933:                            ;   in Loop: Header=BB755_934 Depth=1
	s_or_b64 exec, exec, s[58:59]
	s_and_b64 s[12:13], exec, s[52:53]
	s_or_b64 s[48:49], s[12:13], s[48:49]
	s_andn2_b64 s[12:13], s[56:57], exec
	s_and_b64 s[22:23], s[54:55], exec
	s_or_b64 s[56:57], s[12:13], s[22:23]
	s_andn2_b64 s[12:13], s[50:51], exec
	s_and_b64 s[22:23], s[18:19], exec
	s_or_b64 s[50:51], s[12:13], s[22:23]
	s_andn2_b64 exec, exec, s[48:49]
	s_cbranch_execz .LBB755_936
.LBB755_934:                            ; =>This Inner Loop Header: Depth=1
	flat_load_dwordx2 v[70:71], v[18:19]
	flat_load_dwordx2 v[102:103], v[16:17]
	s_andn2_b64 s[58:59], s[18:19], exec
	s_andn2_b64 s[54:55], s[54:55], exec
	s_or_b64 s[52:53], s[52:53], exec
	s_waitcnt vmcnt(0) lgkmcnt(0)
	v_cmp_ngt_f64_e64 s[18:19], v[70:71], v[102:103]
	v_cmp_lt_f64_e64 s[12:13], v[70:71], v[102:103]
	s_and_b64 s[18:19], s[18:19], s[56:57]
	s_or_b64 s[60:61], s[12:13], s[18:19]
	s_and_b64 s[12:13], s[60:61], exec
	v_cmp_nlg_f64_e64 s[22:23], v[70:71], v[102:103]
	s_or_b64 s[18:19], s[58:59], s[12:13]
	s_and_saveexec_b64 s[58:59], s[22:23]
	s_cbranch_execz .LBB755_933
; %bb.935:                              ;   in Loop: Header=BB755_934 Depth=1
	v_lshl_add_u64 v[20:21], v[20:21], 0, -1
	v_cmp_eq_u64_e64 s[12:13], 0, v[20:21]
	s_andn2_b64 s[22:23], s[54:55], exec
	s_and_b64 s[54:55], s[60:61], exec
	s_or_b64 s[54:55], s[22:23], s[54:55]
	s_andn2_b64 s[22:23], s[52:53], exec
	s_and_b64 s[12:13], s[12:13], exec
	v_lshl_add_u64 v[16:17], v[16:17], 0, 8
	v_lshl_add_u64 v[18:19], v[18:19], 0, 8
	s_andn2_b64 s[18:19], s[18:19], exec
	s_or_b64 s[52:53], s[22:23], s[12:13]
                                        ; implicit-def: $sgpr56_sgpr57
	s_branch .LBB755_933
.LBB755_936:
	s_or_b64 exec, exec, s[48:49]
	s_xor_b64 s[12:13], s[50:51], -1
	s_andn2_b64 s[18:19], s[40:41], exec
	s_and_b64 s[12:13], s[12:13], exec
	s_or_b64 s[40:41], s[18:19], s[12:13]
.LBB755_937:
	s_or_b64 exec, exec, s[46:47]
	s_orn2_b64 s[40:41], s[40:41], exec
.LBB755_938:
	s_or_b64 exec, exec, s[44:45]
	v_cndmask_b32_e64 v16, v22, v23, s[40:41]
	v_cndmask_b32_e64 v17, v101, v100, s[40:41]
	v_add_u32_e32 v20, 1, v16
	v_add_u32_e32 v16, -1, v17
	v_min_u32_e32 v16, v20, v16
	v_mov_b32_e32 v17, 0
	v_lshl_add_u64 v[18:19], v[16:17], 3, v[66:67]
	flat_load_dwordx2 v[18:19], v[18:19]
	v_cndmask_b32_e64 v70, v20, v22, s[40:41]
	s_mov_b64 s[44:45], -1
	v_cndmask_b32_e64 v71, v23, v20, s[40:41]
	v_cmp_lt_u32_e64 s[12:13], v70, v101
	s_mov_b64 s[46:47], -1
	s_waitcnt vmcnt(0) lgkmcnt(0)
	v_cndmask_b32_e64 v102, v19, v96, s[40:41]
	v_cndmask_b32_e64 v103, v18, v97, s[40:41]
	;; [unrolled: 1-line block ×4, first 2 shown]
	s_and_saveexec_b64 s[48:49], s[12:13]
	s_cbranch_execz .LBB755_946
; %bb.939:
	v_cmp_lt_u32_e64 s[46:47], v71, v100
	s_and_b64 s[12:13], s[46:47], s[28:29]
	s_and_saveexec_b64 s[50:51], s[12:13]
	s_cbranch_execz .LBB755_945
; %bb.940:
	v_mul_lo_u32 v16, v112, v6
	v_mul_lo_u32 v20, v113, v7
	v_mad_u64_u32 v[18:19], s[12:13], v113, v6, 0
	v_add3_u32 v19, v19, v20, v16
	v_mul_lo_u32 v16, v102, v6
	v_mul_lo_u32 v22, v103, v7
	v_mad_u64_u32 v[20:21], s[12:13], v103, v6, 0
	v_add3_u32 v21, v21, v22, v16
	v_lshl_add_u64 v[18:19], v[18:19], 3, v[8:9]
	v_lshl_add_u64 v[20:21], v[20:21], 3, v[8:9]
	s_mov_b64 s[52:53], 0
	v_mov_b64_e32 v[22:23], v[6:7]
                                        ; implicit-def: $sgpr54_sgpr55
                                        ; implicit-def: $sgpr56_sgpr57
                                        ; implicit-def: $sgpr18_sgpr19
                                        ; implicit-def: $sgpr58_sgpr59
                                        ; implicit-def: $sgpr60_sgpr61
	s_branch .LBB755_942
.LBB755_941:                            ;   in Loop: Header=BB755_942 Depth=1
	s_or_b64 exec, exec, s[62:63]
	s_and_b64 s[12:13], exec, s[56:57]
	s_or_b64 s[52:53], s[12:13], s[52:53]
	s_andn2_b64 s[12:13], s[60:61], exec
	s_and_b64 s[22:23], s[58:59], exec
	s_or_b64 s[60:61], s[12:13], s[22:23]
	s_andn2_b64 s[12:13], s[54:55], exec
	s_and_b64 s[22:23], s[18:19], exec
	s_or_b64 s[54:55], s[12:13], s[22:23]
	s_andn2_b64 exec, exec, s[52:53]
	s_cbranch_execz .LBB755_944
.LBB755_942:                            ; =>This Inner Loop Header: Depth=1
	flat_load_dwordx2 v[114:115], v[20:21]
	flat_load_dwordx2 v[116:117], v[18:19]
	s_andn2_b64 s[62:63], s[18:19], exec
	s_andn2_b64 s[58:59], s[58:59], exec
	s_or_b64 s[56:57], s[56:57], exec
	s_waitcnt vmcnt(0) lgkmcnt(0)
	v_cmp_ngt_f64_e64 s[18:19], v[114:115], v[116:117]
	v_cmp_lt_f64_e64 s[12:13], v[114:115], v[116:117]
	s_and_b64 s[18:19], s[18:19], s[60:61]
	s_or_b64 s[64:65], s[12:13], s[18:19]
	s_and_b64 s[12:13], s[64:65], exec
	v_cmp_nlg_f64_e64 s[22:23], v[114:115], v[116:117]
	s_or_b64 s[18:19], s[62:63], s[12:13]
	s_and_saveexec_b64 s[62:63], s[22:23]
	s_cbranch_execz .LBB755_941
; %bb.943:                              ;   in Loop: Header=BB755_942 Depth=1
	v_lshl_add_u64 v[22:23], v[22:23], 0, -1
	v_cmp_eq_u64_e64 s[12:13], 0, v[22:23]
	s_andn2_b64 s[22:23], s[58:59], exec
	s_and_b64 s[58:59], s[64:65], exec
	s_or_b64 s[58:59], s[22:23], s[58:59]
	s_andn2_b64 s[22:23], s[56:57], exec
	s_and_b64 s[12:13], s[12:13], exec
	v_lshl_add_u64 v[18:19], v[18:19], 0, 8
	v_lshl_add_u64 v[20:21], v[20:21], 0, 8
	s_andn2_b64 s[18:19], s[18:19], exec
	s_or_b64 s[56:57], s[22:23], s[12:13]
                                        ; implicit-def: $sgpr60_sgpr61
	s_branch .LBB755_941
.LBB755_944:
	s_or_b64 exec, exec, s[52:53]
	s_xor_b64 s[12:13], s[54:55], -1
	s_andn2_b64 s[18:19], s[46:47], exec
	s_and_b64 s[12:13], s[12:13], exec
	s_or_b64 s[46:47], s[18:19], s[12:13]
.LBB755_945:
	s_or_b64 exec, exec, s[50:51]
	s_orn2_b64 s[46:47], s[46:47], exec
.LBB755_946:
	s_or_b64 exec, exec, s[48:49]
	v_cndmask_b32_e64 v16, v70, v71, s[46:47]
	v_cndmask_b32_e64 v18, v101, v100, s[46:47]
	v_add_u32_e32 v19, 1, v16
	v_add_u32_e32 v16, -1, v18
	v_min_u32_e32 v16, v19, v16
	v_lshl_add_u64 v[16:17], v[16:17], 3, v[66:67]
	flat_load_dwordx2 v[16:17], v[16:17]
	v_cndmask_b32_e64 v117, v19, v70, s[46:47]
	v_cndmask_b32_e64 v114, v71, v19, s[46:47]
	v_cmp_lt_u32_e64 s[12:13], v117, v101
	s_waitcnt vmcnt(0) lgkmcnt(0)
	v_cndmask_b32_e64 v115, v17, v102, s[46:47]
	v_cndmask_b32_e64 v116, v16, v103, s[46:47]
	;; [unrolled: 1-line block ×4, first 2 shown]
	s_and_saveexec_b64 s[48:49], s[12:13]
	s_cbranch_execz .LBB755_954
; %bb.947:
	v_cmp_lt_u32_e64 s[44:45], v114, v100
	s_and_b64 s[12:13], s[44:45], s[28:29]
	s_and_saveexec_b64 s[50:51], s[12:13]
	s_cbranch_execz .LBB755_953
; %bb.948:
	v_mul_lo_u32 v18, v118, v6
	v_mul_lo_u32 v19, v119, v7
	v_mad_u64_u32 v[16:17], s[12:13], v119, v6, 0
	v_add3_u32 v17, v17, v19, v18
	v_mul_lo_u32 v20, v115, v6
	v_mul_lo_u32 v21, v116, v7
	v_mad_u64_u32 v[18:19], s[12:13], v116, v6, 0
	v_add3_u32 v19, v19, v21, v20
	v_lshl_add_u64 v[16:17], v[16:17], 3, v[8:9]
	v_lshl_add_u64 v[18:19], v[18:19], 3, v[8:9]
	s_mov_b64 s[52:53], 0
	v_mov_b64_e32 v[20:21], v[6:7]
                                        ; implicit-def: $sgpr54_sgpr55
                                        ; implicit-def: $sgpr56_sgpr57
                                        ; implicit-def: $sgpr18_sgpr19
                                        ; implicit-def: $sgpr58_sgpr59
                                        ; implicit-def: $sgpr60_sgpr61
	s_branch .LBB755_950
.LBB755_949:                            ;   in Loop: Header=BB755_950 Depth=1
	s_or_b64 exec, exec, s[62:63]
	s_and_b64 s[12:13], exec, s[56:57]
	s_or_b64 s[52:53], s[12:13], s[52:53]
	s_andn2_b64 s[12:13], s[60:61], exec
	s_and_b64 s[22:23], s[58:59], exec
	s_or_b64 s[60:61], s[12:13], s[22:23]
	s_andn2_b64 s[12:13], s[54:55], exec
	s_and_b64 s[22:23], s[18:19], exec
	s_or_b64 s[54:55], s[12:13], s[22:23]
	s_andn2_b64 exec, exec, s[52:53]
	s_cbranch_execz .LBB755_952
.LBB755_950:                            ; =>This Inner Loop Header: Depth=1
	flat_load_dwordx2 v[22:23], v[18:19]
	flat_load_dwordx2 v[70:71], v[16:17]
	s_andn2_b64 s[62:63], s[18:19], exec
	s_andn2_b64 s[58:59], s[58:59], exec
	s_or_b64 s[56:57], s[56:57], exec
	s_waitcnt vmcnt(0) lgkmcnt(0)
	v_cmp_ngt_f64_e64 s[18:19], v[22:23], v[70:71]
	v_cmp_lt_f64_e64 s[12:13], v[22:23], v[70:71]
	s_and_b64 s[18:19], s[18:19], s[60:61]
	s_or_b64 s[64:65], s[12:13], s[18:19]
	s_and_b64 s[12:13], s[64:65], exec
	v_cmp_nlg_f64_e64 s[22:23], v[22:23], v[70:71]
	s_or_b64 s[18:19], s[62:63], s[12:13]
	s_and_saveexec_b64 s[62:63], s[22:23]
	s_cbranch_execz .LBB755_949
; %bb.951:                              ;   in Loop: Header=BB755_950 Depth=1
	v_lshl_add_u64 v[20:21], v[20:21], 0, -1
	v_cmp_eq_u64_e64 s[12:13], 0, v[20:21]
	s_andn2_b64 s[22:23], s[58:59], exec
	s_and_b64 s[58:59], s[64:65], exec
	s_or_b64 s[58:59], s[22:23], s[58:59]
	s_andn2_b64 s[22:23], s[56:57], exec
	s_and_b64 s[12:13], s[12:13], exec
	v_lshl_add_u64 v[16:17], v[16:17], 0, 8
	v_lshl_add_u64 v[18:19], v[18:19], 0, 8
	s_andn2_b64 s[18:19], s[18:19], exec
	s_or_b64 s[56:57], s[22:23], s[12:13]
                                        ; implicit-def: $sgpr60_sgpr61
	s_branch .LBB755_949
.LBB755_952:
	s_or_b64 exec, exec, s[52:53]
	s_xor_b64 s[12:13], s[54:55], -1
	s_andn2_b64 s[18:19], s[44:45], exec
	s_and_b64 s[12:13], s[12:13], exec
	s_or_b64 s[44:45], s[18:19], s[12:13]
.LBB755_953:
	s_or_b64 exec, exec, s[50:51]
	s_orn2_b64 s[44:45], s[44:45], exec
.LBB755_954:
	s_or_b64 exec, exec, s[48:49]
	v_cndmask_b32_e64 v16, v117, v114, s[44:45]
	v_cndmask_b32_e64 v17, v101, v100, s[44:45]
	v_add_u32_e32 v128, 1, v16
	v_add_u32_e32 v16, -1, v17
	v_min_u32_e32 v16, v128, v16
	v_mov_b32_e32 v17, 0
	v_lshl_add_u64 v[16:17], v[16:17], 3, v[66:67]
	flat_load_dwordx2 v[70:71], v[16:17]
	v_cndmask_b32_e64 v21, v27, v82, s[36:37]
	v_cndmask_b32_e64 v27, v24, v26, s[38:39]
	;; [unrolled: 1-line block ×15, first 2 shown]
	v_cmp_lt_u32_e64 s[12:13], v80, v101
	s_waitcnt vmcnt(0) lgkmcnt(0)
	v_cndmask_b32_e64 v15, v118, v71, s[44:45]
	v_cndmask_b32_e64 v14, v119, v70, s[44:45]
	s_and_saveexec_b64 s[34:35], s[12:13]
	s_cbranch_execz .LBB755_962
; %bb.955:
	v_cndmask_b32_e64 v85, v70, v116, s[44:45]
	v_cndmask_b32_e64 v70, v114, v128, s[44:45]
	v_cmp_ge_u32_e64 s[12:13], v70, v100
	v_cndmask_b32_e64 v84, v71, v115, s[44:45]
	s_or_b64 s[18:19], s[12:13], s[8:9]
	v_cndmask_b32_e64 v71, v15, v84, s[12:13]
	s_xor_b64 s[18:19], s[18:19], -1
	v_cndmask_b32_e64 v70, v14, v85, s[12:13]
	s_and_saveexec_b64 s[36:37], s[18:19]
	s_cbranch_execz .LBB755_961
; %bb.956:
	v_mul_lo_u32 v80, v15, v6
	v_mul_lo_u32 v81, v14, v7
	v_mad_u64_u32 v[70:71], s[12:13], v14, v6, 0
	v_add3_u32 v71, v71, v81, v80
	v_mul_lo_u32 v82, v84, v6
	v_mul_lo_u32 v83, v85, v7
	v_mad_u64_u32 v[80:81], s[12:13], v85, v6, 0
	v_add3_u32 v81, v81, v83, v82
	v_lshl_add_u64 v[70:71], v[70:71], 3, v[8:9]
	v_lshl_add_u64 v[80:81], v[80:81], 3, v[8:9]
	s_mov_b64 s[38:39], 0
	v_mov_b64_e32 v[82:83], v[6:7]
                                        ; implicit-def: $sgpr40_sgpr41
                                        ; implicit-def: $sgpr42_sgpr43
                                        ; implicit-def: $sgpr18_sgpr19
                                        ; implicit-def: $sgpr44_sgpr45
                                        ; implicit-def: $sgpr46_sgpr47
	s_branch .LBB755_958
.LBB755_957:                            ;   in Loop: Header=BB755_958 Depth=1
	s_or_b64 exec, exec, s[48:49]
	s_and_b64 s[12:13], exec, s[42:43]
	s_or_b64 s[38:39], s[12:13], s[38:39]
	s_andn2_b64 s[12:13], s[46:47], exec
	s_and_b64 s[22:23], s[44:45], exec
	s_or_b64 s[46:47], s[12:13], s[22:23]
	s_andn2_b64 s[12:13], s[40:41], exec
	s_and_b64 s[22:23], s[18:19], exec
	s_or_b64 s[40:41], s[12:13], s[22:23]
	s_andn2_b64 exec, exec, s[38:39]
	s_cbranch_execz .LBB755_960
.LBB755_958:                            ; =>This Inner Loop Header: Depth=1
	flat_load_dwordx2 v[86:87], v[80:81]
	flat_load_dwordx2 v[96:97], v[70:71]
	s_andn2_b64 s[48:49], s[18:19], exec
	s_andn2_b64 s[44:45], s[44:45], exec
	s_or_b64 s[42:43], s[42:43], exec
	s_waitcnt vmcnt(0) lgkmcnt(0)
	v_cmp_ngt_f64_e64 s[18:19], v[86:87], v[96:97]
	v_cmp_lt_f64_e64 s[12:13], v[86:87], v[96:97]
	s_and_b64 s[18:19], s[18:19], s[46:47]
	s_or_b64 s[50:51], s[12:13], s[18:19]
	s_and_b64 s[12:13], s[50:51], exec
	v_cmp_nlg_f64_e64 s[22:23], v[86:87], v[96:97]
	s_or_b64 s[18:19], s[48:49], s[12:13]
	s_and_saveexec_b64 s[48:49], s[22:23]
	s_cbranch_execz .LBB755_957
; %bb.959:                              ;   in Loop: Header=BB755_958 Depth=1
	v_lshl_add_u64 v[82:83], v[82:83], 0, -1
	v_cmp_eq_u64_e64 s[12:13], 0, v[82:83]
	s_andn2_b64 s[22:23], s[44:45], exec
	s_and_b64 s[44:45], s[50:51], exec
	s_or_b64 s[44:45], s[22:23], s[44:45]
	s_andn2_b64 s[22:23], s[42:43], exec
	s_and_b64 s[12:13], s[12:13], exec
	v_lshl_add_u64 v[70:71], v[70:71], 0, 8
	v_lshl_add_u64 v[80:81], v[80:81], 0, 8
	s_andn2_b64 s[18:19], s[18:19], exec
	s_or_b64 s[42:43], s[22:23], s[12:13]
                                        ; implicit-def: $sgpr46_sgpr47
	s_branch .LBB755_957
.LBB755_960:
	s_or_b64 exec, exec, s[38:39]
	v_cndmask_b32_e64 v71, v15, v84, s[40:41]
	v_cndmask_b32_e64 v70, v14, v85, s[40:41]
.LBB755_961:
	s_or_b64 exec, exec, s[36:37]
	v_mov_b64_e32 v[14:15], v[70:71]
.LBB755_962:
	s_or_b64 exec, exec, s[34:35]
.LBB755_963:
	s_or_b64 exec, exec, s[30:31]
	v_and_b32_e32 v102, 0x3e0, v31
	v_or_b32_e32 v70, 16, v102
	v_min_u32_e32 v100, v1, v70
	v_add_u32_e32 v70, 16, v100
	v_min_u32_e32 v101, v1, v70
	v_and_b32_e32 v70, 24, v31
	v_min_u32_e32 v103, v1, v70
	v_sub_u32_e32 v70, v100, v102
	v_sub_u32_e32 v71, v101, v100
	v_sub_u32_e64 v112, v103, v71 clamp
	v_min_u32_e32 v113, v103, v70
	v_cmp_lt_u32_e64 s[12:13], v112, v113
	; wave barrier
	flat_store_dwordx4 v[68:69], v[24:27]
	flat_store_dwordx4 v[68:69], v[20:23] offset:16
	flat_store_dwordx4 v[68:69], v[16:19] offset:32
	;; [unrolled: 1-line block ×3, first 2 shown]
	; wave barrier
	s_and_saveexec_b64 s[30:31], s[12:13]
	s_cbranch_execz .LBB755_973
; %bb.964:
	v_lshlrev_b32_e32 v70, 3, v102
	v_mov_b32_e32 v71, 0
	v_lshl_add_u64 v[80:81], v[66:67], 0, v[70:71]
	v_lshlrev_b32_e32 v70, 3, v100
	v_lshl_add_u64 v[82:83], v[66:67], 0, v[70:71]
	s_mov_b64 s[34:35], 0
	s_branch .LBB755_967
.LBB755_965:                            ;   in Loop: Header=BB755_967 Depth=1
	s_or_b64 exec, exec, s[38:39]
	s_and_b64 s[12:13], s[40:41], exec
.LBB755_966:                            ;   in Loop: Header=BB755_967 Depth=1
	s_or_b64 exec, exec, s[36:37]
	v_add_u32_e32 v70, 1, v84
	v_cndmask_b32_e64 v113, v113, v84, s[12:13]
	v_cndmask_b32_e64 v112, v70, v112, s[12:13]
	v_cmp_ge_u32_e64 s[12:13], v112, v113
	s_or_b64 s[34:35], s[12:13], s[34:35]
	s_andn2_b64 exec, exec, s[34:35]
	s_cbranch_execz .LBB755_972
.LBB755_967:                            ; =>This Loop Header: Depth=1
                                        ;     Child Loop BB755_970 Depth 2
	v_add_u32_e32 v70, v113, v112
	v_lshrrev_b32_e32 v84, 1, v70
	s_mov_b64 s[12:13], 0
	s_and_saveexec_b64 s[36:37], s[16:17]
	s_cbranch_execz .LBB755_966
; %bb.968:                              ;   in Loop: Header=BB755_967 Depth=1
	v_mov_b32_e32 v85, v71
	v_xad_u32 v70, v84, -1, v103
	v_lshl_add_u64 v[86:87], v[84:85], 3, v[80:81]
	v_lshl_add_u64 v[96:97], v[70:71], 3, v[82:83]
	flat_load_dwordx2 v[86:87], v[86:87]
	s_mov_b64 s[38:39], 0
	flat_load_dwordx2 v[96:97], v[96:97]
                                        ; implicit-def: $sgpr40_sgpr41
                                        ; implicit-def: $sgpr42_sgpr43
                                        ; implicit-def: $sgpr44_sgpr45
                                        ; implicit-def: $sgpr18_sgpr19
                                        ; implicit-def: $sgpr46_sgpr47
	s_waitcnt vmcnt(0) lgkmcnt(0)
	v_mul_lo_u32 v70, v64, v87
	v_mul_lo_u32 v85, v65, v86
	v_mad_u64_u32 v[86:87], s[12:13], v64, v86, v[8:9]
	v_mul_lo_u32 v98, v64, v97
	v_mul_lo_u32 v99, v65, v96
	v_mad_u64_u32 v[96:97], s[12:13], v64, v96, v[8:9]
	v_add3_u32 v87, v85, v87, v70
	v_add3_u32 v97, v99, v97, v98
	v_mov_b64_e32 v[98:99], v[6:7]
	s_branch .LBB755_970
.LBB755_969:                            ;   in Loop: Header=BB755_970 Depth=2
	s_or_b64 exec, exec, s[48:49]
	s_and_b64 s[12:13], exec, s[42:43]
	s_or_b64 s[38:39], s[12:13], s[38:39]
	s_andn2_b64 s[12:13], s[46:47], exec
	s_and_b64 s[22:23], s[44:45], exec
	s_or_b64 s[46:47], s[12:13], s[22:23]
	s_andn2_b64 s[12:13], s[40:41], exec
	s_and_b64 s[22:23], s[18:19], exec
	s_or_b64 s[40:41], s[12:13], s[22:23]
	s_andn2_b64 exec, exec, s[38:39]
	s_cbranch_execz .LBB755_965
.LBB755_970:                            ;   Parent Loop BB755_967 Depth=1
                                        ; =>  This Inner Loop Header: Depth=2
	flat_load_dwordx2 v[114:115], v[96:97]
	flat_load_dwordx2 v[116:117], v[86:87]
	s_andn2_b64 s[48:49], s[18:19], exec
	s_andn2_b64 s[44:45], s[44:45], exec
	s_or_b64 s[42:43], s[42:43], exec
	s_waitcnt vmcnt(0) lgkmcnt(0)
	v_cmp_ngt_f64_e64 s[18:19], v[114:115], v[116:117]
	v_cmp_lt_f64_e64 s[12:13], v[114:115], v[116:117]
	s_and_b64 s[18:19], s[18:19], s[46:47]
	s_or_b64 s[50:51], s[12:13], s[18:19]
	s_and_b64 s[12:13], s[50:51], exec
	v_cmp_nlg_f64_e64 s[22:23], v[114:115], v[116:117]
	s_or_b64 s[18:19], s[48:49], s[12:13]
	s_and_saveexec_b64 s[48:49], s[22:23]
	s_cbranch_execz .LBB755_969
; %bb.971:                              ;   in Loop: Header=BB755_970 Depth=2
	v_lshl_add_u64 v[98:99], v[98:99], 0, -1
	v_cmp_eq_u64_e64 s[12:13], 0, v[98:99]
	s_andn2_b64 s[22:23], s[44:45], exec
	s_and_b64 s[44:45], s[50:51], exec
	s_or_b64 s[44:45], s[22:23], s[44:45]
	s_andn2_b64 s[22:23], s[42:43], exec
	s_and_b64 s[12:13], s[12:13], exec
	v_lshl_add_u64 v[86:87], v[86:87], 0, 8
	v_lshl_add_u64 v[96:97], v[96:97], 0, 8
	s_andn2_b64 s[18:19], s[18:19], exec
	s_or_b64 s[42:43], s[22:23], s[12:13]
                                        ; implicit-def: $sgpr46_sgpr47
	s_branch .LBB755_969
.LBB755_972:
	s_or_b64 exec, exec, s[34:35]
.LBB755_973:
	s_or_b64 exec, exec, s[30:31]
	v_add_u32_e32 v71, v100, v103
	v_add_u32_e32 v70, v112, v102
	v_sub_u32_e32 v80, v71, v112
	v_cmp_le_u32_e64 s[12:13], v70, v100
	v_cmp_le_u32_e64 s[18:19], v80, v101
	s_or_b64 s[12:13], s[12:13], s[18:19]
	s_and_saveexec_b64 s[30:31], s[12:13]
	s_cbranch_execz .LBB755_1045
; %bb.974:
	v_cmp_ge_u32_e64 s[18:19], v70, v100
	v_cmp_lt_u32_e64 s[12:13], v70, v100
                                        ; implicit-def: $vgpr12_vgpr13
	s_and_saveexec_b64 s[22:23], s[12:13]
	s_cbranch_execz .LBB755_976
; %bb.975:
	v_mov_b32_e32 v71, 0
	v_lshl_add_u64 v[12:13], v[70:71], 3, v[66:67]
	flat_load_dwordx2 v[12:13], v[12:13]
.LBB755_976:
	s_or_b64 exec, exec, s[22:23]
	v_cmp_ge_u32_e64 s[34:35], v80, v101
	v_cmp_lt_u32_e64 s[12:13], v80, v101
                                        ; implicit-def: $vgpr14_vgpr15
	s_and_saveexec_b64 s[22:23], s[12:13]
	s_cbranch_execz .LBB755_978
; %bb.977:
	v_mov_b32_e32 v81, 0
	v_lshl_add_u64 v[14:15], v[80:81], 3, v[66:67]
	flat_load_dwordx2 v[14:15], v[14:15]
.LBB755_978:
	s_or_b64 exec, exec, s[22:23]
	s_or_b64 s[12:13], s[18:19], s[34:35]
	s_xor_b64 s[12:13], s[12:13], -1
	s_and_saveexec_b64 s[36:37], s[12:13]
	s_cbranch_execz .LBB755_986
; %bb.979:
	s_mov_b64 s[12:13], 0
	s_and_saveexec_b64 s[38:39], s[16:17]
	s_cbranch_execz .LBB755_985
; %bb.980:
	s_waitcnt vmcnt(0) lgkmcnt(0)
	v_mul_lo_u32 v18, v13, v6
	v_mul_lo_u32 v19, v12, v7
	v_mad_u64_u32 v[16:17], s[12:13], v12, v6, 0
	v_add3_u32 v17, v17, v19, v18
	v_mul_lo_u32 v20, v15, v6
	v_mul_lo_u32 v21, v14, v7
	v_mad_u64_u32 v[18:19], s[12:13], v14, v6, 0
	v_add3_u32 v19, v19, v21, v20
	v_lshl_add_u64 v[16:17], v[16:17], 3, v[8:9]
	v_lshl_add_u64 v[18:19], v[18:19], 3, v[8:9]
	s_mov_b64 s[40:41], 0
	v_mov_b64_e32 v[20:21], v[6:7]
                                        ; implicit-def: $sgpr42_sgpr43
                                        ; implicit-def: $sgpr44_sgpr45
                                        ; implicit-def: $sgpr46_sgpr47
                                        ; implicit-def: $sgpr18_sgpr19
                                        ; implicit-def: $sgpr48_sgpr49
	s_branch .LBB755_982
.LBB755_981:                            ;   in Loop: Header=BB755_982 Depth=1
	s_or_b64 exec, exec, s[50:51]
	s_and_b64 s[12:13], exec, s[44:45]
	s_or_b64 s[40:41], s[12:13], s[40:41]
	s_andn2_b64 s[12:13], s[48:49], exec
	s_and_b64 s[22:23], s[46:47], exec
	s_or_b64 s[48:49], s[12:13], s[22:23]
	s_andn2_b64 s[12:13], s[42:43], exec
	s_and_b64 s[22:23], s[18:19], exec
	s_or_b64 s[42:43], s[12:13], s[22:23]
	s_andn2_b64 exec, exec, s[40:41]
	s_cbranch_execz .LBB755_984
.LBB755_982:                            ; =>This Inner Loop Header: Depth=1
	flat_load_dwordx2 v[22:23], v[18:19]
	flat_load_dwordx2 v[24:25], v[16:17]
	s_andn2_b64 s[50:51], s[18:19], exec
	s_andn2_b64 s[46:47], s[46:47], exec
	s_or_b64 s[44:45], s[44:45], exec
	s_waitcnt vmcnt(0) lgkmcnt(0)
	v_cmp_ngt_f64_e64 s[18:19], v[22:23], v[24:25]
	v_cmp_lt_f64_e64 s[12:13], v[22:23], v[24:25]
	s_and_b64 s[18:19], s[18:19], s[48:49]
	s_or_b64 s[52:53], s[12:13], s[18:19]
	s_and_b64 s[12:13], s[52:53], exec
	v_cmp_nlg_f64_e64 s[22:23], v[22:23], v[24:25]
	s_or_b64 s[18:19], s[50:51], s[12:13]
	s_and_saveexec_b64 s[50:51], s[22:23]
	s_cbranch_execz .LBB755_981
; %bb.983:                              ;   in Loop: Header=BB755_982 Depth=1
	v_lshl_add_u64 v[20:21], v[20:21], 0, -1
	v_cmp_eq_u64_e64 s[12:13], 0, v[20:21]
	s_andn2_b64 s[22:23], s[46:47], exec
	s_and_b64 s[46:47], s[52:53], exec
	s_or_b64 s[46:47], s[22:23], s[46:47]
	s_andn2_b64 s[22:23], s[44:45], exec
	s_and_b64 s[12:13], s[12:13], exec
	v_lshl_add_u64 v[16:17], v[16:17], 0, 8
	v_lshl_add_u64 v[18:19], v[18:19], 0, 8
	s_andn2_b64 s[18:19], s[18:19], exec
	s_or_b64 s[44:45], s[22:23], s[12:13]
                                        ; implicit-def: $sgpr48_sgpr49
	s_branch .LBB755_981
.LBB755_984:
	s_or_b64 exec, exec, s[40:41]
	s_and_b64 s[12:13], s[42:43], exec
.LBB755_985:
	s_or_b64 exec, exec, s[38:39]
	s_xor_b64 s[12:13], s[12:13], -1
	s_andn2_b64 s[18:19], s[34:35], exec
	s_and_b64 s[12:13], s[12:13], exec
	s_or_b64 s[34:35], s[18:19], s[12:13]
.LBB755_986:
	s_or_b64 exec, exec, s[36:37]
	v_cndmask_b32_e64 v16, v80, v70, s[34:35]
	v_cndmask_b32_e64 v17, v101, v100, s[34:35]
	v_add_u32_e32 v20, 1, v16
	v_add_u32_e32 v16, -1, v17
	v_min_u32_e32 v16, v20, v16
	v_mov_b32_e32 v17, 0
	v_lshl_add_u64 v[18:19], v[16:17], 3, v[66:67]
	flat_load_dwordx2 v[18:19], v[18:19]
	v_cndmask_b32_e64 v27, v20, v80, s[34:35]
	s_mov_b64 s[36:37], -1
	v_cndmask_b32_e64 v70, v70, v20, s[34:35]
	v_cmp_lt_u32_e64 s[12:13], v27, v101
	s_mov_b64 s[38:39], -1
	s_waitcnt vmcnt(0) lgkmcnt(0)
	v_cndmask_b32_e64 v24, v19, v15, s[34:35]
	v_cndmask_b32_e64 v25, v18, v14, s[34:35]
	;; [unrolled: 1-line block ×4, first 2 shown]
	s_and_saveexec_b64 s[40:41], s[12:13]
	s_cbranch_execz .LBB755_996
; %bb.987:
	v_cmp_lt_u32_e64 s[12:13], v70, v100
	s_mov_b64 s[18:19], 0
	s_and_saveexec_b64 s[38:39], s[12:13]
	s_cbranch_execz .LBB755_995
; %bb.988:
	s_mov_b64 s[12:13], 0
	s_and_saveexec_b64 s[42:43], s[16:17]
	s_cbranch_execz .LBB755_994
; %bb.989:
	v_mul_lo_u32 v16, v26, v6
	v_mul_lo_u32 v20, v80, v7
	v_mad_u64_u32 v[18:19], s[12:13], v80, v6, 0
	v_add3_u32 v19, v19, v20, v16
	v_mul_lo_u32 v16, v24, v6
	v_mul_lo_u32 v22, v25, v7
	v_mad_u64_u32 v[20:21], s[12:13], v25, v6, 0
	v_add3_u32 v21, v21, v22, v16
	v_lshl_add_u64 v[18:19], v[18:19], 3, v[8:9]
	v_lshl_add_u64 v[20:21], v[20:21], 3, v[8:9]
	s_mov_b64 s[44:45], 0
	v_mov_b64_e32 v[22:23], v[6:7]
                                        ; implicit-def: $sgpr46_sgpr47
                                        ; implicit-def: $sgpr48_sgpr49
                                        ; implicit-def: $sgpr50_sgpr51
                                        ; implicit-def: $sgpr18_sgpr19
                                        ; implicit-def: $sgpr52_sgpr53
	s_branch .LBB755_991
.LBB755_990:                            ;   in Loop: Header=BB755_991 Depth=1
	s_or_b64 exec, exec, s[54:55]
	s_and_b64 s[12:13], exec, s[48:49]
	s_or_b64 s[44:45], s[12:13], s[44:45]
	s_andn2_b64 s[12:13], s[52:53], exec
	s_and_b64 s[22:23], s[50:51], exec
	s_or_b64 s[52:53], s[12:13], s[22:23]
	s_andn2_b64 s[12:13], s[46:47], exec
	s_and_b64 s[22:23], s[18:19], exec
	s_or_b64 s[46:47], s[12:13], s[22:23]
	s_andn2_b64 exec, exec, s[44:45]
	s_cbranch_execz .LBB755_993
.LBB755_991:                            ; =>This Inner Loop Header: Depth=1
	flat_load_dwordx2 v[82:83], v[20:21]
	flat_load_dwordx2 v[84:85], v[18:19]
	s_andn2_b64 s[54:55], s[18:19], exec
	s_andn2_b64 s[50:51], s[50:51], exec
	s_or_b64 s[48:49], s[48:49], exec
	s_waitcnt vmcnt(0) lgkmcnt(0)
	v_cmp_ngt_f64_e64 s[18:19], v[82:83], v[84:85]
	v_cmp_lt_f64_e64 s[12:13], v[82:83], v[84:85]
	s_and_b64 s[18:19], s[18:19], s[52:53]
	s_or_b64 s[56:57], s[12:13], s[18:19]
	s_and_b64 s[12:13], s[56:57], exec
	v_cmp_nlg_f64_e64 s[22:23], v[82:83], v[84:85]
	s_or_b64 s[18:19], s[54:55], s[12:13]
	s_and_saveexec_b64 s[54:55], s[22:23]
	s_cbranch_execz .LBB755_990
; %bb.992:                              ;   in Loop: Header=BB755_991 Depth=1
	v_lshl_add_u64 v[22:23], v[22:23], 0, -1
	v_cmp_eq_u64_e64 s[12:13], 0, v[22:23]
	s_andn2_b64 s[22:23], s[50:51], exec
	s_and_b64 s[50:51], s[56:57], exec
	s_or_b64 s[50:51], s[22:23], s[50:51]
	s_andn2_b64 s[22:23], s[48:49], exec
	s_and_b64 s[12:13], s[12:13], exec
	v_lshl_add_u64 v[18:19], v[18:19], 0, 8
	v_lshl_add_u64 v[20:21], v[20:21], 0, 8
	s_andn2_b64 s[18:19], s[18:19], exec
	s_or_b64 s[48:49], s[22:23], s[12:13]
                                        ; implicit-def: $sgpr52_sgpr53
	s_branch .LBB755_990
.LBB755_993:
	s_or_b64 exec, exec, s[44:45]
	s_and_b64 s[12:13], s[46:47], exec
.LBB755_994:
	s_or_b64 exec, exec, s[42:43]
	s_xor_b64 s[12:13], s[12:13], -1
	s_and_b64 s[18:19], s[12:13], exec
.LBB755_995:
	s_or_b64 exec, exec, s[38:39]
	s_orn2_b64 s[38:39], s[18:19], exec
.LBB755_996:
	s_or_b64 exec, exec, s[40:41]
	v_cndmask_b32_e64 v16, v27, v70, s[38:39]
	v_cndmask_b32_e64 v18, v101, v100, s[38:39]
	v_add_u32_e32 v19, 1, v16
	v_add_u32_e32 v16, -1, v18
	v_min_u32_e32 v16, v19, v16
	v_lshl_add_u64 v[16:17], v[16:17], 3, v[66:67]
	flat_load_dwordx2 v[16:17], v[16:17]
	v_cndmask_b32_e64 v22, v19, v27, s[38:39]
	v_cndmask_b32_e64 v23, v70, v19, s[38:39]
	v_cmp_lt_u32_e64 s[12:13], v22, v101
	s_waitcnt vmcnt(0) lgkmcnt(0)
	v_cndmask_b32_e64 v27, v17, v24, s[38:39]
	v_cndmask_b32_e64 v81, v16, v25, s[38:39]
	;; [unrolled: 1-line block ×4, first 2 shown]
	s_and_saveexec_b64 s[40:41], s[12:13]
	s_cbranch_execz .LBB755_1004
; %bb.997:
	v_cmp_lt_u32_e64 s[36:37], v23, v100
	s_and_b64 s[12:13], s[36:37], s[28:29]
	s_and_saveexec_b64 s[42:43], s[12:13]
	s_cbranch_execz .LBB755_1003
; %bb.998:
	v_mul_lo_u32 v18, v82, v6
	v_mul_lo_u32 v19, v83, v7
	v_mad_u64_u32 v[16:17], s[12:13], v83, v6, 0
	v_add3_u32 v17, v17, v19, v18
	v_mul_lo_u32 v20, v27, v6
	v_mul_lo_u32 v21, v81, v7
	v_mad_u64_u32 v[18:19], s[12:13], v81, v6, 0
	v_add3_u32 v19, v19, v21, v20
	v_lshl_add_u64 v[16:17], v[16:17], 3, v[8:9]
	v_lshl_add_u64 v[18:19], v[18:19], 3, v[8:9]
	s_mov_b64 s[44:45], 0
	v_mov_b64_e32 v[20:21], v[6:7]
                                        ; implicit-def: $sgpr46_sgpr47
                                        ; implicit-def: $sgpr48_sgpr49
                                        ; implicit-def: $sgpr18_sgpr19
                                        ; implicit-def: $sgpr50_sgpr51
                                        ; implicit-def: $sgpr52_sgpr53
	s_branch .LBB755_1000
.LBB755_999:                            ;   in Loop: Header=BB755_1000 Depth=1
	s_or_b64 exec, exec, s[54:55]
	s_and_b64 s[12:13], exec, s[48:49]
	s_or_b64 s[44:45], s[12:13], s[44:45]
	s_andn2_b64 s[12:13], s[52:53], exec
	s_and_b64 s[22:23], s[50:51], exec
	s_or_b64 s[52:53], s[12:13], s[22:23]
	s_andn2_b64 s[12:13], s[46:47], exec
	s_and_b64 s[22:23], s[18:19], exec
	s_or_b64 s[46:47], s[12:13], s[22:23]
	s_andn2_b64 exec, exec, s[44:45]
	s_cbranch_execz .LBB755_1002
.LBB755_1000:                           ; =>This Inner Loop Header: Depth=1
	flat_load_dwordx2 v[70:71], v[18:19]
	flat_load_dwordx2 v[84:85], v[16:17]
	s_andn2_b64 s[54:55], s[18:19], exec
	s_andn2_b64 s[50:51], s[50:51], exec
	s_or_b64 s[48:49], s[48:49], exec
	s_waitcnt vmcnt(0) lgkmcnt(0)
	v_cmp_ngt_f64_e64 s[18:19], v[70:71], v[84:85]
	v_cmp_lt_f64_e64 s[12:13], v[70:71], v[84:85]
	s_and_b64 s[18:19], s[18:19], s[52:53]
	s_or_b64 s[56:57], s[12:13], s[18:19]
	s_and_b64 s[12:13], s[56:57], exec
	v_cmp_nlg_f64_e64 s[22:23], v[70:71], v[84:85]
	s_or_b64 s[18:19], s[54:55], s[12:13]
	s_and_saveexec_b64 s[54:55], s[22:23]
	s_cbranch_execz .LBB755_999
; %bb.1001:                             ;   in Loop: Header=BB755_1000 Depth=1
	v_lshl_add_u64 v[20:21], v[20:21], 0, -1
	v_cmp_eq_u64_e64 s[12:13], 0, v[20:21]
	s_andn2_b64 s[22:23], s[50:51], exec
	s_and_b64 s[50:51], s[56:57], exec
	s_or_b64 s[50:51], s[22:23], s[50:51]
	s_andn2_b64 s[22:23], s[48:49], exec
	s_and_b64 s[12:13], s[12:13], exec
	v_lshl_add_u64 v[16:17], v[16:17], 0, 8
	v_lshl_add_u64 v[18:19], v[18:19], 0, 8
	s_andn2_b64 s[18:19], s[18:19], exec
	s_or_b64 s[48:49], s[22:23], s[12:13]
                                        ; implicit-def: $sgpr52_sgpr53
	s_branch .LBB755_999
.LBB755_1002:
	s_or_b64 exec, exec, s[44:45]
	s_xor_b64 s[12:13], s[46:47], -1
	s_andn2_b64 s[18:19], s[36:37], exec
	s_and_b64 s[12:13], s[12:13], exec
	s_or_b64 s[36:37], s[18:19], s[12:13]
.LBB755_1003:
	s_or_b64 exec, exec, s[42:43]
	s_orn2_b64 s[36:37], s[36:37], exec
.LBB755_1004:
	s_or_b64 exec, exec, s[40:41]
	v_cndmask_b32_e64 v16, v22, v23, s[36:37]
	v_cndmask_b32_e64 v17, v101, v100, s[36:37]
	v_add_u32_e32 v20, 1, v16
	v_add_u32_e32 v16, -1, v17
	v_min_u32_e32 v16, v20, v16
	v_mov_b32_e32 v17, 0
	v_lshl_add_u64 v[18:19], v[16:17], 3, v[66:67]
	flat_load_dwordx2 v[18:19], v[18:19]
	v_cndmask_b32_e64 v70, v20, v22, s[36:37]
	s_mov_b64 s[40:41], -1
	v_cndmask_b32_e64 v71, v23, v20, s[36:37]
	v_cmp_lt_u32_e64 s[12:13], v70, v101
	s_mov_b64 s[42:43], -1
	s_waitcnt vmcnt(0) lgkmcnt(0)
	v_cndmask_b32_e64 v84, v19, v27, s[36:37]
	v_cndmask_b32_e64 v85, v18, v81, s[36:37]
	;; [unrolled: 1-line block ×4, first 2 shown]
	s_and_saveexec_b64 s[44:45], s[12:13]
	s_cbranch_execz .LBB755_1012
; %bb.1005:
	v_cmp_lt_u32_e64 s[42:43], v71, v100
	s_and_b64 s[12:13], s[42:43], s[28:29]
	s_and_saveexec_b64 s[46:47], s[12:13]
	s_cbranch_execz .LBB755_1011
; %bb.1006:
	v_mul_lo_u32 v16, v86, v6
	v_mul_lo_u32 v20, v87, v7
	v_mad_u64_u32 v[18:19], s[12:13], v87, v6, 0
	v_add3_u32 v19, v19, v20, v16
	v_mul_lo_u32 v16, v84, v6
	v_mul_lo_u32 v22, v85, v7
	v_mad_u64_u32 v[20:21], s[12:13], v85, v6, 0
	v_add3_u32 v21, v21, v22, v16
	v_lshl_add_u64 v[18:19], v[18:19], 3, v[8:9]
	v_lshl_add_u64 v[20:21], v[20:21], 3, v[8:9]
	s_mov_b64 s[48:49], 0
	v_mov_b64_e32 v[22:23], v[6:7]
                                        ; implicit-def: $sgpr50_sgpr51
                                        ; implicit-def: $sgpr52_sgpr53
                                        ; implicit-def: $sgpr18_sgpr19
                                        ; implicit-def: $sgpr54_sgpr55
                                        ; implicit-def: $sgpr56_sgpr57
	s_branch .LBB755_1008
.LBB755_1007:                           ;   in Loop: Header=BB755_1008 Depth=1
	s_or_b64 exec, exec, s[58:59]
	s_and_b64 s[12:13], exec, s[52:53]
	s_or_b64 s[48:49], s[12:13], s[48:49]
	s_andn2_b64 s[12:13], s[56:57], exec
	s_and_b64 s[22:23], s[54:55], exec
	s_or_b64 s[56:57], s[12:13], s[22:23]
	s_andn2_b64 s[12:13], s[50:51], exec
	s_and_b64 s[22:23], s[18:19], exec
	s_or_b64 s[50:51], s[12:13], s[22:23]
	s_andn2_b64 exec, exec, s[48:49]
	s_cbranch_execz .LBB755_1010
.LBB755_1008:                           ; =>This Inner Loop Header: Depth=1
	flat_load_dwordx2 v[96:97], v[20:21]
	flat_load_dwordx2 v[98:99], v[18:19]
	s_andn2_b64 s[58:59], s[18:19], exec
	s_andn2_b64 s[54:55], s[54:55], exec
	s_or_b64 s[52:53], s[52:53], exec
	s_waitcnt vmcnt(0) lgkmcnt(0)
	v_cmp_ngt_f64_e64 s[18:19], v[96:97], v[98:99]
	v_cmp_lt_f64_e64 s[12:13], v[96:97], v[98:99]
	s_and_b64 s[18:19], s[18:19], s[56:57]
	s_or_b64 s[60:61], s[12:13], s[18:19]
	s_and_b64 s[12:13], s[60:61], exec
	v_cmp_nlg_f64_e64 s[22:23], v[96:97], v[98:99]
	s_or_b64 s[18:19], s[58:59], s[12:13]
	s_and_saveexec_b64 s[58:59], s[22:23]
	s_cbranch_execz .LBB755_1007
; %bb.1009:                             ;   in Loop: Header=BB755_1008 Depth=1
	v_lshl_add_u64 v[22:23], v[22:23], 0, -1
	v_cmp_eq_u64_e64 s[12:13], 0, v[22:23]
	s_andn2_b64 s[22:23], s[54:55], exec
	s_and_b64 s[54:55], s[60:61], exec
	s_or_b64 s[54:55], s[22:23], s[54:55]
	s_andn2_b64 s[22:23], s[52:53], exec
	s_and_b64 s[12:13], s[12:13], exec
	v_lshl_add_u64 v[18:19], v[18:19], 0, 8
	v_lshl_add_u64 v[20:21], v[20:21], 0, 8
	s_andn2_b64 s[18:19], s[18:19], exec
	s_or_b64 s[52:53], s[22:23], s[12:13]
                                        ; implicit-def: $sgpr56_sgpr57
	s_branch .LBB755_1007
.LBB755_1010:
	s_or_b64 exec, exec, s[48:49]
	s_xor_b64 s[12:13], s[50:51], -1
	s_andn2_b64 s[18:19], s[42:43], exec
	s_and_b64 s[12:13], s[12:13], exec
	s_or_b64 s[42:43], s[18:19], s[12:13]
.LBB755_1011:
	s_or_b64 exec, exec, s[46:47]
	s_orn2_b64 s[42:43], s[42:43], exec
.LBB755_1012:
	s_or_b64 exec, exec, s[44:45]
	v_cndmask_b32_e64 v16, v70, v71, s[42:43]
	v_cndmask_b32_e64 v18, v101, v100, s[42:43]
	v_add_u32_e32 v19, 1, v16
	v_add_u32_e32 v16, -1, v18
	v_min_u32_e32 v16, v19, v16
	v_lshl_add_u64 v[16:17], v[16:17], 3, v[66:67]
	flat_load_dwordx2 v[16:17], v[16:17]
	v_cndmask_b32_e64 v22, v19, v70, s[42:43]
	v_cndmask_b32_e64 v23, v71, v19, s[42:43]
	v_cmp_lt_u32_e64 s[12:13], v22, v101
	s_waitcnt vmcnt(0) lgkmcnt(0)
	v_cndmask_b32_e64 v96, v17, v84, s[42:43]
	v_cndmask_b32_e64 v97, v16, v85, s[42:43]
	;; [unrolled: 1-line block ×4, first 2 shown]
	s_and_saveexec_b64 s[44:45], s[12:13]
	s_cbranch_execz .LBB755_1020
; %bb.1013:
	v_cmp_lt_u32_e64 s[40:41], v23, v100
	s_and_b64 s[12:13], s[40:41], s[28:29]
	s_and_saveexec_b64 s[46:47], s[12:13]
	s_cbranch_execz .LBB755_1019
; %bb.1014:
	v_mul_lo_u32 v18, v98, v6
	v_mul_lo_u32 v19, v99, v7
	v_mad_u64_u32 v[16:17], s[12:13], v99, v6, 0
	v_add3_u32 v17, v17, v19, v18
	v_mul_lo_u32 v20, v96, v6
	v_mul_lo_u32 v21, v97, v7
	v_mad_u64_u32 v[18:19], s[12:13], v97, v6, 0
	v_add3_u32 v19, v19, v21, v20
	v_lshl_add_u64 v[16:17], v[16:17], 3, v[8:9]
	v_lshl_add_u64 v[18:19], v[18:19], 3, v[8:9]
	s_mov_b64 s[48:49], 0
	v_mov_b64_e32 v[20:21], v[6:7]
                                        ; implicit-def: $sgpr50_sgpr51
                                        ; implicit-def: $sgpr52_sgpr53
                                        ; implicit-def: $sgpr18_sgpr19
                                        ; implicit-def: $sgpr54_sgpr55
                                        ; implicit-def: $sgpr56_sgpr57
	s_branch .LBB755_1016
.LBB755_1015:                           ;   in Loop: Header=BB755_1016 Depth=1
	s_or_b64 exec, exec, s[58:59]
	s_and_b64 s[12:13], exec, s[52:53]
	s_or_b64 s[48:49], s[12:13], s[48:49]
	s_andn2_b64 s[12:13], s[56:57], exec
	s_and_b64 s[22:23], s[54:55], exec
	s_or_b64 s[56:57], s[12:13], s[22:23]
	s_andn2_b64 s[12:13], s[50:51], exec
	s_and_b64 s[22:23], s[18:19], exec
	s_or_b64 s[50:51], s[12:13], s[22:23]
	s_andn2_b64 exec, exec, s[48:49]
	s_cbranch_execz .LBB755_1018
.LBB755_1016:                           ; =>This Inner Loop Header: Depth=1
	flat_load_dwordx2 v[70:71], v[18:19]
	flat_load_dwordx2 v[102:103], v[16:17]
	s_andn2_b64 s[58:59], s[18:19], exec
	s_andn2_b64 s[54:55], s[54:55], exec
	s_or_b64 s[52:53], s[52:53], exec
	s_waitcnt vmcnt(0) lgkmcnt(0)
	v_cmp_ngt_f64_e64 s[18:19], v[70:71], v[102:103]
	v_cmp_lt_f64_e64 s[12:13], v[70:71], v[102:103]
	s_and_b64 s[18:19], s[18:19], s[56:57]
	s_or_b64 s[60:61], s[12:13], s[18:19]
	s_and_b64 s[12:13], s[60:61], exec
	v_cmp_nlg_f64_e64 s[22:23], v[70:71], v[102:103]
	s_or_b64 s[18:19], s[58:59], s[12:13]
	s_and_saveexec_b64 s[58:59], s[22:23]
	s_cbranch_execz .LBB755_1015
; %bb.1017:                             ;   in Loop: Header=BB755_1016 Depth=1
	v_lshl_add_u64 v[20:21], v[20:21], 0, -1
	v_cmp_eq_u64_e64 s[12:13], 0, v[20:21]
	s_andn2_b64 s[22:23], s[54:55], exec
	s_and_b64 s[54:55], s[60:61], exec
	s_or_b64 s[54:55], s[22:23], s[54:55]
	s_andn2_b64 s[22:23], s[52:53], exec
	s_and_b64 s[12:13], s[12:13], exec
	v_lshl_add_u64 v[16:17], v[16:17], 0, 8
	v_lshl_add_u64 v[18:19], v[18:19], 0, 8
	s_andn2_b64 s[18:19], s[18:19], exec
	s_or_b64 s[52:53], s[22:23], s[12:13]
                                        ; implicit-def: $sgpr56_sgpr57
	s_branch .LBB755_1015
.LBB755_1018:
	s_or_b64 exec, exec, s[48:49]
	s_xor_b64 s[12:13], s[50:51], -1
	s_andn2_b64 s[18:19], s[40:41], exec
	s_and_b64 s[12:13], s[12:13], exec
	s_or_b64 s[40:41], s[18:19], s[12:13]
.LBB755_1019:
	s_or_b64 exec, exec, s[46:47]
	s_orn2_b64 s[40:41], s[40:41], exec
.LBB755_1020:
	s_or_b64 exec, exec, s[44:45]
	v_cndmask_b32_e64 v16, v22, v23, s[40:41]
	v_cndmask_b32_e64 v17, v101, v100, s[40:41]
	v_add_u32_e32 v20, 1, v16
	v_add_u32_e32 v16, -1, v17
	v_min_u32_e32 v16, v20, v16
	v_mov_b32_e32 v17, 0
	v_lshl_add_u64 v[18:19], v[16:17], 3, v[66:67]
	flat_load_dwordx2 v[18:19], v[18:19]
	v_cndmask_b32_e64 v70, v20, v22, s[40:41]
	s_mov_b64 s[44:45], -1
	v_cndmask_b32_e64 v71, v23, v20, s[40:41]
	v_cmp_lt_u32_e64 s[12:13], v70, v101
	s_mov_b64 s[46:47], -1
	s_waitcnt vmcnt(0) lgkmcnt(0)
	v_cndmask_b32_e64 v102, v19, v96, s[40:41]
	v_cndmask_b32_e64 v103, v18, v97, s[40:41]
	;; [unrolled: 1-line block ×4, first 2 shown]
	s_and_saveexec_b64 s[48:49], s[12:13]
	s_cbranch_execz .LBB755_1028
; %bb.1021:
	v_cmp_lt_u32_e64 s[46:47], v71, v100
	s_and_b64 s[12:13], s[46:47], s[28:29]
	s_and_saveexec_b64 s[50:51], s[12:13]
	s_cbranch_execz .LBB755_1027
; %bb.1022:
	v_mul_lo_u32 v16, v112, v6
	v_mul_lo_u32 v20, v113, v7
	v_mad_u64_u32 v[18:19], s[12:13], v113, v6, 0
	v_add3_u32 v19, v19, v20, v16
	v_mul_lo_u32 v16, v102, v6
	v_mul_lo_u32 v22, v103, v7
	v_mad_u64_u32 v[20:21], s[12:13], v103, v6, 0
	v_add3_u32 v21, v21, v22, v16
	v_lshl_add_u64 v[18:19], v[18:19], 3, v[8:9]
	v_lshl_add_u64 v[20:21], v[20:21], 3, v[8:9]
	s_mov_b64 s[52:53], 0
	v_mov_b64_e32 v[22:23], v[6:7]
                                        ; implicit-def: $sgpr54_sgpr55
                                        ; implicit-def: $sgpr56_sgpr57
                                        ; implicit-def: $sgpr18_sgpr19
                                        ; implicit-def: $sgpr58_sgpr59
                                        ; implicit-def: $sgpr60_sgpr61
	s_branch .LBB755_1024
.LBB755_1023:                           ;   in Loop: Header=BB755_1024 Depth=1
	s_or_b64 exec, exec, s[62:63]
	s_and_b64 s[12:13], exec, s[56:57]
	s_or_b64 s[52:53], s[12:13], s[52:53]
	s_andn2_b64 s[12:13], s[60:61], exec
	s_and_b64 s[22:23], s[58:59], exec
	s_or_b64 s[60:61], s[12:13], s[22:23]
	s_andn2_b64 s[12:13], s[54:55], exec
	s_and_b64 s[22:23], s[18:19], exec
	s_or_b64 s[54:55], s[12:13], s[22:23]
	s_andn2_b64 exec, exec, s[52:53]
	s_cbranch_execz .LBB755_1026
.LBB755_1024:                           ; =>This Inner Loop Header: Depth=1
	flat_load_dwordx2 v[114:115], v[20:21]
	flat_load_dwordx2 v[116:117], v[18:19]
	s_andn2_b64 s[62:63], s[18:19], exec
	s_andn2_b64 s[58:59], s[58:59], exec
	s_or_b64 s[56:57], s[56:57], exec
	s_waitcnt vmcnt(0) lgkmcnt(0)
	v_cmp_ngt_f64_e64 s[18:19], v[114:115], v[116:117]
	v_cmp_lt_f64_e64 s[12:13], v[114:115], v[116:117]
	s_and_b64 s[18:19], s[18:19], s[60:61]
	s_or_b64 s[64:65], s[12:13], s[18:19]
	s_and_b64 s[12:13], s[64:65], exec
	v_cmp_nlg_f64_e64 s[22:23], v[114:115], v[116:117]
	s_or_b64 s[18:19], s[62:63], s[12:13]
	s_and_saveexec_b64 s[62:63], s[22:23]
	s_cbranch_execz .LBB755_1023
; %bb.1025:                             ;   in Loop: Header=BB755_1024 Depth=1
	v_lshl_add_u64 v[22:23], v[22:23], 0, -1
	v_cmp_eq_u64_e64 s[12:13], 0, v[22:23]
	s_andn2_b64 s[22:23], s[58:59], exec
	s_and_b64 s[58:59], s[64:65], exec
	s_or_b64 s[58:59], s[22:23], s[58:59]
	s_andn2_b64 s[22:23], s[56:57], exec
	s_and_b64 s[12:13], s[12:13], exec
	v_lshl_add_u64 v[18:19], v[18:19], 0, 8
	v_lshl_add_u64 v[20:21], v[20:21], 0, 8
	s_andn2_b64 s[18:19], s[18:19], exec
	s_or_b64 s[56:57], s[22:23], s[12:13]
                                        ; implicit-def: $sgpr60_sgpr61
	s_branch .LBB755_1023
.LBB755_1026:
	s_or_b64 exec, exec, s[52:53]
	s_xor_b64 s[12:13], s[54:55], -1
	s_andn2_b64 s[18:19], s[46:47], exec
	s_and_b64 s[12:13], s[12:13], exec
	s_or_b64 s[46:47], s[18:19], s[12:13]
.LBB755_1027:
	s_or_b64 exec, exec, s[50:51]
	s_orn2_b64 s[46:47], s[46:47], exec
.LBB755_1028:
	s_or_b64 exec, exec, s[48:49]
	v_cndmask_b32_e64 v16, v70, v71, s[46:47]
	v_cndmask_b32_e64 v18, v101, v100, s[46:47]
	v_add_u32_e32 v19, 1, v16
	v_add_u32_e32 v16, -1, v18
	v_min_u32_e32 v16, v19, v16
	v_lshl_add_u64 v[16:17], v[16:17], 3, v[66:67]
	flat_load_dwordx2 v[16:17], v[16:17]
	v_cndmask_b32_e64 v117, v19, v70, s[46:47]
	v_cndmask_b32_e64 v114, v71, v19, s[46:47]
	v_cmp_lt_u32_e64 s[12:13], v117, v101
	s_waitcnt vmcnt(0) lgkmcnt(0)
	v_cndmask_b32_e64 v115, v17, v102, s[46:47]
	v_cndmask_b32_e64 v116, v16, v103, s[46:47]
	;; [unrolled: 1-line block ×4, first 2 shown]
	s_and_saveexec_b64 s[48:49], s[12:13]
	s_cbranch_execz .LBB755_1036
; %bb.1029:
	v_cmp_lt_u32_e64 s[44:45], v114, v100
	s_and_b64 s[12:13], s[44:45], s[28:29]
	s_and_saveexec_b64 s[50:51], s[12:13]
	s_cbranch_execz .LBB755_1035
; %bb.1030:
	v_mul_lo_u32 v18, v118, v6
	v_mul_lo_u32 v19, v119, v7
	v_mad_u64_u32 v[16:17], s[12:13], v119, v6, 0
	v_add3_u32 v17, v17, v19, v18
	v_mul_lo_u32 v20, v115, v6
	v_mul_lo_u32 v21, v116, v7
	v_mad_u64_u32 v[18:19], s[12:13], v116, v6, 0
	v_add3_u32 v19, v19, v21, v20
	v_lshl_add_u64 v[16:17], v[16:17], 3, v[8:9]
	v_lshl_add_u64 v[18:19], v[18:19], 3, v[8:9]
	s_mov_b64 s[52:53], 0
	v_mov_b64_e32 v[20:21], v[6:7]
                                        ; implicit-def: $sgpr54_sgpr55
                                        ; implicit-def: $sgpr56_sgpr57
                                        ; implicit-def: $sgpr18_sgpr19
                                        ; implicit-def: $sgpr58_sgpr59
                                        ; implicit-def: $sgpr60_sgpr61
	s_branch .LBB755_1032
.LBB755_1031:                           ;   in Loop: Header=BB755_1032 Depth=1
	s_or_b64 exec, exec, s[62:63]
	s_and_b64 s[12:13], exec, s[56:57]
	s_or_b64 s[52:53], s[12:13], s[52:53]
	s_andn2_b64 s[12:13], s[60:61], exec
	s_and_b64 s[22:23], s[58:59], exec
	s_or_b64 s[60:61], s[12:13], s[22:23]
	s_andn2_b64 s[12:13], s[54:55], exec
	s_and_b64 s[22:23], s[18:19], exec
	s_or_b64 s[54:55], s[12:13], s[22:23]
	s_andn2_b64 exec, exec, s[52:53]
	s_cbranch_execz .LBB755_1034
.LBB755_1032:                           ; =>This Inner Loop Header: Depth=1
	flat_load_dwordx2 v[22:23], v[18:19]
	flat_load_dwordx2 v[70:71], v[16:17]
	s_andn2_b64 s[62:63], s[18:19], exec
	s_andn2_b64 s[58:59], s[58:59], exec
	s_or_b64 s[56:57], s[56:57], exec
	s_waitcnt vmcnt(0) lgkmcnt(0)
	v_cmp_ngt_f64_e64 s[18:19], v[22:23], v[70:71]
	v_cmp_lt_f64_e64 s[12:13], v[22:23], v[70:71]
	s_and_b64 s[18:19], s[18:19], s[60:61]
	s_or_b64 s[64:65], s[12:13], s[18:19]
	s_and_b64 s[12:13], s[64:65], exec
	v_cmp_nlg_f64_e64 s[22:23], v[22:23], v[70:71]
	s_or_b64 s[18:19], s[62:63], s[12:13]
	s_and_saveexec_b64 s[62:63], s[22:23]
	s_cbranch_execz .LBB755_1031
; %bb.1033:                             ;   in Loop: Header=BB755_1032 Depth=1
	v_lshl_add_u64 v[20:21], v[20:21], 0, -1
	v_cmp_eq_u64_e64 s[12:13], 0, v[20:21]
	s_andn2_b64 s[22:23], s[58:59], exec
	s_and_b64 s[58:59], s[64:65], exec
	s_or_b64 s[58:59], s[22:23], s[58:59]
	s_andn2_b64 s[22:23], s[56:57], exec
	s_and_b64 s[12:13], s[12:13], exec
	v_lshl_add_u64 v[16:17], v[16:17], 0, 8
	v_lshl_add_u64 v[18:19], v[18:19], 0, 8
	s_andn2_b64 s[18:19], s[18:19], exec
	s_or_b64 s[56:57], s[22:23], s[12:13]
                                        ; implicit-def: $sgpr60_sgpr61
	s_branch .LBB755_1031
.LBB755_1034:
	s_or_b64 exec, exec, s[52:53]
	s_xor_b64 s[12:13], s[54:55], -1
	s_andn2_b64 s[18:19], s[44:45], exec
	s_and_b64 s[12:13], s[12:13], exec
	s_or_b64 s[44:45], s[18:19], s[12:13]
.LBB755_1035:
	s_or_b64 exec, exec, s[50:51]
	s_orn2_b64 s[44:45], s[44:45], exec
.LBB755_1036:
	s_or_b64 exec, exec, s[48:49]
	v_cndmask_b32_e64 v16, v117, v114, s[44:45]
	v_cndmask_b32_e64 v17, v101, v100, s[44:45]
	v_add_u32_e32 v128, 1, v16
	v_add_u32_e32 v16, -1, v17
	v_min_u32_e32 v16, v128, v16
	v_mov_b32_e32 v17, 0
	v_lshl_add_u64 v[16:17], v[16:17], 3, v[66:67]
	flat_load_dwordx2 v[70:71], v[16:17]
	v_cndmask_b32_e64 v21, v27, v82, s[36:37]
	v_cndmask_b32_e64 v27, v24, v26, s[38:39]
	;; [unrolled: 1-line block ×15, first 2 shown]
	v_cmp_lt_u32_e64 s[12:13], v80, v101
	s_waitcnt vmcnt(0) lgkmcnt(0)
	v_cndmask_b32_e64 v15, v118, v71, s[44:45]
	v_cndmask_b32_e64 v14, v119, v70, s[44:45]
	s_and_saveexec_b64 s[34:35], s[12:13]
	s_cbranch_execz .LBB755_1044
; %bb.1037:
	v_cndmask_b32_e64 v85, v70, v116, s[44:45]
	v_cndmask_b32_e64 v70, v114, v128, s[44:45]
	v_cmp_ge_u32_e64 s[12:13], v70, v100
	v_cndmask_b32_e64 v84, v71, v115, s[44:45]
	s_or_b64 s[18:19], s[12:13], s[8:9]
	v_cndmask_b32_e64 v71, v15, v84, s[12:13]
	s_xor_b64 s[18:19], s[18:19], -1
	v_cndmask_b32_e64 v70, v14, v85, s[12:13]
	s_and_saveexec_b64 s[36:37], s[18:19]
	s_cbranch_execz .LBB755_1043
; %bb.1038:
	v_mul_lo_u32 v80, v15, v6
	v_mul_lo_u32 v81, v14, v7
	v_mad_u64_u32 v[70:71], s[12:13], v14, v6, 0
	v_add3_u32 v71, v71, v81, v80
	v_mul_lo_u32 v82, v84, v6
	v_mul_lo_u32 v83, v85, v7
	v_mad_u64_u32 v[80:81], s[12:13], v85, v6, 0
	v_add3_u32 v81, v81, v83, v82
	v_lshl_add_u64 v[70:71], v[70:71], 3, v[8:9]
	v_lshl_add_u64 v[80:81], v[80:81], 3, v[8:9]
	s_mov_b64 s[38:39], 0
	v_mov_b64_e32 v[82:83], v[6:7]
                                        ; implicit-def: $sgpr40_sgpr41
                                        ; implicit-def: $sgpr42_sgpr43
                                        ; implicit-def: $sgpr18_sgpr19
                                        ; implicit-def: $sgpr44_sgpr45
                                        ; implicit-def: $sgpr46_sgpr47
	s_branch .LBB755_1040
.LBB755_1039:                           ;   in Loop: Header=BB755_1040 Depth=1
	s_or_b64 exec, exec, s[48:49]
	s_and_b64 s[12:13], exec, s[42:43]
	s_or_b64 s[38:39], s[12:13], s[38:39]
	s_andn2_b64 s[12:13], s[46:47], exec
	s_and_b64 s[22:23], s[44:45], exec
	s_or_b64 s[46:47], s[12:13], s[22:23]
	s_andn2_b64 s[12:13], s[40:41], exec
	s_and_b64 s[22:23], s[18:19], exec
	s_or_b64 s[40:41], s[12:13], s[22:23]
	s_andn2_b64 exec, exec, s[38:39]
	s_cbranch_execz .LBB755_1042
.LBB755_1040:                           ; =>This Inner Loop Header: Depth=1
	flat_load_dwordx2 v[86:87], v[80:81]
	flat_load_dwordx2 v[96:97], v[70:71]
	s_andn2_b64 s[48:49], s[18:19], exec
	s_andn2_b64 s[44:45], s[44:45], exec
	s_or_b64 s[42:43], s[42:43], exec
	s_waitcnt vmcnt(0) lgkmcnt(0)
	v_cmp_ngt_f64_e64 s[18:19], v[86:87], v[96:97]
	v_cmp_lt_f64_e64 s[12:13], v[86:87], v[96:97]
	s_and_b64 s[18:19], s[18:19], s[46:47]
	s_or_b64 s[50:51], s[12:13], s[18:19]
	s_and_b64 s[12:13], s[50:51], exec
	v_cmp_nlg_f64_e64 s[22:23], v[86:87], v[96:97]
	s_or_b64 s[18:19], s[48:49], s[12:13]
	s_and_saveexec_b64 s[48:49], s[22:23]
	s_cbranch_execz .LBB755_1039
; %bb.1041:                             ;   in Loop: Header=BB755_1040 Depth=1
	v_lshl_add_u64 v[82:83], v[82:83], 0, -1
	v_cmp_eq_u64_e64 s[12:13], 0, v[82:83]
	s_andn2_b64 s[22:23], s[44:45], exec
	s_and_b64 s[44:45], s[50:51], exec
	s_or_b64 s[44:45], s[22:23], s[44:45]
	s_andn2_b64 s[22:23], s[42:43], exec
	s_and_b64 s[12:13], s[12:13], exec
	v_lshl_add_u64 v[70:71], v[70:71], 0, 8
	v_lshl_add_u64 v[80:81], v[80:81], 0, 8
	s_andn2_b64 s[18:19], s[18:19], exec
	s_or_b64 s[42:43], s[22:23], s[12:13]
                                        ; implicit-def: $sgpr46_sgpr47
	s_branch .LBB755_1039
.LBB755_1042:
	s_or_b64 exec, exec, s[38:39]
	v_cndmask_b32_e64 v71, v15, v84, s[40:41]
	v_cndmask_b32_e64 v70, v14, v85, s[40:41]
.LBB755_1043:
	s_or_b64 exec, exec, s[36:37]
	v_mov_b64_e32 v[14:15], v[70:71]
.LBB755_1044:
	s_or_b64 exec, exec, s[34:35]
.LBB755_1045:
	s_or_b64 exec, exec, s[30:31]
	v_and_b32_e32 v102, 0x3c0, v31
	v_or_b32_e32 v70, 32, v102
	v_min_u32_e32 v100, v1, v70
	v_add_u32_e32 v70, 32, v100
	v_min_u32_e32 v101, v1, v70
	v_and_b32_e32 v70, 56, v31
	v_min_u32_e32 v103, v1, v70
	v_sub_u32_e32 v70, v100, v102
	v_sub_u32_e32 v71, v101, v100
	v_sub_u32_e64 v112, v103, v71 clamp
	v_min_u32_e32 v113, v103, v70
	v_cmp_lt_u32_e64 s[12:13], v112, v113
	; wave barrier
	flat_store_dwordx4 v[68:69], v[24:27]
	flat_store_dwordx4 v[68:69], v[20:23] offset:16
	flat_store_dwordx4 v[68:69], v[16:19] offset:32
	;; [unrolled: 1-line block ×3, first 2 shown]
	; wave barrier
	s_and_saveexec_b64 s[30:31], s[12:13]
	s_cbranch_execz .LBB755_1055
; %bb.1046:
	v_lshlrev_b32_e32 v70, 3, v102
	v_mov_b32_e32 v71, 0
	v_lshl_add_u64 v[80:81], v[66:67], 0, v[70:71]
	v_lshlrev_b32_e32 v70, 3, v100
	v_lshl_add_u64 v[82:83], v[66:67], 0, v[70:71]
	s_mov_b64 s[34:35], 0
	s_branch .LBB755_1049
.LBB755_1047:                           ;   in Loop: Header=BB755_1049 Depth=1
	s_or_b64 exec, exec, s[38:39]
	s_and_b64 s[12:13], s[40:41], exec
.LBB755_1048:                           ;   in Loop: Header=BB755_1049 Depth=1
	s_or_b64 exec, exec, s[36:37]
	v_add_u32_e32 v70, 1, v84
	v_cndmask_b32_e64 v113, v113, v84, s[12:13]
	v_cndmask_b32_e64 v112, v70, v112, s[12:13]
	v_cmp_ge_u32_e64 s[12:13], v112, v113
	s_or_b64 s[34:35], s[12:13], s[34:35]
	s_andn2_b64 exec, exec, s[34:35]
	s_cbranch_execz .LBB755_1054
.LBB755_1049:                           ; =>This Loop Header: Depth=1
                                        ;     Child Loop BB755_1052 Depth 2
	v_add_u32_e32 v70, v113, v112
	v_lshrrev_b32_e32 v84, 1, v70
	s_mov_b64 s[12:13], 0
	s_and_saveexec_b64 s[36:37], s[16:17]
	s_cbranch_execz .LBB755_1048
; %bb.1050:                             ;   in Loop: Header=BB755_1049 Depth=1
	v_mov_b32_e32 v85, v71
	v_xad_u32 v70, v84, -1, v103
	v_lshl_add_u64 v[86:87], v[84:85], 3, v[80:81]
	v_lshl_add_u64 v[96:97], v[70:71], 3, v[82:83]
	flat_load_dwordx2 v[86:87], v[86:87]
	s_mov_b64 s[38:39], 0
	flat_load_dwordx2 v[96:97], v[96:97]
                                        ; implicit-def: $sgpr40_sgpr41
                                        ; implicit-def: $sgpr42_sgpr43
                                        ; implicit-def: $sgpr44_sgpr45
                                        ; implicit-def: $sgpr18_sgpr19
                                        ; implicit-def: $sgpr46_sgpr47
	s_waitcnt vmcnt(0) lgkmcnt(0)
	v_mul_lo_u32 v70, v64, v87
	v_mul_lo_u32 v85, v65, v86
	v_mad_u64_u32 v[86:87], s[12:13], v64, v86, v[8:9]
	v_mul_lo_u32 v98, v64, v97
	v_mul_lo_u32 v99, v65, v96
	v_mad_u64_u32 v[96:97], s[12:13], v64, v96, v[8:9]
	v_add3_u32 v87, v85, v87, v70
	v_add3_u32 v97, v99, v97, v98
	v_mov_b64_e32 v[98:99], v[6:7]
	s_branch .LBB755_1052
.LBB755_1051:                           ;   in Loop: Header=BB755_1052 Depth=2
	s_or_b64 exec, exec, s[48:49]
	s_and_b64 s[12:13], exec, s[42:43]
	s_or_b64 s[38:39], s[12:13], s[38:39]
	s_andn2_b64 s[12:13], s[46:47], exec
	s_and_b64 s[22:23], s[44:45], exec
	s_or_b64 s[46:47], s[12:13], s[22:23]
	s_andn2_b64 s[12:13], s[40:41], exec
	s_and_b64 s[22:23], s[18:19], exec
	s_or_b64 s[40:41], s[12:13], s[22:23]
	s_andn2_b64 exec, exec, s[38:39]
	s_cbranch_execz .LBB755_1047
.LBB755_1052:                           ;   Parent Loop BB755_1049 Depth=1
                                        ; =>  This Inner Loop Header: Depth=2
	flat_load_dwordx2 v[114:115], v[96:97]
	flat_load_dwordx2 v[116:117], v[86:87]
	s_andn2_b64 s[48:49], s[18:19], exec
	s_andn2_b64 s[44:45], s[44:45], exec
	s_or_b64 s[42:43], s[42:43], exec
	s_waitcnt vmcnt(0) lgkmcnt(0)
	v_cmp_ngt_f64_e64 s[18:19], v[114:115], v[116:117]
	v_cmp_lt_f64_e64 s[12:13], v[114:115], v[116:117]
	s_and_b64 s[18:19], s[18:19], s[46:47]
	s_or_b64 s[50:51], s[12:13], s[18:19]
	s_and_b64 s[12:13], s[50:51], exec
	v_cmp_nlg_f64_e64 s[22:23], v[114:115], v[116:117]
	s_or_b64 s[18:19], s[48:49], s[12:13]
	s_and_saveexec_b64 s[48:49], s[22:23]
	s_cbranch_execz .LBB755_1051
; %bb.1053:                             ;   in Loop: Header=BB755_1052 Depth=2
	v_lshl_add_u64 v[98:99], v[98:99], 0, -1
	v_cmp_eq_u64_e64 s[12:13], 0, v[98:99]
	s_andn2_b64 s[22:23], s[44:45], exec
	s_and_b64 s[44:45], s[50:51], exec
	s_or_b64 s[44:45], s[22:23], s[44:45]
	s_andn2_b64 s[22:23], s[42:43], exec
	s_and_b64 s[12:13], s[12:13], exec
	v_lshl_add_u64 v[86:87], v[86:87], 0, 8
	v_lshl_add_u64 v[96:97], v[96:97], 0, 8
	s_andn2_b64 s[18:19], s[18:19], exec
	s_or_b64 s[42:43], s[22:23], s[12:13]
                                        ; implicit-def: $sgpr46_sgpr47
	s_branch .LBB755_1051
.LBB755_1054:
	s_or_b64 exec, exec, s[34:35]
.LBB755_1055:
	s_or_b64 exec, exec, s[30:31]
	v_add_u32_e32 v71, v100, v103
	v_add_u32_e32 v70, v112, v102
	v_sub_u32_e32 v80, v71, v112
	v_cmp_le_u32_e64 s[12:13], v70, v100
	v_cmp_le_u32_e64 s[18:19], v80, v101
	s_or_b64 s[12:13], s[12:13], s[18:19]
	s_and_saveexec_b64 s[30:31], s[12:13]
	s_cbranch_execz .LBB755_1127
; %bb.1056:
	v_cmp_ge_u32_e64 s[18:19], v70, v100
	v_cmp_lt_u32_e64 s[12:13], v70, v100
                                        ; implicit-def: $vgpr12_vgpr13
	s_and_saveexec_b64 s[22:23], s[12:13]
	s_cbranch_execz .LBB755_1058
; %bb.1057:
	v_mov_b32_e32 v71, 0
	v_lshl_add_u64 v[12:13], v[70:71], 3, v[66:67]
	flat_load_dwordx2 v[12:13], v[12:13]
.LBB755_1058:
	s_or_b64 exec, exec, s[22:23]
	v_cmp_ge_u32_e64 s[34:35], v80, v101
	v_cmp_lt_u32_e64 s[12:13], v80, v101
                                        ; implicit-def: $vgpr14_vgpr15
	s_and_saveexec_b64 s[22:23], s[12:13]
	s_cbranch_execz .LBB755_1060
; %bb.1059:
	v_mov_b32_e32 v81, 0
	v_lshl_add_u64 v[14:15], v[80:81], 3, v[66:67]
	flat_load_dwordx2 v[14:15], v[14:15]
.LBB755_1060:
	s_or_b64 exec, exec, s[22:23]
	s_or_b64 s[12:13], s[18:19], s[34:35]
	s_xor_b64 s[12:13], s[12:13], -1
	s_and_saveexec_b64 s[36:37], s[12:13]
	s_cbranch_execz .LBB755_1068
; %bb.1061:
	s_mov_b64 s[12:13], 0
	s_and_saveexec_b64 s[38:39], s[16:17]
	s_cbranch_execz .LBB755_1067
; %bb.1062:
	s_waitcnt vmcnt(0) lgkmcnt(0)
	v_mul_lo_u32 v18, v13, v6
	v_mul_lo_u32 v19, v12, v7
	v_mad_u64_u32 v[16:17], s[12:13], v12, v6, 0
	v_add3_u32 v17, v17, v19, v18
	v_mul_lo_u32 v20, v15, v6
	v_mul_lo_u32 v21, v14, v7
	v_mad_u64_u32 v[18:19], s[12:13], v14, v6, 0
	v_add3_u32 v19, v19, v21, v20
	v_lshl_add_u64 v[16:17], v[16:17], 3, v[8:9]
	v_lshl_add_u64 v[18:19], v[18:19], 3, v[8:9]
	s_mov_b64 s[40:41], 0
	v_mov_b64_e32 v[20:21], v[6:7]
                                        ; implicit-def: $sgpr42_sgpr43
                                        ; implicit-def: $sgpr44_sgpr45
                                        ; implicit-def: $sgpr46_sgpr47
                                        ; implicit-def: $sgpr18_sgpr19
                                        ; implicit-def: $sgpr48_sgpr49
	s_branch .LBB755_1064
.LBB755_1063:                           ;   in Loop: Header=BB755_1064 Depth=1
	s_or_b64 exec, exec, s[50:51]
	s_and_b64 s[12:13], exec, s[44:45]
	s_or_b64 s[40:41], s[12:13], s[40:41]
	s_andn2_b64 s[12:13], s[48:49], exec
	s_and_b64 s[22:23], s[46:47], exec
	s_or_b64 s[48:49], s[12:13], s[22:23]
	s_andn2_b64 s[12:13], s[42:43], exec
	s_and_b64 s[22:23], s[18:19], exec
	s_or_b64 s[42:43], s[12:13], s[22:23]
	s_andn2_b64 exec, exec, s[40:41]
	s_cbranch_execz .LBB755_1066
.LBB755_1064:                           ; =>This Inner Loop Header: Depth=1
	flat_load_dwordx2 v[22:23], v[18:19]
	flat_load_dwordx2 v[24:25], v[16:17]
	s_andn2_b64 s[50:51], s[18:19], exec
	s_andn2_b64 s[46:47], s[46:47], exec
	s_or_b64 s[44:45], s[44:45], exec
	s_waitcnt vmcnt(0) lgkmcnt(0)
	v_cmp_ngt_f64_e64 s[18:19], v[22:23], v[24:25]
	v_cmp_lt_f64_e64 s[12:13], v[22:23], v[24:25]
	s_and_b64 s[18:19], s[18:19], s[48:49]
	s_or_b64 s[52:53], s[12:13], s[18:19]
	s_and_b64 s[12:13], s[52:53], exec
	v_cmp_nlg_f64_e64 s[22:23], v[22:23], v[24:25]
	s_or_b64 s[18:19], s[50:51], s[12:13]
	s_and_saveexec_b64 s[50:51], s[22:23]
	s_cbranch_execz .LBB755_1063
; %bb.1065:                             ;   in Loop: Header=BB755_1064 Depth=1
	v_lshl_add_u64 v[20:21], v[20:21], 0, -1
	v_cmp_eq_u64_e64 s[12:13], 0, v[20:21]
	s_andn2_b64 s[22:23], s[46:47], exec
	s_and_b64 s[46:47], s[52:53], exec
	s_or_b64 s[46:47], s[22:23], s[46:47]
	s_andn2_b64 s[22:23], s[44:45], exec
	s_and_b64 s[12:13], s[12:13], exec
	v_lshl_add_u64 v[16:17], v[16:17], 0, 8
	v_lshl_add_u64 v[18:19], v[18:19], 0, 8
	s_andn2_b64 s[18:19], s[18:19], exec
	s_or_b64 s[44:45], s[22:23], s[12:13]
                                        ; implicit-def: $sgpr48_sgpr49
	s_branch .LBB755_1063
.LBB755_1066:
	s_or_b64 exec, exec, s[40:41]
	s_and_b64 s[12:13], s[42:43], exec
.LBB755_1067:
	s_or_b64 exec, exec, s[38:39]
	s_xor_b64 s[12:13], s[12:13], -1
	s_andn2_b64 s[18:19], s[34:35], exec
	s_and_b64 s[12:13], s[12:13], exec
	s_or_b64 s[34:35], s[18:19], s[12:13]
.LBB755_1068:
	s_or_b64 exec, exec, s[36:37]
	v_cndmask_b32_e64 v16, v80, v70, s[34:35]
	v_cndmask_b32_e64 v17, v101, v100, s[34:35]
	v_add_u32_e32 v20, 1, v16
	v_add_u32_e32 v16, -1, v17
	v_min_u32_e32 v16, v20, v16
	v_mov_b32_e32 v17, 0
	v_lshl_add_u64 v[18:19], v[16:17], 3, v[66:67]
	flat_load_dwordx2 v[18:19], v[18:19]
	v_cndmask_b32_e64 v27, v20, v80, s[34:35]
	s_mov_b64 s[36:37], -1
	v_cndmask_b32_e64 v70, v70, v20, s[34:35]
	v_cmp_lt_u32_e64 s[12:13], v27, v101
	s_mov_b64 s[38:39], -1
	s_waitcnt vmcnt(0) lgkmcnt(0)
	v_cndmask_b32_e64 v24, v19, v15, s[34:35]
	v_cndmask_b32_e64 v25, v18, v14, s[34:35]
	;; [unrolled: 1-line block ×4, first 2 shown]
	s_and_saveexec_b64 s[40:41], s[12:13]
	s_cbranch_execz .LBB755_1078
; %bb.1069:
	v_cmp_lt_u32_e64 s[12:13], v70, v100
	s_mov_b64 s[18:19], 0
	s_and_saveexec_b64 s[38:39], s[12:13]
	s_cbranch_execz .LBB755_1077
; %bb.1070:
	s_mov_b64 s[12:13], 0
	s_and_saveexec_b64 s[42:43], s[16:17]
	s_cbranch_execz .LBB755_1076
; %bb.1071:
	v_mul_lo_u32 v16, v26, v6
	v_mul_lo_u32 v20, v80, v7
	v_mad_u64_u32 v[18:19], s[12:13], v80, v6, 0
	v_add3_u32 v19, v19, v20, v16
	v_mul_lo_u32 v16, v24, v6
	v_mul_lo_u32 v22, v25, v7
	v_mad_u64_u32 v[20:21], s[12:13], v25, v6, 0
	v_add3_u32 v21, v21, v22, v16
	v_lshl_add_u64 v[18:19], v[18:19], 3, v[8:9]
	v_lshl_add_u64 v[20:21], v[20:21], 3, v[8:9]
	s_mov_b64 s[44:45], 0
	v_mov_b64_e32 v[22:23], v[6:7]
                                        ; implicit-def: $sgpr46_sgpr47
                                        ; implicit-def: $sgpr48_sgpr49
                                        ; implicit-def: $sgpr50_sgpr51
                                        ; implicit-def: $sgpr18_sgpr19
                                        ; implicit-def: $sgpr52_sgpr53
	s_branch .LBB755_1073
.LBB755_1072:                           ;   in Loop: Header=BB755_1073 Depth=1
	s_or_b64 exec, exec, s[54:55]
	s_and_b64 s[12:13], exec, s[48:49]
	s_or_b64 s[44:45], s[12:13], s[44:45]
	s_andn2_b64 s[12:13], s[52:53], exec
	s_and_b64 s[22:23], s[50:51], exec
	s_or_b64 s[52:53], s[12:13], s[22:23]
	s_andn2_b64 s[12:13], s[46:47], exec
	s_and_b64 s[22:23], s[18:19], exec
	s_or_b64 s[46:47], s[12:13], s[22:23]
	s_andn2_b64 exec, exec, s[44:45]
	s_cbranch_execz .LBB755_1075
.LBB755_1073:                           ; =>This Inner Loop Header: Depth=1
	flat_load_dwordx2 v[82:83], v[20:21]
	flat_load_dwordx2 v[84:85], v[18:19]
	s_andn2_b64 s[54:55], s[18:19], exec
	s_andn2_b64 s[50:51], s[50:51], exec
	s_or_b64 s[48:49], s[48:49], exec
	s_waitcnt vmcnt(0) lgkmcnt(0)
	v_cmp_ngt_f64_e64 s[18:19], v[82:83], v[84:85]
	v_cmp_lt_f64_e64 s[12:13], v[82:83], v[84:85]
	s_and_b64 s[18:19], s[18:19], s[52:53]
	s_or_b64 s[56:57], s[12:13], s[18:19]
	s_and_b64 s[12:13], s[56:57], exec
	v_cmp_nlg_f64_e64 s[22:23], v[82:83], v[84:85]
	s_or_b64 s[18:19], s[54:55], s[12:13]
	s_and_saveexec_b64 s[54:55], s[22:23]
	s_cbranch_execz .LBB755_1072
; %bb.1074:                             ;   in Loop: Header=BB755_1073 Depth=1
	v_lshl_add_u64 v[22:23], v[22:23], 0, -1
	v_cmp_eq_u64_e64 s[12:13], 0, v[22:23]
	s_andn2_b64 s[22:23], s[50:51], exec
	s_and_b64 s[50:51], s[56:57], exec
	s_or_b64 s[50:51], s[22:23], s[50:51]
	s_andn2_b64 s[22:23], s[48:49], exec
	s_and_b64 s[12:13], s[12:13], exec
	v_lshl_add_u64 v[18:19], v[18:19], 0, 8
	v_lshl_add_u64 v[20:21], v[20:21], 0, 8
	s_andn2_b64 s[18:19], s[18:19], exec
	s_or_b64 s[48:49], s[22:23], s[12:13]
                                        ; implicit-def: $sgpr52_sgpr53
	s_branch .LBB755_1072
.LBB755_1075:
	s_or_b64 exec, exec, s[44:45]
	s_and_b64 s[12:13], s[46:47], exec
.LBB755_1076:
	s_or_b64 exec, exec, s[42:43]
	s_xor_b64 s[12:13], s[12:13], -1
	s_and_b64 s[18:19], s[12:13], exec
.LBB755_1077:
	s_or_b64 exec, exec, s[38:39]
	s_orn2_b64 s[38:39], s[18:19], exec
.LBB755_1078:
	s_or_b64 exec, exec, s[40:41]
	v_cndmask_b32_e64 v16, v27, v70, s[38:39]
	v_cndmask_b32_e64 v18, v101, v100, s[38:39]
	v_add_u32_e32 v19, 1, v16
	v_add_u32_e32 v16, -1, v18
	v_min_u32_e32 v16, v19, v16
	v_lshl_add_u64 v[16:17], v[16:17], 3, v[66:67]
	flat_load_dwordx2 v[16:17], v[16:17]
	v_cndmask_b32_e64 v22, v19, v27, s[38:39]
	v_cndmask_b32_e64 v23, v70, v19, s[38:39]
	v_cmp_lt_u32_e64 s[12:13], v22, v101
	s_waitcnt vmcnt(0) lgkmcnt(0)
	v_cndmask_b32_e64 v27, v17, v24, s[38:39]
	v_cndmask_b32_e64 v81, v16, v25, s[38:39]
	;; [unrolled: 1-line block ×4, first 2 shown]
	s_and_saveexec_b64 s[40:41], s[12:13]
	s_cbranch_execz .LBB755_1086
; %bb.1079:
	v_cmp_lt_u32_e64 s[36:37], v23, v100
	s_and_b64 s[12:13], s[36:37], s[28:29]
	s_and_saveexec_b64 s[42:43], s[12:13]
	s_cbranch_execz .LBB755_1085
; %bb.1080:
	v_mul_lo_u32 v18, v82, v6
	v_mul_lo_u32 v19, v83, v7
	v_mad_u64_u32 v[16:17], s[12:13], v83, v6, 0
	v_add3_u32 v17, v17, v19, v18
	v_mul_lo_u32 v20, v27, v6
	v_mul_lo_u32 v21, v81, v7
	v_mad_u64_u32 v[18:19], s[12:13], v81, v6, 0
	v_add3_u32 v19, v19, v21, v20
	v_lshl_add_u64 v[16:17], v[16:17], 3, v[8:9]
	v_lshl_add_u64 v[18:19], v[18:19], 3, v[8:9]
	s_mov_b64 s[44:45], 0
	v_mov_b64_e32 v[20:21], v[6:7]
                                        ; implicit-def: $sgpr46_sgpr47
                                        ; implicit-def: $sgpr48_sgpr49
                                        ; implicit-def: $sgpr18_sgpr19
                                        ; implicit-def: $sgpr50_sgpr51
                                        ; implicit-def: $sgpr52_sgpr53
	s_branch .LBB755_1082
.LBB755_1081:                           ;   in Loop: Header=BB755_1082 Depth=1
	s_or_b64 exec, exec, s[54:55]
	s_and_b64 s[12:13], exec, s[48:49]
	s_or_b64 s[44:45], s[12:13], s[44:45]
	s_andn2_b64 s[12:13], s[52:53], exec
	s_and_b64 s[22:23], s[50:51], exec
	s_or_b64 s[52:53], s[12:13], s[22:23]
	s_andn2_b64 s[12:13], s[46:47], exec
	s_and_b64 s[22:23], s[18:19], exec
	s_or_b64 s[46:47], s[12:13], s[22:23]
	s_andn2_b64 exec, exec, s[44:45]
	s_cbranch_execz .LBB755_1084
.LBB755_1082:                           ; =>This Inner Loop Header: Depth=1
	flat_load_dwordx2 v[70:71], v[18:19]
	flat_load_dwordx2 v[84:85], v[16:17]
	s_andn2_b64 s[54:55], s[18:19], exec
	s_andn2_b64 s[50:51], s[50:51], exec
	s_or_b64 s[48:49], s[48:49], exec
	s_waitcnt vmcnt(0) lgkmcnt(0)
	v_cmp_ngt_f64_e64 s[18:19], v[70:71], v[84:85]
	v_cmp_lt_f64_e64 s[12:13], v[70:71], v[84:85]
	s_and_b64 s[18:19], s[18:19], s[52:53]
	s_or_b64 s[56:57], s[12:13], s[18:19]
	s_and_b64 s[12:13], s[56:57], exec
	v_cmp_nlg_f64_e64 s[22:23], v[70:71], v[84:85]
	s_or_b64 s[18:19], s[54:55], s[12:13]
	s_and_saveexec_b64 s[54:55], s[22:23]
	s_cbranch_execz .LBB755_1081
; %bb.1083:                             ;   in Loop: Header=BB755_1082 Depth=1
	v_lshl_add_u64 v[20:21], v[20:21], 0, -1
	v_cmp_eq_u64_e64 s[12:13], 0, v[20:21]
	s_andn2_b64 s[22:23], s[50:51], exec
	s_and_b64 s[50:51], s[56:57], exec
	s_or_b64 s[50:51], s[22:23], s[50:51]
	s_andn2_b64 s[22:23], s[48:49], exec
	s_and_b64 s[12:13], s[12:13], exec
	v_lshl_add_u64 v[16:17], v[16:17], 0, 8
	v_lshl_add_u64 v[18:19], v[18:19], 0, 8
	s_andn2_b64 s[18:19], s[18:19], exec
	s_or_b64 s[48:49], s[22:23], s[12:13]
                                        ; implicit-def: $sgpr52_sgpr53
	s_branch .LBB755_1081
.LBB755_1084:
	s_or_b64 exec, exec, s[44:45]
	s_xor_b64 s[12:13], s[46:47], -1
	s_andn2_b64 s[18:19], s[36:37], exec
	s_and_b64 s[12:13], s[12:13], exec
	s_or_b64 s[36:37], s[18:19], s[12:13]
.LBB755_1085:
	s_or_b64 exec, exec, s[42:43]
	s_orn2_b64 s[36:37], s[36:37], exec
.LBB755_1086:
	s_or_b64 exec, exec, s[40:41]
	v_cndmask_b32_e64 v16, v22, v23, s[36:37]
	v_cndmask_b32_e64 v17, v101, v100, s[36:37]
	v_add_u32_e32 v20, 1, v16
	v_add_u32_e32 v16, -1, v17
	v_min_u32_e32 v16, v20, v16
	v_mov_b32_e32 v17, 0
	v_lshl_add_u64 v[18:19], v[16:17], 3, v[66:67]
	flat_load_dwordx2 v[18:19], v[18:19]
	v_cndmask_b32_e64 v70, v20, v22, s[36:37]
	s_mov_b64 s[40:41], -1
	v_cndmask_b32_e64 v71, v23, v20, s[36:37]
	v_cmp_lt_u32_e64 s[12:13], v70, v101
	s_mov_b64 s[42:43], -1
	s_waitcnt vmcnt(0) lgkmcnt(0)
	v_cndmask_b32_e64 v84, v19, v27, s[36:37]
	v_cndmask_b32_e64 v85, v18, v81, s[36:37]
	;; [unrolled: 1-line block ×4, first 2 shown]
	s_and_saveexec_b64 s[44:45], s[12:13]
	s_cbranch_execz .LBB755_1094
; %bb.1087:
	v_cmp_lt_u32_e64 s[42:43], v71, v100
	s_and_b64 s[12:13], s[42:43], s[28:29]
	s_and_saveexec_b64 s[46:47], s[12:13]
	s_cbranch_execz .LBB755_1093
; %bb.1088:
	v_mul_lo_u32 v16, v86, v6
	v_mul_lo_u32 v20, v87, v7
	v_mad_u64_u32 v[18:19], s[12:13], v87, v6, 0
	v_add3_u32 v19, v19, v20, v16
	v_mul_lo_u32 v16, v84, v6
	v_mul_lo_u32 v22, v85, v7
	v_mad_u64_u32 v[20:21], s[12:13], v85, v6, 0
	v_add3_u32 v21, v21, v22, v16
	v_lshl_add_u64 v[18:19], v[18:19], 3, v[8:9]
	v_lshl_add_u64 v[20:21], v[20:21], 3, v[8:9]
	s_mov_b64 s[48:49], 0
	v_mov_b64_e32 v[22:23], v[6:7]
                                        ; implicit-def: $sgpr50_sgpr51
                                        ; implicit-def: $sgpr52_sgpr53
                                        ; implicit-def: $sgpr18_sgpr19
                                        ; implicit-def: $sgpr54_sgpr55
                                        ; implicit-def: $sgpr56_sgpr57
	s_branch .LBB755_1090
.LBB755_1089:                           ;   in Loop: Header=BB755_1090 Depth=1
	s_or_b64 exec, exec, s[58:59]
	s_and_b64 s[12:13], exec, s[52:53]
	s_or_b64 s[48:49], s[12:13], s[48:49]
	s_andn2_b64 s[12:13], s[56:57], exec
	s_and_b64 s[22:23], s[54:55], exec
	s_or_b64 s[56:57], s[12:13], s[22:23]
	s_andn2_b64 s[12:13], s[50:51], exec
	s_and_b64 s[22:23], s[18:19], exec
	s_or_b64 s[50:51], s[12:13], s[22:23]
	s_andn2_b64 exec, exec, s[48:49]
	s_cbranch_execz .LBB755_1092
.LBB755_1090:                           ; =>This Inner Loop Header: Depth=1
	flat_load_dwordx2 v[96:97], v[20:21]
	flat_load_dwordx2 v[98:99], v[18:19]
	s_andn2_b64 s[58:59], s[18:19], exec
	s_andn2_b64 s[54:55], s[54:55], exec
	s_or_b64 s[52:53], s[52:53], exec
	s_waitcnt vmcnt(0) lgkmcnt(0)
	v_cmp_ngt_f64_e64 s[18:19], v[96:97], v[98:99]
	v_cmp_lt_f64_e64 s[12:13], v[96:97], v[98:99]
	s_and_b64 s[18:19], s[18:19], s[56:57]
	s_or_b64 s[60:61], s[12:13], s[18:19]
	s_and_b64 s[12:13], s[60:61], exec
	v_cmp_nlg_f64_e64 s[22:23], v[96:97], v[98:99]
	s_or_b64 s[18:19], s[58:59], s[12:13]
	s_and_saveexec_b64 s[58:59], s[22:23]
	s_cbranch_execz .LBB755_1089
; %bb.1091:                             ;   in Loop: Header=BB755_1090 Depth=1
	v_lshl_add_u64 v[22:23], v[22:23], 0, -1
	v_cmp_eq_u64_e64 s[12:13], 0, v[22:23]
	s_andn2_b64 s[22:23], s[54:55], exec
	s_and_b64 s[54:55], s[60:61], exec
	s_or_b64 s[54:55], s[22:23], s[54:55]
	s_andn2_b64 s[22:23], s[52:53], exec
	s_and_b64 s[12:13], s[12:13], exec
	v_lshl_add_u64 v[18:19], v[18:19], 0, 8
	v_lshl_add_u64 v[20:21], v[20:21], 0, 8
	s_andn2_b64 s[18:19], s[18:19], exec
	s_or_b64 s[52:53], s[22:23], s[12:13]
                                        ; implicit-def: $sgpr56_sgpr57
	s_branch .LBB755_1089
.LBB755_1092:
	s_or_b64 exec, exec, s[48:49]
	s_xor_b64 s[12:13], s[50:51], -1
	s_andn2_b64 s[18:19], s[42:43], exec
	s_and_b64 s[12:13], s[12:13], exec
	s_or_b64 s[42:43], s[18:19], s[12:13]
.LBB755_1093:
	s_or_b64 exec, exec, s[46:47]
	s_orn2_b64 s[42:43], s[42:43], exec
.LBB755_1094:
	s_or_b64 exec, exec, s[44:45]
	v_cndmask_b32_e64 v16, v70, v71, s[42:43]
	v_cndmask_b32_e64 v18, v101, v100, s[42:43]
	v_add_u32_e32 v19, 1, v16
	v_add_u32_e32 v16, -1, v18
	v_min_u32_e32 v16, v19, v16
	v_lshl_add_u64 v[16:17], v[16:17], 3, v[66:67]
	flat_load_dwordx2 v[16:17], v[16:17]
	v_cndmask_b32_e64 v22, v19, v70, s[42:43]
	v_cndmask_b32_e64 v23, v71, v19, s[42:43]
	v_cmp_lt_u32_e64 s[12:13], v22, v101
	s_waitcnt vmcnt(0) lgkmcnt(0)
	v_cndmask_b32_e64 v96, v17, v84, s[42:43]
	v_cndmask_b32_e64 v97, v16, v85, s[42:43]
	;; [unrolled: 1-line block ×4, first 2 shown]
	s_and_saveexec_b64 s[44:45], s[12:13]
	s_cbranch_execz .LBB755_1102
; %bb.1095:
	v_cmp_lt_u32_e64 s[40:41], v23, v100
	s_and_b64 s[12:13], s[40:41], s[28:29]
	s_and_saveexec_b64 s[46:47], s[12:13]
	s_cbranch_execz .LBB755_1101
; %bb.1096:
	v_mul_lo_u32 v18, v98, v6
	v_mul_lo_u32 v19, v99, v7
	v_mad_u64_u32 v[16:17], s[12:13], v99, v6, 0
	v_add3_u32 v17, v17, v19, v18
	v_mul_lo_u32 v20, v96, v6
	v_mul_lo_u32 v21, v97, v7
	v_mad_u64_u32 v[18:19], s[12:13], v97, v6, 0
	v_add3_u32 v19, v19, v21, v20
	v_lshl_add_u64 v[16:17], v[16:17], 3, v[8:9]
	v_lshl_add_u64 v[18:19], v[18:19], 3, v[8:9]
	s_mov_b64 s[48:49], 0
	v_mov_b64_e32 v[20:21], v[6:7]
                                        ; implicit-def: $sgpr50_sgpr51
                                        ; implicit-def: $sgpr52_sgpr53
                                        ; implicit-def: $sgpr18_sgpr19
                                        ; implicit-def: $sgpr54_sgpr55
                                        ; implicit-def: $sgpr56_sgpr57
	s_branch .LBB755_1098
.LBB755_1097:                           ;   in Loop: Header=BB755_1098 Depth=1
	s_or_b64 exec, exec, s[58:59]
	s_and_b64 s[12:13], exec, s[52:53]
	s_or_b64 s[48:49], s[12:13], s[48:49]
	s_andn2_b64 s[12:13], s[56:57], exec
	s_and_b64 s[22:23], s[54:55], exec
	s_or_b64 s[56:57], s[12:13], s[22:23]
	s_andn2_b64 s[12:13], s[50:51], exec
	s_and_b64 s[22:23], s[18:19], exec
	s_or_b64 s[50:51], s[12:13], s[22:23]
	s_andn2_b64 exec, exec, s[48:49]
	s_cbranch_execz .LBB755_1100
.LBB755_1098:                           ; =>This Inner Loop Header: Depth=1
	flat_load_dwordx2 v[70:71], v[18:19]
	flat_load_dwordx2 v[102:103], v[16:17]
	s_andn2_b64 s[58:59], s[18:19], exec
	s_andn2_b64 s[54:55], s[54:55], exec
	s_or_b64 s[52:53], s[52:53], exec
	s_waitcnt vmcnt(0) lgkmcnt(0)
	v_cmp_ngt_f64_e64 s[18:19], v[70:71], v[102:103]
	v_cmp_lt_f64_e64 s[12:13], v[70:71], v[102:103]
	s_and_b64 s[18:19], s[18:19], s[56:57]
	s_or_b64 s[60:61], s[12:13], s[18:19]
	s_and_b64 s[12:13], s[60:61], exec
	v_cmp_nlg_f64_e64 s[22:23], v[70:71], v[102:103]
	s_or_b64 s[18:19], s[58:59], s[12:13]
	s_and_saveexec_b64 s[58:59], s[22:23]
	s_cbranch_execz .LBB755_1097
; %bb.1099:                             ;   in Loop: Header=BB755_1098 Depth=1
	v_lshl_add_u64 v[20:21], v[20:21], 0, -1
	v_cmp_eq_u64_e64 s[12:13], 0, v[20:21]
	s_andn2_b64 s[22:23], s[54:55], exec
	s_and_b64 s[54:55], s[60:61], exec
	s_or_b64 s[54:55], s[22:23], s[54:55]
	s_andn2_b64 s[22:23], s[52:53], exec
	s_and_b64 s[12:13], s[12:13], exec
	v_lshl_add_u64 v[16:17], v[16:17], 0, 8
	v_lshl_add_u64 v[18:19], v[18:19], 0, 8
	s_andn2_b64 s[18:19], s[18:19], exec
	s_or_b64 s[52:53], s[22:23], s[12:13]
                                        ; implicit-def: $sgpr56_sgpr57
	s_branch .LBB755_1097
.LBB755_1100:
	s_or_b64 exec, exec, s[48:49]
	s_xor_b64 s[12:13], s[50:51], -1
	s_andn2_b64 s[18:19], s[40:41], exec
	s_and_b64 s[12:13], s[12:13], exec
	s_or_b64 s[40:41], s[18:19], s[12:13]
.LBB755_1101:
	s_or_b64 exec, exec, s[46:47]
	s_orn2_b64 s[40:41], s[40:41], exec
.LBB755_1102:
	s_or_b64 exec, exec, s[44:45]
	v_cndmask_b32_e64 v16, v22, v23, s[40:41]
	v_cndmask_b32_e64 v17, v101, v100, s[40:41]
	v_add_u32_e32 v20, 1, v16
	v_add_u32_e32 v16, -1, v17
	v_min_u32_e32 v16, v20, v16
	v_mov_b32_e32 v17, 0
	v_lshl_add_u64 v[18:19], v[16:17], 3, v[66:67]
	flat_load_dwordx2 v[18:19], v[18:19]
	v_cndmask_b32_e64 v70, v20, v22, s[40:41]
	s_mov_b64 s[44:45], -1
	v_cndmask_b32_e64 v71, v23, v20, s[40:41]
	v_cmp_lt_u32_e64 s[12:13], v70, v101
	s_mov_b64 s[46:47], -1
	s_waitcnt vmcnt(0) lgkmcnt(0)
	v_cndmask_b32_e64 v102, v19, v96, s[40:41]
	v_cndmask_b32_e64 v103, v18, v97, s[40:41]
	;; [unrolled: 1-line block ×4, first 2 shown]
	s_and_saveexec_b64 s[48:49], s[12:13]
	s_cbranch_execz .LBB755_1110
; %bb.1103:
	v_cmp_lt_u32_e64 s[46:47], v71, v100
	s_and_b64 s[12:13], s[46:47], s[28:29]
	s_and_saveexec_b64 s[50:51], s[12:13]
	s_cbranch_execz .LBB755_1109
; %bb.1104:
	v_mul_lo_u32 v16, v112, v6
	v_mul_lo_u32 v20, v113, v7
	v_mad_u64_u32 v[18:19], s[12:13], v113, v6, 0
	v_add3_u32 v19, v19, v20, v16
	v_mul_lo_u32 v16, v102, v6
	v_mul_lo_u32 v22, v103, v7
	v_mad_u64_u32 v[20:21], s[12:13], v103, v6, 0
	v_add3_u32 v21, v21, v22, v16
	v_lshl_add_u64 v[18:19], v[18:19], 3, v[8:9]
	v_lshl_add_u64 v[20:21], v[20:21], 3, v[8:9]
	s_mov_b64 s[52:53], 0
	v_mov_b64_e32 v[22:23], v[6:7]
                                        ; implicit-def: $sgpr54_sgpr55
                                        ; implicit-def: $sgpr56_sgpr57
                                        ; implicit-def: $sgpr18_sgpr19
                                        ; implicit-def: $sgpr58_sgpr59
                                        ; implicit-def: $sgpr60_sgpr61
	s_branch .LBB755_1106
.LBB755_1105:                           ;   in Loop: Header=BB755_1106 Depth=1
	s_or_b64 exec, exec, s[62:63]
	s_and_b64 s[12:13], exec, s[56:57]
	s_or_b64 s[52:53], s[12:13], s[52:53]
	s_andn2_b64 s[12:13], s[60:61], exec
	s_and_b64 s[22:23], s[58:59], exec
	s_or_b64 s[60:61], s[12:13], s[22:23]
	s_andn2_b64 s[12:13], s[54:55], exec
	s_and_b64 s[22:23], s[18:19], exec
	s_or_b64 s[54:55], s[12:13], s[22:23]
	s_andn2_b64 exec, exec, s[52:53]
	s_cbranch_execz .LBB755_1108
.LBB755_1106:                           ; =>This Inner Loop Header: Depth=1
	flat_load_dwordx2 v[114:115], v[20:21]
	flat_load_dwordx2 v[116:117], v[18:19]
	s_andn2_b64 s[62:63], s[18:19], exec
	s_andn2_b64 s[58:59], s[58:59], exec
	s_or_b64 s[56:57], s[56:57], exec
	s_waitcnt vmcnt(0) lgkmcnt(0)
	v_cmp_ngt_f64_e64 s[18:19], v[114:115], v[116:117]
	v_cmp_lt_f64_e64 s[12:13], v[114:115], v[116:117]
	s_and_b64 s[18:19], s[18:19], s[60:61]
	s_or_b64 s[64:65], s[12:13], s[18:19]
	s_and_b64 s[12:13], s[64:65], exec
	v_cmp_nlg_f64_e64 s[22:23], v[114:115], v[116:117]
	s_or_b64 s[18:19], s[62:63], s[12:13]
	s_and_saveexec_b64 s[62:63], s[22:23]
	s_cbranch_execz .LBB755_1105
; %bb.1107:                             ;   in Loop: Header=BB755_1106 Depth=1
	v_lshl_add_u64 v[22:23], v[22:23], 0, -1
	v_cmp_eq_u64_e64 s[12:13], 0, v[22:23]
	s_andn2_b64 s[22:23], s[58:59], exec
	s_and_b64 s[58:59], s[64:65], exec
	s_or_b64 s[58:59], s[22:23], s[58:59]
	s_andn2_b64 s[22:23], s[56:57], exec
	s_and_b64 s[12:13], s[12:13], exec
	v_lshl_add_u64 v[18:19], v[18:19], 0, 8
	v_lshl_add_u64 v[20:21], v[20:21], 0, 8
	s_andn2_b64 s[18:19], s[18:19], exec
	s_or_b64 s[56:57], s[22:23], s[12:13]
                                        ; implicit-def: $sgpr60_sgpr61
	s_branch .LBB755_1105
.LBB755_1108:
	s_or_b64 exec, exec, s[52:53]
	s_xor_b64 s[12:13], s[54:55], -1
	s_andn2_b64 s[18:19], s[46:47], exec
	s_and_b64 s[12:13], s[12:13], exec
	s_or_b64 s[46:47], s[18:19], s[12:13]
.LBB755_1109:
	s_or_b64 exec, exec, s[50:51]
	s_orn2_b64 s[46:47], s[46:47], exec
.LBB755_1110:
	s_or_b64 exec, exec, s[48:49]
	v_cndmask_b32_e64 v16, v70, v71, s[46:47]
	v_cndmask_b32_e64 v18, v101, v100, s[46:47]
	v_add_u32_e32 v19, 1, v16
	v_add_u32_e32 v16, -1, v18
	v_min_u32_e32 v16, v19, v16
	v_lshl_add_u64 v[16:17], v[16:17], 3, v[66:67]
	flat_load_dwordx2 v[16:17], v[16:17]
	v_cndmask_b32_e64 v117, v19, v70, s[46:47]
	v_cndmask_b32_e64 v114, v71, v19, s[46:47]
	v_cmp_lt_u32_e64 s[12:13], v117, v101
	s_waitcnt vmcnt(0) lgkmcnt(0)
	v_cndmask_b32_e64 v115, v17, v102, s[46:47]
	v_cndmask_b32_e64 v116, v16, v103, s[46:47]
	;; [unrolled: 1-line block ×4, first 2 shown]
	s_and_saveexec_b64 s[48:49], s[12:13]
	s_cbranch_execz .LBB755_1118
; %bb.1111:
	v_cmp_lt_u32_e64 s[44:45], v114, v100
	s_and_b64 s[12:13], s[44:45], s[28:29]
	s_and_saveexec_b64 s[50:51], s[12:13]
	s_cbranch_execz .LBB755_1117
; %bb.1112:
	v_mul_lo_u32 v18, v118, v6
	v_mul_lo_u32 v19, v119, v7
	v_mad_u64_u32 v[16:17], s[12:13], v119, v6, 0
	v_add3_u32 v17, v17, v19, v18
	v_mul_lo_u32 v20, v115, v6
	v_mul_lo_u32 v21, v116, v7
	v_mad_u64_u32 v[18:19], s[12:13], v116, v6, 0
	v_add3_u32 v19, v19, v21, v20
	v_lshl_add_u64 v[16:17], v[16:17], 3, v[8:9]
	v_lshl_add_u64 v[18:19], v[18:19], 3, v[8:9]
	s_mov_b64 s[52:53], 0
	v_mov_b64_e32 v[20:21], v[6:7]
                                        ; implicit-def: $sgpr54_sgpr55
                                        ; implicit-def: $sgpr56_sgpr57
                                        ; implicit-def: $sgpr18_sgpr19
                                        ; implicit-def: $sgpr58_sgpr59
                                        ; implicit-def: $sgpr60_sgpr61
	s_branch .LBB755_1114
.LBB755_1113:                           ;   in Loop: Header=BB755_1114 Depth=1
	s_or_b64 exec, exec, s[62:63]
	s_and_b64 s[12:13], exec, s[56:57]
	s_or_b64 s[52:53], s[12:13], s[52:53]
	s_andn2_b64 s[12:13], s[60:61], exec
	s_and_b64 s[22:23], s[58:59], exec
	s_or_b64 s[60:61], s[12:13], s[22:23]
	s_andn2_b64 s[12:13], s[54:55], exec
	s_and_b64 s[22:23], s[18:19], exec
	s_or_b64 s[54:55], s[12:13], s[22:23]
	s_andn2_b64 exec, exec, s[52:53]
	s_cbranch_execz .LBB755_1116
.LBB755_1114:                           ; =>This Inner Loop Header: Depth=1
	flat_load_dwordx2 v[22:23], v[18:19]
	flat_load_dwordx2 v[70:71], v[16:17]
	s_andn2_b64 s[62:63], s[18:19], exec
	s_andn2_b64 s[58:59], s[58:59], exec
	s_or_b64 s[56:57], s[56:57], exec
	s_waitcnt vmcnt(0) lgkmcnt(0)
	v_cmp_ngt_f64_e64 s[18:19], v[22:23], v[70:71]
	v_cmp_lt_f64_e64 s[12:13], v[22:23], v[70:71]
	s_and_b64 s[18:19], s[18:19], s[60:61]
	s_or_b64 s[64:65], s[12:13], s[18:19]
	s_and_b64 s[12:13], s[64:65], exec
	v_cmp_nlg_f64_e64 s[22:23], v[22:23], v[70:71]
	s_or_b64 s[18:19], s[62:63], s[12:13]
	s_and_saveexec_b64 s[62:63], s[22:23]
	s_cbranch_execz .LBB755_1113
; %bb.1115:                             ;   in Loop: Header=BB755_1114 Depth=1
	v_lshl_add_u64 v[20:21], v[20:21], 0, -1
	v_cmp_eq_u64_e64 s[12:13], 0, v[20:21]
	s_andn2_b64 s[22:23], s[58:59], exec
	s_and_b64 s[58:59], s[64:65], exec
	s_or_b64 s[58:59], s[22:23], s[58:59]
	s_andn2_b64 s[22:23], s[56:57], exec
	s_and_b64 s[12:13], s[12:13], exec
	v_lshl_add_u64 v[16:17], v[16:17], 0, 8
	v_lshl_add_u64 v[18:19], v[18:19], 0, 8
	s_andn2_b64 s[18:19], s[18:19], exec
	s_or_b64 s[56:57], s[22:23], s[12:13]
                                        ; implicit-def: $sgpr60_sgpr61
	s_branch .LBB755_1113
.LBB755_1116:
	s_or_b64 exec, exec, s[52:53]
	s_xor_b64 s[12:13], s[54:55], -1
	s_andn2_b64 s[18:19], s[44:45], exec
	s_and_b64 s[12:13], s[12:13], exec
	s_or_b64 s[44:45], s[18:19], s[12:13]
.LBB755_1117:
	s_or_b64 exec, exec, s[50:51]
	s_orn2_b64 s[44:45], s[44:45], exec
.LBB755_1118:
	s_or_b64 exec, exec, s[48:49]
	v_cndmask_b32_e64 v16, v117, v114, s[44:45]
	v_cndmask_b32_e64 v17, v101, v100, s[44:45]
	v_add_u32_e32 v128, 1, v16
	v_add_u32_e32 v16, -1, v17
	v_min_u32_e32 v16, v128, v16
	v_mov_b32_e32 v17, 0
	v_lshl_add_u64 v[16:17], v[16:17], 3, v[66:67]
	flat_load_dwordx2 v[70:71], v[16:17]
	v_cndmask_b32_e64 v21, v27, v82, s[36:37]
	v_cndmask_b32_e64 v27, v24, v26, s[38:39]
	;; [unrolled: 1-line block ×15, first 2 shown]
	v_cmp_lt_u32_e64 s[12:13], v80, v101
	s_waitcnt vmcnt(0) lgkmcnt(0)
	v_cndmask_b32_e64 v15, v118, v71, s[44:45]
	v_cndmask_b32_e64 v14, v119, v70, s[44:45]
	s_and_saveexec_b64 s[34:35], s[12:13]
	s_cbranch_execz .LBB755_1126
; %bb.1119:
	v_cndmask_b32_e64 v85, v70, v116, s[44:45]
	v_cndmask_b32_e64 v70, v114, v128, s[44:45]
	v_cmp_ge_u32_e64 s[12:13], v70, v100
	v_cndmask_b32_e64 v84, v71, v115, s[44:45]
	s_or_b64 s[18:19], s[12:13], s[8:9]
	v_cndmask_b32_e64 v71, v15, v84, s[12:13]
	s_xor_b64 s[18:19], s[18:19], -1
	v_cndmask_b32_e64 v70, v14, v85, s[12:13]
	s_and_saveexec_b64 s[36:37], s[18:19]
	s_cbranch_execz .LBB755_1125
; %bb.1120:
	v_mul_lo_u32 v80, v15, v6
	v_mul_lo_u32 v81, v14, v7
	v_mad_u64_u32 v[70:71], s[12:13], v14, v6, 0
	v_add3_u32 v71, v71, v81, v80
	v_mul_lo_u32 v82, v84, v6
	v_mul_lo_u32 v83, v85, v7
	v_mad_u64_u32 v[80:81], s[12:13], v85, v6, 0
	v_add3_u32 v81, v81, v83, v82
	v_lshl_add_u64 v[70:71], v[70:71], 3, v[8:9]
	v_lshl_add_u64 v[80:81], v[80:81], 3, v[8:9]
	s_mov_b64 s[38:39], 0
	v_mov_b64_e32 v[82:83], v[6:7]
                                        ; implicit-def: $sgpr40_sgpr41
                                        ; implicit-def: $sgpr42_sgpr43
                                        ; implicit-def: $sgpr18_sgpr19
                                        ; implicit-def: $sgpr44_sgpr45
                                        ; implicit-def: $sgpr46_sgpr47
	s_branch .LBB755_1122
.LBB755_1121:                           ;   in Loop: Header=BB755_1122 Depth=1
	s_or_b64 exec, exec, s[48:49]
	s_and_b64 s[12:13], exec, s[42:43]
	s_or_b64 s[38:39], s[12:13], s[38:39]
	s_andn2_b64 s[12:13], s[46:47], exec
	s_and_b64 s[22:23], s[44:45], exec
	s_or_b64 s[46:47], s[12:13], s[22:23]
	s_andn2_b64 s[12:13], s[40:41], exec
	s_and_b64 s[22:23], s[18:19], exec
	s_or_b64 s[40:41], s[12:13], s[22:23]
	s_andn2_b64 exec, exec, s[38:39]
	s_cbranch_execz .LBB755_1124
.LBB755_1122:                           ; =>This Inner Loop Header: Depth=1
	flat_load_dwordx2 v[86:87], v[80:81]
	flat_load_dwordx2 v[96:97], v[70:71]
	s_andn2_b64 s[48:49], s[18:19], exec
	s_andn2_b64 s[44:45], s[44:45], exec
	s_or_b64 s[42:43], s[42:43], exec
	s_waitcnt vmcnt(0) lgkmcnt(0)
	v_cmp_ngt_f64_e64 s[18:19], v[86:87], v[96:97]
	v_cmp_lt_f64_e64 s[12:13], v[86:87], v[96:97]
	s_and_b64 s[18:19], s[18:19], s[46:47]
	s_or_b64 s[50:51], s[12:13], s[18:19]
	s_and_b64 s[12:13], s[50:51], exec
	v_cmp_nlg_f64_e64 s[22:23], v[86:87], v[96:97]
	s_or_b64 s[18:19], s[48:49], s[12:13]
	s_and_saveexec_b64 s[48:49], s[22:23]
	s_cbranch_execz .LBB755_1121
; %bb.1123:                             ;   in Loop: Header=BB755_1122 Depth=1
	v_lshl_add_u64 v[82:83], v[82:83], 0, -1
	v_cmp_eq_u64_e64 s[12:13], 0, v[82:83]
	s_andn2_b64 s[22:23], s[44:45], exec
	s_and_b64 s[44:45], s[50:51], exec
	s_or_b64 s[44:45], s[22:23], s[44:45]
	s_andn2_b64 s[22:23], s[42:43], exec
	s_and_b64 s[12:13], s[12:13], exec
	v_lshl_add_u64 v[70:71], v[70:71], 0, 8
	v_lshl_add_u64 v[80:81], v[80:81], 0, 8
	s_andn2_b64 s[18:19], s[18:19], exec
	s_or_b64 s[42:43], s[22:23], s[12:13]
                                        ; implicit-def: $sgpr46_sgpr47
	s_branch .LBB755_1121
.LBB755_1124:
	s_or_b64 exec, exec, s[38:39]
	v_cndmask_b32_e64 v71, v15, v84, s[40:41]
	v_cndmask_b32_e64 v70, v14, v85, s[40:41]
.LBB755_1125:
	s_or_b64 exec, exec, s[36:37]
	v_mov_b64_e32 v[14:15], v[70:71]
.LBB755_1126:
	s_or_b64 exec, exec, s[34:35]
.LBB755_1127:
	s_or_b64 exec, exec, s[30:31]
	v_and_b32_e32 v100, 0x380, v31
	; wave barrier
	flat_store_dwordx4 v[68:69], v[24:27]
	flat_store_dwordx4 v[68:69], v[20:23] offset:16
	flat_store_dwordx4 v[68:69], v[16:19] offset:32
	;; [unrolled: 1-line block ×3, first 2 shown]
	v_or_b32_e32 v68, 64, v100
	v_min_u32_e32 v98, v1, v68
	v_add_u32_e32 v68, 64, v98
	v_min_u32_e32 v99, v1, v68
	v_and_b32_e32 v31, 0x78, v31
	v_min_u32_e32 v1, v1, v31
	v_sub_u32_e32 v68, v98, v100
	v_sub_u32_e32 v31, v99, v98
	v_sub_u32_e64 v31, v1, v31 clamp
	v_min_u32_e32 v101, v1, v68
	v_cmp_lt_u32_e64 s[12:13], v31, v101
	; wave barrier
	s_and_saveexec_b64 s[30:31], s[12:13]
	s_cbranch_execz .LBB755_1137
; %bb.1128:
	v_lshlrev_b32_e32 v68, 3, v100
	v_mov_b32_e32 v69, 0
	v_lshl_add_u64 v[70:71], v[66:67], 0, v[68:69]
	v_lshlrev_b32_e32 v68, 3, v98
	v_lshl_add_u64 v[80:81], v[66:67], 0, v[68:69]
	s_mov_b64 s[34:35], 0
	s_branch .LBB755_1131
.LBB755_1129:                           ;   in Loop: Header=BB755_1131 Depth=1
	s_or_b64 exec, exec, s[38:39]
	s_and_b64 s[12:13], s[40:41], exec
.LBB755_1130:                           ;   in Loop: Header=BB755_1131 Depth=1
	s_or_b64 exec, exec, s[36:37]
	v_add_u32_e32 v68, 1, v82
	v_cndmask_b32_e64 v101, v101, v82, s[12:13]
	v_cndmask_b32_e64 v31, v68, v31, s[12:13]
	v_cmp_ge_u32_e64 s[12:13], v31, v101
	s_or_b64 s[34:35], s[12:13], s[34:35]
	s_andn2_b64 exec, exec, s[34:35]
	s_cbranch_execz .LBB755_1136
.LBB755_1131:                           ; =>This Loop Header: Depth=1
                                        ;     Child Loop BB755_1134 Depth 2
	v_add_u32_e32 v68, v101, v31
	v_lshrrev_b32_e32 v82, 1, v68
	s_mov_b64 s[12:13], 0
	s_and_saveexec_b64 s[36:37], s[16:17]
	s_cbranch_execz .LBB755_1130
; %bb.1132:                             ;   in Loop: Header=BB755_1131 Depth=1
	v_mov_b32_e32 v83, v69
	v_xad_u32 v68, v82, -1, v1
	v_lshl_add_u64 v[84:85], v[82:83], 3, v[70:71]
	v_lshl_add_u64 v[86:87], v[68:69], 3, v[80:81]
	flat_load_dwordx2 v[84:85], v[84:85]
	s_mov_b64 s[38:39], 0
	flat_load_dwordx2 v[86:87], v[86:87]
                                        ; implicit-def: $sgpr40_sgpr41
                                        ; implicit-def: $sgpr42_sgpr43
                                        ; implicit-def: $sgpr44_sgpr45
                                        ; implicit-def: $sgpr18_sgpr19
                                        ; implicit-def: $sgpr46_sgpr47
	s_waitcnt vmcnt(0) lgkmcnt(0)
	v_mul_lo_u32 v68, v64, v85
	v_mul_lo_u32 v83, v65, v84
	v_mad_u64_u32 v[84:85], s[12:13], v64, v84, v[8:9]
	v_mul_lo_u32 v96, v64, v87
	v_mul_lo_u32 v97, v65, v86
	v_mad_u64_u32 v[86:87], s[12:13], v64, v86, v[8:9]
	v_add3_u32 v85, v83, v85, v68
	v_add3_u32 v87, v97, v87, v96
	v_mov_b64_e32 v[96:97], v[6:7]
	s_branch .LBB755_1134
.LBB755_1133:                           ;   in Loop: Header=BB755_1134 Depth=2
	s_or_b64 exec, exec, s[48:49]
	s_and_b64 s[12:13], exec, s[42:43]
	s_or_b64 s[38:39], s[12:13], s[38:39]
	s_andn2_b64 s[12:13], s[46:47], exec
	s_and_b64 s[22:23], s[44:45], exec
	s_or_b64 s[46:47], s[12:13], s[22:23]
	s_andn2_b64 s[12:13], s[40:41], exec
	s_and_b64 s[22:23], s[18:19], exec
	s_or_b64 s[40:41], s[12:13], s[22:23]
	s_andn2_b64 exec, exec, s[38:39]
	s_cbranch_execz .LBB755_1129
.LBB755_1134:                           ;   Parent Loop BB755_1131 Depth=1
                                        ; =>  This Inner Loop Header: Depth=2
	flat_load_dwordx2 v[102:103], v[86:87]
	flat_load_dwordx2 v[112:113], v[84:85]
	s_andn2_b64 s[48:49], s[18:19], exec
	s_andn2_b64 s[44:45], s[44:45], exec
	s_or_b64 s[42:43], s[42:43], exec
	s_waitcnt vmcnt(0) lgkmcnt(0)
	v_cmp_ngt_f64_e64 s[18:19], v[102:103], v[112:113]
	v_cmp_lt_f64_e64 s[12:13], v[102:103], v[112:113]
	s_and_b64 s[18:19], s[18:19], s[46:47]
	s_or_b64 s[50:51], s[12:13], s[18:19]
	s_and_b64 s[12:13], s[50:51], exec
	v_cmp_nlg_f64_e64 s[22:23], v[102:103], v[112:113]
	s_or_b64 s[18:19], s[48:49], s[12:13]
	s_and_saveexec_b64 s[48:49], s[22:23]
	s_cbranch_execz .LBB755_1133
; %bb.1135:                             ;   in Loop: Header=BB755_1134 Depth=2
	v_lshl_add_u64 v[96:97], v[96:97], 0, -1
	v_cmp_eq_u64_e64 s[12:13], 0, v[96:97]
	s_andn2_b64 s[22:23], s[44:45], exec
	s_and_b64 s[44:45], s[50:51], exec
	s_or_b64 s[44:45], s[22:23], s[44:45]
	s_andn2_b64 s[22:23], s[42:43], exec
	s_and_b64 s[12:13], s[12:13], exec
	v_lshl_add_u64 v[84:85], v[84:85], 0, 8
	v_lshl_add_u64 v[86:87], v[86:87], 0, 8
	s_andn2_b64 s[18:19], s[18:19], exec
	s_or_b64 s[42:43], s[22:23], s[12:13]
                                        ; implicit-def: $sgpr46_sgpr47
	s_branch .LBB755_1133
.LBB755_1136:
	s_or_b64 exec, exec, s[34:35]
.LBB755_1137:
	s_or_b64 exec, exec, s[30:31]
	v_add_u32_e32 v1, v98, v1
	v_add_u32_e32 v68, v31, v100
	v_sub_u32_e32 v70, v1, v31
	v_cmp_le_u32_e64 s[12:13], v68, v98
	v_cmp_le_u32_e64 s[18:19], v70, v99
	s_or_b64 s[12:13], s[12:13], s[18:19]
	s_and_saveexec_b64 s[30:31], s[12:13]
	s_cbranch_execz .LBB755_1209
; %bb.1138:
	v_cmp_ge_u32_e64 s[18:19], v68, v98
	v_cmp_lt_u32_e64 s[12:13], v68, v98
                                        ; implicit-def: $vgpr12_vgpr13
	s_and_saveexec_b64 s[22:23], s[12:13]
	s_cbranch_execz .LBB755_1140
; %bb.1139:
	v_mov_b32_e32 v69, 0
	v_lshl_add_u64 v[12:13], v[68:69], 3, v[66:67]
	flat_load_dwordx2 v[12:13], v[12:13]
.LBB755_1140:
	s_or_b64 exec, exec, s[22:23]
	v_cmp_ge_u32_e64 s[34:35], v70, v99
	v_cmp_lt_u32_e64 s[12:13], v70, v99
                                        ; implicit-def: $vgpr14_vgpr15
	s_and_saveexec_b64 s[22:23], s[12:13]
	s_cbranch_execz .LBB755_1142
; %bb.1141:
	v_mov_b32_e32 v71, 0
	v_lshl_add_u64 v[14:15], v[70:71], 3, v[66:67]
	flat_load_dwordx2 v[14:15], v[14:15]
.LBB755_1142:
	s_or_b64 exec, exec, s[22:23]
	s_or_b64 s[12:13], s[18:19], s[34:35]
	s_xor_b64 s[12:13], s[12:13], -1
	s_and_saveexec_b64 s[36:37], s[12:13]
	s_cbranch_execz .LBB755_1150
; %bb.1143:
	s_mov_b64 s[12:13], 0
	s_and_saveexec_b64 s[38:39], s[16:17]
	s_cbranch_execz .LBB755_1149
; %bb.1144:
	s_waitcnt vmcnt(0) lgkmcnt(0)
	v_mul_lo_u32 v1, v13, v6
	v_mul_lo_u32 v18, v12, v7
	v_mad_u64_u32 v[16:17], s[12:13], v12, v6, 0
	v_add3_u32 v17, v17, v18, v1
	v_mul_lo_u32 v1, v15, v6
	v_mul_lo_u32 v20, v14, v7
	v_mad_u64_u32 v[18:19], s[12:13], v14, v6, 0
	v_add3_u32 v19, v19, v20, v1
	v_lshl_add_u64 v[16:17], v[16:17], 3, v[8:9]
	v_lshl_add_u64 v[18:19], v[18:19], 3, v[8:9]
	s_mov_b64 s[40:41], 0
	v_mov_b64_e32 v[20:21], v[6:7]
                                        ; implicit-def: $sgpr42_sgpr43
                                        ; implicit-def: $sgpr44_sgpr45
                                        ; implicit-def: $sgpr46_sgpr47
                                        ; implicit-def: $sgpr18_sgpr19
                                        ; implicit-def: $sgpr48_sgpr49
	s_branch .LBB755_1146
.LBB755_1145:                           ;   in Loop: Header=BB755_1146 Depth=1
	s_or_b64 exec, exec, s[50:51]
	s_and_b64 s[12:13], exec, s[44:45]
	s_or_b64 s[40:41], s[12:13], s[40:41]
	s_andn2_b64 s[12:13], s[48:49], exec
	s_and_b64 s[22:23], s[46:47], exec
	s_or_b64 s[48:49], s[12:13], s[22:23]
	s_andn2_b64 s[12:13], s[42:43], exec
	s_and_b64 s[22:23], s[18:19], exec
	s_or_b64 s[42:43], s[12:13], s[22:23]
	s_andn2_b64 exec, exec, s[40:41]
	s_cbranch_execz .LBB755_1148
.LBB755_1146:                           ; =>This Inner Loop Header: Depth=1
	flat_load_dwordx2 v[22:23], v[18:19]
	flat_load_dwordx2 v[24:25], v[16:17]
	s_andn2_b64 s[50:51], s[18:19], exec
	s_andn2_b64 s[46:47], s[46:47], exec
	s_or_b64 s[44:45], s[44:45], exec
	s_waitcnt vmcnt(0) lgkmcnt(0)
	v_cmp_ngt_f64_e64 s[18:19], v[22:23], v[24:25]
	v_cmp_lt_f64_e64 s[12:13], v[22:23], v[24:25]
	s_and_b64 s[18:19], s[18:19], s[48:49]
	s_or_b64 s[52:53], s[12:13], s[18:19]
	s_and_b64 s[12:13], s[52:53], exec
	v_cmp_nlg_f64_e64 s[22:23], v[22:23], v[24:25]
	s_or_b64 s[18:19], s[50:51], s[12:13]
	s_and_saveexec_b64 s[50:51], s[22:23]
	s_cbranch_execz .LBB755_1145
; %bb.1147:                             ;   in Loop: Header=BB755_1146 Depth=1
	v_lshl_add_u64 v[20:21], v[20:21], 0, -1
	v_cmp_eq_u64_e64 s[12:13], 0, v[20:21]
	s_andn2_b64 s[22:23], s[46:47], exec
	s_and_b64 s[46:47], s[52:53], exec
	s_or_b64 s[46:47], s[22:23], s[46:47]
	s_andn2_b64 s[22:23], s[44:45], exec
	s_and_b64 s[12:13], s[12:13], exec
	v_lshl_add_u64 v[16:17], v[16:17], 0, 8
	v_lshl_add_u64 v[18:19], v[18:19], 0, 8
	s_andn2_b64 s[18:19], s[18:19], exec
	s_or_b64 s[44:45], s[22:23], s[12:13]
                                        ; implicit-def: $sgpr48_sgpr49
	s_branch .LBB755_1145
.LBB755_1148:
	s_or_b64 exec, exec, s[40:41]
	s_and_b64 s[12:13], s[42:43], exec
.LBB755_1149:
	s_or_b64 exec, exec, s[38:39]
	s_xor_b64 s[12:13], s[12:13], -1
	s_andn2_b64 s[18:19], s[34:35], exec
	s_and_b64 s[12:13], s[12:13], exec
	s_or_b64 s[34:35], s[18:19], s[12:13]
.LBB755_1150:
	s_or_b64 exec, exec, s[36:37]
	v_cndmask_b32_e64 v1, v70, v68, s[34:35]
	v_cndmask_b32_e64 v16, v99, v98, s[34:35]
	v_add_u32_e32 v1, 1, v1
	v_add_u32_e32 v16, -1, v16
	v_min_u32_e32 v16, v1, v16
	v_mov_b32_e32 v17, 0
	v_lshl_add_u64 v[18:19], v[16:17], 3, v[66:67]
	flat_load_dwordx2 v[18:19], v[18:19]
	v_cndmask_b32_e64 v27, v1, v70, s[34:35]
	s_mov_b64 s[36:37], -1
	v_cndmask_b32_e64 v31, v68, v1, s[34:35]
	v_cmp_lt_u32_e64 s[12:13], v27, v99
	s_mov_b64 s[38:39], -1
	s_waitcnt vmcnt(0) lgkmcnt(0)
	v_cndmask_b32_e64 v1, v19, v15, s[34:35]
	v_cndmask_b32_e64 v24, v18, v14, s[34:35]
	;; [unrolled: 1-line block ×4, first 2 shown]
	s_and_saveexec_b64 s[40:41], s[12:13]
	s_cbranch_execz .LBB755_1160
; %bb.1151:
	v_cmp_lt_u32_e64 s[12:13], v31, v98
	s_mov_b64 s[18:19], 0
	s_and_saveexec_b64 s[38:39], s[12:13]
	s_cbranch_execz .LBB755_1159
; %bb.1152:
	s_mov_b64 s[12:13], 0
	s_and_saveexec_b64 s[42:43], s[16:17]
	s_cbranch_execz .LBB755_1158
; %bb.1153:
	v_mul_lo_u32 v16, v25, v6
	v_mul_lo_u32 v20, v26, v7
	v_mad_u64_u32 v[18:19], s[12:13], v26, v6, 0
	v_add3_u32 v19, v19, v20, v16
	v_mul_lo_u32 v16, v1, v6
	v_mul_lo_u32 v22, v24, v7
	v_mad_u64_u32 v[20:21], s[12:13], v24, v6, 0
	v_add3_u32 v21, v21, v22, v16
	v_lshl_add_u64 v[18:19], v[18:19], 3, v[8:9]
	v_lshl_add_u64 v[20:21], v[20:21], 3, v[8:9]
	s_mov_b64 s[44:45], 0
	v_mov_b64_e32 v[22:23], v[6:7]
                                        ; implicit-def: $sgpr46_sgpr47
                                        ; implicit-def: $sgpr48_sgpr49
                                        ; implicit-def: $sgpr50_sgpr51
                                        ; implicit-def: $sgpr18_sgpr19
                                        ; implicit-def: $sgpr52_sgpr53
	s_branch .LBB755_1155
.LBB755_1154:                           ;   in Loop: Header=BB755_1155 Depth=1
	s_or_b64 exec, exec, s[54:55]
	s_and_b64 s[12:13], exec, s[48:49]
	s_or_b64 s[44:45], s[12:13], s[44:45]
	s_andn2_b64 s[12:13], s[52:53], exec
	s_and_b64 s[22:23], s[50:51], exec
	s_or_b64 s[52:53], s[12:13], s[22:23]
	s_andn2_b64 s[12:13], s[46:47], exec
	s_and_b64 s[22:23], s[18:19], exec
	s_or_b64 s[46:47], s[12:13], s[22:23]
	s_andn2_b64 exec, exec, s[44:45]
	s_cbranch_execz .LBB755_1157
.LBB755_1155:                           ; =>This Inner Loop Header: Depth=1
	flat_load_dwordx2 v[68:69], v[20:21]
	flat_load_dwordx2 v[70:71], v[18:19]
	s_andn2_b64 s[54:55], s[18:19], exec
	s_andn2_b64 s[50:51], s[50:51], exec
	s_or_b64 s[48:49], s[48:49], exec
	s_waitcnt vmcnt(0) lgkmcnt(0)
	v_cmp_ngt_f64_e64 s[18:19], v[68:69], v[70:71]
	v_cmp_lt_f64_e64 s[12:13], v[68:69], v[70:71]
	s_and_b64 s[18:19], s[18:19], s[52:53]
	s_or_b64 s[56:57], s[12:13], s[18:19]
	s_and_b64 s[12:13], s[56:57], exec
	v_cmp_nlg_f64_e64 s[22:23], v[68:69], v[70:71]
	s_or_b64 s[18:19], s[54:55], s[12:13]
	s_and_saveexec_b64 s[54:55], s[22:23]
	s_cbranch_execz .LBB755_1154
; %bb.1156:                             ;   in Loop: Header=BB755_1155 Depth=1
	v_lshl_add_u64 v[22:23], v[22:23], 0, -1
	v_cmp_eq_u64_e64 s[12:13], 0, v[22:23]
	s_andn2_b64 s[22:23], s[50:51], exec
	s_and_b64 s[50:51], s[56:57], exec
	s_or_b64 s[50:51], s[22:23], s[50:51]
	s_andn2_b64 s[22:23], s[48:49], exec
	s_and_b64 s[12:13], s[12:13], exec
	v_lshl_add_u64 v[18:19], v[18:19], 0, 8
	v_lshl_add_u64 v[20:21], v[20:21], 0, 8
	s_andn2_b64 s[18:19], s[18:19], exec
	s_or_b64 s[48:49], s[22:23], s[12:13]
                                        ; implicit-def: $sgpr52_sgpr53
	s_branch .LBB755_1154
.LBB755_1157:
	s_or_b64 exec, exec, s[44:45]
	s_and_b64 s[12:13], s[46:47], exec
.LBB755_1158:
	s_or_b64 exec, exec, s[42:43]
	s_xor_b64 s[12:13], s[12:13], -1
	s_and_b64 s[18:19], s[12:13], exec
.LBB755_1159:
	s_or_b64 exec, exec, s[38:39]
	s_orn2_b64 s[38:39], s[18:19], exec
.LBB755_1160:
	s_or_b64 exec, exec, s[40:41]
	v_cndmask_b32_e64 v16, v27, v31, s[38:39]
	v_cndmask_b32_e64 v18, v99, v98, s[38:39]
	v_add_u32_e32 v19, 1, v16
	v_add_u32_e32 v16, -1, v18
	v_min_u32_e32 v16, v19, v16
	v_lshl_add_u64 v[16:17], v[16:17], 3, v[66:67]
	flat_load_dwordx2 v[16:17], v[16:17]
	v_cndmask_b32_e64 v22, v19, v27, s[38:39]
	v_cndmask_b32_e64 v23, v31, v19, s[38:39]
	v_cmp_lt_u32_e64 s[12:13], v22, v99
	s_waitcnt vmcnt(0) lgkmcnt(0)
	v_cndmask_b32_e64 v27, v17, v1, s[38:39]
	v_cndmask_b32_e64 v31, v16, v24, s[38:39]
	;; [unrolled: 1-line block ×4, first 2 shown]
	s_and_saveexec_b64 s[40:41], s[12:13]
	s_cbranch_execz .LBB755_1168
; %bb.1161:
	v_cmp_lt_u32_e64 s[36:37], v23, v98
	s_and_b64 s[12:13], s[36:37], s[28:29]
	s_and_saveexec_b64 s[42:43], s[12:13]
	s_cbranch_execz .LBB755_1167
; %bb.1162:
	v_mul_lo_u32 v18, v68, v6
	v_mul_lo_u32 v19, v69, v7
	v_mad_u64_u32 v[16:17], s[12:13], v69, v6, 0
	v_add3_u32 v17, v17, v19, v18
	v_mul_lo_u32 v20, v27, v6
	v_mul_lo_u32 v21, v31, v7
	v_mad_u64_u32 v[18:19], s[12:13], v31, v6, 0
	v_add3_u32 v19, v19, v21, v20
	v_lshl_add_u64 v[16:17], v[16:17], 3, v[8:9]
	v_lshl_add_u64 v[18:19], v[18:19], 3, v[8:9]
	s_mov_b64 s[44:45], 0
	v_mov_b64_e32 v[20:21], v[6:7]
                                        ; implicit-def: $sgpr46_sgpr47
                                        ; implicit-def: $sgpr48_sgpr49
                                        ; implicit-def: $sgpr18_sgpr19
                                        ; implicit-def: $sgpr50_sgpr51
                                        ; implicit-def: $sgpr52_sgpr53
	s_branch .LBB755_1164
.LBB755_1163:                           ;   in Loop: Header=BB755_1164 Depth=1
	s_or_b64 exec, exec, s[54:55]
	s_and_b64 s[12:13], exec, s[48:49]
	s_or_b64 s[44:45], s[12:13], s[44:45]
	s_andn2_b64 s[12:13], s[52:53], exec
	s_and_b64 s[22:23], s[50:51], exec
	s_or_b64 s[52:53], s[12:13], s[22:23]
	s_andn2_b64 s[12:13], s[46:47], exec
	s_and_b64 s[22:23], s[18:19], exec
	s_or_b64 s[46:47], s[12:13], s[22:23]
	s_andn2_b64 exec, exec, s[44:45]
	s_cbranch_execz .LBB755_1166
.LBB755_1164:                           ; =>This Inner Loop Header: Depth=1
	flat_load_dwordx2 v[70:71], v[18:19]
	flat_load_dwordx2 v[80:81], v[16:17]
	s_andn2_b64 s[54:55], s[18:19], exec
	s_andn2_b64 s[50:51], s[50:51], exec
	s_or_b64 s[48:49], s[48:49], exec
	s_waitcnt vmcnt(0) lgkmcnt(0)
	v_cmp_ngt_f64_e64 s[18:19], v[70:71], v[80:81]
	v_cmp_lt_f64_e64 s[12:13], v[70:71], v[80:81]
	s_and_b64 s[18:19], s[18:19], s[52:53]
	s_or_b64 s[56:57], s[12:13], s[18:19]
	s_and_b64 s[12:13], s[56:57], exec
	v_cmp_nlg_f64_e64 s[22:23], v[70:71], v[80:81]
	s_or_b64 s[18:19], s[54:55], s[12:13]
	s_and_saveexec_b64 s[54:55], s[22:23]
	s_cbranch_execz .LBB755_1163
; %bb.1165:                             ;   in Loop: Header=BB755_1164 Depth=1
	v_lshl_add_u64 v[20:21], v[20:21], 0, -1
	v_cmp_eq_u64_e64 s[12:13], 0, v[20:21]
	s_andn2_b64 s[22:23], s[50:51], exec
	s_and_b64 s[50:51], s[56:57], exec
	s_or_b64 s[50:51], s[22:23], s[50:51]
	s_andn2_b64 s[22:23], s[48:49], exec
	s_and_b64 s[12:13], s[12:13], exec
	v_lshl_add_u64 v[16:17], v[16:17], 0, 8
	v_lshl_add_u64 v[18:19], v[18:19], 0, 8
	s_andn2_b64 s[18:19], s[18:19], exec
	s_or_b64 s[48:49], s[22:23], s[12:13]
                                        ; implicit-def: $sgpr52_sgpr53
	s_branch .LBB755_1163
.LBB755_1166:
	s_or_b64 exec, exec, s[44:45]
	s_xor_b64 s[12:13], s[46:47], -1
	s_andn2_b64 s[18:19], s[36:37], exec
	s_and_b64 s[12:13], s[12:13], exec
	s_or_b64 s[36:37], s[18:19], s[12:13]
.LBB755_1167:
	s_or_b64 exec, exec, s[42:43]
	s_orn2_b64 s[36:37], s[36:37], exec
.LBB755_1168:
	s_or_b64 exec, exec, s[40:41]
	v_cndmask_b32_e64 v16, v22, v23, s[36:37]
	v_cndmask_b32_e64 v17, v99, v98, s[36:37]
	v_add_u32_e32 v20, 1, v16
	v_add_u32_e32 v16, -1, v17
	v_min_u32_e32 v16, v20, v16
	v_mov_b32_e32 v17, 0
	v_lshl_add_u64 v[18:19], v[16:17], 3, v[66:67]
	flat_load_dwordx2 v[18:19], v[18:19]
	v_cndmask_b32_e64 v82, v20, v22, s[36:37]
	s_mov_b64 s[40:41], -1
	v_cndmask_b32_e64 v83, v23, v20, s[36:37]
	v_cmp_lt_u32_e64 s[12:13], v82, v99
	s_mov_b64 s[42:43], -1
	s_waitcnt vmcnt(0) lgkmcnt(0)
	v_cndmask_b32_e64 v70, v19, v27, s[36:37]
	v_cndmask_b32_e64 v71, v18, v31, s[36:37]
	;; [unrolled: 1-line block ×4, first 2 shown]
	s_and_saveexec_b64 s[44:45], s[12:13]
	s_cbranch_execz .LBB755_1176
; %bb.1169:
	v_cmp_lt_u32_e64 s[42:43], v83, v98
	s_and_b64 s[12:13], s[42:43], s[28:29]
	s_and_saveexec_b64 s[46:47], s[12:13]
	s_cbranch_execz .LBB755_1175
; %bb.1170:
	v_mul_lo_u32 v16, v80, v6
	v_mul_lo_u32 v20, v81, v7
	v_mad_u64_u32 v[18:19], s[12:13], v81, v6, 0
	v_add3_u32 v19, v19, v20, v16
	v_mul_lo_u32 v16, v70, v6
	v_mul_lo_u32 v22, v71, v7
	v_mad_u64_u32 v[20:21], s[12:13], v71, v6, 0
	v_add3_u32 v21, v21, v22, v16
	v_lshl_add_u64 v[18:19], v[18:19], 3, v[8:9]
	v_lshl_add_u64 v[20:21], v[20:21], 3, v[8:9]
	s_mov_b64 s[48:49], 0
	v_mov_b64_e32 v[22:23], v[6:7]
                                        ; implicit-def: $sgpr50_sgpr51
                                        ; implicit-def: $sgpr52_sgpr53
                                        ; implicit-def: $sgpr18_sgpr19
                                        ; implicit-def: $sgpr54_sgpr55
                                        ; implicit-def: $sgpr56_sgpr57
	s_branch .LBB755_1172
.LBB755_1171:                           ;   in Loop: Header=BB755_1172 Depth=1
	s_or_b64 exec, exec, s[58:59]
	s_and_b64 s[12:13], exec, s[52:53]
	s_or_b64 s[48:49], s[12:13], s[48:49]
	s_andn2_b64 s[12:13], s[56:57], exec
	s_and_b64 s[22:23], s[54:55], exec
	s_or_b64 s[56:57], s[12:13], s[22:23]
	s_andn2_b64 s[12:13], s[50:51], exec
	s_and_b64 s[22:23], s[18:19], exec
	s_or_b64 s[50:51], s[12:13], s[22:23]
	s_andn2_b64 exec, exec, s[48:49]
	s_cbranch_execz .LBB755_1174
.LBB755_1172:                           ; =>This Inner Loop Header: Depth=1
	flat_load_dwordx2 v[84:85], v[20:21]
	flat_load_dwordx2 v[86:87], v[18:19]
	s_andn2_b64 s[58:59], s[18:19], exec
	s_andn2_b64 s[54:55], s[54:55], exec
	s_or_b64 s[52:53], s[52:53], exec
	s_waitcnt vmcnt(0) lgkmcnt(0)
	v_cmp_ngt_f64_e64 s[18:19], v[84:85], v[86:87]
	v_cmp_lt_f64_e64 s[12:13], v[84:85], v[86:87]
	s_and_b64 s[18:19], s[18:19], s[56:57]
	s_or_b64 s[60:61], s[12:13], s[18:19]
	s_and_b64 s[12:13], s[60:61], exec
	v_cmp_nlg_f64_e64 s[22:23], v[84:85], v[86:87]
	s_or_b64 s[18:19], s[58:59], s[12:13]
	s_and_saveexec_b64 s[58:59], s[22:23]
	s_cbranch_execz .LBB755_1171
; %bb.1173:                             ;   in Loop: Header=BB755_1172 Depth=1
	v_lshl_add_u64 v[22:23], v[22:23], 0, -1
	v_cmp_eq_u64_e64 s[12:13], 0, v[22:23]
	s_andn2_b64 s[22:23], s[54:55], exec
	s_and_b64 s[54:55], s[60:61], exec
	s_or_b64 s[54:55], s[22:23], s[54:55]
	s_andn2_b64 s[22:23], s[52:53], exec
	s_and_b64 s[12:13], s[12:13], exec
	v_lshl_add_u64 v[18:19], v[18:19], 0, 8
	v_lshl_add_u64 v[20:21], v[20:21], 0, 8
	s_andn2_b64 s[18:19], s[18:19], exec
	s_or_b64 s[52:53], s[22:23], s[12:13]
                                        ; implicit-def: $sgpr56_sgpr57
	s_branch .LBB755_1171
.LBB755_1174:
	s_or_b64 exec, exec, s[48:49]
	s_xor_b64 s[12:13], s[50:51], -1
	s_andn2_b64 s[18:19], s[42:43], exec
	s_and_b64 s[12:13], s[12:13], exec
	s_or_b64 s[42:43], s[18:19], s[12:13]
.LBB755_1175:
	s_or_b64 exec, exec, s[46:47]
	s_orn2_b64 s[42:43], s[42:43], exec
.LBB755_1176:
	s_or_b64 exec, exec, s[44:45]
	v_cndmask_b32_e64 v16, v82, v83, s[42:43]
	v_cndmask_b32_e64 v18, v99, v98, s[42:43]
	v_add_u32_e32 v19, 1, v16
	v_add_u32_e32 v16, -1, v18
	v_min_u32_e32 v16, v19, v16
	v_lshl_add_u64 v[16:17], v[16:17], 3, v[66:67]
	flat_load_dwordx2 v[16:17], v[16:17]
	v_cndmask_b32_e64 v22, v19, v82, s[42:43]
	v_cndmask_b32_e64 v23, v83, v19, s[42:43]
	v_cmp_lt_u32_e64 s[12:13], v22, v99
	s_waitcnt vmcnt(0) lgkmcnt(0)
	v_cndmask_b32_e64 v82, v17, v70, s[42:43]
	v_cndmask_b32_e64 v83, v16, v71, s[42:43]
	;; [unrolled: 1-line block ×4, first 2 shown]
	s_and_saveexec_b64 s[44:45], s[12:13]
	s_cbranch_execz .LBB755_1184
; %bb.1177:
	v_cmp_lt_u32_e64 s[40:41], v23, v98
	s_and_b64 s[12:13], s[40:41], s[28:29]
	s_and_saveexec_b64 s[46:47], s[12:13]
	s_cbranch_execz .LBB755_1183
; %bb.1178:
	v_mul_lo_u32 v18, v84, v6
	v_mul_lo_u32 v19, v85, v7
	v_mad_u64_u32 v[16:17], s[12:13], v85, v6, 0
	v_add3_u32 v17, v17, v19, v18
	v_mul_lo_u32 v20, v82, v6
	v_mul_lo_u32 v21, v83, v7
	v_mad_u64_u32 v[18:19], s[12:13], v83, v6, 0
	v_add3_u32 v19, v19, v21, v20
	v_lshl_add_u64 v[16:17], v[16:17], 3, v[8:9]
	v_lshl_add_u64 v[18:19], v[18:19], 3, v[8:9]
	s_mov_b64 s[48:49], 0
	v_mov_b64_e32 v[20:21], v[6:7]
                                        ; implicit-def: $sgpr50_sgpr51
                                        ; implicit-def: $sgpr52_sgpr53
                                        ; implicit-def: $sgpr18_sgpr19
                                        ; implicit-def: $sgpr54_sgpr55
                                        ; implicit-def: $sgpr56_sgpr57
	s_branch .LBB755_1180
.LBB755_1179:                           ;   in Loop: Header=BB755_1180 Depth=1
	s_or_b64 exec, exec, s[58:59]
	s_and_b64 s[12:13], exec, s[52:53]
	s_or_b64 s[48:49], s[12:13], s[48:49]
	s_andn2_b64 s[12:13], s[56:57], exec
	s_and_b64 s[22:23], s[54:55], exec
	s_or_b64 s[56:57], s[12:13], s[22:23]
	s_andn2_b64 s[12:13], s[50:51], exec
	s_and_b64 s[22:23], s[18:19], exec
	s_or_b64 s[50:51], s[12:13], s[22:23]
	s_andn2_b64 exec, exec, s[48:49]
	s_cbranch_execz .LBB755_1182
.LBB755_1180:                           ; =>This Inner Loop Header: Depth=1
	flat_load_dwordx2 v[86:87], v[18:19]
	flat_load_dwordx2 v[96:97], v[16:17]
	s_andn2_b64 s[58:59], s[18:19], exec
	s_andn2_b64 s[54:55], s[54:55], exec
	s_or_b64 s[52:53], s[52:53], exec
	s_waitcnt vmcnt(0) lgkmcnt(0)
	v_cmp_ngt_f64_e64 s[18:19], v[86:87], v[96:97]
	v_cmp_lt_f64_e64 s[12:13], v[86:87], v[96:97]
	s_and_b64 s[18:19], s[18:19], s[56:57]
	s_or_b64 s[60:61], s[12:13], s[18:19]
	s_and_b64 s[12:13], s[60:61], exec
	v_cmp_nlg_f64_e64 s[22:23], v[86:87], v[96:97]
	s_or_b64 s[18:19], s[58:59], s[12:13]
	s_and_saveexec_b64 s[58:59], s[22:23]
	s_cbranch_execz .LBB755_1179
; %bb.1181:                             ;   in Loop: Header=BB755_1180 Depth=1
	v_lshl_add_u64 v[20:21], v[20:21], 0, -1
	v_cmp_eq_u64_e64 s[12:13], 0, v[20:21]
	s_andn2_b64 s[22:23], s[54:55], exec
	s_and_b64 s[54:55], s[60:61], exec
	s_or_b64 s[54:55], s[22:23], s[54:55]
	s_andn2_b64 s[22:23], s[52:53], exec
	s_and_b64 s[12:13], s[12:13], exec
	v_lshl_add_u64 v[16:17], v[16:17], 0, 8
	v_lshl_add_u64 v[18:19], v[18:19], 0, 8
	s_andn2_b64 s[18:19], s[18:19], exec
	s_or_b64 s[52:53], s[22:23], s[12:13]
                                        ; implicit-def: $sgpr56_sgpr57
	s_branch .LBB755_1179
.LBB755_1182:
	s_or_b64 exec, exec, s[48:49]
	s_xor_b64 s[12:13], s[50:51], -1
	s_andn2_b64 s[18:19], s[40:41], exec
	s_and_b64 s[12:13], s[12:13], exec
	s_or_b64 s[40:41], s[18:19], s[12:13]
.LBB755_1183:
	s_or_b64 exec, exec, s[46:47]
	s_orn2_b64 s[40:41], s[40:41], exec
.LBB755_1184:
	s_or_b64 exec, exec, s[44:45]
	v_cndmask_b32_e64 v16, v22, v23, s[40:41]
	v_cndmask_b32_e64 v17, v99, v98, s[40:41]
	v_add_u32_e32 v20, 1, v16
	v_add_u32_e32 v16, -1, v17
	v_min_u32_e32 v16, v20, v16
	v_mov_b32_e32 v17, 0
	v_lshl_add_u64 v[18:19], v[16:17], 3, v[66:67]
	flat_load_dwordx2 v[18:19], v[18:19]
	v_cndmask_b32_e64 v100, v20, v22, s[40:41]
	s_mov_b64 s[44:45], -1
	v_cndmask_b32_e64 v101, v23, v20, s[40:41]
	v_cmp_lt_u32_e64 s[12:13], v100, v99
	s_mov_b64 s[46:47], -1
	s_waitcnt vmcnt(0) lgkmcnt(0)
	v_cndmask_b32_e64 v86, v19, v82, s[40:41]
	v_cndmask_b32_e64 v87, v18, v83, s[40:41]
	;; [unrolled: 1-line block ×4, first 2 shown]
	s_and_saveexec_b64 s[48:49], s[12:13]
	s_cbranch_execz .LBB755_1192
; %bb.1185:
	v_cmp_lt_u32_e64 s[46:47], v101, v98
	s_and_b64 s[12:13], s[46:47], s[28:29]
	s_and_saveexec_b64 s[50:51], s[12:13]
	s_cbranch_execz .LBB755_1191
; %bb.1186:
	v_mul_lo_u32 v16, v96, v6
	v_mul_lo_u32 v20, v97, v7
	v_mad_u64_u32 v[18:19], s[12:13], v97, v6, 0
	v_add3_u32 v19, v19, v20, v16
	v_mul_lo_u32 v16, v86, v6
	v_mul_lo_u32 v22, v87, v7
	v_mad_u64_u32 v[20:21], s[12:13], v87, v6, 0
	v_add3_u32 v21, v21, v22, v16
	v_lshl_add_u64 v[18:19], v[18:19], 3, v[8:9]
	v_lshl_add_u64 v[20:21], v[20:21], 3, v[8:9]
	s_mov_b64 s[52:53], 0
	v_mov_b64_e32 v[22:23], v[6:7]
                                        ; implicit-def: $sgpr54_sgpr55
                                        ; implicit-def: $sgpr56_sgpr57
                                        ; implicit-def: $sgpr18_sgpr19
                                        ; implicit-def: $sgpr58_sgpr59
                                        ; implicit-def: $sgpr60_sgpr61
	s_branch .LBB755_1188
.LBB755_1187:                           ;   in Loop: Header=BB755_1188 Depth=1
	s_or_b64 exec, exec, s[62:63]
	s_and_b64 s[12:13], exec, s[56:57]
	s_or_b64 s[52:53], s[12:13], s[52:53]
	s_andn2_b64 s[12:13], s[60:61], exec
	s_and_b64 s[22:23], s[58:59], exec
	s_or_b64 s[60:61], s[12:13], s[22:23]
	s_andn2_b64 s[12:13], s[54:55], exec
	s_and_b64 s[22:23], s[18:19], exec
	s_or_b64 s[54:55], s[12:13], s[22:23]
	s_andn2_b64 exec, exec, s[52:53]
	s_cbranch_execz .LBB755_1190
.LBB755_1188:                           ; =>This Inner Loop Header: Depth=1
	flat_load_dwordx2 v[102:103], v[20:21]
	flat_load_dwordx2 v[112:113], v[18:19]
	s_andn2_b64 s[62:63], s[18:19], exec
	s_andn2_b64 s[58:59], s[58:59], exec
	s_or_b64 s[56:57], s[56:57], exec
	s_waitcnt vmcnt(0) lgkmcnt(0)
	v_cmp_ngt_f64_e64 s[18:19], v[102:103], v[112:113]
	v_cmp_lt_f64_e64 s[12:13], v[102:103], v[112:113]
	s_and_b64 s[18:19], s[18:19], s[60:61]
	s_or_b64 s[64:65], s[12:13], s[18:19]
	s_and_b64 s[12:13], s[64:65], exec
	v_cmp_nlg_f64_e64 s[22:23], v[102:103], v[112:113]
	s_or_b64 s[18:19], s[62:63], s[12:13]
	s_and_saveexec_b64 s[62:63], s[22:23]
	s_cbranch_execz .LBB755_1187
; %bb.1189:                             ;   in Loop: Header=BB755_1188 Depth=1
	v_lshl_add_u64 v[22:23], v[22:23], 0, -1
	v_cmp_eq_u64_e64 s[12:13], 0, v[22:23]
	s_andn2_b64 s[22:23], s[58:59], exec
	s_and_b64 s[58:59], s[64:65], exec
	s_or_b64 s[58:59], s[22:23], s[58:59]
	s_andn2_b64 s[22:23], s[56:57], exec
	s_and_b64 s[12:13], s[12:13], exec
	v_lshl_add_u64 v[18:19], v[18:19], 0, 8
	v_lshl_add_u64 v[20:21], v[20:21], 0, 8
	s_andn2_b64 s[18:19], s[18:19], exec
	s_or_b64 s[56:57], s[22:23], s[12:13]
                                        ; implicit-def: $sgpr60_sgpr61
	s_branch .LBB755_1187
.LBB755_1190:
	s_or_b64 exec, exec, s[52:53]
	s_xor_b64 s[12:13], s[54:55], -1
	s_andn2_b64 s[18:19], s[46:47], exec
	s_and_b64 s[12:13], s[12:13], exec
	s_or_b64 s[46:47], s[18:19], s[12:13]
.LBB755_1191:
	s_or_b64 exec, exec, s[50:51]
	s_orn2_b64 s[46:47], s[46:47], exec
.LBB755_1192:
	s_or_b64 exec, exec, s[48:49]
	v_cndmask_b32_e64 v16, v100, v101, s[46:47]
	v_cndmask_b32_e64 v18, v99, v98, s[46:47]
	v_add_u32_e32 v19, 1, v16
	v_add_u32_e32 v16, -1, v18
	v_min_u32_e32 v16, v19, v16
	v_lshl_add_u64 v[16:17], v[16:17], 3, v[66:67]
	flat_load_dwordx2 v[16:17], v[16:17]
	v_cndmask_b32_e64 v103, v19, v100, s[46:47]
	v_cndmask_b32_e64 v100, v101, v19, s[46:47]
	v_cmp_lt_u32_e64 s[12:13], v103, v99
	s_waitcnt vmcnt(0) lgkmcnt(0)
	v_cndmask_b32_e64 v101, v17, v86, s[46:47]
	v_cndmask_b32_e64 v102, v16, v87, s[46:47]
	;; [unrolled: 1-line block ×4, first 2 shown]
	s_and_saveexec_b64 s[48:49], s[12:13]
	s_cbranch_execz .LBB755_1200
; %bb.1193:
	v_cmp_lt_u32_e64 s[44:45], v100, v98
	s_and_b64 s[12:13], s[44:45], s[28:29]
	s_and_saveexec_b64 s[50:51], s[12:13]
	s_cbranch_execz .LBB755_1199
; %bb.1194:
	v_mul_lo_u32 v18, v112, v6
	v_mul_lo_u32 v19, v113, v7
	v_mad_u64_u32 v[16:17], s[12:13], v113, v6, 0
	v_add3_u32 v17, v17, v19, v18
	v_mul_lo_u32 v20, v101, v6
	v_mul_lo_u32 v21, v102, v7
	v_mad_u64_u32 v[18:19], s[12:13], v102, v6, 0
	v_add3_u32 v19, v19, v21, v20
	v_lshl_add_u64 v[16:17], v[16:17], 3, v[8:9]
	v_lshl_add_u64 v[18:19], v[18:19], 3, v[8:9]
	s_mov_b64 s[52:53], 0
	v_mov_b64_e32 v[20:21], v[6:7]
                                        ; implicit-def: $sgpr54_sgpr55
                                        ; implicit-def: $sgpr56_sgpr57
                                        ; implicit-def: $sgpr18_sgpr19
                                        ; implicit-def: $sgpr58_sgpr59
                                        ; implicit-def: $sgpr60_sgpr61
	s_branch .LBB755_1196
.LBB755_1195:                           ;   in Loop: Header=BB755_1196 Depth=1
	s_or_b64 exec, exec, s[62:63]
	s_and_b64 s[12:13], exec, s[56:57]
	s_or_b64 s[52:53], s[12:13], s[52:53]
	s_andn2_b64 s[12:13], s[60:61], exec
	s_and_b64 s[22:23], s[58:59], exec
	s_or_b64 s[60:61], s[12:13], s[22:23]
	s_andn2_b64 s[12:13], s[54:55], exec
	s_and_b64 s[22:23], s[18:19], exec
	s_or_b64 s[54:55], s[12:13], s[22:23]
	s_andn2_b64 exec, exec, s[52:53]
	s_cbranch_execz .LBB755_1198
.LBB755_1196:                           ; =>This Inner Loop Header: Depth=1
	flat_load_dwordx2 v[22:23], v[18:19]
	flat_load_dwordx2 v[114:115], v[16:17]
	s_andn2_b64 s[62:63], s[18:19], exec
	s_andn2_b64 s[58:59], s[58:59], exec
	s_or_b64 s[56:57], s[56:57], exec
	s_waitcnt vmcnt(0) lgkmcnt(0)
	v_cmp_ngt_f64_e64 s[18:19], v[22:23], v[114:115]
	v_cmp_lt_f64_e64 s[12:13], v[22:23], v[114:115]
	s_and_b64 s[18:19], s[18:19], s[60:61]
	s_or_b64 s[64:65], s[12:13], s[18:19]
	s_and_b64 s[12:13], s[64:65], exec
	v_cmp_nlg_f64_e64 s[22:23], v[22:23], v[114:115]
	s_or_b64 s[18:19], s[62:63], s[12:13]
	s_and_saveexec_b64 s[62:63], s[22:23]
	s_cbranch_execz .LBB755_1195
; %bb.1197:                             ;   in Loop: Header=BB755_1196 Depth=1
	v_lshl_add_u64 v[20:21], v[20:21], 0, -1
	v_cmp_eq_u64_e64 s[12:13], 0, v[20:21]
	s_andn2_b64 s[22:23], s[58:59], exec
	s_and_b64 s[58:59], s[64:65], exec
	s_or_b64 s[58:59], s[22:23], s[58:59]
	s_andn2_b64 s[22:23], s[56:57], exec
	s_and_b64 s[12:13], s[12:13], exec
	v_lshl_add_u64 v[16:17], v[16:17], 0, 8
	v_lshl_add_u64 v[18:19], v[18:19], 0, 8
	s_andn2_b64 s[18:19], s[18:19], exec
	s_or_b64 s[56:57], s[22:23], s[12:13]
                                        ; implicit-def: $sgpr60_sgpr61
	s_branch .LBB755_1195
.LBB755_1198:
	s_or_b64 exec, exec, s[52:53]
	s_xor_b64 s[12:13], s[54:55], -1
	s_andn2_b64 s[18:19], s[44:45], exec
	s_and_b64 s[12:13], s[12:13], exec
	s_or_b64 s[44:45], s[18:19], s[12:13]
.LBB755_1199:
	s_or_b64 exec, exec, s[50:51]
	s_orn2_b64 s[44:45], s[44:45], exec
.LBB755_1200:
	s_or_b64 exec, exec, s[48:49]
	v_cndmask_b32_e64 v16, v103, v100, s[44:45]
	v_cndmask_b32_e64 v17, v99, v98, s[44:45]
	v_add_u32_e32 v114, 1, v16
	v_add_u32_e32 v16, -1, v17
	v_min_u32_e32 v16, v114, v16
	v_mov_b32_e32 v17, 0
	v_lshl_add_u64 v[16:17], v[16:17], 3, v[66:67]
	flat_load_dwordx2 v[66:67], v[16:17]
	v_cndmask_b32_e64 v21, v27, v68, s[36:37]
	v_cndmask_b32_e64 v27, v1, v25, s[38:39]
	;; [unrolled: 1-line block ×15, first 2 shown]
	v_cmp_lt_u32_e64 s[12:13], v1, v99
	s_waitcnt vmcnt(0) lgkmcnt(0)
	v_cndmask_b32_e64 v15, v112, v67, s[44:45]
	v_cndmask_b32_e64 v14, v113, v66, s[44:45]
	s_and_saveexec_b64 s[34:35], s[12:13]
	s_cbranch_execz .LBB755_1208
; %bb.1201:
	v_cndmask_b32_e64 v31, v66, v102, s[44:45]
	v_cndmask_b32_e64 v66, v100, v114, s[44:45]
	v_cmp_ge_u32_e64 s[12:13], v66, v98
	v_cndmask_b32_e64 v1, v67, v101, s[44:45]
	s_or_b64 s[18:19], s[12:13], s[8:9]
	v_cndmask_b32_e64 v67, v15, v1, s[12:13]
	s_xor_b64 s[18:19], s[18:19], -1
	v_cndmask_b32_e64 v66, v14, v31, s[12:13]
	s_and_saveexec_b64 s[36:37], s[18:19]
	s_cbranch_execz .LBB755_1207
; %bb.1202:
	v_mul_lo_u32 v68, v15, v6
	v_mul_lo_u32 v69, v14, v7
	v_mad_u64_u32 v[66:67], s[12:13], v14, v6, 0
	v_add3_u32 v67, v67, v69, v68
	v_mul_lo_u32 v70, v1, v6
	v_mul_lo_u32 v71, v31, v7
	v_mad_u64_u32 v[68:69], s[12:13], v31, v6, 0
	v_add3_u32 v69, v69, v71, v70
	v_lshl_add_u64 v[66:67], v[66:67], 3, v[8:9]
	v_lshl_add_u64 v[68:69], v[68:69], 3, v[8:9]
	s_mov_b64 s[38:39], 0
	v_mov_b64_e32 v[70:71], v[6:7]
                                        ; implicit-def: $sgpr40_sgpr41
                                        ; implicit-def: $sgpr42_sgpr43
                                        ; implicit-def: $sgpr18_sgpr19
                                        ; implicit-def: $sgpr44_sgpr45
                                        ; implicit-def: $sgpr46_sgpr47
	s_branch .LBB755_1204
.LBB755_1203:                           ;   in Loop: Header=BB755_1204 Depth=1
	s_or_b64 exec, exec, s[48:49]
	s_and_b64 s[12:13], exec, s[42:43]
	s_or_b64 s[38:39], s[12:13], s[38:39]
	s_andn2_b64 s[12:13], s[46:47], exec
	s_and_b64 s[22:23], s[44:45], exec
	s_or_b64 s[46:47], s[12:13], s[22:23]
	s_andn2_b64 s[12:13], s[40:41], exec
	s_and_b64 s[22:23], s[18:19], exec
	s_or_b64 s[40:41], s[12:13], s[22:23]
	s_andn2_b64 exec, exec, s[38:39]
	s_cbranch_execz .LBB755_1206
.LBB755_1204:                           ; =>This Inner Loop Header: Depth=1
	flat_load_dwordx2 v[80:81], v[68:69]
	flat_load_dwordx2 v[82:83], v[66:67]
	s_andn2_b64 s[48:49], s[18:19], exec
	s_andn2_b64 s[44:45], s[44:45], exec
	s_or_b64 s[42:43], s[42:43], exec
	s_waitcnt vmcnt(0) lgkmcnt(0)
	v_cmp_ngt_f64_e64 s[18:19], v[80:81], v[82:83]
	v_cmp_lt_f64_e64 s[12:13], v[80:81], v[82:83]
	s_and_b64 s[18:19], s[18:19], s[46:47]
	s_or_b64 s[50:51], s[12:13], s[18:19]
	s_and_b64 s[12:13], s[50:51], exec
	v_cmp_nlg_f64_e64 s[22:23], v[80:81], v[82:83]
	s_or_b64 s[18:19], s[48:49], s[12:13]
	s_and_saveexec_b64 s[48:49], s[22:23]
	s_cbranch_execz .LBB755_1203
; %bb.1205:                             ;   in Loop: Header=BB755_1204 Depth=1
	v_lshl_add_u64 v[70:71], v[70:71], 0, -1
	v_cmp_eq_u64_e64 s[12:13], 0, v[70:71]
	s_andn2_b64 s[22:23], s[44:45], exec
	s_and_b64 s[44:45], s[50:51], exec
	s_or_b64 s[44:45], s[22:23], s[44:45]
	s_andn2_b64 s[22:23], s[42:43], exec
	s_and_b64 s[12:13], s[12:13], exec
	v_lshl_add_u64 v[66:67], v[66:67], 0, 8
	v_lshl_add_u64 v[68:69], v[68:69], 0, 8
	s_andn2_b64 s[18:19], s[18:19], exec
	s_or_b64 s[42:43], s[22:23], s[12:13]
                                        ; implicit-def: $sgpr46_sgpr47
	s_branch .LBB755_1203
.LBB755_1206:
	s_or_b64 exec, exec, s[38:39]
	v_cndmask_b32_e64 v67, v15, v1, s[40:41]
	v_cndmask_b32_e64 v66, v14, v31, s[40:41]
.LBB755_1207:
	s_or_b64 exec, exec, s[36:37]
	v_mov_b64_e32 v[14:15], v[66:67]
.LBB755_1208:
	s_or_b64 exec, exec, s[34:35]
.LBB755_1209:
	s_or_b64 exec, exec, s[30:31]
	s_movk_i32 s70, 0x80
	v_cmp_lt_u32_e64 s[12:13], s70, v0
	; wave barrier
	s_waitcnt lgkmcnt(0)
	s_barrier
	s_and_saveexec_b64 s[30:31], s[12:13]
	s_cbranch_execz .LBB755_1295
; %bb.1210:
	v_lshlrev_b32_e32 v66, 3, v30
	v_mov_b32_e32 v67, 0
	v_lshl_add_u64 v[68:69], v[10:11], 0, v[66:67]
	s_mov_b64 s[34:35], 0
	s_branch .LBB755_1215
.LBB755_1211:                           ;   in Loop: Header=BB755_1215 Depth=1
	s_or_b64 exec, exec, s[56:57]
	v_cndmask_b32_e64 v17, v15, v1, s[58:59]
	v_cndmask_b32_e64 v16, v14, v66, s[58:59]
.LBB755_1212:                           ;   in Loop: Header=BB755_1215 Depth=1
	s_or_b64 exec, exec, s[54:55]
	v_mov_b64_e32 v[14:15], v[16:17]
.LBB755_1213:                           ;   in Loop: Header=BB755_1215 Depth=1
	s_or_b64 exec, exec, s[52:53]
	v_cndmask_b32_e64 v19, v98, v100, s[50:51]
	v_cndmask_b32_e64 v18, v99, v101, s[50:51]
	;; [unrolled: 1-line block ×14, first 2 shown]
.LBB755_1214:                           ;   in Loop: Header=BB755_1215 Depth=1
	s_or_b64 exec, exec, s[36:37]
	v_cmp_ge_u32_e64 s[12:13], s70, v0
	s_or_b64 s[34:35], s[12:13], s[34:35]
	s_barrier
	s_andn2_b64 exec, exec, s[34:35]
	s_cbranch_execz .LBB755_1294
.LBB755_1215:                           ; =>This Loop Header: Depth=1
                                        ;     Child Loop BB755_1219 Depth 2
                                        ;       Child Loop BB755_1222 Depth 3
                                        ;     Child Loop BB755_1234 Depth 2
                                        ;     Child Loop BB755_1243 Depth 2
	;; [unrolled: 1-line block ×8, first 2 shown]
	s_mov_b32 s12, s70
	s_lshl_b32 s70, s70, 1
	s_sub_i32 s18, 0, s70
	v_and_b32_e32 v31, s18, v30
	v_add_u32_e32 v1, s12, v31
	v_min_u32_e32 v70, v1, v0
	s_add_i32 s13, s70, -1
	v_add_u32_e32 v1, s12, v70
	v_min_u32_e32 v1, v1, v0
	v_and_b32_e32 v66, s13, v30
	v_min_u32_e32 v100, v66, v0
	v_sub_u32_e32 v66, v70, v31
	v_sub_u32_e32 v71, v1, v70
	v_sub_u32_e64 v101, v100, v71 clamp
	v_min_u32_e32 v102, v100, v66
	v_cmp_lt_u32_e64 s[12:13], v101, v102
	flat_store_dwordx4 v[68:69], v[24:27]
	flat_store_dwordx4 v[68:69], v[20:23] offset:16
	flat_store_dwordx4 v[68:69], v[16:19] offset:32
	;; [unrolled: 1-line block ×3, first 2 shown]
	s_waitcnt lgkmcnt(0)
	s_barrier
	s_and_saveexec_b64 s[36:37], s[12:13]
	s_cbranch_execz .LBB755_1225
; %bb.1216:                             ;   in Loop: Header=BB755_1215 Depth=1
	v_lshlrev_b32_e32 v66, 3, v31
	v_mov_b32_e32 v71, v67
	v_lshl_add_u64 v[80:81], v[10:11], 0, v[66:67]
	v_lshl_add_u64 v[82:83], v[70:71], 3, v[10:11]
	s_mov_b64 s[38:39], 0
	s_branch .LBB755_1219
.LBB755_1217:                           ;   in Loop: Header=BB755_1219 Depth=2
	s_or_b64 exec, exec, s[42:43]
	s_and_b64 s[12:13], s[44:45], exec
.LBB755_1218:                           ;   in Loop: Header=BB755_1219 Depth=2
	s_or_b64 exec, exec, s[40:41]
	v_add_u32_e32 v66, 1, v84
	v_cndmask_b32_e64 v102, v102, v84, s[12:13]
	v_cndmask_b32_e64 v101, v66, v101, s[12:13]
	v_cmp_ge_u32_e64 s[12:13], v101, v102
	s_or_b64 s[38:39], s[12:13], s[38:39]
	s_andn2_b64 exec, exec, s[38:39]
	s_cbranch_execz .LBB755_1224
.LBB755_1219:                           ;   Parent Loop BB755_1215 Depth=1
                                        ; =>  This Loop Header: Depth=2
                                        ;       Child Loop BB755_1222 Depth 3
	v_add_u32_e32 v66, v102, v101
	v_lshrrev_b32_e32 v84, 1, v66
	s_mov_b64 s[12:13], 0
	s_and_saveexec_b64 s[40:41], s[16:17]
	s_cbranch_execz .LBB755_1218
; %bb.1220:                             ;   in Loop: Header=BB755_1219 Depth=2
	v_mov_b32_e32 v85, v67
	v_xad_u32 v66, v84, -1, v100
	v_lshl_add_u64 v[86:87], v[84:85], 3, v[80:81]
	v_lshl_add_u64 v[96:97], v[66:67], 3, v[82:83]
	flat_load_dwordx2 v[86:87], v[86:87]
	s_mov_b64 s[42:43], 0
	flat_load_dwordx2 v[96:97], v[96:97]
                                        ; implicit-def: $sgpr44_sgpr45
                                        ; implicit-def: $sgpr46_sgpr47
                                        ; implicit-def: $sgpr48_sgpr49
                                        ; implicit-def: $sgpr18_sgpr19
                                        ; implicit-def: $sgpr50_sgpr51
	s_waitcnt vmcnt(0) lgkmcnt(0)
	v_mul_lo_u32 v66, v64, v87
	v_mul_lo_u32 v71, v65, v86
	v_mad_u64_u32 v[86:87], s[12:13], v64, v86, v[8:9]
	v_mul_lo_u32 v85, v64, v97
	v_mul_lo_u32 v98, v65, v96
	v_mad_u64_u32 v[96:97], s[12:13], v64, v96, v[8:9]
	v_add3_u32 v87, v71, v87, v66
	v_add3_u32 v97, v98, v97, v85
	v_mov_b64_e32 v[98:99], v[6:7]
	s_branch .LBB755_1222
.LBB755_1221:                           ;   in Loop: Header=BB755_1222 Depth=3
	s_or_b64 exec, exec, s[52:53]
	s_and_b64 s[12:13], exec, s[46:47]
	s_or_b64 s[42:43], s[12:13], s[42:43]
	s_andn2_b64 s[12:13], s[50:51], exec
	s_and_b64 s[22:23], s[48:49], exec
	s_or_b64 s[50:51], s[12:13], s[22:23]
	s_andn2_b64 s[12:13], s[44:45], exec
	s_and_b64 s[22:23], s[18:19], exec
	s_or_b64 s[44:45], s[12:13], s[22:23]
	s_andn2_b64 exec, exec, s[42:43]
	s_cbranch_execz .LBB755_1217
.LBB755_1222:                           ;   Parent Loop BB755_1215 Depth=1
                                        ;     Parent Loop BB755_1219 Depth=2
                                        ; =>    This Inner Loop Header: Depth=3
	flat_load_dwordx2 v[112:113], v[96:97]
	flat_load_dwordx2 v[114:115], v[86:87]
	s_andn2_b64 s[52:53], s[18:19], exec
	s_andn2_b64 s[48:49], s[48:49], exec
	s_or_b64 s[46:47], s[46:47], exec
	s_waitcnt vmcnt(0) lgkmcnt(0)
	v_cmp_ngt_f64_e64 s[18:19], v[112:113], v[114:115]
	v_cmp_lt_f64_e64 s[12:13], v[112:113], v[114:115]
	s_and_b64 s[18:19], s[18:19], s[50:51]
	s_or_b64 s[54:55], s[12:13], s[18:19]
	s_and_b64 s[12:13], s[54:55], exec
	v_cmp_nlg_f64_e64 s[22:23], v[112:113], v[114:115]
	s_or_b64 s[18:19], s[52:53], s[12:13]
	s_and_saveexec_b64 s[52:53], s[22:23]
	s_cbranch_execz .LBB755_1221
; %bb.1223:                             ;   in Loop: Header=BB755_1222 Depth=3
	v_lshl_add_u64 v[98:99], v[98:99], 0, -1
	v_cmp_eq_u64_e64 s[12:13], 0, v[98:99]
	s_andn2_b64 s[22:23], s[48:49], exec
	s_and_b64 s[48:49], s[54:55], exec
	s_or_b64 s[48:49], s[22:23], s[48:49]
	s_andn2_b64 s[22:23], s[46:47], exec
	s_and_b64 s[12:13], s[12:13], exec
	v_lshl_add_u64 v[86:87], v[86:87], 0, 8
	v_lshl_add_u64 v[96:97], v[96:97], 0, 8
	s_andn2_b64 s[18:19], s[18:19], exec
	s_or_b64 s[46:47], s[22:23], s[12:13]
                                        ; implicit-def: $sgpr50_sgpr51
	s_branch .LBB755_1221
.LBB755_1224:                           ;   in Loop: Header=BB755_1215 Depth=1
	s_or_b64 exec, exec, s[38:39]
.LBB755_1225:                           ;   in Loop: Header=BB755_1215 Depth=1
	s_or_b64 exec, exec, s[36:37]
	v_sub_u32_e32 v66, v100, v101
	v_add_u32_e32 v80, v101, v31
	v_add_u32_e32 v82, v66, v70
	v_cmp_le_u32_e64 s[12:13], v80, v70
	v_cmp_le_u32_e64 s[18:19], v82, v1
	s_or_b64 s[12:13], s[12:13], s[18:19]
	s_and_saveexec_b64 s[36:37], s[12:13]
	s_cbranch_execz .LBB755_1214
; %bb.1226:                             ;   in Loop: Header=BB755_1215 Depth=1
	v_cmp_ge_u32_e64 s[18:19], v80, v70
	v_cmp_lt_u32_e64 s[12:13], v80, v70
                                        ; implicit-def: $vgpr12_vgpr13
	s_and_saveexec_b64 s[22:23], s[12:13]
	s_cbranch_execz .LBB755_1228
; %bb.1227:                             ;   in Loop: Header=BB755_1215 Depth=1
	v_mov_b32_e32 v81, v67
	v_lshl_add_u64 v[12:13], v[80:81], 3, v[10:11]
	flat_load_dwordx2 v[12:13], v[12:13]
.LBB755_1228:                           ;   in Loop: Header=BB755_1215 Depth=1
	s_or_b64 exec, exec, s[22:23]
	v_cmp_ge_u32_e64 s[38:39], v82, v1
	v_cmp_lt_u32_e64 s[12:13], v82, v1
                                        ; implicit-def: $vgpr24_vgpr25
	s_and_saveexec_b64 s[22:23], s[12:13]
	s_cbranch_execz .LBB755_1230
; %bb.1229:                             ;   in Loop: Header=BB755_1215 Depth=1
	v_mov_b32_e32 v83, v67
	v_lshl_add_u64 v[14:15], v[82:83], 3, v[10:11]
	flat_load_dwordx2 v[24:25], v[14:15]
.LBB755_1230:                           ;   in Loop: Header=BB755_1215 Depth=1
	s_or_b64 exec, exec, s[22:23]
	s_or_b64 s[12:13], s[18:19], s[38:39]
	s_xor_b64 s[12:13], s[12:13], -1
	s_and_saveexec_b64 s[40:41], s[12:13]
	s_cbranch_execz .LBB755_1238
; %bb.1231:                             ;   in Loop: Header=BB755_1215 Depth=1
	s_mov_b64 s[12:13], 0
	s_and_saveexec_b64 s[42:43], s[16:17]
	s_cbranch_execz .LBB755_1237
; %bb.1232:                             ;   in Loop: Header=BB755_1215 Depth=1
	s_waitcnt vmcnt(0) lgkmcnt(0)
	v_mad_u64_u32 v[14:15], s[12:13], v64, v12, v[8:9]
	v_mul_lo_u32 v16, v64, v13
	v_mul_lo_u32 v17, v65, v12
	v_add3_u32 v15, v17, v15, v16
	v_mad_u64_u32 v[16:17], s[12:13], v64, v24, v[8:9]
	v_mul_lo_u32 v18, v64, v25
	v_mul_lo_u32 v19, v65, v24
	v_add3_u32 v17, v19, v17, v18
	s_mov_b64 s[44:45], 0
	v_mov_b64_e32 v[18:19], v[6:7]
                                        ; implicit-def: $sgpr46_sgpr47
                                        ; implicit-def: $sgpr48_sgpr49
                                        ; implicit-def: $sgpr50_sgpr51
                                        ; implicit-def: $sgpr18_sgpr19
                                        ; implicit-def: $sgpr52_sgpr53
	s_branch .LBB755_1234
.LBB755_1233:                           ;   in Loop: Header=BB755_1234 Depth=2
	s_or_b64 exec, exec, s[54:55]
	s_and_b64 s[12:13], exec, s[48:49]
	s_or_b64 s[44:45], s[12:13], s[44:45]
	s_andn2_b64 s[12:13], s[52:53], exec
	s_and_b64 s[22:23], s[50:51], exec
	s_or_b64 s[52:53], s[12:13], s[22:23]
	s_andn2_b64 s[12:13], s[46:47], exec
	s_and_b64 s[22:23], s[18:19], exec
	s_or_b64 s[46:47], s[12:13], s[22:23]
	s_andn2_b64 exec, exec, s[44:45]
	s_cbranch_execz .LBB755_1236
.LBB755_1234:                           ;   Parent Loop BB755_1215 Depth=1
                                        ; =>  This Inner Loop Header: Depth=2
	flat_load_dwordx2 v[20:21], v[16:17]
	flat_load_dwordx2 v[22:23], v[14:15]
	s_andn2_b64 s[54:55], s[18:19], exec
	s_andn2_b64 s[50:51], s[50:51], exec
	s_or_b64 s[48:49], s[48:49], exec
	s_waitcnt vmcnt(0) lgkmcnt(0)
	v_cmp_ngt_f64_e64 s[18:19], v[20:21], v[22:23]
	v_cmp_lt_f64_e64 s[12:13], v[20:21], v[22:23]
	s_and_b64 s[18:19], s[18:19], s[52:53]
	s_or_b64 s[56:57], s[12:13], s[18:19]
	s_and_b64 s[12:13], s[56:57], exec
	v_cmp_nlg_f64_e64 s[22:23], v[20:21], v[22:23]
	s_or_b64 s[18:19], s[54:55], s[12:13]
	s_and_saveexec_b64 s[54:55], s[22:23]
	s_cbranch_execz .LBB755_1233
; %bb.1235:                             ;   in Loop: Header=BB755_1234 Depth=2
	v_lshl_add_u64 v[18:19], v[18:19], 0, -1
	v_cmp_eq_u64_e64 s[12:13], 0, v[18:19]
	s_andn2_b64 s[22:23], s[50:51], exec
	s_and_b64 s[50:51], s[56:57], exec
	s_or_b64 s[50:51], s[22:23], s[50:51]
	s_andn2_b64 s[22:23], s[48:49], exec
	s_and_b64 s[12:13], s[12:13], exec
	v_lshl_add_u64 v[14:15], v[14:15], 0, 8
	v_lshl_add_u64 v[16:17], v[16:17], 0, 8
	s_andn2_b64 s[18:19], s[18:19], exec
	s_or_b64 s[48:49], s[22:23], s[12:13]
                                        ; implicit-def: $sgpr52_sgpr53
	s_branch .LBB755_1233
.LBB755_1236:                           ;   in Loop: Header=BB755_1215 Depth=1
	s_or_b64 exec, exec, s[44:45]
	s_and_b64 s[12:13], s[46:47], exec
.LBB755_1237:                           ;   in Loop: Header=BB755_1215 Depth=1
	s_or_b64 exec, exec, s[42:43]
	s_xor_b64 s[12:13], s[12:13], -1
	s_andn2_b64 s[18:19], s[38:39], exec
	s_and_b64 s[12:13], s[12:13], exec
	s_or_b64 s[38:39], s[18:19], s[12:13]
.LBB755_1238:                           ;   in Loop: Header=BB755_1215 Depth=1
	s_or_b64 exec, exec, s[40:41]
	v_cndmask_b32_e64 v14, v82, v80, s[38:39]
	v_cndmask_b32_e64 v15, v1, v70, s[38:39]
	v_add_u32_e32 v16, 1, v14
	v_add_u32_e32 v14, -1, v15
	v_min_u32_e32 v66, v16, v14
	v_lshl_add_u64 v[14:15], v[66:67], 3, v[10:11]
	flat_load_dwordx2 v[14:15], v[14:15]
	v_cndmask_b32_e64 v20, v16, v82, s[38:39]
	s_mov_b64 s[40:41], -1
	v_cndmask_b32_e64 v21, v80, v16, s[38:39]
	v_cmp_lt_u32_e64 s[12:13], v20, v1
	s_mov_b64 s[42:43], -1
	s_waitcnt vmcnt(0) lgkmcnt(0)
	v_cndmask_b32_e64 v26, v15, v25, s[38:39]
	v_cndmask_b32_e64 v31, v14, v24, s[38:39]
	;; [unrolled: 1-line block ×4, first 2 shown]
	s_and_saveexec_b64 s[44:45], s[12:13]
	s_cbranch_execz .LBB755_1248
; %bb.1239:                             ;   in Loop: Header=BB755_1215 Depth=1
	v_cmp_lt_u32_e64 s[12:13], v21, v70
	s_mov_b64 s[18:19], 0
	s_and_saveexec_b64 s[42:43], s[12:13]
	s_cbranch_execz .LBB755_1247
; %bb.1240:                             ;   in Loop: Header=BB755_1215 Depth=1
	s_mov_b64 s[12:13], 0
	s_and_saveexec_b64 s[46:47], s[16:17]
	s_cbranch_execz .LBB755_1246
; %bb.1241:                             ;   in Loop: Header=BB755_1215 Depth=1
	v_mad_u64_u32 v[14:15], s[12:13], v64, v71, v[8:9]
	v_mul_lo_u32 v16, v64, v27
	v_mul_lo_u32 v17, v65, v71
	v_add3_u32 v15, v17, v15, v16
	v_mad_u64_u32 v[16:17], s[12:13], v64, v31, v[8:9]
	v_mul_lo_u32 v18, v64, v26
	v_mul_lo_u32 v19, v65, v31
	v_add3_u32 v17, v19, v17, v18
	s_mov_b64 s[48:49], 0
	v_mov_b64_e32 v[18:19], v[6:7]
                                        ; implicit-def: $sgpr50_sgpr51
                                        ; implicit-def: $sgpr52_sgpr53
                                        ; implicit-def: $sgpr54_sgpr55
                                        ; implicit-def: $sgpr18_sgpr19
                                        ; implicit-def: $sgpr56_sgpr57
	s_branch .LBB755_1243
.LBB755_1242:                           ;   in Loop: Header=BB755_1243 Depth=2
	s_or_b64 exec, exec, s[58:59]
	s_and_b64 s[12:13], exec, s[52:53]
	s_or_b64 s[48:49], s[12:13], s[48:49]
	s_andn2_b64 s[12:13], s[56:57], exec
	s_and_b64 s[22:23], s[54:55], exec
	s_or_b64 s[56:57], s[12:13], s[22:23]
	s_andn2_b64 s[12:13], s[50:51], exec
	s_and_b64 s[22:23], s[18:19], exec
	s_or_b64 s[50:51], s[12:13], s[22:23]
	s_andn2_b64 exec, exec, s[48:49]
	s_cbranch_execz .LBB755_1245
.LBB755_1243:                           ;   Parent Loop BB755_1215 Depth=1
                                        ; =>  This Inner Loop Header: Depth=2
	flat_load_dwordx2 v[22:23], v[16:17]
	flat_load_dwordx2 v[80:81], v[14:15]
	s_andn2_b64 s[58:59], s[18:19], exec
	s_andn2_b64 s[54:55], s[54:55], exec
	s_or_b64 s[52:53], s[52:53], exec
	s_waitcnt vmcnt(0) lgkmcnt(0)
	v_cmp_ngt_f64_e64 s[18:19], v[22:23], v[80:81]
	v_cmp_lt_f64_e64 s[12:13], v[22:23], v[80:81]
	s_and_b64 s[18:19], s[18:19], s[56:57]
	s_or_b64 s[60:61], s[12:13], s[18:19]
	s_and_b64 s[12:13], s[60:61], exec
	v_cmp_nlg_f64_e64 s[22:23], v[22:23], v[80:81]
	s_or_b64 s[18:19], s[58:59], s[12:13]
	s_and_saveexec_b64 s[58:59], s[22:23]
	s_cbranch_execz .LBB755_1242
; %bb.1244:                             ;   in Loop: Header=BB755_1243 Depth=2
	v_lshl_add_u64 v[18:19], v[18:19], 0, -1
	v_cmp_eq_u64_e64 s[12:13], 0, v[18:19]
	s_andn2_b64 s[22:23], s[54:55], exec
	s_and_b64 s[54:55], s[60:61], exec
	s_or_b64 s[54:55], s[22:23], s[54:55]
	s_andn2_b64 s[22:23], s[52:53], exec
	s_and_b64 s[12:13], s[12:13], exec
	v_lshl_add_u64 v[14:15], v[14:15], 0, 8
	v_lshl_add_u64 v[16:17], v[16:17], 0, 8
	s_andn2_b64 s[18:19], s[18:19], exec
	s_or_b64 s[52:53], s[22:23], s[12:13]
                                        ; implicit-def: $sgpr56_sgpr57
	s_branch .LBB755_1242
.LBB755_1245:                           ;   in Loop: Header=BB755_1215 Depth=1
	s_or_b64 exec, exec, s[48:49]
	s_and_b64 s[12:13], s[50:51], exec
.LBB755_1246:                           ;   in Loop: Header=BB755_1215 Depth=1
	s_or_b64 exec, exec, s[46:47]
	s_xor_b64 s[12:13], s[12:13], -1
	s_and_b64 s[18:19], s[12:13], exec
.LBB755_1247:                           ;   in Loop: Header=BB755_1215 Depth=1
	s_or_b64 exec, exec, s[42:43]
	s_orn2_b64 s[42:43], s[18:19], exec
.LBB755_1248:                           ;   in Loop: Header=BB755_1215 Depth=1
	s_or_b64 exec, exec, s[44:45]
	v_cndmask_b32_e64 v14, v20, v21, s[42:43]
	v_cndmask_b32_e64 v15, v1, v70, s[42:43]
	v_add_u32_e32 v16, 1, v14
	v_add_u32_e32 v14, -1, v15
	v_min_u32_e32 v66, v16, v14
	v_lshl_add_u64 v[14:15], v[66:67], 3, v[10:11]
	flat_load_dwordx2 v[14:15], v[14:15]
	v_cndmask_b32_e64 v20, v16, v20, s[42:43]
	v_cndmask_b32_e64 v21, v21, v16, s[42:43]
	v_cmp_lt_u32_e64 s[12:13], v20, v1
	s_waitcnt vmcnt(0) lgkmcnt(0)
	v_cndmask_b32_e64 v80, v15, v26, s[42:43]
	v_cndmask_b32_e64 v81, v14, v31, s[42:43]
	;; [unrolled: 1-line block ×4, first 2 shown]
	s_and_saveexec_b64 s[44:45], s[12:13]
	s_cbranch_execz .LBB755_1256
; %bb.1249:                             ;   in Loop: Header=BB755_1215 Depth=1
	v_cmp_lt_u32_e64 s[40:41], v21, v70
	s_and_b64 s[12:13], s[40:41], s[28:29]
	s_and_saveexec_b64 s[46:47], s[12:13]
	s_cbranch_execz .LBB755_1255
; %bb.1250:                             ;   in Loop: Header=BB755_1215 Depth=1
	v_mad_u64_u32 v[14:15], s[12:13], v64, v83, v[8:9]
	v_mul_lo_u32 v16, v64, v82
	v_mul_lo_u32 v17, v65, v83
	v_add3_u32 v15, v17, v15, v16
	v_mad_u64_u32 v[16:17], s[12:13], v64, v81, v[8:9]
	v_mul_lo_u32 v18, v64, v80
	v_mul_lo_u32 v19, v65, v81
	v_add3_u32 v17, v19, v17, v18
	s_mov_b64 s[48:49], 0
	v_mov_b64_e32 v[18:19], v[6:7]
                                        ; implicit-def: $sgpr50_sgpr51
                                        ; implicit-def: $sgpr52_sgpr53
                                        ; implicit-def: $sgpr18_sgpr19
                                        ; implicit-def: $sgpr54_sgpr55
                                        ; implicit-def: $sgpr56_sgpr57
	s_branch .LBB755_1252
.LBB755_1251:                           ;   in Loop: Header=BB755_1252 Depth=2
	s_or_b64 exec, exec, s[58:59]
	s_and_b64 s[12:13], exec, s[52:53]
	s_or_b64 s[48:49], s[12:13], s[48:49]
	s_andn2_b64 s[12:13], s[56:57], exec
	s_and_b64 s[22:23], s[54:55], exec
	s_or_b64 s[56:57], s[12:13], s[22:23]
	s_andn2_b64 s[12:13], s[50:51], exec
	s_and_b64 s[22:23], s[18:19], exec
	s_or_b64 s[50:51], s[12:13], s[22:23]
	s_andn2_b64 exec, exec, s[48:49]
	s_cbranch_execz .LBB755_1254
.LBB755_1252:                           ;   Parent Loop BB755_1215 Depth=1
                                        ; =>  This Inner Loop Header: Depth=2
	flat_load_dwordx2 v[22:23], v[16:17]
	flat_load_dwordx2 v[84:85], v[14:15]
	s_andn2_b64 s[58:59], s[18:19], exec
	s_andn2_b64 s[54:55], s[54:55], exec
	s_or_b64 s[52:53], s[52:53], exec
	s_waitcnt vmcnt(0) lgkmcnt(0)
	v_cmp_ngt_f64_e64 s[18:19], v[22:23], v[84:85]
	v_cmp_lt_f64_e64 s[12:13], v[22:23], v[84:85]
	s_and_b64 s[18:19], s[18:19], s[56:57]
	s_or_b64 s[60:61], s[12:13], s[18:19]
	s_and_b64 s[12:13], s[60:61], exec
	v_cmp_nlg_f64_e64 s[22:23], v[22:23], v[84:85]
	s_or_b64 s[18:19], s[58:59], s[12:13]
	s_and_saveexec_b64 s[58:59], s[22:23]
	s_cbranch_execz .LBB755_1251
; %bb.1253:                             ;   in Loop: Header=BB755_1252 Depth=2
	v_lshl_add_u64 v[18:19], v[18:19], 0, -1
	v_cmp_eq_u64_e64 s[12:13], 0, v[18:19]
	s_andn2_b64 s[22:23], s[54:55], exec
	s_and_b64 s[54:55], s[60:61], exec
	s_or_b64 s[54:55], s[22:23], s[54:55]
	s_andn2_b64 s[22:23], s[52:53], exec
	s_and_b64 s[12:13], s[12:13], exec
	v_lshl_add_u64 v[14:15], v[14:15], 0, 8
	v_lshl_add_u64 v[16:17], v[16:17], 0, 8
	s_andn2_b64 s[18:19], s[18:19], exec
	s_or_b64 s[52:53], s[22:23], s[12:13]
                                        ; implicit-def: $sgpr56_sgpr57
	s_branch .LBB755_1251
.LBB755_1254:                           ;   in Loop: Header=BB755_1215 Depth=1
	s_or_b64 exec, exec, s[48:49]
	s_xor_b64 s[12:13], s[50:51], -1
	s_andn2_b64 s[18:19], s[40:41], exec
	s_and_b64 s[12:13], s[12:13], exec
	s_or_b64 s[40:41], s[18:19], s[12:13]
.LBB755_1255:                           ;   in Loop: Header=BB755_1215 Depth=1
	s_or_b64 exec, exec, s[46:47]
	s_orn2_b64 s[40:41], s[40:41], exec
.LBB755_1256:                           ;   in Loop: Header=BB755_1215 Depth=1
	s_or_b64 exec, exec, s[44:45]
	v_cndmask_b32_e64 v14, v20, v21, s[40:41]
	v_cndmask_b32_e64 v15, v1, v70, s[40:41]
	v_add_u32_e32 v16, 1, v14
	v_add_u32_e32 v14, -1, v15
	v_min_u32_e32 v66, v16, v14
	v_lshl_add_u64 v[14:15], v[66:67], 3, v[10:11]
	flat_load_dwordx2 v[14:15], v[14:15]
	v_cndmask_b32_e64 v20, v16, v20, s[40:41]
	s_mov_b64 s[44:45], -1
	v_cndmask_b32_e64 v21, v21, v16, s[40:41]
	v_cmp_lt_u32_e64 s[12:13], v20, v1
	s_mov_b64 s[46:47], -1
	s_waitcnt vmcnt(0) lgkmcnt(0)
	v_cndmask_b32_e64 v22, v15, v80, s[40:41]
	v_cndmask_b32_e64 v84, v14, v81, s[40:41]
	;; [unrolled: 1-line block ×4, first 2 shown]
	s_and_saveexec_b64 s[48:49], s[12:13]
	s_cbranch_execz .LBB755_1264
; %bb.1257:                             ;   in Loop: Header=BB755_1215 Depth=1
	v_cmp_lt_u32_e64 s[46:47], v21, v70
	s_and_b64 s[12:13], s[46:47], s[28:29]
	s_and_saveexec_b64 s[50:51], s[12:13]
	s_cbranch_execz .LBB755_1263
; %bb.1258:                             ;   in Loop: Header=BB755_1215 Depth=1
	v_mad_u64_u32 v[14:15], s[12:13], v64, v85, v[8:9]
	v_mul_lo_u32 v16, v64, v23
	v_mul_lo_u32 v17, v65, v85
	v_add3_u32 v15, v17, v15, v16
	v_mad_u64_u32 v[16:17], s[12:13], v64, v84, v[8:9]
	v_mul_lo_u32 v18, v64, v22
	v_mul_lo_u32 v19, v65, v84
	v_add3_u32 v17, v19, v17, v18
	s_mov_b64 s[52:53], 0
	v_mov_b64_e32 v[18:19], v[6:7]
                                        ; implicit-def: $sgpr54_sgpr55
                                        ; implicit-def: $sgpr56_sgpr57
                                        ; implicit-def: $sgpr18_sgpr19
                                        ; implicit-def: $sgpr58_sgpr59
                                        ; implicit-def: $sgpr60_sgpr61
	s_branch .LBB755_1260
.LBB755_1259:                           ;   in Loop: Header=BB755_1260 Depth=2
	s_or_b64 exec, exec, s[62:63]
	s_and_b64 s[12:13], exec, s[56:57]
	s_or_b64 s[52:53], s[12:13], s[52:53]
	s_andn2_b64 s[12:13], s[60:61], exec
	s_and_b64 s[22:23], s[58:59], exec
	s_or_b64 s[60:61], s[12:13], s[22:23]
	s_andn2_b64 s[12:13], s[54:55], exec
	s_and_b64 s[22:23], s[18:19], exec
	s_or_b64 s[54:55], s[12:13], s[22:23]
	s_andn2_b64 exec, exec, s[52:53]
	s_cbranch_execz .LBB755_1262
.LBB755_1260:                           ;   Parent Loop BB755_1215 Depth=1
                                        ; =>  This Inner Loop Header: Depth=2
	flat_load_dwordx2 v[86:87], v[16:17]
	flat_load_dwordx2 v[96:97], v[14:15]
	s_andn2_b64 s[62:63], s[18:19], exec
	s_andn2_b64 s[58:59], s[58:59], exec
	s_or_b64 s[56:57], s[56:57], exec
	s_waitcnt vmcnt(0) lgkmcnt(0)
	v_cmp_ngt_f64_e64 s[18:19], v[86:87], v[96:97]
	v_cmp_lt_f64_e64 s[12:13], v[86:87], v[96:97]
	s_and_b64 s[18:19], s[18:19], s[60:61]
	s_or_b64 s[64:65], s[12:13], s[18:19]
	s_and_b64 s[12:13], s[64:65], exec
	v_cmp_nlg_f64_e64 s[22:23], v[86:87], v[96:97]
	s_or_b64 s[18:19], s[62:63], s[12:13]
	s_and_saveexec_b64 s[62:63], s[22:23]
	s_cbranch_execz .LBB755_1259
; %bb.1261:                             ;   in Loop: Header=BB755_1260 Depth=2
	v_lshl_add_u64 v[18:19], v[18:19], 0, -1
	v_cmp_eq_u64_e64 s[12:13], 0, v[18:19]
	s_andn2_b64 s[22:23], s[58:59], exec
	s_and_b64 s[58:59], s[64:65], exec
	s_or_b64 s[58:59], s[22:23], s[58:59]
	s_andn2_b64 s[22:23], s[56:57], exec
	s_and_b64 s[12:13], s[12:13], exec
	v_lshl_add_u64 v[14:15], v[14:15], 0, 8
	v_lshl_add_u64 v[16:17], v[16:17], 0, 8
	s_andn2_b64 s[18:19], s[18:19], exec
	s_or_b64 s[56:57], s[22:23], s[12:13]
                                        ; implicit-def: $sgpr60_sgpr61
	s_branch .LBB755_1259
.LBB755_1262:                           ;   in Loop: Header=BB755_1215 Depth=1
	s_or_b64 exec, exec, s[52:53]
	s_xor_b64 s[12:13], s[54:55], -1
	s_andn2_b64 s[18:19], s[46:47], exec
	s_and_b64 s[12:13], s[12:13], exec
	s_or_b64 s[46:47], s[18:19], s[12:13]
.LBB755_1263:                           ;   in Loop: Header=BB755_1215 Depth=1
	s_or_b64 exec, exec, s[50:51]
	s_orn2_b64 s[46:47], s[46:47], exec
.LBB755_1264:                           ;   in Loop: Header=BB755_1215 Depth=1
	s_or_b64 exec, exec, s[48:49]
	v_cndmask_b32_e64 v14, v20, v21, s[46:47]
	v_cndmask_b32_e64 v15, v1, v70, s[46:47]
	v_add_u32_e32 v16, 1, v14
	v_add_u32_e32 v14, -1, v15
	v_min_u32_e32 v66, v16, v14
	v_lshl_add_u64 v[14:15], v[66:67], 3, v[10:11]
	flat_load_dwordx2 v[14:15], v[14:15]
	v_cndmask_b32_e64 v20, v16, v20, s[46:47]
	v_cndmask_b32_e64 v21, v21, v16, s[46:47]
	v_cmp_lt_u32_e64 s[12:13], v20, v1
	s_waitcnt vmcnt(0) lgkmcnt(0)
	v_cndmask_b32_e64 v86, v15, v22, s[46:47]
	v_cndmask_b32_e64 v87, v14, v84, s[46:47]
	;; [unrolled: 1-line block ×4, first 2 shown]
	s_and_saveexec_b64 s[48:49], s[12:13]
	s_cbranch_execz .LBB755_1272
; %bb.1265:                             ;   in Loop: Header=BB755_1215 Depth=1
	v_cmp_lt_u32_e64 s[44:45], v21, v70
	s_and_b64 s[12:13], s[44:45], s[28:29]
	s_and_saveexec_b64 s[50:51], s[12:13]
	s_cbranch_execz .LBB755_1271
; %bb.1266:                             ;   in Loop: Header=BB755_1215 Depth=1
	v_mad_u64_u32 v[14:15], s[12:13], v64, v97, v[8:9]
	v_mul_lo_u32 v16, v64, v96
	v_mul_lo_u32 v17, v65, v97
	v_add3_u32 v15, v17, v15, v16
	v_mad_u64_u32 v[16:17], s[12:13], v64, v87, v[8:9]
	v_mul_lo_u32 v18, v64, v86
	v_mul_lo_u32 v19, v65, v87
	v_add3_u32 v17, v19, v17, v18
	s_mov_b64 s[52:53], 0
	v_mov_b64_e32 v[18:19], v[6:7]
                                        ; implicit-def: $sgpr54_sgpr55
                                        ; implicit-def: $sgpr56_sgpr57
                                        ; implicit-def: $sgpr18_sgpr19
                                        ; implicit-def: $sgpr58_sgpr59
                                        ; implicit-def: $sgpr60_sgpr61
	s_branch .LBB755_1268
.LBB755_1267:                           ;   in Loop: Header=BB755_1268 Depth=2
	s_or_b64 exec, exec, s[62:63]
	s_and_b64 s[12:13], exec, s[56:57]
	s_or_b64 s[52:53], s[12:13], s[52:53]
	s_andn2_b64 s[12:13], s[60:61], exec
	s_and_b64 s[22:23], s[58:59], exec
	s_or_b64 s[60:61], s[12:13], s[22:23]
	s_andn2_b64 s[12:13], s[54:55], exec
	s_and_b64 s[22:23], s[18:19], exec
	s_or_b64 s[54:55], s[12:13], s[22:23]
	s_andn2_b64 exec, exec, s[52:53]
	s_cbranch_execz .LBB755_1270
.LBB755_1268:                           ;   Parent Loop BB755_1215 Depth=1
                                        ; =>  This Inner Loop Header: Depth=2
	flat_load_dwordx2 v[98:99], v[16:17]
	flat_load_dwordx2 v[100:101], v[14:15]
	s_andn2_b64 s[62:63], s[18:19], exec
	s_andn2_b64 s[58:59], s[58:59], exec
	s_or_b64 s[56:57], s[56:57], exec
	s_waitcnt vmcnt(0) lgkmcnt(0)
	v_cmp_ngt_f64_e64 s[18:19], v[98:99], v[100:101]
	v_cmp_lt_f64_e64 s[12:13], v[98:99], v[100:101]
	s_and_b64 s[18:19], s[18:19], s[60:61]
	s_or_b64 s[64:65], s[12:13], s[18:19]
	s_and_b64 s[12:13], s[64:65], exec
	v_cmp_nlg_f64_e64 s[22:23], v[98:99], v[100:101]
	s_or_b64 s[18:19], s[62:63], s[12:13]
	s_and_saveexec_b64 s[62:63], s[22:23]
	s_cbranch_execz .LBB755_1267
; %bb.1269:                             ;   in Loop: Header=BB755_1268 Depth=2
	v_lshl_add_u64 v[18:19], v[18:19], 0, -1
	v_cmp_eq_u64_e64 s[12:13], 0, v[18:19]
	s_andn2_b64 s[22:23], s[58:59], exec
	s_and_b64 s[58:59], s[64:65], exec
	s_or_b64 s[58:59], s[22:23], s[58:59]
	s_andn2_b64 s[22:23], s[56:57], exec
	s_and_b64 s[12:13], s[12:13], exec
	v_lshl_add_u64 v[14:15], v[14:15], 0, 8
	v_lshl_add_u64 v[16:17], v[16:17], 0, 8
	s_andn2_b64 s[18:19], s[18:19], exec
	s_or_b64 s[56:57], s[22:23], s[12:13]
                                        ; implicit-def: $sgpr60_sgpr61
	s_branch .LBB755_1267
.LBB755_1270:                           ;   in Loop: Header=BB755_1215 Depth=1
	s_or_b64 exec, exec, s[52:53]
	s_xor_b64 s[12:13], s[54:55], -1
	s_andn2_b64 s[18:19], s[44:45], exec
	s_and_b64 s[12:13], s[12:13], exec
	s_or_b64 s[44:45], s[18:19], s[12:13]
.LBB755_1271:                           ;   in Loop: Header=BB755_1215 Depth=1
	s_or_b64 exec, exec, s[50:51]
	s_orn2_b64 s[44:45], s[44:45], exec
.LBB755_1272:                           ;   in Loop: Header=BB755_1215 Depth=1
	s_or_b64 exec, exec, s[48:49]
	v_cndmask_b32_e64 v14, v20, v21, s[44:45]
	v_cndmask_b32_e64 v15, v1, v70, s[44:45]
	v_add_u32_e32 v16, 1, v14
	v_add_u32_e32 v14, -1, v15
	v_min_u32_e32 v66, v16, v14
	v_lshl_add_u64 v[14:15], v[66:67], 3, v[10:11]
	flat_load_dwordx2 v[14:15], v[14:15]
	v_cndmask_b32_e64 v20, v16, v20, s[44:45]
	s_mov_b64 s[48:49], -1
	v_cndmask_b32_e64 v21, v21, v16, s[44:45]
	v_cmp_lt_u32_e64 s[12:13], v20, v1
	s_mov_b64 s[50:51], -1
	s_waitcnt vmcnt(0) lgkmcnt(0)
	v_cndmask_b32_e64 v98, v15, v86, s[44:45]
	v_cndmask_b32_e64 v99, v14, v87, s[44:45]
	;; [unrolled: 1-line block ×4, first 2 shown]
	s_and_saveexec_b64 s[52:53], s[12:13]
	s_cbranch_execz .LBB755_1280
; %bb.1273:                             ;   in Loop: Header=BB755_1215 Depth=1
	v_cmp_lt_u32_e64 s[50:51], v21, v70
	s_and_b64 s[12:13], s[50:51], s[28:29]
	s_and_saveexec_b64 s[54:55], s[12:13]
	s_cbranch_execz .LBB755_1279
; %bb.1274:                             ;   in Loop: Header=BB755_1215 Depth=1
	v_mad_u64_u32 v[14:15], s[12:13], v64, v101, v[8:9]
	v_mul_lo_u32 v16, v64, v100
	v_mul_lo_u32 v17, v65, v101
	v_add3_u32 v15, v17, v15, v16
	v_mad_u64_u32 v[16:17], s[12:13], v64, v99, v[8:9]
	v_mul_lo_u32 v18, v64, v98
	v_mul_lo_u32 v19, v65, v99
	v_add3_u32 v17, v19, v17, v18
	s_mov_b64 s[56:57], 0
	v_mov_b64_e32 v[18:19], v[6:7]
                                        ; implicit-def: $sgpr58_sgpr59
                                        ; implicit-def: $sgpr60_sgpr61
                                        ; implicit-def: $sgpr18_sgpr19
                                        ; implicit-def: $sgpr62_sgpr63
                                        ; implicit-def: $sgpr64_sgpr65
	s_branch .LBB755_1276
.LBB755_1275:                           ;   in Loop: Header=BB755_1276 Depth=2
	s_or_b64 exec, exec, s[66:67]
	s_and_b64 s[12:13], exec, s[60:61]
	s_or_b64 s[56:57], s[12:13], s[56:57]
	s_andn2_b64 s[12:13], s[64:65], exec
	s_and_b64 s[22:23], s[62:63], exec
	s_or_b64 s[64:65], s[12:13], s[22:23]
	s_andn2_b64 s[12:13], s[58:59], exec
	s_and_b64 s[22:23], s[18:19], exec
	s_or_b64 s[58:59], s[12:13], s[22:23]
	s_andn2_b64 exec, exec, s[56:57]
	s_cbranch_execz .LBB755_1278
.LBB755_1276:                           ;   Parent Loop BB755_1215 Depth=1
                                        ; =>  This Inner Loop Header: Depth=2
	flat_load_dwordx2 v[102:103], v[16:17]
	flat_load_dwordx2 v[112:113], v[14:15]
	s_andn2_b64 s[66:67], s[18:19], exec
	s_andn2_b64 s[62:63], s[62:63], exec
	s_or_b64 s[60:61], s[60:61], exec
	s_waitcnt vmcnt(0) lgkmcnt(0)
	v_cmp_ngt_f64_e64 s[18:19], v[102:103], v[112:113]
	v_cmp_lt_f64_e64 s[12:13], v[102:103], v[112:113]
	s_and_b64 s[18:19], s[18:19], s[64:65]
	s_or_b64 s[68:69], s[12:13], s[18:19]
	s_and_b64 s[12:13], s[68:69], exec
	v_cmp_nlg_f64_e64 s[22:23], v[102:103], v[112:113]
	s_or_b64 s[18:19], s[66:67], s[12:13]
	s_and_saveexec_b64 s[66:67], s[22:23]
	s_cbranch_execz .LBB755_1275
; %bb.1277:                             ;   in Loop: Header=BB755_1276 Depth=2
	v_lshl_add_u64 v[18:19], v[18:19], 0, -1
	v_cmp_eq_u64_e64 s[12:13], 0, v[18:19]
	s_andn2_b64 s[22:23], s[62:63], exec
	s_and_b64 s[62:63], s[68:69], exec
	s_or_b64 s[62:63], s[22:23], s[62:63]
	s_andn2_b64 s[22:23], s[60:61], exec
	s_and_b64 s[12:13], s[12:13], exec
	v_lshl_add_u64 v[14:15], v[14:15], 0, 8
	v_lshl_add_u64 v[16:17], v[16:17], 0, 8
	s_andn2_b64 s[18:19], s[18:19], exec
	s_or_b64 s[60:61], s[22:23], s[12:13]
                                        ; implicit-def: $sgpr64_sgpr65
	s_branch .LBB755_1275
.LBB755_1278:                           ;   in Loop: Header=BB755_1215 Depth=1
	s_or_b64 exec, exec, s[56:57]
	s_xor_b64 s[12:13], s[58:59], -1
	s_andn2_b64 s[18:19], s[50:51], exec
	s_and_b64 s[12:13], s[12:13], exec
	s_or_b64 s[50:51], s[18:19], s[12:13]
.LBB755_1279:                           ;   in Loop: Header=BB755_1215 Depth=1
	s_or_b64 exec, exec, s[54:55]
	s_orn2_b64 s[50:51], s[50:51], exec
.LBB755_1280:                           ;   in Loop: Header=BB755_1215 Depth=1
	s_or_b64 exec, exec, s[52:53]
	v_cndmask_b32_e64 v14, v20, v21, s[50:51]
	v_cndmask_b32_e64 v15, v1, v70, s[50:51]
	v_add_u32_e32 v16, 1, v14
	v_add_u32_e32 v14, -1, v15
	v_min_u32_e32 v66, v16, v14
	v_lshl_add_u64 v[14:15], v[66:67], 3, v[10:11]
	flat_load_dwordx2 v[14:15], v[14:15]
	v_cndmask_b32_e64 v114, v16, v20, s[50:51]
	v_cndmask_b32_e64 v20, v21, v16, s[50:51]
	v_cmp_lt_u32_e64 s[12:13], v114, v1
	s_waitcnt vmcnt(0) lgkmcnt(0)
	v_cndmask_b32_e64 v102, v15, v98, s[50:51]
	v_cndmask_b32_e64 v103, v14, v99, s[50:51]
	;; [unrolled: 1-line block ×4, first 2 shown]
	s_and_saveexec_b64 s[52:53], s[12:13]
	s_cbranch_execz .LBB755_1288
; %bb.1281:                             ;   in Loop: Header=BB755_1215 Depth=1
	v_cmp_lt_u32_e64 s[48:49], v20, v70
	s_and_b64 s[12:13], s[48:49], s[28:29]
	s_and_saveexec_b64 s[54:55], s[12:13]
	s_cbranch_execz .LBB755_1287
; %bb.1282:                             ;   in Loop: Header=BB755_1215 Depth=1
	v_mad_u64_u32 v[14:15], s[12:13], v64, v113, v[8:9]
	v_mul_lo_u32 v16, v64, v112
	v_mul_lo_u32 v17, v65, v113
	v_add3_u32 v15, v17, v15, v16
	v_mad_u64_u32 v[16:17], s[12:13], v64, v103, v[8:9]
	v_mul_lo_u32 v18, v64, v102
	v_mul_lo_u32 v19, v65, v103
	v_add3_u32 v17, v19, v17, v18
	s_mov_b64 s[56:57], 0
	v_mov_b64_e32 v[18:19], v[6:7]
                                        ; implicit-def: $sgpr58_sgpr59
                                        ; implicit-def: $sgpr60_sgpr61
                                        ; implicit-def: $sgpr18_sgpr19
                                        ; implicit-def: $sgpr62_sgpr63
                                        ; implicit-def: $sgpr64_sgpr65
	s_branch .LBB755_1284
.LBB755_1283:                           ;   in Loop: Header=BB755_1284 Depth=2
	s_or_b64 exec, exec, s[66:67]
	s_and_b64 s[12:13], exec, s[60:61]
	s_or_b64 s[56:57], s[12:13], s[56:57]
	s_andn2_b64 s[12:13], s[64:65], exec
	s_and_b64 s[22:23], s[62:63], exec
	s_or_b64 s[64:65], s[12:13], s[22:23]
	s_andn2_b64 s[12:13], s[58:59], exec
	s_and_b64 s[22:23], s[18:19], exec
	s_or_b64 s[58:59], s[12:13], s[22:23]
	s_andn2_b64 exec, exec, s[56:57]
	s_cbranch_execz .LBB755_1286
.LBB755_1284:                           ;   Parent Loop BB755_1215 Depth=1
                                        ; =>  This Inner Loop Header: Depth=2
	flat_load_dwordx2 v[116:117], v[16:17]
	flat_load_dwordx2 v[118:119], v[14:15]
	s_andn2_b64 s[66:67], s[18:19], exec
	s_andn2_b64 s[62:63], s[62:63], exec
	s_or_b64 s[60:61], s[60:61], exec
	s_waitcnt vmcnt(0) lgkmcnt(0)
	v_cmp_ngt_f64_e64 s[18:19], v[116:117], v[118:119]
	v_cmp_lt_f64_e64 s[12:13], v[116:117], v[118:119]
	s_and_b64 s[18:19], s[18:19], s[64:65]
	s_or_b64 s[68:69], s[12:13], s[18:19]
	s_and_b64 s[12:13], s[68:69], exec
	v_cmp_nlg_f64_e64 s[22:23], v[116:117], v[118:119]
	s_or_b64 s[18:19], s[66:67], s[12:13]
	s_and_saveexec_b64 s[66:67], s[22:23]
	s_cbranch_execz .LBB755_1283
; %bb.1285:                             ;   in Loop: Header=BB755_1284 Depth=2
	v_lshl_add_u64 v[18:19], v[18:19], 0, -1
	v_cmp_eq_u64_e64 s[12:13], 0, v[18:19]
	s_andn2_b64 s[22:23], s[62:63], exec
	s_and_b64 s[62:63], s[68:69], exec
	s_or_b64 s[62:63], s[22:23], s[62:63]
	s_andn2_b64 s[22:23], s[60:61], exec
	s_and_b64 s[12:13], s[12:13], exec
	v_lshl_add_u64 v[14:15], v[14:15], 0, 8
	v_lshl_add_u64 v[16:17], v[16:17], 0, 8
	s_andn2_b64 s[18:19], s[18:19], exec
	s_or_b64 s[60:61], s[22:23], s[12:13]
                                        ; implicit-def: $sgpr64_sgpr65
	s_branch .LBB755_1283
.LBB755_1286:                           ;   in Loop: Header=BB755_1215 Depth=1
	s_or_b64 exec, exec, s[56:57]
	s_xor_b64 s[12:13], s[58:59], -1
	s_andn2_b64 s[18:19], s[48:49], exec
	s_and_b64 s[12:13], s[12:13], exec
	s_or_b64 s[48:49], s[18:19], s[12:13]
.LBB755_1287:                           ;   in Loop: Header=BB755_1215 Depth=1
	s_or_b64 exec, exec, s[54:55]
	s_orn2_b64 s[48:49], s[48:49], exec
.LBB755_1288:                           ;   in Loop: Header=BB755_1215 Depth=1
	s_or_b64 exec, exec, s[52:53]
	v_cndmask_b32_e64 v14, v114, v20, s[48:49]
	v_cndmask_b32_e64 v15, v1, v70, s[48:49]
	v_add_u32_e32 v18, 1, v14
	v_add_u32_e32 v14, -1, v15
	v_min_u32_e32 v66, v18, v14
	v_lshl_add_u64 v[14:15], v[66:67], 3, v[10:11]
	flat_load_dwordx2 v[16:17], v[14:15]
	v_cndmask_b32_e64 v19, v18, v114, s[48:49]
	v_cmp_lt_u32_e64 s[12:13], v19, v1
	s_waitcnt vmcnt(0) lgkmcnt(0)
	v_cndmask_b32_e64 v15, v112, v17, s[48:49]
	v_cndmask_b32_e64 v14, v113, v16, s[48:49]
	s_and_saveexec_b64 s[52:53], s[12:13]
	s_cbranch_execz .LBB755_1213
; %bb.1289:                             ;   in Loop: Header=BB755_1215 Depth=1
	v_cndmask_b32_e64 v66, v16, v103, s[48:49]
	v_cndmask_b32_e64 v16, v20, v18, s[48:49]
	v_cmp_ge_u32_e64 s[12:13], v16, v70
	v_cndmask_b32_e64 v1, v17, v102, s[48:49]
	s_or_b64 s[18:19], s[12:13], s[8:9]
	v_cndmask_b32_e64 v17, v15, v1, s[12:13]
	s_xor_b64 s[18:19], s[18:19], -1
	v_cndmask_b32_e64 v16, v14, v66, s[12:13]
	s_and_saveexec_b64 s[54:55], s[18:19]
	s_cbranch_execz .LBB755_1212
; %bb.1290:                             ;   in Loop: Header=BB755_1215 Depth=1
	v_mad_u64_u32 v[16:17], s[12:13], v64, v14, v[8:9]
	v_mul_lo_u32 v18, v64, v15
	v_mul_lo_u32 v19, v65, v14
	v_add3_u32 v17, v19, v17, v18
	v_mad_u64_u32 v[18:19], s[12:13], v64, v66, v[8:9]
	v_mul_lo_u32 v20, v64, v1
	v_mul_lo_u32 v21, v65, v66
	v_add3_u32 v19, v21, v19, v20
	s_mov_b64 s[56:57], 0
	v_mov_b64_e32 v[20:21], v[6:7]
                                        ; implicit-def: $sgpr58_sgpr59
                                        ; implicit-def: $sgpr60_sgpr61
                                        ; implicit-def: $sgpr18_sgpr19
                                        ; implicit-def: $sgpr62_sgpr63
                                        ; implicit-def: $sgpr64_sgpr65
	s_branch .LBB755_1292
.LBB755_1291:                           ;   in Loop: Header=BB755_1292 Depth=2
	s_or_b64 exec, exec, s[66:67]
	s_and_b64 s[12:13], exec, s[60:61]
	s_or_b64 s[56:57], s[12:13], s[56:57]
	s_andn2_b64 s[12:13], s[64:65], exec
	s_and_b64 s[22:23], s[62:63], exec
	s_or_b64 s[64:65], s[12:13], s[22:23]
	s_andn2_b64 s[12:13], s[58:59], exec
	s_and_b64 s[22:23], s[18:19], exec
	s_or_b64 s[58:59], s[12:13], s[22:23]
	s_andn2_b64 exec, exec, s[56:57]
	s_cbranch_execz .LBB755_1211
.LBB755_1292:                           ;   Parent Loop BB755_1215 Depth=1
                                        ; =>  This Inner Loop Header: Depth=2
	flat_load_dwordx2 v[114:115], v[18:19]
	flat_load_dwordx2 v[116:117], v[16:17]
	s_andn2_b64 s[66:67], s[18:19], exec
	s_andn2_b64 s[62:63], s[62:63], exec
	s_or_b64 s[60:61], s[60:61], exec
	s_waitcnt vmcnt(0) lgkmcnt(0)
	v_cmp_ngt_f64_e64 s[18:19], v[114:115], v[116:117]
	v_cmp_lt_f64_e64 s[12:13], v[114:115], v[116:117]
	s_and_b64 s[18:19], s[18:19], s[64:65]
	s_or_b64 s[68:69], s[12:13], s[18:19]
	s_and_b64 s[12:13], s[68:69], exec
	v_cmp_nlg_f64_e64 s[22:23], v[114:115], v[116:117]
	s_or_b64 s[18:19], s[66:67], s[12:13]
	s_and_saveexec_b64 s[66:67], s[22:23]
	s_cbranch_execz .LBB755_1291
; %bb.1293:                             ;   in Loop: Header=BB755_1292 Depth=2
	v_lshl_add_u64 v[20:21], v[20:21], 0, -1
	v_cmp_eq_u64_e64 s[12:13], 0, v[20:21]
	s_andn2_b64 s[22:23], s[62:63], exec
	s_and_b64 s[62:63], s[68:69], exec
	s_or_b64 s[62:63], s[22:23], s[62:63]
	s_andn2_b64 s[22:23], s[60:61], exec
	s_and_b64 s[12:13], s[12:13], exec
	v_lshl_add_u64 v[16:17], v[16:17], 0, 8
	v_lshl_add_u64 v[18:19], v[18:19], 0, 8
	s_andn2_b64 s[18:19], s[18:19], exec
	s_or_b64 s[60:61], s[22:23], s[12:13]
                                        ; implicit-def: $sgpr64_sgpr65
	s_branch .LBB755_1291
.LBB755_1294:
	s_or_b64 exec, exec, s[34:35]
.LBB755_1295:
	s_or_b64 exec, exec, s[30:31]
	s_barrier
	flat_store_dwordx4 v[54:55], v[24:27]
	flat_store_dwordx4 v[54:55], v[20:23] offset:16
	flat_store_dwordx4 v[54:55], v[16:19] offset:32
	;; [unrolled: 1-line block ×3, first 2 shown]
	s_waitcnt lgkmcnt(0)
	s_barrier
	flat_load_dwordx2 v[18:19], v[32:33] offset:2048
	flat_load_dwordx2 v[16:17], v[34:35]
	flat_load_dwordx2 v[14:15], v[36:37]
	;; [unrolled: 1-line block ×6, first 2 shown]
	v_mov_b32_e32 v31, 0
	v_lshl_add_u64 v[8:9], v[4:5], 0, v[30:31]
	s_and_saveexec_b64 s[8:9], vcc
	s_cbranch_execnz .LBB755_1304
; %bb.1296:
	s_or_b64 exec, exec, s[8:9]
	s_and_saveexec_b64 s[8:9], s[0:1]
	s_cbranch_execnz .LBB755_1305
.LBB755_1297:
	s_or_b64 exec, exec, s[8:9]
	s_and_saveexec_b64 s[0:1], s[2:3]
	s_cbranch_execnz .LBB755_1306
.LBB755_1298:
	s_or_b64 exec, exec, s[0:1]
	s_and_saveexec_b64 s[0:1], s[4:5]
	s_cbranch_execnz .LBB755_1307
.LBB755_1299:
	s_or_b64 exec, exec, s[0:1]
	s_and_saveexec_b64 s[0:1], s[6:7]
	s_cbranch_execnz .LBB755_1308
.LBB755_1300:
	s_or_b64 exec, exec, s[0:1]
	s_and_saveexec_b64 s[0:1], s[10:11]
	s_cbranch_execnz .LBB755_1309
.LBB755_1301:
	s_or_b64 exec, exec, s[0:1]
	s_and_saveexec_b64 s[0:1], s[20:21]
	s_cbranch_execz .LBB755_1303
.LBB755_1302:
	v_add_co_u32_e32 v2, vcc, 0x3000, v8
	s_nop 1
	v_addc_co_u32_e32 v3, vcc, 0, v9, vcc
	s_waitcnt vmcnt(0) lgkmcnt(0)
	flat_store_dwordx2 v[2:3], v[0:1]
.LBB755_1303:
	s_or_b64 exec, exec, s[0:1]
	s_andn2_b64 s[0:1], s[24:25], exec
	s_and_b64 s[2:3], s[14:15], exec
	s_or_b64 s[24:25], s[0:1], s[2:3]
	s_or_b64 exec, exec, s[26:27]
	s_and_saveexec_b64 s[0:1], s[24:25]
	s_cbranch_execnz .LBB755_3
	s_branch .LBB755_4
.LBB755_1304:
	flat_load_dwordx2 v[2:3], v[2:3]
	s_waitcnt vmcnt(0) lgkmcnt(0)
	flat_store_dwordx2 v[8:9], v[2:3]
	s_or_b64 exec, exec, s[8:9]
	s_and_saveexec_b64 s[8:9], s[0:1]
	s_cbranch_execz .LBB755_1297
.LBB755_1305:
	s_waitcnt vmcnt(0) lgkmcnt(0)
	flat_store_dwordx2 v[8:9], v[18:19] offset:2048
	s_or_b64 exec, exec, s[8:9]
	s_and_saveexec_b64 s[0:1], s[2:3]
	s_cbranch_execz .LBB755_1298
.LBB755_1306:
	v_add_co_u32_e32 v2, vcc, 0x1000, v8
	s_nop 1
	v_addc_co_u32_e32 v3, vcc, 0, v9, vcc
	s_waitcnt vmcnt(0) lgkmcnt(0)
	flat_store_dwordx2 v[2:3], v[16:17]
	s_or_b64 exec, exec, s[0:1]
	s_and_saveexec_b64 s[0:1], s[4:5]
	s_cbranch_execz .LBB755_1299
.LBB755_1307:
	v_add_co_u32_e32 v2, vcc, 0x1000, v8
	s_nop 1
	v_addc_co_u32_e32 v3, vcc, 0, v9, vcc
	s_waitcnt vmcnt(0) lgkmcnt(0)
	flat_store_dwordx2 v[2:3], v[14:15] offset:2048
	s_or_b64 exec, exec, s[0:1]
	s_and_saveexec_b64 s[0:1], s[6:7]
	s_cbranch_execz .LBB755_1300
.LBB755_1308:
	v_add_co_u32_e32 v2, vcc, 0x2000, v8
	s_nop 1
	v_addc_co_u32_e32 v3, vcc, 0, v9, vcc
	s_waitcnt vmcnt(0) lgkmcnt(0)
	flat_store_dwordx2 v[2:3], v[10:11]
	s_or_b64 exec, exec, s[0:1]
	s_and_saveexec_b64 s[0:1], s[10:11]
	s_cbranch_execz .LBB755_1301
.LBB755_1309:
	v_add_co_u32_e32 v2, vcc, 0x2000, v8
	s_nop 1
	v_addc_co_u32_e32 v3, vcc, 0, v9, vcc
	s_waitcnt vmcnt(0) lgkmcnt(0)
	flat_store_dwordx2 v[2:3], v[6:7] offset:2048
	s_or_b64 exec, exec, s[0:1]
	s_and_saveexec_b64 s[0:1], s[20:21]
	s_cbranch_execnz .LBB755_1302
	s_branch .LBB755_1303
.Lfunc_end755:
	.size	_ZN7rocprim17ROCPRIM_400000_NS6detail15block_sort_implIlNS0_10empty_typeELj256ELj8ELNS0_4arch9wavefront6targetE1EvE4sortIPlS9_PS3_SA_ZN2at6native12_GLOBAL__N_124unique_dim_cuda_templateIdEESt5tupleIJNSB_6TensorESG_SG_EERKSG_lbbbEUlllE_EEvjbT_T0_T1_T2_T3_RNS7_12storage_typeE, .Lfunc_end755-_ZN7rocprim17ROCPRIM_400000_NS6detail15block_sort_implIlNS0_10empty_typeELj256ELj8ELNS0_4arch9wavefront6targetE1EvE4sortIPlS9_PS3_SA_ZN2at6native12_GLOBAL__N_124unique_dim_cuda_templateIdEESt5tupleIJNSB_6TensorESG_SG_EERKSG_lbbbEUlllE_EEvjbT_T0_T1_T2_T3_RNS7_12storage_typeE
                                        ; -- End function
	.section	.AMDGPU.csdata,"",@progbits
; Function info:
; codeLenInByte = 66276
; NumSgprs: 77
; NumVgprs: 129
; NumAgprs: 0
; TotalNumVgprs: 129
; ScratchSize: 8
; MemoryBound: 1
	.section	.text._ZN7rocprim17ROCPRIM_400000_NS6detail17trampoline_kernelINS0_14default_configENS1_37merge_sort_block_sort_config_selectorIlNS0_10empty_typeEEEZNS1_21merge_sort_block_sortIS3_PlS8_PS5_S9_ZN2at6native12_GLOBAL__N_124unique_dim_cuda_templateIdEESt5tupleIJNSA_6TensorESF_SF_EERKSF_lbbbEUlllE_EE10hipError_tT0_T1_T2_T3_mRjT4_P12ihipStream_tbNS1_7vsmem_tEEUlT_E_NS1_11comp_targetILNS1_3genE5ELNS1_11target_archE942ELNS1_3gpuE9ELNS1_3repE0EEENS1_30default_config_static_selectorELNS0_4arch9wavefront6targetE1EEEvSM_,"axG",@progbits,_ZN7rocprim17ROCPRIM_400000_NS6detail17trampoline_kernelINS0_14default_configENS1_37merge_sort_block_sort_config_selectorIlNS0_10empty_typeEEEZNS1_21merge_sort_block_sortIS3_PlS8_PS5_S9_ZN2at6native12_GLOBAL__N_124unique_dim_cuda_templateIdEESt5tupleIJNSA_6TensorESF_SF_EERKSF_lbbbEUlllE_EE10hipError_tT0_T1_T2_T3_mRjT4_P12ihipStream_tbNS1_7vsmem_tEEUlT_E_NS1_11comp_targetILNS1_3genE5ELNS1_11target_archE942ELNS1_3gpuE9ELNS1_3repE0EEENS1_30default_config_static_selectorELNS0_4arch9wavefront6targetE1EEEvSM_,comdat
	.globl	_ZN7rocprim17ROCPRIM_400000_NS6detail17trampoline_kernelINS0_14default_configENS1_37merge_sort_block_sort_config_selectorIlNS0_10empty_typeEEEZNS1_21merge_sort_block_sortIS3_PlS8_PS5_S9_ZN2at6native12_GLOBAL__N_124unique_dim_cuda_templateIdEESt5tupleIJNSA_6TensorESF_SF_EERKSF_lbbbEUlllE_EE10hipError_tT0_T1_T2_T3_mRjT4_P12ihipStream_tbNS1_7vsmem_tEEUlT_E_NS1_11comp_targetILNS1_3genE5ELNS1_11target_archE942ELNS1_3gpuE9ELNS1_3repE0EEENS1_30default_config_static_selectorELNS0_4arch9wavefront6targetE1EEEvSM_ ; -- Begin function _ZN7rocprim17ROCPRIM_400000_NS6detail17trampoline_kernelINS0_14default_configENS1_37merge_sort_block_sort_config_selectorIlNS0_10empty_typeEEEZNS1_21merge_sort_block_sortIS3_PlS8_PS5_S9_ZN2at6native12_GLOBAL__N_124unique_dim_cuda_templateIdEESt5tupleIJNSA_6TensorESF_SF_EERKSF_lbbbEUlllE_EE10hipError_tT0_T1_T2_T3_mRjT4_P12ihipStream_tbNS1_7vsmem_tEEUlT_E_NS1_11comp_targetILNS1_3genE5ELNS1_11target_archE942ELNS1_3gpuE9ELNS1_3repE0EEENS1_30default_config_static_selectorELNS0_4arch9wavefront6targetE1EEEvSM_
	.p2align	8
	.type	_ZN7rocprim17ROCPRIM_400000_NS6detail17trampoline_kernelINS0_14default_configENS1_37merge_sort_block_sort_config_selectorIlNS0_10empty_typeEEEZNS1_21merge_sort_block_sortIS3_PlS8_PS5_S9_ZN2at6native12_GLOBAL__N_124unique_dim_cuda_templateIdEESt5tupleIJNSA_6TensorESF_SF_EERKSF_lbbbEUlllE_EE10hipError_tT0_T1_T2_T3_mRjT4_P12ihipStream_tbNS1_7vsmem_tEEUlT_E_NS1_11comp_targetILNS1_3genE5ELNS1_11target_archE942ELNS1_3gpuE9ELNS1_3repE0EEENS1_30default_config_static_selectorELNS0_4arch9wavefront6targetE1EEEvSM_,@function
_ZN7rocprim17ROCPRIM_400000_NS6detail17trampoline_kernelINS0_14default_configENS1_37merge_sort_block_sort_config_selectorIlNS0_10empty_typeEEEZNS1_21merge_sort_block_sortIS3_PlS8_PS5_S9_ZN2at6native12_GLOBAL__N_124unique_dim_cuda_templateIdEESt5tupleIJNSA_6TensorESF_SF_EERKSF_lbbbEUlllE_EE10hipError_tT0_T1_T2_T3_mRjT4_P12ihipStream_tbNS1_7vsmem_tEEUlT_E_NS1_11comp_targetILNS1_3genE5ELNS1_11target_archE942ELNS1_3gpuE9ELNS1_3repE0EEENS1_30default_config_static_selectorELNS0_4arch9wavefront6targetE1EEEvSM_: ; @_ZN7rocprim17ROCPRIM_400000_NS6detail17trampoline_kernelINS0_14default_configENS1_37merge_sort_block_sort_config_selectorIlNS0_10empty_typeEEEZNS1_21merge_sort_block_sortIS3_PlS8_PS5_S9_ZN2at6native12_GLOBAL__N_124unique_dim_cuda_templateIdEESt5tupleIJNSA_6TensorESF_SF_EERKSF_lbbbEUlllE_EE10hipError_tT0_T1_T2_T3_mRjT4_P12ihipStream_tbNS1_7vsmem_tEEUlT_E_NS1_11comp_targetILNS1_3genE5ELNS1_11target_archE942ELNS1_3gpuE9ELNS1_3repE0EEENS1_30default_config_static_selectorELNS0_4arch9wavefront6targetE1EEEvSM_
; %bb.0:
	s_load_dwordx2 s[6:7], s[0:1], 0x48
	s_load_dword s5, s[0:1], 0x0
	s_mov_b32 s32, 0
	s_waitcnt lgkmcnt(0)
	s_mul_i32 s4, s7, s4
	s_add_i32 s4, s4, s3
	s_mul_i32 s4, s4, s6
	s_add_i32 s4, s4, s2
	s_cmp_ge_u32 s4, s5
	s_cbranch_scc1 .LBB756_2
; %bb.1:
	s_load_dwordx4 s[8:11], s[0:1], 0x18
	s_load_dwordx2 s[6:7], s[0:1], 0x8
	s_load_dwordx4 s[16:19], s[0:1], 0x38
	s_mov_b32 s5, 0
	s_lshl_b64 s[12:13], s[4:5], 14
	s_waitcnt lgkmcnt(0)
	s_add_u32 s10, s10, s12
	s_addc_u32 s11, s11, s13
	s_add_u32 s14, s8, s12
	s_addc_u32 s15, s9, s13
	s_lshr_b64 s[8:9], s[6:7], 11
	s_cmp_eq_u64 s[8:9], s[4:5]
	s_cselect_b64 s[8:9], -1, 0
	s_lshl_b32 s4, s4, 11
	s_sub_i32 s6, s6, s4
	v_cndmask_b32_e64 v1, 0, 1, s[8:9]
	s_add_u32 s8, s0, 0x48
	s_addc_u32 s9, s1, 0
	s_mov_b64 s[0:1], src_shared_base
	s_mov_b32 s12, s2
	s_mov_b32 s13, s3
	v_mov_b32_e32 v31, v0
	v_mov_b32_e32 v0, s6
	;; [unrolled: 1-line block ×12, first 2 shown]
	s_getpc_b64 s[4:5]
	s_add_u32 s4, s4, _ZN7rocprim17ROCPRIM_400000_NS6detail15block_sort_implIlNS0_10empty_typeELj256ELj8ELNS0_4arch9wavefront6targetE1EvE4sortIPlS9_PS3_SA_ZN2at6native12_GLOBAL__N_124unique_dim_cuda_templateIdEESt5tupleIJNSB_6TensorESG_SG_EERKSG_lbbbEUlllE_EEvjbT_T0_T1_T2_T3_RNS7_12storage_typeE@rel32@lo+4
	s_addc_u32 s5, s5, _ZN7rocprim17ROCPRIM_400000_NS6detail15block_sort_implIlNS0_10empty_typeELj256ELj8ELNS0_4arch9wavefront6targetE1EvE4sortIPlS9_PS3_SA_ZN2at6native12_GLOBAL__N_124unique_dim_cuda_templateIdEESt5tupleIJNSB_6TensorESG_SG_EERKSG_lbbbEUlllE_EEvjbT_T0_T1_T2_T3_RNS7_12storage_typeE@rel32@hi+12
	s_swappc_b64 s[30:31], s[4:5]
.LBB756_2:
	s_endpgm
	.section	.rodata,"a",@progbits
	.p2align	6, 0x0
	.amdhsa_kernel _ZN7rocprim17ROCPRIM_400000_NS6detail17trampoline_kernelINS0_14default_configENS1_37merge_sort_block_sort_config_selectorIlNS0_10empty_typeEEEZNS1_21merge_sort_block_sortIS3_PlS8_PS5_S9_ZN2at6native12_GLOBAL__N_124unique_dim_cuda_templateIdEESt5tupleIJNSA_6TensorESF_SF_EERKSF_lbbbEUlllE_EE10hipError_tT0_T1_T2_T3_mRjT4_P12ihipStream_tbNS1_7vsmem_tEEUlT_E_NS1_11comp_targetILNS1_3genE5ELNS1_11target_archE942ELNS1_3gpuE9ELNS1_3repE0EEENS1_30default_config_static_selectorELNS0_4arch9wavefront6targetE1EEEvSM_
		.amdhsa_group_segment_fixed_size 16896
		.amdhsa_private_segment_fixed_size 8
		.amdhsa_kernarg_size 328
		.amdhsa_user_sgpr_count 2
		.amdhsa_user_sgpr_dispatch_ptr 0
		.amdhsa_user_sgpr_queue_ptr 0
		.amdhsa_user_sgpr_kernarg_segment_ptr 1
		.amdhsa_user_sgpr_dispatch_id 0
		.amdhsa_user_sgpr_kernarg_preload_length 0
		.amdhsa_user_sgpr_kernarg_preload_offset 0
		.amdhsa_user_sgpr_private_segment_size 0
		.amdhsa_uses_dynamic_stack 0
		.amdhsa_enable_private_segment 1
		.amdhsa_system_sgpr_workgroup_id_x 1
		.amdhsa_system_sgpr_workgroup_id_y 1
		.amdhsa_system_sgpr_workgroup_id_z 1
		.amdhsa_system_sgpr_workgroup_info 0
		.amdhsa_system_vgpr_workitem_id 2
		.amdhsa_next_free_vgpr 129
		.amdhsa_next_free_sgpr 71
		.amdhsa_accum_offset 132
		.amdhsa_reserve_vcc 1
		.amdhsa_float_round_mode_32 0
		.amdhsa_float_round_mode_16_64 0
		.amdhsa_float_denorm_mode_32 3
		.amdhsa_float_denorm_mode_16_64 3
		.amdhsa_dx10_clamp 1
		.amdhsa_ieee_mode 1
		.amdhsa_fp16_overflow 0
		.amdhsa_tg_split 0
		.amdhsa_exception_fp_ieee_invalid_op 0
		.amdhsa_exception_fp_denorm_src 0
		.amdhsa_exception_fp_ieee_div_zero 0
		.amdhsa_exception_fp_ieee_overflow 0
		.amdhsa_exception_fp_ieee_underflow 0
		.amdhsa_exception_fp_ieee_inexact 0
		.amdhsa_exception_int_div_zero 0
	.end_amdhsa_kernel
	.section	.text._ZN7rocprim17ROCPRIM_400000_NS6detail17trampoline_kernelINS0_14default_configENS1_37merge_sort_block_sort_config_selectorIlNS0_10empty_typeEEEZNS1_21merge_sort_block_sortIS3_PlS8_PS5_S9_ZN2at6native12_GLOBAL__N_124unique_dim_cuda_templateIdEESt5tupleIJNSA_6TensorESF_SF_EERKSF_lbbbEUlllE_EE10hipError_tT0_T1_T2_T3_mRjT4_P12ihipStream_tbNS1_7vsmem_tEEUlT_E_NS1_11comp_targetILNS1_3genE5ELNS1_11target_archE942ELNS1_3gpuE9ELNS1_3repE0EEENS1_30default_config_static_selectorELNS0_4arch9wavefront6targetE1EEEvSM_,"axG",@progbits,_ZN7rocprim17ROCPRIM_400000_NS6detail17trampoline_kernelINS0_14default_configENS1_37merge_sort_block_sort_config_selectorIlNS0_10empty_typeEEEZNS1_21merge_sort_block_sortIS3_PlS8_PS5_S9_ZN2at6native12_GLOBAL__N_124unique_dim_cuda_templateIdEESt5tupleIJNSA_6TensorESF_SF_EERKSF_lbbbEUlllE_EE10hipError_tT0_T1_T2_T3_mRjT4_P12ihipStream_tbNS1_7vsmem_tEEUlT_E_NS1_11comp_targetILNS1_3genE5ELNS1_11target_archE942ELNS1_3gpuE9ELNS1_3repE0EEENS1_30default_config_static_selectorELNS0_4arch9wavefront6targetE1EEEvSM_,comdat
.Lfunc_end756:
	.size	_ZN7rocprim17ROCPRIM_400000_NS6detail17trampoline_kernelINS0_14default_configENS1_37merge_sort_block_sort_config_selectorIlNS0_10empty_typeEEEZNS1_21merge_sort_block_sortIS3_PlS8_PS5_S9_ZN2at6native12_GLOBAL__N_124unique_dim_cuda_templateIdEESt5tupleIJNSA_6TensorESF_SF_EERKSF_lbbbEUlllE_EE10hipError_tT0_T1_T2_T3_mRjT4_P12ihipStream_tbNS1_7vsmem_tEEUlT_E_NS1_11comp_targetILNS1_3genE5ELNS1_11target_archE942ELNS1_3gpuE9ELNS1_3repE0EEENS1_30default_config_static_selectorELNS0_4arch9wavefront6targetE1EEEvSM_, .Lfunc_end756-_ZN7rocprim17ROCPRIM_400000_NS6detail17trampoline_kernelINS0_14default_configENS1_37merge_sort_block_sort_config_selectorIlNS0_10empty_typeEEEZNS1_21merge_sort_block_sortIS3_PlS8_PS5_S9_ZN2at6native12_GLOBAL__N_124unique_dim_cuda_templateIdEESt5tupleIJNSA_6TensorESF_SF_EERKSF_lbbbEUlllE_EE10hipError_tT0_T1_T2_T3_mRjT4_P12ihipStream_tbNS1_7vsmem_tEEUlT_E_NS1_11comp_targetILNS1_3genE5ELNS1_11target_archE942ELNS1_3gpuE9ELNS1_3repE0EEENS1_30default_config_static_selectorELNS0_4arch9wavefront6targetE1EEEvSM_
                                        ; -- End function
	.section	.AMDGPU.csdata,"",@progbits
; Kernel info:
; codeLenInByte = 228
; NumSgprs: 77
; NumVgprs: 129
; NumAgprs: 0
; TotalNumVgprs: 129
; ScratchSize: 8
; MemoryBound: 0
; FloatMode: 240
; IeeeMode: 1
; LDSByteSize: 16896 bytes/workgroup (compile time only)
; SGPRBlocks: 9
; VGPRBlocks: 16
; NumSGPRsForWavesPerEU: 77
; NumVGPRsForWavesPerEU: 129
; AccumOffset: 132
; Occupancy: 3
; WaveLimiterHint : 1
; COMPUTE_PGM_RSRC2:SCRATCH_EN: 1
; COMPUTE_PGM_RSRC2:USER_SGPR: 2
; COMPUTE_PGM_RSRC2:TRAP_HANDLER: 0
; COMPUTE_PGM_RSRC2:TGID_X_EN: 1
; COMPUTE_PGM_RSRC2:TGID_Y_EN: 1
; COMPUTE_PGM_RSRC2:TGID_Z_EN: 1
; COMPUTE_PGM_RSRC2:TIDIG_COMP_CNT: 2
; COMPUTE_PGM_RSRC3_GFX90A:ACCUM_OFFSET: 32
; COMPUTE_PGM_RSRC3_GFX90A:TG_SPLIT: 0
	.section	.text._ZN7rocprim17ROCPRIM_400000_NS6detail17trampoline_kernelINS0_14default_configENS1_37merge_sort_block_sort_config_selectorIlNS0_10empty_typeEEEZNS1_21merge_sort_block_sortIS3_PlS8_PS5_S9_ZN2at6native12_GLOBAL__N_124unique_dim_cuda_templateIdEESt5tupleIJNSA_6TensorESF_SF_EERKSF_lbbbEUlllE_EE10hipError_tT0_T1_T2_T3_mRjT4_P12ihipStream_tbNS1_7vsmem_tEEUlT_E_NS1_11comp_targetILNS1_3genE4ELNS1_11target_archE910ELNS1_3gpuE8ELNS1_3repE0EEENS1_30default_config_static_selectorELNS0_4arch9wavefront6targetE1EEEvSM_,"axG",@progbits,_ZN7rocprim17ROCPRIM_400000_NS6detail17trampoline_kernelINS0_14default_configENS1_37merge_sort_block_sort_config_selectorIlNS0_10empty_typeEEEZNS1_21merge_sort_block_sortIS3_PlS8_PS5_S9_ZN2at6native12_GLOBAL__N_124unique_dim_cuda_templateIdEESt5tupleIJNSA_6TensorESF_SF_EERKSF_lbbbEUlllE_EE10hipError_tT0_T1_T2_T3_mRjT4_P12ihipStream_tbNS1_7vsmem_tEEUlT_E_NS1_11comp_targetILNS1_3genE4ELNS1_11target_archE910ELNS1_3gpuE8ELNS1_3repE0EEENS1_30default_config_static_selectorELNS0_4arch9wavefront6targetE1EEEvSM_,comdat
	.globl	_ZN7rocprim17ROCPRIM_400000_NS6detail17trampoline_kernelINS0_14default_configENS1_37merge_sort_block_sort_config_selectorIlNS0_10empty_typeEEEZNS1_21merge_sort_block_sortIS3_PlS8_PS5_S9_ZN2at6native12_GLOBAL__N_124unique_dim_cuda_templateIdEESt5tupleIJNSA_6TensorESF_SF_EERKSF_lbbbEUlllE_EE10hipError_tT0_T1_T2_T3_mRjT4_P12ihipStream_tbNS1_7vsmem_tEEUlT_E_NS1_11comp_targetILNS1_3genE4ELNS1_11target_archE910ELNS1_3gpuE8ELNS1_3repE0EEENS1_30default_config_static_selectorELNS0_4arch9wavefront6targetE1EEEvSM_ ; -- Begin function _ZN7rocprim17ROCPRIM_400000_NS6detail17trampoline_kernelINS0_14default_configENS1_37merge_sort_block_sort_config_selectorIlNS0_10empty_typeEEEZNS1_21merge_sort_block_sortIS3_PlS8_PS5_S9_ZN2at6native12_GLOBAL__N_124unique_dim_cuda_templateIdEESt5tupleIJNSA_6TensorESF_SF_EERKSF_lbbbEUlllE_EE10hipError_tT0_T1_T2_T3_mRjT4_P12ihipStream_tbNS1_7vsmem_tEEUlT_E_NS1_11comp_targetILNS1_3genE4ELNS1_11target_archE910ELNS1_3gpuE8ELNS1_3repE0EEENS1_30default_config_static_selectorELNS0_4arch9wavefront6targetE1EEEvSM_
	.p2align	8
	.type	_ZN7rocprim17ROCPRIM_400000_NS6detail17trampoline_kernelINS0_14default_configENS1_37merge_sort_block_sort_config_selectorIlNS0_10empty_typeEEEZNS1_21merge_sort_block_sortIS3_PlS8_PS5_S9_ZN2at6native12_GLOBAL__N_124unique_dim_cuda_templateIdEESt5tupleIJNSA_6TensorESF_SF_EERKSF_lbbbEUlllE_EE10hipError_tT0_T1_T2_T3_mRjT4_P12ihipStream_tbNS1_7vsmem_tEEUlT_E_NS1_11comp_targetILNS1_3genE4ELNS1_11target_archE910ELNS1_3gpuE8ELNS1_3repE0EEENS1_30default_config_static_selectorELNS0_4arch9wavefront6targetE1EEEvSM_,@function
_ZN7rocprim17ROCPRIM_400000_NS6detail17trampoline_kernelINS0_14default_configENS1_37merge_sort_block_sort_config_selectorIlNS0_10empty_typeEEEZNS1_21merge_sort_block_sortIS3_PlS8_PS5_S9_ZN2at6native12_GLOBAL__N_124unique_dim_cuda_templateIdEESt5tupleIJNSA_6TensorESF_SF_EERKSF_lbbbEUlllE_EE10hipError_tT0_T1_T2_T3_mRjT4_P12ihipStream_tbNS1_7vsmem_tEEUlT_E_NS1_11comp_targetILNS1_3genE4ELNS1_11target_archE910ELNS1_3gpuE8ELNS1_3repE0EEENS1_30default_config_static_selectorELNS0_4arch9wavefront6targetE1EEEvSM_: ; @_ZN7rocprim17ROCPRIM_400000_NS6detail17trampoline_kernelINS0_14default_configENS1_37merge_sort_block_sort_config_selectorIlNS0_10empty_typeEEEZNS1_21merge_sort_block_sortIS3_PlS8_PS5_S9_ZN2at6native12_GLOBAL__N_124unique_dim_cuda_templateIdEESt5tupleIJNSA_6TensorESF_SF_EERKSF_lbbbEUlllE_EE10hipError_tT0_T1_T2_T3_mRjT4_P12ihipStream_tbNS1_7vsmem_tEEUlT_E_NS1_11comp_targetILNS1_3genE4ELNS1_11target_archE910ELNS1_3gpuE8ELNS1_3repE0EEENS1_30default_config_static_selectorELNS0_4arch9wavefront6targetE1EEEvSM_
; %bb.0:
	.section	.rodata,"a",@progbits
	.p2align	6, 0x0
	.amdhsa_kernel _ZN7rocprim17ROCPRIM_400000_NS6detail17trampoline_kernelINS0_14default_configENS1_37merge_sort_block_sort_config_selectorIlNS0_10empty_typeEEEZNS1_21merge_sort_block_sortIS3_PlS8_PS5_S9_ZN2at6native12_GLOBAL__N_124unique_dim_cuda_templateIdEESt5tupleIJNSA_6TensorESF_SF_EERKSF_lbbbEUlllE_EE10hipError_tT0_T1_T2_T3_mRjT4_P12ihipStream_tbNS1_7vsmem_tEEUlT_E_NS1_11comp_targetILNS1_3genE4ELNS1_11target_archE910ELNS1_3gpuE8ELNS1_3repE0EEENS1_30default_config_static_selectorELNS0_4arch9wavefront6targetE1EEEvSM_
		.amdhsa_group_segment_fixed_size 0
		.amdhsa_private_segment_fixed_size 0
		.amdhsa_kernarg_size 72
		.amdhsa_user_sgpr_count 2
		.amdhsa_user_sgpr_dispatch_ptr 0
		.amdhsa_user_sgpr_queue_ptr 0
		.amdhsa_user_sgpr_kernarg_segment_ptr 1
		.amdhsa_user_sgpr_dispatch_id 0
		.amdhsa_user_sgpr_kernarg_preload_length 0
		.amdhsa_user_sgpr_kernarg_preload_offset 0
		.amdhsa_user_sgpr_private_segment_size 0
		.amdhsa_uses_dynamic_stack 0
		.amdhsa_enable_private_segment 0
		.amdhsa_system_sgpr_workgroup_id_x 1
		.amdhsa_system_sgpr_workgroup_id_y 0
		.amdhsa_system_sgpr_workgroup_id_z 0
		.amdhsa_system_sgpr_workgroup_info 0
		.amdhsa_system_vgpr_workitem_id 0
		.amdhsa_next_free_vgpr 1
		.amdhsa_next_free_sgpr 0
		.amdhsa_accum_offset 4
		.amdhsa_reserve_vcc 0
		.amdhsa_float_round_mode_32 0
		.amdhsa_float_round_mode_16_64 0
		.amdhsa_float_denorm_mode_32 3
		.amdhsa_float_denorm_mode_16_64 3
		.amdhsa_dx10_clamp 1
		.amdhsa_ieee_mode 1
		.amdhsa_fp16_overflow 0
		.amdhsa_tg_split 0
		.amdhsa_exception_fp_ieee_invalid_op 0
		.amdhsa_exception_fp_denorm_src 0
		.amdhsa_exception_fp_ieee_div_zero 0
		.amdhsa_exception_fp_ieee_overflow 0
		.amdhsa_exception_fp_ieee_underflow 0
		.amdhsa_exception_fp_ieee_inexact 0
		.amdhsa_exception_int_div_zero 0
	.end_amdhsa_kernel
	.section	.text._ZN7rocprim17ROCPRIM_400000_NS6detail17trampoline_kernelINS0_14default_configENS1_37merge_sort_block_sort_config_selectorIlNS0_10empty_typeEEEZNS1_21merge_sort_block_sortIS3_PlS8_PS5_S9_ZN2at6native12_GLOBAL__N_124unique_dim_cuda_templateIdEESt5tupleIJNSA_6TensorESF_SF_EERKSF_lbbbEUlllE_EE10hipError_tT0_T1_T2_T3_mRjT4_P12ihipStream_tbNS1_7vsmem_tEEUlT_E_NS1_11comp_targetILNS1_3genE4ELNS1_11target_archE910ELNS1_3gpuE8ELNS1_3repE0EEENS1_30default_config_static_selectorELNS0_4arch9wavefront6targetE1EEEvSM_,"axG",@progbits,_ZN7rocprim17ROCPRIM_400000_NS6detail17trampoline_kernelINS0_14default_configENS1_37merge_sort_block_sort_config_selectorIlNS0_10empty_typeEEEZNS1_21merge_sort_block_sortIS3_PlS8_PS5_S9_ZN2at6native12_GLOBAL__N_124unique_dim_cuda_templateIdEESt5tupleIJNSA_6TensorESF_SF_EERKSF_lbbbEUlllE_EE10hipError_tT0_T1_T2_T3_mRjT4_P12ihipStream_tbNS1_7vsmem_tEEUlT_E_NS1_11comp_targetILNS1_3genE4ELNS1_11target_archE910ELNS1_3gpuE8ELNS1_3repE0EEENS1_30default_config_static_selectorELNS0_4arch9wavefront6targetE1EEEvSM_,comdat
.Lfunc_end757:
	.size	_ZN7rocprim17ROCPRIM_400000_NS6detail17trampoline_kernelINS0_14default_configENS1_37merge_sort_block_sort_config_selectorIlNS0_10empty_typeEEEZNS1_21merge_sort_block_sortIS3_PlS8_PS5_S9_ZN2at6native12_GLOBAL__N_124unique_dim_cuda_templateIdEESt5tupleIJNSA_6TensorESF_SF_EERKSF_lbbbEUlllE_EE10hipError_tT0_T1_T2_T3_mRjT4_P12ihipStream_tbNS1_7vsmem_tEEUlT_E_NS1_11comp_targetILNS1_3genE4ELNS1_11target_archE910ELNS1_3gpuE8ELNS1_3repE0EEENS1_30default_config_static_selectorELNS0_4arch9wavefront6targetE1EEEvSM_, .Lfunc_end757-_ZN7rocprim17ROCPRIM_400000_NS6detail17trampoline_kernelINS0_14default_configENS1_37merge_sort_block_sort_config_selectorIlNS0_10empty_typeEEEZNS1_21merge_sort_block_sortIS3_PlS8_PS5_S9_ZN2at6native12_GLOBAL__N_124unique_dim_cuda_templateIdEESt5tupleIJNSA_6TensorESF_SF_EERKSF_lbbbEUlllE_EE10hipError_tT0_T1_T2_T3_mRjT4_P12ihipStream_tbNS1_7vsmem_tEEUlT_E_NS1_11comp_targetILNS1_3genE4ELNS1_11target_archE910ELNS1_3gpuE8ELNS1_3repE0EEENS1_30default_config_static_selectorELNS0_4arch9wavefront6targetE1EEEvSM_
                                        ; -- End function
	.section	.AMDGPU.csdata,"",@progbits
; Kernel info:
; codeLenInByte = 0
; NumSgprs: 6
; NumVgprs: 0
; NumAgprs: 0
; TotalNumVgprs: 0
; ScratchSize: 0
; MemoryBound: 0
; FloatMode: 240
; IeeeMode: 1
; LDSByteSize: 0 bytes/workgroup (compile time only)
; SGPRBlocks: 0
; VGPRBlocks: 0
; NumSGPRsForWavesPerEU: 6
; NumVGPRsForWavesPerEU: 1
; AccumOffset: 4
; Occupancy: 8
; WaveLimiterHint : 0
; COMPUTE_PGM_RSRC2:SCRATCH_EN: 0
; COMPUTE_PGM_RSRC2:USER_SGPR: 2
; COMPUTE_PGM_RSRC2:TRAP_HANDLER: 0
; COMPUTE_PGM_RSRC2:TGID_X_EN: 1
; COMPUTE_PGM_RSRC2:TGID_Y_EN: 0
; COMPUTE_PGM_RSRC2:TGID_Z_EN: 0
; COMPUTE_PGM_RSRC2:TIDIG_COMP_CNT: 0
; COMPUTE_PGM_RSRC3_GFX90A:ACCUM_OFFSET: 0
; COMPUTE_PGM_RSRC3_GFX90A:TG_SPLIT: 0
	.section	.text._ZN7rocprim17ROCPRIM_400000_NS6detail17trampoline_kernelINS0_14default_configENS1_37merge_sort_block_sort_config_selectorIlNS0_10empty_typeEEEZNS1_21merge_sort_block_sortIS3_PlS8_PS5_S9_ZN2at6native12_GLOBAL__N_124unique_dim_cuda_templateIdEESt5tupleIJNSA_6TensorESF_SF_EERKSF_lbbbEUlllE_EE10hipError_tT0_T1_T2_T3_mRjT4_P12ihipStream_tbNS1_7vsmem_tEEUlT_E_NS1_11comp_targetILNS1_3genE3ELNS1_11target_archE908ELNS1_3gpuE7ELNS1_3repE0EEENS1_30default_config_static_selectorELNS0_4arch9wavefront6targetE1EEEvSM_,"axG",@progbits,_ZN7rocprim17ROCPRIM_400000_NS6detail17trampoline_kernelINS0_14default_configENS1_37merge_sort_block_sort_config_selectorIlNS0_10empty_typeEEEZNS1_21merge_sort_block_sortIS3_PlS8_PS5_S9_ZN2at6native12_GLOBAL__N_124unique_dim_cuda_templateIdEESt5tupleIJNSA_6TensorESF_SF_EERKSF_lbbbEUlllE_EE10hipError_tT0_T1_T2_T3_mRjT4_P12ihipStream_tbNS1_7vsmem_tEEUlT_E_NS1_11comp_targetILNS1_3genE3ELNS1_11target_archE908ELNS1_3gpuE7ELNS1_3repE0EEENS1_30default_config_static_selectorELNS0_4arch9wavefront6targetE1EEEvSM_,comdat
	.globl	_ZN7rocprim17ROCPRIM_400000_NS6detail17trampoline_kernelINS0_14default_configENS1_37merge_sort_block_sort_config_selectorIlNS0_10empty_typeEEEZNS1_21merge_sort_block_sortIS3_PlS8_PS5_S9_ZN2at6native12_GLOBAL__N_124unique_dim_cuda_templateIdEESt5tupleIJNSA_6TensorESF_SF_EERKSF_lbbbEUlllE_EE10hipError_tT0_T1_T2_T3_mRjT4_P12ihipStream_tbNS1_7vsmem_tEEUlT_E_NS1_11comp_targetILNS1_3genE3ELNS1_11target_archE908ELNS1_3gpuE7ELNS1_3repE0EEENS1_30default_config_static_selectorELNS0_4arch9wavefront6targetE1EEEvSM_ ; -- Begin function _ZN7rocprim17ROCPRIM_400000_NS6detail17trampoline_kernelINS0_14default_configENS1_37merge_sort_block_sort_config_selectorIlNS0_10empty_typeEEEZNS1_21merge_sort_block_sortIS3_PlS8_PS5_S9_ZN2at6native12_GLOBAL__N_124unique_dim_cuda_templateIdEESt5tupleIJNSA_6TensorESF_SF_EERKSF_lbbbEUlllE_EE10hipError_tT0_T1_T2_T3_mRjT4_P12ihipStream_tbNS1_7vsmem_tEEUlT_E_NS1_11comp_targetILNS1_3genE3ELNS1_11target_archE908ELNS1_3gpuE7ELNS1_3repE0EEENS1_30default_config_static_selectorELNS0_4arch9wavefront6targetE1EEEvSM_
	.p2align	8
	.type	_ZN7rocprim17ROCPRIM_400000_NS6detail17trampoline_kernelINS0_14default_configENS1_37merge_sort_block_sort_config_selectorIlNS0_10empty_typeEEEZNS1_21merge_sort_block_sortIS3_PlS8_PS5_S9_ZN2at6native12_GLOBAL__N_124unique_dim_cuda_templateIdEESt5tupleIJNSA_6TensorESF_SF_EERKSF_lbbbEUlllE_EE10hipError_tT0_T1_T2_T3_mRjT4_P12ihipStream_tbNS1_7vsmem_tEEUlT_E_NS1_11comp_targetILNS1_3genE3ELNS1_11target_archE908ELNS1_3gpuE7ELNS1_3repE0EEENS1_30default_config_static_selectorELNS0_4arch9wavefront6targetE1EEEvSM_,@function
_ZN7rocprim17ROCPRIM_400000_NS6detail17trampoline_kernelINS0_14default_configENS1_37merge_sort_block_sort_config_selectorIlNS0_10empty_typeEEEZNS1_21merge_sort_block_sortIS3_PlS8_PS5_S9_ZN2at6native12_GLOBAL__N_124unique_dim_cuda_templateIdEESt5tupleIJNSA_6TensorESF_SF_EERKSF_lbbbEUlllE_EE10hipError_tT0_T1_T2_T3_mRjT4_P12ihipStream_tbNS1_7vsmem_tEEUlT_E_NS1_11comp_targetILNS1_3genE3ELNS1_11target_archE908ELNS1_3gpuE7ELNS1_3repE0EEENS1_30default_config_static_selectorELNS0_4arch9wavefront6targetE1EEEvSM_: ; @_ZN7rocprim17ROCPRIM_400000_NS6detail17trampoline_kernelINS0_14default_configENS1_37merge_sort_block_sort_config_selectorIlNS0_10empty_typeEEEZNS1_21merge_sort_block_sortIS3_PlS8_PS5_S9_ZN2at6native12_GLOBAL__N_124unique_dim_cuda_templateIdEESt5tupleIJNSA_6TensorESF_SF_EERKSF_lbbbEUlllE_EE10hipError_tT0_T1_T2_T3_mRjT4_P12ihipStream_tbNS1_7vsmem_tEEUlT_E_NS1_11comp_targetILNS1_3genE3ELNS1_11target_archE908ELNS1_3gpuE7ELNS1_3repE0EEENS1_30default_config_static_selectorELNS0_4arch9wavefront6targetE1EEEvSM_
; %bb.0:
	.section	.rodata,"a",@progbits
	.p2align	6, 0x0
	.amdhsa_kernel _ZN7rocprim17ROCPRIM_400000_NS6detail17trampoline_kernelINS0_14default_configENS1_37merge_sort_block_sort_config_selectorIlNS0_10empty_typeEEEZNS1_21merge_sort_block_sortIS3_PlS8_PS5_S9_ZN2at6native12_GLOBAL__N_124unique_dim_cuda_templateIdEESt5tupleIJNSA_6TensorESF_SF_EERKSF_lbbbEUlllE_EE10hipError_tT0_T1_T2_T3_mRjT4_P12ihipStream_tbNS1_7vsmem_tEEUlT_E_NS1_11comp_targetILNS1_3genE3ELNS1_11target_archE908ELNS1_3gpuE7ELNS1_3repE0EEENS1_30default_config_static_selectorELNS0_4arch9wavefront6targetE1EEEvSM_
		.amdhsa_group_segment_fixed_size 0
		.amdhsa_private_segment_fixed_size 0
		.amdhsa_kernarg_size 72
		.amdhsa_user_sgpr_count 2
		.amdhsa_user_sgpr_dispatch_ptr 0
		.amdhsa_user_sgpr_queue_ptr 0
		.amdhsa_user_sgpr_kernarg_segment_ptr 1
		.amdhsa_user_sgpr_dispatch_id 0
		.amdhsa_user_sgpr_kernarg_preload_length 0
		.amdhsa_user_sgpr_kernarg_preload_offset 0
		.amdhsa_user_sgpr_private_segment_size 0
		.amdhsa_uses_dynamic_stack 0
		.amdhsa_enable_private_segment 0
		.amdhsa_system_sgpr_workgroup_id_x 1
		.amdhsa_system_sgpr_workgroup_id_y 0
		.amdhsa_system_sgpr_workgroup_id_z 0
		.amdhsa_system_sgpr_workgroup_info 0
		.amdhsa_system_vgpr_workitem_id 0
		.amdhsa_next_free_vgpr 1
		.amdhsa_next_free_sgpr 0
		.amdhsa_accum_offset 4
		.amdhsa_reserve_vcc 0
		.amdhsa_float_round_mode_32 0
		.amdhsa_float_round_mode_16_64 0
		.amdhsa_float_denorm_mode_32 3
		.amdhsa_float_denorm_mode_16_64 3
		.amdhsa_dx10_clamp 1
		.amdhsa_ieee_mode 1
		.amdhsa_fp16_overflow 0
		.amdhsa_tg_split 0
		.amdhsa_exception_fp_ieee_invalid_op 0
		.amdhsa_exception_fp_denorm_src 0
		.amdhsa_exception_fp_ieee_div_zero 0
		.amdhsa_exception_fp_ieee_overflow 0
		.amdhsa_exception_fp_ieee_underflow 0
		.amdhsa_exception_fp_ieee_inexact 0
		.amdhsa_exception_int_div_zero 0
	.end_amdhsa_kernel
	.section	.text._ZN7rocprim17ROCPRIM_400000_NS6detail17trampoline_kernelINS0_14default_configENS1_37merge_sort_block_sort_config_selectorIlNS0_10empty_typeEEEZNS1_21merge_sort_block_sortIS3_PlS8_PS5_S9_ZN2at6native12_GLOBAL__N_124unique_dim_cuda_templateIdEESt5tupleIJNSA_6TensorESF_SF_EERKSF_lbbbEUlllE_EE10hipError_tT0_T1_T2_T3_mRjT4_P12ihipStream_tbNS1_7vsmem_tEEUlT_E_NS1_11comp_targetILNS1_3genE3ELNS1_11target_archE908ELNS1_3gpuE7ELNS1_3repE0EEENS1_30default_config_static_selectorELNS0_4arch9wavefront6targetE1EEEvSM_,"axG",@progbits,_ZN7rocprim17ROCPRIM_400000_NS6detail17trampoline_kernelINS0_14default_configENS1_37merge_sort_block_sort_config_selectorIlNS0_10empty_typeEEEZNS1_21merge_sort_block_sortIS3_PlS8_PS5_S9_ZN2at6native12_GLOBAL__N_124unique_dim_cuda_templateIdEESt5tupleIJNSA_6TensorESF_SF_EERKSF_lbbbEUlllE_EE10hipError_tT0_T1_T2_T3_mRjT4_P12ihipStream_tbNS1_7vsmem_tEEUlT_E_NS1_11comp_targetILNS1_3genE3ELNS1_11target_archE908ELNS1_3gpuE7ELNS1_3repE0EEENS1_30default_config_static_selectorELNS0_4arch9wavefront6targetE1EEEvSM_,comdat
.Lfunc_end758:
	.size	_ZN7rocprim17ROCPRIM_400000_NS6detail17trampoline_kernelINS0_14default_configENS1_37merge_sort_block_sort_config_selectorIlNS0_10empty_typeEEEZNS1_21merge_sort_block_sortIS3_PlS8_PS5_S9_ZN2at6native12_GLOBAL__N_124unique_dim_cuda_templateIdEESt5tupleIJNSA_6TensorESF_SF_EERKSF_lbbbEUlllE_EE10hipError_tT0_T1_T2_T3_mRjT4_P12ihipStream_tbNS1_7vsmem_tEEUlT_E_NS1_11comp_targetILNS1_3genE3ELNS1_11target_archE908ELNS1_3gpuE7ELNS1_3repE0EEENS1_30default_config_static_selectorELNS0_4arch9wavefront6targetE1EEEvSM_, .Lfunc_end758-_ZN7rocprim17ROCPRIM_400000_NS6detail17trampoline_kernelINS0_14default_configENS1_37merge_sort_block_sort_config_selectorIlNS0_10empty_typeEEEZNS1_21merge_sort_block_sortIS3_PlS8_PS5_S9_ZN2at6native12_GLOBAL__N_124unique_dim_cuda_templateIdEESt5tupleIJNSA_6TensorESF_SF_EERKSF_lbbbEUlllE_EE10hipError_tT0_T1_T2_T3_mRjT4_P12ihipStream_tbNS1_7vsmem_tEEUlT_E_NS1_11comp_targetILNS1_3genE3ELNS1_11target_archE908ELNS1_3gpuE7ELNS1_3repE0EEENS1_30default_config_static_selectorELNS0_4arch9wavefront6targetE1EEEvSM_
                                        ; -- End function
	.section	.AMDGPU.csdata,"",@progbits
; Kernel info:
; codeLenInByte = 0
; NumSgprs: 6
; NumVgprs: 0
; NumAgprs: 0
; TotalNumVgprs: 0
; ScratchSize: 0
; MemoryBound: 0
; FloatMode: 240
; IeeeMode: 1
; LDSByteSize: 0 bytes/workgroup (compile time only)
; SGPRBlocks: 0
; VGPRBlocks: 0
; NumSGPRsForWavesPerEU: 6
; NumVGPRsForWavesPerEU: 1
; AccumOffset: 4
; Occupancy: 8
; WaveLimiterHint : 0
; COMPUTE_PGM_RSRC2:SCRATCH_EN: 0
; COMPUTE_PGM_RSRC2:USER_SGPR: 2
; COMPUTE_PGM_RSRC2:TRAP_HANDLER: 0
; COMPUTE_PGM_RSRC2:TGID_X_EN: 1
; COMPUTE_PGM_RSRC2:TGID_Y_EN: 0
; COMPUTE_PGM_RSRC2:TGID_Z_EN: 0
; COMPUTE_PGM_RSRC2:TIDIG_COMP_CNT: 0
; COMPUTE_PGM_RSRC3_GFX90A:ACCUM_OFFSET: 0
; COMPUTE_PGM_RSRC3_GFX90A:TG_SPLIT: 0
	.section	.text._ZN7rocprim17ROCPRIM_400000_NS6detail17trampoline_kernelINS0_14default_configENS1_37merge_sort_block_sort_config_selectorIlNS0_10empty_typeEEEZNS1_21merge_sort_block_sortIS3_PlS8_PS5_S9_ZN2at6native12_GLOBAL__N_124unique_dim_cuda_templateIdEESt5tupleIJNSA_6TensorESF_SF_EERKSF_lbbbEUlllE_EE10hipError_tT0_T1_T2_T3_mRjT4_P12ihipStream_tbNS1_7vsmem_tEEUlT_E_NS1_11comp_targetILNS1_3genE2ELNS1_11target_archE906ELNS1_3gpuE6ELNS1_3repE0EEENS1_30default_config_static_selectorELNS0_4arch9wavefront6targetE1EEEvSM_,"axG",@progbits,_ZN7rocprim17ROCPRIM_400000_NS6detail17trampoline_kernelINS0_14default_configENS1_37merge_sort_block_sort_config_selectorIlNS0_10empty_typeEEEZNS1_21merge_sort_block_sortIS3_PlS8_PS5_S9_ZN2at6native12_GLOBAL__N_124unique_dim_cuda_templateIdEESt5tupleIJNSA_6TensorESF_SF_EERKSF_lbbbEUlllE_EE10hipError_tT0_T1_T2_T3_mRjT4_P12ihipStream_tbNS1_7vsmem_tEEUlT_E_NS1_11comp_targetILNS1_3genE2ELNS1_11target_archE906ELNS1_3gpuE6ELNS1_3repE0EEENS1_30default_config_static_selectorELNS0_4arch9wavefront6targetE1EEEvSM_,comdat
	.globl	_ZN7rocprim17ROCPRIM_400000_NS6detail17trampoline_kernelINS0_14default_configENS1_37merge_sort_block_sort_config_selectorIlNS0_10empty_typeEEEZNS1_21merge_sort_block_sortIS3_PlS8_PS5_S9_ZN2at6native12_GLOBAL__N_124unique_dim_cuda_templateIdEESt5tupleIJNSA_6TensorESF_SF_EERKSF_lbbbEUlllE_EE10hipError_tT0_T1_T2_T3_mRjT4_P12ihipStream_tbNS1_7vsmem_tEEUlT_E_NS1_11comp_targetILNS1_3genE2ELNS1_11target_archE906ELNS1_3gpuE6ELNS1_3repE0EEENS1_30default_config_static_selectorELNS0_4arch9wavefront6targetE1EEEvSM_ ; -- Begin function _ZN7rocprim17ROCPRIM_400000_NS6detail17trampoline_kernelINS0_14default_configENS1_37merge_sort_block_sort_config_selectorIlNS0_10empty_typeEEEZNS1_21merge_sort_block_sortIS3_PlS8_PS5_S9_ZN2at6native12_GLOBAL__N_124unique_dim_cuda_templateIdEESt5tupleIJNSA_6TensorESF_SF_EERKSF_lbbbEUlllE_EE10hipError_tT0_T1_T2_T3_mRjT4_P12ihipStream_tbNS1_7vsmem_tEEUlT_E_NS1_11comp_targetILNS1_3genE2ELNS1_11target_archE906ELNS1_3gpuE6ELNS1_3repE0EEENS1_30default_config_static_selectorELNS0_4arch9wavefront6targetE1EEEvSM_
	.p2align	8
	.type	_ZN7rocprim17ROCPRIM_400000_NS6detail17trampoline_kernelINS0_14default_configENS1_37merge_sort_block_sort_config_selectorIlNS0_10empty_typeEEEZNS1_21merge_sort_block_sortIS3_PlS8_PS5_S9_ZN2at6native12_GLOBAL__N_124unique_dim_cuda_templateIdEESt5tupleIJNSA_6TensorESF_SF_EERKSF_lbbbEUlllE_EE10hipError_tT0_T1_T2_T3_mRjT4_P12ihipStream_tbNS1_7vsmem_tEEUlT_E_NS1_11comp_targetILNS1_3genE2ELNS1_11target_archE906ELNS1_3gpuE6ELNS1_3repE0EEENS1_30default_config_static_selectorELNS0_4arch9wavefront6targetE1EEEvSM_,@function
_ZN7rocprim17ROCPRIM_400000_NS6detail17trampoline_kernelINS0_14default_configENS1_37merge_sort_block_sort_config_selectorIlNS0_10empty_typeEEEZNS1_21merge_sort_block_sortIS3_PlS8_PS5_S9_ZN2at6native12_GLOBAL__N_124unique_dim_cuda_templateIdEESt5tupleIJNSA_6TensorESF_SF_EERKSF_lbbbEUlllE_EE10hipError_tT0_T1_T2_T3_mRjT4_P12ihipStream_tbNS1_7vsmem_tEEUlT_E_NS1_11comp_targetILNS1_3genE2ELNS1_11target_archE906ELNS1_3gpuE6ELNS1_3repE0EEENS1_30default_config_static_selectorELNS0_4arch9wavefront6targetE1EEEvSM_: ; @_ZN7rocprim17ROCPRIM_400000_NS6detail17trampoline_kernelINS0_14default_configENS1_37merge_sort_block_sort_config_selectorIlNS0_10empty_typeEEEZNS1_21merge_sort_block_sortIS3_PlS8_PS5_S9_ZN2at6native12_GLOBAL__N_124unique_dim_cuda_templateIdEESt5tupleIJNSA_6TensorESF_SF_EERKSF_lbbbEUlllE_EE10hipError_tT0_T1_T2_T3_mRjT4_P12ihipStream_tbNS1_7vsmem_tEEUlT_E_NS1_11comp_targetILNS1_3genE2ELNS1_11target_archE906ELNS1_3gpuE6ELNS1_3repE0EEENS1_30default_config_static_selectorELNS0_4arch9wavefront6targetE1EEEvSM_
; %bb.0:
	.section	.rodata,"a",@progbits
	.p2align	6, 0x0
	.amdhsa_kernel _ZN7rocprim17ROCPRIM_400000_NS6detail17trampoline_kernelINS0_14default_configENS1_37merge_sort_block_sort_config_selectorIlNS0_10empty_typeEEEZNS1_21merge_sort_block_sortIS3_PlS8_PS5_S9_ZN2at6native12_GLOBAL__N_124unique_dim_cuda_templateIdEESt5tupleIJNSA_6TensorESF_SF_EERKSF_lbbbEUlllE_EE10hipError_tT0_T1_T2_T3_mRjT4_P12ihipStream_tbNS1_7vsmem_tEEUlT_E_NS1_11comp_targetILNS1_3genE2ELNS1_11target_archE906ELNS1_3gpuE6ELNS1_3repE0EEENS1_30default_config_static_selectorELNS0_4arch9wavefront6targetE1EEEvSM_
		.amdhsa_group_segment_fixed_size 0
		.amdhsa_private_segment_fixed_size 0
		.amdhsa_kernarg_size 72
		.amdhsa_user_sgpr_count 2
		.amdhsa_user_sgpr_dispatch_ptr 0
		.amdhsa_user_sgpr_queue_ptr 0
		.amdhsa_user_sgpr_kernarg_segment_ptr 1
		.amdhsa_user_sgpr_dispatch_id 0
		.amdhsa_user_sgpr_kernarg_preload_length 0
		.amdhsa_user_sgpr_kernarg_preload_offset 0
		.amdhsa_user_sgpr_private_segment_size 0
		.amdhsa_uses_dynamic_stack 0
		.amdhsa_enable_private_segment 0
		.amdhsa_system_sgpr_workgroup_id_x 1
		.amdhsa_system_sgpr_workgroup_id_y 0
		.amdhsa_system_sgpr_workgroup_id_z 0
		.amdhsa_system_sgpr_workgroup_info 0
		.amdhsa_system_vgpr_workitem_id 0
		.amdhsa_next_free_vgpr 1
		.amdhsa_next_free_sgpr 0
		.amdhsa_accum_offset 4
		.amdhsa_reserve_vcc 0
		.amdhsa_float_round_mode_32 0
		.amdhsa_float_round_mode_16_64 0
		.amdhsa_float_denorm_mode_32 3
		.amdhsa_float_denorm_mode_16_64 3
		.amdhsa_dx10_clamp 1
		.amdhsa_ieee_mode 1
		.amdhsa_fp16_overflow 0
		.amdhsa_tg_split 0
		.amdhsa_exception_fp_ieee_invalid_op 0
		.amdhsa_exception_fp_denorm_src 0
		.amdhsa_exception_fp_ieee_div_zero 0
		.amdhsa_exception_fp_ieee_overflow 0
		.amdhsa_exception_fp_ieee_underflow 0
		.amdhsa_exception_fp_ieee_inexact 0
		.amdhsa_exception_int_div_zero 0
	.end_amdhsa_kernel
	.section	.text._ZN7rocprim17ROCPRIM_400000_NS6detail17trampoline_kernelINS0_14default_configENS1_37merge_sort_block_sort_config_selectorIlNS0_10empty_typeEEEZNS1_21merge_sort_block_sortIS3_PlS8_PS5_S9_ZN2at6native12_GLOBAL__N_124unique_dim_cuda_templateIdEESt5tupleIJNSA_6TensorESF_SF_EERKSF_lbbbEUlllE_EE10hipError_tT0_T1_T2_T3_mRjT4_P12ihipStream_tbNS1_7vsmem_tEEUlT_E_NS1_11comp_targetILNS1_3genE2ELNS1_11target_archE906ELNS1_3gpuE6ELNS1_3repE0EEENS1_30default_config_static_selectorELNS0_4arch9wavefront6targetE1EEEvSM_,"axG",@progbits,_ZN7rocprim17ROCPRIM_400000_NS6detail17trampoline_kernelINS0_14default_configENS1_37merge_sort_block_sort_config_selectorIlNS0_10empty_typeEEEZNS1_21merge_sort_block_sortIS3_PlS8_PS5_S9_ZN2at6native12_GLOBAL__N_124unique_dim_cuda_templateIdEESt5tupleIJNSA_6TensorESF_SF_EERKSF_lbbbEUlllE_EE10hipError_tT0_T1_T2_T3_mRjT4_P12ihipStream_tbNS1_7vsmem_tEEUlT_E_NS1_11comp_targetILNS1_3genE2ELNS1_11target_archE906ELNS1_3gpuE6ELNS1_3repE0EEENS1_30default_config_static_selectorELNS0_4arch9wavefront6targetE1EEEvSM_,comdat
.Lfunc_end759:
	.size	_ZN7rocprim17ROCPRIM_400000_NS6detail17trampoline_kernelINS0_14default_configENS1_37merge_sort_block_sort_config_selectorIlNS0_10empty_typeEEEZNS1_21merge_sort_block_sortIS3_PlS8_PS5_S9_ZN2at6native12_GLOBAL__N_124unique_dim_cuda_templateIdEESt5tupleIJNSA_6TensorESF_SF_EERKSF_lbbbEUlllE_EE10hipError_tT0_T1_T2_T3_mRjT4_P12ihipStream_tbNS1_7vsmem_tEEUlT_E_NS1_11comp_targetILNS1_3genE2ELNS1_11target_archE906ELNS1_3gpuE6ELNS1_3repE0EEENS1_30default_config_static_selectorELNS0_4arch9wavefront6targetE1EEEvSM_, .Lfunc_end759-_ZN7rocprim17ROCPRIM_400000_NS6detail17trampoline_kernelINS0_14default_configENS1_37merge_sort_block_sort_config_selectorIlNS0_10empty_typeEEEZNS1_21merge_sort_block_sortIS3_PlS8_PS5_S9_ZN2at6native12_GLOBAL__N_124unique_dim_cuda_templateIdEESt5tupleIJNSA_6TensorESF_SF_EERKSF_lbbbEUlllE_EE10hipError_tT0_T1_T2_T3_mRjT4_P12ihipStream_tbNS1_7vsmem_tEEUlT_E_NS1_11comp_targetILNS1_3genE2ELNS1_11target_archE906ELNS1_3gpuE6ELNS1_3repE0EEENS1_30default_config_static_selectorELNS0_4arch9wavefront6targetE1EEEvSM_
                                        ; -- End function
	.section	.AMDGPU.csdata,"",@progbits
; Kernel info:
; codeLenInByte = 0
; NumSgprs: 6
; NumVgprs: 0
; NumAgprs: 0
; TotalNumVgprs: 0
; ScratchSize: 0
; MemoryBound: 0
; FloatMode: 240
; IeeeMode: 1
; LDSByteSize: 0 bytes/workgroup (compile time only)
; SGPRBlocks: 0
; VGPRBlocks: 0
; NumSGPRsForWavesPerEU: 6
; NumVGPRsForWavesPerEU: 1
; AccumOffset: 4
; Occupancy: 8
; WaveLimiterHint : 0
; COMPUTE_PGM_RSRC2:SCRATCH_EN: 0
; COMPUTE_PGM_RSRC2:USER_SGPR: 2
; COMPUTE_PGM_RSRC2:TRAP_HANDLER: 0
; COMPUTE_PGM_RSRC2:TGID_X_EN: 1
; COMPUTE_PGM_RSRC2:TGID_Y_EN: 0
; COMPUTE_PGM_RSRC2:TGID_Z_EN: 0
; COMPUTE_PGM_RSRC2:TIDIG_COMP_CNT: 0
; COMPUTE_PGM_RSRC3_GFX90A:ACCUM_OFFSET: 0
; COMPUTE_PGM_RSRC3_GFX90A:TG_SPLIT: 0
	.section	.text._ZN7rocprim17ROCPRIM_400000_NS6detail17trampoline_kernelINS0_14default_configENS1_37merge_sort_block_sort_config_selectorIlNS0_10empty_typeEEEZNS1_21merge_sort_block_sortIS3_PlS8_PS5_S9_ZN2at6native12_GLOBAL__N_124unique_dim_cuda_templateIdEESt5tupleIJNSA_6TensorESF_SF_EERKSF_lbbbEUlllE_EE10hipError_tT0_T1_T2_T3_mRjT4_P12ihipStream_tbNS1_7vsmem_tEEUlT_E_NS1_11comp_targetILNS1_3genE10ELNS1_11target_archE1201ELNS1_3gpuE5ELNS1_3repE0EEENS1_30default_config_static_selectorELNS0_4arch9wavefront6targetE1EEEvSM_,"axG",@progbits,_ZN7rocprim17ROCPRIM_400000_NS6detail17trampoline_kernelINS0_14default_configENS1_37merge_sort_block_sort_config_selectorIlNS0_10empty_typeEEEZNS1_21merge_sort_block_sortIS3_PlS8_PS5_S9_ZN2at6native12_GLOBAL__N_124unique_dim_cuda_templateIdEESt5tupleIJNSA_6TensorESF_SF_EERKSF_lbbbEUlllE_EE10hipError_tT0_T1_T2_T3_mRjT4_P12ihipStream_tbNS1_7vsmem_tEEUlT_E_NS1_11comp_targetILNS1_3genE10ELNS1_11target_archE1201ELNS1_3gpuE5ELNS1_3repE0EEENS1_30default_config_static_selectorELNS0_4arch9wavefront6targetE1EEEvSM_,comdat
	.globl	_ZN7rocprim17ROCPRIM_400000_NS6detail17trampoline_kernelINS0_14default_configENS1_37merge_sort_block_sort_config_selectorIlNS0_10empty_typeEEEZNS1_21merge_sort_block_sortIS3_PlS8_PS5_S9_ZN2at6native12_GLOBAL__N_124unique_dim_cuda_templateIdEESt5tupleIJNSA_6TensorESF_SF_EERKSF_lbbbEUlllE_EE10hipError_tT0_T1_T2_T3_mRjT4_P12ihipStream_tbNS1_7vsmem_tEEUlT_E_NS1_11comp_targetILNS1_3genE10ELNS1_11target_archE1201ELNS1_3gpuE5ELNS1_3repE0EEENS1_30default_config_static_selectorELNS0_4arch9wavefront6targetE1EEEvSM_ ; -- Begin function _ZN7rocprim17ROCPRIM_400000_NS6detail17trampoline_kernelINS0_14default_configENS1_37merge_sort_block_sort_config_selectorIlNS0_10empty_typeEEEZNS1_21merge_sort_block_sortIS3_PlS8_PS5_S9_ZN2at6native12_GLOBAL__N_124unique_dim_cuda_templateIdEESt5tupleIJNSA_6TensorESF_SF_EERKSF_lbbbEUlllE_EE10hipError_tT0_T1_T2_T3_mRjT4_P12ihipStream_tbNS1_7vsmem_tEEUlT_E_NS1_11comp_targetILNS1_3genE10ELNS1_11target_archE1201ELNS1_3gpuE5ELNS1_3repE0EEENS1_30default_config_static_selectorELNS0_4arch9wavefront6targetE1EEEvSM_
	.p2align	8
	.type	_ZN7rocprim17ROCPRIM_400000_NS6detail17trampoline_kernelINS0_14default_configENS1_37merge_sort_block_sort_config_selectorIlNS0_10empty_typeEEEZNS1_21merge_sort_block_sortIS3_PlS8_PS5_S9_ZN2at6native12_GLOBAL__N_124unique_dim_cuda_templateIdEESt5tupleIJNSA_6TensorESF_SF_EERKSF_lbbbEUlllE_EE10hipError_tT0_T1_T2_T3_mRjT4_P12ihipStream_tbNS1_7vsmem_tEEUlT_E_NS1_11comp_targetILNS1_3genE10ELNS1_11target_archE1201ELNS1_3gpuE5ELNS1_3repE0EEENS1_30default_config_static_selectorELNS0_4arch9wavefront6targetE1EEEvSM_,@function
_ZN7rocprim17ROCPRIM_400000_NS6detail17trampoline_kernelINS0_14default_configENS1_37merge_sort_block_sort_config_selectorIlNS0_10empty_typeEEEZNS1_21merge_sort_block_sortIS3_PlS8_PS5_S9_ZN2at6native12_GLOBAL__N_124unique_dim_cuda_templateIdEESt5tupleIJNSA_6TensorESF_SF_EERKSF_lbbbEUlllE_EE10hipError_tT0_T1_T2_T3_mRjT4_P12ihipStream_tbNS1_7vsmem_tEEUlT_E_NS1_11comp_targetILNS1_3genE10ELNS1_11target_archE1201ELNS1_3gpuE5ELNS1_3repE0EEENS1_30default_config_static_selectorELNS0_4arch9wavefront6targetE1EEEvSM_: ; @_ZN7rocprim17ROCPRIM_400000_NS6detail17trampoline_kernelINS0_14default_configENS1_37merge_sort_block_sort_config_selectorIlNS0_10empty_typeEEEZNS1_21merge_sort_block_sortIS3_PlS8_PS5_S9_ZN2at6native12_GLOBAL__N_124unique_dim_cuda_templateIdEESt5tupleIJNSA_6TensorESF_SF_EERKSF_lbbbEUlllE_EE10hipError_tT0_T1_T2_T3_mRjT4_P12ihipStream_tbNS1_7vsmem_tEEUlT_E_NS1_11comp_targetILNS1_3genE10ELNS1_11target_archE1201ELNS1_3gpuE5ELNS1_3repE0EEENS1_30default_config_static_selectorELNS0_4arch9wavefront6targetE1EEEvSM_
; %bb.0:
	.section	.rodata,"a",@progbits
	.p2align	6, 0x0
	.amdhsa_kernel _ZN7rocprim17ROCPRIM_400000_NS6detail17trampoline_kernelINS0_14default_configENS1_37merge_sort_block_sort_config_selectorIlNS0_10empty_typeEEEZNS1_21merge_sort_block_sortIS3_PlS8_PS5_S9_ZN2at6native12_GLOBAL__N_124unique_dim_cuda_templateIdEESt5tupleIJNSA_6TensorESF_SF_EERKSF_lbbbEUlllE_EE10hipError_tT0_T1_T2_T3_mRjT4_P12ihipStream_tbNS1_7vsmem_tEEUlT_E_NS1_11comp_targetILNS1_3genE10ELNS1_11target_archE1201ELNS1_3gpuE5ELNS1_3repE0EEENS1_30default_config_static_selectorELNS0_4arch9wavefront6targetE1EEEvSM_
		.amdhsa_group_segment_fixed_size 0
		.amdhsa_private_segment_fixed_size 0
		.amdhsa_kernarg_size 72
		.amdhsa_user_sgpr_count 2
		.amdhsa_user_sgpr_dispatch_ptr 0
		.amdhsa_user_sgpr_queue_ptr 0
		.amdhsa_user_sgpr_kernarg_segment_ptr 1
		.amdhsa_user_sgpr_dispatch_id 0
		.amdhsa_user_sgpr_kernarg_preload_length 0
		.amdhsa_user_sgpr_kernarg_preload_offset 0
		.amdhsa_user_sgpr_private_segment_size 0
		.amdhsa_uses_dynamic_stack 0
		.amdhsa_enable_private_segment 0
		.amdhsa_system_sgpr_workgroup_id_x 1
		.amdhsa_system_sgpr_workgroup_id_y 0
		.amdhsa_system_sgpr_workgroup_id_z 0
		.amdhsa_system_sgpr_workgroup_info 0
		.amdhsa_system_vgpr_workitem_id 0
		.amdhsa_next_free_vgpr 1
		.amdhsa_next_free_sgpr 0
		.amdhsa_accum_offset 4
		.amdhsa_reserve_vcc 0
		.amdhsa_float_round_mode_32 0
		.amdhsa_float_round_mode_16_64 0
		.amdhsa_float_denorm_mode_32 3
		.amdhsa_float_denorm_mode_16_64 3
		.amdhsa_dx10_clamp 1
		.amdhsa_ieee_mode 1
		.amdhsa_fp16_overflow 0
		.amdhsa_tg_split 0
		.amdhsa_exception_fp_ieee_invalid_op 0
		.amdhsa_exception_fp_denorm_src 0
		.amdhsa_exception_fp_ieee_div_zero 0
		.amdhsa_exception_fp_ieee_overflow 0
		.amdhsa_exception_fp_ieee_underflow 0
		.amdhsa_exception_fp_ieee_inexact 0
		.amdhsa_exception_int_div_zero 0
	.end_amdhsa_kernel
	.section	.text._ZN7rocprim17ROCPRIM_400000_NS6detail17trampoline_kernelINS0_14default_configENS1_37merge_sort_block_sort_config_selectorIlNS0_10empty_typeEEEZNS1_21merge_sort_block_sortIS3_PlS8_PS5_S9_ZN2at6native12_GLOBAL__N_124unique_dim_cuda_templateIdEESt5tupleIJNSA_6TensorESF_SF_EERKSF_lbbbEUlllE_EE10hipError_tT0_T1_T2_T3_mRjT4_P12ihipStream_tbNS1_7vsmem_tEEUlT_E_NS1_11comp_targetILNS1_3genE10ELNS1_11target_archE1201ELNS1_3gpuE5ELNS1_3repE0EEENS1_30default_config_static_selectorELNS0_4arch9wavefront6targetE1EEEvSM_,"axG",@progbits,_ZN7rocprim17ROCPRIM_400000_NS6detail17trampoline_kernelINS0_14default_configENS1_37merge_sort_block_sort_config_selectorIlNS0_10empty_typeEEEZNS1_21merge_sort_block_sortIS3_PlS8_PS5_S9_ZN2at6native12_GLOBAL__N_124unique_dim_cuda_templateIdEESt5tupleIJNSA_6TensorESF_SF_EERKSF_lbbbEUlllE_EE10hipError_tT0_T1_T2_T3_mRjT4_P12ihipStream_tbNS1_7vsmem_tEEUlT_E_NS1_11comp_targetILNS1_3genE10ELNS1_11target_archE1201ELNS1_3gpuE5ELNS1_3repE0EEENS1_30default_config_static_selectorELNS0_4arch9wavefront6targetE1EEEvSM_,comdat
.Lfunc_end760:
	.size	_ZN7rocprim17ROCPRIM_400000_NS6detail17trampoline_kernelINS0_14default_configENS1_37merge_sort_block_sort_config_selectorIlNS0_10empty_typeEEEZNS1_21merge_sort_block_sortIS3_PlS8_PS5_S9_ZN2at6native12_GLOBAL__N_124unique_dim_cuda_templateIdEESt5tupleIJNSA_6TensorESF_SF_EERKSF_lbbbEUlllE_EE10hipError_tT0_T1_T2_T3_mRjT4_P12ihipStream_tbNS1_7vsmem_tEEUlT_E_NS1_11comp_targetILNS1_3genE10ELNS1_11target_archE1201ELNS1_3gpuE5ELNS1_3repE0EEENS1_30default_config_static_selectorELNS0_4arch9wavefront6targetE1EEEvSM_, .Lfunc_end760-_ZN7rocprim17ROCPRIM_400000_NS6detail17trampoline_kernelINS0_14default_configENS1_37merge_sort_block_sort_config_selectorIlNS0_10empty_typeEEEZNS1_21merge_sort_block_sortIS3_PlS8_PS5_S9_ZN2at6native12_GLOBAL__N_124unique_dim_cuda_templateIdEESt5tupleIJNSA_6TensorESF_SF_EERKSF_lbbbEUlllE_EE10hipError_tT0_T1_T2_T3_mRjT4_P12ihipStream_tbNS1_7vsmem_tEEUlT_E_NS1_11comp_targetILNS1_3genE10ELNS1_11target_archE1201ELNS1_3gpuE5ELNS1_3repE0EEENS1_30default_config_static_selectorELNS0_4arch9wavefront6targetE1EEEvSM_
                                        ; -- End function
	.section	.AMDGPU.csdata,"",@progbits
; Kernel info:
; codeLenInByte = 0
; NumSgprs: 6
; NumVgprs: 0
; NumAgprs: 0
; TotalNumVgprs: 0
; ScratchSize: 0
; MemoryBound: 0
; FloatMode: 240
; IeeeMode: 1
; LDSByteSize: 0 bytes/workgroup (compile time only)
; SGPRBlocks: 0
; VGPRBlocks: 0
; NumSGPRsForWavesPerEU: 6
; NumVGPRsForWavesPerEU: 1
; AccumOffset: 4
; Occupancy: 8
; WaveLimiterHint : 0
; COMPUTE_PGM_RSRC2:SCRATCH_EN: 0
; COMPUTE_PGM_RSRC2:USER_SGPR: 2
; COMPUTE_PGM_RSRC2:TRAP_HANDLER: 0
; COMPUTE_PGM_RSRC2:TGID_X_EN: 1
; COMPUTE_PGM_RSRC2:TGID_Y_EN: 0
; COMPUTE_PGM_RSRC2:TGID_Z_EN: 0
; COMPUTE_PGM_RSRC2:TIDIG_COMP_CNT: 0
; COMPUTE_PGM_RSRC3_GFX90A:ACCUM_OFFSET: 0
; COMPUTE_PGM_RSRC3_GFX90A:TG_SPLIT: 0
	.section	.text._ZN7rocprim17ROCPRIM_400000_NS6detail17trampoline_kernelINS0_14default_configENS1_37merge_sort_block_sort_config_selectorIlNS0_10empty_typeEEEZNS1_21merge_sort_block_sortIS3_PlS8_PS5_S9_ZN2at6native12_GLOBAL__N_124unique_dim_cuda_templateIdEESt5tupleIJNSA_6TensorESF_SF_EERKSF_lbbbEUlllE_EE10hipError_tT0_T1_T2_T3_mRjT4_P12ihipStream_tbNS1_7vsmem_tEEUlT_E_NS1_11comp_targetILNS1_3genE10ELNS1_11target_archE1200ELNS1_3gpuE4ELNS1_3repE0EEENS1_30default_config_static_selectorELNS0_4arch9wavefront6targetE1EEEvSM_,"axG",@progbits,_ZN7rocprim17ROCPRIM_400000_NS6detail17trampoline_kernelINS0_14default_configENS1_37merge_sort_block_sort_config_selectorIlNS0_10empty_typeEEEZNS1_21merge_sort_block_sortIS3_PlS8_PS5_S9_ZN2at6native12_GLOBAL__N_124unique_dim_cuda_templateIdEESt5tupleIJNSA_6TensorESF_SF_EERKSF_lbbbEUlllE_EE10hipError_tT0_T1_T2_T3_mRjT4_P12ihipStream_tbNS1_7vsmem_tEEUlT_E_NS1_11comp_targetILNS1_3genE10ELNS1_11target_archE1200ELNS1_3gpuE4ELNS1_3repE0EEENS1_30default_config_static_selectorELNS0_4arch9wavefront6targetE1EEEvSM_,comdat
	.globl	_ZN7rocprim17ROCPRIM_400000_NS6detail17trampoline_kernelINS0_14default_configENS1_37merge_sort_block_sort_config_selectorIlNS0_10empty_typeEEEZNS1_21merge_sort_block_sortIS3_PlS8_PS5_S9_ZN2at6native12_GLOBAL__N_124unique_dim_cuda_templateIdEESt5tupleIJNSA_6TensorESF_SF_EERKSF_lbbbEUlllE_EE10hipError_tT0_T1_T2_T3_mRjT4_P12ihipStream_tbNS1_7vsmem_tEEUlT_E_NS1_11comp_targetILNS1_3genE10ELNS1_11target_archE1200ELNS1_3gpuE4ELNS1_3repE0EEENS1_30default_config_static_selectorELNS0_4arch9wavefront6targetE1EEEvSM_ ; -- Begin function _ZN7rocprim17ROCPRIM_400000_NS6detail17trampoline_kernelINS0_14default_configENS1_37merge_sort_block_sort_config_selectorIlNS0_10empty_typeEEEZNS1_21merge_sort_block_sortIS3_PlS8_PS5_S9_ZN2at6native12_GLOBAL__N_124unique_dim_cuda_templateIdEESt5tupleIJNSA_6TensorESF_SF_EERKSF_lbbbEUlllE_EE10hipError_tT0_T1_T2_T3_mRjT4_P12ihipStream_tbNS1_7vsmem_tEEUlT_E_NS1_11comp_targetILNS1_3genE10ELNS1_11target_archE1200ELNS1_3gpuE4ELNS1_3repE0EEENS1_30default_config_static_selectorELNS0_4arch9wavefront6targetE1EEEvSM_
	.p2align	8
	.type	_ZN7rocprim17ROCPRIM_400000_NS6detail17trampoline_kernelINS0_14default_configENS1_37merge_sort_block_sort_config_selectorIlNS0_10empty_typeEEEZNS1_21merge_sort_block_sortIS3_PlS8_PS5_S9_ZN2at6native12_GLOBAL__N_124unique_dim_cuda_templateIdEESt5tupleIJNSA_6TensorESF_SF_EERKSF_lbbbEUlllE_EE10hipError_tT0_T1_T2_T3_mRjT4_P12ihipStream_tbNS1_7vsmem_tEEUlT_E_NS1_11comp_targetILNS1_3genE10ELNS1_11target_archE1200ELNS1_3gpuE4ELNS1_3repE0EEENS1_30default_config_static_selectorELNS0_4arch9wavefront6targetE1EEEvSM_,@function
_ZN7rocprim17ROCPRIM_400000_NS6detail17trampoline_kernelINS0_14default_configENS1_37merge_sort_block_sort_config_selectorIlNS0_10empty_typeEEEZNS1_21merge_sort_block_sortIS3_PlS8_PS5_S9_ZN2at6native12_GLOBAL__N_124unique_dim_cuda_templateIdEESt5tupleIJNSA_6TensorESF_SF_EERKSF_lbbbEUlllE_EE10hipError_tT0_T1_T2_T3_mRjT4_P12ihipStream_tbNS1_7vsmem_tEEUlT_E_NS1_11comp_targetILNS1_3genE10ELNS1_11target_archE1200ELNS1_3gpuE4ELNS1_3repE0EEENS1_30default_config_static_selectorELNS0_4arch9wavefront6targetE1EEEvSM_: ; @_ZN7rocprim17ROCPRIM_400000_NS6detail17trampoline_kernelINS0_14default_configENS1_37merge_sort_block_sort_config_selectorIlNS0_10empty_typeEEEZNS1_21merge_sort_block_sortIS3_PlS8_PS5_S9_ZN2at6native12_GLOBAL__N_124unique_dim_cuda_templateIdEESt5tupleIJNSA_6TensorESF_SF_EERKSF_lbbbEUlllE_EE10hipError_tT0_T1_T2_T3_mRjT4_P12ihipStream_tbNS1_7vsmem_tEEUlT_E_NS1_11comp_targetILNS1_3genE10ELNS1_11target_archE1200ELNS1_3gpuE4ELNS1_3repE0EEENS1_30default_config_static_selectorELNS0_4arch9wavefront6targetE1EEEvSM_
; %bb.0:
	.section	.rodata,"a",@progbits
	.p2align	6, 0x0
	.amdhsa_kernel _ZN7rocprim17ROCPRIM_400000_NS6detail17trampoline_kernelINS0_14default_configENS1_37merge_sort_block_sort_config_selectorIlNS0_10empty_typeEEEZNS1_21merge_sort_block_sortIS3_PlS8_PS5_S9_ZN2at6native12_GLOBAL__N_124unique_dim_cuda_templateIdEESt5tupleIJNSA_6TensorESF_SF_EERKSF_lbbbEUlllE_EE10hipError_tT0_T1_T2_T3_mRjT4_P12ihipStream_tbNS1_7vsmem_tEEUlT_E_NS1_11comp_targetILNS1_3genE10ELNS1_11target_archE1200ELNS1_3gpuE4ELNS1_3repE0EEENS1_30default_config_static_selectorELNS0_4arch9wavefront6targetE1EEEvSM_
		.amdhsa_group_segment_fixed_size 0
		.amdhsa_private_segment_fixed_size 0
		.amdhsa_kernarg_size 72
		.amdhsa_user_sgpr_count 2
		.amdhsa_user_sgpr_dispatch_ptr 0
		.amdhsa_user_sgpr_queue_ptr 0
		.amdhsa_user_sgpr_kernarg_segment_ptr 1
		.amdhsa_user_sgpr_dispatch_id 0
		.amdhsa_user_sgpr_kernarg_preload_length 0
		.amdhsa_user_sgpr_kernarg_preload_offset 0
		.amdhsa_user_sgpr_private_segment_size 0
		.amdhsa_uses_dynamic_stack 0
		.amdhsa_enable_private_segment 0
		.amdhsa_system_sgpr_workgroup_id_x 1
		.amdhsa_system_sgpr_workgroup_id_y 0
		.amdhsa_system_sgpr_workgroup_id_z 0
		.amdhsa_system_sgpr_workgroup_info 0
		.amdhsa_system_vgpr_workitem_id 0
		.amdhsa_next_free_vgpr 1
		.amdhsa_next_free_sgpr 0
		.amdhsa_accum_offset 4
		.amdhsa_reserve_vcc 0
		.amdhsa_float_round_mode_32 0
		.amdhsa_float_round_mode_16_64 0
		.amdhsa_float_denorm_mode_32 3
		.amdhsa_float_denorm_mode_16_64 3
		.amdhsa_dx10_clamp 1
		.amdhsa_ieee_mode 1
		.amdhsa_fp16_overflow 0
		.amdhsa_tg_split 0
		.amdhsa_exception_fp_ieee_invalid_op 0
		.amdhsa_exception_fp_denorm_src 0
		.amdhsa_exception_fp_ieee_div_zero 0
		.amdhsa_exception_fp_ieee_overflow 0
		.amdhsa_exception_fp_ieee_underflow 0
		.amdhsa_exception_fp_ieee_inexact 0
		.amdhsa_exception_int_div_zero 0
	.end_amdhsa_kernel
	.section	.text._ZN7rocprim17ROCPRIM_400000_NS6detail17trampoline_kernelINS0_14default_configENS1_37merge_sort_block_sort_config_selectorIlNS0_10empty_typeEEEZNS1_21merge_sort_block_sortIS3_PlS8_PS5_S9_ZN2at6native12_GLOBAL__N_124unique_dim_cuda_templateIdEESt5tupleIJNSA_6TensorESF_SF_EERKSF_lbbbEUlllE_EE10hipError_tT0_T1_T2_T3_mRjT4_P12ihipStream_tbNS1_7vsmem_tEEUlT_E_NS1_11comp_targetILNS1_3genE10ELNS1_11target_archE1200ELNS1_3gpuE4ELNS1_3repE0EEENS1_30default_config_static_selectorELNS0_4arch9wavefront6targetE1EEEvSM_,"axG",@progbits,_ZN7rocprim17ROCPRIM_400000_NS6detail17trampoline_kernelINS0_14default_configENS1_37merge_sort_block_sort_config_selectorIlNS0_10empty_typeEEEZNS1_21merge_sort_block_sortIS3_PlS8_PS5_S9_ZN2at6native12_GLOBAL__N_124unique_dim_cuda_templateIdEESt5tupleIJNSA_6TensorESF_SF_EERKSF_lbbbEUlllE_EE10hipError_tT0_T1_T2_T3_mRjT4_P12ihipStream_tbNS1_7vsmem_tEEUlT_E_NS1_11comp_targetILNS1_3genE10ELNS1_11target_archE1200ELNS1_3gpuE4ELNS1_3repE0EEENS1_30default_config_static_selectorELNS0_4arch9wavefront6targetE1EEEvSM_,comdat
.Lfunc_end761:
	.size	_ZN7rocprim17ROCPRIM_400000_NS6detail17trampoline_kernelINS0_14default_configENS1_37merge_sort_block_sort_config_selectorIlNS0_10empty_typeEEEZNS1_21merge_sort_block_sortIS3_PlS8_PS5_S9_ZN2at6native12_GLOBAL__N_124unique_dim_cuda_templateIdEESt5tupleIJNSA_6TensorESF_SF_EERKSF_lbbbEUlllE_EE10hipError_tT0_T1_T2_T3_mRjT4_P12ihipStream_tbNS1_7vsmem_tEEUlT_E_NS1_11comp_targetILNS1_3genE10ELNS1_11target_archE1200ELNS1_3gpuE4ELNS1_3repE0EEENS1_30default_config_static_selectorELNS0_4arch9wavefront6targetE1EEEvSM_, .Lfunc_end761-_ZN7rocprim17ROCPRIM_400000_NS6detail17trampoline_kernelINS0_14default_configENS1_37merge_sort_block_sort_config_selectorIlNS0_10empty_typeEEEZNS1_21merge_sort_block_sortIS3_PlS8_PS5_S9_ZN2at6native12_GLOBAL__N_124unique_dim_cuda_templateIdEESt5tupleIJNSA_6TensorESF_SF_EERKSF_lbbbEUlllE_EE10hipError_tT0_T1_T2_T3_mRjT4_P12ihipStream_tbNS1_7vsmem_tEEUlT_E_NS1_11comp_targetILNS1_3genE10ELNS1_11target_archE1200ELNS1_3gpuE4ELNS1_3repE0EEENS1_30default_config_static_selectorELNS0_4arch9wavefront6targetE1EEEvSM_
                                        ; -- End function
	.section	.AMDGPU.csdata,"",@progbits
; Kernel info:
; codeLenInByte = 0
; NumSgprs: 6
; NumVgprs: 0
; NumAgprs: 0
; TotalNumVgprs: 0
; ScratchSize: 0
; MemoryBound: 0
; FloatMode: 240
; IeeeMode: 1
; LDSByteSize: 0 bytes/workgroup (compile time only)
; SGPRBlocks: 0
; VGPRBlocks: 0
; NumSGPRsForWavesPerEU: 6
; NumVGPRsForWavesPerEU: 1
; AccumOffset: 4
; Occupancy: 8
; WaveLimiterHint : 0
; COMPUTE_PGM_RSRC2:SCRATCH_EN: 0
; COMPUTE_PGM_RSRC2:USER_SGPR: 2
; COMPUTE_PGM_RSRC2:TRAP_HANDLER: 0
; COMPUTE_PGM_RSRC2:TGID_X_EN: 1
; COMPUTE_PGM_RSRC2:TGID_Y_EN: 0
; COMPUTE_PGM_RSRC2:TGID_Z_EN: 0
; COMPUTE_PGM_RSRC2:TIDIG_COMP_CNT: 0
; COMPUTE_PGM_RSRC3_GFX90A:ACCUM_OFFSET: 0
; COMPUTE_PGM_RSRC3_GFX90A:TG_SPLIT: 0
	.section	.text._ZN7rocprim17ROCPRIM_400000_NS6detail17trampoline_kernelINS0_14default_configENS1_37merge_sort_block_sort_config_selectorIlNS0_10empty_typeEEEZNS1_21merge_sort_block_sortIS3_PlS8_PS5_S9_ZN2at6native12_GLOBAL__N_124unique_dim_cuda_templateIdEESt5tupleIJNSA_6TensorESF_SF_EERKSF_lbbbEUlllE_EE10hipError_tT0_T1_T2_T3_mRjT4_P12ihipStream_tbNS1_7vsmem_tEEUlT_E_NS1_11comp_targetILNS1_3genE9ELNS1_11target_archE1100ELNS1_3gpuE3ELNS1_3repE0EEENS1_30default_config_static_selectorELNS0_4arch9wavefront6targetE1EEEvSM_,"axG",@progbits,_ZN7rocprim17ROCPRIM_400000_NS6detail17trampoline_kernelINS0_14default_configENS1_37merge_sort_block_sort_config_selectorIlNS0_10empty_typeEEEZNS1_21merge_sort_block_sortIS3_PlS8_PS5_S9_ZN2at6native12_GLOBAL__N_124unique_dim_cuda_templateIdEESt5tupleIJNSA_6TensorESF_SF_EERKSF_lbbbEUlllE_EE10hipError_tT0_T1_T2_T3_mRjT4_P12ihipStream_tbNS1_7vsmem_tEEUlT_E_NS1_11comp_targetILNS1_3genE9ELNS1_11target_archE1100ELNS1_3gpuE3ELNS1_3repE0EEENS1_30default_config_static_selectorELNS0_4arch9wavefront6targetE1EEEvSM_,comdat
	.globl	_ZN7rocprim17ROCPRIM_400000_NS6detail17trampoline_kernelINS0_14default_configENS1_37merge_sort_block_sort_config_selectorIlNS0_10empty_typeEEEZNS1_21merge_sort_block_sortIS3_PlS8_PS5_S9_ZN2at6native12_GLOBAL__N_124unique_dim_cuda_templateIdEESt5tupleIJNSA_6TensorESF_SF_EERKSF_lbbbEUlllE_EE10hipError_tT0_T1_T2_T3_mRjT4_P12ihipStream_tbNS1_7vsmem_tEEUlT_E_NS1_11comp_targetILNS1_3genE9ELNS1_11target_archE1100ELNS1_3gpuE3ELNS1_3repE0EEENS1_30default_config_static_selectorELNS0_4arch9wavefront6targetE1EEEvSM_ ; -- Begin function _ZN7rocprim17ROCPRIM_400000_NS6detail17trampoline_kernelINS0_14default_configENS1_37merge_sort_block_sort_config_selectorIlNS0_10empty_typeEEEZNS1_21merge_sort_block_sortIS3_PlS8_PS5_S9_ZN2at6native12_GLOBAL__N_124unique_dim_cuda_templateIdEESt5tupleIJNSA_6TensorESF_SF_EERKSF_lbbbEUlllE_EE10hipError_tT0_T1_T2_T3_mRjT4_P12ihipStream_tbNS1_7vsmem_tEEUlT_E_NS1_11comp_targetILNS1_3genE9ELNS1_11target_archE1100ELNS1_3gpuE3ELNS1_3repE0EEENS1_30default_config_static_selectorELNS0_4arch9wavefront6targetE1EEEvSM_
	.p2align	8
	.type	_ZN7rocprim17ROCPRIM_400000_NS6detail17trampoline_kernelINS0_14default_configENS1_37merge_sort_block_sort_config_selectorIlNS0_10empty_typeEEEZNS1_21merge_sort_block_sortIS3_PlS8_PS5_S9_ZN2at6native12_GLOBAL__N_124unique_dim_cuda_templateIdEESt5tupleIJNSA_6TensorESF_SF_EERKSF_lbbbEUlllE_EE10hipError_tT0_T1_T2_T3_mRjT4_P12ihipStream_tbNS1_7vsmem_tEEUlT_E_NS1_11comp_targetILNS1_3genE9ELNS1_11target_archE1100ELNS1_3gpuE3ELNS1_3repE0EEENS1_30default_config_static_selectorELNS0_4arch9wavefront6targetE1EEEvSM_,@function
_ZN7rocprim17ROCPRIM_400000_NS6detail17trampoline_kernelINS0_14default_configENS1_37merge_sort_block_sort_config_selectorIlNS0_10empty_typeEEEZNS1_21merge_sort_block_sortIS3_PlS8_PS5_S9_ZN2at6native12_GLOBAL__N_124unique_dim_cuda_templateIdEESt5tupleIJNSA_6TensorESF_SF_EERKSF_lbbbEUlllE_EE10hipError_tT0_T1_T2_T3_mRjT4_P12ihipStream_tbNS1_7vsmem_tEEUlT_E_NS1_11comp_targetILNS1_3genE9ELNS1_11target_archE1100ELNS1_3gpuE3ELNS1_3repE0EEENS1_30default_config_static_selectorELNS0_4arch9wavefront6targetE1EEEvSM_: ; @_ZN7rocprim17ROCPRIM_400000_NS6detail17trampoline_kernelINS0_14default_configENS1_37merge_sort_block_sort_config_selectorIlNS0_10empty_typeEEEZNS1_21merge_sort_block_sortIS3_PlS8_PS5_S9_ZN2at6native12_GLOBAL__N_124unique_dim_cuda_templateIdEESt5tupleIJNSA_6TensorESF_SF_EERKSF_lbbbEUlllE_EE10hipError_tT0_T1_T2_T3_mRjT4_P12ihipStream_tbNS1_7vsmem_tEEUlT_E_NS1_11comp_targetILNS1_3genE9ELNS1_11target_archE1100ELNS1_3gpuE3ELNS1_3repE0EEENS1_30default_config_static_selectorELNS0_4arch9wavefront6targetE1EEEvSM_
; %bb.0:
	.section	.rodata,"a",@progbits
	.p2align	6, 0x0
	.amdhsa_kernel _ZN7rocprim17ROCPRIM_400000_NS6detail17trampoline_kernelINS0_14default_configENS1_37merge_sort_block_sort_config_selectorIlNS0_10empty_typeEEEZNS1_21merge_sort_block_sortIS3_PlS8_PS5_S9_ZN2at6native12_GLOBAL__N_124unique_dim_cuda_templateIdEESt5tupleIJNSA_6TensorESF_SF_EERKSF_lbbbEUlllE_EE10hipError_tT0_T1_T2_T3_mRjT4_P12ihipStream_tbNS1_7vsmem_tEEUlT_E_NS1_11comp_targetILNS1_3genE9ELNS1_11target_archE1100ELNS1_3gpuE3ELNS1_3repE0EEENS1_30default_config_static_selectorELNS0_4arch9wavefront6targetE1EEEvSM_
		.amdhsa_group_segment_fixed_size 0
		.amdhsa_private_segment_fixed_size 0
		.amdhsa_kernarg_size 72
		.amdhsa_user_sgpr_count 2
		.amdhsa_user_sgpr_dispatch_ptr 0
		.amdhsa_user_sgpr_queue_ptr 0
		.amdhsa_user_sgpr_kernarg_segment_ptr 1
		.amdhsa_user_sgpr_dispatch_id 0
		.amdhsa_user_sgpr_kernarg_preload_length 0
		.amdhsa_user_sgpr_kernarg_preload_offset 0
		.amdhsa_user_sgpr_private_segment_size 0
		.amdhsa_uses_dynamic_stack 0
		.amdhsa_enable_private_segment 0
		.amdhsa_system_sgpr_workgroup_id_x 1
		.amdhsa_system_sgpr_workgroup_id_y 0
		.amdhsa_system_sgpr_workgroup_id_z 0
		.amdhsa_system_sgpr_workgroup_info 0
		.amdhsa_system_vgpr_workitem_id 0
		.amdhsa_next_free_vgpr 1
		.amdhsa_next_free_sgpr 0
		.amdhsa_accum_offset 4
		.amdhsa_reserve_vcc 0
		.amdhsa_float_round_mode_32 0
		.amdhsa_float_round_mode_16_64 0
		.amdhsa_float_denorm_mode_32 3
		.amdhsa_float_denorm_mode_16_64 3
		.amdhsa_dx10_clamp 1
		.amdhsa_ieee_mode 1
		.amdhsa_fp16_overflow 0
		.amdhsa_tg_split 0
		.amdhsa_exception_fp_ieee_invalid_op 0
		.amdhsa_exception_fp_denorm_src 0
		.amdhsa_exception_fp_ieee_div_zero 0
		.amdhsa_exception_fp_ieee_overflow 0
		.amdhsa_exception_fp_ieee_underflow 0
		.amdhsa_exception_fp_ieee_inexact 0
		.amdhsa_exception_int_div_zero 0
	.end_amdhsa_kernel
	.section	.text._ZN7rocprim17ROCPRIM_400000_NS6detail17trampoline_kernelINS0_14default_configENS1_37merge_sort_block_sort_config_selectorIlNS0_10empty_typeEEEZNS1_21merge_sort_block_sortIS3_PlS8_PS5_S9_ZN2at6native12_GLOBAL__N_124unique_dim_cuda_templateIdEESt5tupleIJNSA_6TensorESF_SF_EERKSF_lbbbEUlllE_EE10hipError_tT0_T1_T2_T3_mRjT4_P12ihipStream_tbNS1_7vsmem_tEEUlT_E_NS1_11comp_targetILNS1_3genE9ELNS1_11target_archE1100ELNS1_3gpuE3ELNS1_3repE0EEENS1_30default_config_static_selectorELNS0_4arch9wavefront6targetE1EEEvSM_,"axG",@progbits,_ZN7rocprim17ROCPRIM_400000_NS6detail17trampoline_kernelINS0_14default_configENS1_37merge_sort_block_sort_config_selectorIlNS0_10empty_typeEEEZNS1_21merge_sort_block_sortIS3_PlS8_PS5_S9_ZN2at6native12_GLOBAL__N_124unique_dim_cuda_templateIdEESt5tupleIJNSA_6TensorESF_SF_EERKSF_lbbbEUlllE_EE10hipError_tT0_T1_T2_T3_mRjT4_P12ihipStream_tbNS1_7vsmem_tEEUlT_E_NS1_11comp_targetILNS1_3genE9ELNS1_11target_archE1100ELNS1_3gpuE3ELNS1_3repE0EEENS1_30default_config_static_selectorELNS0_4arch9wavefront6targetE1EEEvSM_,comdat
.Lfunc_end762:
	.size	_ZN7rocprim17ROCPRIM_400000_NS6detail17trampoline_kernelINS0_14default_configENS1_37merge_sort_block_sort_config_selectorIlNS0_10empty_typeEEEZNS1_21merge_sort_block_sortIS3_PlS8_PS5_S9_ZN2at6native12_GLOBAL__N_124unique_dim_cuda_templateIdEESt5tupleIJNSA_6TensorESF_SF_EERKSF_lbbbEUlllE_EE10hipError_tT0_T1_T2_T3_mRjT4_P12ihipStream_tbNS1_7vsmem_tEEUlT_E_NS1_11comp_targetILNS1_3genE9ELNS1_11target_archE1100ELNS1_3gpuE3ELNS1_3repE0EEENS1_30default_config_static_selectorELNS0_4arch9wavefront6targetE1EEEvSM_, .Lfunc_end762-_ZN7rocprim17ROCPRIM_400000_NS6detail17trampoline_kernelINS0_14default_configENS1_37merge_sort_block_sort_config_selectorIlNS0_10empty_typeEEEZNS1_21merge_sort_block_sortIS3_PlS8_PS5_S9_ZN2at6native12_GLOBAL__N_124unique_dim_cuda_templateIdEESt5tupleIJNSA_6TensorESF_SF_EERKSF_lbbbEUlllE_EE10hipError_tT0_T1_T2_T3_mRjT4_P12ihipStream_tbNS1_7vsmem_tEEUlT_E_NS1_11comp_targetILNS1_3genE9ELNS1_11target_archE1100ELNS1_3gpuE3ELNS1_3repE0EEENS1_30default_config_static_selectorELNS0_4arch9wavefront6targetE1EEEvSM_
                                        ; -- End function
	.section	.AMDGPU.csdata,"",@progbits
; Kernel info:
; codeLenInByte = 0
; NumSgprs: 6
; NumVgprs: 0
; NumAgprs: 0
; TotalNumVgprs: 0
; ScratchSize: 0
; MemoryBound: 0
; FloatMode: 240
; IeeeMode: 1
; LDSByteSize: 0 bytes/workgroup (compile time only)
; SGPRBlocks: 0
; VGPRBlocks: 0
; NumSGPRsForWavesPerEU: 6
; NumVGPRsForWavesPerEU: 1
; AccumOffset: 4
; Occupancy: 8
; WaveLimiterHint : 0
; COMPUTE_PGM_RSRC2:SCRATCH_EN: 0
; COMPUTE_PGM_RSRC2:USER_SGPR: 2
; COMPUTE_PGM_RSRC2:TRAP_HANDLER: 0
; COMPUTE_PGM_RSRC2:TGID_X_EN: 1
; COMPUTE_PGM_RSRC2:TGID_Y_EN: 0
; COMPUTE_PGM_RSRC2:TGID_Z_EN: 0
; COMPUTE_PGM_RSRC2:TIDIG_COMP_CNT: 0
; COMPUTE_PGM_RSRC3_GFX90A:ACCUM_OFFSET: 0
; COMPUTE_PGM_RSRC3_GFX90A:TG_SPLIT: 0
	.section	.text._ZN7rocprim17ROCPRIM_400000_NS6detail17trampoline_kernelINS0_14default_configENS1_37merge_sort_block_sort_config_selectorIlNS0_10empty_typeEEEZNS1_21merge_sort_block_sortIS3_PlS8_PS5_S9_ZN2at6native12_GLOBAL__N_124unique_dim_cuda_templateIdEESt5tupleIJNSA_6TensorESF_SF_EERKSF_lbbbEUlllE_EE10hipError_tT0_T1_T2_T3_mRjT4_P12ihipStream_tbNS1_7vsmem_tEEUlT_E_NS1_11comp_targetILNS1_3genE8ELNS1_11target_archE1030ELNS1_3gpuE2ELNS1_3repE0EEENS1_30default_config_static_selectorELNS0_4arch9wavefront6targetE1EEEvSM_,"axG",@progbits,_ZN7rocprim17ROCPRIM_400000_NS6detail17trampoline_kernelINS0_14default_configENS1_37merge_sort_block_sort_config_selectorIlNS0_10empty_typeEEEZNS1_21merge_sort_block_sortIS3_PlS8_PS5_S9_ZN2at6native12_GLOBAL__N_124unique_dim_cuda_templateIdEESt5tupleIJNSA_6TensorESF_SF_EERKSF_lbbbEUlllE_EE10hipError_tT0_T1_T2_T3_mRjT4_P12ihipStream_tbNS1_7vsmem_tEEUlT_E_NS1_11comp_targetILNS1_3genE8ELNS1_11target_archE1030ELNS1_3gpuE2ELNS1_3repE0EEENS1_30default_config_static_selectorELNS0_4arch9wavefront6targetE1EEEvSM_,comdat
	.globl	_ZN7rocprim17ROCPRIM_400000_NS6detail17trampoline_kernelINS0_14default_configENS1_37merge_sort_block_sort_config_selectorIlNS0_10empty_typeEEEZNS1_21merge_sort_block_sortIS3_PlS8_PS5_S9_ZN2at6native12_GLOBAL__N_124unique_dim_cuda_templateIdEESt5tupleIJNSA_6TensorESF_SF_EERKSF_lbbbEUlllE_EE10hipError_tT0_T1_T2_T3_mRjT4_P12ihipStream_tbNS1_7vsmem_tEEUlT_E_NS1_11comp_targetILNS1_3genE8ELNS1_11target_archE1030ELNS1_3gpuE2ELNS1_3repE0EEENS1_30default_config_static_selectorELNS0_4arch9wavefront6targetE1EEEvSM_ ; -- Begin function _ZN7rocprim17ROCPRIM_400000_NS6detail17trampoline_kernelINS0_14default_configENS1_37merge_sort_block_sort_config_selectorIlNS0_10empty_typeEEEZNS1_21merge_sort_block_sortIS3_PlS8_PS5_S9_ZN2at6native12_GLOBAL__N_124unique_dim_cuda_templateIdEESt5tupleIJNSA_6TensorESF_SF_EERKSF_lbbbEUlllE_EE10hipError_tT0_T1_T2_T3_mRjT4_P12ihipStream_tbNS1_7vsmem_tEEUlT_E_NS1_11comp_targetILNS1_3genE8ELNS1_11target_archE1030ELNS1_3gpuE2ELNS1_3repE0EEENS1_30default_config_static_selectorELNS0_4arch9wavefront6targetE1EEEvSM_
	.p2align	8
	.type	_ZN7rocprim17ROCPRIM_400000_NS6detail17trampoline_kernelINS0_14default_configENS1_37merge_sort_block_sort_config_selectorIlNS0_10empty_typeEEEZNS1_21merge_sort_block_sortIS3_PlS8_PS5_S9_ZN2at6native12_GLOBAL__N_124unique_dim_cuda_templateIdEESt5tupleIJNSA_6TensorESF_SF_EERKSF_lbbbEUlllE_EE10hipError_tT0_T1_T2_T3_mRjT4_P12ihipStream_tbNS1_7vsmem_tEEUlT_E_NS1_11comp_targetILNS1_3genE8ELNS1_11target_archE1030ELNS1_3gpuE2ELNS1_3repE0EEENS1_30default_config_static_selectorELNS0_4arch9wavefront6targetE1EEEvSM_,@function
_ZN7rocprim17ROCPRIM_400000_NS6detail17trampoline_kernelINS0_14default_configENS1_37merge_sort_block_sort_config_selectorIlNS0_10empty_typeEEEZNS1_21merge_sort_block_sortIS3_PlS8_PS5_S9_ZN2at6native12_GLOBAL__N_124unique_dim_cuda_templateIdEESt5tupleIJNSA_6TensorESF_SF_EERKSF_lbbbEUlllE_EE10hipError_tT0_T1_T2_T3_mRjT4_P12ihipStream_tbNS1_7vsmem_tEEUlT_E_NS1_11comp_targetILNS1_3genE8ELNS1_11target_archE1030ELNS1_3gpuE2ELNS1_3repE0EEENS1_30default_config_static_selectorELNS0_4arch9wavefront6targetE1EEEvSM_: ; @_ZN7rocprim17ROCPRIM_400000_NS6detail17trampoline_kernelINS0_14default_configENS1_37merge_sort_block_sort_config_selectorIlNS0_10empty_typeEEEZNS1_21merge_sort_block_sortIS3_PlS8_PS5_S9_ZN2at6native12_GLOBAL__N_124unique_dim_cuda_templateIdEESt5tupleIJNSA_6TensorESF_SF_EERKSF_lbbbEUlllE_EE10hipError_tT0_T1_T2_T3_mRjT4_P12ihipStream_tbNS1_7vsmem_tEEUlT_E_NS1_11comp_targetILNS1_3genE8ELNS1_11target_archE1030ELNS1_3gpuE2ELNS1_3repE0EEENS1_30default_config_static_selectorELNS0_4arch9wavefront6targetE1EEEvSM_
; %bb.0:
	.section	.rodata,"a",@progbits
	.p2align	6, 0x0
	.amdhsa_kernel _ZN7rocprim17ROCPRIM_400000_NS6detail17trampoline_kernelINS0_14default_configENS1_37merge_sort_block_sort_config_selectorIlNS0_10empty_typeEEEZNS1_21merge_sort_block_sortIS3_PlS8_PS5_S9_ZN2at6native12_GLOBAL__N_124unique_dim_cuda_templateIdEESt5tupleIJNSA_6TensorESF_SF_EERKSF_lbbbEUlllE_EE10hipError_tT0_T1_T2_T3_mRjT4_P12ihipStream_tbNS1_7vsmem_tEEUlT_E_NS1_11comp_targetILNS1_3genE8ELNS1_11target_archE1030ELNS1_3gpuE2ELNS1_3repE0EEENS1_30default_config_static_selectorELNS0_4arch9wavefront6targetE1EEEvSM_
		.amdhsa_group_segment_fixed_size 0
		.amdhsa_private_segment_fixed_size 0
		.amdhsa_kernarg_size 72
		.amdhsa_user_sgpr_count 2
		.amdhsa_user_sgpr_dispatch_ptr 0
		.amdhsa_user_sgpr_queue_ptr 0
		.amdhsa_user_sgpr_kernarg_segment_ptr 1
		.amdhsa_user_sgpr_dispatch_id 0
		.amdhsa_user_sgpr_kernarg_preload_length 0
		.amdhsa_user_sgpr_kernarg_preload_offset 0
		.amdhsa_user_sgpr_private_segment_size 0
		.amdhsa_uses_dynamic_stack 0
		.amdhsa_enable_private_segment 0
		.amdhsa_system_sgpr_workgroup_id_x 1
		.amdhsa_system_sgpr_workgroup_id_y 0
		.amdhsa_system_sgpr_workgroup_id_z 0
		.amdhsa_system_sgpr_workgroup_info 0
		.amdhsa_system_vgpr_workitem_id 0
		.amdhsa_next_free_vgpr 1
		.amdhsa_next_free_sgpr 0
		.amdhsa_accum_offset 4
		.amdhsa_reserve_vcc 0
		.amdhsa_float_round_mode_32 0
		.amdhsa_float_round_mode_16_64 0
		.amdhsa_float_denorm_mode_32 3
		.amdhsa_float_denorm_mode_16_64 3
		.amdhsa_dx10_clamp 1
		.amdhsa_ieee_mode 1
		.amdhsa_fp16_overflow 0
		.amdhsa_tg_split 0
		.amdhsa_exception_fp_ieee_invalid_op 0
		.amdhsa_exception_fp_denorm_src 0
		.amdhsa_exception_fp_ieee_div_zero 0
		.amdhsa_exception_fp_ieee_overflow 0
		.amdhsa_exception_fp_ieee_underflow 0
		.amdhsa_exception_fp_ieee_inexact 0
		.amdhsa_exception_int_div_zero 0
	.end_amdhsa_kernel
	.section	.text._ZN7rocprim17ROCPRIM_400000_NS6detail17trampoline_kernelINS0_14default_configENS1_37merge_sort_block_sort_config_selectorIlNS0_10empty_typeEEEZNS1_21merge_sort_block_sortIS3_PlS8_PS5_S9_ZN2at6native12_GLOBAL__N_124unique_dim_cuda_templateIdEESt5tupleIJNSA_6TensorESF_SF_EERKSF_lbbbEUlllE_EE10hipError_tT0_T1_T2_T3_mRjT4_P12ihipStream_tbNS1_7vsmem_tEEUlT_E_NS1_11comp_targetILNS1_3genE8ELNS1_11target_archE1030ELNS1_3gpuE2ELNS1_3repE0EEENS1_30default_config_static_selectorELNS0_4arch9wavefront6targetE1EEEvSM_,"axG",@progbits,_ZN7rocprim17ROCPRIM_400000_NS6detail17trampoline_kernelINS0_14default_configENS1_37merge_sort_block_sort_config_selectorIlNS0_10empty_typeEEEZNS1_21merge_sort_block_sortIS3_PlS8_PS5_S9_ZN2at6native12_GLOBAL__N_124unique_dim_cuda_templateIdEESt5tupleIJNSA_6TensorESF_SF_EERKSF_lbbbEUlllE_EE10hipError_tT0_T1_T2_T3_mRjT4_P12ihipStream_tbNS1_7vsmem_tEEUlT_E_NS1_11comp_targetILNS1_3genE8ELNS1_11target_archE1030ELNS1_3gpuE2ELNS1_3repE0EEENS1_30default_config_static_selectorELNS0_4arch9wavefront6targetE1EEEvSM_,comdat
.Lfunc_end763:
	.size	_ZN7rocprim17ROCPRIM_400000_NS6detail17trampoline_kernelINS0_14default_configENS1_37merge_sort_block_sort_config_selectorIlNS0_10empty_typeEEEZNS1_21merge_sort_block_sortIS3_PlS8_PS5_S9_ZN2at6native12_GLOBAL__N_124unique_dim_cuda_templateIdEESt5tupleIJNSA_6TensorESF_SF_EERKSF_lbbbEUlllE_EE10hipError_tT0_T1_T2_T3_mRjT4_P12ihipStream_tbNS1_7vsmem_tEEUlT_E_NS1_11comp_targetILNS1_3genE8ELNS1_11target_archE1030ELNS1_3gpuE2ELNS1_3repE0EEENS1_30default_config_static_selectorELNS0_4arch9wavefront6targetE1EEEvSM_, .Lfunc_end763-_ZN7rocprim17ROCPRIM_400000_NS6detail17trampoline_kernelINS0_14default_configENS1_37merge_sort_block_sort_config_selectorIlNS0_10empty_typeEEEZNS1_21merge_sort_block_sortIS3_PlS8_PS5_S9_ZN2at6native12_GLOBAL__N_124unique_dim_cuda_templateIdEESt5tupleIJNSA_6TensorESF_SF_EERKSF_lbbbEUlllE_EE10hipError_tT0_T1_T2_T3_mRjT4_P12ihipStream_tbNS1_7vsmem_tEEUlT_E_NS1_11comp_targetILNS1_3genE8ELNS1_11target_archE1030ELNS1_3gpuE2ELNS1_3repE0EEENS1_30default_config_static_selectorELNS0_4arch9wavefront6targetE1EEEvSM_
                                        ; -- End function
	.section	.AMDGPU.csdata,"",@progbits
; Kernel info:
; codeLenInByte = 0
; NumSgprs: 6
; NumVgprs: 0
; NumAgprs: 0
; TotalNumVgprs: 0
; ScratchSize: 0
; MemoryBound: 0
; FloatMode: 240
; IeeeMode: 1
; LDSByteSize: 0 bytes/workgroup (compile time only)
; SGPRBlocks: 0
; VGPRBlocks: 0
; NumSGPRsForWavesPerEU: 6
; NumVGPRsForWavesPerEU: 1
; AccumOffset: 4
; Occupancy: 8
; WaveLimiterHint : 0
; COMPUTE_PGM_RSRC2:SCRATCH_EN: 0
; COMPUTE_PGM_RSRC2:USER_SGPR: 2
; COMPUTE_PGM_RSRC2:TRAP_HANDLER: 0
; COMPUTE_PGM_RSRC2:TGID_X_EN: 1
; COMPUTE_PGM_RSRC2:TGID_Y_EN: 0
; COMPUTE_PGM_RSRC2:TGID_Z_EN: 0
; COMPUTE_PGM_RSRC2:TIDIG_COMP_CNT: 0
; COMPUTE_PGM_RSRC3_GFX90A:ACCUM_OFFSET: 0
; COMPUTE_PGM_RSRC3_GFX90A:TG_SPLIT: 0
	.section	.text._ZN7rocprim17ROCPRIM_400000_NS6detail17trampoline_kernelINS0_14default_configENS1_38merge_sort_block_merge_config_selectorIlNS0_10empty_typeEEEZZNS1_27merge_sort_block_merge_implIS3_PlPS5_mZN2at6native12_GLOBAL__N_124unique_dim_cuda_templateIdEESt5tupleIJNSA_6TensorESF_SF_EERKSF_lbbbEUlllE_EE10hipError_tT0_T1_T2_jT3_P12ihipStream_tbPNSt15iterator_traitsISL_E10value_typeEPNSR_ISM_E10value_typeEPSN_NS1_7vsmem_tEENKUlT_SL_SM_SN_E_clIS8_S8_S9_S9_EESK_S10_SL_SM_SN_EUlS10_E_NS1_11comp_targetILNS1_3genE0ELNS1_11target_archE4294967295ELNS1_3gpuE0ELNS1_3repE0EEENS1_48merge_mergepath_partition_config_static_selectorELNS0_4arch9wavefront6targetE1EEEvSM_,"axG",@progbits,_ZN7rocprim17ROCPRIM_400000_NS6detail17trampoline_kernelINS0_14default_configENS1_38merge_sort_block_merge_config_selectorIlNS0_10empty_typeEEEZZNS1_27merge_sort_block_merge_implIS3_PlPS5_mZN2at6native12_GLOBAL__N_124unique_dim_cuda_templateIdEESt5tupleIJNSA_6TensorESF_SF_EERKSF_lbbbEUlllE_EE10hipError_tT0_T1_T2_jT3_P12ihipStream_tbPNSt15iterator_traitsISL_E10value_typeEPNSR_ISM_E10value_typeEPSN_NS1_7vsmem_tEENKUlT_SL_SM_SN_E_clIS8_S8_S9_S9_EESK_S10_SL_SM_SN_EUlS10_E_NS1_11comp_targetILNS1_3genE0ELNS1_11target_archE4294967295ELNS1_3gpuE0ELNS1_3repE0EEENS1_48merge_mergepath_partition_config_static_selectorELNS0_4arch9wavefront6targetE1EEEvSM_,comdat
	.globl	_ZN7rocprim17ROCPRIM_400000_NS6detail17trampoline_kernelINS0_14default_configENS1_38merge_sort_block_merge_config_selectorIlNS0_10empty_typeEEEZZNS1_27merge_sort_block_merge_implIS3_PlPS5_mZN2at6native12_GLOBAL__N_124unique_dim_cuda_templateIdEESt5tupleIJNSA_6TensorESF_SF_EERKSF_lbbbEUlllE_EE10hipError_tT0_T1_T2_jT3_P12ihipStream_tbPNSt15iterator_traitsISL_E10value_typeEPNSR_ISM_E10value_typeEPSN_NS1_7vsmem_tEENKUlT_SL_SM_SN_E_clIS8_S8_S9_S9_EESK_S10_SL_SM_SN_EUlS10_E_NS1_11comp_targetILNS1_3genE0ELNS1_11target_archE4294967295ELNS1_3gpuE0ELNS1_3repE0EEENS1_48merge_mergepath_partition_config_static_selectorELNS0_4arch9wavefront6targetE1EEEvSM_ ; -- Begin function _ZN7rocprim17ROCPRIM_400000_NS6detail17trampoline_kernelINS0_14default_configENS1_38merge_sort_block_merge_config_selectorIlNS0_10empty_typeEEEZZNS1_27merge_sort_block_merge_implIS3_PlPS5_mZN2at6native12_GLOBAL__N_124unique_dim_cuda_templateIdEESt5tupleIJNSA_6TensorESF_SF_EERKSF_lbbbEUlllE_EE10hipError_tT0_T1_T2_jT3_P12ihipStream_tbPNSt15iterator_traitsISL_E10value_typeEPNSR_ISM_E10value_typeEPSN_NS1_7vsmem_tEENKUlT_SL_SM_SN_E_clIS8_S8_S9_S9_EESK_S10_SL_SM_SN_EUlS10_E_NS1_11comp_targetILNS1_3genE0ELNS1_11target_archE4294967295ELNS1_3gpuE0ELNS1_3repE0EEENS1_48merge_mergepath_partition_config_static_selectorELNS0_4arch9wavefront6targetE1EEEvSM_
	.p2align	8
	.type	_ZN7rocprim17ROCPRIM_400000_NS6detail17trampoline_kernelINS0_14default_configENS1_38merge_sort_block_merge_config_selectorIlNS0_10empty_typeEEEZZNS1_27merge_sort_block_merge_implIS3_PlPS5_mZN2at6native12_GLOBAL__N_124unique_dim_cuda_templateIdEESt5tupleIJNSA_6TensorESF_SF_EERKSF_lbbbEUlllE_EE10hipError_tT0_T1_T2_jT3_P12ihipStream_tbPNSt15iterator_traitsISL_E10value_typeEPNSR_ISM_E10value_typeEPSN_NS1_7vsmem_tEENKUlT_SL_SM_SN_E_clIS8_S8_S9_S9_EESK_S10_SL_SM_SN_EUlS10_E_NS1_11comp_targetILNS1_3genE0ELNS1_11target_archE4294967295ELNS1_3gpuE0ELNS1_3repE0EEENS1_48merge_mergepath_partition_config_static_selectorELNS0_4arch9wavefront6targetE1EEEvSM_,@function
_ZN7rocprim17ROCPRIM_400000_NS6detail17trampoline_kernelINS0_14default_configENS1_38merge_sort_block_merge_config_selectorIlNS0_10empty_typeEEEZZNS1_27merge_sort_block_merge_implIS3_PlPS5_mZN2at6native12_GLOBAL__N_124unique_dim_cuda_templateIdEESt5tupleIJNSA_6TensorESF_SF_EERKSF_lbbbEUlllE_EE10hipError_tT0_T1_T2_jT3_P12ihipStream_tbPNSt15iterator_traitsISL_E10value_typeEPNSR_ISM_E10value_typeEPSN_NS1_7vsmem_tEENKUlT_SL_SM_SN_E_clIS8_S8_S9_S9_EESK_S10_SL_SM_SN_EUlS10_E_NS1_11comp_targetILNS1_3genE0ELNS1_11target_archE4294967295ELNS1_3gpuE0ELNS1_3repE0EEENS1_48merge_mergepath_partition_config_static_selectorELNS0_4arch9wavefront6targetE1EEEvSM_: ; @_ZN7rocprim17ROCPRIM_400000_NS6detail17trampoline_kernelINS0_14default_configENS1_38merge_sort_block_merge_config_selectorIlNS0_10empty_typeEEEZZNS1_27merge_sort_block_merge_implIS3_PlPS5_mZN2at6native12_GLOBAL__N_124unique_dim_cuda_templateIdEESt5tupleIJNSA_6TensorESF_SF_EERKSF_lbbbEUlllE_EE10hipError_tT0_T1_T2_jT3_P12ihipStream_tbPNSt15iterator_traitsISL_E10value_typeEPNSR_ISM_E10value_typeEPSN_NS1_7vsmem_tEENKUlT_SL_SM_SN_E_clIS8_S8_S9_S9_EESK_S10_SL_SM_SN_EUlS10_E_NS1_11comp_targetILNS1_3genE0ELNS1_11target_archE4294967295ELNS1_3gpuE0ELNS1_3repE0EEENS1_48merge_mergepath_partition_config_static_selectorELNS0_4arch9wavefront6targetE1EEEvSM_
; %bb.0:
	.section	.rodata,"a",@progbits
	.p2align	6, 0x0
	.amdhsa_kernel _ZN7rocprim17ROCPRIM_400000_NS6detail17trampoline_kernelINS0_14default_configENS1_38merge_sort_block_merge_config_selectorIlNS0_10empty_typeEEEZZNS1_27merge_sort_block_merge_implIS3_PlPS5_mZN2at6native12_GLOBAL__N_124unique_dim_cuda_templateIdEESt5tupleIJNSA_6TensorESF_SF_EERKSF_lbbbEUlllE_EE10hipError_tT0_T1_T2_jT3_P12ihipStream_tbPNSt15iterator_traitsISL_E10value_typeEPNSR_ISM_E10value_typeEPSN_NS1_7vsmem_tEENKUlT_SL_SM_SN_E_clIS8_S8_S9_S9_EESK_S10_SL_SM_SN_EUlS10_E_NS1_11comp_targetILNS1_3genE0ELNS1_11target_archE4294967295ELNS1_3gpuE0ELNS1_3repE0EEENS1_48merge_mergepath_partition_config_static_selectorELNS0_4arch9wavefront6targetE1EEEvSM_
		.amdhsa_group_segment_fixed_size 0
		.amdhsa_private_segment_fixed_size 0
		.amdhsa_kernarg_size 56
		.amdhsa_user_sgpr_count 2
		.amdhsa_user_sgpr_dispatch_ptr 0
		.amdhsa_user_sgpr_queue_ptr 0
		.amdhsa_user_sgpr_kernarg_segment_ptr 1
		.amdhsa_user_sgpr_dispatch_id 0
		.amdhsa_user_sgpr_kernarg_preload_length 0
		.amdhsa_user_sgpr_kernarg_preload_offset 0
		.amdhsa_user_sgpr_private_segment_size 0
		.amdhsa_uses_dynamic_stack 0
		.amdhsa_enable_private_segment 0
		.amdhsa_system_sgpr_workgroup_id_x 1
		.amdhsa_system_sgpr_workgroup_id_y 0
		.amdhsa_system_sgpr_workgroup_id_z 0
		.amdhsa_system_sgpr_workgroup_info 0
		.amdhsa_system_vgpr_workitem_id 0
		.amdhsa_next_free_vgpr 1
		.amdhsa_next_free_sgpr 0
		.amdhsa_accum_offset 4
		.amdhsa_reserve_vcc 0
		.amdhsa_float_round_mode_32 0
		.amdhsa_float_round_mode_16_64 0
		.amdhsa_float_denorm_mode_32 3
		.amdhsa_float_denorm_mode_16_64 3
		.amdhsa_dx10_clamp 1
		.amdhsa_ieee_mode 1
		.amdhsa_fp16_overflow 0
		.amdhsa_tg_split 0
		.amdhsa_exception_fp_ieee_invalid_op 0
		.amdhsa_exception_fp_denorm_src 0
		.amdhsa_exception_fp_ieee_div_zero 0
		.amdhsa_exception_fp_ieee_overflow 0
		.amdhsa_exception_fp_ieee_underflow 0
		.amdhsa_exception_fp_ieee_inexact 0
		.amdhsa_exception_int_div_zero 0
	.end_amdhsa_kernel
	.section	.text._ZN7rocprim17ROCPRIM_400000_NS6detail17trampoline_kernelINS0_14default_configENS1_38merge_sort_block_merge_config_selectorIlNS0_10empty_typeEEEZZNS1_27merge_sort_block_merge_implIS3_PlPS5_mZN2at6native12_GLOBAL__N_124unique_dim_cuda_templateIdEESt5tupleIJNSA_6TensorESF_SF_EERKSF_lbbbEUlllE_EE10hipError_tT0_T1_T2_jT3_P12ihipStream_tbPNSt15iterator_traitsISL_E10value_typeEPNSR_ISM_E10value_typeEPSN_NS1_7vsmem_tEENKUlT_SL_SM_SN_E_clIS8_S8_S9_S9_EESK_S10_SL_SM_SN_EUlS10_E_NS1_11comp_targetILNS1_3genE0ELNS1_11target_archE4294967295ELNS1_3gpuE0ELNS1_3repE0EEENS1_48merge_mergepath_partition_config_static_selectorELNS0_4arch9wavefront6targetE1EEEvSM_,"axG",@progbits,_ZN7rocprim17ROCPRIM_400000_NS6detail17trampoline_kernelINS0_14default_configENS1_38merge_sort_block_merge_config_selectorIlNS0_10empty_typeEEEZZNS1_27merge_sort_block_merge_implIS3_PlPS5_mZN2at6native12_GLOBAL__N_124unique_dim_cuda_templateIdEESt5tupleIJNSA_6TensorESF_SF_EERKSF_lbbbEUlllE_EE10hipError_tT0_T1_T2_jT3_P12ihipStream_tbPNSt15iterator_traitsISL_E10value_typeEPNSR_ISM_E10value_typeEPSN_NS1_7vsmem_tEENKUlT_SL_SM_SN_E_clIS8_S8_S9_S9_EESK_S10_SL_SM_SN_EUlS10_E_NS1_11comp_targetILNS1_3genE0ELNS1_11target_archE4294967295ELNS1_3gpuE0ELNS1_3repE0EEENS1_48merge_mergepath_partition_config_static_selectorELNS0_4arch9wavefront6targetE1EEEvSM_,comdat
.Lfunc_end764:
	.size	_ZN7rocprim17ROCPRIM_400000_NS6detail17trampoline_kernelINS0_14default_configENS1_38merge_sort_block_merge_config_selectorIlNS0_10empty_typeEEEZZNS1_27merge_sort_block_merge_implIS3_PlPS5_mZN2at6native12_GLOBAL__N_124unique_dim_cuda_templateIdEESt5tupleIJNSA_6TensorESF_SF_EERKSF_lbbbEUlllE_EE10hipError_tT0_T1_T2_jT3_P12ihipStream_tbPNSt15iterator_traitsISL_E10value_typeEPNSR_ISM_E10value_typeEPSN_NS1_7vsmem_tEENKUlT_SL_SM_SN_E_clIS8_S8_S9_S9_EESK_S10_SL_SM_SN_EUlS10_E_NS1_11comp_targetILNS1_3genE0ELNS1_11target_archE4294967295ELNS1_3gpuE0ELNS1_3repE0EEENS1_48merge_mergepath_partition_config_static_selectorELNS0_4arch9wavefront6targetE1EEEvSM_, .Lfunc_end764-_ZN7rocprim17ROCPRIM_400000_NS6detail17trampoline_kernelINS0_14default_configENS1_38merge_sort_block_merge_config_selectorIlNS0_10empty_typeEEEZZNS1_27merge_sort_block_merge_implIS3_PlPS5_mZN2at6native12_GLOBAL__N_124unique_dim_cuda_templateIdEESt5tupleIJNSA_6TensorESF_SF_EERKSF_lbbbEUlllE_EE10hipError_tT0_T1_T2_jT3_P12ihipStream_tbPNSt15iterator_traitsISL_E10value_typeEPNSR_ISM_E10value_typeEPSN_NS1_7vsmem_tEENKUlT_SL_SM_SN_E_clIS8_S8_S9_S9_EESK_S10_SL_SM_SN_EUlS10_E_NS1_11comp_targetILNS1_3genE0ELNS1_11target_archE4294967295ELNS1_3gpuE0ELNS1_3repE0EEENS1_48merge_mergepath_partition_config_static_selectorELNS0_4arch9wavefront6targetE1EEEvSM_
                                        ; -- End function
	.section	.AMDGPU.csdata,"",@progbits
; Kernel info:
; codeLenInByte = 0
; NumSgprs: 6
; NumVgprs: 0
; NumAgprs: 0
; TotalNumVgprs: 0
; ScratchSize: 0
; MemoryBound: 0
; FloatMode: 240
; IeeeMode: 1
; LDSByteSize: 0 bytes/workgroup (compile time only)
; SGPRBlocks: 0
; VGPRBlocks: 0
; NumSGPRsForWavesPerEU: 6
; NumVGPRsForWavesPerEU: 1
; AccumOffset: 4
; Occupancy: 8
; WaveLimiterHint : 0
; COMPUTE_PGM_RSRC2:SCRATCH_EN: 0
; COMPUTE_PGM_RSRC2:USER_SGPR: 2
; COMPUTE_PGM_RSRC2:TRAP_HANDLER: 0
; COMPUTE_PGM_RSRC2:TGID_X_EN: 1
; COMPUTE_PGM_RSRC2:TGID_Y_EN: 0
; COMPUTE_PGM_RSRC2:TGID_Z_EN: 0
; COMPUTE_PGM_RSRC2:TIDIG_COMP_CNT: 0
; COMPUTE_PGM_RSRC3_GFX90A:ACCUM_OFFSET: 0
; COMPUTE_PGM_RSRC3_GFX90A:TG_SPLIT: 0
	.section	.text._ZN7rocprim17ROCPRIM_400000_NS6detail17trampoline_kernelINS0_14default_configENS1_38merge_sort_block_merge_config_selectorIlNS0_10empty_typeEEEZZNS1_27merge_sort_block_merge_implIS3_PlPS5_mZN2at6native12_GLOBAL__N_124unique_dim_cuda_templateIdEESt5tupleIJNSA_6TensorESF_SF_EERKSF_lbbbEUlllE_EE10hipError_tT0_T1_T2_jT3_P12ihipStream_tbPNSt15iterator_traitsISL_E10value_typeEPNSR_ISM_E10value_typeEPSN_NS1_7vsmem_tEENKUlT_SL_SM_SN_E_clIS8_S8_S9_S9_EESK_S10_SL_SM_SN_EUlS10_E_NS1_11comp_targetILNS1_3genE10ELNS1_11target_archE1201ELNS1_3gpuE5ELNS1_3repE0EEENS1_48merge_mergepath_partition_config_static_selectorELNS0_4arch9wavefront6targetE1EEEvSM_,"axG",@progbits,_ZN7rocprim17ROCPRIM_400000_NS6detail17trampoline_kernelINS0_14default_configENS1_38merge_sort_block_merge_config_selectorIlNS0_10empty_typeEEEZZNS1_27merge_sort_block_merge_implIS3_PlPS5_mZN2at6native12_GLOBAL__N_124unique_dim_cuda_templateIdEESt5tupleIJNSA_6TensorESF_SF_EERKSF_lbbbEUlllE_EE10hipError_tT0_T1_T2_jT3_P12ihipStream_tbPNSt15iterator_traitsISL_E10value_typeEPNSR_ISM_E10value_typeEPSN_NS1_7vsmem_tEENKUlT_SL_SM_SN_E_clIS8_S8_S9_S9_EESK_S10_SL_SM_SN_EUlS10_E_NS1_11comp_targetILNS1_3genE10ELNS1_11target_archE1201ELNS1_3gpuE5ELNS1_3repE0EEENS1_48merge_mergepath_partition_config_static_selectorELNS0_4arch9wavefront6targetE1EEEvSM_,comdat
	.globl	_ZN7rocprim17ROCPRIM_400000_NS6detail17trampoline_kernelINS0_14default_configENS1_38merge_sort_block_merge_config_selectorIlNS0_10empty_typeEEEZZNS1_27merge_sort_block_merge_implIS3_PlPS5_mZN2at6native12_GLOBAL__N_124unique_dim_cuda_templateIdEESt5tupleIJNSA_6TensorESF_SF_EERKSF_lbbbEUlllE_EE10hipError_tT0_T1_T2_jT3_P12ihipStream_tbPNSt15iterator_traitsISL_E10value_typeEPNSR_ISM_E10value_typeEPSN_NS1_7vsmem_tEENKUlT_SL_SM_SN_E_clIS8_S8_S9_S9_EESK_S10_SL_SM_SN_EUlS10_E_NS1_11comp_targetILNS1_3genE10ELNS1_11target_archE1201ELNS1_3gpuE5ELNS1_3repE0EEENS1_48merge_mergepath_partition_config_static_selectorELNS0_4arch9wavefront6targetE1EEEvSM_ ; -- Begin function _ZN7rocprim17ROCPRIM_400000_NS6detail17trampoline_kernelINS0_14default_configENS1_38merge_sort_block_merge_config_selectorIlNS0_10empty_typeEEEZZNS1_27merge_sort_block_merge_implIS3_PlPS5_mZN2at6native12_GLOBAL__N_124unique_dim_cuda_templateIdEESt5tupleIJNSA_6TensorESF_SF_EERKSF_lbbbEUlllE_EE10hipError_tT0_T1_T2_jT3_P12ihipStream_tbPNSt15iterator_traitsISL_E10value_typeEPNSR_ISM_E10value_typeEPSN_NS1_7vsmem_tEENKUlT_SL_SM_SN_E_clIS8_S8_S9_S9_EESK_S10_SL_SM_SN_EUlS10_E_NS1_11comp_targetILNS1_3genE10ELNS1_11target_archE1201ELNS1_3gpuE5ELNS1_3repE0EEENS1_48merge_mergepath_partition_config_static_selectorELNS0_4arch9wavefront6targetE1EEEvSM_
	.p2align	8
	.type	_ZN7rocprim17ROCPRIM_400000_NS6detail17trampoline_kernelINS0_14default_configENS1_38merge_sort_block_merge_config_selectorIlNS0_10empty_typeEEEZZNS1_27merge_sort_block_merge_implIS3_PlPS5_mZN2at6native12_GLOBAL__N_124unique_dim_cuda_templateIdEESt5tupleIJNSA_6TensorESF_SF_EERKSF_lbbbEUlllE_EE10hipError_tT0_T1_T2_jT3_P12ihipStream_tbPNSt15iterator_traitsISL_E10value_typeEPNSR_ISM_E10value_typeEPSN_NS1_7vsmem_tEENKUlT_SL_SM_SN_E_clIS8_S8_S9_S9_EESK_S10_SL_SM_SN_EUlS10_E_NS1_11comp_targetILNS1_3genE10ELNS1_11target_archE1201ELNS1_3gpuE5ELNS1_3repE0EEENS1_48merge_mergepath_partition_config_static_selectorELNS0_4arch9wavefront6targetE1EEEvSM_,@function
_ZN7rocprim17ROCPRIM_400000_NS6detail17trampoline_kernelINS0_14default_configENS1_38merge_sort_block_merge_config_selectorIlNS0_10empty_typeEEEZZNS1_27merge_sort_block_merge_implIS3_PlPS5_mZN2at6native12_GLOBAL__N_124unique_dim_cuda_templateIdEESt5tupleIJNSA_6TensorESF_SF_EERKSF_lbbbEUlllE_EE10hipError_tT0_T1_T2_jT3_P12ihipStream_tbPNSt15iterator_traitsISL_E10value_typeEPNSR_ISM_E10value_typeEPSN_NS1_7vsmem_tEENKUlT_SL_SM_SN_E_clIS8_S8_S9_S9_EESK_S10_SL_SM_SN_EUlS10_E_NS1_11comp_targetILNS1_3genE10ELNS1_11target_archE1201ELNS1_3gpuE5ELNS1_3repE0EEENS1_48merge_mergepath_partition_config_static_selectorELNS0_4arch9wavefront6targetE1EEEvSM_: ; @_ZN7rocprim17ROCPRIM_400000_NS6detail17trampoline_kernelINS0_14default_configENS1_38merge_sort_block_merge_config_selectorIlNS0_10empty_typeEEEZZNS1_27merge_sort_block_merge_implIS3_PlPS5_mZN2at6native12_GLOBAL__N_124unique_dim_cuda_templateIdEESt5tupleIJNSA_6TensorESF_SF_EERKSF_lbbbEUlllE_EE10hipError_tT0_T1_T2_jT3_P12ihipStream_tbPNSt15iterator_traitsISL_E10value_typeEPNSR_ISM_E10value_typeEPSN_NS1_7vsmem_tEENKUlT_SL_SM_SN_E_clIS8_S8_S9_S9_EESK_S10_SL_SM_SN_EUlS10_E_NS1_11comp_targetILNS1_3genE10ELNS1_11target_archE1201ELNS1_3gpuE5ELNS1_3repE0EEENS1_48merge_mergepath_partition_config_static_selectorELNS0_4arch9wavefront6targetE1EEEvSM_
; %bb.0:
	.section	.rodata,"a",@progbits
	.p2align	6, 0x0
	.amdhsa_kernel _ZN7rocprim17ROCPRIM_400000_NS6detail17trampoline_kernelINS0_14default_configENS1_38merge_sort_block_merge_config_selectorIlNS0_10empty_typeEEEZZNS1_27merge_sort_block_merge_implIS3_PlPS5_mZN2at6native12_GLOBAL__N_124unique_dim_cuda_templateIdEESt5tupleIJNSA_6TensorESF_SF_EERKSF_lbbbEUlllE_EE10hipError_tT0_T1_T2_jT3_P12ihipStream_tbPNSt15iterator_traitsISL_E10value_typeEPNSR_ISM_E10value_typeEPSN_NS1_7vsmem_tEENKUlT_SL_SM_SN_E_clIS8_S8_S9_S9_EESK_S10_SL_SM_SN_EUlS10_E_NS1_11comp_targetILNS1_3genE10ELNS1_11target_archE1201ELNS1_3gpuE5ELNS1_3repE0EEENS1_48merge_mergepath_partition_config_static_selectorELNS0_4arch9wavefront6targetE1EEEvSM_
		.amdhsa_group_segment_fixed_size 0
		.amdhsa_private_segment_fixed_size 0
		.amdhsa_kernarg_size 56
		.amdhsa_user_sgpr_count 2
		.amdhsa_user_sgpr_dispatch_ptr 0
		.amdhsa_user_sgpr_queue_ptr 0
		.amdhsa_user_sgpr_kernarg_segment_ptr 1
		.amdhsa_user_sgpr_dispatch_id 0
		.amdhsa_user_sgpr_kernarg_preload_length 0
		.amdhsa_user_sgpr_kernarg_preload_offset 0
		.amdhsa_user_sgpr_private_segment_size 0
		.amdhsa_uses_dynamic_stack 0
		.amdhsa_enable_private_segment 0
		.amdhsa_system_sgpr_workgroup_id_x 1
		.amdhsa_system_sgpr_workgroup_id_y 0
		.amdhsa_system_sgpr_workgroup_id_z 0
		.amdhsa_system_sgpr_workgroup_info 0
		.amdhsa_system_vgpr_workitem_id 0
		.amdhsa_next_free_vgpr 1
		.amdhsa_next_free_sgpr 0
		.amdhsa_accum_offset 4
		.amdhsa_reserve_vcc 0
		.amdhsa_float_round_mode_32 0
		.amdhsa_float_round_mode_16_64 0
		.amdhsa_float_denorm_mode_32 3
		.amdhsa_float_denorm_mode_16_64 3
		.amdhsa_dx10_clamp 1
		.amdhsa_ieee_mode 1
		.amdhsa_fp16_overflow 0
		.amdhsa_tg_split 0
		.amdhsa_exception_fp_ieee_invalid_op 0
		.amdhsa_exception_fp_denorm_src 0
		.amdhsa_exception_fp_ieee_div_zero 0
		.amdhsa_exception_fp_ieee_overflow 0
		.amdhsa_exception_fp_ieee_underflow 0
		.amdhsa_exception_fp_ieee_inexact 0
		.amdhsa_exception_int_div_zero 0
	.end_amdhsa_kernel
	.section	.text._ZN7rocprim17ROCPRIM_400000_NS6detail17trampoline_kernelINS0_14default_configENS1_38merge_sort_block_merge_config_selectorIlNS0_10empty_typeEEEZZNS1_27merge_sort_block_merge_implIS3_PlPS5_mZN2at6native12_GLOBAL__N_124unique_dim_cuda_templateIdEESt5tupleIJNSA_6TensorESF_SF_EERKSF_lbbbEUlllE_EE10hipError_tT0_T1_T2_jT3_P12ihipStream_tbPNSt15iterator_traitsISL_E10value_typeEPNSR_ISM_E10value_typeEPSN_NS1_7vsmem_tEENKUlT_SL_SM_SN_E_clIS8_S8_S9_S9_EESK_S10_SL_SM_SN_EUlS10_E_NS1_11comp_targetILNS1_3genE10ELNS1_11target_archE1201ELNS1_3gpuE5ELNS1_3repE0EEENS1_48merge_mergepath_partition_config_static_selectorELNS0_4arch9wavefront6targetE1EEEvSM_,"axG",@progbits,_ZN7rocprim17ROCPRIM_400000_NS6detail17trampoline_kernelINS0_14default_configENS1_38merge_sort_block_merge_config_selectorIlNS0_10empty_typeEEEZZNS1_27merge_sort_block_merge_implIS3_PlPS5_mZN2at6native12_GLOBAL__N_124unique_dim_cuda_templateIdEESt5tupleIJNSA_6TensorESF_SF_EERKSF_lbbbEUlllE_EE10hipError_tT0_T1_T2_jT3_P12ihipStream_tbPNSt15iterator_traitsISL_E10value_typeEPNSR_ISM_E10value_typeEPSN_NS1_7vsmem_tEENKUlT_SL_SM_SN_E_clIS8_S8_S9_S9_EESK_S10_SL_SM_SN_EUlS10_E_NS1_11comp_targetILNS1_3genE10ELNS1_11target_archE1201ELNS1_3gpuE5ELNS1_3repE0EEENS1_48merge_mergepath_partition_config_static_selectorELNS0_4arch9wavefront6targetE1EEEvSM_,comdat
.Lfunc_end765:
	.size	_ZN7rocprim17ROCPRIM_400000_NS6detail17trampoline_kernelINS0_14default_configENS1_38merge_sort_block_merge_config_selectorIlNS0_10empty_typeEEEZZNS1_27merge_sort_block_merge_implIS3_PlPS5_mZN2at6native12_GLOBAL__N_124unique_dim_cuda_templateIdEESt5tupleIJNSA_6TensorESF_SF_EERKSF_lbbbEUlllE_EE10hipError_tT0_T1_T2_jT3_P12ihipStream_tbPNSt15iterator_traitsISL_E10value_typeEPNSR_ISM_E10value_typeEPSN_NS1_7vsmem_tEENKUlT_SL_SM_SN_E_clIS8_S8_S9_S9_EESK_S10_SL_SM_SN_EUlS10_E_NS1_11comp_targetILNS1_3genE10ELNS1_11target_archE1201ELNS1_3gpuE5ELNS1_3repE0EEENS1_48merge_mergepath_partition_config_static_selectorELNS0_4arch9wavefront6targetE1EEEvSM_, .Lfunc_end765-_ZN7rocprim17ROCPRIM_400000_NS6detail17trampoline_kernelINS0_14default_configENS1_38merge_sort_block_merge_config_selectorIlNS0_10empty_typeEEEZZNS1_27merge_sort_block_merge_implIS3_PlPS5_mZN2at6native12_GLOBAL__N_124unique_dim_cuda_templateIdEESt5tupleIJNSA_6TensorESF_SF_EERKSF_lbbbEUlllE_EE10hipError_tT0_T1_T2_jT3_P12ihipStream_tbPNSt15iterator_traitsISL_E10value_typeEPNSR_ISM_E10value_typeEPSN_NS1_7vsmem_tEENKUlT_SL_SM_SN_E_clIS8_S8_S9_S9_EESK_S10_SL_SM_SN_EUlS10_E_NS1_11comp_targetILNS1_3genE10ELNS1_11target_archE1201ELNS1_3gpuE5ELNS1_3repE0EEENS1_48merge_mergepath_partition_config_static_selectorELNS0_4arch9wavefront6targetE1EEEvSM_
                                        ; -- End function
	.section	.AMDGPU.csdata,"",@progbits
; Kernel info:
; codeLenInByte = 0
; NumSgprs: 6
; NumVgprs: 0
; NumAgprs: 0
; TotalNumVgprs: 0
; ScratchSize: 0
; MemoryBound: 0
; FloatMode: 240
; IeeeMode: 1
; LDSByteSize: 0 bytes/workgroup (compile time only)
; SGPRBlocks: 0
; VGPRBlocks: 0
; NumSGPRsForWavesPerEU: 6
; NumVGPRsForWavesPerEU: 1
; AccumOffset: 4
; Occupancy: 8
; WaveLimiterHint : 0
; COMPUTE_PGM_RSRC2:SCRATCH_EN: 0
; COMPUTE_PGM_RSRC2:USER_SGPR: 2
; COMPUTE_PGM_RSRC2:TRAP_HANDLER: 0
; COMPUTE_PGM_RSRC2:TGID_X_EN: 1
; COMPUTE_PGM_RSRC2:TGID_Y_EN: 0
; COMPUTE_PGM_RSRC2:TGID_Z_EN: 0
; COMPUTE_PGM_RSRC2:TIDIG_COMP_CNT: 0
; COMPUTE_PGM_RSRC3_GFX90A:ACCUM_OFFSET: 0
; COMPUTE_PGM_RSRC3_GFX90A:TG_SPLIT: 0
	.section	.text._ZN7rocprim17ROCPRIM_400000_NS6detail17trampoline_kernelINS0_14default_configENS1_38merge_sort_block_merge_config_selectorIlNS0_10empty_typeEEEZZNS1_27merge_sort_block_merge_implIS3_PlPS5_mZN2at6native12_GLOBAL__N_124unique_dim_cuda_templateIdEESt5tupleIJNSA_6TensorESF_SF_EERKSF_lbbbEUlllE_EE10hipError_tT0_T1_T2_jT3_P12ihipStream_tbPNSt15iterator_traitsISL_E10value_typeEPNSR_ISM_E10value_typeEPSN_NS1_7vsmem_tEENKUlT_SL_SM_SN_E_clIS8_S8_S9_S9_EESK_S10_SL_SM_SN_EUlS10_E_NS1_11comp_targetILNS1_3genE5ELNS1_11target_archE942ELNS1_3gpuE9ELNS1_3repE0EEENS1_48merge_mergepath_partition_config_static_selectorELNS0_4arch9wavefront6targetE1EEEvSM_,"axG",@progbits,_ZN7rocprim17ROCPRIM_400000_NS6detail17trampoline_kernelINS0_14default_configENS1_38merge_sort_block_merge_config_selectorIlNS0_10empty_typeEEEZZNS1_27merge_sort_block_merge_implIS3_PlPS5_mZN2at6native12_GLOBAL__N_124unique_dim_cuda_templateIdEESt5tupleIJNSA_6TensorESF_SF_EERKSF_lbbbEUlllE_EE10hipError_tT0_T1_T2_jT3_P12ihipStream_tbPNSt15iterator_traitsISL_E10value_typeEPNSR_ISM_E10value_typeEPSN_NS1_7vsmem_tEENKUlT_SL_SM_SN_E_clIS8_S8_S9_S9_EESK_S10_SL_SM_SN_EUlS10_E_NS1_11comp_targetILNS1_3genE5ELNS1_11target_archE942ELNS1_3gpuE9ELNS1_3repE0EEENS1_48merge_mergepath_partition_config_static_selectorELNS0_4arch9wavefront6targetE1EEEvSM_,comdat
	.globl	_ZN7rocprim17ROCPRIM_400000_NS6detail17trampoline_kernelINS0_14default_configENS1_38merge_sort_block_merge_config_selectorIlNS0_10empty_typeEEEZZNS1_27merge_sort_block_merge_implIS3_PlPS5_mZN2at6native12_GLOBAL__N_124unique_dim_cuda_templateIdEESt5tupleIJNSA_6TensorESF_SF_EERKSF_lbbbEUlllE_EE10hipError_tT0_T1_T2_jT3_P12ihipStream_tbPNSt15iterator_traitsISL_E10value_typeEPNSR_ISM_E10value_typeEPSN_NS1_7vsmem_tEENKUlT_SL_SM_SN_E_clIS8_S8_S9_S9_EESK_S10_SL_SM_SN_EUlS10_E_NS1_11comp_targetILNS1_3genE5ELNS1_11target_archE942ELNS1_3gpuE9ELNS1_3repE0EEENS1_48merge_mergepath_partition_config_static_selectorELNS0_4arch9wavefront6targetE1EEEvSM_ ; -- Begin function _ZN7rocprim17ROCPRIM_400000_NS6detail17trampoline_kernelINS0_14default_configENS1_38merge_sort_block_merge_config_selectorIlNS0_10empty_typeEEEZZNS1_27merge_sort_block_merge_implIS3_PlPS5_mZN2at6native12_GLOBAL__N_124unique_dim_cuda_templateIdEESt5tupleIJNSA_6TensorESF_SF_EERKSF_lbbbEUlllE_EE10hipError_tT0_T1_T2_jT3_P12ihipStream_tbPNSt15iterator_traitsISL_E10value_typeEPNSR_ISM_E10value_typeEPSN_NS1_7vsmem_tEENKUlT_SL_SM_SN_E_clIS8_S8_S9_S9_EESK_S10_SL_SM_SN_EUlS10_E_NS1_11comp_targetILNS1_3genE5ELNS1_11target_archE942ELNS1_3gpuE9ELNS1_3repE0EEENS1_48merge_mergepath_partition_config_static_selectorELNS0_4arch9wavefront6targetE1EEEvSM_
	.p2align	8
	.type	_ZN7rocprim17ROCPRIM_400000_NS6detail17trampoline_kernelINS0_14default_configENS1_38merge_sort_block_merge_config_selectorIlNS0_10empty_typeEEEZZNS1_27merge_sort_block_merge_implIS3_PlPS5_mZN2at6native12_GLOBAL__N_124unique_dim_cuda_templateIdEESt5tupleIJNSA_6TensorESF_SF_EERKSF_lbbbEUlllE_EE10hipError_tT0_T1_T2_jT3_P12ihipStream_tbPNSt15iterator_traitsISL_E10value_typeEPNSR_ISM_E10value_typeEPSN_NS1_7vsmem_tEENKUlT_SL_SM_SN_E_clIS8_S8_S9_S9_EESK_S10_SL_SM_SN_EUlS10_E_NS1_11comp_targetILNS1_3genE5ELNS1_11target_archE942ELNS1_3gpuE9ELNS1_3repE0EEENS1_48merge_mergepath_partition_config_static_selectorELNS0_4arch9wavefront6targetE1EEEvSM_,@function
_ZN7rocprim17ROCPRIM_400000_NS6detail17trampoline_kernelINS0_14default_configENS1_38merge_sort_block_merge_config_selectorIlNS0_10empty_typeEEEZZNS1_27merge_sort_block_merge_implIS3_PlPS5_mZN2at6native12_GLOBAL__N_124unique_dim_cuda_templateIdEESt5tupleIJNSA_6TensorESF_SF_EERKSF_lbbbEUlllE_EE10hipError_tT0_T1_T2_jT3_P12ihipStream_tbPNSt15iterator_traitsISL_E10value_typeEPNSR_ISM_E10value_typeEPSN_NS1_7vsmem_tEENKUlT_SL_SM_SN_E_clIS8_S8_S9_S9_EESK_S10_SL_SM_SN_EUlS10_E_NS1_11comp_targetILNS1_3genE5ELNS1_11target_archE942ELNS1_3gpuE9ELNS1_3repE0EEENS1_48merge_mergepath_partition_config_static_selectorELNS0_4arch9wavefront6targetE1EEEvSM_: ; @_ZN7rocprim17ROCPRIM_400000_NS6detail17trampoline_kernelINS0_14default_configENS1_38merge_sort_block_merge_config_selectorIlNS0_10empty_typeEEEZZNS1_27merge_sort_block_merge_implIS3_PlPS5_mZN2at6native12_GLOBAL__N_124unique_dim_cuda_templateIdEESt5tupleIJNSA_6TensorESF_SF_EERKSF_lbbbEUlllE_EE10hipError_tT0_T1_T2_jT3_P12ihipStream_tbPNSt15iterator_traitsISL_E10value_typeEPNSR_ISM_E10value_typeEPSN_NS1_7vsmem_tEENKUlT_SL_SM_SN_E_clIS8_S8_S9_S9_EESK_S10_SL_SM_SN_EUlS10_E_NS1_11comp_targetILNS1_3genE5ELNS1_11target_archE942ELNS1_3gpuE9ELNS1_3repE0EEENS1_48merge_mergepath_partition_config_static_selectorELNS0_4arch9wavefront6targetE1EEEvSM_
; %bb.0:
	s_load_dword s3, s[0:1], 0x0
	v_lshl_or_b32 v0, s2, 7, v0
	s_waitcnt lgkmcnt(0)
	v_cmp_gt_u32_e32 vcc, s3, v0
	s_and_saveexec_b64 s[2:3], vcc
	s_cbranch_execz .LBB766_12
; %bb.1:
	s_load_dwordx4 s[12:15], s[0:1], 0x8
	s_load_dwordx8 s[4:11], s[0:1], 0x18
	v_mov_b32_e32 v5, 0
	v_mov_b32_e32 v7, v5
	s_waitcnt lgkmcnt(0)
	v_mov_b32_e32 v1, s12
	v_alignbit_b32 v1, s13, v1, 9
	v_and_b32_e32 v1, -2, v1
	v_add_u32_e32 v2, -1, v1
	v_sub_u32_e32 v1, 0, v1
	v_and_b32_e32 v4, v0, v1
	v_lshlrev_b64 v[8:9], 10, v[4:5]
	v_mov_b32_e32 v1, s15
	v_cmp_lt_u64_e32 vcc, s[14:15], v[8:9]
	v_mov_b32_e32 v4, s14
	v_and_b32_e32 v6, v2, v0
	v_cndmask_b32_e32 v3, v9, v1, vcc
	v_cndmask_b32_e32 v2, v8, v4, vcc
	v_lshl_add_u64 v[8:9], v[8:9], 0, s[12:13]
	v_cmp_lt_u64_e32 vcc, s[14:15], v[8:9]
	s_nop 1
	v_cndmask_b32_e32 v11, v9, v1, vcc
	v_cndmask_b32_e32 v10, v8, v4, vcc
	v_lshl_add_u64 v[8:9], v[10:11], 0, s[12:13]
	v_cmp_lt_u64_e32 vcc, s[14:15], v[8:9]
	s_nop 1
	v_cndmask_b32_e32 v14, v8, v4, vcc
	v_cndmask_b32_e32 v1, v9, v1, vcc
	v_sub_co_u32_e32 v8, vcc, v14, v2
	v_lshlrev_b64 v[4:5], 10, v[6:7]
	s_nop 0
	v_subb_co_u32_e32 v9, vcc, v1, v3, vcc
	v_cmp_lt_u64_e32 vcc, v[8:9], v[4:5]
	s_nop 1
	v_cndmask_b32_e32 v13, v5, v9, vcc
	v_cndmask_b32_e32 v12, v4, v8, vcc
	v_sub_co_u32_e32 v6, vcc, v10, v2
	s_nop 1
	v_subb_co_u32_e32 v7, vcc, v11, v3, vcc
	v_sub_co_u32_e32 v4, vcc, v10, v14
	s_nop 1
	v_subb_co_u32_e32 v5, vcc, v11, v1, vcc
	v_lshl_add_u64 v[4:5], v[12:13], 0, v[4:5]
	v_cmp_gt_u64_e32 vcc, v[4:5], v[12:13]
	s_nop 1
	v_cndmask_b32_e64 v5, v5, 0, vcc
	v_cndmask_b32_e64 v4, v4, 0, vcc
	v_cmp_lt_u64_e32 vcc, v[12:13], v[6:7]
	s_nop 1
	v_cndmask_b32_e32 v7, v7, v13, vcc
	v_cndmask_b32_e32 v6, v6, v12, vcc
	v_cmp_lt_u64_e32 vcc, v[4:5], v[6:7]
	s_and_saveexec_b64 s[12:13], vcc
	s_cbranch_execz .LBB766_11
; %bb.2:
	v_cmp_gt_i64_e64 s[0:1], s[6:7], 0
	v_lshl_add_u64 v[10:11], v[10:11], 3, s[4:5]
	v_lshl_add_u64 v[8:9], v[2:3], 3, s[4:5]
	v_cndmask_b32_e64 v1, 0, 1, s[0:1]
	s_mov_b64 s[14:15], 0
	v_lshl_add_u64 v[10:11], v[12:13], 3, v[10:11]
	s_lshl_b64 s[16:17], s[6:7], 3
	v_cmp_ne_u32_e64 s[0:1], 1, v1
	s_branch .LBB766_5
.LBB766_3:                              ;   in Loop: Header=BB766_5 Depth=1
	s_or_b64 exec, exec, s[20:21]
.LBB766_4:                              ;   in Loop: Header=BB766_5 Depth=1
	v_lshl_add_u64 v[14:15], v[12:13], 0, 1
	v_cndmask_b32_e64 v7, v7, v13, s[18:19]
	v_cndmask_b32_e64 v6, v6, v12, s[18:19]
	;; [unrolled: 1-line block ×4, first 2 shown]
	v_cmp_ge_u64_e32 vcc, v[4:5], v[6:7]
	s_or_b64 s[14:15], vcc, s[14:15]
	s_andn2_b64 exec, exec, s[14:15]
	s_cbranch_execz .LBB766_10
.LBB766_5:                              ; =>This Loop Header: Depth=1
                                        ;     Child Loop BB766_8 Depth 2
	v_lshl_add_u64 v[12:13], v[6:7], 0, v[4:5]
	v_lshrrev_b64 v[12:13], 1, v[12:13]
	s_and_b64 vcc, exec, s[0:1]
	s_mov_b64 s[18:19], 0
	s_cbranch_vccnz .LBB766_4
; %bb.6:                                ;   in Loop: Header=BB766_5 Depth=1
	v_not_b32_e32 v15, v13
	v_not_b32_e32 v14, v12
	v_lshl_add_u64 v[14:15], v[14:15], 3, v[10:11]
	v_lshl_add_u64 v[16:17], v[12:13], 3, v[8:9]
	global_load_dwordx2 v[14:15], v[14:15], off
	v_mov_b64_e32 v[18:19], s[8:9]
	global_load_dwordx2 v[16:17], v[16:17], off
	s_mov_b64 s[20:21], 0
	s_mov_b64 s[26:27], s[6:7]
                                        ; implicit-def: $sgpr18_sgpr19
                                        ; implicit-def: $sgpr22_sgpr23
                                        ; implicit-def: $sgpr24_sgpr25
                                        ; implicit-def: $sgpr2_sgpr3
                                        ; implicit-def: $sgpr28_sgpr29
	s_waitcnt vmcnt(1)
	v_mul_lo_u32 v1, s16, v15
	v_mul_lo_u32 v20, s17, v14
	v_mad_u64_u32 v[14:15], s[4:5], s16, v14, v[18:19]
	s_waitcnt vmcnt(0)
	v_mul_lo_u32 v21, s16, v17
	v_mul_lo_u32 v22, s17, v16
	v_mad_u64_u32 v[16:17], s[4:5], s16, v16, v[18:19]
	v_add3_u32 v15, v20, v15, v1
	v_add3_u32 v17, v22, v17, v21
	s_branch .LBB766_8
.LBB766_7:                              ;   in Loop: Header=BB766_8 Depth=2
	s_or_b64 exec, exec, s[30:31]
	s_and_b64 s[4:5], exec, s[22:23]
	s_or_b64 s[20:21], s[4:5], s[20:21]
	s_andn2_b64 s[4:5], s[28:29], exec
	s_and_b64 s[28:29], s[24:25], exec
	s_or_b64 s[28:29], s[4:5], s[28:29]
	s_andn2_b64 s[4:5], s[18:19], exec
	s_and_b64 s[18:19], s[2:3], exec
	s_or_b64 s[18:19], s[4:5], s[18:19]
	s_andn2_b64 exec, exec, s[20:21]
	s_cbranch_execz .LBB766_3
.LBB766_8:                              ;   Parent Loop BB766_5 Depth=1
                                        ; =>  This Inner Loop Header: Depth=2
	global_load_dwordx2 v[18:19], v[14:15], off
	global_load_dwordx2 v[20:21], v[16:17], off
	s_andn2_b64 s[30:31], s[2:3], exec
	s_andn2_b64 s[24:25], s[24:25], exec
	s_or_b64 s[22:23], s[22:23], exec
	s_waitcnt vmcnt(0)
	v_cmp_ngt_f64_e64 s[2:3], v[18:19], v[20:21]
	v_cmp_lt_f64_e32 vcc, v[18:19], v[20:21]
	s_and_b64 s[2:3], s[2:3], s[28:29]
	s_or_b64 s[34:35], vcc, s[2:3]
	s_and_b64 s[2:3], s[34:35], exec
	v_cmp_nlg_f64_e64 s[4:5], v[18:19], v[20:21]
	s_or_b64 s[2:3], s[30:31], s[2:3]
	s_and_saveexec_b64 s[30:31], s[4:5]
	s_cbranch_execz .LBB766_7
; %bb.9:                                ;   in Loop: Header=BB766_8 Depth=2
	s_add_u32 s26, s26, -1
	s_addc_u32 s27, s27, -1
	s_cmp_eq_u64 s[26:27], 0
	s_cselect_b64 s[4:5], -1, 0
	s_andn2_b64 s[24:25], s[24:25], exec
	s_and_b64 s[28:29], s[34:35], exec
	s_andn2_b64 s[22:23], s[22:23], exec
	s_and_b64 s[4:5], s[4:5], exec
	v_lshl_add_u64 v[14:15], v[14:15], 0, 8
	v_lshl_add_u64 v[16:17], v[16:17], 0, 8
	s_andn2_b64 s[2:3], s[2:3], exec
	s_or_b64 s[24:25], s[24:25], s[28:29]
	s_or_b64 s[22:23], s[22:23], s[4:5]
                                        ; implicit-def: $sgpr28_sgpr29
	s_branch .LBB766_7
.LBB766_10:
	s_or_b64 exec, exec, s[14:15]
.LBB766_11:
	s_or_b64 exec, exec, s[12:13]
	v_mov_b32_e32 v6, s10
	v_mov_b32_e32 v7, s11
	;; [unrolled: 1-line block ×3, first 2 shown]
	v_lshl_add_u64 v[2:3], v[4:5], 0, v[2:3]
	v_lshl_add_u64 v[0:1], v[0:1], 3, v[6:7]
	global_store_dwordx2 v[0:1], v[2:3], off
.LBB766_12:
	s_endpgm
	.section	.rodata,"a",@progbits
	.p2align	6, 0x0
	.amdhsa_kernel _ZN7rocprim17ROCPRIM_400000_NS6detail17trampoline_kernelINS0_14default_configENS1_38merge_sort_block_merge_config_selectorIlNS0_10empty_typeEEEZZNS1_27merge_sort_block_merge_implIS3_PlPS5_mZN2at6native12_GLOBAL__N_124unique_dim_cuda_templateIdEESt5tupleIJNSA_6TensorESF_SF_EERKSF_lbbbEUlllE_EE10hipError_tT0_T1_T2_jT3_P12ihipStream_tbPNSt15iterator_traitsISL_E10value_typeEPNSR_ISM_E10value_typeEPSN_NS1_7vsmem_tEENKUlT_SL_SM_SN_E_clIS8_S8_S9_S9_EESK_S10_SL_SM_SN_EUlS10_E_NS1_11comp_targetILNS1_3genE5ELNS1_11target_archE942ELNS1_3gpuE9ELNS1_3repE0EEENS1_48merge_mergepath_partition_config_static_selectorELNS0_4arch9wavefront6targetE1EEEvSM_
		.amdhsa_group_segment_fixed_size 0
		.amdhsa_private_segment_fixed_size 0
		.amdhsa_kernarg_size 56
		.amdhsa_user_sgpr_count 2
		.amdhsa_user_sgpr_dispatch_ptr 0
		.amdhsa_user_sgpr_queue_ptr 0
		.amdhsa_user_sgpr_kernarg_segment_ptr 1
		.amdhsa_user_sgpr_dispatch_id 0
		.amdhsa_user_sgpr_kernarg_preload_length 0
		.amdhsa_user_sgpr_kernarg_preload_offset 0
		.amdhsa_user_sgpr_private_segment_size 0
		.amdhsa_uses_dynamic_stack 0
		.amdhsa_enable_private_segment 0
		.amdhsa_system_sgpr_workgroup_id_x 1
		.amdhsa_system_sgpr_workgroup_id_y 0
		.amdhsa_system_sgpr_workgroup_id_z 0
		.amdhsa_system_sgpr_workgroup_info 0
		.amdhsa_system_vgpr_workitem_id 0
		.amdhsa_next_free_vgpr 23
		.amdhsa_next_free_sgpr 36
		.amdhsa_accum_offset 24
		.amdhsa_reserve_vcc 1
		.amdhsa_float_round_mode_32 0
		.amdhsa_float_round_mode_16_64 0
		.amdhsa_float_denorm_mode_32 3
		.amdhsa_float_denorm_mode_16_64 3
		.amdhsa_dx10_clamp 1
		.amdhsa_ieee_mode 1
		.amdhsa_fp16_overflow 0
		.amdhsa_tg_split 0
		.amdhsa_exception_fp_ieee_invalid_op 0
		.amdhsa_exception_fp_denorm_src 0
		.amdhsa_exception_fp_ieee_div_zero 0
		.amdhsa_exception_fp_ieee_overflow 0
		.amdhsa_exception_fp_ieee_underflow 0
		.amdhsa_exception_fp_ieee_inexact 0
		.amdhsa_exception_int_div_zero 0
	.end_amdhsa_kernel
	.section	.text._ZN7rocprim17ROCPRIM_400000_NS6detail17trampoline_kernelINS0_14default_configENS1_38merge_sort_block_merge_config_selectorIlNS0_10empty_typeEEEZZNS1_27merge_sort_block_merge_implIS3_PlPS5_mZN2at6native12_GLOBAL__N_124unique_dim_cuda_templateIdEESt5tupleIJNSA_6TensorESF_SF_EERKSF_lbbbEUlllE_EE10hipError_tT0_T1_T2_jT3_P12ihipStream_tbPNSt15iterator_traitsISL_E10value_typeEPNSR_ISM_E10value_typeEPSN_NS1_7vsmem_tEENKUlT_SL_SM_SN_E_clIS8_S8_S9_S9_EESK_S10_SL_SM_SN_EUlS10_E_NS1_11comp_targetILNS1_3genE5ELNS1_11target_archE942ELNS1_3gpuE9ELNS1_3repE0EEENS1_48merge_mergepath_partition_config_static_selectorELNS0_4arch9wavefront6targetE1EEEvSM_,"axG",@progbits,_ZN7rocprim17ROCPRIM_400000_NS6detail17trampoline_kernelINS0_14default_configENS1_38merge_sort_block_merge_config_selectorIlNS0_10empty_typeEEEZZNS1_27merge_sort_block_merge_implIS3_PlPS5_mZN2at6native12_GLOBAL__N_124unique_dim_cuda_templateIdEESt5tupleIJNSA_6TensorESF_SF_EERKSF_lbbbEUlllE_EE10hipError_tT0_T1_T2_jT3_P12ihipStream_tbPNSt15iterator_traitsISL_E10value_typeEPNSR_ISM_E10value_typeEPSN_NS1_7vsmem_tEENKUlT_SL_SM_SN_E_clIS8_S8_S9_S9_EESK_S10_SL_SM_SN_EUlS10_E_NS1_11comp_targetILNS1_3genE5ELNS1_11target_archE942ELNS1_3gpuE9ELNS1_3repE0EEENS1_48merge_mergepath_partition_config_static_selectorELNS0_4arch9wavefront6targetE1EEEvSM_,comdat
.Lfunc_end766:
	.size	_ZN7rocprim17ROCPRIM_400000_NS6detail17trampoline_kernelINS0_14default_configENS1_38merge_sort_block_merge_config_selectorIlNS0_10empty_typeEEEZZNS1_27merge_sort_block_merge_implIS3_PlPS5_mZN2at6native12_GLOBAL__N_124unique_dim_cuda_templateIdEESt5tupleIJNSA_6TensorESF_SF_EERKSF_lbbbEUlllE_EE10hipError_tT0_T1_T2_jT3_P12ihipStream_tbPNSt15iterator_traitsISL_E10value_typeEPNSR_ISM_E10value_typeEPSN_NS1_7vsmem_tEENKUlT_SL_SM_SN_E_clIS8_S8_S9_S9_EESK_S10_SL_SM_SN_EUlS10_E_NS1_11comp_targetILNS1_3genE5ELNS1_11target_archE942ELNS1_3gpuE9ELNS1_3repE0EEENS1_48merge_mergepath_partition_config_static_selectorELNS0_4arch9wavefront6targetE1EEEvSM_, .Lfunc_end766-_ZN7rocprim17ROCPRIM_400000_NS6detail17trampoline_kernelINS0_14default_configENS1_38merge_sort_block_merge_config_selectorIlNS0_10empty_typeEEEZZNS1_27merge_sort_block_merge_implIS3_PlPS5_mZN2at6native12_GLOBAL__N_124unique_dim_cuda_templateIdEESt5tupleIJNSA_6TensorESF_SF_EERKSF_lbbbEUlllE_EE10hipError_tT0_T1_T2_jT3_P12ihipStream_tbPNSt15iterator_traitsISL_E10value_typeEPNSR_ISM_E10value_typeEPSN_NS1_7vsmem_tEENKUlT_SL_SM_SN_E_clIS8_S8_S9_S9_EESK_S10_SL_SM_SN_EUlS10_E_NS1_11comp_targetILNS1_3genE5ELNS1_11target_archE942ELNS1_3gpuE9ELNS1_3repE0EEENS1_48merge_mergepath_partition_config_static_selectorELNS0_4arch9wavefront6targetE1EEEvSM_
                                        ; -- End function
	.section	.AMDGPU.csdata,"",@progbits
; Kernel info:
; codeLenInByte = 796
; NumSgprs: 42
; NumVgprs: 23
; NumAgprs: 0
; TotalNumVgprs: 23
; ScratchSize: 0
; MemoryBound: 0
; FloatMode: 240
; IeeeMode: 1
; LDSByteSize: 0 bytes/workgroup (compile time only)
; SGPRBlocks: 5
; VGPRBlocks: 2
; NumSGPRsForWavesPerEU: 42
; NumVGPRsForWavesPerEU: 23
; AccumOffset: 24
; Occupancy: 8
; WaveLimiterHint : 0
; COMPUTE_PGM_RSRC2:SCRATCH_EN: 0
; COMPUTE_PGM_RSRC2:USER_SGPR: 2
; COMPUTE_PGM_RSRC2:TRAP_HANDLER: 0
; COMPUTE_PGM_RSRC2:TGID_X_EN: 1
; COMPUTE_PGM_RSRC2:TGID_Y_EN: 0
; COMPUTE_PGM_RSRC2:TGID_Z_EN: 0
; COMPUTE_PGM_RSRC2:TIDIG_COMP_CNT: 0
; COMPUTE_PGM_RSRC3_GFX90A:ACCUM_OFFSET: 5
; COMPUTE_PGM_RSRC3_GFX90A:TG_SPLIT: 0
	.section	.text._ZN7rocprim17ROCPRIM_400000_NS6detail17trampoline_kernelINS0_14default_configENS1_38merge_sort_block_merge_config_selectorIlNS0_10empty_typeEEEZZNS1_27merge_sort_block_merge_implIS3_PlPS5_mZN2at6native12_GLOBAL__N_124unique_dim_cuda_templateIdEESt5tupleIJNSA_6TensorESF_SF_EERKSF_lbbbEUlllE_EE10hipError_tT0_T1_T2_jT3_P12ihipStream_tbPNSt15iterator_traitsISL_E10value_typeEPNSR_ISM_E10value_typeEPSN_NS1_7vsmem_tEENKUlT_SL_SM_SN_E_clIS8_S8_S9_S9_EESK_S10_SL_SM_SN_EUlS10_E_NS1_11comp_targetILNS1_3genE4ELNS1_11target_archE910ELNS1_3gpuE8ELNS1_3repE0EEENS1_48merge_mergepath_partition_config_static_selectorELNS0_4arch9wavefront6targetE1EEEvSM_,"axG",@progbits,_ZN7rocprim17ROCPRIM_400000_NS6detail17trampoline_kernelINS0_14default_configENS1_38merge_sort_block_merge_config_selectorIlNS0_10empty_typeEEEZZNS1_27merge_sort_block_merge_implIS3_PlPS5_mZN2at6native12_GLOBAL__N_124unique_dim_cuda_templateIdEESt5tupleIJNSA_6TensorESF_SF_EERKSF_lbbbEUlllE_EE10hipError_tT0_T1_T2_jT3_P12ihipStream_tbPNSt15iterator_traitsISL_E10value_typeEPNSR_ISM_E10value_typeEPSN_NS1_7vsmem_tEENKUlT_SL_SM_SN_E_clIS8_S8_S9_S9_EESK_S10_SL_SM_SN_EUlS10_E_NS1_11comp_targetILNS1_3genE4ELNS1_11target_archE910ELNS1_3gpuE8ELNS1_3repE0EEENS1_48merge_mergepath_partition_config_static_selectorELNS0_4arch9wavefront6targetE1EEEvSM_,comdat
	.globl	_ZN7rocprim17ROCPRIM_400000_NS6detail17trampoline_kernelINS0_14default_configENS1_38merge_sort_block_merge_config_selectorIlNS0_10empty_typeEEEZZNS1_27merge_sort_block_merge_implIS3_PlPS5_mZN2at6native12_GLOBAL__N_124unique_dim_cuda_templateIdEESt5tupleIJNSA_6TensorESF_SF_EERKSF_lbbbEUlllE_EE10hipError_tT0_T1_T2_jT3_P12ihipStream_tbPNSt15iterator_traitsISL_E10value_typeEPNSR_ISM_E10value_typeEPSN_NS1_7vsmem_tEENKUlT_SL_SM_SN_E_clIS8_S8_S9_S9_EESK_S10_SL_SM_SN_EUlS10_E_NS1_11comp_targetILNS1_3genE4ELNS1_11target_archE910ELNS1_3gpuE8ELNS1_3repE0EEENS1_48merge_mergepath_partition_config_static_selectorELNS0_4arch9wavefront6targetE1EEEvSM_ ; -- Begin function _ZN7rocprim17ROCPRIM_400000_NS6detail17trampoline_kernelINS0_14default_configENS1_38merge_sort_block_merge_config_selectorIlNS0_10empty_typeEEEZZNS1_27merge_sort_block_merge_implIS3_PlPS5_mZN2at6native12_GLOBAL__N_124unique_dim_cuda_templateIdEESt5tupleIJNSA_6TensorESF_SF_EERKSF_lbbbEUlllE_EE10hipError_tT0_T1_T2_jT3_P12ihipStream_tbPNSt15iterator_traitsISL_E10value_typeEPNSR_ISM_E10value_typeEPSN_NS1_7vsmem_tEENKUlT_SL_SM_SN_E_clIS8_S8_S9_S9_EESK_S10_SL_SM_SN_EUlS10_E_NS1_11comp_targetILNS1_3genE4ELNS1_11target_archE910ELNS1_3gpuE8ELNS1_3repE0EEENS1_48merge_mergepath_partition_config_static_selectorELNS0_4arch9wavefront6targetE1EEEvSM_
	.p2align	8
	.type	_ZN7rocprim17ROCPRIM_400000_NS6detail17trampoline_kernelINS0_14default_configENS1_38merge_sort_block_merge_config_selectorIlNS0_10empty_typeEEEZZNS1_27merge_sort_block_merge_implIS3_PlPS5_mZN2at6native12_GLOBAL__N_124unique_dim_cuda_templateIdEESt5tupleIJNSA_6TensorESF_SF_EERKSF_lbbbEUlllE_EE10hipError_tT0_T1_T2_jT3_P12ihipStream_tbPNSt15iterator_traitsISL_E10value_typeEPNSR_ISM_E10value_typeEPSN_NS1_7vsmem_tEENKUlT_SL_SM_SN_E_clIS8_S8_S9_S9_EESK_S10_SL_SM_SN_EUlS10_E_NS1_11comp_targetILNS1_3genE4ELNS1_11target_archE910ELNS1_3gpuE8ELNS1_3repE0EEENS1_48merge_mergepath_partition_config_static_selectorELNS0_4arch9wavefront6targetE1EEEvSM_,@function
_ZN7rocprim17ROCPRIM_400000_NS6detail17trampoline_kernelINS0_14default_configENS1_38merge_sort_block_merge_config_selectorIlNS0_10empty_typeEEEZZNS1_27merge_sort_block_merge_implIS3_PlPS5_mZN2at6native12_GLOBAL__N_124unique_dim_cuda_templateIdEESt5tupleIJNSA_6TensorESF_SF_EERKSF_lbbbEUlllE_EE10hipError_tT0_T1_T2_jT3_P12ihipStream_tbPNSt15iterator_traitsISL_E10value_typeEPNSR_ISM_E10value_typeEPSN_NS1_7vsmem_tEENKUlT_SL_SM_SN_E_clIS8_S8_S9_S9_EESK_S10_SL_SM_SN_EUlS10_E_NS1_11comp_targetILNS1_3genE4ELNS1_11target_archE910ELNS1_3gpuE8ELNS1_3repE0EEENS1_48merge_mergepath_partition_config_static_selectorELNS0_4arch9wavefront6targetE1EEEvSM_: ; @_ZN7rocprim17ROCPRIM_400000_NS6detail17trampoline_kernelINS0_14default_configENS1_38merge_sort_block_merge_config_selectorIlNS0_10empty_typeEEEZZNS1_27merge_sort_block_merge_implIS3_PlPS5_mZN2at6native12_GLOBAL__N_124unique_dim_cuda_templateIdEESt5tupleIJNSA_6TensorESF_SF_EERKSF_lbbbEUlllE_EE10hipError_tT0_T1_T2_jT3_P12ihipStream_tbPNSt15iterator_traitsISL_E10value_typeEPNSR_ISM_E10value_typeEPSN_NS1_7vsmem_tEENKUlT_SL_SM_SN_E_clIS8_S8_S9_S9_EESK_S10_SL_SM_SN_EUlS10_E_NS1_11comp_targetILNS1_3genE4ELNS1_11target_archE910ELNS1_3gpuE8ELNS1_3repE0EEENS1_48merge_mergepath_partition_config_static_selectorELNS0_4arch9wavefront6targetE1EEEvSM_
; %bb.0:
	.section	.rodata,"a",@progbits
	.p2align	6, 0x0
	.amdhsa_kernel _ZN7rocprim17ROCPRIM_400000_NS6detail17trampoline_kernelINS0_14default_configENS1_38merge_sort_block_merge_config_selectorIlNS0_10empty_typeEEEZZNS1_27merge_sort_block_merge_implIS3_PlPS5_mZN2at6native12_GLOBAL__N_124unique_dim_cuda_templateIdEESt5tupleIJNSA_6TensorESF_SF_EERKSF_lbbbEUlllE_EE10hipError_tT0_T1_T2_jT3_P12ihipStream_tbPNSt15iterator_traitsISL_E10value_typeEPNSR_ISM_E10value_typeEPSN_NS1_7vsmem_tEENKUlT_SL_SM_SN_E_clIS8_S8_S9_S9_EESK_S10_SL_SM_SN_EUlS10_E_NS1_11comp_targetILNS1_3genE4ELNS1_11target_archE910ELNS1_3gpuE8ELNS1_3repE0EEENS1_48merge_mergepath_partition_config_static_selectorELNS0_4arch9wavefront6targetE1EEEvSM_
		.amdhsa_group_segment_fixed_size 0
		.amdhsa_private_segment_fixed_size 0
		.amdhsa_kernarg_size 56
		.amdhsa_user_sgpr_count 2
		.amdhsa_user_sgpr_dispatch_ptr 0
		.amdhsa_user_sgpr_queue_ptr 0
		.amdhsa_user_sgpr_kernarg_segment_ptr 1
		.amdhsa_user_sgpr_dispatch_id 0
		.amdhsa_user_sgpr_kernarg_preload_length 0
		.amdhsa_user_sgpr_kernarg_preload_offset 0
		.amdhsa_user_sgpr_private_segment_size 0
		.amdhsa_uses_dynamic_stack 0
		.amdhsa_enable_private_segment 0
		.amdhsa_system_sgpr_workgroup_id_x 1
		.amdhsa_system_sgpr_workgroup_id_y 0
		.amdhsa_system_sgpr_workgroup_id_z 0
		.amdhsa_system_sgpr_workgroup_info 0
		.amdhsa_system_vgpr_workitem_id 0
		.amdhsa_next_free_vgpr 1
		.amdhsa_next_free_sgpr 0
		.amdhsa_accum_offset 4
		.amdhsa_reserve_vcc 0
		.amdhsa_float_round_mode_32 0
		.amdhsa_float_round_mode_16_64 0
		.amdhsa_float_denorm_mode_32 3
		.amdhsa_float_denorm_mode_16_64 3
		.amdhsa_dx10_clamp 1
		.amdhsa_ieee_mode 1
		.amdhsa_fp16_overflow 0
		.amdhsa_tg_split 0
		.amdhsa_exception_fp_ieee_invalid_op 0
		.amdhsa_exception_fp_denorm_src 0
		.amdhsa_exception_fp_ieee_div_zero 0
		.amdhsa_exception_fp_ieee_overflow 0
		.amdhsa_exception_fp_ieee_underflow 0
		.amdhsa_exception_fp_ieee_inexact 0
		.amdhsa_exception_int_div_zero 0
	.end_amdhsa_kernel
	.section	.text._ZN7rocprim17ROCPRIM_400000_NS6detail17trampoline_kernelINS0_14default_configENS1_38merge_sort_block_merge_config_selectorIlNS0_10empty_typeEEEZZNS1_27merge_sort_block_merge_implIS3_PlPS5_mZN2at6native12_GLOBAL__N_124unique_dim_cuda_templateIdEESt5tupleIJNSA_6TensorESF_SF_EERKSF_lbbbEUlllE_EE10hipError_tT0_T1_T2_jT3_P12ihipStream_tbPNSt15iterator_traitsISL_E10value_typeEPNSR_ISM_E10value_typeEPSN_NS1_7vsmem_tEENKUlT_SL_SM_SN_E_clIS8_S8_S9_S9_EESK_S10_SL_SM_SN_EUlS10_E_NS1_11comp_targetILNS1_3genE4ELNS1_11target_archE910ELNS1_3gpuE8ELNS1_3repE0EEENS1_48merge_mergepath_partition_config_static_selectorELNS0_4arch9wavefront6targetE1EEEvSM_,"axG",@progbits,_ZN7rocprim17ROCPRIM_400000_NS6detail17trampoline_kernelINS0_14default_configENS1_38merge_sort_block_merge_config_selectorIlNS0_10empty_typeEEEZZNS1_27merge_sort_block_merge_implIS3_PlPS5_mZN2at6native12_GLOBAL__N_124unique_dim_cuda_templateIdEESt5tupleIJNSA_6TensorESF_SF_EERKSF_lbbbEUlllE_EE10hipError_tT0_T1_T2_jT3_P12ihipStream_tbPNSt15iterator_traitsISL_E10value_typeEPNSR_ISM_E10value_typeEPSN_NS1_7vsmem_tEENKUlT_SL_SM_SN_E_clIS8_S8_S9_S9_EESK_S10_SL_SM_SN_EUlS10_E_NS1_11comp_targetILNS1_3genE4ELNS1_11target_archE910ELNS1_3gpuE8ELNS1_3repE0EEENS1_48merge_mergepath_partition_config_static_selectorELNS0_4arch9wavefront6targetE1EEEvSM_,comdat
.Lfunc_end767:
	.size	_ZN7rocprim17ROCPRIM_400000_NS6detail17trampoline_kernelINS0_14default_configENS1_38merge_sort_block_merge_config_selectorIlNS0_10empty_typeEEEZZNS1_27merge_sort_block_merge_implIS3_PlPS5_mZN2at6native12_GLOBAL__N_124unique_dim_cuda_templateIdEESt5tupleIJNSA_6TensorESF_SF_EERKSF_lbbbEUlllE_EE10hipError_tT0_T1_T2_jT3_P12ihipStream_tbPNSt15iterator_traitsISL_E10value_typeEPNSR_ISM_E10value_typeEPSN_NS1_7vsmem_tEENKUlT_SL_SM_SN_E_clIS8_S8_S9_S9_EESK_S10_SL_SM_SN_EUlS10_E_NS1_11comp_targetILNS1_3genE4ELNS1_11target_archE910ELNS1_3gpuE8ELNS1_3repE0EEENS1_48merge_mergepath_partition_config_static_selectorELNS0_4arch9wavefront6targetE1EEEvSM_, .Lfunc_end767-_ZN7rocprim17ROCPRIM_400000_NS6detail17trampoline_kernelINS0_14default_configENS1_38merge_sort_block_merge_config_selectorIlNS0_10empty_typeEEEZZNS1_27merge_sort_block_merge_implIS3_PlPS5_mZN2at6native12_GLOBAL__N_124unique_dim_cuda_templateIdEESt5tupleIJNSA_6TensorESF_SF_EERKSF_lbbbEUlllE_EE10hipError_tT0_T1_T2_jT3_P12ihipStream_tbPNSt15iterator_traitsISL_E10value_typeEPNSR_ISM_E10value_typeEPSN_NS1_7vsmem_tEENKUlT_SL_SM_SN_E_clIS8_S8_S9_S9_EESK_S10_SL_SM_SN_EUlS10_E_NS1_11comp_targetILNS1_3genE4ELNS1_11target_archE910ELNS1_3gpuE8ELNS1_3repE0EEENS1_48merge_mergepath_partition_config_static_selectorELNS0_4arch9wavefront6targetE1EEEvSM_
                                        ; -- End function
	.section	.AMDGPU.csdata,"",@progbits
; Kernel info:
; codeLenInByte = 0
; NumSgprs: 6
; NumVgprs: 0
; NumAgprs: 0
; TotalNumVgprs: 0
; ScratchSize: 0
; MemoryBound: 0
; FloatMode: 240
; IeeeMode: 1
; LDSByteSize: 0 bytes/workgroup (compile time only)
; SGPRBlocks: 0
; VGPRBlocks: 0
; NumSGPRsForWavesPerEU: 6
; NumVGPRsForWavesPerEU: 1
; AccumOffset: 4
; Occupancy: 8
; WaveLimiterHint : 0
; COMPUTE_PGM_RSRC2:SCRATCH_EN: 0
; COMPUTE_PGM_RSRC2:USER_SGPR: 2
; COMPUTE_PGM_RSRC2:TRAP_HANDLER: 0
; COMPUTE_PGM_RSRC2:TGID_X_EN: 1
; COMPUTE_PGM_RSRC2:TGID_Y_EN: 0
; COMPUTE_PGM_RSRC2:TGID_Z_EN: 0
; COMPUTE_PGM_RSRC2:TIDIG_COMP_CNT: 0
; COMPUTE_PGM_RSRC3_GFX90A:ACCUM_OFFSET: 0
; COMPUTE_PGM_RSRC3_GFX90A:TG_SPLIT: 0
	.section	.text._ZN7rocprim17ROCPRIM_400000_NS6detail17trampoline_kernelINS0_14default_configENS1_38merge_sort_block_merge_config_selectorIlNS0_10empty_typeEEEZZNS1_27merge_sort_block_merge_implIS3_PlPS5_mZN2at6native12_GLOBAL__N_124unique_dim_cuda_templateIdEESt5tupleIJNSA_6TensorESF_SF_EERKSF_lbbbEUlllE_EE10hipError_tT0_T1_T2_jT3_P12ihipStream_tbPNSt15iterator_traitsISL_E10value_typeEPNSR_ISM_E10value_typeEPSN_NS1_7vsmem_tEENKUlT_SL_SM_SN_E_clIS8_S8_S9_S9_EESK_S10_SL_SM_SN_EUlS10_E_NS1_11comp_targetILNS1_3genE3ELNS1_11target_archE908ELNS1_3gpuE7ELNS1_3repE0EEENS1_48merge_mergepath_partition_config_static_selectorELNS0_4arch9wavefront6targetE1EEEvSM_,"axG",@progbits,_ZN7rocprim17ROCPRIM_400000_NS6detail17trampoline_kernelINS0_14default_configENS1_38merge_sort_block_merge_config_selectorIlNS0_10empty_typeEEEZZNS1_27merge_sort_block_merge_implIS3_PlPS5_mZN2at6native12_GLOBAL__N_124unique_dim_cuda_templateIdEESt5tupleIJNSA_6TensorESF_SF_EERKSF_lbbbEUlllE_EE10hipError_tT0_T1_T2_jT3_P12ihipStream_tbPNSt15iterator_traitsISL_E10value_typeEPNSR_ISM_E10value_typeEPSN_NS1_7vsmem_tEENKUlT_SL_SM_SN_E_clIS8_S8_S9_S9_EESK_S10_SL_SM_SN_EUlS10_E_NS1_11comp_targetILNS1_3genE3ELNS1_11target_archE908ELNS1_3gpuE7ELNS1_3repE0EEENS1_48merge_mergepath_partition_config_static_selectorELNS0_4arch9wavefront6targetE1EEEvSM_,comdat
	.globl	_ZN7rocprim17ROCPRIM_400000_NS6detail17trampoline_kernelINS0_14default_configENS1_38merge_sort_block_merge_config_selectorIlNS0_10empty_typeEEEZZNS1_27merge_sort_block_merge_implIS3_PlPS5_mZN2at6native12_GLOBAL__N_124unique_dim_cuda_templateIdEESt5tupleIJNSA_6TensorESF_SF_EERKSF_lbbbEUlllE_EE10hipError_tT0_T1_T2_jT3_P12ihipStream_tbPNSt15iterator_traitsISL_E10value_typeEPNSR_ISM_E10value_typeEPSN_NS1_7vsmem_tEENKUlT_SL_SM_SN_E_clIS8_S8_S9_S9_EESK_S10_SL_SM_SN_EUlS10_E_NS1_11comp_targetILNS1_3genE3ELNS1_11target_archE908ELNS1_3gpuE7ELNS1_3repE0EEENS1_48merge_mergepath_partition_config_static_selectorELNS0_4arch9wavefront6targetE1EEEvSM_ ; -- Begin function _ZN7rocprim17ROCPRIM_400000_NS6detail17trampoline_kernelINS0_14default_configENS1_38merge_sort_block_merge_config_selectorIlNS0_10empty_typeEEEZZNS1_27merge_sort_block_merge_implIS3_PlPS5_mZN2at6native12_GLOBAL__N_124unique_dim_cuda_templateIdEESt5tupleIJNSA_6TensorESF_SF_EERKSF_lbbbEUlllE_EE10hipError_tT0_T1_T2_jT3_P12ihipStream_tbPNSt15iterator_traitsISL_E10value_typeEPNSR_ISM_E10value_typeEPSN_NS1_7vsmem_tEENKUlT_SL_SM_SN_E_clIS8_S8_S9_S9_EESK_S10_SL_SM_SN_EUlS10_E_NS1_11comp_targetILNS1_3genE3ELNS1_11target_archE908ELNS1_3gpuE7ELNS1_3repE0EEENS1_48merge_mergepath_partition_config_static_selectorELNS0_4arch9wavefront6targetE1EEEvSM_
	.p2align	8
	.type	_ZN7rocprim17ROCPRIM_400000_NS6detail17trampoline_kernelINS0_14default_configENS1_38merge_sort_block_merge_config_selectorIlNS0_10empty_typeEEEZZNS1_27merge_sort_block_merge_implIS3_PlPS5_mZN2at6native12_GLOBAL__N_124unique_dim_cuda_templateIdEESt5tupleIJNSA_6TensorESF_SF_EERKSF_lbbbEUlllE_EE10hipError_tT0_T1_T2_jT3_P12ihipStream_tbPNSt15iterator_traitsISL_E10value_typeEPNSR_ISM_E10value_typeEPSN_NS1_7vsmem_tEENKUlT_SL_SM_SN_E_clIS8_S8_S9_S9_EESK_S10_SL_SM_SN_EUlS10_E_NS1_11comp_targetILNS1_3genE3ELNS1_11target_archE908ELNS1_3gpuE7ELNS1_3repE0EEENS1_48merge_mergepath_partition_config_static_selectorELNS0_4arch9wavefront6targetE1EEEvSM_,@function
_ZN7rocprim17ROCPRIM_400000_NS6detail17trampoline_kernelINS0_14default_configENS1_38merge_sort_block_merge_config_selectorIlNS0_10empty_typeEEEZZNS1_27merge_sort_block_merge_implIS3_PlPS5_mZN2at6native12_GLOBAL__N_124unique_dim_cuda_templateIdEESt5tupleIJNSA_6TensorESF_SF_EERKSF_lbbbEUlllE_EE10hipError_tT0_T1_T2_jT3_P12ihipStream_tbPNSt15iterator_traitsISL_E10value_typeEPNSR_ISM_E10value_typeEPSN_NS1_7vsmem_tEENKUlT_SL_SM_SN_E_clIS8_S8_S9_S9_EESK_S10_SL_SM_SN_EUlS10_E_NS1_11comp_targetILNS1_3genE3ELNS1_11target_archE908ELNS1_3gpuE7ELNS1_3repE0EEENS1_48merge_mergepath_partition_config_static_selectorELNS0_4arch9wavefront6targetE1EEEvSM_: ; @_ZN7rocprim17ROCPRIM_400000_NS6detail17trampoline_kernelINS0_14default_configENS1_38merge_sort_block_merge_config_selectorIlNS0_10empty_typeEEEZZNS1_27merge_sort_block_merge_implIS3_PlPS5_mZN2at6native12_GLOBAL__N_124unique_dim_cuda_templateIdEESt5tupleIJNSA_6TensorESF_SF_EERKSF_lbbbEUlllE_EE10hipError_tT0_T1_T2_jT3_P12ihipStream_tbPNSt15iterator_traitsISL_E10value_typeEPNSR_ISM_E10value_typeEPSN_NS1_7vsmem_tEENKUlT_SL_SM_SN_E_clIS8_S8_S9_S9_EESK_S10_SL_SM_SN_EUlS10_E_NS1_11comp_targetILNS1_3genE3ELNS1_11target_archE908ELNS1_3gpuE7ELNS1_3repE0EEENS1_48merge_mergepath_partition_config_static_selectorELNS0_4arch9wavefront6targetE1EEEvSM_
; %bb.0:
	.section	.rodata,"a",@progbits
	.p2align	6, 0x0
	.amdhsa_kernel _ZN7rocprim17ROCPRIM_400000_NS6detail17trampoline_kernelINS0_14default_configENS1_38merge_sort_block_merge_config_selectorIlNS0_10empty_typeEEEZZNS1_27merge_sort_block_merge_implIS3_PlPS5_mZN2at6native12_GLOBAL__N_124unique_dim_cuda_templateIdEESt5tupleIJNSA_6TensorESF_SF_EERKSF_lbbbEUlllE_EE10hipError_tT0_T1_T2_jT3_P12ihipStream_tbPNSt15iterator_traitsISL_E10value_typeEPNSR_ISM_E10value_typeEPSN_NS1_7vsmem_tEENKUlT_SL_SM_SN_E_clIS8_S8_S9_S9_EESK_S10_SL_SM_SN_EUlS10_E_NS1_11comp_targetILNS1_3genE3ELNS1_11target_archE908ELNS1_3gpuE7ELNS1_3repE0EEENS1_48merge_mergepath_partition_config_static_selectorELNS0_4arch9wavefront6targetE1EEEvSM_
		.amdhsa_group_segment_fixed_size 0
		.amdhsa_private_segment_fixed_size 0
		.amdhsa_kernarg_size 56
		.amdhsa_user_sgpr_count 2
		.amdhsa_user_sgpr_dispatch_ptr 0
		.amdhsa_user_sgpr_queue_ptr 0
		.amdhsa_user_sgpr_kernarg_segment_ptr 1
		.amdhsa_user_sgpr_dispatch_id 0
		.amdhsa_user_sgpr_kernarg_preload_length 0
		.amdhsa_user_sgpr_kernarg_preload_offset 0
		.amdhsa_user_sgpr_private_segment_size 0
		.amdhsa_uses_dynamic_stack 0
		.amdhsa_enable_private_segment 0
		.amdhsa_system_sgpr_workgroup_id_x 1
		.amdhsa_system_sgpr_workgroup_id_y 0
		.amdhsa_system_sgpr_workgroup_id_z 0
		.amdhsa_system_sgpr_workgroup_info 0
		.amdhsa_system_vgpr_workitem_id 0
		.amdhsa_next_free_vgpr 1
		.amdhsa_next_free_sgpr 0
		.amdhsa_accum_offset 4
		.amdhsa_reserve_vcc 0
		.amdhsa_float_round_mode_32 0
		.amdhsa_float_round_mode_16_64 0
		.amdhsa_float_denorm_mode_32 3
		.amdhsa_float_denorm_mode_16_64 3
		.amdhsa_dx10_clamp 1
		.amdhsa_ieee_mode 1
		.amdhsa_fp16_overflow 0
		.amdhsa_tg_split 0
		.amdhsa_exception_fp_ieee_invalid_op 0
		.amdhsa_exception_fp_denorm_src 0
		.amdhsa_exception_fp_ieee_div_zero 0
		.amdhsa_exception_fp_ieee_overflow 0
		.amdhsa_exception_fp_ieee_underflow 0
		.amdhsa_exception_fp_ieee_inexact 0
		.amdhsa_exception_int_div_zero 0
	.end_amdhsa_kernel
	.section	.text._ZN7rocprim17ROCPRIM_400000_NS6detail17trampoline_kernelINS0_14default_configENS1_38merge_sort_block_merge_config_selectorIlNS0_10empty_typeEEEZZNS1_27merge_sort_block_merge_implIS3_PlPS5_mZN2at6native12_GLOBAL__N_124unique_dim_cuda_templateIdEESt5tupleIJNSA_6TensorESF_SF_EERKSF_lbbbEUlllE_EE10hipError_tT0_T1_T2_jT3_P12ihipStream_tbPNSt15iterator_traitsISL_E10value_typeEPNSR_ISM_E10value_typeEPSN_NS1_7vsmem_tEENKUlT_SL_SM_SN_E_clIS8_S8_S9_S9_EESK_S10_SL_SM_SN_EUlS10_E_NS1_11comp_targetILNS1_3genE3ELNS1_11target_archE908ELNS1_3gpuE7ELNS1_3repE0EEENS1_48merge_mergepath_partition_config_static_selectorELNS0_4arch9wavefront6targetE1EEEvSM_,"axG",@progbits,_ZN7rocprim17ROCPRIM_400000_NS6detail17trampoline_kernelINS0_14default_configENS1_38merge_sort_block_merge_config_selectorIlNS0_10empty_typeEEEZZNS1_27merge_sort_block_merge_implIS3_PlPS5_mZN2at6native12_GLOBAL__N_124unique_dim_cuda_templateIdEESt5tupleIJNSA_6TensorESF_SF_EERKSF_lbbbEUlllE_EE10hipError_tT0_T1_T2_jT3_P12ihipStream_tbPNSt15iterator_traitsISL_E10value_typeEPNSR_ISM_E10value_typeEPSN_NS1_7vsmem_tEENKUlT_SL_SM_SN_E_clIS8_S8_S9_S9_EESK_S10_SL_SM_SN_EUlS10_E_NS1_11comp_targetILNS1_3genE3ELNS1_11target_archE908ELNS1_3gpuE7ELNS1_3repE0EEENS1_48merge_mergepath_partition_config_static_selectorELNS0_4arch9wavefront6targetE1EEEvSM_,comdat
.Lfunc_end768:
	.size	_ZN7rocprim17ROCPRIM_400000_NS6detail17trampoline_kernelINS0_14default_configENS1_38merge_sort_block_merge_config_selectorIlNS0_10empty_typeEEEZZNS1_27merge_sort_block_merge_implIS3_PlPS5_mZN2at6native12_GLOBAL__N_124unique_dim_cuda_templateIdEESt5tupleIJNSA_6TensorESF_SF_EERKSF_lbbbEUlllE_EE10hipError_tT0_T1_T2_jT3_P12ihipStream_tbPNSt15iterator_traitsISL_E10value_typeEPNSR_ISM_E10value_typeEPSN_NS1_7vsmem_tEENKUlT_SL_SM_SN_E_clIS8_S8_S9_S9_EESK_S10_SL_SM_SN_EUlS10_E_NS1_11comp_targetILNS1_3genE3ELNS1_11target_archE908ELNS1_3gpuE7ELNS1_3repE0EEENS1_48merge_mergepath_partition_config_static_selectorELNS0_4arch9wavefront6targetE1EEEvSM_, .Lfunc_end768-_ZN7rocprim17ROCPRIM_400000_NS6detail17trampoline_kernelINS0_14default_configENS1_38merge_sort_block_merge_config_selectorIlNS0_10empty_typeEEEZZNS1_27merge_sort_block_merge_implIS3_PlPS5_mZN2at6native12_GLOBAL__N_124unique_dim_cuda_templateIdEESt5tupleIJNSA_6TensorESF_SF_EERKSF_lbbbEUlllE_EE10hipError_tT0_T1_T2_jT3_P12ihipStream_tbPNSt15iterator_traitsISL_E10value_typeEPNSR_ISM_E10value_typeEPSN_NS1_7vsmem_tEENKUlT_SL_SM_SN_E_clIS8_S8_S9_S9_EESK_S10_SL_SM_SN_EUlS10_E_NS1_11comp_targetILNS1_3genE3ELNS1_11target_archE908ELNS1_3gpuE7ELNS1_3repE0EEENS1_48merge_mergepath_partition_config_static_selectorELNS0_4arch9wavefront6targetE1EEEvSM_
                                        ; -- End function
	.section	.AMDGPU.csdata,"",@progbits
; Kernel info:
; codeLenInByte = 0
; NumSgprs: 6
; NumVgprs: 0
; NumAgprs: 0
; TotalNumVgprs: 0
; ScratchSize: 0
; MemoryBound: 0
; FloatMode: 240
; IeeeMode: 1
; LDSByteSize: 0 bytes/workgroup (compile time only)
; SGPRBlocks: 0
; VGPRBlocks: 0
; NumSGPRsForWavesPerEU: 6
; NumVGPRsForWavesPerEU: 1
; AccumOffset: 4
; Occupancy: 8
; WaveLimiterHint : 0
; COMPUTE_PGM_RSRC2:SCRATCH_EN: 0
; COMPUTE_PGM_RSRC2:USER_SGPR: 2
; COMPUTE_PGM_RSRC2:TRAP_HANDLER: 0
; COMPUTE_PGM_RSRC2:TGID_X_EN: 1
; COMPUTE_PGM_RSRC2:TGID_Y_EN: 0
; COMPUTE_PGM_RSRC2:TGID_Z_EN: 0
; COMPUTE_PGM_RSRC2:TIDIG_COMP_CNT: 0
; COMPUTE_PGM_RSRC3_GFX90A:ACCUM_OFFSET: 0
; COMPUTE_PGM_RSRC3_GFX90A:TG_SPLIT: 0
	.section	.text._ZN7rocprim17ROCPRIM_400000_NS6detail17trampoline_kernelINS0_14default_configENS1_38merge_sort_block_merge_config_selectorIlNS0_10empty_typeEEEZZNS1_27merge_sort_block_merge_implIS3_PlPS5_mZN2at6native12_GLOBAL__N_124unique_dim_cuda_templateIdEESt5tupleIJNSA_6TensorESF_SF_EERKSF_lbbbEUlllE_EE10hipError_tT0_T1_T2_jT3_P12ihipStream_tbPNSt15iterator_traitsISL_E10value_typeEPNSR_ISM_E10value_typeEPSN_NS1_7vsmem_tEENKUlT_SL_SM_SN_E_clIS8_S8_S9_S9_EESK_S10_SL_SM_SN_EUlS10_E_NS1_11comp_targetILNS1_3genE2ELNS1_11target_archE906ELNS1_3gpuE6ELNS1_3repE0EEENS1_48merge_mergepath_partition_config_static_selectorELNS0_4arch9wavefront6targetE1EEEvSM_,"axG",@progbits,_ZN7rocprim17ROCPRIM_400000_NS6detail17trampoline_kernelINS0_14default_configENS1_38merge_sort_block_merge_config_selectorIlNS0_10empty_typeEEEZZNS1_27merge_sort_block_merge_implIS3_PlPS5_mZN2at6native12_GLOBAL__N_124unique_dim_cuda_templateIdEESt5tupleIJNSA_6TensorESF_SF_EERKSF_lbbbEUlllE_EE10hipError_tT0_T1_T2_jT3_P12ihipStream_tbPNSt15iterator_traitsISL_E10value_typeEPNSR_ISM_E10value_typeEPSN_NS1_7vsmem_tEENKUlT_SL_SM_SN_E_clIS8_S8_S9_S9_EESK_S10_SL_SM_SN_EUlS10_E_NS1_11comp_targetILNS1_3genE2ELNS1_11target_archE906ELNS1_3gpuE6ELNS1_3repE0EEENS1_48merge_mergepath_partition_config_static_selectorELNS0_4arch9wavefront6targetE1EEEvSM_,comdat
	.globl	_ZN7rocprim17ROCPRIM_400000_NS6detail17trampoline_kernelINS0_14default_configENS1_38merge_sort_block_merge_config_selectorIlNS0_10empty_typeEEEZZNS1_27merge_sort_block_merge_implIS3_PlPS5_mZN2at6native12_GLOBAL__N_124unique_dim_cuda_templateIdEESt5tupleIJNSA_6TensorESF_SF_EERKSF_lbbbEUlllE_EE10hipError_tT0_T1_T2_jT3_P12ihipStream_tbPNSt15iterator_traitsISL_E10value_typeEPNSR_ISM_E10value_typeEPSN_NS1_7vsmem_tEENKUlT_SL_SM_SN_E_clIS8_S8_S9_S9_EESK_S10_SL_SM_SN_EUlS10_E_NS1_11comp_targetILNS1_3genE2ELNS1_11target_archE906ELNS1_3gpuE6ELNS1_3repE0EEENS1_48merge_mergepath_partition_config_static_selectorELNS0_4arch9wavefront6targetE1EEEvSM_ ; -- Begin function _ZN7rocprim17ROCPRIM_400000_NS6detail17trampoline_kernelINS0_14default_configENS1_38merge_sort_block_merge_config_selectorIlNS0_10empty_typeEEEZZNS1_27merge_sort_block_merge_implIS3_PlPS5_mZN2at6native12_GLOBAL__N_124unique_dim_cuda_templateIdEESt5tupleIJNSA_6TensorESF_SF_EERKSF_lbbbEUlllE_EE10hipError_tT0_T1_T2_jT3_P12ihipStream_tbPNSt15iterator_traitsISL_E10value_typeEPNSR_ISM_E10value_typeEPSN_NS1_7vsmem_tEENKUlT_SL_SM_SN_E_clIS8_S8_S9_S9_EESK_S10_SL_SM_SN_EUlS10_E_NS1_11comp_targetILNS1_3genE2ELNS1_11target_archE906ELNS1_3gpuE6ELNS1_3repE0EEENS1_48merge_mergepath_partition_config_static_selectorELNS0_4arch9wavefront6targetE1EEEvSM_
	.p2align	8
	.type	_ZN7rocprim17ROCPRIM_400000_NS6detail17trampoline_kernelINS0_14default_configENS1_38merge_sort_block_merge_config_selectorIlNS0_10empty_typeEEEZZNS1_27merge_sort_block_merge_implIS3_PlPS5_mZN2at6native12_GLOBAL__N_124unique_dim_cuda_templateIdEESt5tupleIJNSA_6TensorESF_SF_EERKSF_lbbbEUlllE_EE10hipError_tT0_T1_T2_jT3_P12ihipStream_tbPNSt15iterator_traitsISL_E10value_typeEPNSR_ISM_E10value_typeEPSN_NS1_7vsmem_tEENKUlT_SL_SM_SN_E_clIS8_S8_S9_S9_EESK_S10_SL_SM_SN_EUlS10_E_NS1_11comp_targetILNS1_3genE2ELNS1_11target_archE906ELNS1_3gpuE6ELNS1_3repE0EEENS1_48merge_mergepath_partition_config_static_selectorELNS0_4arch9wavefront6targetE1EEEvSM_,@function
_ZN7rocprim17ROCPRIM_400000_NS6detail17trampoline_kernelINS0_14default_configENS1_38merge_sort_block_merge_config_selectorIlNS0_10empty_typeEEEZZNS1_27merge_sort_block_merge_implIS3_PlPS5_mZN2at6native12_GLOBAL__N_124unique_dim_cuda_templateIdEESt5tupleIJNSA_6TensorESF_SF_EERKSF_lbbbEUlllE_EE10hipError_tT0_T1_T2_jT3_P12ihipStream_tbPNSt15iterator_traitsISL_E10value_typeEPNSR_ISM_E10value_typeEPSN_NS1_7vsmem_tEENKUlT_SL_SM_SN_E_clIS8_S8_S9_S9_EESK_S10_SL_SM_SN_EUlS10_E_NS1_11comp_targetILNS1_3genE2ELNS1_11target_archE906ELNS1_3gpuE6ELNS1_3repE0EEENS1_48merge_mergepath_partition_config_static_selectorELNS0_4arch9wavefront6targetE1EEEvSM_: ; @_ZN7rocprim17ROCPRIM_400000_NS6detail17trampoline_kernelINS0_14default_configENS1_38merge_sort_block_merge_config_selectorIlNS0_10empty_typeEEEZZNS1_27merge_sort_block_merge_implIS3_PlPS5_mZN2at6native12_GLOBAL__N_124unique_dim_cuda_templateIdEESt5tupleIJNSA_6TensorESF_SF_EERKSF_lbbbEUlllE_EE10hipError_tT0_T1_T2_jT3_P12ihipStream_tbPNSt15iterator_traitsISL_E10value_typeEPNSR_ISM_E10value_typeEPSN_NS1_7vsmem_tEENKUlT_SL_SM_SN_E_clIS8_S8_S9_S9_EESK_S10_SL_SM_SN_EUlS10_E_NS1_11comp_targetILNS1_3genE2ELNS1_11target_archE906ELNS1_3gpuE6ELNS1_3repE0EEENS1_48merge_mergepath_partition_config_static_selectorELNS0_4arch9wavefront6targetE1EEEvSM_
; %bb.0:
	.section	.rodata,"a",@progbits
	.p2align	6, 0x0
	.amdhsa_kernel _ZN7rocprim17ROCPRIM_400000_NS6detail17trampoline_kernelINS0_14default_configENS1_38merge_sort_block_merge_config_selectorIlNS0_10empty_typeEEEZZNS1_27merge_sort_block_merge_implIS3_PlPS5_mZN2at6native12_GLOBAL__N_124unique_dim_cuda_templateIdEESt5tupleIJNSA_6TensorESF_SF_EERKSF_lbbbEUlllE_EE10hipError_tT0_T1_T2_jT3_P12ihipStream_tbPNSt15iterator_traitsISL_E10value_typeEPNSR_ISM_E10value_typeEPSN_NS1_7vsmem_tEENKUlT_SL_SM_SN_E_clIS8_S8_S9_S9_EESK_S10_SL_SM_SN_EUlS10_E_NS1_11comp_targetILNS1_3genE2ELNS1_11target_archE906ELNS1_3gpuE6ELNS1_3repE0EEENS1_48merge_mergepath_partition_config_static_selectorELNS0_4arch9wavefront6targetE1EEEvSM_
		.amdhsa_group_segment_fixed_size 0
		.amdhsa_private_segment_fixed_size 0
		.amdhsa_kernarg_size 56
		.amdhsa_user_sgpr_count 2
		.amdhsa_user_sgpr_dispatch_ptr 0
		.amdhsa_user_sgpr_queue_ptr 0
		.amdhsa_user_sgpr_kernarg_segment_ptr 1
		.amdhsa_user_sgpr_dispatch_id 0
		.amdhsa_user_sgpr_kernarg_preload_length 0
		.amdhsa_user_sgpr_kernarg_preload_offset 0
		.amdhsa_user_sgpr_private_segment_size 0
		.amdhsa_uses_dynamic_stack 0
		.amdhsa_enable_private_segment 0
		.amdhsa_system_sgpr_workgroup_id_x 1
		.amdhsa_system_sgpr_workgroup_id_y 0
		.amdhsa_system_sgpr_workgroup_id_z 0
		.amdhsa_system_sgpr_workgroup_info 0
		.amdhsa_system_vgpr_workitem_id 0
		.amdhsa_next_free_vgpr 1
		.amdhsa_next_free_sgpr 0
		.amdhsa_accum_offset 4
		.amdhsa_reserve_vcc 0
		.amdhsa_float_round_mode_32 0
		.amdhsa_float_round_mode_16_64 0
		.amdhsa_float_denorm_mode_32 3
		.amdhsa_float_denorm_mode_16_64 3
		.amdhsa_dx10_clamp 1
		.amdhsa_ieee_mode 1
		.amdhsa_fp16_overflow 0
		.amdhsa_tg_split 0
		.amdhsa_exception_fp_ieee_invalid_op 0
		.amdhsa_exception_fp_denorm_src 0
		.amdhsa_exception_fp_ieee_div_zero 0
		.amdhsa_exception_fp_ieee_overflow 0
		.amdhsa_exception_fp_ieee_underflow 0
		.amdhsa_exception_fp_ieee_inexact 0
		.amdhsa_exception_int_div_zero 0
	.end_amdhsa_kernel
	.section	.text._ZN7rocprim17ROCPRIM_400000_NS6detail17trampoline_kernelINS0_14default_configENS1_38merge_sort_block_merge_config_selectorIlNS0_10empty_typeEEEZZNS1_27merge_sort_block_merge_implIS3_PlPS5_mZN2at6native12_GLOBAL__N_124unique_dim_cuda_templateIdEESt5tupleIJNSA_6TensorESF_SF_EERKSF_lbbbEUlllE_EE10hipError_tT0_T1_T2_jT3_P12ihipStream_tbPNSt15iterator_traitsISL_E10value_typeEPNSR_ISM_E10value_typeEPSN_NS1_7vsmem_tEENKUlT_SL_SM_SN_E_clIS8_S8_S9_S9_EESK_S10_SL_SM_SN_EUlS10_E_NS1_11comp_targetILNS1_3genE2ELNS1_11target_archE906ELNS1_3gpuE6ELNS1_3repE0EEENS1_48merge_mergepath_partition_config_static_selectorELNS0_4arch9wavefront6targetE1EEEvSM_,"axG",@progbits,_ZN7rocprim17ROCPRIM_400000_NS6detail17trampoline_kernelINS0_14default_configENS1_38merge_sort_block_merge_config_selectorIlNS0_10empty_typeEEEZZNS1_27merge_sort_block_merge_implIS3_PlPS5_mZN2at6native12_GLOBAL__N_124unique_dim_cuda_templateIdEESt5tupleIJNSA_6TensorESF_SF_EERKSF_lbbbEUlllE_EE10hipError_tT0_T1_T2_jT3_P12ihipStream_tbPNSt15iterator_traitsISL_E10value_typeEPNSR_ISM_E10value_typeEPSN_NS1_7vsmem_tEENKUlT_SL_SM_SN_E_clIS8_S8_S9_S9_EESK_S10_SL_SM_SN_EUlS10_E_NS1_11comp_targetILNS1_3genE2ELNS1_11target_archE906ELNS1_3gpuE6ELNS1_3repE0EEENS1_48merge_mergepath_partition_config_static_selectorELNS0_4arch9wavefront6targetE1EEEvSM_,comdat
.Lfunc_end769:
	.size	_ZN7rocprim17ROCPRIM_400000_NS6detail17trampoline_kernelINS0_14default_configENS1_38merge_sort_block_merge_config_selectorIlNS0_10empty_typeEEEZZNS1_27merge_sort_block_merge_implIS3_PlPS5_mZN2at6native12_GLOBAL__N_124unique_dim_cuda_templateIdEESt5tupleIJNSA_6TensorESF_SF_EERKSF_lbbbEUlllE_EE10hipError_tT0_T1_T2_jT3_P12ihipStream_tbPNSt15iterator_traitsISL_E10value_typeEPNSR_ISM_E10value_typeEPSN_NS1_7vsmem_tEENKUlT_SL_SM_SN_E_clIS8_S8_S9_S9_EESK_S10_SL_SM_SN_EUlS10_E_NS1_11comp_targetILNS1_3genE2ELNS1_11target_archE906ELNS1_3gpuE6ELNS1_3repE0EEENS1_48merge_mergepath_partition_config_static_selectorELNS0_4arch9wavefront6targetE1EEEvSM_, .Lfunc_end769-_ZN7rocprim17ROCPRIM_400000_NS6detail17trampoline_kernelINS0_14default_configENS1_38merge_sort_block_merge_config_selectorIlNS0_10empty_typeEEEZZNS1_27merge_sort_block_merge_implIS3_PlPS5_mZN2at6native12_GLOBAL__N_124unique_dim_cuda_templateIdEESt5tupleIJNSA_6TensorESF_SF_EERKSF_lbbbEUlllE_EE10hipError_tT0_T1_T2_jT3_P12ihipStream_tbPNSt15iterator_traitsISL_E10value_typeEPNSR_ISM_E10value_typeEPSN_NS1_7vsmem_tEENKUlT_SL_SM_SN_E_clIS8_S8_S9_S9_EESK_S10_SL_SM_SN_EUlS10_E_NS1_11comp_targetILNS1_3genE2ELNS1_11target_archE906ELNS1_3gpuE6ELNS1_3repE0EEENS1_48merge_mergepath_partition_config_static_selectorELNS0_4arch9wavefront6targetE1EEEvSM_
                                        ; -- End function
	.section	.AMDGPU.csdata,"",@progbits
; Kernel info:
; codeLenInByte = 0
; NumSgprs: 6
; NumVgprs: 0
; NumAgprs: 0
; TotalNumVgprs: 0
; ScratchSize: 0
; MemoryBound: 0
; FloatMode: 240
; IeeeMode: 1
; LDSByteSize: 0 bytes/workgroup (compile time only)
; SGPRBlocks: 0
; VGPRBlocks: 0
; NumSGPRsForWavesPerEU: 6
; NumVGPRsForWavesPerEU: 1
; AccumOffset: 4
; Occupancy: 8
; WaveLimiterHint : 0
; COMPUTE_PGM_RSRC2:SCRATCH_EN: 0
; COMPUTE_PGM_RSRC2:USER_SGPR: 2
; COMPUTE_PGM_RSRC2:TRAP_HANDLER: 0
; COMPUTE_PGM_RSRC2:TGID_X_EN: 1
; COMPUTE_PGM_RSRC2:TGID_Y_EN: 0
; COMPUTE_PGM_RSRC2:TGID_Z_EN: 0
; COMPUTE_PGM_RSRC2:TIDIG_COMP_CNT: 0
; COMPUTE_PGM_RSRC3_GFX90A:ACCUM_OFFSET: 0
; COMPUTE_PGM_RSRC3_GFX90A:TG_SPLIT: 0
	.section	.text._ZN7rocprim17ROCPRIM_400000_NS6detail17trampoline_kernelINS0_14default_configENS1_38merge_sort_block_merge_config_selectorIlNS0_10empty_typeEEEZZNS1_27merge_sort_block_merge_implIS3_PlPS5_mZN2at6native12_GLOBAL__N_124unique_dim_cuda_templateIdEESt5tupleIJNSA_6TensorESF_SF_EERKSF_lbbbEUlllE_EE10hipError_tT0_T1_T2_jT3_P12ihipStream_tbPNSt15iterator_traitsISL_E10value_typeEPNSR_ISM_E10value_typeEPSN_NS1_7vsmem_tEENKUlT_SL_SM_SN_E_clIS8_S8_S9_S9_EESK_S10_SL_SM_SN_EUlS10_E_NS1_11comp_targetILNS1_3genE9ELNS1_11target_archE1100ELNS1_3gpuE3ELNS1_3repE0EEENS1_48merge_mergepath_partition_config_static_selectorELNS0_4arch9wavefront6targetE1EEEvSM_,"axG",@progbits,_ZN7rocprim17ROCPRIM_400000_NS6detail17trampoline_kernelINS0_14default_configENS1_38merge_sort_block_merge_config_selectorIlNS0_10empty_typeEEEZZNS1_27merge_sort_block_merge_implIS3_PlPS5_mZN2at6native12_GLOBAL__N_124unique_dim_cuda_templateIdEESt5tupleIJNSA_6TensorESF_SF_EERKSF_lbbbEUlllE_EE10hipError_tT0_T1_T2_jT3_P12ihipStream_tbPNSt15iterator_traitsISL_E10value_typeEPNSR_ISM_E10value_typeEPSN_NS1_7vsmem_tEENKUlT_SL_SM_SN_E_clIS8_S8_S9_S9_EESK_S10_SL_SM_SN_EUlS10_E_NS1_11comp_targetILNS1_3genE9ELNS1_11target_archE1100ELNS1_3gpuE3ELNS1_3repE0EEENS1_48merge_mergepath_partition_config_static_selectorELNS0_4arch9wavefront6targetE1EEEvSM_,comdat
	.globl	_ZN7rocprim17ROCPRIM_400000_NS6detail17trampoline_kernelINS0_14default_configENS1_38merge_sort_block_merge_config_selectorIlNS0_10empty_typeEEEZZNS1_27merge_sort_block_merge_implIS3_PlPS5_mZN2at6native12_GLOBAL__N_124unique_dim_cuda_templateIdEESt5tupleIJNSA_6TensorESF_SF_EERKSF_lbbbEUlllE_EE10hipError_tT0_T1_T2_jT3_P12ihipStream_tbPNSt15iterator_traitsISL_E10value_typeEPNSR_ISM_E10value_typeEPSN_NS1_7vsmem_tEENKUlT_SL_SM_SN_E_clIS8_S8_S9_S9_EESK_S10_SL_SM_SN_EUlS10_E_NS1_11comp_targetILNS1_3genE9ELNS1_11target_archE1100ELNS1_3gpuE3ELNS1_3repE0EEENS1_48merge_mergepath_partition_config_static_selectorELNS0_4arch9wavefront6targetE1EEEvSM_ ; -- Begin function _ZN7rocprim17ROCPRIM_400000_NS6detail17trampoline_kernelINS0_14default_configENS1_38merge_sort_block_merge_config_selectorIlNS0_10empty_typeEEEZZNS1_27merge_sort_block_merge_implIS3_PlPS5_mZN2at6native12_GLOBAL__N_124unique_dim_cuda_templateIdEESt5tupleIJNSA_6TensorESF_SF_EERKSF_lbbbEUlllE_EE10hipError_tT0_T1_T2_jT3_P12ihipStream_tbPNSt15iterator_traitsISL_E10value_typeEPNSR_ISM_E10value_typeEPSN_NS1_7vsmem_tEENKUlT_SL_SM_SN_E_clIS8_S8_S9_S9_EESK_S10_SL_SM_SN_EUlS10_E_NS1_11comp_targetILNS1_3genE9ELNS1_11target_archE1100ELNS1_3gpuE3ELNS1_3repE0EEENS1_48merge_mergepath_partition_config_static_selectorELNS0_4arch9wavefront6targetE1EEEvSM_
	.p2align	8
	.type	_ZN7rocprim17ROCPRIM_400000_NS6detail17trampoline_kernelINS0_14default_configENS1_38merge_sort_block_merge_config_selectorIlNS0_10empty_typeEEEZZNS1_27merge_sort_block_merge_implIS3_PlPS5_mZN2at6native12_GLOBAL__N_124unique_dim_cuda_templateIdEESt5tupleIJNSA_6TensorESF_SF_EERKSF_lbbbEUlllE_EE10hipError_tT0_T1_T2_jT3_P12ihipStream_tbPNSt15iterator_traitsISL_E10value_typeEPNSR_ISM_E10value_typeEPSN_NS1_7vsmem_tEENKUlT_SL_SM_SN_E_clIS8_S8_S9_S9_EESK_S10_SL_SM_SN_EUlS10_E_NS1_11comp_targetILNS1_3genE9ELNS1_11target_archE1100ELNS1_3gpuE3ELNS1_3repE0EEENS1_48merge_mergepath_partition_config_static_selectorELNS0_4arch9wavefront6targetE1EEEvSM_,@function
_ZN7rocprim17ROCPRIM_400000_NS6detail17trampoline_kernelINS0_14default_configENS1_38merge_sort_block_merge_config_selectorIlNS0_10empty_typeEEEZZNS1_27merge_sort_block_merge_implIS3_PlPS5_mZN2at6native12_GLOBAL__N_124unique_dim_cuda_templateIdEESt5tupleIJNSA_6TensorESF_SF_EERKSF_lbbbEUlllE_EE10hipError_tT0_T1_T2_jT3_P12ihipStream_tbPNSt15iterator_traitsISL_E10value_typeEPNSR_ISM_E10value_typeEPSN_NS1_7vsmem_tEENKUlT_SL_SM_SN_E_clIS8_S8_S9_S9_EESK_S10_SL_SM_SN_EUlS10_E_NS1_11comp_targetILNS1_3genE9ELNS1_11target_archE1100ELNS1_3gpuE3ELNS1_3repE0EEENS1_48merge_mergepath_partition_config_static_selectorELNS0_4arch9wavefront6targetE1EEEvSM_: ; @_ZN7rocprim17ROCPRIM_400000_NS6detail17trampoline_kernelINS0_14default_configENS1_38merge_sort_block_merge_config_selectorIlNS0_10empty_typeEEEZZNS1_27merge_sort_block_merge_implIS3_PlPS5_mZN2at6native12_GLOBAL__N_124unique_dim_cuda_templateIdEESt5tupleIJNSA_6TensorESF_SF_EERKSF_lbbbEUlllE_EE10hipError_tT0_T1_T2_jT3_P12ihipStream_tbPNSt15iterator_traitsISL_E10value_typeEPNSR_ISM_E10value_typeEPSN_NS1_7vsmem_tEENKUlT_SL_SM_SN_E_clIS8_S8_S9_S9_EESK_S10_SL_SM_SN_EUlS10_E_NS1_11comp_targetILNS1_3genE9ELNS1_11target_archE1100ELNS1_3gpuE3ELNS1_3repE0EEENS1_48merge_mergepath_partition_config_static_selectorELNS0_4arch9wavefront6targetE1EEEvSM_
; %bb.0:
	.section	.rodata,"a",@progbits
	.p2align	6, 0x0
	.amdhsa_kernel _ZN7rocprim17ROCPRIM_400000_NS6detail17trampoline_kernelINS0_14default_configENS1_38merge_sort_block_merge_config_selectorIlNS0_10empty_typeEEEZZNS1_27merge_sort_block_merge_implIS3_PlPS5_mZN2at6native12_GLOBAL__N_124unique_dim_cuda_templateIdEESt5tupleIJNSA_6TensorESF_SF_EERKSF_lbbbEUlllE_EE10hipError_tT0_T1_T2_jT3_P12ihipStream_tbPNSt15iterator_traitsISL_E10value_typeEPNSR_ISM_E10value_typeEPSN_NS1_7vsmem_tEENKUlT_SL_SM_SN_E_clIS8_S8_S9_S9_EESK_S10_SL_SM_SN_EUlS10_E_NS1_11comp_targetILNS1_3genE9ELNS1_11target_archE1100ELNS1_3gpuE3ELNS1_3repE0EEENS1_48merge_mergepath_partition_config_static_selectorELNS0_4arch9wavefront6targetE1EEEvSM_
		.amdhsa_group_segment_fixed_size 0
		.amdhsa_private_segment_fixed_size 0
		.amdhsa_kernarg_size 56
		.amdhsa_user_sgpr_count 2
		.amdhsa_user_sgpr_dispatch_ptr 0
		.amdhsa_user_sgpr_queue_ptr 0
		.amdhsa_user_sgpr_kernarg_segment_ptr 1
		.amdhsa_user_sgpr_dispatch_id 0
		.amdhsa_user_sgpr_kernarg_preload_length 0
		.amdhsa_user_sgpr_kernarg_preload_offset 0
		.amdhsa_user_sgpr_private_segment_size 0
		.amdhsa_uses_dynamic_stack 0
		.amdhsa_enable_private_segment 0
		.amdhsa_system_sgpr_workgroup_id_x 1
		.amdhsa_system_sgpr_workgroup_id_y 0
		.amdhsa_system_sgpr_workgroup_id_z 0
		.amdhsa_system_sgpr_workgroup_info 0
		.amdhsa_system_vgpr_workitem_id 0
		.amdhsa_next_free_vgpr 1
		.amdhsa_next_free_sgpr 0
		.amdhsa_accum_offset 4
		.amdhsa_reserve_vcc 0
		.amdhsa_float_round_mode_32 0
		.amdhsa_float_round_mode_16_64 0
		.amdhsa_float_denorm_mode_32 3
		.amdhsa_float_denorm_mode_16_64 3
		.amdhsa_dx10_clamp 1
		.amdhsa_ieee_mode 1
		.amdhsa_fp16_overflow 0
		.amdhsa_tg_split 0
		.amdhsa_exception_fp_ieee_invalid_op 0
		.amdhsa_exception_fp_denorm_src 0
		.amdhsa_exception_fp_ieee_div_zero 0
		.amdhsa_exception_fp_ieee_overflow 0
		.amdhsa_exception_fp_ieee_underflow 0
		.amdhsa_exception_fp_ieee_inexact 0
		.amdhsa_exception_int_div_zero 0
	.end_amdhsa_kernel
	.section	.text._ZN7rocprim17ROCPRIM_400000_NS6detail17trampoline_kernelINS0_14default_configENS1_38merge_sort_block_merge_config_selectorIlNS0_10empty_typeEEEZZNS1_27merge_sort_block_merge_implIS3_PlPS5_mZN2at6native12_GLOBAL__N_124unique_dim_cuda_templateIdEESt5tupleIJNSA_6TensorESF_SF_EERKSF_lbbbEUlllE_EE10hipError_tT0_T1_T2_jT3_P12ihipStream_tbPNSt15iterator_traitsISL_E10value_typeEPNSR_ISM_E10value_typeEPSN_NS1_7vsmem_tEENKUlT_SL_SM_SN_E_clIS8_S8_S9_S9_EESK_S10_SL_SM_SN_EUlS10_E_NS1_11comp_targetILNS1_3genE9ELNS1_11target_archE1100ELNS1_3gpuE3ELNS1_3repE0EEENS1_48merge_mergepath_partition_config_static_selectorELNS0_4arch9wavefront6targetE1EEEvSM_,"axG",@progbits,_ZN7rocprim17ROCPRIM_400000_NS6detail17trampoline_kernelINS0_14default_configENS1_38merge_sort_block_merge_config_selectorIlNS0_10empty_typeEEEZZNS1_27merge_sort_block_merge_implIS3_PlPS5_mZN2at6native12_GLOBAL__N_124unique_dim_cuda_templateIdEESt5tupleIJNSA_6TensorESF_SF_EERKSF_lbbbEUlllE_EE10hipError_tT0_T1_T2_jT3_P12ihipStream_tbPNSt15iterator_traitsISL_E10value_typeEPNSR_ISM_E10value_typeEPSN_NS1_7vsmem_tEENKUlT_SL_SM_SN_E_clIS8_S8_S9_S9_EESK_S10_SL_SM_SN_EUlS10_E_NS1_11comp_targetILNS1_3genE9ELNS1_11target_archE1100ELNS1_3gpuE3ELNS1_3repE0EEENS1_48merge_mergepath_partition_config_static_selectorELNS0_4arch9wavefront6targetE1EEEvSM_,comdat
.Lfunc_end770:
	.size	_ZN7rocprim17ROCPRIM_400000_NS6detail17trampoline_kernelINS0_14default_configENS1_38merge_sort_block_merge_config_selectorIlNS0_10empty_typeEEEZZNS1_27merge_sort_block_merge_implIS3_PlPS5_mZN2at6native12_GLOBAL__N_124unique_dim_cuda_templateIdEESt5tupleIJNSA_6TensorESF_SF_EERKSF_lbbbEUlllE_EE10hipError_tT0_T1_T2_jT3_P12ihipStream_tbPNSt15iterator_traitsISL_E10value_typeEPNSR_ISM_E10value_typeEPSN_NS1_7vsmem_tEENKUlT_SL_SM_SN_E_clIS8_S8_S9_S9_EESK_S10_SL_SM_SN_EUlS10_E_NS1_11comp_targetILNS1_3genE9ELNS1_11target_archE1100ELNS1_3gpuE3ELNS1_3repE0EEENS1_48merge_mergepath_partition_config_static_selectorELNS0_4arch9wavefront6targetE1EEEvSM_, .Lfunc_end770-_ZN7rocprim17ROCPRIM_400000_NS6detail17trampoline_kernelINS0_14default_configENS1_38merge_sort_block_merge_config_selectorIlNS0_10empty_typeEEEZZNS1_27merge_sort_block_merge_implIS3_PlPS5_mZN2at6native12_GLOBAL__N_124unique_dim_cuda_templateIdEESt5tupleIJNSA_6TensorESF_SF_EERKSF_lbbbEUlllE_EE10hipError_tT0_T1_T2_jT3_P12ihipStream_tbPNSt15iterator_traitsISL_E10value_typeEPNSR_ISM_E10value_typeEPSN_NS1_7vsmem_tEENKUlT_SL_SM_SN_E_clIS8_S8_S9_S9_EESK_S10_SL_SM_SN_EUlS10_E_NS1_11comp_targetILNS1_3genE9ELNS1_11target_archE1100ELNS1_3gpuE3ELNS1_3repE0EEENS1_48merge_mergepath_partition_config_static_selectorELNS0_4arch9wavefront6targetE1EEEvSM_
                                        ; -- End function
	.section	.AMDGPU.csdata,"",@progbits
; Kernel info:
; codeLenInByte = 0
; NumSgprs: 6
; NumVgprs: 0
; NumAgprs: 0
; TotalNumVgprs: 0
; ScratchSize: 0
; MemoryBound: 0
; FloatMode: 240
; IeeeMode: 1
; LDSByteSize: 0 bytes/workgroup (compile time only)
; SGPRBlocks: 0
; VGPRBlocks: 0
; NumSGPRsForWavesPerEU: 6
; NumVGPRsForWavesPerEU: 1
; AccumOffset: 4
; Occupancy: 8
; WaveLimiterHint : 0
; COMPUTE_PGM_RSRC2:SCRATCH_EN: 0
; COMPUTE_PGM_RSRC2:USER_SGPR: 2
; COMPUTE_PGM_RSRC2:TRAP_HANDLER: 0
; COMPUTE_PGM_RSRC2:TGID_X_EN: 1
; COMPUTE_PGM_RSRC2:TGID_Y_EN: 0
; COMPUTE_PGM_RSRC2:TGID_Z_EN: 0
; COMPUTE_PGM_RSRC2:TIDIG_COMP_CNT: 0
; COMPUTE_PGM_RSRC3_GFX90A:ACCUM_OFFSET: 0
; COMPUTE_PGM_RSRC3_GFX90A:TG_SPLIT: 0
	.section	.text._ZN7rocprim17ROCPRIM_400000_NS6detail17trampoline_kernelINS0_14default_configENS1_38merge_sort_block_merge_config_selectorIlNS0_10empty_typeEEEZZNS1_27merge_sort_block_merge_implIS3_PlPS5_mZN2at6native12_GLOBAL__N_124unique_dim_cuda_templateIdEESt5tupleIJNSA_6TensorESF_SF_EERKSF_lbbbEUlllE_EE10hipError_tT0_T1_T2_jT3_P12ihipStream_tbPNSt15iterator_traitsISL_E10value_typeEPNSR_ISM_E10value_typeEPSN_NS1_7vsmem_tEENKUlT_SL_SM_SN_E_clIS8_S8_S9_S9_EESK_S10_SL_SM_SN_EUlS10_E_NS1_11comp_targetILNS1_3genE8ELNS1_11target_archE1030ELNS1_3gpuE2ELNS1_3repE0EEENS1_48merge_mergepath_partition_config_static_selectorELNS0_4arch9wavefront6targetE1EEEvSM_,"axG",@progbits,_ZN7rocprim17ROCPRIM_400000_NS6detail17trampoline_kernelINS0_14default_configENS1_38merge_sort_block_merge_config_selectorIlNS0_10empty_typeEEEZZNS1_27merge_sort_block_merge_implIS3_PlPS5_mZN2at6native12_GLOBAL__N_124unique_dim_cuda_templateIdEESt5tupleIJNSA_6TensorESF_SF_EERKSF_lbbbEUlllE_EE10hipError_tT0_T1_T2_jT3_P12ihipStream_tbPNSt15iterator_traitsISL_E10value_typeEPNSR_ISM_E10value_typeEPSN_NS1_7vsmem_tEENKUlT_SL_SM_SN_E_clIS8_S8_S9_S9_EESK_S10_SL_SM_SN_EUlS10_E_NS1_11comp_targetILNS1_3genE8ELNS1_11target_archE1030ELNS1_3gpuE2ELNS1_3repE0EEENS1_48merge_mergepath_partition_config_static_selectorELNS0_4arch9wavefront6targetE1EEEvSM_,comdat
	.globl	_ZN7rocprim17ROCPRIM_400000_NS6detail17trampoline_kernelINS0_14default_configENS1_38merge_sort_block_merge_config_selectorIlNS0_10empty_typeEEEZZNS1_27merge_sort_block_merge_implIS3_PlPS5_mZN2at6native12_GLOBAL__N_124unique_dim_cuda_templateIdEESt5tupleIJNSA_6TensorESF_SF_EERKSF_lbbbEUlllE_EE10hipError_tT0_T1_T2_jT3_P12ihipStream_tbPNSt15iterator_traitsISL_E10value_typeEPNSR_ISM_E10value_typeEPSN_NS1_7vsmem_tEENKUlT_SL_SM_SN_E_clIS8_S8_S9_S9_EESK_S10_SL_SM_SN_EUlS10_E_NS1_11comp_targetILNS1_3genE8ELNS1_11target_archE1030ELNS1_3gpuE2ELNS1_3repE0EEENS1_48merge_mergepath_partition_config_static_selectorELNS0_4arch9wavefront6targetE1EEEvSM_ ; -- Begin function _ZN7rocprim17ROCPRIM_400000_NS6detail17trampoline_kernelINS0_14default_configENS1_38merge_sort_block_merge_config_selectorIlNS0_10empty_typeEEEZZNS1_27merge_sort_block_merge_implIS3_PlPS5_mZN2at6native12_GLOBAL__N_124unique_dim_cuda_templateIdEESt5tupleIJNSA_6TensorESF_SF_EERKSF_lbbbEUlllE_EE10hipError_tT0_T1_T2_jT3_P12ihipStream_tbPNSt15iterator_traitsISL_E10value_typeEPNSR_ISM_E10value_typeEPSN_NS1_7vsmem_tEENKUlT_SL_SM_SN_E_clIS8_S8_S9_S9_EESK_S10_SL_SM_SN_EUlS10_E_NS1_11comp_targetILNS1_3genE8ELNS1_11target_archE1030ELNS1_3gpuE2ELNS1_3repE0EEENS1_48merge_mergepath_partition_config_static_selectorELNS0_4arch9wavefront6targetE1EEEvSM_
	.p2align	8
	.type	_ZN7rocprim17ROCPRIM_400000_NS6detail17trampoline_kernelINS0_14default_configENS1_38merge_sort_block_merge_config_selectorIlNS0_10empty_typeEEEZZNS1_27merge_sort_block_merge_implIS3_PlPS5_mZN2at6native12_GLOBAL__N_124unique_dim_cuda_templateIdEESt5tupleIJNSA_6TensorESF_SF_EERKSF_lbbbEUlllE_EE10hipError_tT0_T1_T2_jT3_P12ihipStream_tbPNSt15iterator_traitsISL_E10value_typeEPNSR_ISM_E10value_typeEPSN_NS1_7vsmem_tEENKUlT_SL_SM_SN_E_clIS8_S8_S9_S9_EESK_S10_SL_SM_SN_EUlS10_E_NS1_11comp_targetILNS1_3genE8ELNS1_11target_archE1030ELNS1_3gpuE2ELNS1_3repE0EEENS1_48merge_mergepath_partition_config_static_selectorELNS0_4arch9wavefront6targetE1EEEvSM_,@function
_ZN7rocprim17ROCPRIM_400000_NS6detail17trampoline_kernelINS0_14default_configENS1_38merge_sort_block_merge_config_selectorIlNS0_10empty_typeEEEZZNS1_27merge_sort_block_merge_implIS3_PlPS5_mZN2at6native12_GLOBAL__N_124unique_dim_cuda_templateIdEESt5tupleIJNSA_6TensorESF_SF_EERKSF_lbbbEUlllE_EE10hipError_tT0_T1_T2_jT3_P12ihipStream_tbPNSt15iterator_traitsISL_E10value_typeEPNSR_ISM_E10value_typeEPSN_NS1_7vsmem_tEENKUlT_SL_SM_SN_E_clIS8_S8_S9_S9_EESK_S10_SL_SM_SN_EUlS10_E_NS1_11comp_targetILNS1_3genE8ELNS1_11target_archE1030ELNS1_3gpuE2ELNS1_3repE0EEENS1_48merge_mergepath_partition_config_static_selectorELNS0_4arch9wavefront6targetE1EEEvSM_: ; @_ZN7rocprim17ROCPRIM_400000_NS6detail17trampoline_kernelINS0_14default_configENS1_38merge_sort_block_merge_config_selectorIlNS0_10empty_typeEEEZZNS1_27merge_sort_block_merge_implIS3_PlPS5_mZN2at6native12_GLOBAL__N_124unique_dim_cuda_templateIdEESt5tupleIJNSA_6TensorESF_SF_EERKSF_lbbbEUlllE_EE10hipError_tT0_T1_T2_jT3_P12ihipStream_tbPNSt15iterator_traitsISL_E10value_typeEPNSR_ISM_E10value_typeEPSN_NS1_7vsmem_tEENKUlT_SL_SM_SN_E_clIS8_S8_S9_S9_EESK_S10_SL_SM_SN_EUlS10_E_NS1_11comp_targetILNS1_3genE8ELNS1_11target_archE1030ELNS1_3gpuE2ELNS1_3repE0EEENS1_48merge_mergepath_partition_config_static_selectorELNS0_4arch9wavefront6targetE1EEEvSM_
; %bb.0:
	.section	.rodata,"a",@progbits
	.p2align	6, 0x0
	.amdhsa_kernel _ZN7rocprim17ROCPRIM_400000_NS6detail17trampoline_kernelINS0_14default_configENS1_38merge_sort_block_merge_config_selectorIlNS0_10empty_typeEEEZZNS1_27merge_sort_block_merge_implIS3_PlPS5_mZN2at6native12_GLOBAL__N_124unique_dim_cuda_templateIdEESt5tupleIJNSA_6TensorESF_SF_EERKSF_lbbbEUlllE_EE10hipError_tT0_T1_T2_jT3_P12ihipStream_tbPNSt15iterator_traitsISL_E10value_typeEPNSR_ISM_E10value_typeEPSN_NS1_7vsmem_tEENKUlT_SL_SM_SN_E_clIS8_S8_S9_S9_EESK_S10_SL_SM_SN_EUlS10_E_NS1_11comp_targetILNS1_3genE8ELNS1_11target_archE1030ELNS1_3gpuE2ELNS1_3repE0EEENS1_48merge_mergepath_partition_config_static_selectorELNS0_4arch9wavefront6targetE1EEEvSM_
		.amdhsa_group_segment_fixed_size 0
		.amdhsa_private_segment_fixed_size 0
		.amdhsa_kernarg_size 56
		.amdhsa_user_sgpr_count 2
		.amdhsa_user_sgpr_dispatch_ptr 0
		.amdhsa_user_sgpr_queue_ptr 0
		.amdhsa_user_sgpr_kernarg_segment_ptr 1
		.amdhsa_user_sgpr_dispatch_id 0
		.amdhsa_user_sgpr_kernarg_preload_length 0
		.amdhsa_user_sgpr_kernarg_preload_offset 0
		.amdhsa_user_sgpr_private_segment_size 0
		.amdhsa_uses_dynamic_stack 0
		.amdhsa_enable_private_segment 0
		.amdhsa_system_sgpr_workgroup_id_x 1
		.amdhsa_system_sgpr_workgroup_id_y 0
		.amdhsa_system_sgpr_workgroup_id_z 0
		.amdhsa_system_sgpr_workgroup_info 0
		.amdhsa_system_vgpr_workitem_id 0
		.amdhsa_next_free_vgpr 1
		.amdhsa_next_free_sgpr 0
		.amdhsa_accum_offset 4
		.amdhsa_reserve_vcc 0
		.amdhsa_float_round_mode_32 0
		.amdhsa_float_round_mode_16_64 0
		.amdhsa_float_denorm_mode_32 3
		.amdhsa_float_denorm_mode_16_64 3
		.amdhsa_dx10_clamp 1
		.amdhsa_ieee_mode 1
		.amdhsa_fp16_overflow 0
		.amdhsa_tg_split 0
		.amdhsa_exception_fp_ieee_invalid_op 0
		.amdhsa_exception_fp_denorm_src 0
		.amdhsa_exception_fp_ieee_div_zero 0
		.amdhsa_exception_fp_ieee_overflow 0
		.amdhsa_exception_fp_ieee_underflow 0
		.amdhsa_exception_fp_ieee_inexact 0
		.amdhsa_exception_int_div_zero 0
	.end_amdhsa_kernel
	.section	.text._ZN7rocprim17ROCPRIM_400000_NS6detail17trampoline_kernelINS0_14default_configENS1_38merge_sort_block_merge_config_selectorIlNS0_10empty_typeEEEZZNS1_27merge_sort_block_merge_implIS3_PlPS5_mZN2at6native12_GLOBAL__N_124unique_dim_cuda_templateIdEESt5tupleIJNSA_6TensorESF_SF_EERKSF_lbbbEUlllE_EE10hipError_tT0_T1_T2_jT3_P12ihipStream_tbPNSt15iterator_traitsISL_E10value_typeEPNSR_ISM_E10value_typeEPSN_NS1_7vsmem_tEENKUlT_SL_SM_SN_E_clIS8_S8_S9_S9_EESK_S10_SL_SM_SN_EUlS10_E_NS1_11comp_targetILNS1_3genE8ELNS1_11target_archE1030ELNS1_3gpuE2ELNS1_3repE0EEENS1_48merge_mergepath_partition_config_static_selectorELNS0_4arch9wavefront6targetE1EEEvSM_,"axG",@progbits,_ZN7rocprim17ROCPRIM_400000_NS6detail17trampoline_kernelINS0_14default_configENS1_38merge_sort_block_merge_config_selectorIlNS0_10empty_typeEEEZZNS1_27merge_sort_block_merge_implIS3_PlPS5_mZN2at6native12_GLOBAL__N_124unique_dim_cuda_templateIdEESt5tupleIJNSA_6TensorESF_SF_EERKSF_lbbbEUlllE_EE10hipError_tT0_T1_T2_jT3_P12ihipStream_tbPNSt15iterator_traitsISL_E10value_typeEPNSR_ISM_E10value_typeEPSN_NS1_7vsmem_tEENKUlT_SL_SM_SN_E_clIS8_S8_S9_S9_EESK_S10_SL_SM_SN_EUlS10_E_NS1_11comp_targetILNS1_3genE8ELNS1_11target_archE1030ELNS1_3gpuE2ELNS1_3repE0EEENS1_48merge_mergepath_partition_config_static_selectorELNS0_4arch9wavefront6targetE1EEEvSM_,comdat
.Lfunc_end771:
	.size	_ZN7rocprim17ROCPRIM_400000_NS6detail17trampoline_kernelINS0_14default_configENS1_38merge_sort_block_merge_config_selectorIlNS0_10empty_typeEEEZZNS1_27merge_sort_block_merge_implIS3_PlPS5_mZN2at6native12_GLOBAL__N_124unique_dim_cuda_templateIdEESt5tupleIJNSA_6TensorESF_SF_EERKSF_lbbbEUlllE_EE10hipError_tT0_T1_T2_jT3_P12ihipStream_tbPNSt15iterator_traitsISL_E10value_typeEPNSR_ISM_E10value_typeEPSN_NS1_7vsmem_tEENKUlT_SL_SM_SN_E_clIS8_S8_S9_S9_EESK_S10_SL_SM_SN_EUlS10_E_NS1_11comp_targetILNS1_3genE8ELNS1_11target_archE1030ELNS1_3gpuE2ELNS1_3repE0EEENS1_48merge_mergepath_partition_config_static_selectorELNS0_4arch9wavefront6targetE1EEEvSM_, .Lfunc_end771-_ZN7rocprim17ROCPRIM_400000_NS6detail17trampoline_kernelINS0_14default_configENS1_38merge_sort_block_merge_config_selectorIlNS0_10empty_typeEEEZZNS1_27merge_sort_block_merge_implIS3_PlPS5_mZN2at6native12_GLOBAL__N_124unique_dim_cuda_templateIdEESt5tupleIJNSA_6TensorESF_SF_EERKSF_lbbbEUlllE_EE10hipError_tT0_T1_T2_jT3_P12ihipStream_tbPNSt15iterator_traitsISL_E10value_typeEPNSR_ISM_E10value_typeEPSN_NS1_7vsmem_tEENKUlT_SL_SM_SN_E_clIS8_S8_S9_S9_EESK_S10_SL_SM_SN_EUlS10_E_NS1_11comp_targetILNS1_3genE8ELNS1_11target_archE1030ELNS1_3gpuE2ELNS1_3repE0EEENS1_48merge_mergepath_partition_config_static_selectorELNS0_4arch9wavefront6targetE1EEEvSM_
                                        ; -- End function
	.section	.AMDGPU.csdata,"",@progbits
; Kernel info:
; codeLenInByte = 0
; NumSgprs: 6
; NumVgprs: 0
; NumAgprs: 0
; TotalNumVgprs: 0
; ScratchSize: 0
; MemoryBound: 0
; FloatMode: 240
; IeeeMode: 1
; LDSByteSize: 0 bytes/workgroup (compile time only)
; SGPRBlocks: 0
; VGPRBlocks: 0
; NumSGPRsForWavesPerEU: 6
; NumVGPRsForWavesPerEU: 1
; AccumOffset: 4
; Occupancy: 8
; WaveLimiterHint : 0
; COMPUTE_PGM_RSRC2:SCRATCH_EN: 0
; COMPUTE_PGM_RSRC2:USER_SGPR: 2
; COMPUTE_PGM_RSRC2:TRAP_HANDLER: 0
; COMPUTE_PGM_RSRC2:TGID_X_EN: 1
; COMPUTE_PGM_RSRC2:TGID_Y_EN: 0
; COMPUTE_PGM_RSRC2:TGID_Z_EN: 0
; COMPUTE_PGM_RSRC2:TIDIG_COMP_CNT: 0
; COMPUTE_PGM_RSRC3_GFX90A:ACCUM_OFFSET: 0
; COMPUTE_PGM_RSRC3_GFX90A:TG_SPLIT: 0
	.section	.text._ZN7rocprim17ROCPRIM_400000_NS6detail17trampoline_kernelINS0_14default_configENS1_38merge_sort_block_merge_config_selectorIlNS0_10empty_typeEEEZZNS1_27merge_sort_block_merge_implIS3_PlPS5_mZN2at6native12_GLOBAL__N_124unique_dim_cuda_templateIdEESt5tupleIJNSA_6TensorESF_SF_EERKSF_lbbbEUlllE_EE10hipError_tT0_T1_T2_jT3_P12ihipStream_tbPNSt15iterator_traitsISL_E10value_typeEPNSR_ISM_E10value_typeEPSN_NS1_7vsmem_tEENKUlT_SL_SM_SN_E_clIS8_S8_S9_S9_EESK_S10_SL_SM_SN_EUlS10_E0_NS1_11comp_targetILNS1_3genE0ELNS1_11target_archE4294967295ELNS1_3gpuE0ELNS1_3repE0EEENS1_38merge_mergepath_config_static_selectorELNS0_4arch9wavefront6targetE1EEEvSM_,"axG",@progbits,_ZN7rocprim17ROCPRIM_400000_NS6detail17trampoline_kernelINS0_14default_configENS1_38merge_sort_block_merge_config_selectorIlNS0_10empty_typeEEEZZNS1_27merge_sort_block_merge_implIS3_PlPS5_mZN2at6native12_GLOBAL__N_124unique_dim_cuda_templateIdEESt5tupleIJNSA_6TensorESF_SF_EERKSF_lbbbEUlllE_EE10hipError_tT0_T1_T2_jT3_P12ihipStream_tbPNSt15iterator_traitsISL_E10value_typeEPNSR_ISM_E10value_typeEPSN_NS1_7vsmem_tEENKUlT_SL_SM_SN_E_clIS8_S8_S9_S9_EESK_S10_SL_SM_SN_EUlS10_E0_NS1_11comp_targetILNS1_3genE0ELNS1_11target_archE4294967295ELNS1_3gpuE0ELNS1_3repE0EEENS1_38merge_mergepath_config_static_selectorELNS0_4arch9wavefront6targetE1EEEvSM_,comdat
	.globl	_ZN7rocprim17ROCPRIM_400000_NS6detail17trampoline_kernelINS0_14default_configENS1_38merge_sort_block_merge_config_selectorIlNS0_10empty_typeEEEZZNS1_27merge_sort_block_merge_implIS3_PlPS5_mZN2at6native12_GLOBAL__N_124unique_dim_cuda_templateIdEESt5tupleIJNSA_6TensorESF_SF_EERKSF_lbbbEUlllE_EE10hipError_tT0_T1_T2_jT3_P12ihipStream_tbPNSt15iterator_traitsISL_E10value_typeEPNSR_ISM_E10value_typeEPSN_NS1_7vsmem_tEENKUlT_SL_SM_SN_E_clIS8_S8_S9_S9_EESK_S10_SL_SM_SN_EUlS10_E0_NS1_11comp_targetILNS1_3genE0ELNS1_11target_archE4294967295ELNS1_3gpuE0ELNS1_3repE0EEENS1_38merge_mergepath_config_static_selectorELNS0_4arch9wavefront6targetE1EEEvSM_ ; -- Begin function _ZN7rocprim17ROCPRIM_400000_NS6detail17trampoline_kernelINS0_14default_configENS1_38merge_sort_block_merge_config_selectorIlNS0_10empty_typeEEEZZNS1_27merge_sort_block_merge_implIS3_PlPS5_mZN2at6native12_GLOBAL__N_124unique_dim_cuda_templateIdEESt5tupleIJNSA_6TensorESF_SF_EERKSF_lbbbEUlllE_EE10hipError_tT0_T1_T2_jT3_P12ihipStream_tbPNSt15iterator_traitsISL_E10value_typeEPNSR_ISM_E10value_typeEPSN_NS1_7vsmem_tEENKUlT_SL_SM_SN_E_clIS8_S8_S9_S9_EESK_S10_SL_SM_SN_EUlS10_E0_NS1_11comp_targetILNS1_3genE0ELNS1_11target_archE4294967295ELNS1_3gpuE0ELNS1_3repE0EEENS1_38merge_mergepath_config_static_selectorELNS0_4arch9wavefront6targetE1EEEvSM_
	.p2align	8
	.type	_ZN7rocprim17ROCPRIM_400000_NS6detail17trampoline_kernelINS0_14default_configENS1_38merge_sort_block_merge_config_selectorIlNS0_10empty_typeEEEZZNS1_27merge_sort_block_merge_implIS3_PlPS5_mZN2at6native12_GLOBAL__N_124unique_dim_cuda_templateIdEESt5tupleIJNSA_6TensorESF_SF_EERKSF_lbbbEUlllE_EE10hipError_tT0_T1_T2_jT3_P12ihipStream_tbPNSt15iterator_traitsISL_E10value_typeEPNSR_ISM_E10value_typeEPSN_NS1_7vsmem_tEENKUlT_SL_SM_SN_E_clIS8_S8_S9_S9_EESK_S10_SL_SM_SN_EUlS10_E0_NS1_11comp_targetILNS1_3genE0ELNS1_11target_archE4294967295ELNS1_3gpuE0ELNS1_3repE0EEENS1_38merge_mergepath_config_static_selectorELNS0_4arch9wavefront6targetE1EEEvSM_,@function
_ZN7rocprim17ROCPRIM_400000_NS6detail17trampoline_kernelINS0_14default_configENS1_38merge_sort_block_merge_config_selectorIlNS0_10empty_typeEEEZZNS1_27merge_sort_block_merge_implIS3_PlPS5_mZN2at6native12_GLOBAL__N_124unique_dim_cuda_templateIdEESt5tupleIJNSA_6TensorESF_SF_EERKSF_lbbbEUlllE_EE10hipError_tT0_T1_T2_jT3_P12ihipStream_tbPNSt15iterator_traitsISL_E10value_typeEPNSR_ISM_E10value_typeEPSN_NS1_7vsmem_tEENKUlT_SL_SM_SN_E_clIS8_S8_S9_S9_EESK_S10_SL_SM_SN_EUlS10_E0_NS1_11comp_targetILNS1_3genE0ELNS1_11target_archE4294967295ELNS1_3gpuE0ELNS1_3repE0EEENS1_38merge_mergepath_config_static_selectorELNS0_4arch9wavefront6targetE1EEEvSM_: ; @_ZN7rocprim17ROCPRIM_400000_NS6detail17trampoline_kernelINS0_14default_configENS1_38merge_sort_block_merge_config_selectorIlNS0_10empty_typeEEEZZNS1_27merge_sort_block_merge_implIS3_PlPS5_mZN2at6native12_GLOBAL__N_124unique_dim_cuda_templateIdEESt5tupleIJNSA_6TensorESF_SF_EERKSF_lbbbEUlllE_EE10hipError_tT0_T1_T2_jT3_P12ihipStream_tbPNSt15iterator_traitsISL_E10value_typeEPNSR_ISM_E10value_typeEPSN_NS1_7vsmem_tEENKUlT_SL_SM_SN_E_clIS8_S8_S9_S9_EESK_S10_SL_SM_SN_EUlS10_E0_NS1_11comp_targetILNS1_3genE0ELNS1_11target_archE4294967295ELNS1_3gpuE0ELNS1_3repE0EEENS1_38merge_mergepath_config_static_selectorELNS0_4arch9wavefront6targetE1EEEvSM_
; %bb.0:
	.section	.rodata,"a",@progbits
	.p2align	6, 0x0
	.amdhsa_kernel _ZN7rocprim17ROCPRIM_400000_NS6detail17trampoline_kernelINS0_14default_configENS1_38merge_sort_block_merge_config_selectorIlNS0_10empty_typeEEEZZNS1_27merge_sort_block_merge_implIS3_PlPS5_mZN2at6native12_GLOBAL__N_124unique_dim_cuda_templateIdEESt5tupleIJNSA_6TensorESF_SF_EERKSF_lbbbEUlllE_EE10hipError_tT0_T1_T2_jT3_P12ihipStream_tbPNSt15iterator_traitsISL_E10value_typeEPNSR_ISM_E10value_typeEPSN_NS1_7vsmem_tEENKUlT_SL_SM_SN_E_clIS8_S8_S9_S9_EESK_S10_SL_SM_SN_EUlS10_E0_NS1_11comp_targetILNS1_3genE0ELNS1_11target_archE4294967295ELNS1_3gpuE0ELNS1_3repE0EEENS1_38merge_mergepath_config_static_selectorELNS0_4arch9wavefront6targetE1EEEvSM_
		.amdhsa_group_segment_fixed_size 0
		.amdhsa_private_segment_fixed_size 0
		.amdhsa_kernarg_size 88
		.amdhsa_user_sgpr_count 2
		.amdhsa_user_sgpr_dispatch_ptr 0
		.amdhsa_user_sgpr_queue_ptr 0
		.amdhsa_user_sgpr_kernarg_segment_ptr 1
		.amdhsa_user_sgpr_dispatch_id 0
		.amdhsa_user_sgpr_kernarg_preload_length 0
		.amdhsa_user_sgpr_kernarg_preload_offset 0
		.amdhsa_user_sgpr_private_segment_size 0
		.amdhsa_uses_dynamic_stack 0
		.amdhsa_enable_private_segment 0
		.amdhsa_system_sgpr_workgroup_id_x 1
		.amdhsa_system_sgpr_workgroup_id_y 0
		.amdhsa_system_sgpr_workgroup_id_z 0
		.amdhsa_system_sgpr_workgroup_info 0
		.amdhsa_system_vgpr_workitem_id 0
		.amdhsa_next_free_vgpr 1
		.amdhsa_next_free_sgpr 0
		.amdhsa_accum_offset 4
		.amdhsa_reserve_vcc 0
		.amdhsa_float_round_mode_32 0
		.amdhsa_float_round_mode_16_64 0
		.amdhsa_float_denorm_mode_32 3
		.amdhsa_float_denorm_mode_16_64 3
		.amdhsa_dx10_clamp 1
		.amdhsa_ieee_mode 1
		.amdhsa_fp16_overflow 0
		.amdhsa_tg_split 0
		.amdhsa_exception_fp_ieee_invalid_op 0
		.amdhsa_exception_fp_denorm_src 0
		.amdhsa_exception_fp_ieee_div_zero 0
		.amdhsa_exception_fp_ieee_overflow 0
		.amdhsa_exception_fp_ieee_underflow 0
		.amdhsa_exception_fp_ieee_inexact 0
		.amdhsa_exception_int_div_zero 0
	.end_amdhsa_kernel
	.section	.text._ZN7rocprim17ROCPRIM_400000_NS6detail17trampoline_kernelINS0_14default_configENS1_38merge_sort_block_merge_config_selectorIlNS0_10empty_typeEEEZZNS1_27merge_sort_block_merge_implIS3_PlPS5_mZN2at6native12_GLOBAL__N_124unique_dim_cuda_templateIdEESt5tupleIJNSA_6TensorESF_SF_EERKSF_lbbbEUlllE_EE10hipError_tT0_T1_T2_jT3_P12ihipStream_tbPNSt15iterator_traitsISL_E10value_typeEPNSR_ISM_E10value_typeEPSN_NS1_7vsmem_tEENKUlT_SL_SM_SN_E_clIS8_S8_S9_S9_EESK_S10_SL_SM_SN_EUlS10_E0_NS1_11comp_targetILNS1_3genE0ELNS1_11target_archE4294967295ELNS1_3gpuE0ELNS1_3repE0EEENS1_38merge_mergepath_config_static_selectorELNS0_4arch9wavefront6targetE1EEEvSM_,"axG",@progbits,_ZN7rocprim17ROCPRIM_400000_NS6detail17trampoline_kernelINS0_14default_configENS1_38merge_sort_block_merge_config_selectorIlNS0_10empty_typeEEEZZNS1_27merge_sort_block_merge_implIS3_PlPS5_mZN2at6native12_GLOBAL__N_124unique_dim_cuda_templateIdEESt5tupleIJNSA_6TensorESF_SF_EERKSF_lbbbEUlllE_EE10hipError_tT0_T1_T2_jT3_P12ihipStream_tbPNSt15iterator_traitsISL_E10value_typeEPNSR_ISM_E10value_typeEPSN_NS1_7vsmem_tEENKUlT_SL_SM_SN_E_clIS8_S8_S9_S9_EESK_S10_SL_SM_SN_EUlS10_E0_NS1_11comp_targetILNS1_3genE0ELNS1_11target_archE4294967295ELNS1_3gpuE0ELNS1_3repE0EEENS1_38merge_mergepath_config_static_selectorELNS0_4arch9wavefront6targetE1EEEvSM_,comdat
.Lfunc_end772:
	.size	_ZN7rocprim17ROCPRIM_400000_NS6detail17trampoline_kernelINS0_14default_configENS1_38merge_sort_block_merge_config_selectorIlNS0_10empty_typeEEEZZNS1_27merge_sort_block_merge_implIS3_PlPS5_mZN2at6native12_GLOBAL__N_124unique_dim_cuda_templateIdEESt5tupleIJNSA_6TensorESF_SF_EERKSF_lbbbEUlllE_EE10hipError_tT0_T1_T2_jT3_P12ihipStream_tbPNSt15iterator_traitsISL_E10value_typeEPNSR_ISM_E10value_typeEPSN_NS1_7vsmem_tEENKUlT_SL_SM_SN_E_clIS8_S8_S9_S9_EESK_S10_SL_SM_SN_EUlS10_E0_NS1_11comp_targetILNS1_3genE0ELNS1_11target_archE4294967295ELNS1_3gpuE0ELNS1_3repE0EEENS1_38merge_mergepath_config_static_selectorELNS0_4arch9wavefront6targetE1EEEvSM_, .Lfunc_end772-_ZN7rocprim17ROCPRIM_400000_NS6detail17trampoline_kernelINS0_14default_configENS1_38merge_sort_block_merge_config_selectorIlNS0_10empty_typeEEEZZNS1_27merge_sort_block_merge_implIS3_PlPS5_mZN2at6native12_GLOBAL__N_124unique_dim_cuda_templateIdEESt5tupleIJNSA_6TensorESF_SF_EERKSF_lbbbEUlllE_EE10hipError_tT0_T1_T2_jT3_P12ihipStream_tbPNSt15iterator_traitsISL_E10value_typeEPNSR_ISM_E10value_typeEPSN_NS1_7vsmem_tEENKUlT_SL_SM_SN_E_clIS8_S8_S9_S9_EESK_S10_SL_SM_SN_EUlS10_E0_NS1_11comp_targetILNS1_3genE0ELNS1_11target_archE4294967295ELNS1_3gpuE0ELNS1_3repE0EEENS1_38merge_mergepath_config_static_selectorELNS0_4arch9wavefront6targetE1EEEvSM_
                                        ; -- End function
	.section	.AMDGPU.csdata,"",@progbits
; Kernel info:
; codeLenInByte = 0
; NumSgprs: 6
; NumVgprs: 0
; NumAgprs: 0
; TotalNumVgprs: 0
; ScratchSize: 0
; MemoryBound: 0
; FloatMode: 240
; IeeeMode: 1
; LDSByteSize: 0 bytes/workgroup (compile time only)
; SGPRBlocks: 0
; VGPRBlocks: 0
; NumSGPRsForWavesPerEU: 6
; NumVGPRsForWavesPerEU: 1
; AccumOffset: 4
; Occupancy: 8
; WaveLimiterHint : 0
; COMPUTE_PGM_RSRC2:SCRATCH_EN: 0
; COMPUTE_PGM_RSRC2:USER_SGPR: 2
; COMPUTE_PGM_RSRC2:TRAP_HANDLER: 0
; COMPUTE_PGM_RSRC2:TGID_X_EN: 1
; COMPUTE_PGM_RSRC2:TGID_Y_EN: 0
; COMPUTE_PGM_RSRC2:TGID_Z_EN: 0
; COMPUTE_PGM_RSRC2:TIDIG_COMP_CNT: 0
; COMPUTE_PGM_RSRC3_GFX90A:ACCUM_OFFSET: 0
; COMPUTE_PGM_RSRC3_GFX90A:TG_SPLIT: 0
	.section	.text._ZN7rocprim17ROCPRIM_400000_NS6detail17trampoline_kernelINS0_14default_configENS1_38merge_sort_block_merge_config_selectorIlNS0_10empty_typeEEEZZNS1_27merge_sort_block_merge_implIS3_PlPS5_mZN2at6native12_GLOBAL__N_124unique_dim_cuda_templateIdEESt5tupleIJNSA_6TensorESF_SF_EERKSF_lbbbEUlllE_EE10hipError_tT0_T1_T2_jT3_P12ihipStream_tbPNSt15iterator_traitsISL_E10value_typeEPNSR_ISM_E10value_typeEPSN_NS1_7vsmem_tEENKUlT_SL_SM_SN_E_clIS8_S8_S9_S9_EESK_S10_SL_SM_SN_EUlS10_E0_NS1_11comp_targetILNS1_3genE10ELNS1_11target_archE1201ELNS1_3gpuE5ELNS1_3repE0EEENS1_38merge_mergepath_config_static_selectorELNS0_4arch9wavefront6targetE1EEEvSM_,"axG",@progbits,_ZN7rocprim17ROCPRIM_400000_NS6detail17trampoline_kernelINS0_14default_configENS1_38merge_sort_block_merge_config_selectorIlNS0_10empty_typeEEEZZNS1_27merge_sort_block_merge_implIS3_PlPS5_mZN2at6native12_GLOBAL__N_124unique_dim_cuda_templateIdEESt5tupleIJNSA_6TensorESF_SF_EERKSF_lbbbEUlllE_EE10hipError_tT0_T1_T2_jT3_P12ihipStream_tbPNSt15iterator_traitsISL_E10value_typeEPNSR_ISM_E10value_typeEPSN_NS1_7vsmem_tEENKUlT_SL_SM_SN_E_clIS8_S8_S9_S9_EESK_S10_SL_SM_SN_EUlS10_E0_NS1_11comp_targetILNS1_3genE10ELNS1_11target_archE1201ELNS1_3gpuE5ELNS1_3repE0EEENS1_38merge_mergepath_config_static_selectorELNS0_4arch9wavefront6targetE1EEEvSM_,comdat
	.globl	_ZN7rocprim17ROCPRIM_400000_NS6detail17trampoline_kernelINS0_14default_configENS1_38merge_sort_block_merge_config_selectorIlNS0_10empty_typeEEEZZNS1_27merge_sort_block_merge_implIS3_PlPS5_mZN2at6native12_GLOBAL__N_124unique_dim_cuda_templateIdEESt5tupleIJNSA_6TensorESF_SF_EERKSF_lbbbEUlllE_EE10hipError_tT0_T1_T2_jT3_P12ihipStream_tbPNSt15iterator_traitsISL_E10value_typeEPNSR_ISM_E10value_typeEPSN_NS1_7vsmem_tEENKUlT_SL_SM_SN_E_clIS8_S8_S9_S9_EESK_S10_SL_SM_SN_EUlS10_E0_NS1_11comp_targetILNS1_3genE10ELNS1_11target_archE1201ELNS1_3gpuE5ELNS1_3repE0EEENS1_38merge_mergepath_config_static_selectorELNS0_4arch9wavefront6targetE1EEEvSM_ ; -- Begin function _ZN7rocprim17ROCPRIM_400000_NS6detail17trampoline_kernelINS0_14default_configENS1_38merge_sort_block_merge_config_selectorIlNS0_10empty_typeEEEZZNS1_27merge_sort_block_merge_implIS3_PlPS5_mZN2at6native12_GLOBAL__N_124unique_dim_cuda_templateIdEESt5tupleIJNSA_6TensorESF_SF_EERKSF_lbbbEUlllE_EE10hipError_tT0_T1_T2_jT3_P12ihipStream_tbPNSt15iterator_traitsISL_E10value_typeEPNSR_ISM_E10value_typeEPSN_NS1_7vsmem_tEENKUlT_SL_SM_SN_E_clIS8_S8_S9_S9_EESK_S10_SL_SM_SN_EUlS10_E0_NS1_11comp_targetILNS1_3genE10ELNS1_11target_archE1201ELNS1_3gpuE5ELNS1_3repE0EEENS1_38merge_mergepath_config_static_selectorELNS0_4arch9wavefront6targetE1EEEvSM_
	.p2align	8
	.type	_ZN7rocprim17ROCPRIM_400000_NS6detail17trampoline_kernelINS0_14default_configENS1_38merge_sort_block_merge_config_selectorIlNS0_10empty_typeEEEZZNS1_27merge_sort_block_merge_implIS3_PlPS5_mZN2at6native12_GLOBAL__N_124unique_dim_cuda_templateIdEESt5tupleIJNSA_6TensorESF_SF_EERKSF_lbbbEUlllE_EE10hipError_tT0_T1_T2_jT3_P12ihipStream_tbPNSt15iterator_traitsISL_E10value_typeEPNSR_ISM_E10value_typeEPSN_NS1_7vsmem_tEENKUlT_SL_SM_SN_E_clIS8_S8_S9_S9_EESK_S10_SL_SM_SN_EUlS10_E0_NS1_11comp_targetILNS1_3genE10ELNS1_11target_archE1201ELNS1_3gpuE5ELNS1_3repE0EEENS1_38merge_mergepath_config_static_selectorELNS0_4arch9wavefront6targetE1EEEvSM_,@function
_ZN7rocprim17ROCPRIM_400000_NS6detail17trampoline_kernelINS0_14default_configENS1_38merge_sort_block_merge_config_selectorIlNS0_10empty_typeEEEZZNS1_27merge_sort_block_merge_implIS3_PlPS5_mZN2at6native12_GLOBAL__N_124unique_dim_cuda_templateIdEESt5tupleIJNSA_6TensorESF_SF_EERKSF_lbbbEUlllE_EE10hipError_tT0_T1_T2_jT3_P12ihipStream_tbPNSt15iterator_traitsISL_E10value_typeEPNSR_ISM_E10value_typeEPSN_NS1_7vsmem_tEENKUlT_SL_SM_SN_E_clIS8_S8_S9_S9_EESK_S10_SL_SM_SN_EUlS10_E0_NS1_11comp_targetILNS1_3genE10ELNS1_11target_archE1201ELNS1_3gpuE5ELNS1_3repE0EEENS1_38merge_mergepath_config_static_selectorELNS0_4arch9wavefront6targetE1EEEvSM_: ; @_ZN7rocprim17ROCPRIM_400000_NS6detail17trampoline_kernelINS0_14default_configENS1_38merge_sort_block_merge_config_selectorIlNS0_10empty_typeEEEZZNS1_27merge_sort_block_merge_implIS3_PlPS5_mZN2at6native12_GLOBAL__N_124unique_dim_cuda_templateIdEESt5tupleIJNSA_6TensorESF_SF_EERKSF_lbbbEUlllE_EE10hipError_tT0_T1_T2_jT3_P12ihipStream_tbPNSt15iterator_traitsISL_E10value_typeEPNSR_ISM_E10value_typeEPSN_NS1_7vsmem_tEENKUlT_SL_SM_SN_E_clIS8_S8_S9_S9_EESK_S10_SL_SM_SN_EUlS10_E0_NS1_11comp_targetILNS1_3genE10ELNS1_11target_archE1201ELNS1_3gpuE5ELNS1_3repE0EEENS1_38merge_mergepath_config_static_selectorELNS0_4arch9wavefront6targetE1EEEvSM_
; %bb.0:
	.section	.rodata,"a",@progbits
	.p2align	6, 0x0
	.amdhsa_kernel _ZN7rocprim17ROCPRIM_400000_NS6detail17trampoline_kernelINS0_14default_configENS1_38merge_sort_block_merge_config_selectorIlNS0_10empty_typeEEEZZNS1_27merge_sort_block_merge_implIS3_PlPS5_mZN2at6native12_GLOBAL__N_124unique_dim_cuda_templateIdEESt5tupleIJNSA_6TensorESF_SF_EERKSF_lbbbEUlllE_EE10hipError_tT0_T1_T2_jT3_P12ihipStream_tbPNSt15iterator_traitsISL_E10value_typeEPNSR_ISM_E10value_typeEPSN_NS1_7vsmem_tEENKUlT_SL_SM_SN_E_clIS8_S8_S9_S9_EESK_S10_SL_SM_SN_EUlS10_E0_NS1_11comp_targetILNS1_3genE10ELNS1_11target_archE1201ELNS1_3gpuE5ELNS1_3repE0EEENS1_38merge_mergepath_config_static_selectorELNS0_4arch9wavefront6targetE1EEEvSM_
		.amdhsa_group_segment_fixed_size 0
		.amdhsa_private_segment_fixed_size 0
		.amdhsa_kernarg_size 88
		.amdhsa_user_sgpr_count 2
		.amdhsa_user_sgpr_dispatch_ptr 0
		.amdhsa_user_sgpr_queue_ptr 0
		.amdhsa_user_sgpr_kernarg_segment_ptr 1
		.amdhsa_user_sgpr_dispatch_id 0
		.amdhsa_user_sgpr_kernarg_preload_length 0
		.amdhsa_user_sgpr_kernarg_preload_offset 0
		.amdhsa_user_sgpr_private_segment_size 0
		.amdhsa_uses_dynamic_stack 0
		.amdhsa_enable_private_segment 0
		.amdhsa_system_sgpr_workgroup_id_x 1
		.amdhsa_system_sgpr_workgroup_id_y 0
		.amdhsa_system_sgpr_workgroup_id_z 0
		.amdhsa_system_sgpr_workgroup_info 0
		.amdhsa_system_vgpr_workitem_id 0
		.amdhsa_next_free_vgpr 1
		.amdhsa_next_free_sgpr 0
		.amdhsa_accum_offset 4
		.amdhsa_reserve_vcc 0
		.amdhsa_float_round_mode_32 0
		.amdhsa_float_round_mode_16_64 0
		.amdhsa_float_denorm_mode_32 3
		.amdhsa_float_denorm_mode_16_64 3
		.amdhsa_dx10_clamp 1
		.amdhsa_ieee_mode 1
		.amdhsa_fp16_overflow 0
		.amdhsa_tg_split 0
		.amdhsa_exception_fp_ieee_invalid_op 0
		.amdhsa_exception_fp_denorm_src 0
		.amdhsa_exception_fp_ieee_div_zero 0
		.amdhsa_exception_fp_ieee_overflow 0
		.amdhsa_exception_fp_ieee_underflow 0
		.amdhsa_exception_fp_ieee_inexact 0
		.amdhsa_exception_int_div_zero 0
	.end_amdhsa_kernel
	.section	.text._ZN7rocprim17ROCPRIM_400000_NS6detail17trampoline_kernelINS0_14default_configENS1_38merge_sort_block_merge_config_selectorIlNS0_10empty_typeEEEZZNS1_27merge_sort_block_merge_implIS3_PlPS5_mZN2at6native12_GLOBAL__N_124unique_dim_cuda_templateIdEESt5tupleIJNSA_6TensorESF_SF_EERKSF_lbbbEUlllE_EE10hipError_tT0_T1_T2_jT3_P12ihipStream_tbPNSt15iterator_traitsISL_E10value_typeEPNSR_ISM_E10value_typeEPSN_NS1_7vsmem_tEENKUlT_SL_SM_SN_E_clIS8_S8_S9_S9_EESK_S10_SL_SM_SN_EUlS10_E0_NS1_11comp_targetILNS1_3genE10ELNS1_11target_archE1201ELNS1_3gpuE5ELNS1_3repE0EEENS1_38merge_mergepath_config_static_selectorELNS0_4arch9wavefront6targetE1EEEvSM_,"axG",@progbits,_ZN7rocprim17ROCPRIM_400000_NS6detail17trampoline_kernelINS0_14default_configENS1_38merge_sort_block_merge_config_selectorIlNS0_10empty_typeEEEZZNS1_27merge_sort_block_merge_implIS3_PlPS5_mZN2at6native12_GLOBAL__N_124unique_dim_cuda_templateIdEESt5tupleIJNSA_6TensorESF_SF_EERKSF_lbbbEUlllE_EE10hipError_tT0_T1_T2_jT3_P12ihipStream_tbPNSt15iterator_traitsISL_E10value_typeEPNSR_ISM_E10value_typeEPSN_NS1_7vsmem_tEENKUlT_SL_SM_SN_E_clIS8_S8_S9_S9_EESK_S10_SL_SM_SN_EUlS10_E0_NS1_11comp_targetILNS1_3genE10ELNS1_11target_archE1201ELNS1_3gpuE5ELNS1_3repE0EEENS1_38merge_mergepath_config_static_selectorELNS0_4arch9wavefront6targetE1EEEvSM_,comdat
.Lfunc_end773:
	.size	_ZN7rocprim17ROCPRIM_400000_NS6detail17trampoline_kernelINS0_14default_configENS1_38merge_sort_block_merge_config_selectorIlNS0_10empty_typeEEEZZNS1_27merge_sort_block_merge_implIS3_PlPS5_mZN2at6native12_GLOBAL__N_124unique_dim_cuda_templateIdEESt5tupleIJNSA_6TensorESF_SF_EERKSF_lbbbEUlllE_EE10hipError_tT0_T1_T2_jT3_P12ihipStream_tbPNSt15iterator_traitsISL_E10value_typeEPNSR_ISM_E10value_typeEPSN_NS1_7vsmem_tEENKUlT_SL_SM_SN_E_clIS8_S8_S9_S9_EESK_S10_SL_SM_SN_EUlS10_E0_NS1_11comp_targetILNS1_3genE10ELNS1_11target_archE1201ELNS1_3gpuE5ELNS1_3repE0EEENS1_38merge_mergepath_config_static_selectorELNS0_4arch9wavefront6targetE1EEEvSM_, .Lfunc_end773-_ZN7rocprim17ROCPRIM_400000_NS6detail17trampoline_kernelINS0_14default_configENS1_38merge_sort_block_merge_config_selectorIlNS0_10empty_typeEEEZZNS1_27merge_sort_block_merge_implIS3_PlPS5_mZN2at6native12_GLOBAL__N_124unique_dim_cuda_templateIdEESt5tupleIJNSA_6TensorESF_SF_EERKSF_lbbbEUlllE_EE10hipError_tT0_T1_T2_jT3_P12ihipStream_tbPNSt15iterator_traitsISL_E10value_typeEPNSR_ISM_E10value_typeEPSN_NS1_7vsmem_tEENKUlT_SL_SM_SN_E_clIS8_S8_S9_S9_EESK_S10_SL_SM_SN_EUlS10_E0_NS1_11comp_targetILNS1_3genE10ELNS1_11target_archE1201ELNS1_3gpuE5ELNS1_3repE0EEENS1_38merge_mergepath_config_static_selectorELNS0_4arch9wavefront6targetE1EEEvSM_
                                        ; -- End function
	.section	.AMDGPU.csdata,"",@progbits
; Kernel info:
; codeLenInByte = 0
; NumSgprs: 6
; NumVgprs: 0
; NumAgprs: 0
; TotalNumVgprs: 0
; ScratchSize: 0
; MemoryBound: 0
; FloatMode: 240
; IeeeMode: 1
; LDSByteSize: 0 bytes/workgroup (compile time only)
; SGPRBlocks: 0
; VGPRBlocks: 0
; NumSGPRsForWavesPerEU: 6
; NumVGPRsForWavesPerEU: 1
; AccumOffset: 4
; Occupancy: 8
; WaveLimiterHint : 0
; COMPUTE_PGM_RSRC2:SCRATCH_EN: 0
; COMPUTE_PGM_RSRC2:USER_SGPR: 2
; COMPUTE_PGM_RSRC2:TRAP_HANDLER: 0
; COMPUTE_PGM_RSRC2:TGID_X_EN: 1
; COMPUTE_PGM_RSRC2:TGID_Y_EN: 0
; COMPUTE_PGM_RSRC2:TGID_Z_EN: 0
; COMPUTE_PGM_RSRC2:TIDIG_COMP_CNT: 0
; COMPUTE_PGM_RSRC3_GFX90A:ACCUM_OFFSET: 0
; COMPUTE_PGM_RSRC3_GFX90A:TG_SPLIT: 0
	.section	.text._ZN7rocprim17ROCPRIM_400000_NS6detail17trampoline_kernelINS0_14default_configENS1_38merge_sort_block_merge_config_selectorIlNS0_10empty_typeEEEZZNS1_27merge_sort_block_merge_implIS3_PlPS5_mZN2at6native12_GLOBAL__N_124unique_dim_cuda_templateIdEESt5tupleIJNSA_6TensorESF_SF_EERKSF_lbbbEUlllE_EE10hipError_tT0_T1_T2_jT3_P12ihipStream_tbPNSt15iterator_traitsISL_E10value_typeEPNSR_ISM_E10value_typeEPSN_NS1_7vsmem_tEENKUlT_SL_SM_SN_E_clIS8_S8_S9_S9_EESK_S10_SL_SM_SN_EUlS10_E0_NS1_11comp_targetILNS1_3genE5ELNS1_11target_archE942ELNS1_3gpuE9ELNS1_3repE0EEENS1_38merge_mergepath_config_static_selectorELNS0_4arch9wavefront6targetE1EEEvSM_,"axG",@progbits,_ZN7rocprim17ROCPRIM_400000_NS6detail17trampoline_kernelINS0_14default_configENS1_38merge_sort_block_merge_config_selectorIlNS0_10empty_typeEEEZZNS1_27merge_sort_block_merge_implIS3_PlPS5_mZN2at6native12_GLOBAL__N_124unique_dim_cuda_templateIdEESt5tupleIJNSA_6TensorESF_SF_EERKSF_lbbbEUlllE_EE10hipError_tT0_T1_T2_jT3_P12ihipStream_tbPNSt15iterator_traitsISL_E10value_typeEPNSR_ISM_E10value_typeEPSN_NS1_7vsmem_tEENKUlT_SL_SM_SN_E_clIS8_S8_S9_S9_EESK_S10_SL_SM_SN_EUlS10_E0_NS1_11comp_targetILNS1_3genE5ELNS1_11target_archE942ELNS1_3gpuE9ELNS1_3repE0EEENS1_38merge_mergepath_config_static_selectorELNS0_4arch9wavefront6targetE1EEEvSM_,comdat
	.globl	_ZN7rocprim17ROCPRIM_400000_NS6detail17trampoline_kernelINS0_14default_configENS1_38merge_sort_block_merge_config_selectorIlNS0_10empty_typeEEEZZNS1_27merge_sort_block_merge_implIS3_PlPS5_mZN2at6native12_GLOBAL__N_124unique_dim_cuda_templateIdEESt5tupleIJNSA_6TensorESF_SF_EERKSF_lbbbEUlllE_EE10hipError_tT0_T1_T2_jT3_P12ihipStream_tbPNSt15iterator_traitsISL_E10value_typeEPNSR_ISM_E10value_typeEPSN_NS1_7vsmem_tEENKUlT_SL_SM_SN_E_clIS8_S8_S9_S9_EESK_S10_SL_SM_SN_EUlS10_E0_NS1_11comp_targetILNS1_3genE5ELNS1_11target_archE942ELNS1_3gpuE9ELNS1_3repE0EEENS1_38merge_mergepath_config_static_selectorELNS0_4arch9wavefront6targetE1EEEvSM_ ; -- Begin function _ZN7rocprim17ROCPRIM_400000_NS6detail17trampoline_kernelINS0_14default_configENS1_38merge_sort_block_merge_config_selectorIlNS0_10empty_typeEEEZZNS1_27merge_sort_block_merge_implIS3_PlPS5_mZN2at6native12_GLOBAL__N_124unique_dim_cuda_templateIdEESt5tupleIJNSA_6TensorESF_SF_EERKSF_lbbbEUlllE_EE10hipError_tT0_T1_T2_jT3_P12ihipStream_tbPNSt15iterator_traitsISL_E10value_typeEPNSR_ISM_E10value_typeEPSN_NS1_7vsmem_tEENKUlT_SL_SM_SN_E_clIS8_S8_S9_S9_EESK_S10_SL_SM_SN_EUlS10_E0_NS1_11comp_targetILNS1_3genE5ELNS1_11target_archE942ELNS1_3gpuE9ELNS1_3repE0EEENS1_38merge_mergepath_config_static_selectorELNS0_4arch9wavefront6targetE1EEEvSM_
	.p2align	8
	.type	_ZN7rocprim17ROCPRIM_400000_NS6detail17trampoline_kernelINS0_14default_configENS1_38merge_sort_block_merge_config_selectorIlNS0_10empty_typeEEEZZNS1_27merge_sort_block_merge_implIS3_PlPS5_mZN2at6native12_GLOBAL__N_124unique_dim_cuda_templateIdEESt5tupleIJNSA_6TensorESF_SF_EERKSF_lbbbEUlllE_EE10hipError_tT0_T1_T2_jT3_P12ihipStream_tbPNSt15iterator_traitsISL_E10value_typeEPNSR_ISM_E10value_typeEPSN_NS1_7vsmem_tEENKUlT_SL_SM_SN_E_clIS8_S8_S9_S9_EESK_S10_SL_SM_SN_EUlS10_E0_NS1_11comp_targetILNS1_3genE5ELNS1_11target_archE942ELNS1_3gpuE9ELNS1_3repE0EEENS1_38merge_mergepath_config_static_selectorELNS0_4arch9wavefront6targetE1EEEvSM_,@function
_ZN7rocprim17ROCPRIM_400000_NS6detail17trampoline_kernelINS0_14default_configENS1_38merge_sort_block_merge_config_selectorIlNS0_10empty_typeEEEZZNS1_27merge_sort_block_merge_implIS3_PlPS5_mZN2at6native12_GLOBAL__N_124unique_dim_cuda_templateIdEESt5tupleIJNSA_6TensorESF_SF_EERKSF_lbbbEUlllE_EE10hipError_tT0_T1_T2_jT3_P12ihipStream_tbPNSt15iterator_traitsISL_E10value_typeEPNSR_ISM_E10value_typeEPSN_NS1_7vsmem_tEENKUlT_SL_SM_SN_E_clIS8_S8_S9_S9_EESK_S10_SL_SM_SN_EUlS10_E0_NS1_11comp_targetILNS1_3genE5ELNS1_11target_archE942ELNS1_3gpuE9ELNS1_3repE0EEENS1_38merge_mergepath_config_static_selectorELNS0_4arch9wavefront6targetE1EEEvSM_: ; @_ZN7rocprim17ROCPRIM_400000_NS6detail17trampoline_kernelINS0_14default_configENS1_38merge_sort_block_merge_config_selectorIlNS0_10empty_typeEEEZZNS1_27merge_sort_block_merge_implIS3_PlPS5_mZN2at6native12_GLOBAL__N_124unique_dim_cuda_templateIdEESt5tupleIJNSA_6TensorESF_SF_EERKSF_lbbbEUlllE_EE10hipError_tT0_T1_T2_jT3_P12ihipStream_tbPNSt15iterator_traitsISL_E10value_typeEPNSR_ISM_E10value_typeEPSN_NS1_7vsmem_tEENKUlT_SL_SM_SN_E_clIS8_S8_S9_S9_EESK_S10_SL_SM_SN_EUlS10_E0_NS1_11comp_targetILNS1_3genE5ELNS1_11target_archE942ELNS1_3gpuE9ELNS1_3repE0EEENS1_38merge_mergepath_config_static_selectorELNS0_4arch9wavefront6targetE1EEEvSM_
; %bb.0:
	s_load_dwordx2 s[24:25], s[0:1], 0x58
	s_load_dword s5, s[0:1], 0x38
	s_add_u32 s22, s0, 0x58
	s_addc_u32 s23, s1, 0
	s_waitcnt lgkmcnt(0)
	s_mul_i32 s4, s25, s4
	s_add_i32 s3, s4, s3
	s_mul_i32 s3, s3, s24
	s_add_i32 s20, s3, s2
	s_cmp_ge_u32 s20, s5
	s_cbranch_scc1 .LBB774_120
; %bb.1:
	s_load_dwordx2 s[4:5], s[0:1], 0x50
	s_load_dwordx4 s[12:15], s[0:1], 0x8
	s_load_dwordx4 s[8:11], s[0:1], 0x28
	s_mov_b32 s21, 0
	s_lshl_b64 s[6:7], s[20:21], 3
	s_waitcnt lgkmcnt(0)
	s_add_u32 s4, s4, s6
	s_addc_u32 s5, s5, s7
	v_mov_b32_e32 v1, s10
	v_alignbit_b32 v1, s11, v1, 9
	v_and_b32_e32 v1, -2, v1
	v_sub_u32_e32 v1, 0, v1
	s_load_dwordx4 s[16:19], s[4:5], 0x0
	v_and_b32_e32 v2, s20, v1
	v_mov_b32_e32 v3, 0
	v_lshlrev_b64 v[6:7], 10, v[2:3]
	s_lshl_b64 s[6:7], s[20:21], 10
	v_mov_b32_e32 v5, s7
	v_sub_co_u32_e32 v4, vcc, s6, v6
	v_lshlrev_b64 v[2:3], 11, v[2:3]
	s_nop 0
	v_subb_co_u32_e32 v5, vcc, v5, v7, vcc
	v_lshl_add_u64 v[8:9], v[2:3], 0, s[10:11]
	v_lshl_add_u64 v[2:3], v[8:9], 0, v[4:5]
	s_waitcnt lgkmcnt(0)
	v_mov_b32_e32 v5, s19
	v_subrev_co_u32_e32 v4, vcc, s18, v2
	s_mov_b64 s[4:5], 0x400
	s_nop 0
	v_subb_co_u32_e32 v5, vcc, v3, v5, vcc
	v_or_b32_e32 v1, s20, v1
	v_lshl_add_u64 v[10:11], v[4:5], 0, s[4:5]
	v_cmp_ne_u32_e32 vcc, -1, v1
	v_cmp_lt_u64_e64 s[4:5], s[8:9], v[10:11]
	s_cbranch_vccz .LBB774_3
; %bb.2:
	v_mov_b32_e32 v1, s8
	v_mov_b64_e32 v[4:5], s[18:19]
	v_cndmask_b32_e64 v6, v10, v1, s[4:5]
	s_branch .LBB774_4
.LBB774_3:
	v_sub_co_u32_e32 v6, vcc, v8, v6
	v_mov_b32_e32 v1, s8
	s_nop 0
	v_subb_co_u32_e32 v7, vcc, v9, v7, vcc
	v_cmp_lt_u64_e32 vcc, s[8:9], v[6:7]
	s_nop 1
	v_cndmask_b32_e32 v4, v6, v1, vcc
	v_lshl_add_u64 v[6:7], v[6:7], 0, s[10:11]
	v_cmp_lt_u64_e32 vcc, s[8:9], v[6:7]
	s_nop 1
	v_cndmask_b32_e32 v6, v6, v1, vcc
.LBB774_4:
	s_lshr_b64 s[18:19], s[8:9], 10
	s_cmp_lg_u64 s[18:19], s[20:21]
	s_cselect_b64 s[10:11], -1, 0
	s_lshl_b64 s[4:5], s[16:17], 3
	s_add_u32 s4, s12, s4
	s_addc_u32 s5, s13, s5
	s_cmp_lt_u32 s2, s24
	v_mov_b32_e32 v19, 0
	s_cselect_b32 s2, 12, 18
	global_load_dword v5, v19, s[22:23] offset:14
	s_add_u32 s2, s22, s2
	s_addc_u32 s3, s23, 0
	global_load_ushort v7, v19, s[2:3]
	v_mov_b32_e32 v8, s17
	v_subrev_co_u32_e32 v2, vcc, s16, v2
	v_mov_b32_e32 v9, s9
	s_nop 0
	v_subb_co_u32_e32 v3, vcc, v3, v8, vcc
	v_mov_b32_e32 v10, s8
	v_cmp_lt_u64_e32 vcc, s[8:9], v[2:3]
	v_subrev_u32_e32 v1, s16, v4
	s_cmp_eq_u64 s[18:19], s[20:21]
	v_cndmask_b32_e32 v3, v3, v9, vcc
	v_cndmask_b32_e32 v2, v2, v10, vcc
	v_sub_u32_e32 v25, v6, v2
	v_lshlrev_b64 v[2:3], 3, v[2:3]
	v_lshl_add_u64 v[20:21], s[12:13], 0, v[2:3]
	v_lshlrev_b32_e32 v18, 3, v0
	s_waitcnt vmcnt(1)
	v_lshrrev_b32_e32 v2, 16, v5
	v_and_b32_e32 v3, 0xffff, v5
	v_mul_lo_u32 v2, v3, v2
	s_waitcnt vmcnt(0)
	v_mul_lo_u32 v26, v2, v7
	s_cbranch_scc1 .LBB774_6
; %bb.5:
	v_sub_u32_e32 v4, v0, v1
	v_mov_b32_e32 v5, v19
	v_add_u32_e32 v6, v26, v0
	v_lshl_add_u64 v[2:3], s[4:5], 0, v[18:19]
	v_lshl_add_u64 v[4:5], v[4:5], 3, v[20:21]
	v_cmp_lt_u32_e32 vcc, v0, v1
	v_mov_b32_e32 v7, v19
	v_sub_u32_e32 v8, v6, v1
	v_mov_b32_e32 v9, v19
	v_cndmask_b32_e32 v3, v5, v3, vcc
	v_cndmask_b32_e32 v2, v4, v2, vcc
	v_lshl_add_u64 v[4:5], v[6:7], 3, s[4:5]
	v_lshl_add_u64 v[8:9], v[8:9], 3, v[20:21]
	v_cmp_lt_u32_e32 vcc, v6, v1
	v_mov_b32_e32 v11, v19
	v_mov_b32_e32 v13, v19
	v_cndmask_b32_e32 v4, v8, v4, vcc
	v_add_u32_e32 v8, v6, v26
	v_cndmask_b32_e32 v5, v9, v5, vcc
	v_mov_b32_e32 v9, v19
	v_sub_u32_e32 v10, v8, v1
	v_lshl_add_u64 v[6:7], v[8:9], 3, s[4:5]
	v_lshl_add_u64 v[10:11], v[10:11], 3, v[20:21]
	v_cmp_lt_u32_e32 vcc, v8, v1
	v_mov_b32_e32 v15, v19
	v_mov_b32_e32 v17, v19
	v_cndmask_b32_e32 v6, v10, v6, vcc
	v_add_u32_e32 v10, v8, v26
	v_cndmask_b32_e32 v7, v11, v7, vcc
	v_mov_b32_e32 v11, v19
	v_sub_u32_e32 v12, v10, v1
	;; [unrolled: 10-line block ×3, first 2 shown]
	v_lshl_add_u64 v[10:11], v[12:13], 3, s[4:5]
	v_lshl_add_u64 v[14:15], v[14:15], 3, v[20:21]
	v_cmp_lt_u32_e32 vcc, v12, v1
	global_load_dwordx2 v[2:3], v[2:3], off
	v_add_u32_e32 v24, v1, v25
	v_cndmask_b32_e32 v10, v14, v10, vcc
	v_add_u32_e32 v14, v12, v26
	v_cndmask_b32_e32 v11, v15, v11, vcc
	v_mov_b32_e32 v15, v19
	v_sub_u32_e32 v16, v14, v1
	v_lshl_add_u64 v[12:13], v[14:15], 3, s[4:5]
	v_lshl_add_u64 v[16:17], v[16:17], 3, v[20:21]
	v_cmp_lt_u32_e32 vcc, v14, v1
	global_load_dwordx2 v[4:5], v[4:5], off
	s_nop 0
	v_cndmask_b32_e32 v13, v17, v13, vcc
	v_cndmask_b32_e32 v12, v16, v12, vcc
	v_add_u32_e32 v16, v14, v26
	v_mov_b32_e32 v17, v19
	v_lshl_add_u64 v[14:15], v[16:17], 3, s[4:5]
	v_sub_u32_e32 v22, v16, v1
	v_cmp_lt_u32_e32 vcc, v16, v1
	v_add_u32_e32 v16, v16, v26
	v_lshl_add_u64 v[22:23], v[22:23], 3, v[20:21]
	v_sub_u32_e32 v28, v16, v1
	v_cndmask_b32_e32 v15, v23, v15, vcc
	v_cndmask_b32_e32 v14, v22, v14, vcc
	v_lshl_add_u64 v[22:23], v[16:17], 3, s[4:5]
	v_lshl_add_u64 v[28:29], v[28:29], 3, v[20:21]
	v_cmp_lt_u32_e32 vcc, v16, v1
	global_load_dwordx2 v[6:7], v[6:7], off
	s_nop 0
	v_cndmask_b32_e32 v17, v29, v23, vcc
	v_cndmask_b32_e32 v16, v28, v22, vcc
	global_load_dwordx2 v[8:9], v[8:9], off
	s_nop 0
	global_load_dwordx2 v[10:11], v[10:11], off
	s_nop 0
	;; [unrolled: 2-line block ×4, first 2 shown]
	global_load_dwordx2 v[16:17], v[16:17], off
	s_cbranch_execz .LBB774_7
	s_branch .LBB774_24
.LBB774_6:
                                        ; implicit-def: $vgpr2_vgpr3_vgpr4_vgpr5_vgpr6_vgpr7_vgpr8_vgpr9_vgpr10_vgpr11_vgpr12_vgpr13_vgpr14_vgpr15_vgpr16_vgpr17
                                        ; implicit-def: $vgpr24
.LBB774_7:
	v_add_u32_e32 v24, v1, v25
	v_cmp_lt_u32_e32 vcc, v0, v24
                                        ; implicit-def: $vgpr2_vgpr3_vgpr4_vgpr5_vgpr6_vgpr7_vgpr8_vgpr9_vgpr10_vgpr11_vgpr12_vgpr13_vgpr14_vgpr15_vgpr16_vgpr17
	s_and_saveexec_b64 s[2:3], vcc
	s_cbranch_execz .LBB774_9
; %bb.8:
	v_mov_b32_e32 v19, 0
	s_waitcnt vmcnt(6)
	v_sub_u32_e32 v4, v0, v1
	v_mov_b32_e32 v5, v19
	v_lshl_add_u64 v[2:3], s[4:5], 0, v[18:19]
	v_lshl_add_u64 v[4:5], v[4:5], 3, v[20:21]
	v_cmp_lt_u32_e32 vcc, v0, v1
	s_nop 1
	v_cndmask_b32_e32 v3, v5, v3, vcc
	v_cndmask_b32_e32 v2, v4, v2, vcc
	global_load_dwordx2 v[2:3], v[2:3], off
.LBB774_9:
	s_or_b64 exec, exec, s[2:3]
	v_add_u32_e32 v22, v26, v0
	v_cmp_lt_u32_e32 vcc, v22, v24
	s_and_saveexec_b64 s[2:3], vcc
	s_cbranch_execz .LBB774_11
; %bb.10:
	v_mov_b32_e32 v23, 0
	v_sub_u32_e32 v28, v22, v1
	v_mov_b32_e32 v29, v23
	s_waitcnt vmcnt(6)
	v_lshl_add_u64 v[4:5], v[22:23], 3, s[4:5]
	v_lshl_add_u64 v[28:29], v[28:29], 3, v[20:21]
	v_cmp_lt_u32_e32 vcc, v22, v1
	s_nop 1
	v_cndmask_b32_e32 v5, v29, v5, vcc
	v_cndmask_b32_e32 v4, v28, v4, vcc
	global_load_dwordx2 v[4:5], v[4:5], off
.LBB774_11:
	s_or_b64 exec, exec, s[2:3]
	v_add_u32_e32 v22, v22, v26
	v_cmp_lt_u32_e32 vcc, v22, v24
	s_and_saveexec_b64 s[2:3], vcc
	s_cbranch_execz .LBB774_13
; %bb.12:
	v_mov_b32_e32 v23, 0
	v_sub_u32_e32 v28, v22, v1
	v_mov_b32_e32 v29, v23
	s_waitcnt vmcnt(5)
	v_lshl_add_u64 v[6:7], v[22:23], 3, s[4:5]
	v_lshl_add_u64 v[28:29], v[28:29], 3, v[20:21]
	v_cmp_lt_u32_e32 vcc, v22, v1
	s_nop 1
	v_cndmask_b32_e32 v7, v29, v7, vcc
	v_cndmask_b32_e32 v6, v28, v6, vcc
	global_load_dwordx2 v[6:7], v[6:7], off
.LBB774_13:
	;; [unrolled: 18-line block ×6, first 2 shown]
	s_or_b64 exec, exec, s[2:3]
	v_add_u32_e32 v22, v22, v26
	v_cmp_lt_u32_e32 vcc, v22, v24
	s_and_saveexec_b64 s[2:3], vcc
	s_cbranch_execz .LBB774_23
; %bb.22:
	v_mov_b32_e32 v23, 0
	s_waitcnt vmcnt(0)
	v_lshl_add_u64 v[16:17], v[22:23], 3, s[4:5]
	v_cmp_lt_u32_e32 vcc, v22, v1
	v_sub_u32_e32 v22, v22, v1
	v_lshl_add_u64 v[20:21], v[22:23], 3, v[20:21]
	v_cndmask_b32_e32 v17, v21, v17, vcc
	v_cndmask_b32_e32 v16, v20, v16, vcc
	global_load_dwordx2 v[16:17], v[16:17], off
.LBB774_23:
	s_or_b64 exec, exec, s[2:3]
.LBB774_24:
	s_load_dwordx4 s[16:19], s[0:1], 0x40
	v_min_u32_e32 v19, v24, v18
	v_sub_u32_e64 v25, v19, v25 clamp
	v_min_u32_e32 v26, v19, v1
	v_cmp_lt_u32_e32 vcc, v25, v26
	s_waitcnt vmcnt(0)
	ds_write2st64_b64 v18, v[2:3], v[4:5] offset1:2
	ds_write2st64_b64 v18, v[6:7], v[8:9] offset0:4 offset1:6
	ds_write2st64_b64 v18, v[10:11], v[12:13] offset0:8 offset1:10
	;; [unrolled: 1-line block ×3, first 2 shown]
	s_waitcnt lgkmcnt(0)
	s_barrier
	s_and_saveexec_b64 s[12:13], vcc
	s_cbranch_execz .LBB774_34
; %bb.25:
	v_lshlrev_b32_e32 v20, 3, v19
	v_cmp_gt_i64_e64 s[0:1], s[16:17], 0
	v_lshl_add_u32 v27, v1, 3, v20
	s_mov_b64 s[20:21], 0
	v_cndmask_b32_e64 v20, 0, 1, s[0:1]
	s_lshl_b64 s[22:23], s[16:17], 3
	v_cmp_ne_u32_e64 s[0:1], 1, v20
	s_branch .LBB774_28
.LBB774_26:                             ;   in Loop: Header=BB774_28 Depth=1
	s_or_b64 exec, exec, s[26:27]
.LBB774_27:                             ;   in Loop: Header=BB774_28 Depth=1
	v_add_u32_e32 v20, 1, v28
	v_cndmask_b32_e64 v26, v26, v28, s[24:25]
	v_cndmask_b32_e64 v25, v20, v25, s[24:25]
	v_cmp_ge_u32_e32 vcc, v25, v26
	s_or_b64 s[20:21], vcc, s[20:21]
	s_andn2_b64 exec, exec, s[20:21]
	s_cbranch_execz .LBB774_33
.LBB774_28:                             ; =>This Loop Header: Depth=1
                                        ;     Child Loop BB774_31 Depth 2
	v_add_u32_e32 v20, v26, v25
	v_lshrrev_b32_e32 v28, 1, v20
	s_and_b64 vcc, exec, s[0:1]
	s_mov_b64 s[24:25], 0
	s_cbranch_vccnz .LBB774_27
; %bb.29:                               ;   in Loop: Header=BB774_28 Depth=1
	v_not_b32_e32 v20, v28
	v_lshl_add_u32 v20, v20, 3, v27
	ds_read_b64 v[20:21], v20
	v_lshlrev_b32_e32 v29, 3, v28
	ds_read_b64 v[30:31], v29
	v_mov_b64_e32 v[22:23], s[18:19]
	s_mov_b64 s[26:27], 0
	s_waitcnt lgkmcnt(1)
	v_mul_lo_u32 v29, s22, v21
	v_mul_lo_u32 v32, s23, v20
	v_mad_u64_u32 v[20:21], s[2:3], s22, v20, v[22:23]
	v_add3_u32 v21, v32, v21, v29
	s_waitcnt lgkmcnt(0)
	v_mul_lo_u32 v29, s22, v31
	v_mul_lo_u32 v31, s23, v30
	v_mad_u64_u32 v[22:23], s[2:3], s22, v30, v[22:23]
	v_add3_u32 v23, v31, v23, v29
	s_mov_b64 s[34:35], s[16:17]
                                        ; implicit-def: $sgpr24_sgpr25
                                        ; implicit-def: $sgpr28_sgpr29
                                        ; implicit-def: $sgpr30_sgpr31
                                        ; implicit-def: $sgpr2_sgpr3
                                        ; implicit-def: $sgpr36_sgpr37
	s_branch .LBB774_31
.LBB774_30:                             ;   in Loop: Header=BB774_31 Depth=2
	s_or_b64 exec, exec, s[38:39]
	s_and_b64 s[4:5], exec, s[28:29]
	s_or_b64 s[26:27], s[4:5], s[26:27]
	s_andn2_b64 s[4:5], s[36:37], exec
	s_and_b64 s[36:37], s[30:31], exec
	s_or_b64 s[36:37], s[4:5], s[36:37]
	s_andn2_b64 s[4:5], s[24:25], exec
	s_and_b64 s[24:25], s[2:3], exec
	s_or_b64 s[24:25], s[4:5], s[24:25]
	s_andn2_b64 exec, exec, s[26:27]
	s_cbranch_execz .LBB774_26
.LBB774_31:                             ;   Parent Loop BB774_28 Depth=1
                                        ; =>  This Inner Loop Header: Depth=2
	global_load_dwordx2 v[30:31], v[20:21], off
	global_load_dwordx2 v[32:33], v[22:23], off
	s_andn2_b64 s[38:39], s[2:3], exec
	s_andn2_b64 s[30:31], s[30:31], exec
	s_or_b64 s[28:29], s[28:29], exec
	s_waitcnt vmcnt(0)
	v_cmp_ngt_f64_e64 s[2:3], v[30:31], v[32:33]
	v_cmp_lt_f64_e32 vcc, v[30:31], v[32:33]
	s_and_b64 s[2:3], s[2:3], s[36:37]
	s_or_b64 s[40:41], vcc, s[2:3]
	s_and_b64 s[2:3], s[40:41], exec
	v_cmp_nlg_f64_e64 s[4:5], v[30:31], v[32:33]
	s_or_b64 s[2:3], s[38:39], s[2:3]
	s_and_saveexec_b64 s[38:39], s[4:5]
	s_cbranch_execz .LBB774_30
; %bb.32:                               ;   in Loop: Header=BB774_31 Depth=2
	s_add_u32 s34, s34, -1
	s_addc_u32 s35, s35, -1
	s_cmp_eq_u64 s[34:35], 0
	s_cselect_b64 s[4:5], -1, 0
	s_andn2_b64 s[30:31], s[30:31], exec
	s_and_b64 s[36:37], s[40:41], exec
	s_andn2_b64 s[28:29], s[28:29], exec
	s_and_b64 s[4:5], s[4:5], exec
	v_lshl_add_u64 v[20:21], v[20:21], 0, 8
	v_lshl_add_u64 v[22:23], v[22:23], 0, 8
	s_andn2_b64 s[2:3], s[2:3], exec
	s_or_b64 s[30:31], s[30:31], s[36:37]
	s_or_b64 s[28:29], s[28:29], s[4:5]
                                        ; implicit-def: $sgpr36_sgpr37
	s_branch .LBB774_30
.LBB774_33:
	s_or_b64 exec, exec, s[20:21]
.LBB774_34:
	s_or_b64 exec, exec, s[12:13]
	v_sub_u32_e32 v19, v19, v25
	v_add_u32_e32 v23, v19, v1
	v_cmp_le_u32_e32 vcc, v25, v1
	v_cmp_le_u32_e64 s[0:1], v23, v24
	s_or_b64 s[0:1], vcc, s[0:1]
	s_and_saveexec_b64 s[4:5], s[0:1]
	s_cbranch_execz .LBB774_106
; %bb.35:
	v_cmp_ge_u32_e32 vcc, v25, v1
	v_cmp_lt_u32_e64 s[0:1], v25, v1
                                        ; implicit-def: $vgpr2_vgpr3
	s_and_saveexec_b64 s[2:3], s[0:1]
	s_cbranch_execz .LBB774_37
; %bb.36:
	v_lshlrev_b32_e32 v2, 3, v25
	ds_read_b64 v[2:3], v2
.LBB774_37:
	s_or_b64 exec, exec, s[2:3]
	v_cmp_ge_u32_e64 s[12:13], v23, v24
	v_cmp_lt_u32_e64 s[0:1], v23, v24
                                        ; implicit-def: $vgpr16_vgpr17
	s_and_saveexec_b64 s[2:3], s[0:1]
	s_cbranch_execz .LBB774_39
; %bb.38:
	v_lshlrev_b32_e32 v4, 3, v23
	ds_read_b64 v[16:17], v4
.LBB774_39:
	s_or_b64 exec, exec, s[2:3]
	s_or_b64 s[0:1], vcc, s[12:13]
	v_cmp_lt_i64_e64 s[20:21], s[16:17], 1
	s_mov_b64 s[24:25], 0
	v_cmp_gt_i64_e64 s[26:27], s[16:17], 0
	s_xor_b64 s[0:1], s[0:1], -1
	s_and_saveexec_b64 s[22:23], s[0:1]
	s_cbranch_execz .LBB774_47
; %bb.40:
	s_andn2_b64 vcc, exec, s[26:27]
	s_cbranch_vccnz .LBB774_46
; %bb.41:
	s_waitcnt lgkmcnt(0)
	v_mul_lo_u32 v6, v17, s16
	v_mul_lo_u32 v7, v16, s17
	v_mad_u64_u32 v[4:5], s[0:1], v16, s16, 0
	v_add3_u32 v5, v5, v7, v6
	v_mul_lo_u32 v8, v3, s16
	v_mul_lo_u32 v9, v2, s17
	v_mad_u64_u32 v[6:7], s[0:1], v2, s16, 0
	v_add3_u32 v7, v7, v9, v8
	v_lshl_add_u64 v[4:5], v[4:5], 3, s[18:19]
	v_lshl_add_u64 v[6:7], v[6:7], 3, s[18:19]
	s_mov_b64 s[28:29], 0
	s_mov_b64 s[36:37], s[16:17]
                                        ; implicit-def: $sgpr24_sgpr25
                                        ; implicit-def: $sgpr30_sgpr31
                                        ; implicit-def: $sgpr34_sgpr35
                                        ; implicit-def: $sgpr0_sgpr1
                                        ; implicit-def: $sgpr38_sgpr39
	s_branch .LBB774_43
.LBB774_42:                             ;   in Loop: Header=BB774_43 Depth=1
	s_or_b64 exec, exec, s[40:41]
	s_and_b64 s[2:3], exec, s[30:31]
	s_or_b64 s[28:29], s[2:3], s[28:29]
	s_andn2_b64 s[2:3], s[38:39], exec
	s_and_b64 s[38:39], s[34:35], exec
	s_or_b64 s[38:39], s[2:3], s[38:39]
	s_andn2_b64 s[2:3], s[24:25], exec
	s_and_b64 s[24:25], s[0:1], exec
	s_or_b64 s[24:25], s[2:3], s[24:25]
	s_andn2_b64 exec, exec, s[28:29]
	s_cbranch_execz .LBB774_45
.LBB774_43:                             ; =>This Inner Loop Header: Depth=1
	global_load_dwordx2 v[8:9], v[4:5], off
	global_load_dwordx2 v[10:11], v[6:7], off
	s_andn2_b64 s[40:41], s[0:1], exec
	s_andn2_b64 s[34:35], s[34:35], exec
	s_or_b64 s[30:31], s[30:31], exec
	s_waitcnt vmcnt(0)
	v_cmp_ngt_f64_e64 s[0:1], v[8:9], v[10:11]
	v_cmp_lt_f64_e32 vcc, v[8:9], v[10:11]
	s_and_b64 s[0:1], s[0:1], s[38:39]
	s_or_b64 s[42:43], vcc, s[0:1]
	s_and_b64 s[0:1], s[42:43], exec
	v_cmp_nlg_f64_e64 s[2:3], v[8:9], v[10:11]
	s_or_b64 s[0:1], s[40:41], s[0:1]
	s_and_saveexec_b64 s[40:41], s[2:3]
	s_cbranch_execz .LBB774_42
; %bb.44:                               ;   in Loop: Header=BB774_43 Depth=1
	s_add_u32 s36, s36, -1
	s_addc_u32 s37, s37, -1
	s_cmp_eq_u64 s[36:37], 0
	s_cselect_b64 s[2:3], -1, 0
	s_andn2_b64 s[34:35], s[34:35], exec
	s_and_b64 s[38:39], s[42:43], exec
	s_andn2_b64 s[30:31], s[30:31], exec
	s_and_b64 s[2:3], s[2:3], exec
	v_lshl_add_u64 v[4:5], v[4:5], 0, 8
	v_lshl_add_u64 v[6:7], v[6:7], 0, 8
	s_andn2_b64 s[0:1], s[0:1], exec
	s_or_b64 s[34:35], s[34:35], s[38:39]
	s_or_b64 s[30:31], s[30:31], s[2:3]
                                        ; implicit-def: $sgpr38_sgpr39
	s_branch .LBB774_42
.LBB774_45:
	s_or_b64 exec, exec, s[28:29]
.LBB774_46:
	s_xor_b64 s[0:1], s[24:25], -1
	s_andn2_b64 s[2:3], s[12:13], exec
	s_and_b64 s[0:1], s[0:1], exec
	s_or_b64 s[12:13], s[2:3], s[0:1]
.LBB774_47:
	s_or_b64 exec, exec, s[22:23]
	v_cndmask_b32_e64 v4, v23, v25, s[12:13]
	v_cndmask_b32_e64 v5, v24, v1, s[12:13]
	v_add_u32_e32 v6, 1, v4
	v_add_u32_e32 v4, -1, v5
	v_min_u32_e32 v4, v6, v4
	v_lshlrev_b32_e32 v4, 3, v4
	ds_read_b64 v[4:5], v4
	v_cndmask_b32_e64 v8, v6, v23, s[12:13]
	v_cndmask_b32_e64 v9, v25, v6, s[12:13]
	v_cmp_lt_u32_e32 vcc, v8, v24
	s_mov_b64 s[22:23], -1
	s_waitcnt lgkmcnt(0)
	v_cndmask_b32_e64 v19, v5, v17, s[12:13]
	v_cndmask_b32_e64 v20, v4, v16, s[12:13]
	;; [unrolled: 1-line block ×4, first 2 shown]
	s_mov_b64 s[24:25], -1
	s_and_saveexec_b64 s[28:29], vcc
	s_cbranch_execz .LBB774_57
; %bb.48:
	v_cmp_lt_u32_e32 vcc, v9, v1
	s_mov_b64 s[0:1], 0
	s_and_saveexec_b64 s[24:25], vcc
	s_cbranch_execz .LBB774_56
; %bb.49:
	s_andn2_b64 vcc, exec, s[26:27]
	s_mov_b64 s[26:27], 0
	s_cbranch_vccnz .LBB774_55
; %bb.50:
	v_mul_lo_u32 v6, v19, s16
	v_mul_lo_u32 v7, v20, s17
	v_mad_u64_u32 v[4:5], s[0:1], v20, s16, 0
	v_add3_u32 v5, v5, v7, v6
	v_mul_lo_u32 v10, v21, s16
	v_mul_lo_u32 v11, v22, s17
	v_mad_u64_u32 v[6:7], s[0:1], v22, s16, 0
	v_add3_u32 v7, v7, v11, v10
	v_lshl_add_u64 v[4:5], v[4:5], 3, s[18:19]
	v_lshl_add_u64 v[6:7], v[6:7], 3, s[18:19]
	s_mov_b64 s[30:31], 0
	s_mov_b64 s[38:39], s[16:17]
                                        ; implicit-def: $sgpr26_sgpr27
                                        ; implicit-def: $sgpr34_sgpr35
                                        ; implicit-def: $sgpr36_sgpr37
                                        ; implicit-def: $sgpr0_sgpr1
                                        ; implicit-def: $sgpr40_sgpr41
	s_branch .LBB774_52
.LBB774_51:                             ;   in Loop: Header=BB774_52 Depth=1
	s_or_b64 exec, exec, s[42:43]
	s_and_b64 s[2:3], exec, s[34:35]
	s_or_b64 s[30:31], s[2:3], s[30:31]
	s_andn2_b64 s[2:3], s[40:41], exec
	s_and_b64 s[40:41], s[36:37], exec
	s_or_b64 s[40:41], s[2:3], s[40:41]
	s_andn2_b64 s[2:3], s[26:27], exec
	s_and_b64 s[26:27], s[0:1], exec
	s_or_b64 s[26:27], s[2:3], s[26:27]
	s_andn2_b64 exec, exec, s[30:31]
	s_cbranch_execz .LBB774_54
.LBB774_52:                             ; =>This Inner Loop Header: Depth=1
	global_load_dwordx2 v[10:11], v[4:5], off
	global_load_dwordx2 v[12:13], v[6:7], off
	s_andn2_b64 s[42:43], s[0:1], exec
	s_andn2_b64 s[36:37], s[36:37], exec
	s_or_b64 s[34:35], s[34:35], exec
	s_waitcnt vmcnt(0)
	v_cmp_ngt_f64_e64 s[0:1], v[10:11], v[12:13]
	v_cmp_lt_f64_e32 vcc, v[10:11], v[12:13]
	s_and_b64 s[0:1], s[0:1], s[40:41]
	s_or_b64 s[44:45], vcc, s[0:1]
	s_and_b64 s[0:1], s[44:45], exec
	v_cmp_nlg_f64_e64 s[2:3], v[10:11], v[12:13]
	s_or_b64 s[0:1], s[42:43], s[0:1]
	s_and_saveexec_b64 s[42:43], s[2:3]
	s_cbranch_execz .LBB774_51
; %bb.53:                               ;   in Loop: Header=BB774_52 Depth=1
	s_add_u32 s38, s38, -1
	s_addc_u32 s39, s39, -1
	s_cmp_eq_u64 s[38:39], 0
	s_cselect_b64 s[2:3], -1, 0
	s_andn2_b64 s[36:37], s[36:37], exec
	s_and_b64 s[40:41], s[44:45], exec
	s_andn2_b64 s[34:35], s[34:35], exec
	s_and_b64 s[2:3], s[2:3], exec
	v_lshl_add_u64 v[4:5], v[4:5], 0, 8
	v_lshl_add_u64 v[6:7], v[6:7], 0, 8
	s_andn2_b64 s[0:1], s[0:1], exec
	s_or_b64 s[36:37], s[36:37], s[40:41]
	s_or_b64 s[34:35], s[34:35], s[2:3]
                                        ; implicit-def: $sgpr40_sgpr41
	s_branch .LBB774_51
.LBB774_54:
	s_or_b64 exec, exec, s[30:31]
.LBB774_55:
	s_xor_b64 s[0:1], s[26:27], -1
	s_and_b64 s[0:1], s[0:1], exec
.LBB774_56:
	s_or_b64 exec, exec, s[24:25]
	s_orn2_b64 s[24:25], s[0:1], exec
.LBB774_57:
	s_or_b64 exec, exec, s[28:29]
	v_cndmask_b32_e64 v4, v8, v9, s[24:25]
	v_cndmask_b32_e64 v5, v24, v1, s[24:25]
	v_add_u32_e32 v6, 1, v4
	v_add_u32_e32 v4, -1, v5
	v_min_u32_e32 v4, v6, v4
	v_lshlrev_b32_e32 v4, 3, v4
	ds_read_b64 v[4:5], v4
	v_cndmask_b32_e64 v10, v6, v8, s[24:25]
	v_cndmask_b32_e64 v11, v9, v6, s[24:25]
	v_cmp_lt_u32_e32 vcc, v10, v24
	s_waitcnt lgkmcnt(0)
	v_cndmask_b32_e64 v23, v5, v19, s[24:25]
	v_cndmask_b32_e64 v25, v4, v20, s[24:25]
	;; [unrolled: 1-line block ×4, first 2 shown]
	s_and_saveexec_b64 s[26:27], vcc
	s_cbranch_execz .LBB774_65
; %bb.58:
	v_cmp_lt_u32_e64 s[22:23], v11, v1
	s_xor_b64 s[0:1], s[20:21], -1
	s_and_b64 s[0:1], s[22:23], s[0:1]
	s_and_saveexec_b64 s[28:29], s[0:1]
	s_cbranch_execz .LBB774_64
; %bb.59:
	v_mul_lo_u32 v6, v23, s16
	v_mul_lo_u32 v7, v25, s17
	v_mad_u64_u32 v[4:5], s[0:1], v25, s16, 0
	v_add3_u32 v5, v5, v7, v6
	v_mul_lo_u32 v8, v26, s16
	v_mul_lo_u32 v9, v27, s17
	v_mad_u64_u32 v[6:7], s[0:1], v27, s16, 0
	v_add3_u32 v7, v7, v9, v8
	v_lshl_add_u64 v[4:5], v[4:5], 3, s[18:19]
	v_lshl_add_u64 v[6:7], v[6:7], 3, s[18:19]
	s_mov_b64 s[30:31], 0
	s_mov_b64 s[40:41], s[16:17]
                                        ; implicit-def: $sgpr34_sgpr35
                                        ; implicit-def: $sgpr36_sgpr37
                                        ; implicit-def: $sgpr0_sgpr1
                                        ; implicit-def: $sgpr38_sgpr39
                                        ; implicit-def: $sgpr42_sgpr43
	s_branch .LBB774_61
.LBB774_60:                             ;   in Loop: Header=BB774_61 Depth=1
	s_or_b64 exec, exec, s[44:45]
	s_and_b64 s[2:3], exec, s[36:37]
	s_or_b64 s[30:31], s[2:3], s[30:31]
	s_andn2_b64 s[2:3], s[42:43], exec
	s_and_b64 s[42:43], s[38:39], exec
	s_or_b64 s[42:43], s[2:3], s[42:43]
	s_andn2_b64 s[2:3], s[34:35], exec
	s_and_b64 s[34:35], s[0:1], exec
	s_or_b64 s[34:35], s[2:3], s[34:35]
	s_andn2_b64 exec, exec, s[30:31]
	s_cbranch_execz .LBB774_63
.LBB774_61:                             ; =>This Inner Loop Header: Depth=1
	global_load_dwordx2 v[8:9], v[4:5], off
	global_load_dwordx2 v[12:13], v[6:7], off
	s_andn2_b64 s[44:45], s[0:1], exec
	s_andn2_b64 s[38:39], s[38:39], exec
	s_or_b64 s[36:37], s[36:37], exec
	s_waitcnt vmcnt(0)
	v_cmp_ngt_f64_e64 s[0:1], v[8:9], v[12:13]
	v_cmp_lt_f64_e32 vcc, v[8:9], v[12:13]
	s_and_b64 s[0:1], s[0:1], s[42:43]
	s_or_b64 s[46:47], vcc, s[0:1]
	s_and_b64 s[0:1], s[46:47], exec
	v_cmp_nlg_f64_e64 s[2:3], v[8:9], v[12:13]
	s_or_b64 s[0:1], s[44:45], s[0:1]
	s_and_saveexec_b64 s[44:45], s[2:3]
	s_cbranch_execz .LBB774_60
; %bb.62:                               ;   in Loop: Header=BB774_61 Depth=1
	s_add_u32 s40, s40, -1
	s_addc_u32 s41, s41, -1
	s_cmp_eq_u64 s[40:41], 0
	s_cselect_b64 s[2:3], -1, 0
	s_andn2_b64 s[38:39], s[38:39], exec
	s_and_b64 s[42:43], s[46:47], exec
	s_andn2_b64 s[36:37], s[36:37], exec
	s_and_b64 s[2:3], s[2:3], exec
	v_lshl_add_u64 v[4:5], v[4:5], 0, 8
	v_lshl_add_u64 v[6:7], v[6:7], 0, 8
	s_or_b64 s[38:39], s[38:39], s[42:43]
	s_andn2_b64 s[0:1], s[0:1], exec
	s_or_b64 s[36:37], s[36:37], s[2:3]
                                        ; implicit-def: $sgpr42_sgpr43
	s_branch .LBB774_60
.LBB774_63:
	s_or_b64 exec, exec, s[30:31]
	s_xor_b64 s[0:1], s[34:35], -1
	s_andn2_b64 s[2:3], s[22:23], exec
	s_and_b64 s[0:1], s[0:1], exec
	s_or_b64 s[22:23], s[2:3], s[0:1]
.LBB774_64:
	s_or_b64 exec, exec, s[28:29]
	s_orn2_b64 s[22:23], s[22:23], exec
.LBB774_65:
	s_or_b64 exec, exec, s[26:27]
	v_cndmask_b32_e64 v4, v10, v11, s[22:23]
	v_cndmask_b32_e64 v5, v24, v1, s[22:23]
	v_add_u32_e32 v6, 1, v4
	v_add_u32_e32 v4, -1, v5
	v_min_u32_e32 v4, v6, v4
	v_lshlrev_b32_e32 v4, 3, v4
	ds_read_b64 v[4:5], v4
	v_cndmask_b32_e64 v12, v6, v10, s[22:23]
	v_cndmask_b32_e64 v13, v11, v6, s[22:23]
	v_cmp_lt_u32_e32 vcc, v12, v24
	s_mov_b64 s[28:29], -1
	s_waitcnt lgkmcnt(0)
	v_cndmask_b32_e64 v8, v5, v23, s[22:23]
	v_cndmask_b32_e64 v28, v4, v25, s[22:23]
	;; [unrolled: 1-line block ×4, first 2 shown]
	s_mov_b64 s[26:27], -1
	s_and_saveexec_b64 s[30:31], vcc
	s_cbranch_execz .LBB774_73
; %bb.66:
	v_cmp_lt_u32_e64 s[26:27], v13, v1
	s_xor_b64 s[0:1], s[20:21], -1
	s_and_b64 s[0:1], s[26:27], s[0:1]
	s_and_saveexec_b64 s[34:35], s[0:1]
	s_cbranch_execz .LBB774_72
; %bb.67:
	v_mul_lo_u32 v6, v8, s16
	v_mul_lo_u32 v7, v28, s17
	v_mad_u64_u32 v[4:5], s[0:1], v28, s16, 0
	v_add3_u32 v5, v5, v7, v6
	v_mul_lo_u32 v10, v9, s16
	v_mul_lo_u32 v11, v29, s17
	v_mad_u64_u32 v[6:7], s[0:1], v29, s16, 0
	v_add3_u32 v7, v7, v11, v10
	v_lshl_add_u64 v[4:5], v[4:5], 3, s[18:19]
	v_lshl_add_u64 v[6:7], v[6:7], 3, s[18:19]
	s_mov_b64 s[36:37], 0
	s_mov_b64 s[44:45], s[16:17]
                                        ; implicit-def: $sgpr38_sgpr39
                                        ; implicit-def: $sgpr40_sgpr41
                                        ; implicit-def: $sgpr0_sgpr1
                                        ; implicit-def: $sgpr42_sgpr43
                                        ; implicit-def: $sgpr46_sgpr47
	s_branch .LBB774_69
.LBB774_68:                             ;   in Loop: Header=BB774_69 Depth=1
	s_or_b64 exec, exec, s[48:49]
	s_and_b64 s[2:3], exec, s[40:41]
	s_or_b64 s[36:37], s[2:3], s[36:37]
	s_andn2_b64 s[2:3], s[46:47], exec
	s_and_b64 s[46:47], s[42:43], exec
	s_or_b64 s[46:47], s[2:3], s[46:47]
	s_andn2_b64 s[2:3], s[38:39], exec
	s_and_b64 s[38:39], s[0:1], exec
	s_or_b64 s[38:39], s[2:3], s[38:39]
	s_andn2_b64 exec, exec, s[36:37]
	s_cbranch_execz .LBB774_71
.LBB774_69:                             ; =>This Inner Loop Header: Depth=1
	global_load_dwordx2 v[10:11], v[4:5], off
	global_load_dwordx2 v[14:15], v[6:7], off
	s_andn2_b64 s[48:49], s[0:1], exec
	s_andn2_b64 s[42:43], s[42:43], exec
	s_or_b64 s[40:41], s[40:41], exec
	s_waitcnt vmcnt(0)
	v_cmp_ngt_f64_e64 s[0:1], v[10:11], v[14:15]
	v_cmp_lt_f64_e32 vcc, v[10:11], v[14:15]
	s_and_b64 s[0:1], s[0:1], s[46:47]
	s_or_b64 s[50:51], vcc, s[0:1]
	s_and_b64 s[0:1], s[50:51], exec
	v_cmp_nlg_f64_e64 s[2:3], v[10:11], v[14:15]
	s_or_b64 s[0:1], s[48:49], s[0:1]
	s_and_saveexec_b64 s[48:49], s[2:3]
	s_cbranch_execz .LBB774_68
; %bb.70:                               ;   in Loop: Header=BB774_69 Depth=1
	s_add_u32 s44, s44, -1
	s_addc_u32 s45, s45, -1
	s_cmp_eq_u64 s[44:45], 0
	s_cselect_b64 s[2:3], -1, 0
	s_andn2_b64 s[42:43], s[42:43], exec
	s_and_b64 s[46:47], s[50:51], exec
	s_andn2_b64 s[40:41], s[40:41], exec
	s_and_b64 s[2:3], s[2:3], exec
	v_lshl_add_u64 v[4:5], v[4:5], 0, 8
	v_lshl_add_u64 v[6:7], v[6:7], 0, 8
	s_or_b64 s[42:43], s[42:43], s[46:47]
	s_andn2_b64 s[0:1], s[0:1], exec
	s_or_b64 s[40:41], s[40:41], s[2:3]
                                        ; implicit-def: $sgpr46_sgpr47
	s_branch .LBB774_68
.LBB774_71:
	s_or_b64 exec, exec, s[36:37]
	s_xor_b64 s[0:1], s[38:39], -1
	s_andn2_b64 s[2:3], s[26:27], exec
	s_and_b64 s[0:1], s[0:1], exec
	s_or_b64 s[26:27], s[2:3], s[0:1]
.LBB774_72:
	s_or_b64 exec, exec, s[34:35]
	s_orn2_b64 s[26:27], s[26:27], exec
.LBB774_73:
	s_or_b64 exec, exec, s[30:31]
	v_cndmask_b32_e64 v4, v12, v13, s[26:27]
	v_cndmask_b32_e64 v5, v24, v1, s[26:27]
	v_add_u32_e32 v6, 1, v4
	v_add_u32_e32 v4, -1, v5
	v_min_u32_e32 v4, v6, v4
	v_lshlrev_b32_e32 v4, 3, v4
	ds_read_b64 v[4:5], v4
	v_cndmask_b32_e64 v14, v6, v12, s[26:27]
	v_cndmask_b32_e64 v15, v13, v6, s[26:27]
	v_cmp_lt_u32_e32 vcc, v14, v24
	s_waitcnt lgkmcnt(0)
	v_cndmask_b32_e64 v10, v5, v8, s[26:27]
	v_cndmask_b32_e64 v30, v4, v28, s[26:27]
	;; [unrolled: 1-line block ×4, first 2 shown]
	s_and_saveexec_b64 s[30:31], vcc
	s_cbranch_execz .LBB774_81
; %bb.74:
	v_cmp_lt_u32_e64 s[28:29], v15, v1
	s_xor_b64 s[0:1], s[20:21], -1
	s_and_b64 s[0:1], s[28:29], s[0:1]
	s_and_saveexec_b64 s[34:35], s[0:1]
	s_cbranch_execz .LBB774_80
; %bb.75:
	v_mul_lo_u32 v6, v10, s16
	v_mul_lo_u32 v7, v30, s17
	v_mad_u64_u32 v[4:5], s[0:1], v30, s16, 0
	v_add3_u32 v5, v5, v7, v6
	v_mul_lo_u32 v12, v11, s16
	v_mul_lo_u32 v13, v31, s17
	v_mad_u64_u32 v[6:7], s[0:1], v31, s16, 0
	v_add3_u32 v7, v7, v13, v12
	v_lshl_add_u64 v[4:5], v[4:5], 3, s[18:19]
	v_lshl_add_u64 v[6:7], v[6:7], 3, s[18:19]
	s_mov_b64 s[36:37], 0
	s_mov_b64 s[44:45], s[16:17]
                                        ; implicit-def: $sgpr38_sgpr39
                                        ; implicit-def: $sgpr40_sgpr41
                                        ; implicit-def: $sgpr0_sgpr1
                                        ; implicit-def: $sgpr42_sgpr43
                                        ; implicit-def: $sgpr46_sgpr47
	s_branch .LBB774_77
.LBB774_76:                             ;   in Loop: Header=BB774_77 Depth=1
	s_or_b64 exec, exec, s[48:49]
	s_and_b64 s[2:3], exec, s[40:41]
	s_or_b64 s[36:37], s[2:3], s[36:37]
	s_andn2_b64 s[2:3], s[46:47], exec
	s_and_b64 s[46:47], s[42:43], exec
	s_or_b64 s[46:47], s[2:3], s[46:47]
	s_andn2_b64 s[2:3], s[38:39], exec
	s_and_b64 s[38:39], s[0:1], exec
	s_or_b64 s[38:39], s[2:3], s[38:39]
	s_andn2_b64 exec, exec, s[36:37]
	s_cbranch_execz .LBB774_79
.LBB774_77:                             ; =>This Inner Loop Header: Depth=1
	global_load_dwordx2 v[12:13], v[4:5], off
	global_load_dwordx2 v[32:33], v[6:7], off
	s_andn2_b64 s[48:49], s[0:1], exec
	s_andn2_b64 s[42:43], s[42:43], exec
	s_or_b64 s[40:41], s[40:41], exec
	s_waitcnt vmcnt(0)
	v_cmp_ngt_f64_e64 s[0:1], v[12:13], v[32:33]
	v_cmp_lt_f64_e32 vcc, v[12:13], v[32:33]
	s_and_b64 s[0:1], s[0:1], s[46:47]
	s_or_b64 s[50:51], vcc, s[0:1]
	s_and_b64 s[0:1], s[50:51], exec
	v_cmp_nlg_f64_e64 s[2:3], v[12:13], v[32:33]
	s_or_b64 s[0:1], s[48:49], s[0:1]
	s_and_saveexec_b64 s[48:49], s[2:3]
	s_cbranch_execz .LBB774_76
; %bb.78:                               ;   in Loop: Header=BB774_77 Depth=1
	s_add_u32 s44, s44, -1
	s_addc_u32 s45, s45, -1
	s_cmp_eq_u64 s[44:45], 0
	s_cselect_b64 s[2:3], -1, 0
	s_andn2_b64 s[42:43], s[42:43], exec
	s_and_b64 s[46:47], s[50:51], exec
	s_andn2_b64 s[40:41], s[40:41], exec
	s_and_b64 s[2:3], s[2:3], exec
	v_lshl_add_u64 v[4:5], v[4:5], 0, 8
	v_lshl_add_u64 v[6:7], v[6:7], 0, 8
	s_or_b64 s[42:43], s[42:43], s[46:47]
	s_andn2_b64 s[0:1], s[0:1], exec
	s_or_b64 s[40:41], s[40:41], s[2:3]
                                        ; implicit-def: $sgpr46_sgpr47
	s_branch .LBB774_76
.LBB774_79:
	s_or_b64 exec, exec, s[36:37]
	s_xor_b64 s[0:1], s[38:39], -1
	s_andn2_b64 s[2:3], s[28:29], exec
	s_and_b64 s[0:1], s[0:1], exec
	s_or_b64 s[28:29], s[2:3], s[0:1]
.LBB774_80:
	s_or_b64 exec, exec, s[34:35]
	s_orn2_b64 s[28:29], s[28:29], exec
.LBB774_81:
	s_or_b64 exec, exec, s[30:31]
	v_cndmask_b32_e64 v4, v14, v15, s[28:29]
	v_cndmask_b32_e64 v5, v24, v1, s[28:29]
	v_add_u32_e32 v6, 1, v4
	v_add_u32_e32 v4, -1, v5
	v_min_u32_e32 v4, v6, v4
	v_lshlrev_b32_e32 v4, 3, v4
	ds_read_b64 v[4:5], v4
	v_cndmask_b32_e64 v36, v6, v14, s[28:29]
	v_cndmask_b32_e64 v37, v15, v6, s[28:29]
	v_cmp_lt_u32_e32 vcc, v36, v24
	s_mov_b64 s[34:35], -1
	s_waitcnt lgkmcnt(0)
	v_cndmask_b32_e64 v12, v5, v10, s[28:29]
	v_cndmask_b32_e64 v32, v4, v30, s[28:29]
	v_cndmask_b32_e64 v13, v11, v5, s[28:29]
	v_cndmask_b32_e64 v33, v31, v4, s[28:29]
	s_mov_b64 s[30:31], -1
	s_and_saveexec_b64 s[36:37], vcc
	s_cbranch_execz .LBB774_89
; %bb.82:
	v_cmp_lt_u32_e64 s[30:31], v37, v1
	s_xor_b64 s[0:1], s[20:21], -1
	s_and_b64 s[0:1], s[30:31], s[0:1]
	s_and_saveexec_b64 s[38:39], s[0:1]
	s_cbranch_execz .LBB774_88
; %bb.83:
	v_mul_lo_u32 v6, v12, s16
	v_mul_lo_u32 v7, v32, s17
	v_mad_u64_u32 v[4:5], s[0:1], v32, s16, 0
	v_add3_u32 v5, v5, v7, v6
	v_mul_lo_u32 v14, v13, s16
	v_mul_lo_u32 v15, v33, s17
	v_mad_u64_u32 v[6:7], s[0:1], v33, s16, 0
	v_add3_u32 v7, v7, v15, v14
	v_lshl_add_u64 v[4:5], v[4:5], 3, s[18:19]
	v_lshl_add_u64 v[6:7], v[6:7], 3, s[18:19]
	s_mov_b64 s[40:41], 0
	s_mov_b64 s[48:49], s[16:17]
                                        ; implicit-def: $sgpr42_sgpr43
                                        ; implicit-def: $sgpr44_sgpr45
                                        ; implicit-def: $sgpr0_sgpr1
                                        ; implicit-def: $sgpr46_sgpr47
                                        ; implicit-def: $sgpr50_sgpr51
	s_branch .LBB774_85
.LBB774_84:                             ;   in Loop: Header=BB774_85 Depth=1
	s_or_b64 exec, exec, s[52:53]
	s_and_b64 s[2:3], exec, s[44:45]
	s_or_b64 s[40:41], s[2:3], s[40:41]
	s_andn2_b64 s[2:3], s[50:51], exec
	s_and_b64 s[50:51], s[46:47], exec
	s_or_b64 s[50:51], s[2:3], s[50:51]
	s_andn2_b64 s[2:3], s[42:43], exec
	s_and_b64 s[42:43], s[0:1], exec
	s_or_b64 s[42:43], s[2:3], s[42:43]
	s_andn2_b64 exec, exec, s[40:41]
	s_cbranch_execz .LBB774_87
.LBB774_85:                             ; =>This Inner Loop Header: Depth=1
	global_load_dwordx2 v[14:15], v[4:5], off
	global_load_dwordx2 v[34:35], v[6:7], off
	s_andn2_b64 s[52:53], s[0:1], exec
	s_andn2_b64 s[46:47], s[46:47], exec
	s_or_b64 s[44:45], s[44:45], exec
	s_waitcnt vmcnt(0)
	v_cmp_ngt_f64_e64 s[0:1], v[14:15], v[34:35]
	v_cmp_lt_f64_e32 vcc, v[14:15], v[34:35]
	s_and_b64 s[0:1], s[0:1], s[50:51]
	s_or_b64 s[54:55], vcc, s[0:1]
	s_and_b64 s[0:1], s[54:55], exec
	v_cmp_nlg_f64_e64 s[2:3], v[14:15], v[34:35]
	s_or_b64 s[0:1], s[52:53], s[0:1]
	s_and_saveexec_b64 s[52:53], s[2:3]
	s_cbranch_execz .LBB774_84
; %bb.86:                               ;   in Loop: Header=BB774_85 Depth=1
	s_add_u32 s48, s48, -1
	s_addc_u32 s49, s49, -1
	s_cmp_eq_u64 s[48:49], 0
	s_cselect_b64 s[2:3], -1, 0
	s_andn2_b64 s[46:47], s[46:47], exec
	s_and_b64 s[50:51], s[54:55], exec
	s_andn2_b64 s[44:45], s[44:45], exec
	s_and_b64 s[2:3], s[2:3], exec
	v_lshl_add_u64 v[4:5], v[4:5], 0, 8
	v_lshl_add_u64 v[6:7], v[6:7], 0, 8
	s_or_b64 s[46:47], s[46:47], s[50:51]
	s_andn2_b64 s[0:1], s[0:1], exec
	s_or_b64 s[44:45], s[44:45], s[2:3]
                                        ; implicit-def: $sgpr50_sgpr51
	s_branch .LBB774_84
.LBB774_87:
	s_or_b64 exec, exec, s[40:41]
	s_xor_b64 s[0:1], s[42:43], -1
	s_andn2_b64 s[2:3], s[30:31], exec
	s_and_b64 s[0:1], s[0:1], exec
	s_or_b64 s[30:31], s[2:3], s[0:1]
.LBB774_88:
	s_or_b64 exec, exec, s[38:39]
	s_orn2_b64 s[30:31], s[30:31], exec
.LBB774_89:
	s_or_b64 exec, exec, s[36:37]
	v_cndmask_b32_e64 v4, v36, v37, s[30:31]
	v_cndmask_b32_e64 v5, v24, v1, s[30:31]
	v_add_u32_e32 v6, 1, v4
	v_add_u32_e32 v4, -1, v5
	v_min_u32_e32 v4, v6, v4
	v_lshlrev_b32_e32 v4, 3, v4
	ds_read_b64 v[4:5], v4
	v_cndmask_b32_e64 v41, v6, v36, s[30:31]
	v_cndmask_b32_e64 v40, v37, v6, s[30:31]
	v_cmp_lt_u32_e32 vcc, v41, v24
	s_waitcnt lgkmcnt(0)
	v_cndmask_b32_e64 v14, v5, v12, s[30:31]
	v_cndmask_b32_e64 v34, v4, v32, s[30:31]
	;; [unrolled: 1-line block ×4, first 2 shown]
	s_and_saveexec_b64 s[36:37], vcc
	s_cbranch_execz .LBB774_97
; %bb.90:
	v_cmp_lt_u32_e64 s[34:35], v40, v1
	s_xor_b64 s[0:1], s[20:21], -1
	s_and_b64 s[0:1], s[34:35], s[0:1]
	s_and_saveexec_b64 s[38:39], s[0:1]
	s_cbranch_execz .LBB774_96
; %bb.91:
	v_mul_lo_u32 v6, v14, s16
	v_mul_lo_u32 v7, v34, s17
	v_mad_u64_u32 v[4:5], s[0:1], v34, s16, 0
	v_add3_u32 v5, v5, v7, v6
	v_mul_lo_u32 v36, v15, s16
	v_mul_lo_u32 v37, v35, s17
	v_mad_u64_u32 v[6:7], s[0:1], v35, s16, 0
	v_add3_u32 v7, v7, v37, v36
	v_lshl_add_u64 v[4:5], v[4:5], 3, s[18:19]
	v_lshl_add_u64 v[6:7], v[6:7], 3, s[18:19]
	s_mov_b64 s[40:41], 0
	s_mov_b64 s[48:49], s[16:17]
                                        ; implicit-def: $sgpr42_sgpr43
                                        ; implicit-def: $sgpr44_sgpr45
                                        ; implicit-def: $sgpr0_sgpr1
                                        ; implicit-def: $sgpr46_sgpr47
                                        ; implicit-def: $sgpr50_sgpr51
	s_branch .LBB774_93
.LBB774_92:                             ;   in Loop: Header=BB774_93 Depth=1
	s_or_b64 exec, exec, s[52:53]
	s_and_b64 s[2:3], exec, s[44:45]
	s_or_b64 s[40:41], s[2:3], s[40:41]
	s_andn2_b64 s[2:3], s[50:51], exec
	s_and_b64 s[50:51], s[46:47], exec
	s_or_b64 s[50:51], s[2:3], s[50:51]
	s_andn2_b64 s[2:3], s[42:43], exec
	s_and_b64 s[42:43], s[0:1], exec
	s_or_b64 s[42:43], s[2:3], s[42:43]
	s_andn2_b64 exec, exec, s[40:41]
	s_cbranch_execz .LBB774_95
.LBB774_93:                             ; =>This Inner Loop Header: Depth=1
	global_load_dwordx2 v[36:37], v[4:5], off
	global_load_dwordx2 v[38:39], v[6:7], off
	s_andn2_b64 s[52:53], s[0:1], exec
	s_andn2_b64 s[46:47], s[46:47], exec
	s_or_b64 s[44:45], s[44:45], exec
	s_waitcnt vmcnt(0)
	v_cmp_ngt_f64_e64 s[0:1], v[36:37], v[38:39]
	v_cmp_lt_f64_e32 vcc, v[36:37], v[38:39]
	s_and_b64 s[0:1], s[0:1], s[50:51]
	s_or_b64 s[54:55], vcc, s[0:1]
	s_and_b64 s[0:1], s[54:55], exec
	v_cmp_nlg_f64_e64 s[2:3], v[36:37], v[38:39]
	s_or_b64 s[0:1], s[52:53], s[0:1]
	s_and_saveexec_b64 s[52:53], s[2:3]
	s_cbranch_execz .LBB774_92
; %bb.94:                               ;   in Loop: Header=BB774_93 Depth=1
	s_add_u32 s48, s48, -1
	s_addc_u32 s49, s49, -1
	s_cmp_eq_u64 s[48:49], 0
	s_cselect_b64 s[2:3], -1, 0
	s_andn2_b64 s[46:47], s[46:47], exec
	s_and_b64 s[50:51], s[54:55], exec
	s_andn2_b64 s[44:45], s[44:45], exec
	s_and_b64 s[2:3], s[2:3], exec
	v_lshl_add_u64 v[4:5], v[4:5], 0, 8
	v_lshl_add_u64 v[6:7], v[6:7], 0, 8
	s_or_b64 s[46:47], s[46:47], s[50:51]
	s_andn2_b64 s[0:1], s[0:1], exec
	s_or_b64 s[44:45], s[44:45], s[2:3]
                                        ; implicit-def: $sgpr50_sgpr51
	s_branch .LBB774_92
.LBB774_95:
	s_or_b64 exec, exec, s[40:41]
	s_xor_b64 s[0:1], s[42:43], -1
	s_andn2_b64 s[2:3], s[34:35], exec
	s_and_b64 s[0:1], s[0:1], exec
	s_or_b64 s[34:35], s[2:3], s[0:1]
.LBB774_96:
	s_or_b64 exec, exec, s[38:39]
	s_orn2_b64 s[34:35], s[34:35], exec
.LBB774_97:
	s_or_b64 exec, exec, s[36:37]
	v_cndmask_b32_e64 v4, v41, v40, s[34:35]
	v_cndmask_b32_e64 v5, v24, v1, s[34:35]
	v_add_u32_e32 v4, 1, v4
	v_add_u32_e32 v5, -1, v5
	v_min_u32_e32 v5, v4, v5
	v_lshlrev_b32_e32 v5, 3, v5
	ds_read_b64 v[6:7], v5
	v_cndmask_b32_e64 v5, v4, v41, s[34:35]
	v_cmp_lt_u32_e32 vcc, v5, v24
	s_mov_b64 s[0:1], -1
	s_waitcnt lgkmcnt(0)
	v_cndmask_b32_e64 v36, v7, v14, s[34:35]
	v_cndmask_b32_e64 v37, v6, v34, s[34:35]
	;; [unrolled: 1-line block ×4, first 2 shown]
	s_and_saveexec_b64 s[36:37], vcc
	s_cbranch_execz .LBB774_105
; %bb.98:
	v_cndmask_b32_e64 v4, v40, v4, s[34:35]
	v_cmp_lt_u32_e64 s[38:39], v4, v1
	s_xor_b64 s[0:1], s[20:21], -1
	s_and_b64 s[0:1], s[38:39], s[0:1]
	s_and_saveexec_b64 s[20:21], s[0:1]
	s_cbranch_execz .LBB774_104
; %bb.99:
	v_mul_lo_u32 v1, v36, s16
	v_mul_lo_u32 v6, v37, s17
	v_mad_u64_u32 v[4:5], s[0:1], v37, s16, 0
	v_add3_u32 v5, v5, v6, v1
	v_mul_lo_u32 v1, v38, s16
	v_mul_lo_u32 v24, v39, s17
	v_mad_u64_u32 v[6:7], s[0:1], v39, s16, 0
	v_add3_u32 v7, v7, v24, v1
	v_lshl_add_u64 v[4:5], v[4:5], 3, s[18:19]
	v_lshl_add_u64 v[6:7], v[6:7], 3, s[18:19]
	s_mov_b64 s[18:19], 0
                                        ; implicit-def: $sgpr40_sgpr41
                                        ; implicit-def: $sgpr42_sgpr43
                                        ; implicit-def: $sgpr0_sgpr1
                                        ; implicit-def: $sgpr44_sgpr45
                                        ; implicit-def: $sgpr46_sgpr47
	s_branch .LBB774_101
.LBB774_100:                            ;   in Loop: Header=BB774_101 Depth=1
	s_or_b64 exec, exec, s[48:49]
	s_and_b64 s[2:3], exec, s[42:43]
	s_or_b64 s[18:19], s[2:3], s[18:19]
	s_andn2_b64 s[2:3], s[46:47], exec
	s_and_b64 s[46:47], s[44:45], exec
	s_or_b64 s[46:47], s[2:3], s[46:47]
	s_andn2_b64 s[2:3], s[40:41], exec
	s_and_b64 s[40:41], s[0:1], exec
	s_or_b64 s[40:41], s[2:3], s[40:41]
	s_andn2_b64 exec, exec, s[18:19]
	s_cbranch_execz .LBB774_103
.LBB774_101:                            ; =>This Inner Loop Header: Depth=1
	global_load_dwordx2 v[40:41], v[4:5], off
	global_load_dwordx2 v[42:43], v[6:7], off
	s_andn2_b64 s[48:49], s[0:1], exec
	s_andn2_b64 s[44:45], s[44:45], exec
	s_or_b64 s[42:43], s[42:43], exec
	s_waitcnt vmcnt(0)
	v_cmp_ngt_f64_e64 s[0:1], v[40:41], v[42:43]
	v_cmp_lt_f64_e32 vcc, v[40:41], v[42:43]
	s_and_b64 s[0:1], s[0:1], s[46:47]
	s_or_b64 s[50:51], vcc, s[0:1]
	s_and_b64 s[0:1], s[50:51], exec
	v_cmp_nlg_f64_e64 s[2:3], v[40:41], v[42:43]
	s_or_b64 s[0:1], s[48:49], s[0:1]
	s_and_saveexec_b64 s[48:49], s[2:3]
	s_cbranch_execz .LBB774_100
; %bb.102:                              ;   in Loop: Header=BB774_101 Depth=1
	s_add_u32 s16, s16, -1
	s_addc_u32 s17, s17, -1
	s_cmp_eq_u64 s[16:17], 0
	s_cselect_b64 s[2:3], -1, 0
	s_andn2_b64 s[44:45], s[44:45], exec
	s_and_b64 s[46:47], s[50:51], exec
	s_andn2_b64 s[42:43], s[42:43], exec
	s_and_b64 s[2:3], s[2:3], exec
	v_lshl_add_u64 v[4:5], v[4:5], 0, 8
	v_lshl_add_u64 v[6:7], v[6:7], 0, 8
	s_or_b64 s[44:45], s[44:45], s[46:47]
	s_andn2_b64 s[0:1], s[0:1], exec
	s_or_b64 s[42:43], s[42:43], s[2:3]
                                        ; implicit-def: $sgpr46_sgpr47
	s_branch .LBB774_100
.LBB774_103:
	s_or_b64 exec, exec, s[18:19]
	s_xor_b64 s[0:1], s[40:41], -1
	s_andn2_b64 s[2:3], s[38:39], exec
	s_and_b64 s[0:1], s[0:1], exec
	s_or_b64 s[38:39], s[2:3], s[0:1]
.LBB774_104:
	s_or_b64 exec, exec, s[20:21]
	s_orn2_b64 s[0:1], s[38:39], exec
.LBB774_105:
	s_or_b64 exec, exec, s[36:37]
	v_cndmask_b32_e64 v15, v14, v15, s[34:35]
	v_cndmask_b32_e64 v14, v34, v35, s[34:35]
	v_cndmask_b32_e64 v13, v12, v13, s[30:31]
	v_cndmask_b32_e64 v12, v32, v33, s[30:31]
	v_cndmask_b32_e64 v11, v10, v11, s[28:29]
	v_cndmask_b32_e64 v10, v30, v31, s[28:29]
	v_cndmask_b32_e64 v9, v8, v9, s[26:27]
	v_cndmask_b32_e64 v8, v28, v29, s[26:27]
	v_cndmask_b32_e64 v7, v23, v26, s[22:23]
	v_cndmask_b32_e64 v6, v25, v27, s[22:23]
	v_cndmask_b32_e64 v5, v19, v21, s[24:25]
	v_cndmask_b32_e64 v4, v20, v22, s[24:25]
	v_cndmask_b32_e64 v3, v17, v3, s[12:13]
	v_cndmask_b32_e64 v2, v16, v2, s[12:13]
	v_cndmask_b32_e64 v17, v36, v38, s[0:1]
	v_cndmask_b32_e64 v16, v37, v39, s[0:1]
.LBB774_106:
	s_or_b64 exec, exec, s[4:5]
	v_lshrrev_b32_e32 v1, 2, v0
	v_lshlrev_b32_e32 v19, 3, v18
	v_lshl_add_u32 v19, v1, 3, v19
	v_and_b32_e32 v1, 24, v1
	v_or_b32_e32 v25, 0x80, v0
	v_add_u32_e32 v26, v18, v1
	v_lshrrev_b32_e32 v1, 2, v25
	v_and_b32_e32 v1, 56, v1
	v_or_b32_e32 v24, 0x100, v0
	s_barrier
	s_barrier
	ds_write2_b64 v19, v[2:3], v[4:5] offset1:1
	ds_write2_b64 v19, v[6:7], v[8:9] offset0:2 offset1:3
	ds_write2_b64 v19, v[10:11], v[12:13] offset0:4 offset1:5
	;; [unrolled: 1-line block ×3, first 2 shown]
	v_add_u32_e32 v6, v18, v1
	v_lshrrev_b32_e32 v1, 2, v24
	v_and_b32_e32 v1, 0x58, v1
	v_or_b32_e32 v23, 0x180, v0
	v_add_u32_e32 v7, v18, v1
	v_lshrrev_b32_e32 v1, 2, v23
	v_and_b32_e32 v1, 0x78, v1
	v_or_b32_e32 v22, 0x200, v0
	;; [unrolled: 4-line block ×4, first 2 shown]
	v_add_u32_e32 v27, v18, v1
	v_lshrrev_b32_e32 v1, 2, v20
	v_and_b32_e32 v1, 0xd8, v1
	s_lshl_b64 s[0:1], s[6:7], 3
	v_add_u32_e32 v28, v18, v1
	v_or_b32_e32 v1, 0x380, v0
	s_add_u32 s0, s14, s0
	v_lshrrev_b32_e32 v2, 2, v1
	s_addc_u32 s1, s15, s1
	v_and_b32_e32 v2, 0xf8, v2
	v_mov_b32_e32 v19, 0
	v_add_u32_e32 v29, v18, v2
	v_lshl_add_u64 v[2:3], s[0:1], 0, v[18:19]
	s_and_b64 vcc, exec, s[10:11]
	s_waitcnt lgkmcnt(0)
	s_cbranch_vccz .LBB774_108
; %bb.107:
	s_barrier
	ds_read_b64 v[10:11], v26
	ds_read_b64 v[12:13], v6 offset:1024
	ds_read_b64 v[14:15], v7 offset:2048
	;; [unrolled: 1-line block ×7, first 2 shown]
	s_waitcnt lgkmcnt(7)
	global_store_dwordx2 v[2:3], v[10:11], off
	s_waitcnt lgkmcnt(6)
	global_store_dwordx2 v[2:3], v[12:13], off offset:1024
	s_waitcnt lgkmcnt(5)
	global_store_dwordx2 v[2:3], v[14:15], off offset:2048
	;; [unrolled: 2-line block ×3, first 2 shown]
	v_add_co_u32_e32 v10, vcc, 0x1000, v2
	s_nop 1
	v_addc_co_u32_e32 v11, vcc, 0, v3, vcc
	s_waitcnt lgkmcnt(3)
	global_store_dwordx2 v[10:11], v[18:19], off
	s_waitcnt lgkmcnt(2)
	global_store_dwordx2 v[10:11], v[30:31], off offset:1024
	s_waitcnt lgkmcnt(1)
	global_store_dwordx2 v[10:11], v[32:33], off offset:2048
	s_mov_b64 s[0:1], -1
	s_cbranch_execz .LBB774_109
	s_branch .LBB774_118
.LBB774_108:
	s_mov_b64 s[0:1], 0
                                        ; implicit-def: $vgpr4_vgpr5
.LBB774_109:
	s_barrier
	s_waitcnt lgkmcnt(0)
	ds_read_b64 v[16:17], v6 offset:1024
	ds_read_b64 v[14:15], v7 offset:2048
	;; [unrolled: 1-line block ×7, first 2 shown]
	s_sub_i32 s2, s8, s6
	v_cmp_gt_u32_e32 vcc, s2, v0
	s_and_saveexec_b64 s[0:1], vcc
	s_cbranch_execnz .LBB774_121
; %bb.110:
	s_or_b64 exec, exec, s[0:1]
	v_cmp_gt_u32_e32 vcc, s2, v25
	s_and_saveexec_b64 s[0:1], vcc
	s_cbranch_execnz .LBB774_122
.LBB774_111:
	s_or_b64 exec, exec, s[0:1]
	v_cmp_gt_u32_e32 vcc, s2, v24
	s_and_saveexec_b64 s[0:1], vcc
	s_cbranch_execnz .LBB774_123
.LBB774_112:
	s_or_b64 exec, exec, s[0:1]
	v_cmp_gt_u32_e32 vcc, s2, v23
	s_and_saveexec_b64 s[0:1], vcc
	s_cbranch_execnz .LBB774_124
.LBB774_113:
	s_or_b64 exec, exec, s[0:1]
	v_cmp_gt_u32_e32 vcc, s2, v22
	s_and_saveexec_b64 s[0:1], vcc
	s_cbranch_execnz .LBB774_125
.LBB774_114:
	s_or_b64 exec, exec, s[0:1]
	v_cmp_gt_u32_e32 vcc, s2, v21
	s_and_saveexec_b64 s[0:1], vcc
	s_cbranch_execnz .LBB774_126
.LBB774_115:
	s_or_b64 exec, exec, s[0:1]
	v_cmp_gt_u32_e32 vcc, s2, v20
	s_and_saveexec_b64 s[0:1], vcc
	s_cbranch_execz .LBB774_117
.LBB774_116:
	s_waitcnt lgkmcnt(2)
	v_add_co_u32_e32 v8, vcc, 0x1000, v2
	s_nop 1
	v_addc_co_u32_e32 v9, vcc, 0, v3, vcc
	s_waitcnt lgkmcnt(1)
	global_store_dwordx2 v[8:9], v[6:7], off offset:2048
.LBB774_117:
	s_or_b64 exec, exec, s[0:1]
	v_cmp_gt_u32_e64 s[0:1], s2, v1
.LBB774_118:
	s_and_saveexec_b64 s[2:3], s[0:1]
	s_cbranch_execz .LBB774_120
; %bb.119:
	v_add_co_u32_e32 v0, vcc, 0x1000, v2
	s_nop 1
	v_addc_co_u32_e32 v1, vcc, 0, v3, vcc
	s_waitcnt lgkmcnt(0)
	global_store_dwordx2 v[0:1], v[4:5], off offset:3072
.LBB774_120:
	s_endpgm
.LBB774_121:
	ds_read_b64 v[18:19], v26
	s_waitcnt lgkmcnt(0)
	global_store_dwordx2 v[2:3], v[18:19], off
	s_or_b64 exec, exec, s[0:1]
	v_cmp_gt_u32_e32 vcc, s2, v25
	s_and_saveexec_b64 s[0:1], vcc
	s_cbranch_execz .LBB774_111
.LBB774_122:
	s_waitcnt lgkmcnt(6)
	global_store_dwordx2 v[2:3], v[16:17], off offset:1024
	s_or_b64 exec, exec, s[0:1]
	v_cmp_gt_u32_e32 vcc, s2, v24
	s_and_saveexec_b64 s[0:1], vcc
	s_cbranch_execz .LBB774_112
.LBB774_123:
	s_waitcnt lgkmcnt(5)
	global_store_dwordx2 v[2:3], v[14:15], off offset:2048
	s_or_b64 exec, exec, s[0:1]
	v_cmp_gt_u32_e32 vcc, s2, v23
	s_and_saveexec_b64 s[0:1], vcc
	s_cbranch_execz .LBB774_113
.LBB774_124:
	s_waitcnt lgkmcnt(4)
	global_store_dwordx2 v[2:3], v[12:13], off offset:3072
	s_or_b64 exec, exec, s[0:1]
	v_cmp_gt_u32_e32 vcc, s2, v22
	s_and_saveexec_b64 s[0:1], vcc
	s_cbranch_execz .LBB774_114
.LBB774_125:
	s_waitcnt lgkmcnt(4)
	v_add_co_u32_e32 v12, vcc, 0x1000, v2
	s_nop 1
	v_addc_co_u32_e32 v13, vcc, 0, v3, vcc
	s_waitcnt lgkmcnt(3)
	global_store_dwordx2 v[12:13], v[10:11], off
	s_or_b64 exec, exec, s[0:1]
	v_cmp_gt_u32_e32 vcc, s2, v21
	s_and_saveexec_b64 s[0:1], vcc
	s_cbranch_execz .LBB774_115
.LBB774_126:
	s_waitcnt lgkmcnt(3)
	v_add_co_u32_e32 v10, vcc, 0x1000, v2
	s_nop 1
	v_addc_co_u32_e32 v11, vcc, 0, v3, vcc
	s_waitcnt lgkmcnt(2)
	global_store_dwordx2 v[10:11], v[8:9], off offset:1024
	s_or_b64 exec, exec, s[0:1]
	v_cmp_gt_u32_e32 vcc, s2, v20
	s_and_saveexec_b64 s[0:1], vcc
	s_cbranch_execnz .LBB774_116
	s_branch .LBB774_117
	.section	.rodata,"a",@progbits
	.p2align	6, 0x0
	.amdhsa_kernel _ZN7rocprim17ROCPRIM_400000_NS6detail17trampoline_kernelINS0_14default_configENS1_38merge_sort_block_merge_config_selectorIlNS0_10empty_typeEEEZZNS1_27merge_sort_block_merge_implIS3_PlPS5_mZN2at6native12_GLOBAL__N_124unique_dim_cuda_templateIdEESt5tupleIJNSA_6TensorESF_SF_EERKSF_lbbbEUlllE_EE10hipError_tT0_T1_T2_jT3_P12ihipStream_tbPNSt15iterator_traitsISL_E10value_typeEPNSR_ISM_E10value_typeEPSN_NS1_7vsmem_tEENKUlT_SL_SM_SN_E_clIS8_S8_S9_S9_EESK_S10_SL_SM_SN_EUlS10_E0_NS1_11comp_targetILNS1_3genE5ELNS1_11target_archE942ELNS1_3gpuE9ELNS1_3repE0EEENS1_38merge_mergepath_config_static_selectorELNS0_4arch9wavefront6targetE1EEEvSM_
		.amdhsa_group_segment_fixed_size 8448
		.amdhsa_private_segment_fixed_size 0
		.amdhsa_kernarg_size 344
		.amdhsa_user_sgpr_count 2
		.amdhsa_user_sgpr_dispatch_ptr 0
		.amdhsa_user_sgpr_queue_ptr 0
		.amdhsa_user_sgpr_kernarg_segment_ptr 1
		.amdhsa_user_sgpr_dispatch_id 0
		.amdhsa_user_sgpr_kernarg_preload_length 0
		.amdhsa_user_sgpr_kernarg_preload_offset 0
		.amdhsa_user_sgpr_private_segment_size 0
		.amdhsa_uses_dynamic_stack 0
		.amdhsa_enable_private_segment 0
		.amdhsa_system_sgpr_workgroup_id_x 1
		.amdhsa_system_sgpr_workgroup_id_y 1
		.amdhsa_system_sgpr_workgroup_id_z 1
		.amdhsa_system_sgpr_workgroup_info 0
		.amdhsa_system_vgpr_workitem_id 0
		.amdhsa_next_free_vgpr 44
		.amdhsa_next_free_sgpr 56
		.amdhsa_accum_offset 44
		.amdhsa_reserve_vcc 1
		.amdhsa_float_round_mode_32 0
		.amdhsa_float_round_mode_16_64 0
		.amdhsa_float_denorm_mode_32 3
		.amdhsa_float_denorm_mode_16_64 3
		.amdhsa_dx10_clamp 1
		.amdhsa_ieee_mode 1
		.amdhsa_fp16_overflow 0
		.amdhsa_tg_split 0
		.amdhsa_exception_fp_ieee_invalid_op 0
		.amdhsa_exception_fp_denorm_src 0
		.amdhsa_exception_fp_ieee_div_zero 0
		.amdhsa_exception_fp_ieee_overflow 0
		.amdhsa_exception_fp_ieee_underflow 0
		.amdhsa_exception_fp_ieee_inexact 0
		.amdhsa_exception_int_div_zero 0
	.end_amdhsa_kernel
	.section	.text._ZN7rocprim17ROCPRIM_400000_NS6detail17trampoline_kernelINS0_14default_configENS1_38merge_sort_block_merge_config_selectorIlNS0_10empty_typeEEEZZNS1_27merge_sort_block_merge_implIS3_PlPS5_mZN2at6native12_GLOBAL__N_124unique_dim_cuda_templateIdEESt5tupleIJNSA_6TensorESF_SF_EERKSF_lbbbEUlllE_EE10hipError_tT0_T1_T2_jT3_P12ihipStream_tbPNSt15iterator_traitsISL_E10value_typeEPNSR_ISM_E10value_typeEPSN_NS1_7vsmem_tEENKUlT_SL_SM_SN_E_clIS8_S8_S9_S9_EESK_S10_SL_SM_SN_EUlS10_E0_NS1_11comp_targetILNS1_3genE5ELNS1_11target_archE942ELNS1_3gpuE9ELNS1_3repE0EEENS1_38merge_mergepath_config_static_selectorELNS0_4arch9wavefront6targetE1EEEvSM_,"axG",@progbits,_ZN7rocprim17ROCPRIM_400000_NS6detail17trampoline_kernelINS0_14default_configENS1_38merge_sort_block_merge_config_selectorIlNS0_10empty_typeEEEZZNS1_27merge_sort_block_merge_implIS3_PlPS5_mZN2at6native12_GLOBAL__N_124unique_dim_cuda_templateIdEESt5tupleIJNSA_6TensorESF_SF_EERKSF_lbbbEUlllE_EE10hipError_tT0_T1_T2_jT3_P12ihipStream_tbPNSt15iterator_traitsISL_E10value_typeEPNSR_ISM_E10value_typeEPSN_NS1_7vsmem_tEENKUlT_SL_SM_SN_E_clIS8_S8_S9_S9_EESK_S10_SL_SM_SN_EUlS10_E0_NS1_11comp_targetILNS1_3genE5ELNS1_11target_archE942ELNS1_3gpuE9ELNS1_3repE0EEENS1_38merge_mergepath_config_static_selectorELNS0_4arch9wavefront6targetE1EEEvSM_,comdat
.Lfunc_end774:
	.size	_ZN7rocprim17ROCPRIM_400000_NS6detail17trampoline_kernelINS0_14default_configENS1_38merge_sort_block_merge_config_selectorIlNS0_10empty_typeEEEZZNS1_27merge_sort_block_merge_implIS3_PlPS5_mZN2at6native12_GLOBAL__N_124unique_dim_cuda_templateIdEESt5tupleIJNSA_6TensorESF_SF_EERKSF_lbbbEUlllE_EE10hipError_tT0_T1_T2_jT3_P12ihipStream_tbPNSt15iterator_traitsISL_E10value_typeEPNSR_ISM_E10value_typeEPSN_NS1_7vsmem_tEENKUlT_SL_SM_SN_E_clIS8_S8_S9_S9_EESK_S10_SL_SM_SN_EUlS10_E0_NS1_11comp_targetILNS1_3genE5ELNS1_11target_archE942ELNS1_3gpuE9ELNS1_3repE0EEENS1_38merge_mergepath_config_static_selectorELNS0_4arch9wavefront6targetE1EEEvSM_, .Lfunc_end774-_ZN7rocprim17ROCPRIM_400000_NS6detail17trampoline_kernelINS0_14default_configENS1_38merge_sort_block_merge_config_selectorIlNS0_10empty_typeEEEZZNS1_27merge_sort_block_merge_implIS3_PlPS5_mZN2at6native12_GLOBAL__N_124unique_dim_cuda_templateIdEESt5tupleIJNSA_6TensorESF_SF_EERKSF_lbbbEUlllE_EE10hipError_tT0_T1_T2_jT3_P12ihipStream_tbPNSt15iterator_traitsISL_E10value_typeEPNSR_ISM_E10value_typeEPSN_NS1_7vsmem_tEENKUlT_SL_SM_SN_E_clIS8_S8_S9_S9_EESK_S10_SL_SM_SN_EUlS10_E0_NS1_11comp_targetILNS1_3genE5ELNS1_11target_archE942ELNS1_3gpuE9ELNS1_3repE0EEENS1_38merge_mergepath_config_static_selectorELNS0_4arch9wavefront6targetE1EEEvSM_
                                        ; -- End function
	.section	.AMDGPU.csdata,"",@progbits
; Kernel info:
; codeLenInByte = 6608
; NumSgprs: 62
; NumVgprs: 44
; NumAgprs: 0
; TotalNumVgprs: 44
; ScratchSize: 0
; MemoryBound: 0
; FloatMode: 240
; IeeeMode: 1
; LDSByteSize: 8448 bytes/workgroup (compile time only)
; SGPRBlocks: 7
; VGPRBlocks: 5
; NumSGPRsForWavesPerEU: 62
; NumVGPRsForWavesPerEU: 44
; AccumOffset: 44
; Occupancy: 4
; WaveLimiterHint : 1
; COMPUTE_PGM_RSRC2:SCRATCH_EN: 0
; COMPUTE_PGM_RSRC2:USER_SGPR: 2
; COMPUTE_PGM_RSRC2:TRAP_HANDLER: 0
; COMPUTE_PGM_RSRC2:TGID_X_EN: 1
; COMPUTE_PGM_RSRC2:TGID_Y_EN: 1
; COMPUTE_PGM_RSRC2:TGID_Z_EN: 1
; COMPUTE_PGM_RSRC2:TIDIG_COMP_CNT: 0
; COMPUTE_PGM_RSRC3_GFX90A:ACCUM_OFFSET: 10
; COMPUTE_PGM_RSRC3_GFX90A:TG_SPLIT: 0
	.section	.text._ZN7rocprim17ROCPRIM_400000_NS6detail17trampoline_kernelINS0_14default_configENS1_38merge_sort_block_merge_config_selectorIlNS0_10empty_typeEEEZZNS1_27merge_sort_block_merge_implIS3_PlPS5_mZN2at6native12_GLOBAL__N_124unique_dim_cuda_templateIdEESt5tupleIJNSA_6TensorESF_SF_EERKSF_lbbbEUlllE_EE10hipError_tT0_T1_T2_jT3_P12ihipStream_tbPNSt15iterator_traitsISL_E10value_typeEPNSR_ISM_E10value_typeEPSN_NS1_7vsmem_tEENKUlT_SL_SM_SN_E_clIS8_S8_S9_S9_EESK_S10_SL_SM_SN_EUlS10_E0_NS1_11comp_targetILNS1_3genE4ELNS1_11target_archE910ELNS1_3gpuE8ELNS1_3repE0EEENS1_38merge_mergepath_config_static_selectorELNS0_4arch9wavefront6targetE1EEEvSM_,"axG",@progbits,_ZN7rocprim17ROCPRIM_400000_NS6detail17trampoline_kernelINS0_14default_configENS1_38merge_sort_block_merge_config_selectorIlNS0_10empty_typeEEEZZNS1_27merge_sort_block_merge_implIS3_PlPS5_mZN2at6native12_GLOBAL__N_124unique_dim_cuda_templateIdEESt5tupleIJNSA_6TensorESF_SF_EERKSF_lbbbEUlllE_EE10hipError_tT0_T1_T2_jT3_P12ihipStream_tbPNSt15iterator_traitsISL_E10value_typeEPNSR_ISM_E10value_typeEPSN_NS1_7vsmem_tEENKUlT_SL_SM_SN_E_clIS8_S8_S9_S9_EESK_S10_SL_SM_SN_EUlS10_E0_NS1_11comp_targetILNS1_3genE4ELNS1_11target_archE910ELNS1_3gpuE8ELNS1_3repE0EEENS1_38merge_mergepath_config_static_selectorELNS0_4arch9wavefront6targetE1EEEvSM_,comdat
	.globl	_ZN7rocprim17ROCPRIM_400000_NS6detail17trampoline_kernelINS0_14default_configENS1_38merge_sort_block_merge_config_selectorIlNS0_10empty_typeEEEZZNS1_27merge_sort_block_merge_implIS3_PlPS5_mZN2at6native12_GLOBAL__N_124unique_dim_cuda_templateIdEESt5tupleIJNSA_6TensorESF_SF_EERKSF_lbbbEUlllE_EE10hipError_tT0_T1_T2_jT3_P12ihipStream_tbPNSt15iterator_traitsISL_E10value_typeEPNSR_ISM_E10value_typeEPSN_NS1_7vsmem_tEENKUlT_SL_SM_SN_E_clIS8_S8_S9_S9_EESK_S10_SL_SM_SN_EUlS10_E0_NS1_11comp_targetILNS1_3genE4ELNS1_11target_archE910ELNS1_3gpuE8ELNS1_3repE0EEENS1_38merge_mergepath_config_static_selectorELNS0_4arch9wavefront6targetE1EEEvSM_ ; -- Begin function _ZN7rocprim17ROCPRIM_400000_NS6detail17trampoline_kernelINS0_14default_configENS1_38merge_sort_block_merge_config_selectorIlNS0_10empty_typeEEEZZNS1_27merge_sort_block_merge_implIS3_PlPS5_mZN2at6native12_GLOBAL__N_124unique_dim_cuda_templateIdEESt5tupleIJNSA_6TensorESF_SF_EERKSF_lbbbEUlllE_EE10hipError_tT0_T1_T2_jT3_P12ihipStream_tbPNSt15iterator_traitsISL_E10value_typeEPNSR_ISM_E10value_typeEPSN_NS1_7vsmem_tEENKUlT_SL_SM_SN_E_clIS8_S8_S9_S9_EESK_S10_SL_SM_SN_EUlS10_E0_NS1_11comp_targetILNS1_3genE4ELNS1_11target_archE910ELNS1_3gpuE8ELNS1_3repE0EEENS1_38merge_mergepath_config_static_selectorELNS0_4arch9wavefront6targetE1EEEvSM_
	.p2align	8
	.type	_ZN7rocprim17ROCPRIM_400000_NS6detail17trampoline_kernelINS0_14default_configENS1_38merge_sort_block_merge_config_selectorIlNS0_10empty_typeEEEZZNS1_27merge_sort_block_merge_implIS3_PlPS5_mZN2at6native12_GLOBAL__N_124unique_dim_cuda_templateIdEESt5tupleIJNSA_6TensorESF_SF_EERKSF_lbbbEUlllE_EE10hipError_tT0_T1_T2_jT3_P12ihipStream_tbPNSt15iterator_traitsISL_E10value_typeEPNSR_ISM_E10value_typeEPSN_NS1_7vsmem_tEENKUlT_SL_SM_SN_E_clIS8_S8_S9_S9_EESK_S10_SL_SM_SN_EUlS10_E0_NS1_11comp_targetILNS1_3genE4ELNS1_11target_archE910ELNS1_3gpuE8ELNS1_3repE0EEENS1_38merge_mergepath_config_static_selectorELNS0_4arch9wavefront6targetE1EEEvSM_,@function
_ZN7rocprim17ROCPRIM_400000_NS6detail17trampoline_kernelINS0_14default_configENS1_38merge_sort_block_merge_config_selectorIlNS0_10empty_typeEEEZZNS1_27merge_sort_block_merge_implIS3_PlPS5_mZN2at6native12_GLOBAL__N_124unique_dim_cuda_templateIdEESt5tupleIJNSA_6TensorESF_SF_EERKSF_lbbbEUlllE_EE10hipError_tT0_T1_T2_jT3_P12ihipStream_tbPNSt15iterator_traitsISL_E10value_typeEPNSR_ISM_E10value_typeEPSN_NS1_7vsmem_tEENKUlT_SL_SM_SN_E_clIS8_S8_S9_S9_EESK_S10_SL_SM_SN_EUlS10_E0_NS1_11comp_targetILNS1_3genE4ELNS1_11target_archE910ELNS1_3gpuE8ELNS1_3repE0EEENS1_38merge_mergepath_config_static_selectorELNS0_4arch9wavefront6targetE1EEEvSM_: ; @_ZN7rocprim17ROCPRIM_400000_NS6detail17trampoline_kernelINS0_14default_configENS1_38merge_sort_block_merge_config_selectorIlNS0_10empty_typeEEEZZNS1_27merge_sort_block_merge_implIS3_PlPS5_mZN2at6native12_GLOBAL__N_124unique_dim_cuda_templateIdEESt5tupleIJNSA_6TensorESF_SF_EERKSF_lbbbEUlllE_EE10hipError_tT0_T1_T2_jT3_P12ihipStream_tbPNSt15iterator_traitsISL_E10value_typeEPNSR_ISM_E10value_typeEPSN_NS1_7vsmem_tEENKUlT_SL_SM_SN_E_clIS8_S8_S9_S9_EESK_S10_SL_SM_SN_EUlS10_E0_NS1_11comp_targetILNS1_3genE4ELNS1_11target_archE910ELNS1_3gpuE8ELNS1_3repE0EEENS1_38merge_mergepath_config_static_selectorELNS0_4arch9wavefront6targetE1EEEvSM_
; %bb.0:
	.section	.rodata,"a",@progbits
	.p2align	6, 0x0
	.amdhsa_kernel _ZN7rocprim17ROCPRIM_400000_NS6detail17trampoline_kernelINS0_14default_configENS1_38merge_sort_block_merge_config_selectorIlNS0_10empty_typeEEEZZNS1_27merge_sort_block_merge_implIS3_PlPS5_mZN2at6native12_GLOBAL__N_124unique_dim_cuda_templateIdEESt5tupleIJNSA_6TensorESF_SF_EERKSF_lbbbEUlllE_EE10hipError_tT0_T1_T2_jT3_P12ihipStream_tbPNSt15iterator_traitsISL_E10value_typeEPNSR_ISM_E10value_typeEPSN_NS1_7vsmem_tEENKUlT_SL_SM_SN_E_clIS8_S8_S9_S9_EESK_S10_SL_SM_SN_EUlS10_E0_NS1_11comp_targetILNS1_3genE4ELNS1_11target_archE910ELNS1_3gpuE8ELNS1_3repE0EEENS1_38merge_mergepath_config_static_selectorELNS0_4arch9wavefront6targetE1EEEvSM_
		.amdhsa_group_segment_fixed_size 0
		.amdhsa_private_segment_fixed_size 0
		.amdhsa_kernarg_size 88
		.amdhsa_user_sgpr_count 2
		.amdhsa_user_sgpr_dispatch_ptr 0
		.amdhsa_user_sgpr_queue_ptr 0
		.amdhsa_user_sgpr_kernarg_segment_ptr 1
		.amdhsa_user_sgpr_dispatch_id 0
		.amdhsa_user_sgpr_kernarg_preload_length 0
		.amdhsa_user_sgpr_kernarg_preload_offset 0
		.amdhsa_user_sgpr_private_segment_size 0
		.amdhsa_uses_dynamic_stack 0
		.amdhsa_enable_private_segment 0
		.amdhsa_system_sgpr_workgroup_id_x 1
		.amdhsa_system_sgpr_workgroup_id_y 0
		.amdhsa_system_sgpr_workgroup_id_z 0
		.amdhsa_system_sgpr_workgroup_info 0
		.amdhsa_system_vgpr_workitem_id 0
		.amdhsa_next_free_vgpr 1
		.amdhsa_next_free_sgpr 0
		.amdhsa_accum_offset 4
		.amdhsa_reserve_vcc 0
		.amdhsa_float_round_mode_32 0
		.amdhsa_float_round_mode_16_64 0
		.amdhsa_float_denorm_mode_32 3
		.amdhsa_float_denorm_mode_16_64 3
		.amdhsa_dx10_clamp 1
		.amdhsa_ieee_mode 1
		.amdhsa_fp16_overflow 0
		.amdhsa_tg_split 0
		.amdhsa_exception_fp_ieee_invalid_op 0
		.amdhsa_exception_fp_denorm_src 0
		.amdhsa_exception_fp_ieee_div_zero 0
		.amdhsa_exception_fp_ieee_overflow 0
		.amdhsa_exception_fp_ieee_underflow 0
		.amdhsa_exception_fp_ieee_inexact 0
		.amdhsa_exception_int_div_zero 0
	.end_amdhsa_kernel
	.section	.text._ZN7rocprim17ROCPRIM_400000_NS6detail17trampoline_kernelINS0_14default_configENS1_38merge_sort_block_merge_config_selectorIlNS0_10empty_typeEEEZZNS1_27merge_sort_block_merge_implIS3_PlPS5_mZN2at6native12_GLOBAL__N_124unique_dim_cuda_templateIdEESt5tupleIJNSA_6TensorESF_SF_EERKSF_lbbbEUlllE_EE10hipError_tT0_T1_T2_jT3_P12ihipStream_tbPNSt15iterator_traitsISL_E10value_typeEPNSR_ISM_E10value_typeEPSN_NS1_7vsmem_tEENKUlT_SL_SM_SN_E_clIS8_S8_S9_S9_EESK_S10_SL_SM_SN_EUlS10_E0_NS1_11comp_targetILNS1_3genE4ELNS1_11target_archE910ELNS1_3gpuE8ELNS1_3repE0EEENS1_38merge_mergepath_config_static_selectorELNS0_4arch9wavefront6targetE1EEEvSM_,"axG",@progbits,_ZN7rocprim17ROCPRIM_400000_NS6detail17trampoline_kernelINS0_14default_configENS1_38merge_sort_block_merge_config_selectorIlNS0_10empty_typeEEEZZNS1_27merge_sort_block_merge_implIS3_PlPS5_mZN2at6native12_GLOBAL__N_124unique_dim_cuda_templateIdEESt5tupleIJNSA_6TensorESF_SF_EERKSF_lbbbEUlllE_EE10hipError_tT0_T1_T2_jT3_P12ihipStream_tbPNSt15iterator_traitsISL_E10value_typeEPNSR_ISM_E10value_typeEPSN_NS1_7vsmem_tEENKUlT_SL_SM_SN_E_clIS8_S8_S9_S9_EESK_S10_SL_SM_SN_EUlS10_E0_NS1_11comp_targetILNS1_3genE4ELNS1_11target_archE910ELNS1_3gpuE8ELNS1_3repE0EEENS1_38merge_mergepath_config_static_selectorELNS0_4arch9wavefront6targetE1EEEvSM_,comdat
.Lfunc_end775:
	.size	_ZN7rocprim17ROCPRIM_400000_NS6detail17trampoline_kernelINS0_14default_configENS1_38merge_sort_block_merge_config_selectorIlNS0_10empty_typeEEEZZNS1_27merge_sort_block_merge_implIS3_PlPS5_mZN2at6native12_GLOBAL__N_124unique_dim_cuda_templateIdEESt5tupleIJNSA_6TensorESF_SF_EERKSF_lbbbEUlllE_EE10hipError_tT0_T1_T2_jT3_P12ihipStream_tbPNSt15iterator_traitsISL_E10value_typeEPNSR_ISM_E10value_typeEPSN_NS1_7vsmem_tEENKUlT_SL_SM_SN_E_clIS8_S8_S9_S9_EESK_S10_SL_SM_SN_EUlS10_E0_NS1_11comp_targetILNS1_3genE4ELNS1_11target_archE910ELNS1_3gpuE8ELNS1_3repE0EEENS1_38merge_mergepath_config_static_selectorELNS0_4arch9wavefront6targetE1EEEvSM_, .Lfunc_end775-_ZN7rocprim17ROCPRIM_400000_NS6detail17trampoline_kernelINS0_14default_configENS1_38merge_sort_block_merge_config_selectorIlNS0_10empty_typeEEEZZNS1_27merge_sort_block_merge_implIS3_PlPS5_mZN2at6native12_GLOBAL__N_124unique_dim_cuda_templateIdEESt5tupleIJNSA_6TensorESF_SF_EERKSF_lbbbEUlllE_EE10hipError_tT0_T1_T2_jT3_P12ihipStream_tbPNSt15iterator_traitsISL_E10value_typeEPNSR_ISM_E10value_typeEPSN_NS1_7vsmem_tEENKUlT_SL_SM_SN_E_clIS8_S8_S9_S9_EESK_S10_SL_SM_SN_EUlS10_E0_NS1_11comp_targetILNS1_3genE4ELNS1_11target_archE910ELNS1_3gpuE8ELNS1_3repE0EEENS1_38merge_mergepath_config_static_selectorELNS0_4arch9wavefront6targetE1EEEvSM_
                                        ; -- End function
	.section	.AMDGPU.csdata,"",@progbits
; Kernel info:
; codeLenInByte = 0
; NumSgprs: 6
; NumVgprs: 0
; NumAgprs: 0
; TotalNumVgprs: 0
; ScratchSize: 0
; MemoryBound: 0
; FloatMode: 240
; IeeeMode: 1
; LDSByteSize: 0 bytes/workgroup (compile time only)
; SGPRBlocks: 0
; VGPRBlocks: 0
; NumSGPRsForWavesPerEU: 6
; NumVGPRsForWavesPerEU: 1
; AccumOffset: 4
; Occupancy: 8
; WaveLimiterHint : 0
; COMPUTE_PGM_RSRC2:SCRATCH_EN: 0
; COMPUTE_PGM_RSRC2:USER_SGPR: 2
; COMPUTE_PGM_RSRC2:TRAP_HANDLER: 0
; COMPUTE_PGM_RSRC2:TGID_X_EN: 1
; COMPUTE_PGM_RSRC2:TGID_Y_EN: 0
; COMPUTE_PGM_RSRC2:TGID_Z_EN: 0
; COMPUTE_PGM_RSRC2:TIDIG_COMP_CNT: 0
; COMPUTE_PGM_RSRC3_GFX90A:ACCUM_OFFSET: 0
; COMPUTE_PGM_RSRC3_GFX90A:TG_SPLIT: 0
	.section	.text._ZN7rocprim17ROCPRIM_400000_NS6detail17trampoline_kernelINS0_14default_configENS1_38merge_sort_block_merge_config_selectorIlNS0_10empty_typeEEEZZNS1_27merge_sort_block_merge_implIS3_PlPS5_mZN2at6native12_GLOBAL__N_124unique_dim_cuda_templateIdEESt5tupleIJNSA_6TensorESF_SF_EERKSF_lbbbEUlllE_EE10hipError_tT0_T1_T2_jT3_P12ihipStream_tbPNSt15iterator_traitsISL_E10value_typeEPNSR_ISM_E10value_typeEPSN_NS1_7vsmem_tEENKUlT_SL_SM_SN_E_clIS8_S8_S9_S9_EESK_S10_SL_SM_SN_EUlS10_E0_NS1_11comp_targetILNS1_3genE3ELNS1_11target_archE908ELNS1_3gpuE7ELNS1_3repE0EEENS1_38merge_mergepath_config_static_selectorELNS0_4arch9wavefront6targetE1EEEvSM_,"axG",@progbits,_ZN7rocprim17ROCPRIM_400000_NS6detail17trampoline_kernelINS0_14default_configENS1_38merge_sort_block_merge_config_selectorIlNS0_10empty_typeEEEZZNS1_27merge_sort_block_merge_implIS3_PlPS5_mZN2at6native12_GLOBAL__N_124unique_dim_cuda_templateIdEESt5tupleIJNSA_6TensorESF_SF_EERKSF_lbbbEUlllE_EE10hipError_tT0_T1_T2_jT3_P12ihipStream_tbPNSt15iterator_traitsISL_E10value_typeEPNSR_ISM_E10value_typeEPSN_NS1_7vsmem_tEENKUlT_SL_SM_SN_E_clIS8_S8_S9_S9_EESK_S10_SL_SM_SN_EUlS10_E0_NS1_11comp_targetILNS1_3genE3ELNS1_11target_archE908ELNS1_3gpuE7ELNS1_3repE0EEENS1_38merge_mergepath_config_static_selectorELNS0_4arch9wavefront6targetE1EEEvSM_,comdat
	.globl	_ZN7rocprim17ROCPRIM_400000_NS6detail17trampoline_kernelINS0_14default_configENS1_38merge_sort_block_merge_config_selectorIlNS0_10empty_typeEEEZZNS1_27merge_sort_block_merge_implIS3_PlPS5_mZN2at6native12_GLOBAL__N_124unique_dim_cuda_templateIdEESt5tupleIJNSA_6TensorESF_SF_EERKSF_lbbbEUlllE_EE10hipError_tT0_T1_T2_jT3_P12ihipStream_tbPNSt15iterator_traitsISL_E10value_typeEPNSR_ISM_E10value_typeEPSN_NS1_7vsmem_tEENKUlT_SL_SM_SN_E_clIS8_S8_S9_S9_EESK_S10_SL_SM_SN_EUlS10_E0_NS1_11comp_targetILNS1_3genE3ELNS1_11target_archE908ELNS1_3gpuE7ELNS1_3repE0EEENS1_38merge_mergepath_config_static_selectorELNS0_4arch9wavefront6targetE1EEEvSM_ ; -- Begin function _ZN7rocprim17ROCPRIM_400000_NS6detail17trampoline_kernelINS0_14default_configENS1_38merge_sort_block_merge_config_selectorIlNS0_10empty_typeEEEZZNS1_27merge_sort_block_merge_implIS3_PlPS5_mZN2at6native12_GLOBAL__N_124unique_dim_cuda_templateIdEESt5tupleIJNSA_6TensorESF_SF_EERKSF_lbbbEUlllE_EE10hipError_tT0_T1_T2_jT3_P12ihipStream_tbPNSt15iterator_traitsISL_E10value_typeEPNSR_ISM_E10value_typeEPSN_NS1_7vsmem_tEENKUlT_SL_SM_SN_E_clIS8_S8_S9_S9_EESK_S10_SL_SM_SN_EUlS10_E0_NS1_11comp_targetILNS1_3genE3ELNS1_11target_archE908ELNS1_3gpuE7ELNS1_3repE0EEENS1_38merge_mergepath_config_static_selectorELNS0_4arch9wavefront6targetE1EEEvSM_
	.p2align	8
	.type	_ZN7rocprim17ROCPRIM_400000_NS6detail17trampoline_kernelINS0_14default_configENS1_38merge_sort_block_merge_config_selectorIlNS0_10empty_typeEEEZZNS1_27merge_sort_block_merge_implIS3_PlPS5_mZN2at6native12_GLOBAL__N_124unique_dim_cuda_templateIdEESt5tupleIJNSA_6TensorESF_SF_EERKSF_lbbbEUlllE_EE10hipError_tT0_T1_T2_jT3_P12ihipStream_tbPNSt15iterator_traitsISL_E10value_typeEPNSR_ISM_E10value_typeEPSN_NS1_7vsmem_tEENKUlT_SL_SM_SN_E_clIS8_S8_S9_S9_EESK_S10_SL_SM_SN_EUlS10_E0_NS1_11comp_targetILNS1_3genE3ELNS1_11target_archE908ELNS1_3gpuE7ELNS1_3repE0EEENS1_38merge_mergepath_config_static_selectorELNS0_4arch9wavefront6targetE1EEEvSM_,@function
_ZN7rocprim17ROCPRIM_400000_NS6detail17trampoline_kernelINS0_14default_configENS1_38merge_sort_block_merge_config_selectorIlNS0_10empty_typeEEEZZNS1_27merge_sort_block_merge_implIS3_PlPS5_mZN2at6native12_GLOBAL__N_124unique_dim_cuda_templateIdEESt5tupleIJNSA_6TensorESF_SF_EERKSF_lbbbEUlllE_EE10hipError_tT0_T1_T2_jT3_P12ihipStream_tbPNSt15iterator_traitsISL_E10value_typeEPNSR_ISM_E10value_typeEPSN_NS1_7vsmem_tEENKUlT_SL_SM_SN_E_clIS8_S8_S9_S9_EESK_S10_SL_SM_SN_EUlS10_E0_NS1_11comp_targetILNS1_3genE3ELNS1_11target_archE908ELNS1_3gpuE7ELNS1_3repE0EEENS1_38merge_mergepath_config_static_selectorELNS0_4arch9wavefront6targetE1EEEvSM_: ; @_ZN7rocprim17ROCPRIM_400000_NS6detail17trampoline_kernelINS0_14default_configENS1_38merge_sort_block_merge_config_selectorIlNS0_10empty_typeEEEZZNS1_27merge_sort_block_merge_implIS3_PlPS5_mZN2at6native12_GLOBAL__N_124unique_dim_cuda_templateIdEESt5tupleIJNSA_6TensorESF_SF_EERKSF_lbbbEUlllE_EE10hipError_tT0_T1_T2_jT3_P12ihipStream_tbPNSt15iterator_traitsISL_E10value_typeEPNSR_ISM_E10value_typeEPSN_NS1_7vsmem_tEENKUlT_SL_SM_SN_E_clIS8_S8_S9_S9_EESK_S10_SL_SM_SN_EUlS10_E0_NS1_11comp_targetILNS1_3genE3ELNS1_11target_archE908ELNS1_3gpuE7ELNS1_3repE0EEENS1_38merge_mergepath_config_static_selectorELNS0_4arch9wavefront6targetE1EEEvSM_
; %bb.0:
	.section	.rodata,"a",@progbits
	.p2align	6, 0x0
	.amdhsa_kernel _ZN7rocprim17ROCPRIM_400000_NS6detail17trampoline_kernelINS0_14default_configENS1_38merge_sort_block_merge_config_selectorIlNS0_10empty_typeEEEZZNS1_27merge_sort_block_merge_implIS3_PlPS5_mZN2at6native12_GLOBAL__N_124unique_dim_cuda_templateIdEESt5tupleIJNSA_6TensorESF_SF_EERKSF_lbbbEUlllE_EE10hipError_tT0_T1_T2_jT3_P12ihipStream_tbPNSt15iterator_traitsISL_E10value_typeEPNSR_ISM_E10value_typeEPSN_NS1_7vsmem_tEENKUlT_SL_SM_SN_E_clIS8_S8_S9_S9_EESK_S10_SL_SM_SN_EUlS10_E0_NS1_11comp_targetILNS1_3genE3ELNS1_11target_archE908ELNS1_3gpuE7ELNS1_3repE0EEENS1_38merge_mergepath_config_static_selectorELNS0_4arch9wavefront6targetE1EEEvSM_
		.amdhsa_group_segment_fixed_size 0
		.amdhsa_private_segment_fixed_size 0
		.amdhsa_kernarg_size 88
		.amdhsa_user_sgpr_count 2
		.amdhsa_user_sgpr_dispatch_ptr 0
		.amdhsa_user_sgpr_queue_ptr 0
		.amdhsa_user_sgpr_kernarg_segment_ptr 1
		.amdhsa_user_sgpr_dispatch_id 0
		.amdhsa_user_sgpr_kernarg_preload_length 0
		.amdhsa_user_sgpr_kernarg_preload_offset 0
		.amdhsa_user_sgpr_private_segment_size 0
		.amdhsa_uses_dynamic_stack 0
		.amdhsa_enable_private_segment 0
		.amdhsa_system_sgpr_workgroup_id_x 1
		.amdhsa_system_sgpr_workgroup_id_y 0
		.amdhsa_system_sgpr_workgroup_id_z 0
		.amdhsa_system_sgpr_workgroup_info 0
		.amdhsa_system_vgpr_workitem_id 0
		.amdhsa_next_free_vgpr 1
		.amdhsa_next_free_sgpr 0
		.amdhsa_accum_offset 4
		.amdhsa_reserve_vcc 0
		.amdhsa_float_round_mode_32 0
		.amdhsa_float_round_mode_16_64 0
		.amdhsa_float_denorm_mode_32 3
		.amdhsa_float_denorm_mode_16_64 3
		.amdhsa_dx10_clamp 1
		.amdhsa_ieee_mode 1
		.amdhsa_fp16_overflow 0
		.amdhsa_tg_split 0
		.amdhsa_exception_fp_ieee_invalid_op 0
		.amdhsa_exception_fp_denorm_src 0
		.amdhsa_exception_fp_ieee_div_zero 0
		.amdhsa_exception_fp_ieee_overflow 0
		.amdhsa_exception_fp_ieee_underflow 0
		.amdhsa_exception_fp_ieee_inexact 0
		.amdhsa_exception_int_div_zero 0
	.end_amdhsa_kernel
	.section	.text._ZN7rocprim17ROCPRIM_400000_NS6detail17trampoline_kernelINS0_14default_configENS1_38merge_sort_block_merge_config_selectorIlNS0_10empty_typeEEEZZNS1_27merge_sort_block_merge_implIS3_PlPS5_mZN2at6native12_GLOBAL__N_124unique_dim_cuda_templateIdEESt5tupleIJNSA_6TensorESF_SF_EERKSF_lbbbEUlllE_EE10hipError_tT0_T1_T2_jT3_P12ihipStream_tbPNSt15iterator_traitsISL_E10value_typeEPNSR_ISM_E10value_typeEPSN_NS1_7vsmem_tEENKUlT_SL_SM_SN_E_clIS8_S8_S9_S9_EESK_S10_SL_SM_SN_EUlS10_E0_NS1_11comp_targetILNS1_3genE3ELNS1_11target_archE908ELNS1_3gpuE7ELNS1_3repE0EEENS1_38merge_mergepath_config_static_selectorELNS0_4arch9wavefront6targetE1EEEvSM_,"axG",@progbits,_ZN7rocprim17ROCPRIM_400000_NS6detail17trampoline_kernelINS0_14default_configENS1_38merge_sort_block_merge_config_selectorIlNS0_10empty_typeEEEZZNS1_27merge_sort_block_merge_implIS3_PlPS5_mZN2at6native12_GLOBAL__N_124unique_dim_cuda_templateIdEESt5tupleIJNSA_6TensorESF_SF_EERKSF_lbbbEUlllE_EE10hipError_tT0_T1_T2_jT3_P12ihipStream_tbPNSt15iterator_traitsISL_E10value_typeEPNSR_ISM_E10value_typeEPSN_NS1_7vsmem_tEENKUlT_SL_SM_SN_E_clIS8_S8_S9_S9_EESK_S10_SL_SM_SN_EUlS10_E0_NS1_11comp_targetILNS1_3genE3ELNS1_11target_archE908ELNS1_3gpuE7ELNS1_3repE0EEENS1_38merge_mergepath_config_static_selectorELNS0_4arch9wavefront6targetE1EEEvSM_,comdat
.Lfunc_end776:
	.size	_ZN7rocprim17ROCPRIM_400000_NS6detail17trampoline_kernelINS0_14default_configENS1_38merge_sort_block_merge_config_selectorIlNS0_10empty_typeEEEZZNS1_27merge_sort_block_merge_implIS3_PlPS5_mZN2at6native12_GLOBAL__N_124unique_dim_cuda_templateIdEESt5tupleIJNSA_6TensorESF_SF_EERKSF_lbbbEUlllE_EE10hipError_tT0_T1_T2_jT3_P12ihipStream_tbPNSt15iterator_traitsISL_E10value_typeEPNSR_ISM_E10value_typeEPSN_NS1_7vsmem_tEENKUlT_SL_SM_SN_E_clIS8_S8_S9_S9_EESK_S10_SL_SM_SN_EUlS10_E0_NS1_11comp_targetILNS1_3genE3ELNS1_11target_archE908ELNS1_3gpuE7ELNS1_3repE0EEENS1_38merge_mergepath_config_static_selectorELNS0_4arch9wavefront6targetE1EEEvSM_, .Lfunc_end776-_ZN7rocprim17ROCPRIM_400000_NS6detail17trampoline_kernelINS0_14default_configENS1_38merge_sort_block_merge_config_selectorIlNS0_10empty_typeEEEZZNS1_27merge_sort_block_merge_implIS3_PlPS5_mZN2at6native12_GLOBAL__N_124unique_dim_cuda_templateIdEESt5tupleIJNSA_6TensorESF_SF_EERKSF_lbbbEUlllE_EE10hipError_tT0_T1_T2_jT3_P12ihipStream_tbPNSt15iterator_traitsISL_E10value_typeEPNSR_ISM_E10value_typeEPSN_NS1_7vsmem_tEENKUlT_SL_SM_SN_E_clIS8_S8_S9_S9_EESK_S10_SL_SM_SN_EUlS10_E0_NS1_11comp_targetILNS1_3genE3ELNS1_11target_archE908ELNS1_3gpuE7ELNS1_3repE0EEENS1_38merge_mergepath_config_static_selectorELNS0_4arch9wavefront6targetE1EEEvSM_
                                        ; -- End function
	.section	.AMDGPU.csdata,"",@progbits
; Kernel info:
; codeLenInByte = 0
; NumSgprs: 6
; NumVgprs: 0
; NumAgprs: 0
; TotalNumVgprs: 0
; ScratchSize: 0
; MemoryBound: 0
; FloatMode: 240
; IeeeMode: 1
; LDSByteSize: 0 bytes/workgroup (compile time only)
; SGPRBlocks: 0
; VGPRBlocks: 0
; NumSGPRsForWavesPerEU: 6
; NumVGPRsForWavesPerEU: 1
; AccumOffset: 4
; Occupancy: 8
; WaveLimiterHint : 0
; COMPUTE_PGM_RSRC2:SCRATCH_EN: 0
; COMPUTE_PGM_RSRC2:USER_SGPR: 2
; COMPUTE_PGM_RSRC2:TRAP_HANDLER: 0
; COMPUTE_PGM_RSRC2:TGID_X_EN: 1
; COMPUTE_PGM_RSRC2:TGID_Y_EN: 0
; COMPUTE_PGM_RSRC2:TGID_Z_EN: 0
; COMPUTE_PGM_RSRC2:TIDIG_COMP_CNT: 0
; COMPUTE_PGM_RSRC3_GFX90A:ACCUM_OFFSET: 0
; COMPUTE_PGM_RSRC3_GFX90A:TG_SPLIT: 0
	.section	.text._ZN7rocprim17ROCPRIM_400000_NS6detail17trampoline_kernelINS0_14default_configENS1_38merge_sort_block_merge_config_selectorIlNS0_10empty_typeEEEZZNS1_27merge_sort_block_merge_implIS3_PlPS5_mZN2at6native12_GLOBAL__N_124unique_dim_cuda_templateIdEESt5tupleIJNSA_6TensorESF_SF_EERKSF_lbbbEUlllE_EE10hipError_tT0_T1_T2_jT3_P12ihipStream_tbPNSt15iterator_traitsISL_E10value_typeEPNSR_ISM_E10value_typeEPSN_NS1_7vsmem_tEENKUlT_SL_SM_SN_E_clIS8_S8_S9_S9_EESK_S10_SL_SM_SN_EUlS10_E0_NS1_11comp_targetILNS1_3genE2ELNS1_11target_archE906ELNS1_3gpuE6ELNS1_3repE0EEENS1_38merge_mergepath_config_static_selectorELNS0_4arch9wavefront6targetE1EEEvSM_,"axG",@progbits,_ZN7rocprim17ROCPRIM_400000_NS6detail17trampoline_kernelINS0_14default_configENS1_38merge_sort_block_merge_config_selectorIlNS0_10empty_typeEEEZZNS1_27merge_sort_block_merge_implIS3_PlPS5_mZN2at6native12_GLOBAL__N_124unique_dim_cuda_templateIdEESt5tupleIJNSA_6TensorESF_SF_EERKSF_lbbbEUlllE_EE10hipError_tT0_T1_T2_jT3_P12ihipStream_tbPNSt15iterator_traitsISL_E10value_typeEPNSR_ISM_E10value_typeEPSN_NS1_7vsmem_tEENKUlT_SL_SM_SN_E_clIS8_S8_S9_S9_EESK_S10_SL_SM_SN_EUlS10_E0_NS1_11comp_targetILNS1_3genE2ELNS1_11target_archE906ELNS1_3gpuE6ELNS1_3repE0EEENS1_38merge_mergepath_config_static_selectorELNS0_4arch9wavefront6targetE1EEEvSM_,comdat
	.globl	_ZN7rocprim17ROCPRIM_400000_NS6detail17trampoline_kernelINS0_14default_configENS1_38merge_sort_block_merge_config_selectorIlNS0_10empty_typeEEEZZNS1_27merge_sort_block_merge_implIS3_PlPS5_mZN2at6native12_GLOBAL__N_124unique_dim_cuda_templateIdEESt5tupleIJNSA_6TensorESF_SF_EERKSF_lbbbEUlllE_EE10hipError_tT0_T1_T2_jT3_P12ihipStream_tbPNSt15iterator_traitsISL_E10value_typeEPNSR_ISM_E10value_typeEPSN_NS1_7vsmem_tEENKUlT_SL_SM_SN_E_clIS8_S8_S9_S9_EESK_S10_SL_SM_SN_EUlS10_E0_NS1_11comp_targetILNS1_3genE2ELNS1_11target_archE906ELNS1_3gpuE6ELNS1_3repE0EEENS1_38merge_mergepath_config_static_selectorELNS0_4arch9wavefront6targetE1EEEvSM_ ; -- Begin function _ZN7rocprim17ROCPRIM_400000_NS6detail17trampoline_kernelINS0_14default_configENS1_38merge_sort_block_merge_config_selectorIlNS0_10empty_typeEEEZZNS1_27merge_sort_block_merge_implIS3_PlPS5_mZN2at6native12_GLOBAL__N_124unique_dim_cuda_templateIdEESt5tupleIJNSA_6TensorESF_SF_EERKSF_lbbbEUlllE_EE10hipError_tT0_T1_T2_jT3_P12ihipStream_tbPNSt15iterator_traitsISL_E10value_typeEPNSR_ISM_E10value_typeEPSN_NS1_7vsmem_tEENKUlT_SL_SM_SN_E_clIS8_S8_S9_S9_EESK_S10_SL_SM_SN_EUlS10_E0_NS1_11comp_targetILNS1_3genE2ELNS1_11target_archE906ELNS1_3gpuE6ELNS1_3repE0EEENS1_38merge_mergepath_config_static_selectorELNS0_4arch9wavefront6targetE1EEEvSM_
	.p2align	8
	.type	_ZN7rocprim17ROCPRIM_400000_NS6detail17trampoline_kernelINS0_14default_configENS1_38merge_sort_block_merge_config_selectorIlNS0_10empty_typeEEEZZNS1_27merge_sort_block_merge_implIS3_PlPS5_mZN2at6native12_GLOBAL__N_124unique_dim_cuda_templateIdEESt5tupleIJNSA_6TensorESF_SF_EERKSF_lbbbEUlllE_EE10hipError_tT0_T1_T2_jT3_P12ihipStream_tbPNSt15iterator_traitsISL_E10value_typeEPNSR_ISM_E10value_typeEPSN_NS1_7vsmem_tEENKUlT_SL_SM_SN_E_clIS8_S8_S9_S9_EESK_S10_SL_SM_SN_EUlS10_E0_NS1_11comp_targetILNS1_3genE2ELNS1_11target_archE906ELNS1_3gpuE6ELNS1_3repE0EEENS1_38merge_mergepath_config_static_selectorELNS0_4arch9wavefront6targetE1EEEvSM_,@function
_ZN7rocprim17ROCPRIM_400000_NS6detail17trampoline_kernelINS0_14default_configENS1_38merge_sort_block_merge_config_selectorIlNS0_10empty_typeEEEZZNS1_27merge_sort_block_merge_implIS3_PlPS5_mZN2at6native12_GLOBAL__N_124unique_dim_cuda_templateIdEESt5tupleIJNSA_6TensorESF_SF_EERKSF_lbbbEUlllE_EE10hipError_tT0_T1_T2_jT3_P12ihipStream_tbPNSt15iterator_traitsISL_E10value_typeEPNSR_ISM_E10value_typeEPSN_NS1_7vsmem_tEENKUlT_SL_SM_SN_E_clIS8_S8_S9_S9_EESK_S10_SL_SM_SN_EUlS10_E0_NS1_11comp_targetILNS1_3genE2ELNS1_11target_archE906ELNS1_3gpuE6ELNS1_3repE0EEENS1_38merge_mergepath_config_static_selectorELNS0_4arch9wavefront6targetE1EEEvSM_: ; @_ZN7rocprim17ROCPRIM_400000_NS6detail17trampoline_kernelINS0_14default_configENS1_38merge_sort_block_merge_config_selectorIlNS0_10empty_typeEEEZZNS1_27merge_sort_block_merge_implIS3_PlPS5_mZN2at6native12_GLOBAL__N_124unique_dim_cuda_templateIdEESt5tupleIJNSA_6TensorESF_SF_EERKSF_lbbbEUlllE_EE10hipError_tT0_T1_T2_jT3_P12ihipStream_tbPNSt15iterator_traitsISL_E10value_typeEPNSR_ISM_E10value_typeEPSN_NS1_7vsmem_tEENKUlT_SL_SM_SN_E_clIS8_S8_S9_S9_EESK_S10_SL_SM_SN_EUlS10_E0_NS1_11comp_targetILNS1_3genE2ELNS1_11target_archE906ELNS1_3gpuE6ELNS1_3repE0EEENS1_38merge_mergepath_config_static_selectorELNS0_4arch9wavefront6targetE1EEEvSM_
; %bb.0:
	.section	.rodata,"a",@progbits
	.p2align	6, 0x0
	.amdhsa_kernel _ZN7rocprim17ROCPRIM_400000_NS6detail17trampoline_kernelINS0_14default_configENS1_38merge_sort_block_merge_config_selectorIlNS0_10empty_typeEEEZZNS1_27merge_sort_block_merge_implIS3_PlPS5_mZN2at6native12_GLOBAL__N_124unique_dim_cuda_templateIdEESt5tupleIJNSA_6TensorESF_SF_EERKSF_lbbbEUlllE_EE10hipError_tT0_T1_T2_jT3_P12ihipStream_tbPNSt15iterator_traitsISL_E10value_typeEPNSR_ISM_E10value_typeEPSN_NS1_7vsmem_tEENKUlT_SL_SM_SN_E_clIS8_S8_S9_S9_EESK_S10_SL_SM_SN_EUlS10_E0_NS1_11comp_targetILNS1_3genE2ELNS1_11target_archE906ELNS1_3gpuE6ELNS1_3repE0EEENS1_38merge_mergepath_config_static_selectorELNS0_4arch9wavefront6targetE1EEEvSM_
		.amdhsa_group_segment_fixed_size 0
		.amdhsa_private_segment_fixed_size 0
		.amdhsa_kernarg_size 88
		.amdhsa_user_sgpr_count 2
		.amdhsa_user_sgpr_dispatch_ptr 0
		.amdhsa_user_sgpr_queue_ptr 0
		.amdhsa_user_sgpr_kernarg_segment_ptr 1
		.amdhsa_user_sgpr_dispatch_id 0
		.amdhsa_user_sgpr_kernarg_preload_length 0
		.amdhsa_user_sgpr_kernarg_preload_offset 0
		.amdhsa_user_sgpr_private_segment_size 0
		.amdhsa_uses_dynamic_stack 0
		.amdhsa_enable_private_segment 0
		.amdhsa_system_sgpr_workgroup_id_x 1
		.amdhsa_system_sgpr_workgroup_id_y 0
		.amdhsa_system_sgpr_workgroup_id_z 0
		.amdhsa_system_sgpr_workgroup_info 0
		.amdhsa_system_vgpr_workitem_id 0
		.amdhsa_next_free_vgpr 1
		.amdhsa_next_free_sgpr 0
		.amdhsa_accum_offset 4
		.amdhsa_reserve_vcc 0
		.amdhsa_float_round_mode_32 0
		.amdhsa_float_round_mode_16_64 0
		.amdhsa_float_denorm_mode_32 3
		.amdhsa_float_denorm_mode_16_64 3
		.amdhsa_dx10_clamp 1
		.amdhsa_ieee_mode 1
		.amdhsa_fp16_overflow 0
		.amdhsa_tg_split 0
		.amdhsa_exception_fp_ieee_invalid_op 0
		.amdhsa_exception_fp_denorm_src 0
		.amdhsa_exception_fp_ieee_div_zero 0
		.amdhsa_exception_fp_ieee_overflow 0
		.amdhsa_exception_fp_ieee_underflow 0
		.amdhsa_exception_fp_ieee_inexact 0
		.amdhsa_exception_int_div_zero 0
	.end_amdhsa_kernel
	.section	.text._ZN7rocprim17ROCPRIM_400000_NS6detail17trampoline_kernelINS0_14default_configENS1_38merge_sort_block_merge_config_selectorIlNS0_10empty_typeEEEZZNS1_27merge_sort_block_merge_implIS3_PlPS5_mZN2at6native12_GLOBAL__N_124unique_dim_cuda_templateIdEESt5tupleIJNSA_6TensorESF_SF_EERKSF_lbbbEUlllE_EE10hipError_tT0_T1_T2_jT3_P12ihipStream_tbPNSt15iterator_traitsISL_E10value_typeEPNSR_ISM_E10value_typeEPSN_NS1_7vsmem_tEENKUlT_SL_SM_SN_E_clIS8_S8_S9_S9_EESK_S10_SL_SM_SN_EUlS10_E0_NS1_11comp_targetILNS1_3genE2ELNS1_11target_archE906ELNS1_3gpuE6ELNS1_3repE0EEENS1_38merge_mergepath_config_static_selectorELNS0_4arch9wavefront6targetE1EEEvSM_,"axG",@progbits,_ZN7rocprim17ROCPRIM_400000_NS6detail17trampoline_kernelINS0_14default_configENS1_38merge_sort_block_merge_config_selectorIlNS0_10empty_typeEEEZZNS1_27merge_sort_block_merge_implIS3_PlPS5_mZN2at6native12_GLOBAL__N_124unique_dim_cuda_templateIdEESt5tupleIJNSA_6TensorESF_SF_EERKSF_lbbbEUlllE_EE10hipError_tT0_T1_T2_jT3_P12ihipStream_tbPNSt15iterator_traitsISL_E10value_typeEPNSR_ISM_E10value_typeEPSN_NS1_7vsmem_tEENKUlT_SL_SM_SN_E_clIS8_S8_S9_S9_EESK_S10_SL_SM_SN_EUlS10_E0_NS1_11comp_targetILNS1_3genE2ELNS1_11target_archE906ELNS1_3gpuE6ELNS1_3repE0EEENS1_38merge_mergepath_config_static_selectorELNS0_4arch9wavefront6targetE1EEEvSM_,comdat
.Lfunc_end777:
	.size	_ZN7rocprim17ROCPRIM_400000_NS6detail17trampoline_kernelINS0_14default_configENS1_38merge_sort_block_merge_config_selectorIlNS0_10empty_typeEEEZZNS1_27merge_sort_block_merge_implIS3_PlPS5_mZN2at6native12_GLOBAL__N_124unique_dim_cuda_templateIdEESt5tupleIJNSA_6TensorESF_SF_EERKSF_lbbbEUlllE_EE10hipError_tT0_T1_T2_jT3_P12ihipStream_tbPNSt15iterator_traitsISL_E10value_typeEPNSR_ISM_E10value_typeEPSN_NS1_7vsmem_tEENKUlT_SL_SM_SN_E_clIS8_S8_S9_S9_EESK_S10_SL_SM_SN_EUlS10_E0_NS1_11comp_targetILNS1_3genE2ELNS1_11target_archE906ELNS1_3gpuE6ELNS1_3repE0EEENS1_38merge_mergepath_config_static_selectorELNS0_4arch9wavefront6targetE1EEEvSM_, .Lfunc_end777-_ZN7rocprim17ROCPRIM_400000_NS6detail17trampoline_kernelINS0_14default_configENS1_38merge_sort_block_merge_config_selectorIlNS0_10empty_typeEEEZZNS1_27merge_sort_block_merge_implIS3_PlPS5_mZN2at6native12_GLOBAL__N_124unique_dim_cuda_templateIdEESt5tupleIJNSA_6TensorESF_SF_EERKSF_lbbbEUlllE_EE10hipError_tT0_T1_T2_jT3_P12ihipStream_tbPNSt15iterator_traitsISL_E10value_typeEPNSR_ISM_E10value_typeEPSN_NS1_7vsmem_tEENKUlT_SL_SM_SN_E_clIS8_S8_S9_S9_EESK_S10_SL_SM_SN_EUlS10_E0_NS1_11comp_targetILNS1_3genE2ELNS1_11target_archE906ELNS1_3gpuE6ELNS1_3repE0EEENS1_38merge_mergepath_config_static_selectorELNS0_4arch9wavefront6targetE1EEEvSM_
                                        ; -- End function
	.section	.AMDGPU.csdata,"",@progbits
; Kernel info:
; codeLenInByte = 0
; NumSgprs: 6
; NumVgprs: 0
; NumAgprs: 0
; TotalNumVgprs: 0
; ScratchSize: 0
; MemoryBound: 0
; FloatMode: 240
; IeeeMode: 1
; LDSByteSize: 0 bytes/workgroup (compile time only)
; SGPRBlocks: 0
; VGPRBlocks: 0
; NumSGPRsForWavesPerEU: 6
; NumVGPRsForWavesPerEU: 1
; AccumOffset: 4
; Occupancy: 8
; WaveLimiterHint : 0
; COMPUTE_PGM_RSRC2:SCRATCH_EN: 0
; COMPUTE_PGM_RSRC2:USER_SGPR: 2
; COMPUTE_PGM_RSRC2:TRAP_HANDLER: 0
; COMPUTE_PGM_RSRC2:TGID_X_EN: 1
; COMPUTE_PGM_RSRC2:TGID_Y_EN: 0
; COMPUTE_PGM_RSRC2:TGID_Z_EN: 0
; COMPUTE_PGM_RSRC2:TIDIG_COMP_CNT: 0
; COMPUTE_PGM_RSRC3_GFX90A:ACCUM_OFFSET: 0
; COMPUTE_PGM_RSRC3_GFX90A:TG_SPLIT: 0
	.section	.text._ZN7rocprim17ROCPRIM_400000_NS6detail17trampoline_kernelINS0_14default_configENS1_38merge_sort_block_merge_config_selectorIlNS0_10empty_typeEEEZZNS1_27merge_sort_block_merge_implIS3_PlPS5_mZN2at6native12_GLOBAL__N_124unique_dim_cuda_templateIdEESt5tupleIJNSA_6TensorESF_SF_EERKSF_lbbbEUlllE_EE10hipError_tT0_T1_T2_jT3_P12ihipStream_tbPNSt15iterator_traitsISL_E10value_typeEPNSR_ISM_E10value_typeEPSN_NS1_7vsmem_tEENKUlT_SL_SM_SN_E_clIS8_S8_S9_S9_EESK_S10_SL_SM_SN_EUlS10_E0_NS1_11comp_targetILNS1_3genE9ELNS1_11target_archE1100ELNS1_3gpuE3ELNS1_3repE0EEENS1_38merge_mergepath_config_static_selectorELNS0_4arch9wavefront6targetE1EEEvSM_,"axG",@progbits,_ZN7rocprim17ROCPRIM_400000_NS6detail17trampoline_kernelINS0_14default_configENS1_38merge_sort_block_merge_config_selectorIlNS0_10empty_typeEEEZZNS1_27merge_sort_block_merge_implIS3_PlPS5_mZN2at6native12_GLOBAL__N_124unique_dim_cuda_templateIdEESt5tupleIJNSA_6TensorESF_SF_EERKSF_lbbbEUlllE_EE10hipError_tT0_T1_T2_jT3_P12ihipStream_tbPNSt15iterator_traitsISL_E10value_typeEPNSR_ISM_E10value_typeEPSN_NS1_7vsmem_tEENKUlT_SL_SM_SN_E_clIS8_S8_S9_S9_EESK_S10_SL_SM_SN_EUlS10_E0_NS1_11comp_targetILNS1_3genE9ELNS1_11target_archE1100ELNS1_3gpuE3ELNS1_3repE0EEENS1_38merge_mergepath_config_static_selectorELNS0_4arch9wavefront6targetE1EEEvSM_,comdat
	.globl	_ZN7rocprim17ROCPRIM_400000_NS6detail17trampoline_kernelINS0_14default_configENS1_38merge_sort_block_merge_config_selectorIlNS0_10empty_typeEEEZZNS1_27merge_sort_block_merge_implIS3_PlPS5_mZN2at6native12_GLOBAL__N_124unique_dim_cuda_templateIdEESt5tupleIJNSA_6TensorESF_SF_EERKSF_lbbbEUlllE_EE10hipError_tT0_T1_T2_jT3_P12ihipStream_tbPNSt15iterator_traitsISL_E10value_typeEPNSR_ISM_E10value_typeEPSN_NS1_7vsmem_tEENKUlT_SL_SM_SN_E_clIS8_S8_S9_S9_EESK_S10_SL_SM_SN_EUlS10_E0_NS1_11comp_targetILNS1_3genE9ELNS1_11target_archE1100ELNS1_3gpuE3ELNS1_3repE0EEENS1_38merge_mergepath_config_static_selectorELNS0_4arch9wavefront6targetE1EEEvSM_ ; -- Begin function _ZN7rocprim17ROCPRIM_400000_NS6detail17trampoline_kernelINS0_14default_configENS1_38merge_sort_block_merge_config_selectorIlNS0_10empty_typeEEEZZNS1_27merge_sort_block_merge_implIS3_PlPS5_mZN2at6native12_GLOBAL__N_124unique_dim_cuda_templateIdEESt5tupleIJNSA_6TensorESF_SF_EERKSF_lbbbEUlllE_EE10hipError_tT0_T1_T2_jT3_P12ihipStream_tbPNSt15iterator_traitsISL_E10value_typeEPNSR_ISM_E10value_typeEPSN_NS1_7vsmem_tEENKUlT_SL_SM_SN_E_clIS8_S8_S9_S9_EESK_S10_SL_SM_SN_EUlS10_E0_NS1_11comp_targetILNS1_3genE9ELNS1_11target_archE1100ELNS1_3gpuE3ELNS1_3repE0EEENS1_38merge_mergepath_config_static_selectorELNS0_4arch9wavefront6targetE1EEEvSM_
	.p2align	8
	.type	_ZN7rocprim17ROCPRIM_400000_NS6detail17trampoline_kernelINS0_14default_configENS1_38merge_sort_block_merge_config_selectorIlNS0_10empty_typeEEEZZNS1_27merge_sort_block_merge_implIS3_PlPS5_mZN2at6native12_GLOBAL__N_124unique_dim_cuda_templateIdEESt5tupleIJNSA_6TensorESF_SF_EERKSF_lbbbEUlllE_EE10hipError_tT0_T1_T2_jT3_P12ihipStream_tbPNSt15iterator_traitsISL_E10value_typeEPNSR_ISM_E10value_typeEPSN_NS1_7vsmem_tEENKUlT_SL_SM_SN_E_clIS8_S8_S9_S9_EESK_S10_SL_SM_SN_EUlS10_E0_NS1_11comp_targetILNS1_3genE9ELNS1_11target_archE1100ELNS1_3gpuE3ELNS1_3repE0EEENS1_38merge_mergepath_config_static_selectorELNS0_4arch9wavefront6targetE1EEEvSM_,@function
_ZN7rocprim17ROCPRIM_400000_NS6detail17trampoline_kernelINS0_14default_configENS1_38merge_sort_block_merge_config_selectorIlNS0_10empty_typeEEEZZNS1_27merge_sort_block_merge_implIS3_PlPS5_mZN2at6native12_GLOBAL__N_124unique_dim_cuda_templateIdEESt5tupleIJNSA_6TensorESF_SF_EERKSF_lbbbEUlllE_EE10hipError_tT0_T1_T2_jT3_P12ihipStream_tbPNSt15iterator_traitsISL_E10value_typeEPNSR_ISM_E10value_typeEPSN_NS1_7vsmem_tEENKUlT_SL_SM_SN_E_clIS8_S8_S9_S9_EESK_S10_SL_SM_SN_EUlS10_E0_NS1_11comp_targetILNS1_3genE9ELNS1_11target_archE1100ELNS1_3gpuE3ELNS1_3repE0EEENS1_38merge_mergepath_config_static_selectorELNS0_4arch9wavefront6targetE1EEEvSM_: ; @_ZN7rocprim17ROCPRIM_400000_NS6detail17trampoline_kernelINS0_14default_configENS1_38merge_sort_block_merge_config_selectorIlNS0_10empty_typeEEEZZNS1_27merge_sort_block_merge_implIS3_PlPS5_mZN2at6native12_GLOBAL__N_124unique_dim_cuda_templateIdEESt5tupleIJNSA_6TensorESF_SF_EERKSF_lbbbEUlllE_EE10hipError_tT0_T1_T2_jT3_P12ihipStream_tbPNSt15iterator_traitsISL_E10value_typeEPNSR_ISM_E10value_typeEPSN_NS1_7vsmem_tEENKUlT_SL_SM_SN_E_clIS8_S8_S9_S9_EESK_S10_SL_SM_SN_EUlS10_E0_NS1_11comp_targetILNS1_3genE9ELNS1_11target_archE1100ELNS1_3gpuE3ELNS1_3repE0EEENS1_38merge_mergepath_config_static_selectorELNS0_4arch9wavefront6targetE1EEEvSM_
; %bb.0:
	.section	.rodata,"a",@progbits
	.p2align	6, 0x0
	.amdhsa_kernel _ZN7rocprim17ROCPRIM_400000_NS6detail17trampoline_kernelINS0_14default_configENS1_38merge_sort_block_merge_config_selectorIlNS0_10empty_typeEEEZZNS1_27merge_sort_block_merge_implIS3_PlPS5_mZN2at6native12_GLOBAL__N_124unique_dim_cuda_templateIdEESt5tupleIJNSA_6TensorESF_SF_EERKSF_lbbbEUlllE_EE10hipError_tT0_T1_T2_jT3_P12ihipStream_tbPNSt15iterator_traitsISL_E10value_typeEPNSR_ISM_E10value_typeEPSN_NS1_7vsmem_tEENKUlT_SL_SM_SN_E_clIS8_S8_S9_S9_EESK_S10_SL_SM_SN_EUlS10_E0_NS1_11comp_targetILNS1_3genE9ELNS1_11target_archE1100ELNS1_3gpuE3ELNS1_3repE0EEENS1_38merge_mergepath_config_static_selectorELNS0_4arch9wavefront6targetE1EEEvSM_
		.amdhsa_group_segment_fixed_size 0
		.amdhsa_private_segment_fixed_size 0
		.amdhsa_kernarg_size 88
		.amdhsa_user_sgpr_count 2
		.amdhsa_user_sgpr_dispatch_ptr 0
		.amdhsa_user_sgpr_queue_ptr 0
		.amdhsa_user_sgpr_kernarg_segment_ptr 1
		.amdhsa_user_sgpr_dispatch_id 0
		.amdhsa_user_sgpr_kernarg_preload_length 0
		.amdhsa_user_sgpr_kernarg_preload_offset 0
		.amdhsa_user_sgpr_private_segment_size 0
		.amdhsa_uses_dynamic_stack 0
		.amdhsa_enable_private_segment 0
		.amdhsa_system_sgpr_workgroup_id_x 1
		.amdhsa_system_sgpr_workgroup_id_y 0
		.amdhsa_system_sgpr_workgroup_id_z 0
		.amdhsa_system_sgpr_workgroup_info 0
		.amdhsa_system_vgpr_workitem_id 0
		.amdhsa_next_free_vgpr 1
		.amdhsa_next_free_sgpr 0
		.amdhsa_accum_offset 4
		.amdhsa_reserve_vcc 0
		.amdhsa_float_round_mode_32 0
		.amdhsa_float_round_mode_16_64 0
		.amdhsa_float_denorm_mode_32 3
		.amdhsa_float_denorm_mode_16_64 3
		.amdhsa_dx10_clamp 1
		.amdhsa_ieee_mode 1
		.amdhsa_fp16_overflow 0
		.amdhsa_tg_split 0
		.amdhsa_exception_fp_ieee_invalid_op 0
		.amdhsa_exception_fp_denorm_src 0
		.amdhsa_exception_fp_ieee_div_zero 0
		.amdhsa_exception_fp_ieee_overflow 0
		.amdhsa_exception_fp_ieee_underflow 0
		.amdhsa_exception_fp_ieee_inexact 0
		.amdhsa_exception_int_div_zero 0
	.end_amdhsa_kernel
	.section	.text._ZN7rocprim17ROCPRIM_400000_NS6detail17trampoline_kernelINS0_14default_configENS1_38merge_sort_block_merge_config_selectorIlNS0_10empty_typeEEEZZNS1_27merge_sort_block_merge_implIS3_PlPS5_mZN2at6native12_GLOBAL__N_124unique_dim_cuda_templateIdEESt5tupleIJNSA_6TensorESF_SF_EERKSF_lbbbEUlllE_EE10hipError_tT0_T1_T2_jT3_P12ihipStream_tbPNSt15iterator_traitsISL_E10value_typeEPNSR_ISM_E10value_typeEPSN_NS1_7vsmem_tEENKUlT_SL_SM_SN_E_clIS8_S8_S9_S9_EESK_S10_SL_SM_SN_EUlS10_E0_NS1_11comp_targetILNS1_3genE9ELNS1_11target_archE1100ELNS1_3gpuE3ELNS1_3repE0EEENS1_38merge_mergepath_config_static_selectorELNS0_4arch9wavefront6targetE1EEEvSM_,"axG",@progbits,_ZN7rocprim17ROCPRIM_400000_NS6detail17trampoline_kernelINS0_14default_configENS1_38merge_sort_block_merge_config_selectorIlNS0_10empty_typeEEEZZNS1_27merge_sort_block_merge_implIS3_PlPS5_mZN2at6native12_GLOBAL__N_124unique_dim_cuda_templateIdEESt5tupleIJNSA_6TensorESF_SF_EERKSF_lbbbEUlllE_EE10hipError_tT0_T1_T2_jT3_P12ihipStream_tbPNSt15iterator_traitsISL_E10value_typeEPNSR_ISM_E10value_typeEPSN_NS1_7vsmem_tEENKUlT_SL_SM_SN_E_clIS8_S8_S9_S9_EESK_S10_SL_SM_SN_EUlS10_E0_NS1_11comp_targetILNS1_3genE9ELNS1_11target_archE1100ELNS1_3gpuE3ELNS1_3repE0EEENS1_38merge_mergepath_config_static_selectorELNS0_4arch9wavefront6targetE1EEEvSM_,comdat
.Lfunc_end778:
	.size	_ZN7rocprim17ROCPRIM_400000_NS6detail17trampoline_kernelINS0_14default_configENS1_38merge_sort_block_merge_config_selectorIlNS0_10empty_typeEEEZZNS1_27merge_sort_block_merge_implIS3_PlPS5_mZN2at6native12_GLOBAL__N_124unique_dim_cuda_templateIdEESt5tupleIJNSA_6TensorESF_SF_EERKSF_lbbbEUlllE_EE10hipError_tT0_T1_T2_jT3_P12ihipStream_tbPNSt15iterator_traitsISL_E10value_typeEPNSR_ISM_E10value_typeEPSN_NS1_7vsmem_tEENKUlT_SL_SM_SN_E_clIS8_S8_S9_S9_EESK_S10_SL_SM_SN_EUlS10_E0_NS1_11comp_targetILNS1_3genE9ELNS1_11target_archE1100ELNS1_3gpuE3ELNS1_3repE0EEENS1_38merge_mergepath_config_static_selectorELNS0_4arch9wavefront6targetE1EEEvSM_, .Lfunc_end778-_ZN7rocprim17ROCPRIM_400000_NS6detail17trampoline_kernelINS0_14default_configENS1_38merge_sort_block_merge_config_selectorIlNS0_10empty_typeEEEZZNS1_27merge_sort_block_merge_implIS3_PlPS5_mZN2at6native12_GLOBAL__N_124unique_dim_cuda_templateIdEESt5tupleIJNSA_6TensorESF_SF_EERKSF_lbbbEUlllE_EE10hipError_tT0_T1_T2_jT3_P12ihipStream_tbPNSt15iterator_traitsISL_E10value_typeEPNSR_ISM_E10value_typeEPSN_NS1_7vsmem_tEENKUlT_SL_SM_SN_E_clIS8_S8_S9_S9_EESK_S10_SL_SM_SN_EUlS10_E0_NS1_11comp_targetILNS1_3genE9ELNS1_11target_archE1100ELNS1_3gpuE3ELNS1_3repE0EEENS1_38merge_mergepath_config_static_selectorELNS0_4arch9wavefront6targetE1EEEvSM_
                                        ; -- End function
	.section	.AMDGPU.csdata,"",@progbits
; Kernel info:
; codeLenInByte = 0
; NumSgprs: 6
; NumVgprs: 0
; NumAgprs: 0
; TotalNumVgprs: 0
; ScratchSize: 0
; MemoryBound: 0
; FloatMode: 240
; IeeeMode: 1
; LDSByteSize: 0 bytes/workgroup (compile time only)
; SGPRBlocks: 0
; VGPRBlocks: 0
; NumSGPRsForWavesPerEU: 6
; NumVGPRsForWavesPerEU: 1
; AccumOffset: 4
; Occupancy: 8
; WaveLimiterHint : 0
; COMPUTE_PGM_RSRC2:SCRATCH_EN: 0
; COMPUTE_PGM_RSRC2:USER_SGPR: 2
; COMPUTE_PGM_RSRC2:TRAP_HANDLER: 0
; COMPUTE_PGM_RSRC2:TGID_X_EN: 1
; COMPUTE_PGM_RSRC2:TGID_Y_EN: 0
; COMPUTE_PGM_RSRC2:TGID_Z_EN: 0
; COMPUTE_PGM_RSRC2:TIDIG_COMP_CNT: 0
; COMPUTE_PGM_RSRC3_GFX90A:ACCUM_OFFSET: 0
; COMPUTE_PGM_RSRC3_GFX90A:TG_SPLIT: 0
	.section	.text._ZN7rocprim17ROCPRIM_400000_NS6detail17trampoline_kernelINS0_14default_configENS1_38merge_sort_block_merge_config_selectorIlNS0_10empty_typeEEEZZNS1_27merge_sort_block_merge_implIS3_PlPS5_mZN2at6native12_GLOBAL__N_124unique_dim_cuda_templateIdEESt5tupleIJNSA_6TensorESF_SF_EERKSF_lbbbEUlllE_EE10hipError_tT0_T1_T2_jT3_P12ihipStream_tbPNSt15iterator_traitsISL_E10value_typeEPNSR_ISM_E10value_typeEPSN_NS1_7vsmem_tEENKUlT_SL_SM_SN_E_clIS8_S8_S9_S9_EESK_S10_SL_SM_SN_EUlS10_E0_NS1_11comp_targetILNS1_3genE8ELNS1_11target_archE1030ELNS1_3gpuE2ELNS1_3repE0EEENS1_38merge_mergepath_config_static_selectorELNS0_4arch9wavefront6targetE1EEEvSM_,"axG",@progbits,_ZN7rocprim17ROCPRIM_400000_NS6detail17trampoline_kernelINS0_14default_configENS1_38merge_sort_block_merge_config_selectorIlNS0_10empty_typeEEEZZNS1_27merge_sort_block_merge_implIS3_PlPS5_mZN2at6native12_GLOBAL__N_124unique_dim_cuda_templateIdEESt5tupleIJNSA_6TensorESF_SF_EERKSF_lbbbEUlllE_EE10hipError_tT0_T1_T2_jT3_P12ihipStream_tbPNSt15iterator_traitsISL_E10value_typeEPNSR_ISM_E10value_typeEPSN_NS1_7vsmem_tEENKUlT_SL_SM_SN_E_clIS8_S8_S9_S9_EESK_S10_SL_SM_SN_EUlS10_E0_NS1_11comp_targetILNS1_3genE8ELNS1_11target_archE1030ELNS1_3gpuE2ELNS1_3repE0EEENS1_38merge_mergepath_config_static_selectorELNS0_4arch9wavefront6targetE1EEEvSM_,comdat
	.globl	_ZN7rocprim17ROCPRIM_400000_NS6detail17trampoline_kernelINS0_14default_configENS1_38merge_sort_block_merge_config_selectorIlNS0_10empty_typeEEEZZNS1_27merge_sort_block_merge_implIS3_PlPS5_mZN2at6native12_GLOBAL__N_124unique_dim_cuda_templateIdEESt5tupleIJNSA_6TensorESF_SF_EERKSF_lbbbEUlllE_EE10hipError_tT0_T1_T2_jT3_P12ihipStream_tbPNSt15iterator_traitsISL_E10value_typeEPNSR_ISM_E10value_typeEPSN_NS1_7vsmem_tEENKUlT_SL_SM_SN_E_clIS8_S8_S9_S9_EESK_S10_SL_SM_SN_EUlS10_E0_NS1_11comp_targetILNS1_3genE8ELNS1_11target_archE1030ELNS1_3gpuE2ELNS1_3repE0EEENS1_38merge_mergepath_config_static_selectorELNS0_4arch9wavefront6targetE1EEEvSM_ ; -- Begin function _ZN7rocprim17ROCPRIM_400000_NS6detail17trampoline_kernelINS0_14default_configENS1_38merge_sort_block_merge_config_selectorIlNS0_10empty_typeEEEZZNS1_27merge_sort_block_merge_implIS3_PlPS5_mZN2at6native12_GLOBAL__N_124unique_dim_cuda_templateIdEESt5tupleIJNSA_6TensorESF_SF_EERKSF_lbbbEUlllE_EE10hipError_tT0_T1_T2_jT3_P12ihipStream_tbPNSt15iterator_traitsISL_E10value_typeEPNSR_ISM_E10value_typeEPSN_NS1_7vsmem_tEENKUlT_SL_SM_SN_E_clIS8_S8_S9_S9_EESK_S10_SL_SM_SN_EUlS10_E0_NS1_11comp_targetILNS1_3genE8ELNS1_11target_archE1030ELNS1_3gpuE2ELNS1_3repE0EEENS1_38merge_mergepath_config_static_selectorELNS0_4arch9wavefront6targetE1EEEvSM_
	.p2align	8
	.type	_ZN7rocprim17ROCPRIM_400000_NS6detail17trampoline_kernelINS0_14default_configENS1_38merge_sort_block_merge_config_selectorIlNS0_10empty_typeEEEZZNS1_27merge_sort_block_merge_implIS3_PlPS5_mZN2at6native12_GLOBAL__N_124unique_dim_cuda_templateIdEESt5tupleIJNSA_6TensorESF_SF_EERKSF_lbbbEUlllE_EE10hipError_tT0_T1_T2_jT3_P12ihipStream_tbPNSt15iterator_traitsISL_E10value_typeEPNSR_ISM_E10value_typeEPSN_NS1_7vsmem_tEENKUlT_SL_SM_SN_E_clIS8_S8_S9_S9_EESK_S10_SL_SM_SN_EUlS10_E0_NS1_11comp_targetILNS1_3genE8ELNS1_11target_archE1030ELNS1_3gpuE2ELNS1_3repE0EEENS1_38merge_mergepath_config_static_selectorELNS0_4arch9wavefront6targetE1EEEvSM_,@function
_ZN7rocprim17ROCPRIM_400000_NS6detail17trampoline_kernelINS0_14default_configENS1_38merge_sort_block_merge_config_selectorIlNS0_10empty_typeEEEZZNS1_27merge_sort_block_merge_implIS3_PlPS5_mZN2at6native12_GLOBAL__N_124unique_dim_cuda_templateIdEESt5tupleIJNSA_6TensorESF_SF_EERKSF_lbbbEUlllE_EE10hipError_tT0_T1_T2_jT3_P12ihipStream_tbPNSt15iterator_traitsISL_E10value_typeEPNSR_ISM_E10value_typeEPSN_NS1_7vsmem_tEENKUlT_SL_SM_SN_E_clIS8_S8_S9_S9_EESK_S10_SL_SM_SN_EUlS10_E0_NS1_11comp_targetILNS1_3genE8ELNS1_11target_archE1030ELNS1_3gpuE2ELNS1_3repE0EEENS1_38merge_mergepath_config_static_selectorELNS0_4arch9wavefront6targetE1EEEvSM_: ; @_ZN7rocprim17ROCPRIM_400000_NS6detail17trampoline_kernelINS0_14default_configENS1_38merge_sort_block_merge_config_selectorIlNS0_10empty_typeEEEZZNS1_27merge_sort_block_merge_implIS3_PlPS5_mZN2at6native12_GLOBAL__N_124unique_dim_cuda_templateIdEESt5tupleIJNSA_6TensorESF_SF_EERKSF_lbbbEUlllE_EE10hipError_tT0_T1_T2_jT3_P12ihipStream_tbPNSt15iterator_traitsISL_E10value_typeEPNSR_ISM_E10value_typeEPSN_NS1_7vsmem_tEENKUlT_SL_SM_SN_E_clIS8_S8_S9_S9_EESK_S10_SL_SM_SN_EUlS10_E0_NS1_11comp_targetILNS1_3genE8ELNS1_11target_archE1030ELNS1_3gpuE2ELNS1_3repE0EEENS1_38merge_mergepath_config_static_selectorELNS0_4arch9wavefront6targetE1EEEvSM_
; %bb.0:
	.section	.rodata,"a",@progbits
	.p2align	6, 0x0
	.amdhsa_kernel _ZN7rocprim17ROCPRIM_400000_NS6detail17trampoline_kernelINS0_14default_configENS1_38merge_sort_block_merge_config_selectorIlNS0_10empty_typeEEEZZNS1_27merge_sort_block_merge_implIS3_PlPS5_mZN2at6native12_GLOBAL__N_124unique_dim_cuda_templateIdEESt5tupleIJNSA_6TensorESF_SF_EERKSF_lbbbEUlllE_EE10hipError_tT0_T1_T2_jT3_P12ihipStream_tbPNSt15iterator_traitsISL_E10value_typeEPNSR_ISM_E10value_typeEPSN_NS1_7vsmem_tEENKUlT_SL_SM_SN_E_clIS8_S8_S9_S9_EESK_S10_SL_SM_SN_EUlS10_E0_NS1_11comp_targetILNS1_3genE8ELNS1_11target_archE1030ELNS1_3gpuE2ELNS1_3repE0EEENS1_38merge_mergepath_config_static_selectorELNS0_4arch9wavefront6targetE1EEEvSM_
		.amdhsa_group_segment_fixed_size 0
		.amdhsa_private_segment_fixed_size 0
		.amdhsa_kernarg_size 88
		.amdhsa_user_sgpr_count 2
		.amdhsa_user_sgpr_dispatch_ptr 0
		.amdhsa_user_sgpr_queue_ptr 0
		.amdhsa_user_sgpr_kernarg_segment_ptr 1
		.amdhsa_user_sgpr_dispatch_id 0
		.amdhsa_user_sgpr_kernarg_preload_length 0
		.amdhsa_user_sgpr_kernarg_preload_offset 0
		.amdhsa_user_sgpr_private_segment_size 0
		.amdhsa_uses_dynamic_stack 0
		.amdhsa_enable_private_segment 0
		.amdhsa_system_sgpr_workgroup_id_x 1
		.amdhsa_system_sgpr_workgroup_id_y 0
		.amdhsa_system_sgpr_workgroup_id_z 0
		.amdhsa_system_sgpr_workgroup_info 0
		.amdhsa_system_vgpr_workitem_id 0
		.amdhsa_next_free_vgpr 1
		.amdhsa_next_free_sgpr 0
		.amdhsa_accum_offset 4
		.amdhsa_reserve_vcc 0
		.amdhsa_float_round_mode_32 0
		.amdhsa_float_round_mode_16_64 0
		.amdhsa_float_denorm_mode_32 3
		.amdhsa_float_denorm_mode_16_64 3
		.amdhsa_dx10_clamp 1
		.amdhsa_ieee_mode 1
		.amdhsa_fp16_overflow 0
		.amdhsa_tg_split 0
		.amdhsa_exception_fp_ieee_invalid_op 0
		.amdhsa_exception_fp_denorm_src 0
		.amdhsa_exception_fp_ieee_div_zero 0
		.amdhsa_exception_fp_ieee_overflow 0
		.amdhsa_exception_fp_ieee_underflow 0
		.amdhsa_exception_fp_ieee_inexact 0
		.amdhsa_exception_int_div_zero 0
	.end_amdhsa_kernel
	.section	.text._ZN7rocprim17ROCPRIM_400000_NS6detail17trampoline_kernelINS0_14default_configENS1_38merge_sort_block_merge_config_selectorIlNS0_10empty_typeEEEZZNS1_27merge_sort_block_merge_implIS3_PlPS5_mZN2at6native12_GLOBAL__N_124unique_dim_cuda_templateIdEESt5tupleIJNSA_6TensorESF_SF_EERKSF_lbbbEUlllE_EE10hipError_tT0_T1_T2_jT3_P12ihipStream_tbPNSt15iterator_traitsISL_E10value_typeEPNSR_ISM_E10value_typeEPSN_NS1_7vsmem_tEENKUlT_SL_SM_SN_E_clIS8_S8_S9_S9_EESK_S10_SL_SM_SN_EUlS10_E0_NS1_11comp_targetILNS1_3genE8ELNS1_11target_archE1030ELNS1_3gpuE2ELNS1_3repE0EEENS1_38merge_mergepath_config_static_selectorELNS0_4arch9wavefront6targetE1EEEvSM_,"axG",@progbits,_ZN7rocprim17ROCPRIM_400000_NS6detail17trampoline_kernelINS0_14default_configENS1_38merge_sort_block_merge_config_selectorIlNS0_10empty_typeEEEZZNS1_27merge_sort_block_merge_implIS3_PlPS5_mZN2at6native12_GLOBAL__N_124unique_dim_cuda_templateIdEESt5tupleIJNSA_6TensorESF_SF_EERKSF_lbbbEUlllE_EE10hipError_tT0_T1_T2_jT3_P12ihipStream_tbPNSt15iterator_traitsISL_E10value_typeEPNSR_ISM_E10value_typeEPSN_NS1_7vsmem_tEENKUlT_SL_SM_SN_E_clIS8_S8_S9_S9_EESK_S10_SL_SM_SN_EUlS10_E0_NS1_11comp_targetILNS1_3genE8ELNS1_11target_archE1030ELNS1_3gpuE2ELNS1_3repE0EEENS1_38merge_mergepath_config_static_selectorELNS0_4arch9wavefront6targetE1EEEvSM_,comdat
.Lfunc_end779:
	.size	_ZN7rocprim17ROCPRIM_400000_NS6detail17trampoline_kernelINS0_14default_configENS1_38merge_sort_block_merge_config_selectorIlNS0_10empty_typeEEEZZNS1_27merge_sort_block_merge_implIS3_PlPS5_mZN2at6native12_GLOBAL__N_124unique_dim_cuda_templateIdEESt5tupleIJNSA_6TensorESF_SF_EERKSF_lbbbEUlllE_EE10hipError_tT0_T1_T2_jT3_P12ihipStream_tbPNSt15iterator_traitsISL_E10value_typeEPNSR_ISM_E10value_typeEPSN_NS1_7vsmem_tEENKUlT_SL_SM_SN_E_clIS8_S8_S9_S9_EESK_S10_SL_SM_SN_EUlS10_E0_NS1_11comp_targetILNS1_3genE8ELNS1_11target_archE1030ELNS1_3gpuE2ELNS1_3repE0EEENS1_38merge_mergepath_config_static_selectorELNS0_4arch9wavefront6targetE1EEEvSM_, .Lfunc_end779-_ZN7rocprim17ROCPRIM_400000_NS6detail17trampoline_kernelINS0_14default_configENS1_38merge_sort_block_merge_config_selectorIlNS0_10empty_typeEEEZZNS1_27merge_sort_block_merge_implIS3_PlPS5_mZN2at6native12_GLOBAL__N_124unique_dim_cuda_templateIdEESt5tupleIJNSA_6TensorESF_SF_EERKSF_lbbbEUlllE_EE10hipError_tT0_T1_T2_jT3_P12ihipStream_tbPNSt15iterator_traitsISL_E10value_typeEPNSR_ISM_E10value_typeEPSN_NS1_7vsmem_tEENKUlT_SL_SM_SN_E_clIS8_S8_S9_S9_EESK_S10_SL_SM_SN_EUlS10_E0_NS1_11comp_targetILNS1_3genE8ELNS1_11target_archE1030ELNS1_3gpuE2ELNS1_3repE0EEENS1_38merge_mergepath_config_static_selectorELNS0_4arch9wavefront6targetE1EEEvSM_
                                        ; -- End function
	.section	.AMDGPU.csdata,"",@progbits
; Kernel info:
; codeLenInByte = 0
; NumSgprs: 6
; NumVgprs: 0
; NumAgprs: 0
; TotalNumVgprs: 0
; ScratchSize: 0
; MemoryBound: 0
; FloatMode: 240
; IeeeMode: 1
; LDSByteSize: 0 bytes/workgroup (compile time only)
; SGPRBlocks: 0
; VGPRBlocks: 0
; NumSGPRsForWavesPerEU: 6
; NumVGPRsForWavesPerEU: 1
; AccumOffset: 4
; Occupancy: 8
; WaveLimiterHint : 0
; COMPUTE_PGM_RSRC2:SCRATCH_EN: 0
; COMPUTE_PGM_RSRC2:USER_SGPR: 2
; COMPUTE_PGM_RSRC2:TRAP_HANDLER: 0
; COMPUTE_PGM_RSRC2:TGID_X_EN: 1
; COMPUTE_PGM_RSRC2:TGID_Y_EN: 0
; COMPUTE_PGM_RSRC2:TGID_Z_EN: 0
; COMPUTE_PGM_RSRC2:TIDIG_COMP_CNT: 0
; COMPUTE_PGM_RSRC3_GFX90A:ACCUM_OFFSET: 0
; COMPUTE_PGM_RSRC3_GFX90A:TG_SPLIT: 0
	.section	.text._ZN7rocprim17ROCPRIM_400000_NS6detail17trampoline_kernelINS0_14default_configENS1_38merge_sort_block_merge_config_selectorIlNS0_10empty_typeEEEZZNS1_27merge_sort_block_merge_implIS3_PlPS5_mZN2at6native12_GLOBAL__N_124unique_dim_cuda_templateIdEESt5tupleIJNSA_6TensorESF_SF_EERKSF_lbbbEUlllE_EE10hipError_tT0_T1_T2_jT3_P12ihipStream_tbPNSt15iterator_traitsISL_E10value_typeEPNSR_ISM_E10value_typeEPSN_NS1_7vsmem_tEENKUlT_SL_SM_SN_E_clIS8_S8_S9_S9_EESK_S10_SL_SM_SN_EUlS10_E1_NS1_11comp_targetILNS1_3genE0ELNS1_11target_archE4294967295ELNS1_3gpuE0ELNS1_3repE0EEENS1_36merge_oddeven_config_static_selectorELNS0_4arch9wavefront6targetE1EEEvSM_,"axG",@progbits,_ZN7rocprim17ROCPRIM_400000_NS6detail17trampoline_kernelINS0_14default_configENS1_38merge_sort_block_merge_config_selectorIlNS0_10empty_typeEEEZZNS1_27merge_sort_block_merge_implIS3_PlPS5_mZN2at6native12_GLOBAL__N_124unique_dim_cuda_templateIdEESt5tupleIJNSA_6TensorESF_SF_EERKSF_lbbbEUlllE_EE10hipError_tT0_T1_T2_jT3_P12ihipStream_tbPNSt15iterator_traitsISL_E10value_typeEPNSR_ISM_E10value_typeEPSN_NS1_7vsmem_tEENKUlT_SL_SM_SN_E_clIS8_S8_S9_S9_EESK_S10_SL_SM_SN_EUlS10_E1_NS1_11comp_targetILNS1_3genE0ELNS1_11target_archE4294967295ELNS1_3gpuE0ELNS1_3repE0EEENS1_36merge_oddeven_config_static_selectorELNS0_4arch9wavefront6targetE1EEEvSM_,comdat
	.globl	_ZN7rocprim17ROCPRIM_400000_NS6detail17trampoline_kernelINS0_14default_configENS1_38merge_sort_block_merge_config_selectorIlNS0_10empty_typeEEEZZNS1_27merge_sort_block_merge_implIS3_PlPS5_mZN2at6native12_GLOBAL__N_124unique_dim_cuda_templateIdEESt5tupleIJNSA_6TensorESF_SF_EERKSF_lbbbEUlllE_EE10hipError_tT0_T1_T2_jT3_P12ihipStream_tbPNSt15iterator_traitsISL_E10value_typeEPNSR_ISM_E10value_typeEPSN_NS1_7vsmem_tEENKUlT_SL_SM_SN_E_clIS8_S8_S9_S9_EESK_S10_SL_SM_SN_EUlS10_E1_NS1_11comp_targetILNS1_3genE0ELNS1_11target_archE4294967295ELNS1_3gpuE0ELNS1_3repE0EEENS1_36merge_oddeven_config_static_selectorELNS0_4arch9wavefront6targetE1EEEvSM_ ; -- Begin function _ZN7rocprim17ROCPRIM_400000_NS6detail17trampoline_kernelINS0_14default_configENS1_38merge_sort_block_merge_config_selectorIlNS0_10empty_typeEEEZZNS1_27merge_sort_block_merge_implIS3_PlPS5_mZN2at6native12_GLOBAL__N_124unique_dim_cuda_templateIdEESt5tupleIJNSA_6TensorESF_SF_EERKSF_lbbbEUlllE_EE10hipError_tT0_T1_T2_jT3_P12ihipStream_tbPNSt15iterator_traitsISL_E10value_typeEPNSR_ISM_E10value_typeEPSN_NS1_7vsmem_tEENKUlT_SL_SM_SN_E_clIS8_S8_S9_S9_EESK_S10_SL_SM_SN_EUlS10_E1_NS1_11comp_targetILNS1_3genE0ELNS1_11target_archE4294967295ELNS1_3gpuE0ELNS1_3repE0EEENS1_36merge_oddeven_config_static_selectorELNS0_4arch9wavefront6targetE1EEEvSM_
	.p2align	8
	.type	_ZN7rocprim17ROCPRIM_400000_NS6detail17trampoline_kernelINS0_14default_configENS1_38merge_sort_block_merge_config_selectorIlNS0_10empty_typeEEEZZNS1_27merge_sort_block_merge_implIS3_PlPS5_mZN2at6native12_GLOBAL__N_124unique_dim_cuda_templateIdEESt5tupleIJNSA_6TensorESF_SF_EERKSF_lbbbEUlllE_EE10hipError_tT0_T1_T2_jT3_P12ihipStream_tbPNSt15iterator_traitsISL_E10value_typeEPNSR_ISM_E10value_typeEPSN_NS1_7vsmem_tEENKUlT_SL_SM_SN_E_clIS8_S8_S9_S9_EESK_S10_SL_SM_SN_EUlS10_E1_NS1_11comp_targetILNS1_3genE0ELNS1_11target_archE4294967295ELNS1_3gpuE0ELNS1_3repE0EEENS1_36merge_oddeven_config_static_selectorELNS0_4arch9wavefront6targetE1EEEvSM_,@function
_ZN7rocprim17ROCPRIM_400000_NS6detail17trampoline_kernelINS0_14default_configENS1_38merge_sort_block_merge_config_selectorIlNS0_10empty_typeEEEZZNS1_27merge_sort_block_merge_implIS3_PlPS5_mZN2at6native12_GLOBAL__N_124unique_dim_cuda_templateIdEESt5tupleIJNSA_6TensorESF_SF_EERKSF_lbbbEUlllE_EE10hipError_tT0_T1_T2_jT3_P12ihipStream_tbPNSt15iterator_traitsISL_E10value_typeEPNSR_ISM_E10value_typeEPSN_NS1_7vsmem_tEENKUlT_SL_SM_SN_E_clIS8_S8_S9_S9_EESK_S10_SL_SM_SN_EUlS10_E1_NS1_11comp_targetILNS1_3genE0ELNS1_11target_archE4294967295ELNS1_3gpuE0ELNS1_3repE0EEENS1_36merge_oddeven_config_static_selectorELNS0_4arch9wavefront6targetE1EEEvSM_: ; @_ZN7rocprim17ROCPRIM_400000_NS6detail17trampoline_kernelINS0_14default_configENS1_38merge_sort_block_merge_config_selectorIlNS0_10empty_typeEEEZZNS1_27merge_sort_block_merge_implIS3_PlPS5_mZN2at6native12_GLOBAL__N_124unique_dim_cuda_templateIdEESt5tupleIJNSA_6TensorESF_SF_EERKSF_lbbbEUlllE_EE10hipError_tT0_T1_T2_jT3_P12ihipStream_tbPNSt15iterator_traitsISL_E10value_typeEPNSR_ISM_E10value_typeEPSN_NS1_7vsmem_tEENKUlT_SL_SM_SN_E_clIS8_S8_S9_S9_EESK_S10_SL_SM_SN_EUlS10_E1_NS1_11comp_targetILNS1_3genE0ELNS1_11target_archE4294967295ELNS1_3gpuE0ELNS1_3repE0EEENS1_36merge_oddeven_config_static_selectorELNS0_4arch9wavefront6targetE1EEEvSM_
; %bb.0:
	.section	.rodata,"a",@progbits
	.p2align	6, 0x0
	.amdhsa_kernel _ZN7rocprim17ROCPRIM_400000_NS6detail17trampoline_kernelINS0_14default_configENS1_38merge_sort_block_merge_config_selectorIlNS0_10empty_typeEEEZZNS1_27merge_sort_block_merge_implIS3_PlPS5_mZN2at6native12_GLOBAL__N_124unique_dim_cuda_templateIdEESt5tupleIJNSA_6TensorESF_SF_EERKSF_lbbbEUlllE_EE10hipError_tT0_T1_T2_jT3_P12ihipStream_tbPNSt15iterator_traitsISL_E10value_typeEPNSR_ISM_E10value_typeEPSN_NS1_7vsmem_tEENKUlT_SL_SM_SN_E_clIS8_S8_S9_S9_EESK_S10_SL_SM_SN_EUlS10_E1_NS1_11comp_targetILNS1_3genE0ELNS1_11target_archE4294967295ELNS1_3gpuE0ELNS1_3repE0EEENS1_36merge_oddeven_config_static_selectorELNS0_4arch9wavefront6targetE1EEEvSM_
		.amdhsa_group_segment_fixed_size 0
		.amdhsa_private_segment_fixed_size 0
		.amdhsa_kernarg_size 64
		.amdhsa_user_sgpr_count 2
		.amdhsa_user_sgpr_dispatch_ptr 0
		.amdhsa_user_sgpr_queue_ptr 0
		.amdhsa_user_sgpr_kernarg_segment_ptr 1
		.amdhsa_user_sgpr_dispatch_id 0
		.amdhsa_user_sgpr_kernarg_preload_length 0
		.amdhsa_user_sgpr_kernarg_preload_offset 0
		.amdhsa_user_sgpr_private_segment_size 0
		.amdhsa_uses_dynamic_stack 0
		.amdhsa_enable_private_segment 0
		.amdhsa_system_sgpr_workgroup_id_x 1
		.amdhsa_system_sgpr_workgroup_id_y 0
		.amdhsa_system_sgpr_workgroup_id_z 0
		.amdhsa_system_sgpr_workgroup_info 0
		.amdhsa_system_vgpr_workitem_id 0
		.amdhsa_next_free_vgpr 1
		.amdhsa_next_free_sgpr 0
		.amdhsa_accum_offset 4
		.amdhsa_reserve_vcc 0
		.amdhsa_float_round_mode_32 0
		.amdhsa_float_round_mode_16_64 0
		.amdhsa_float_denorm_mode_32 3
		.amdhsa_float_denorm_mode_16_64 3
		.amdhsa_dx10_clamp 1
		.amdhsa_ieee_mode 1
		.amdhsa_fp16_overflow 0
		.amdhsa_tg_split 0
		.amdhsa_exception_fp_ieee_invalid_op 0
		.amdhsa_exception_fp_denorm_src 0
		.amdhsa_exception_fp_ieee_div_zero 0
		.amdhsa_exception_fp_ieee_overflow 0
		.amdhsa_exception_fp_ieee_underflow 0
		.amdhsa_exception_fp_ieee_inexact 0
		.amdhsa_exception_int_div_zero 0
	.end_amdhsa_kernel
	.section	.text._ZN7rocprim17ROCPRIM_400000_NS6detail17trampoline_kernelINS0_14default_configENS1_38merge_sort_block_merge_config_selectorIlNS0_10empty_typeEEEZZNS1_27merge_sort_block_merge_implIS3_PlPS5_mZN2at6native12_GLOBAL__N_124unique_dim_cuda_templateIdEESt5tupleIJNSA_6TensorESF_SF_EERKSF_lbbbEUlllE_EE10hipError_tT0_T1_T2_jT3_P12ihipStream_tbPNSt15iterator_traitsISL_E10value_typeEPNSR_ISM_E10value_typeEPSN_NS1_7vsmem_tEENKUlT_SL_SM_SN_E_clIS8_S8_S9_S9_EESK_S10_SL_SM_SN_EUlS10_E1_NS1_11comp_targetILNS1_3genE0ELNS1_11target_archE4294967295ELNS1_3gpuE0ELNS1_3repE0EEENS1_36merge_oddeven_config_static_selectorELNS0_4arch9wavefront6targetE1EEEvSM_,"axG",@progbits,_ZN7rocprim17ROCPRIM_400000_NS6detail17trampoline_kernelINS0_14default_configENS1_38merge_sort_block_merge_config_selectorIlNS0_10empty_typeEEEZZNS1_27merge_sort_block_merge_implIS3_PlPS5_mZN2at6native12_GLOBAL__N_124unique_dim_cuda_templateIdEESt5tupleIJNSA_6TensorESF_SF_EERKSF_lbbbEUlllE_EE10hipError_tT0_T1_T2_jT3_P12ihipStream_tbPNSt15iterator_traitsISL_E10value_typeEPNSR_ISM_E10value_typeEPSN_NS1_7vsmem_tEENKUlT_SL_SM_SN_E_clIS8_S8_S9_S9_EESK_S10_SL_SM_SN_EUlS10_E1_NS1_11comp_targetILNS1_3genE0ELNS1_11target_archE4294967295ELNS1_3gpuE0ELNS1_3repE0EEENS1_36merge_oddeven_config_static_selectorELNS0_4arch9wavefront6targetE1EEEvSM_,comdat
.Lfunc_end780:
	.size	_ZN7rocprim17ROCPRIM_400000_NS6detail17trampoline_kernelINS0_14default_configENS1_38merge_sort_block_merge_config_selectorIlNS0_10empty_typeEEEZZNS1_27merge_sort_block_merge_implIS3_PlPS5_mZN2at6native12_GLOBAL__N_124unique_dim_cuda_templateIdEESt5tupleIJNSA_6TensorESF_SF_EERKSF_lbbbEUlllE_EE10hipError_tT0_T1_T2_jT3_P12ihipStream_tbPNSt15iterator_traitsISL_E10value_typeEPNSR_ISM_E10value_typeEPSN_NS1_7vsmem_tEENKUlT_SL_SM_SN_E_clIS8_S8_S9_S9_EESK_S10_SL_SM_SN_EUlS10_E1_NS1_11comp_targetILNS1_3genE0ELNS1_11target_archE4294967295ELNS1_3gpuE0ELNS1_3repE0EEENS1_36merge_oddeven_config_static_selectorELNS0_4arch9wavefront6targetE1EEEvSM_, .Lfunc_end780-_ZN7rocprim17ROCPRIM_400000_NS6detail17trampoline_kernelINS0_14default_configENS1_38merge_sort_block_merge_config_selectorIlNS0_10empty_typeEEEZZNS1_27merge_sort_block_merge_implIS3_PlPS5_mZN2at6native12_GLOBAL__N_124unique_dim_cuda_templateIdEESt5tupleIJNSA_6TensorESF_SF_EERKSF_lbbbEUlllE_EE10hipError_tT0_T1_T2_jT3_P12ihipStream_tbPNSt15iterator_traitsISL_E10value_typeEPNSR_ISM_E10value_typeEPSN_NS1_7vsmem_tEENKUlT_SL_SM_SN_E_clIS8_S8_S9_S9_EESK_S10_SL_SM_SN_EUlS10_E1_NS1_11comp_targetILNS1_3genE0ELNS1_11target_archE4294967295ELNS1_3gpuE0ELNS1_3repE0EEENS1_36merge_oddeven_config_static_selectorELNS0_4arch9wavefront6targetE1EEEvSM_
                                        ; -- End function
	.section	.AMDGPU.csdata,"",@progbits
; Kernel info:
; codeLenInByte = 0
; NumSgprs: 6
; NumVgprs: 0
; NumAgprs: 0
; TotalNumVgprs: 0
; ScratchSize: 0
; MemoryBound: 0
; FloatMode: 240
; IeeeMode: 1
; LDSByteSize: 0 bytes/workgroup (compile time only)
; SGPRBlocks: 0
; VGPRBlocks: 0
; NumSGPRsForWavesPerEU: 6
; NumVGPRsForWavesPerEU: 1
; AccumOffset: 4
; Occupancy: 8
; WaveLimiterHint : 0
; COMPUTE_PGM_RSRC2:SCRATCH_EN: 0
; COMPUTE_PGM_RSRC2:USER_SGPR: 2
; COMPUTE_PGM_RSRC2:TRAP_HANDLER: 0
; COMPUTE_PGM_RSRC2:TGID_X_EN: 1
; COMPUTE_PGM_RSRC2:TGID_Y_EN: 0
; COMPUTE_PGM_RSRC2:TGID_Z_EN: 0
; COMPUTE_PGM_RSRC2:TIDIG_COMP_CNT: 0
; COMPUTE_PGM_RSRC3_GFX90A:ACCUM_OFFSET: 0
; COMPUTE_PGM_RSRC3_GFX90A:TG_SPLIT: 0
	.section	.text._ZN7rocprim17ROCPRIM_400000_NS6detail17trampoline_kernelINS0_14default_configENS1_38merge_sort_block_merge_config_selectorIlNS0_10empty_typeEEEZZNS1_27merge_sort_block_merge_implIS3_PlPS5_mZN2at6native12_GLOBAL__N_124unique_dim_cuda_templateIdEESt5tupleIJNSA_6TensorESF_SF_EERKSF_lbbbEUlllE_EE10hipError_tT0_T1_T2_jT3_P12ihipStream_tbPNSt15iterator_traitsISL_E10value_typeEPNSR_ISM_E10value_typeEPSN_NS1_7vsmem_tEENKUlT_SL_SM_SN_E_clIS8_S8_S9_S9_EESK_S10_SL_SM_SN_EUlS10_E1_NS1_11comp_targetILNS1_3genE10ELNS1_11target_archE1201ELNS1_3gpuE5ELNS1_3repE0EEENS1_36merge_oddeven_config_static_selectorELNS0_4arch9wavefront6targetE1EEEvSM_,"axG",@progbits,_ZN7rocprim17ROCPRIM_400000_NS6detail17trampoline_kernelINS0_14default_configENS1_38merge_sort_block_merge_config_selectorIlNS0_10empty_typeEEEZZNS1_27merge_sort_block_merge_implIS3_PlPS5_mZN2at6native12_GLOBAL__N_124unique_dim_cuda_templateIdEESt5tupleIJNSA_6TensorESF_SF_EERKSF_lbbbEUlllE_EE10hipError_tT0_T1_T2_jT3_P12ihipStream_tbPNSt15iterator_traitsISL_E10value_typeEPNSR_ISM_E10value_typeEPSN_NS1_7vsmem_tEENKUlT_SL_SM_SN_E_clIS8_S8_S9_S9_EESK_S10_SL_SM_SN_EUlS10_E1_NS1_11comp_targetILNS1_3genE10ELNS1_11target_archE1201ELNS1_3gpuE5ELNS1_3repE0EEENS1_36merge_oddeven_config_static_selectorELNS0_4arch9wavefront6targetE1EEEvSM_,comdat
	.globl	_ZN7rocprim17ROCPRIM_400000_NS6detail17trampoline_kernelINS0_14default_configENS1_38merge_sort_block_merge_config_selectorIlNS0_10empty_typeEEEZZNS1_27merge_sort_block_merge_implIS3_PlPS5_mZN2at6native12_GLOBAL__N_124unique_dim_cuda_templateIdEESt5tupleIJNSA_6TensorESF_SF_EERKSF_lbbbEUlllE_EE10hipError_tT0_T1_T2_jT3_P12ihipStream_tbPNSt15iterator_traitsISL_E10value_typeEPNSR_ISM_E10value_typeEPSN_NS1_7vsmem_tEENKUlT_SL_SM_SN_E_clIS8_S8_S9_S9_EESK_S10_SL_SM_SN_EUlS10_E1_NS1_11comp_targetILNS1_3genE10ELNS1_11target_archE1201ELNS1_3gpuE5ELNS1_3repE0EEENS1_36merge_oddeven_config_static_selectorELNS0_4arch9wavefront6targetE1EEEvSM_ ; -- Begin function _ZN7rocprim17ROCPRIM_400000_NS6detail17trampoline_kernelINS0_14default_configENS1_38merge_sort_block_merge_config_selectorIlNS0_10empty_typeEEEZZNS1_27merge_sort_block_merge_implIS3_PlPS5_mZN2at6native12_GLOBAL__N_124unique_dim_cuda_templateIdEESt5tupleIJNSA_6TensorESF_SF_EERKSF_lbbbEUlllE_EE10hipError_tT0_T1_T2_jT3_P12ihipStream_tbPNSt15iterator_traitsISL_E10value_typeEPNSR_ISM_E10value_typeEPSN_NS1_7vsmem_tEENKUlT_SL_SM_SN_E_clIS8_S8_S9_S9_EESK_S10_SL_SM_SN_EUlS10_E1_NS1_11comp_targetILNS1_3genE10ELNS1_11target_archE1201ELNS1_3gpuE5ELNS1_3repE0EEENS1_36merge_oddeven_config_static_selectorELNS0_4arch9wavefront6targetE1EEEvSM_
	.p2align	8
	.type	_ZN7rocprim17ROCPRIM_400000_NS6detail17trampoline_kernelINS0_14default_configENS1_38merge_sort_block_merge_config_selectorIlNS0_10empty_typeEEEZZNS1_27merge_sort_block_merge_implIS3_PlPS5_mZN2at6native12_GLOBAL__N_124unique_dim_cuda_templateIdEESt5tupleIJNSA_6TensorESF_SF_EERKSF_lbbbEUlllE_EE10hipError_tT0_T1_T2_jT3_P12ihipStream_tbPNSt15iterator_traitsISL_E10value_typeEPNSR_ISM_E10value_typeEPSN_NS1_7vsmem_tEENKUlT_SL_SM_SN_E_clIS8_S8_S9_S9_EESK_S10_SL_SM_SN_EUlS10_E1_NS1_11comp_targetILNS1_3genE10ELNS1_11target_archE1201ELNS1_3gpuE5ELNS1_3repE0EEENS1_36merge_oddeven_config_static_selectorELNS0_4arch9wavefront6targetE1EEEvSM_,@function
_ZN7rocprim17ROCPRIM_400000_NS6detail17trampoline_kernelINS0_14default_configENS1_38merge_sort_block_merge_config_selectorIlNS0_10empty_typeEEEZZNS1_27merge_sort_block_merge_implIS3_PlPS5_mZN2at6native12_GLOBAL__N_124unique_dim_cuda_templateIdEESt5tupleIJNSA_6TensorESF_SF_EERKSF_lbbbEUlllE_EE10hipError_tT0_T1_T2_jT3_P12ihipStream_tbPNSt15iterator_traitsISL_E10value_typeEPNSR_ISM_E10value_typeEPSN_NS1_7vsmem_tEENKUlT_SL_SM_SN_E_clIS8_S8_S9_S9_EESK_S10_SL_SM_SN_EUlS10_E1_NS1_11comp_targetILNS1_3genE10ELNS1_11target_archE1201ELNS1_3gpuE5ELNS1_3repE0EEENS1_36merge_oddeven_config_static_selectorELNS0_4arch9wavefront6targetE1EEEvSM_: ; @_ZN7rocprim17ROCPRIM_400000_NS6detail17trampoline_kernelINS0_14default_configENS1_38merge_sort_block_merge_config_selectorIlNS0_10empty_typeEEEZZNS1_27merge_sort_block_merge_implIS3_PlPS5_mZN2at6native12_GLOBAL__N_124unique_dim_cuda_templateIdEESt5tupleIJNSA_6TensorESF_SF_EERKSF_lbbbEUlllE_EE10hipError_tT0_T1_T2_jT3_P12ihipStream_tbPNSt15iterator_traitsISL_E10value_typeEPNSR_ISM_E10value_typeEPSN_NS1_7vsmem_tEENKUlT_SL_SM_SN_E_clIS8_S8_S9_S9_EESK_S10_SL_SM_SN_EUlS10_E1_NS1_11comp_targetILNS1_3genE10ELNS1_11target_archE1201ELNS1_3gpuE5ELNS1_3repE0EEENS1_36merge_oddeven_config_static_selectorELNS0_4arch9wavefront6targetE1EEEvSM_
; %bb.0:
	.section	.rodata,"a",@progbits
	.p2align	6, 0x0
	.amdhsa_kernel _ZN7rocprim17ROCPRIM_400000_NS6detail17trampoline_kernelINS0_14default_configENS1_38merge_sort_block_merge_config_selectorIlNS0_10empty_typeEEEZZNS1_27merge_sort_block_merge_implIS3_PlPS5_mZN2at6native12_GLOBAL__N_124unique_dim_cuda_templateIdEESt5tupleIJNSA_6TensorESF_SF_EERKSF_lbbbEUlllE_EE10hipError_tT0_T1_T2_jT3_P12ihipStream_tbPNSt15iterator_traitsISL_E10value_typeEPNSR_ISM_E10value_typeEPSN_NS1_7vsmem_tEENKUlT_SL_SM_SN_E_clIS8_S8_S9_S9_EESK_S10_SL_SM_SN_EUlS10_E1_NS1_11comp_targetILNS1_3genE10ELNS1_11target_archE1201ELNS1_3gpuE5ELNS1_3repE0EEENS1_36merge_oddeven_config_static_selectorELNS0_4arch9wavefront6targetE1EEEvSM_
		.amdhsa_group_segment_fixed_size 0
		.amdhsa_private_segment_fixed_size 0
		.amdhsa_kernarg_size 64
		.amdhsa_user_sgpr_count 2
		.amdhsa_user_sgpr_dispatch_ptr 0
		.amdhsa_user_sgpr_queue_ptr 0
		.amdhsa_user_sgpr_kernarg_segment_ptr 1
		.amdhsa_user_sgpr_dispatch_id 0
		.amdhsa_user_sgpr_kernarg_preload_length 0
		.amdhsa_user_sgpr_kernarg_preload_offset 0
		.amdhsa_user_sgpr_private_segment_size 0
		.amdhsa_uses_dynamic_stack 0
		.amdhsa_enable_private_segment 0
		.amdhsa_system_sgpr_workgroup_id_x 1
		.amdhsa_system_sgpr_workgroup_id_y 0
		.amdhsa_system_sgpr_workgroup_id_z 0
		.amdhsa_system_sgpr_workgroup_info 0
		.amdhsa_system_vgpr_workitem_id 0
		.amdhsa_next_free_vgpr 1
		.amdhsa_next_free_sgpr 0
		.amdhsa_accum_offset 4
		.amdhsa_reserve_vcc 0
		.amdhsa_float_round_mode_32 0
		.amdhsa_float_round_mode_16_64 0
		.amdhsa_float_denorm_mode_32 3
		.amdhsa_float_denorm_mode_16_64 3
		.amdhsa_dx10_clamp 1
		.amdhsa_ieee_mode 1
		.amdhsa_fp16_overflow 0
		.amdhsa_tg_split 0
		.amdhsa_exception_fp_ieee_invalid_op 0
		.amdhsa_exception_fp_denorm_src 0
		.amdhsa_exception_fp_ieee_div_zero 0
		.amdhsa_exception_fp_ieee_overflow 0
		.amdhsa_exception_fp_ieee_underflow 0
		.amdhsa_exception_fp_ieee_inexact 0
		.amdhsa_exception_int_div_zero 0
	.end_amdhsa_kernel
	.section	.text._ZN7rocprim17ROCPRIM_400000_NS6detail17trampoline_kernelINS0_14default_configENS1_38merge_sort_block_merge_config_selectorIlNS0_10empty_typeEEEZZNS1_27merge_sort_block_merge_implIS3_PlPS5_mZN2at6native12_GLOBAL__N_124unique_dim_cuda_templateIdEESt5tupleIJNSA_6TensorESF_SF_EERKSF_lbbbEUlllE_EE10hipError_tT0_T1_T2_jT3_P12ihipStream_tbPNSt15iterator_traitsISL_E10value_typeEPNSR_ISM_E10value_typeEPSN_NS1_7vsmem_tEENKUlT_SL_SM_SN_E_clIS8_S8_S9_S9_EESK_S10_SL_SM_SN_EUlS10_E1_NS1_11comp_targetILNS1_3genE10ELNS1_11target_archE1201ELNS1_3gpuE5ELNS1_3repE0EEENS1_36merge_oddeven_config_static_selectorELNS0_4arch9wavefront6targetE1EEEvSM_,"axG",@progbits,_ZN7rocprim17ROCPRIM_400000_NS6detail17trampoline_kernelINS0_14default_configENS1_38merge_sort_block_merge_config_selectorIlNS0_10empty_typeEEEZZNS1_27merge_sort_block_merge_implIS3_PlPS5_mZN2at6native12_GLOBAL__N_124unique_dim_cuda_templateIdEESt5tupleIJNSA_6TensorESF_SF_EERKSF_lbbbEUlllE_EE10hipError_tT0_T1_T2_jT3_P12ihipStream_tbPNSt15iterator_traitsISL_E10value_typeEPNSR_ISM_E10value_typeEPSN_NS1_7vsmem_tEENKUlT_SL_SM_SN_E_clIS8_S8_S9_S9_EESK_S10_SL_SM_SN_EUlS10_E1_NS1_11comp_targetILNS1_3genE10ELNS1_11target_archE1201ELNS1_3gpuE5ELNS1_3repE0EEENS1_36merge_oddeven_config_static_selectorELNS0_4arch9wavefront6targetE1EEEvSM_,comdat
.Lfunc_end781:
	.size	_ZN7rocprim17ROCPRIM_400000_NS6detail17trampoline_kernelINS0_14default_configENS1_38merge_sort_block_merge_config_selectorIlNS0_10empty_typeEEEZZNS1_27merge_sort_block_merge_implIS3_PlPS5_mZN2at6native12_GLOBAL__N_124unique_dim_cuda_templateIdEESt5tupleIJNSA_6TensorESF_SF_EERKSF_lbbbEUlllE_EE10hipError_tT0_T1_T2_jT3_P12ihipStream_tbPNSt15iterator_traitsISL_E10value_typeEPNSR_ISM_E10value_typeEPSN_NS1_7vsmem_tEENKUlT_SL_SM_SN_E_clIS8_S8_S9_S9_EESK_S10_SL_SM_SN_EUlS10_E1_NS1_11comp_targetILNS1_3genE10ELNS1_11target_archE1201ELNS1_3gpuE5ELNS1_3repE0EEENS1_36merge_oddeven_config_static_selectorELNS0_4arch9wavefront6targetE1EEEvSM_, .Lfunc_end781-_ZN7rocprim17ROCPRIM_400000_NS6detail17trampoline_kernelINS0_14default_configENS1_38merge_sort_block_merge_config_selectorIlNS0_10empty_typeEEEZZNS1_27merge_sort_block_merge_implIS3_PlPS5_mZN2at6native12_GLOBAL__N_124unique_dim_cuda_templateIdEESt5tupleIJNSA_6TensorESF_SF_EERKSF_lbbbEUlllE_EE10hipError_tT0_T1_T2_jT3_P12ihipStream_tbPNSt15iterator_traitsISL_E10value_typeEPNSR_ISM_E10value_typeEPSN_NS1_7vsmem_tEENKUlT_SL_SM_SN_E_clIS8_S8_S9_S9_EESK_S10_SL_SM_SN_EUlS10_E1_NS1_11comp_targetILNS1_3genE10ELNS1_11target_archE1201ELNS1_3gpuE5ELNS1_3repE0EEENS1_36merge_oddeven_config_static_selectorELNS0_4arch9wavefront6targetE1EEEvSM_
                                        ; -- End function
	.section	.AMDGPU.csdata,"",@progbits
; Kernel info:
; codeLenInByte = 0
; NumSgprs: 6
; NumVgprs: 0
; NumAgprs: 0
; TotalNumVgprs: 0
; ScratchSize: 0
; MemoryBound: 0
; FloatMode: 240
; IeeeMode: 1
; LDSByteSize: 0 bytes/workgroup (compile time only)
; SGPRBlocks: 0
; VGPRBlocks: 0
; NumSGPRsForWavesPerEU: 6
; NumVGPRsForWavesPerEU: 1
; AccumOffset: 4
; Occupancy: 8
; WaveLimiterHint : 0
; COMPUTE_PGM_RSRC2:SCRATCH_EN: 0
; COMPUTE_PGM_RSRC2:USER_SGPR: 2
; COMPUTE_PGM_RSRC2:TRAP_HANDLER: 0
; COMPUTE_PGM_RSRC2:TGID_X_EN: 1
; COMPUTE_PGM_RSRC2:TGID_Y_EN: 0
; COMPUTE_PGM_RSRC2:TGID_Z_EN: 0
; COMPUTE_PGM_RSRC2:TIDIG_COMP_CNT: 0
; COMPUTE_PGM_RSRC3_GFX90A:ACCUM_OFFSET: 0
; COMPUTE_PGM_RSRC3_GFX90A:TG_SPLIT: 0
	.section	.text._ZN7rocprim17ROCPRIM_400000_NS6detail17trampoline_kernelINS0_14default_configENS1_38merge_sort_block_merge_config_selectorIlNS0_10empty_typeEEEZZNS1_27merge_sort_block_merge_implIS3_PlPS5_mZN2at6native12_GLOBAL__N_124unique_dim_cuda_templateIdEESt5tupleIJNSA_6TensorESF_SF_EERKSF_lbbbEUlllE_EE10hipError_tT0_T1_T2_jT3_P12ihipStream_tbPNSt15iterator_traitsISL_E10value_typeEPNSR_ISM_E10value_typeEPSN_NS1_7vsmem_tEENKUlT_SL_SM_SN_E_clIS8_S8_S9_S9_EESK_S10_SL_SM_SN_EUlS10_E1_NS1_11comp_targetILNS1_3genE5ELNS1_11target_archE942ELNS1_3gpuE9ELNS1_3repE0EEENS1_36merge_oddeven_config_static_selectorELNS0_4arch9wavefront6targetE1EEEvSM_,"axG",@progbits,_ZN7rocprim17ROCPRIM_400000_NS6detail17trampoline_kernelINS0_14default_configENS1_38merge_sort_block_merge_config_selectorIlNS0_10empty_typeEEEZZNS1_27merge_sort_block_merge_implIS3_PlPS5_mZN2at6native12_GLOBAL__N_124unique_dim_cuda_templateIdEESt5tupleIJNSA_6TensorESF_SF_EERKSF_lbbbEUlllE_EE10hipError_tT0_T1_T2_jT3_P12ihipStream_tbPNSt15iterator_traitsISL_E10value_typeEPNSR_ISM_E10value_typeEPSN_NS1_7vsmem_tEENKUlT_SL_SM_SN_E_clIS8_S8_S9_S9_EESK_S10_SL_SM_SN_EUlS10_E1_NS1_11comp_targetILNS1_3genE5ELNS1_11target_archE942ELNS1_3gpuE9ELNS1_3repE0EEENS1_36merge_oddeven_config_static_selectorELNS0_4arch9wavefront6targetE1EEEvSM_,comdat
	.globl	_ZN7rocprim17ROCPRIM_400000_NS6detail17trampoline_kernelINS0_14default_configENS1_38merge_sort_block_merge_config_selectorIlNS0_10empty_typeEEEZZNS1_27merge_sort_block_merge_implIS3_PlPS5_mZN2at6native12_GLOBAL__N_124unique_dim_cuda_templateIdEESt5tupleIJNSA_6TensorESF_SF_EERKSF_lbbbEUlllE_EE10hipError_tT0_T1_T2_jT3_P12ihipStream_tbPNSt15iterator_traitsISL_E10value_typeEPNSR_ISM_E10value_typeEPSN_NS1_7vsmem_tEENKUlT_SL_SM_SN_E_clIS8_S8_S9_S9_EESK_S10_SL_SM_SN_EUlS10_E1_NS1_11comp_targetILNS1_3genE5ELNS1_11target_archE942ELNS1_3gpuE9ELNS1_3repE0EEENS1_36merge_oddeven_config_static_selectorELNS0_4arch9wavefront6targetE1EEEvSM_ ; -- Begin function _ZN7rocprim17ROCPRIM_400000_NS6detail17trampoline_kernelINS0_14default_configENS1_38merge_sort_block_merge_config_selectorIlNS0_10empty_typeEEEZZNS1_27merge_sort_block_merge_implIS3_PlPS5_mZN2at6native12_GLOBAL__N_124unique_dim_cuda_templateIdEESt5tupleIJNSA_6TensorESF_SF_EERKSF_lbbbEUlllE_EE10hipError_tT0_T1_T2_jT3_P12ihipStream_tbPNSt15iterator_traitsISL_E10value_typeEPNSR_ISM_E10value_typeEPSN_NS1_7vsmem_tEENKUlT_SL_SM_SN_E_clIS8_S8_S9_S9_EESK_S10_SL_SM_SN_EUlS10_E1_NS1_11comp_targetILNS1_3genE5ELNS1_11target_archE942ELNS1_3gpuE9ELNS1_3repE0EEENS1_36merge_oddeven_config_static_selectorELNS0_4arch9wavefront6targetE1EEEvSM_
	.p2align	8
	.type	_ZN7rocprim17ROCPRIM_400000_NS6detail17trampoline_kernelINS0_14default_configENS1_38merge_sort_block_merge_config_selectorIlNS0_10empty_typeEEEZZNS1_27merge_sort_block_merge_implIS3_PlPS5_mZN2at6native12_GLOBAL__N_124unique_dim_cuda_templateIdEESt5tupleIJNSA_6TensorESF_SF_EERKSF_lbbbEUlllE_EE10hipError_tT0_T1_T2_jT3_P12ihipStream_tbPNSt15iterator_traitsISL_E10value_typeEPNSR_ISM_E10value_typeEPSN_NS1_7vsmem_tEENKUlT_SL_SM_SN_E_clIS8_S8_S9_S9_EESK_S10_SL_SM_SN_EUlS10_E1_NS1_11comp_targetILNS1_3genE5ELNS1_11target_archE942ELNS1_3gpuE9ELNS1_3repE0EEENS1_36merge_oddeven_config_static_selectorELNS0_4arch9wavefront6targetE1EEEvSM_,@function
_ZN7rocprim17ROCPRIM_400000_NS6detail17trampoline_kernelINS0_14default_configENS1_38merge_sort_block_merge_config_selectorIlNS0_10empty_typeEEEZZNS1_27merge_sort_block_merge_implIS3_PlPS5_mZN2at6native12_GLOBAL__N_124unique_dim_cuda_templateIdEESt5tupleIJNSA_6TensorESF_SF_EERKSF_lbbbEUlllE_EE10hipError_tT0_T1_T2_jT3_P12ihipStream_tbPNSt15iterator_traitsISL_E10value_typeEPNSR_ISM_E10value_typeEPSN_NS1_7vsmem_tEENKUlT_SL_SM_SN_E_clIS8_S8_S9_S9_EESK_S10_SL_SM_SN_EUlS10_E1_NS1_11comp_targetILNS1_3genE5ELNS1_11target_archE942ELNS1_3gpuE9ELNS1_3repE0EEENS1_36merge_oddeven_config_static_selectorELNS0_4arch9wavefront6targetE1EEEvSM_: ; @_ZN7rocprim17ROCPRIM_400000_NS6detail17trampoline_kernelINS0_14default_configENS1_38merge_sort_block_merge_config_selectorIlNS0_10empty_typeEEEZZNS1_27merge_sort_block_merge_implIS3_PlPS5_mZN2at6native12_GLOBAL__N_124unique_dim_cuda_templateIdEESt5tupleIJNSA_6TensorESF_SF_EERKSF_lbbbEUlllE_EE10hipError_tT0_T1_T2_jT3_P12ihipStream_tbPNSt15iterator_traitsISL_E10value_typeEPNSR_ISM_E10value_typeEPSN_NS1_7vsmem_tEENKUlT_SL_SM_SN_E_clIS8_S8_S9_S9_EESK_S10_SL_SM_SN_EUlS10_E1_NS1_11comp_targetILNS1_3genE5ELNS1_11target_archE942ELNS1_3gpuE9ELNS1_3repE0EEENS1_36merge_oddeven_config_static_selectorELNS0_4arch9wavefront6targetE1EEEvSM_
; %bb.0:
	s_load_dword s22, s[0:1], 0x20
	s_waitcnt lgkmcnt(0)
	s_lshr_b32 s3, s22, 8
	s_cmp_lg_u32 s2, s3
	s_cselect_b64 s[12:13], -1, 0
	s_cmp_eq_u32 s2, s3
	s_cselect_b64 s[6:7], -1, 0
	s_lshl_b32 s20, s2, 8
	s_sub_i32 s3, s22, s20
	v_cmp_gt_u32_e64 s[4:5], s3, v0
	s_or_b64 s[8:9], s[12:13], s[4:5]
	s_and_saveexec_b64 s[10:11], s[8:9]
	s_cbranch_execz .LBB782_54
; %bb.1:
	s_load_dwordx4 s[8:11], s[0:1], 0x0
	s_load_dword s23, s[0:1], 0x28
	s_mov_b32 s21, 0
	s_lshl_b64 s[14:15], s[20:21], 3
	v_lshlrev_b32_e32 v1, 3, v0
	s_waitcnt lgkmcnt(0)
	s_add_u32 s14, s8, s14
	s_addc_u32 s15, s9, s15
	global_load_dwordx2 v[2:3], v1, s[14:15]
	s_lshr_b32 s3, s23, 8
	s_sub_i32 s14, 0, s3
	s_and_b32 s2, s2, s14
	s_and_b32 s3, s2, s3
	s_cmp_lg_u32 s3, 0
	s_cselect_b64 s[16:17], -1, 0
	s_lshl_b32 s21, s2, 8
	s_sub_i32 s2, 0, s23
	s_cmp_eq_u32 s3, 0
	s_cselect_b32 s33, s23, s2
	s_add_i32 s33, s33, s21
	s_cmp_lt_u32 s33, s22
	s_cbranch_scc1 .LBB782_3
; %bb.2:
	v_add_u32_e32 v4, s20, v0
	v_cmp_gt_u32_e32 vcc, s22, v4
	s_or_b64 s[12:13], vcc, s[12:13]
	s_and_b64 s[18:19], s[12:13], exec
	s_cbranch_execz .LBB782_4
	s_branch .LBB782_52
.LBB782_3:
	s_mov_b64 s[18:19], 0
                                        ; implicit-def: $vgpr4
.LBB782_4:
	s_load_dwordx4 s[12:15], s[0:1], 0x30
	s_min_u32 s44, s33, s22
	s_add_i32 s0, s44, s23
	s_min_u32 s45, s0, s22
	s_min_u32 s0, s21, s44
	v_add_u32_e32 v0, s20, v0
	s_add_i32 s21, s21, s44
	v_subrev_u32_e32 v0, s21, v0
	v_add_u32_e32 v14, s0, v0
	s_and_b64 vcc, exec, s[6:7]
	s_cbranch_vccz .LBB782_26
; %bb.5:
                                        ; implicit-def: $vgpr4
	s_and_saveexec_b64 s[20:21], s[4:5]
	s_cbranch_execz .LBB782_29
; %bb.6:
	s_cmp_ge_u32 s33, s45
	v_mov_b32_e32 v15, s44
	s_cbranch_scc1 .LBB782_28
; %bb.7:
	s_waitcnt vmcnt(0) lgkmcnt(0)
	v_mul_lo_u32 v0, v3, s12
	v_mul_lo_u32 v1, v2, s13
	v_mad_u64_u32 v[4:5], s[0:1], v2, s12, 0
	v_cndmask_b32_e64 v6, 0, 1, s[16:17]
	v_cmp_gt_i64_e64 s[2:3], s[12:13], 0
	v_add3_u32 v5, v5, v1, v0
	v_cmp_ne_u32_e64 s[0:1], 1, v6
	v_cndmask_b32_e64 v6, 0, 1, s[2:3]
	s_mov_b64 s[22:23], 0
	v_mov_b64_e32 v[0:1], s[14:15]
	v_lshl_add_u64 v[4:5], v[4:5], 3, s[14:15]
	s_lshl_b64 s[24:25], s[12:13], 3
	v_mov_b32_e32 v16, s45
	v_mov_b32_e32 v15, s44
	;; [unrolled: 1-line block ×3, first 2 shown]
	v_cmp_ne_u32_e64 s[2:3], 1, v6
	s_branch .LBB782_10
.LBB782_8:                              ;   in Loop: Header=BB782_10 Depth=1
	s_or_b64 exec, exec, s[28:29]
.LBB782_9:                              ;   in Loop: Header=BB782_10 Depth=1
	s_waitcnt vmcnt(0)
	v_add_u32_e32 v8, 1, v6
	v_cndmask_b32_e64 v16, v6, v16, s[26:27]
	v_cndmask_b32_e64 v15, v15, v8, s[26:27]
	v_cmp_ge_u32_e32 vcc, v15, v16
	s_or_b64 s[22:23], vcc, s[22:23]
	s_andn2_b64 exec, exec, s[22:23]
	s_cbranch_execz .LBB782_27
.LBB782_10:                             ; =>This Loop Header: Depth=1
                                        ;     Child Loop BB782_14 Depth 2
                                        ;     Child Loop BB782_23 Depth 2
	v_add_u32_e32 v6, v15, v16
	v_lshrrev_b32_e32 v6, 1, v6
	v_lshl_add_u64 v[8:9], v[6:7], 3, s[8:9]
	global_load_dwordx2 v[8:9], v[8:9], off
	s_and_b64 vcc, exec, s[0:1]
	s_mov_b64 s[4:5], -1
                                        ; implicit-def: $sgpr26_sgpr27
	s_cbranch_vccnz .LBB782_19
; %bb.11:                               ;   in Loop: Header=BB782_10 Depth=1
	s_and_b64 vcc, exec, s[2:3]
	s_cbranch_vccnz .LBB782_17
; %bb.12:                               ;   in Loop: Header=BB782_10 Depth=1
	s_waitcnt vmcnt(0)
	v_mad_u64_u32 v[10:11], s[4:5], s24, v8, v[0:1]
	v_mul_lo_u32 v12, s24, v9
	v_mul_lo_u32 v13, s25, v8
	v_add3_u32 v11, v13, v11, v12
	s_mov_b64 s[28:29], 0
	s_mov_b64 s[36:37], s[12:13]
	v_mov_b64_e32 v[12:13], v[4:5]
                                        ; implicit-def: $sgpr26_sgpr27
                                        ; implicit-def: $sgpr30_sgpr31
                                        ; implicit-def: $sgpr34_sgpr35
                                        ; implicit-def: $sgpr4_sgpr5
                                        ; implicit-def: $sgpr38_sgpr39
	s_branch .LBB782_14
.LBB782_13:                             ;   in Loop: Header=BB782_14 Depth=2
	s_or_b64 exec, exec, s[40:41]
	s_and_b64 s[6:7], exec, s[30:31]
	s_or_b64 s[28:29], s[6:7], s[28:29]
	s_andn2_b64 s[6:7], s[38:39], exec
	s_and_b64 s[38:39], s[34:35], exec
	s_or_b64 s[38:39], s[6:7], s[38:39]
	s_andn2_b64 s[6:7], s[26:27], exec
	s_and_b64 s[26:27], s[4:5], exec
	s_or_b64 s[26:27], s[6:7], s[26:27]
	s_andn2_b64 exec, exec, s[28:29]
	s_cbranch_execz .LBB782_16
.LBB782_14:                             ;   Parent Loop BB782_10 Depth=1
                                        ; =>  This Inner Loop Header: Depth=2
	global_load_dwordx2 v[18:19], v[12:13], off
	global_load_dwordx2 v[20:21], v[10:11], off
	s_andn2_b64 s[40:41], s[4:5], exec
	s_andn2_b64 s[34:35], s[34:35], exec
	s_or_b64 s[30:31], s[30:31], exec
	s_waitcnt vmcnt(0)
	v_cmp_ngt_f64_e64 s[4:5], v[18:19], v[20:21]
	v_cmp_lt_f64_e32 vcc, v[18:19], v[20:21]
	s_and_b64 s[4:5], s[4:5], s[38:39]
	s_or_b64 s[42:43], vcc, s[4:5]
	s_and_b64 s[4:5], s[42:43], exec
	v_cmp_nlg_f64_e64 s[6:7], v[18:19], v[20:21]
	s_or_b64 s[4:5], s[40:41], s[4:5]
	s_and_saveexec_b64 s[40:41], s[6:7]
	s_cbranch_execz .LBB782_13
; %bb.15:                               ;   in Loop: Header=BB782_14 Depth=2
	s_add_u32 s36, s36, -1
	s_addc_u32 s37, s37, -1
	s_cmp_eq_u64 s[36:37], 0
	s_cselect_b64 s[6:7], -1, 0
	s_andn2_b64 s[34:35], s[34:35], exec
	s_and_b64 s[38:39], s[42:43], exec
	s_andn2_b64 s[30:31], s[30:31], exec
	s_and_b64 s[6:7], s[6:7], exec
	v_lshl_add_u64 v[12:13], v[12:13], 0, 8
	v_lshl_add_u64 v[10:11], v[10:11], 0, 8
	s_andn2_b64 s[4:5], s[4:5], exec
	s_or_b64 s[34:35], s[34:35], s[38:39]
	s_or_b64 s[30:31], s[30:31], s[6:7]
                                        ; implicit-def: $sgpr38_sgpr39
	s_branch .LBB782_13
.LBB782_16:                             ;   in Loop: Header=BB782_10 Depth=1
	s_or_b64 exec, exec, s[28:29]
	s_branch .LBB782_18
.LBB782_17:                             ;   in Loop: Header=BB782_10 Depth=1
	s_mov_b64 s[26:27], 0
.LBB782_18:                             ;   in Loop: Header=BB782_10 Depth=1
	s_xor_b64 s[26:27], s[26:27], -1
	s_mov_b64 s[4:5], 0
.LBB782_19:                             ;   in Loop: Header=BB782_10 Depth=1
	s_and_b64 vcc, exec, s[4:5]
	s_cbranch_vccz .LBB782_9
; %bb.20:                               ;   in Loop: Header=BB782_10 Depth=1
	s_and_b64 vcc, exec, s[2:3]
	s_cbranch_vccnz .LBB782_25
; %bb.21:                               ;   in Loop: Header=BB782_10 Depth=1
	s_waitcnt vmcnt(0)
	v_mad_u64_u32 v[10:11], s[4:5], s24, v8, v[0:1]
	v_mul_lo_u32 v9, s24, v9
	v_mul_lo_u32 v8, s25, v8
	v_add3_u32 v11, v8, v11, v9
	s_mov_b64 s[28:29], 0
	s_mov_b64 s[36:37], s[12:13]
	v_mov_b64_e32 v[8:9], v[4:5]
                                        ; implicit-def: $sgpr26_sgpr27
                                        ; implicit-def: $sgpr30_sgpr31
                                        ; implicit-def: $sgpr34_sgpr35
                                        ; implicit-def: $sgpr4_sgpr5
                                        ; implicit-def: $sgpr38_sgpr39
	s_branch .LBB782_23
.LBB782_22:                             ;   in Loop: Header=BB782_23 Depth=2
	s_or_b64 exec, exec, s[40:41]
	s_and_b64 s[6:7], exec, s[30:31]
	s_or_b64 s[28:29], s[6:7], s[28:29]
	s_andn2_b64 s[6:7], s[38:39], exec
	s_and_b64 s[38:39], s[34:35], exec
	s_or_b64 s[38:39], s[6:7], s[38:39]
	s_andn2_b64 s[6:7], s[26:27], exec
	s_and_b64 s[26:27], s[4:5], exec
	s_or_b64 s[26:27], s[6:7], s[26:27]
	s_andn2_b64 exec, exec, s[28:29]
	s_cbranch_execz .LBB782_8
.LBB782_23:                             ;   Parent Loop BB782_10 Depth=1
                                        ; =>  This Inner Loop Header: Depth=2
	global_load_dwordx2 v[12:13], v[10:11], off
	global_load_dwordx2 v[18:19], v[8:9], off
	s_andn2_b64 s[40:41], s[4:5], exec
	s_andn2_b64 s[34:35], s[34:35], exec
	s_or_b64 s[30:31], s[30:31], exec
	s_waitcnt vmcnt(0)
	v_cmp_ngt_f64_e64 s[4:5], v[12:13], v[18:19]
	v_cmp_lt_f64_e32 vcc, v[12:13], v[18:19]
	s_and_b64 s[4:5], s[4:5], s[38:39]
	s_or_b64 s[42:43], vcc, s[4:5]
	s_and_b64 s[4:5], s[42:43], exec
	v_cmp_nlg_f64_e64 s[6:7], v[12:13], v[18:19]
	s_or_b64 s[4:5], s[40:41], s[4:5]
	s_and_saveexec_b64 s[40:41], s[6:7]
	s_cbranch_execz .LBB782_22
; %bb.24:                               ;   in Loop: Header=BB782_23 Depth=2
	s_add_u32 s36, s36, -1
	s_addc_u32 s37, s37, -1
	s_cmp_eq_u64 s[36:37], 0
	s_cselect_b64 s[6:7], -1, 0
	s_andn2_b64 s[34:35], s[34:35], exec
	s_and_b64 s[38:39], s[42:43], exec
	s_andn2_b64 s[30:31], s[30:31], exec
	s_and_b64 s[6:7], s[6:7], exec
	v_lshl_add_u64 v[10:11], v[10:11], 0, 8
	v_lshl_add_u64 v[8:9], v[8:9], 0, 8
	s_andn2_b64 s[4:5], s[4:5], exec
	s_or_b64 s[34:35], s[34:35], s[38:39]
	s_or_b64 s[30:31], s[30:31], s[6:7]
                                        ; implicit-def: $sgpr38_sgpr39
	s_branch .LBB782_22
.LBB782_25:                             ;   in Loop: Header=BB782_10 Depth=1
	s_mov_b64 s[26:27], 0
	s_branch .LBB782_9
.LBB782_26:
                                        ; implicit-def: $vgpr4
	s_cbranch_execnz .LBB782_30
	s_branch .LBB782_52
.LBB782_27:
	s_or_b64 exec, exec, s[22:23]
.LBB782_28:
	v_add_u32_e32 v4, v15, v14
	s_or_b64 s[18:19], s[18:19], exec
.LBB782_29:
	s_or_b64 exec, exec, s[20:21]
	s_branch .LBB782_52
.LBB782_30:
	s_cmp_ge_u32 s33, s45
	v_mov_b32_e32 v15, s44
	s_cbranch_scc1 .LBB782_51
; %bb.31:
	s_waitcnt vmcnt(0) lgkmcnt(0)
	v_mul_lo_u32 v0, v3, s12
	v_mul_lo_u32 v1, v2, s13
	v_mad_u64_u32 v[4:5], s[0:1], v2, s12, 0
	v_cndmask_b32_e64 v6, 0, 1, s[16:17]
	v_cmp_gt_i64_e64 s[2:3], s[12:13], 0
	v_add3_u32 v5, v5, v1, v0
	v_cmp_ne_u32_e64 s[0:1], 1, v6
	v_cndmask_b32_e64 v6, 0, 1, s[2:3]
	s_mov_b64 s[18:19], 0
	v_mov_b64_e32 v[0:1], s[14:15]
	v_lshl_add_u64 v[4:5], v[4:5], 3, s[14:15]
	s_lshl_b64 s[14:15], s[12:13], 3
	v_mov_b32_e32 v16, s45
	v_mov_b32_e32 v15, s44
	;; [unrolled: 1-line block ×3, first 2 shown]
	v_cmp_ne_u32_e64 s[2:3], 1, v6
	s_branch .LBB782_34
.LBB782_32:                             ;   in Loop: Header=BB782_34 Depth=1
	s_or_b64 exec, exec, s[20:21]
.LBB782_33:                             ;   in Loop: Header=BB782_34 Depth=1
	s_waitcnt vmcnt(0)
	v_add_u32_e32 v8, 1, v6
	v_cndmask_b32_e64 v16, v6, v16, s[16:17]
	v_cndmask_b32_e64 v15, v15, v8, s[16:17]
	v_cmp_ge_u32_e32 vcc, v15, v16
	s_or_b64 s[18:19], vcc, s[18:19]
	s_andn2_b64 exec, exec, s[18:19]
	s_cbranch_execz .LBB782_50
.LBB782_34:                             ; =>This Loop Header: Depth=1
                                        ;     Child Loop BB782_38 Depth 2
                                        ;     Child Loop BB782_47 Depth 2
	v_add_u32_e32 v6, v15, v16
	v_lshrrev_b32_e32 v6, 1, v6
	v_lshl_add_u64 v[8:9], v[6:7], 3, s[8:9]
	global_load_dwordx2 v[8:9], v[8:9], off
	s_and_b64 vcc, exec, s[0:1]
	s_mov_b64 s[4:5], -1
                                        ; implicit-def: $sgpr16_sgpr17
	s_cbranch_vccnz .LBB782_43
; %bb.35:                               ;   in Loop: Header=BB782_34 Depth=1
	s_and_b64 vcc, exec, s[2:3]
	s_cbranch_vccnz .LBB782_41
; %bb.36:                               ;   in Loop: Header=BB782_34 Depth=1
	s_waitcnt vmcnt(0)
	v_mad_u64_u32 v[10:11], s[4:5], s14, v8, v[0:1]
	v_mul_lo_u32 v12, s14, v9
	v_mul_lo_u32 v13, s15, v8
	v_add3_u32 v11, v13, v11, v12
	s_mov_b64 s[20:21], 0
	s_mov_b64 s[26:27], s[12:13]
	v_mov_b64_e32 v[12:13], v[4:5]
                                        ; implicit-def: $sgpr16_sgpr17
                                        ; implicit-def: $sgpr22_sgpr23
                                        ; implicit-def: $sgpr24_sgpr25
                                        ; implicit-def: $sgpr4_sgpr5
                                        ; implicit-def: $sgpr28_sgpr29
	s_branch .LBB782_38
.LBB782_37:                             ;   in Loop: Header=BB782_38 Depth=2
	s_or_b64 exec, exec, s[30:31]
	s_and_b64 s[6:7], exec, s[22:23]
	s_or_b64 s[20:21], s[6:7], s[20:21]
	s_andn2_b64 s[6:7], s[28:29], exec
	s_and_b64 s[28:29], s[24:25], exec
	s_or_b64 s[28:29], s[6:7], s[28:29]
	s_andn2_b64 s[6:7], s[16:17], exec
	s_and_b64 s[16:17], s[4:5], exec
	s_or_b64 s[16:17], s[6:7], s[16:17]
	s_andn2_b64 exec, exec, s[20:21]
	s_cbranch_execz .LBB782_40
.LBB782_38:                             ;   Parent Loop BB782_34 Depth=1
                                        ; =>  This Inner Loop Header: Depth=2
	global_load_dwordx2 v[18:19], v[12:13], off
	global_load_dwordx2 v[20:21], v[10:11], off
	s_andn2_b64 s[30:31], s[4:5], exec
	s_andn2_b64 s[24:25], s[24:25], exec
	s_or_b64 s[22:23], s[22:23], exec
	s_waitcnt vmcnt(0)
	v_cmp_ngt_f64_e64 s[4:5], v[18:19], v[20:21]
	v_cmp_lt_f64_e32 vcc, v[18:19], v[20:21]
	s_and_b64 s[4:5], s[4:5], s[28:29]
	s_or_b64 s[34:35], vcc, s[4:5]
	s_and_b64 s[4:5], s[34:35], exec
	v_cmp_nlg_f64_e64 s[6:7], v[18:19], v[20:21]
	s_or_b64 s[4:5], s[30:31], s[4:5]
	s_and_saveexec_b64 s[30:31], s[6:7]
	s_cbranch_execz .LBB782_37
; %bb.39:                               ;   in Loop: Header=BB782_38 Depth=2
	s_add_u32 s26, s26, -1
	s_addc_u32 s27, s27, -1
	s_cmp_eq_u64 s[26:27], 0
	s_cselect_b64 s[6:7], -1, 0
	s_andn2_b64 s[24:25], s[24:25], exec
	s_and_b64 s[28:29], s[34:35], exec
	s_andn2_b64 s[22:23], s[22:23], exec
	s_and_b64 s[6:7], s[6:7], exec
	v_lshl_add_u64 v[12:13], v[12:13], 0, 8
	v_lshl_add_u64 v[10:11], v[10:11], 0, 8
	s_andn2_b64 s[4:5], s[4:5], exec
	s_or_b64 s[24:25], s[24:25], s[28:29]
	s_or_b64 s[22:23], s[22:23], s[6:7]
                                        ; implicit-def: $sgpr28_sgpr29
	s_branch .LBB782_37
.LBB782_40:                             ;   in Loop: Header=BB782_34 Depth=1
	s_or_b64 exec, exec, s[20:21]
	s_branch .LBB782_42
.LBB782_41:                             ;   in Loop: Header=BB782_34 Depth=1
	s_mov_b64 s[16:17], 0
.LBB782_42:                             ;   in Loop: Header=BB782_34 Depth=1
	s_xor_b64 s[16:17], s[16:17], -1
	s_mov_b64 s[4:5], 0
.LBB782_43:                             ;   in Loop: Header=BB782_34 Depth=1
	s_and_b64 vcc, exec, s[4:5]
	s_cbranch_vccz .LBB782_33
; %bb.44:                               ;   in Loop: Header=BB782_34 Depth=1
	s_and_b64 vcc, exec, s[2:3]
	s_cbranch_vccnz .LBB782_49
; %bb.45:                               ;   in Loop: Header=BB782_34 Depth=1
	s_waitcnt vmcnt(0)
	v_mad_u64_u32 v[10:11], s[4:5], s14, v8, v[0:1]
	v_mul_lo_u32 v9, s14, v9
	v_mul_lo_u32 v8, s15, v8
	v_add3_u32 v11, v8, v11, v9
	s_mov_b64 s[20:21], 0
	s_mov_b64 s[26:27], s[12:13]
	v_mov_b64_e32 v[8:9], v[4:5]
                                        ; implicit-def: $sgpr16_sgpr17
                                        ; implicit-def: $sgpr22_sgpr23
                                        ; implicit-def: $sgpr24_sgpr25
                                        ; implicit-def: $sgpr4_sgpr5
                                        ; implicit-def: $sgpr28_sgpr29
	s_branch .LBB782_47
.LBB782_46:                             ;   in Loop: Header=BB782_47 Depth=2
	s_or_b64 exec, exec, s[30:31]
	s_and_b64 s[6:7], exec, s[22:23]
	s_or_b64 s[20:21], s[6:7], s[20:21]
	s_andn2_b64 s[6:7], s[28:29], exec
	s_and_b64 s[28:29], s[24:25], exec
	s_or_b64 s[28:29], s[6:7], s[28:29]
	s_andn2_b64 s[6:7], s[16:17], exec
	s_and_b64 s[16:17], s[4:5], exec
	s_or_b64 s[16:17], s[6:7], s[16:17]
	s_andn2_b64 exec, exec, s[20:21]
	s_cbranch_execz .LBB782_32
.LBB782_47:                             ;   Parent Loop BB782_34 Depth=1
                                        ; =>  This Inner Loop Header: Depth=2
	global_load_dwordx2 v[12:13], v[10:11], off
	global_load_dwordx2 v[18:19], v[8:9], off
	s_andn2_b64 s[30:31], s[4:5], exec
	s_andn2_b64 s[24:25], s[24:25], exec
	s_or_b64 s[22:23], s[22:23], exec
	s_waitcnt vmcnt(0)
	v_cmp_ngt_f64_e64 s[4:5], v[12:13], v[18:19]
	v_cmp_lt_f64_e32 vcc, v[12:13], v[18:19]
	s_and_b64 s[4:5], s[4:5], s[28:29]
	s_or_b64 s[34:35], vcc, s[4:5]
	s_and_b64 s[4:5], s[34:35], exec
	v_cmp_nlg_f64_e64 s[6:7], v[12:13], v[18:19]
	s_or_b64 s[4:5], s[30:31], s[4:5]
	s_and_saveexec_b64 s[30:31], s[6:7]
	s_cbranch_execz .LBB782_46
; %bb.48:                               ;   in Loop: Header=BB782_47 Depth=2
	s_add_u32 s26, s26, -1
	s_addc_u32 s27, s27, -1
	s_cmp_eq_u64 s[26:27], 0
	s_cselect_b64 s[6:7], -1, 0
	s_andn2_b64 s[24:25], s[24:25], exec
	s_and_b64 s[28:29], s[34:35], exec
	s_andn2_b64 s[22:23], s[22:23], exec
	s_and_b64 s[6:7], s[6:7], exec
	v_lshl_add_u64 v[10:11], v[10:11], 0, 8
	v_lshl_add_u64 v[8:9], v[8:9], 0, 8
	s_andn2_b64 s[4:5], s[4:5], exec
	s_or_b64 s[24:25], s[24:25], s[28:29]
	s_or_b64 s[22:23], s[22:23], s[6:7]
                                        ; implicit-def: $sgpr28_sgpr29
	s_branch .LBB782_46
.LBB782_49:                             ;   in Loop: Header=BB782_34 Depth=1
	s_mov_b64 s[16:17], 0
	s_branch .LBB782_33
.LBB782_50:
	s_or_b64 exec, exec, s[18:19]
.LBB782_51:
	v_add_u32_e32 v4, v15, v14
	s_mov_b64 s[18:19], -1
.LBB782_52:
	s_and_b64 exec, exec, s[18:19]
	s_cbranch_execz .LBB782_54
; %bb.53:
	v_mov_b32_e32 v0, s10
	v_mov_b32_e32 v1, s11
	;; [unrolled: 1-line block ×3, first 2 shown]
	v_lshl_add_u64 v[0:1], v[4:5], 3, v[0:1]
	s_waitcnt vmcnt(0)
	global_store_dwordx2 v[0:1], v[2:3], off
.LBB782_54:
	s_endpgm
	.section	.rodata,"a",@progbits
	.p2align	6, 0x0
	.amdhsa_kernel _ZN7rocprim17ROCPRIM_400000_NS6detail17trampoline_kernelINS0_14default_configENS1_38merge_sort_block_merge_config_selectorIlNS0_10empty_typeEEEZZNS1_27merge_sort_block_merge_implIS3_PlPS5_mZN2at6native12_GLOBAL__N_124unique_dim_cuda_templateIdEESt5tupleIJNSA_6TensorESF_SF_EERKSF_lbbbEUlllE_EE10hipError_tT0_T1_T2_jT3_P12ihipStream_tbPNSt15iterator_traitsISL_E10value_typeEPNSR_ISM_E10value_typeEPSN_NS1_7vsmem_tEENKUlT_SL_SM_SN_E_clIS8_S8_S9_S9_EESK_S10_SL_SM_SN_EUlS10_E1_NS1_11comp_targetILNS1_3genE5ELNS1_11target_archE942ELNS1_3gpuE9ELNS1_3repE0EEENS1_36merge_oddeven_config_static_selectorELNS0_4arch9wavefront6targetE1EEEvSM_
		.amdhsa_group_segment_fixed_size 0
		.amdhsa_private_segment_fixed_size 0
		.amdhsa_kernarg_size 64
		.amdhsa_user_sgpr_count 2
		.amdhsa_user_sgpr_dispatch_ptr 0
		.amdhsa_user_sgpr_queue_ptr 0
		.amdhsa_user_sgpr_kernarg_segment_ptr 1
		.amdhsa_user_sgpr_dispatch_id 0
		.amdhsa_user_sgpr_kernarg_preload_length 0
		.amdhsa_user_sgpr_kernarg_preload_offset 0
		.amdhsa_user_sgpr_private_segment_size 0
		.amdhsa_uses_dynamic_stack 0
		.amdhsa_enable_private_segment 0
		.amdhsa_system_sgpr_workgroup_id_x 1
		.amdhsa_system_sgpr_workgroup_id_y 0
		.amdhsa_system_sgpr_workgroup_id_z 0
		.amdhsa_system_sgpr_workgroup_info 0
		.amdhsa_system_vgpr_workitem_id 0
		.amdhsa_next_free_vgpr 22
		.amdhsa_next_free_sgpr 46
		.amdhsa_accum_offset 24
		.amdhsa_reserve_vcc 1
		.amdhsa_float_round_mode_32 0
		.amdhsa_float_round_mode_16_64 0
		.amdhsa_float_denorm_mode_32 3
		.amdhsa_float_denorm_mode_16_64 3
		.amdhsa_dx10_clamp 1
		.amdhsa_ieee_mode 1
		.amdhsa_fp16_overflow 0
		.amdhsa_tg_split 0
		.amdhsa_exception_fp_ieee_invalid_op 0
		.amdhsa_exception_fp_denorm_src 0
		.amdhsa_exception_fp_ieee_div_zero 0
		.amdhsa_exception_fp_ieee_overflow 0
		.amdhsa_exception_fp_ieee_underflow 0
		.amdhsa_exception_fp_ieee_inexact 0
		.amdhsa_exception_int_div_zero 0
	.end_amdhsa_kernel
	.section	.text._ZN7rocprim17ROCPRIM_400000_NS6detail17trampoline_kernelINS0_14default_configENS1_38merge_sort_block_merge_config_selectorIlNS0_10empty_typeEEEZZNS1_27merge_sort_block_merge_implIS3_PlPS5_mZN2at6native12_GLOBAL__N_124unique_dim_cuda_templateIdEESt5tupleIJNSA_6TensorESF_SF_EERKSF_lbbbEUlllE_EE10hipError_tT0_T1_T2_jT3_P12ihipStream_tbPNSt15iterator_traitsISL_E10value_typeEPNSR_ISM_E10value_typeEPSN_NS1_7vsmem_tEENKUlT_SL_SM_SN_E_clIS8_S8_S9_S9_EESK_S10_SL_SM_SN_EUlS10_E1_NS1_11comp_targetILNS1_3genE5ELNS1_11target_archE942ELNS1_3gpuE9ELNS1_3repE0EEENS1_36merge_oddeven_config_static_selectorELNS0_4arch9wavefront6targetE1EEEvSM_,"axG",@progbits,_ZN7rocprim17ROCPRIM_400000_NS6detail17trampoline_kernelINS0_14default_configENS1_38merge_sort_block_merge_config_selectorIlNS0_10empty_typeEEEZZNS1_27merge_sort_block_merge_implIS3_PlPS5_mZN2at6native12_GLOBAL__N_124unique_dim_cuda_templateIdEESt5tupleIJNSA_6TensorESF_SF_EERKSF_lbbbEUlllE_EE10hipError_tT0_T1_T2_jT3_P12ihipStream_tbPNSt15iterator_traitsISL_E10value_typeEPNSR_ISM_E10value_typeEPSN_NS1_7vsmem_tEENKUlT_SL_SM_SN_E_clIS8_S8_S9_S9_EESK_S10_SL_SM_SN_EUlS10_E1_NS1_11comp_targetILNS1_3genE5ELNS1_11target_archE942ELNS1_3gpuE9ELNS1_3repE0EEENS1_36merge_oddeven_config_static_selectorELNS0_4arch9wavefront6targetE1EEEvSM_,comdat
.Lfunc_end782:
	.size	_ZN7rocprim17ROCPRIM_400000_NS6detail17trampoline_kernelINS0_14default_configENS1_38merge_sort_block_merge_config_selectorIlNS0_10empty_typeEEEZZNS1_27merge_sort_block_merge_implIS3_PlPS5_mZN2at6native12_GLOBAL__N_124unique_dim_cuda_templateIdEESt5tupleIJNSA_6TensorESF_SF_EERKSF_lbbbEUlllE_EE10hipError_tT0_T1_T2_jT3_P12ihipStream_tbPNSt15iterator_traitsISL_E10value_typeEPNSR_ISM_E10value_typeEPSN_NS1_7vsmem_tEENKUlT_SL_SM_SN_E_clIS8_S8_S9_S9_EESK_S10_SL_SM_SN_EUlS10_E1_NS1_11comp_targetILNS1_3genE5ELNS1_11target_archE942ELNS1_3gpuE9ELNS1_3repE0EEENS1_36merge_oddeven_config_static_selectorELNS0_4arch9wavefront6targetE1EEEvSM_, .Lfunc_end782-_ZN7rocprim17ROCPRIM_400000_NS6detail17trampoline_kernelINS0_14default_configENS1_38merge_sort_block_merge_config_selectorIlNS0_10empty_typeEEEZZNS1_27merge_sort_block_merge_implIS3_PlPS5_mZN2at6native12_GLOBAL__N_124unique_dim_cuda_templateIdEESt5tupleIJNSA_6TensorESF_SF_EERKSF_lbbbEUlllE_EE10hipError_tT0_T1_T2_jT3_P12ihipStream_tbPNSt15iterator_traitsISL_E10value_typeEPNSR_ISM_E10value_typeEPSN_NS1_7vsmem_tEENKUlT_SL_SM_SN_E_clIS8_S8_S9_S9_EESK_S10_SL_SM_SN_EUlS10_E1_NS1_11comp_targetILNS1_3genE5ELNS1_11target_archE942ELNS1_3gpuE9ELNS1_3repE0EEENS1_36merge_oddeven_config_static_selectorELNS0_4arch9wavefront6targetE1EEEvSM_
                                        ; -- End function
	.section	.AMDGPU.csdata,"",@progbits
; Kernel info:
; codeLenInByte = 1784
; NumSgprs: 52
; NumVgprs: 22
; NumAgprs: 0
; TotalNumVgprs: 22
; ScratchSize: 0
; MemoryBound: 0
; FloatMode: 240
; IeeeMode: 1
; LDSByteSize: 0 bytes/workgroup (compile time only)
; SGPRBlocks: 6
; VGPRBlocks: 2
; NumSGPRsForWavesPerEU: 52
; NumVGPRsForWavesPerEU: 22
; AccumOffset: 24
; Occupancy: 8
; WaveLimiterHint : 0
; COMPUTE_PGM_RSRC2:SCRATCH_EN: 0
; COMPUTE_PGM_RSRC2:USER_SGPR: 2
; COMPUTE_PGM_RSRC2:TRAP_HANDLER: 0
; COMPUTE_PGM_RSRC2:TGID_X_EN: 1
; COMPUTE_PGM_RSRC2:TGID_Y_EN: 0
; COMPUTE_PGM_RSRC2:TGID_Z_EN: 0
; COMPUTE_PGM_RSRC2:TIDIG_COMP_CNT: 0
; COMPUTE_PGM_RSRC3_GFX90A:ACCUM_OFFSET: 5
; COMPUTE_PGM_RSRC3_GFX90A:TG_SPLIT: 0
	.section	.text._ZN7rocprim17ROCPRIM_400000_NS6detail17trampoline_kernelINS0_14default_configENS1_38merge_sort_block_merge_config_selectorIlNS0_10empty_typeEEEZZNS1_27merge_sort_block_merge_implIS3_PlPS5_mZN2at6native12_GLOBAL__N_124unique_dim_cuda_templateIdEESt5tupleIJNSA_6TensorESF_SF_EERKSF_lbbbEUlllE_EE10hipError_tT0_T1_T2_jT3_P12ihipStream_tbPNSt15iterator_traitsISL_E10value_typeEPNSR_ISM_E10value_typeEPSN_NS1_7vsmem_tEENKUlT_SL_SM_SN_E_clIS8_S8_S9_S9_EESK_S10_SL_SM_SN_EUlS10_E1_NS1_11comp_targetILNS1_3genE4ELNS1_11target_archE910ELNS1_3gpuE8ELNS1_3repE0EEENS1_36merge_oddeven_config_static_selectorELNS0_4arch9wavefront6targetE1EEEvSM_,"axG",@progbits,_ZN7rocprim17ROCPRIM_400000_NS6detail17trampoline_kernelINS0_14default_configENS1_38merge_sort_block_merge_config_selectorIlNS0_10empty_typeEEEZZNS1_27merge_sort_block_merge_implIS3_PlPS5_mZN2at6native12_GLOBAL__N_124unique_dim_cuda_templateIdEESt5tupleIJNSA_6TensorESF_SF_EERKSF_lbbbEUlllE_EE10hipError_tT0_T1_T2_jT3_P12ihipStream_tbPNSt15iterator_traitsISL_E10value_typeEPNSR_ISM_E10value_typeEPSN_NS1_7vsmem_tEENKUlT_SL_SM_SN_E_clIS8_S8_S9_S9_EESK_S10_SL_SM_SN_EUlS10_E1_NS1_11comp_targetILNS1_3genE4ELNS1_11target_archE910ELNS1_3gpuE8ELNS1_3repE0EEENS1_36merge_oddeven_config_static_selectorELNS0_4arch9wavefront6targetE1EEEvSM_,comdat
	.globl	_ZN7rocprim17ROCPRIM_400000_NS6detail17trampoline_kernelINS0_14default_configENS1_38merge_sort_block_merge_config_selectorIlNS0_10empty_typeEEEZZNS1_27merge_sort_block_merge_implIS3_PlPS5_mZN2at6native12_GLOBAL__N_124unique_dim_cuda_templateIdEESt5tupleIJNSA_6TensorESF_SF_EERKSF_lbbbEUlllE_EE10hipError_tT0_T1_T2_jT3_P12ihipStream_tbPNSt15iterator_traitsISL_E10value_typeEPNSR_ISM_E10value_typeEPSN_NS1_7vsmem_tEENKUlT_SL_SM_SN_E_clIS8_S8_S9_S9_EESK_S10_SL_SM_SN_EUlS10_E1_NS1_11comp_targetILNS1_3genE4ELNS1_11target_archE910ELNS1_3gpuE8ELNS1_3repE0EEENS1_36merge_oddeven_config_static_selectorELNS0_4arch9wavefront6targetE1EEEvSM_ ; -- Begin function _ZN7rocprim17ROCPRIM_400000_NS6detail17trampoline_kernelINS0_14default_configENS1_38merge_sort_block_merge_config_selectorIlNS0_10empty_typeEEEZZNS1_27merge_sort_block_merge_implIS3_PlPS5_mZN2at6native12_GLOBAL__N_124unique_dim_cuda_templateIdEESt5tupleIJNSA_6TensorESF_SF_EERKSF_lbbbEUlllE_EE10hipError_tT0_T1_T2_jT3_P12ihipStream_tbPNSt15iterator_traitsISL_E10value_typeEPNSR_ISM_E10value_typeEPSN_NS1_7vsmem_tEENKUlT_SL_SM_SN_E_clIS8_S8_S9_S9_EESK_S10_SL_SM_SN_EUlS10_E1_NS1_11comp_targetILNS1_3genE4ELNS1_11target_archE910ELNS1_3gpuE8ELNS1_3repE0EEENS1_36merge_oddeven_config_static_selectorELNS0_4arch9wavefront6targetE1EEEvSM_
	.p2align	8
	.type	_ZN7rocprim17ROCPRIM_400000_NS6detail17trampoline_kernelINS0_14default_configENS1_38merge_sort_block_merge_config_selectorIlNS0_10empty_typeEEEZZNS1_27merge_sort_block_merge_implIS3_PlPS5_mZN2at6native12_GLOBAL__N_124unique_dim_cuda_templateIdEESt5tupleIJNSA_6TensorESF_SF_EERKSF_lbbbEUlllE_EE10hipError_tT0_T1_T2_jT3_P12ihipStream_tbPNSt15iterator_traitsISL_E10value_typeEPNSR_ISM_E10value_typeEPSN_NS1_7vsmem_tEENKUlT_SL_SM_SN_E_clIS8_S8_S9_S9_EESK_S10_SL_SM_SN_EUlS10_E1_NS1_11comp_targetILNS1_3genE4ELNS1_11target_archE910ELNS1_3gpuE8ELNS1_3repE0EEENS1_36merge_oddeven_config_static_selectorELNS0_4arch9wavefront6targetE1EEEvSM_,@function
_ZN7rocprim17ROCPRIM_400000_NS6detail17trampoline_kernelINS0_14default_configENS1_38merge_sort_block_merge_config_selectorIlNS0_10empty_typeEEEZZNS1_27merge_sort_block_merge_implIS3_PlPS5_mZN2at6native12_GLOBAL__N_124unique_dim_cuda_templateIdEESt5tupleIJNSA_6TensorESF_SF_EERKSF_lbbbEUlllE_EE10hipError_tT0_T1_T2_jT3_P12ihipStream_tbPNSt15iterator_traitsISL_E10value_typeEPNSR_ISM_E10value_typeEPSN_NS1_7vsmem_tEENKUlT_SL_SM_SN_E_clIS8_S8_S9_S9_EESK_S10_SL_SM_SN_EUlS10_E1_NS1_11comp_targetILNS1_3genE4ELNS1_11target_archE910ELNS1_3gpuE8ELNS1_3repE0EEENS1_36merge_oddeven_config_static_selectorELNS0_4arch9wavefront6targetE1EEEvSM_: ; @_ZN7rocprim17ROCPRIM_400000_NS6detail17trampoline_kernelINS0_14default_configENS1_38merge_sort_block_merge_config_selectorIlNS0_10empty_typeEEEZZNS1_27merge_sort_block_merge_implIS3_PlPS5_mZN2at6native12_GLOBAL__N_124unique_dim_cuda_templateIdEESt5tupleIJNSA_6TensorESF_SF_EERKSF_lbbbEUlllE_EE10hipError_tT0_T1_T2_jT3_P12ihipStream_tbPNSt15iterator_traitsISL_E10value_typeEPNSR_ISM_E10value_typeEPSN_NS1_7vsmem_tEENKUlT_SL_SM_SN_E_clIS8_S8_S9_S9_EESK_S10_SL_SM_SN_EUlS10_E1_NS1_11comp_targetILNS1_3genE4ELNS1_11target_archE910ELNS1_3gpuE8ELNS1_3repE0EEENS1_36merge_oddeven_config_static_selectorELNS0_4arch9wavefront6targetE1EEEvSM_
; %bb.0:
	.section	.rodata,"a",@progbits
	.p2align	6, 0x0
	.amdhsa_kernel _ZN7rocprim17ROCPRIM_400000_NS6detail17trampoline_kernelINS0_14default_configENS1_38merge_sort_block_merge_config_selectorIlNS0_10empty_typeEEEZZNS1_27merge_sort_block_merge_implIS3_PlPS5_mZN2at6native12_GLOBAL__N_124unique_dim_cuda_templateIdEESt5tupleIJNSA_6TensorESF_SF_EERKSF_lbbbEUlllE_EE10hipError_tT0_T1_T2_jT3_P12ihipStream_tbPNSt15iterator_traitsISL_E10value_typeEPNSR_ISM_E10value_typeEPSN_NS1_7vsmem_tEENKUlT_SL_SM_SN_E_clIS8_S8_S9_S9_EESK_S10_SL_SM_SN_EUlS10_E1_NS1_11comp_targetILNS1_3genE4ELNS1_11target_archE910ELNS1_3gpuE8ELNS1_3repE0EEENS1_36merge_oddeven_config_static_selectorELNS0_4arch9wavefront6targetE1EEEvSM_
		.amdhsa_group_segment_fixed_size 0
		.amdhsa_private_segment_fixed_size 0
		.amdhsa_kernarg_size 64
		.amdhsa_user_sgpr_count 2
		.amdhsa_user_sgpr_dispatch_ptr 0
		.amdhsa_user_sgpr_queue_ptr 0
		.amdhsa_user_sgpr_kernarg_segment_ptr 1
		.amdhsa_user_sgpr_dispatch_id 0
		.amdhsa_user_sgpr_kernarg_preload_length 0
		.amdhsa_user_sgpr_kernarg_preload_offset 0
		.amdhsa_user_sgpr_private_segment_size 0
		.amdhsa_uses_dynamic_stack 0
		.amdhsa_enable_private_segment 0
		.amdhsa_system_sgpr_workgroup_id_x 1
		.amdhsa_system_sgpr_workgroup_id_y 0
		.amdhsa_system_sgpr_workgroup_id_z 0
		.amdhsa_system_sgpr_workgroup_info 0
		.amdhsa_system_vgpr_workitem_id 0
		.amdhsa_next_free_vgpr 1
		.amdhsa_next_free_sgpr 0
		.amdhsa_accum_offset 4
		.amdhsa_reserve_vcc 0
		.amdhsa_float_round_mode_32 0
		.amdhsa_float_round_mode_16_64 0
		.amdhsa_float_denorm_mode_32 3
		.amdhsa_float_denorm_mode_16_64 3
		.amdhsa_dx10_clamp 1
		.amdhsa_ieee_mode 1
		.amdhsa_fp16_overflow 0
		.amdhsa_tg_split 0
		.amdhsa_exception_fp_ieee_invalid_op 0
		.amdhsa_exception_fp_denorm_src 0
		.amdhsa_exception_fp_ieee_div_zero 0
		.amdhsa_exception_fp_ieee_overflow 0
		.amdhsa_exception_fp_ieee_underflow 0
		.amdhsa_exception_fp_ieee_inexact 0
		.amdhsa_exception_int_div_zero 0
	.end_amdhsa_kernel
	.section	.text._ZN7rocprim17ROCPRIM_400000_NS6detail17trampoline_kernelINS0_14default_configENS1_38merge_sort_block_merge_config_selectorIlNS0_10empty_typeEEEZZNS1_27merge_sort_block_merge_implIS3_PlPS5_mZN2at6native12_GLOBAL__N_124unique_dim_cuda_templateIdEESt5tupleIJNSA_6TensorESF_SF_EERKSF_lbbbEUlllE_EE10hipError_tT0_T1_T2_jT3_P12ihipStream_tbPNSt15iterator_traitsISL_E10value_typeEPNSR_ISM_E10value_typeEPSN_NS1_7vsmem_tEENKUlT_SL_SM_SN_E_clIS8_S8_S9_S9_EESK_S10_SL_SM_SN_EUlS10_E1_NS1_11comp_targetILNS1_3genE4ELNS1_11target_archE910ELNS1_3gpuE8ELNS1_3repE0EEENS1_36merge_oddeven_config_static_selectorELNS0_4arch9wavefront6targetE1EEEvSM_,"axG",@progbits,_ZN7rocprim17ROCPRIM_400000_NS6detail17trampoline_kernelINS0_14default_configENS1_38merge_sort_block_merge_config_selectorIlNS0_10empty_typeEEEZZNS1_27merge_sort_block_merge_implIS3_PlPS5_mZN2at6native12_GLOBAL__N_124unique_dim_cuda_templateIdEESt5tupleIJNSA_6TensorESF_SF_EERKSF_lbbbEUlllE_EE10hipError_tT0_T1_T2_jT3_P12ihipStream_tbPNSt15iterator_traitsISL_E10value_typeEPNSR_ISM_E10value_typeEPSN_NS1_7vsmem_tEENKUlT_SL_SM_SN_E_clIS8_S8_S9_S9_EESK_S10_SL_SM_SN_EUlS10_E1_NS1_11comp_targetILNS1_3genE4ELNS1_11target_archE910ELNS1_3gpuE8ELNS1_3repE0EEENS1_36merge_oddeven_config_static_selectorELNS0_4arch9wavefront6targetE1EEEvSM_,comdat
.Lfunc_end783:
	.size	_ZN7rocprim17ROCPRIM_400000_NS6detail17trampoline_kernelINS0_14default_configENS1_38merge_sort_block_merge_config_selectorIlNS0_10empty_typeEEEZZNS1_27merge_sort_block_merge_implIS3_PlPS5_mZN2at6native12_GLOBAL__N_124unique_dim_cuda_templateIdEESt5tupleIJNSA_6TensorESF_SF_EERKSF_lbbbEUlllE_EE10hipError_tT0_T1_T2_jT3_P12ihipStream_tbPNSt15iterator_traitsISL_E10value_typeEPNSR_ISM_E10value_typeEPSN_NS1_7vsmem_tEENKUlT_SL_SM_SN_E_clIS8_S8_S9_S9_EESK_S10_SL_SM_SN_EUlS10_E1_NS1_11comp_targetILNS1_3genE4ELNS1_11target_archE910ELNS1_3gpuE8ELNS1_3repE0EEENS1_36merge_oddeven_config_static_selectorELNS0_4arch9wavefront6targetE1EEEvSM_, .Lfunc_end783-_ZN7rocprim17ROCPRIM_400000_NS6detail17trampoline_kernelINS0_14default_configENS1_38merge_sort_block_merge_config_selectorIlNS0_10empty_typeEEEZZNS1_27merge_sort_block_merge_implIS3_PlPS5_mZN2at6native12_GLOBAL__N_124unique_dim_cuda_templateIdEESt5tupleIJNSA_6TensorESF_SF_EERKSF_lbbbEUlllE_EE10hipError_tT0_T1_T2_jT3_P12ihipStream_tbPNSt15iterator_traitsISL_E10value_typeEPNSR_ISM_E10value_typeEPSN_NS1_7vsmem_tEENKUlT_SL_SM_SN_E_clIS8_S8_S9_S9_EESK_S10_SL_SM_SN_EUlS10_E1_NS1_11comp_targetILNS1_3genE4ELNS1_11target_archE910ELNS1_3gpuE8ELNS1_3repE0EEENS1_36merge_oddeven_config_static_selectorELNS0_4arch9wavefront6targetE1EEEvSM_
                                        ; -- End function
	.section	.AMDGPU.csdata,"",@progbits
; Kernel info:
; codeLenInByte = 0
; NumSgprs: 6
; NumVgprs: 0
; NumAgprs: 0
; TotalNumVgprs: 0
; ScratchSize: 0
; MemoryBound: 0
; FloatMode: 240
; IeeeMode: 1
; LDSByteSize: 0 bytes/workgroup (compile time only)
; SGPRBlocks: 0
; VGPRBlocks: 0
; NumSGPRsForWavesPerEU: 6
; NumVGPRsForWavesPerEU: 1
; AccumOffset: 4
; Occupancy: 8
; WaveLimiterHint : 0
; COMPUTE_PGM_RSRC2:SCRATCH_EN: 0
; COMPUTE_PGM_RSRC2:USER_SGPR: 2
; COMPUTE_PGM_RSRC2:TRAP_HANDLER: 0
; COMPUTE_PGM_RSRC2:TGID_X_EN: 1
; COMPUTE_PGM_RSRC2:TGID_Y_EN: 0
; COMPUTE_PGM_RSRC2:TGID_Z_EN: 0
; COMPUTE_PGM_RSRC2:TIDIG_COMP_CNT: 0
; COMPUTE_PGM_RSRC3_GFX90A:ACCUM_OFFSET: 0
; COMPUTE_PGM_RSRC3_GFX90A:TG_SPLIT: 0
	.section	.text._ZN7rocprim17ROCPRIM_400000_NS6detail17trampoline_kernelINS0_14default_configENS1_38merge_sort_block_merge_config_selectorIlNS0_10empty_typeEEEZZNS1_27merge_sort_block_merge_implIS3_PlPS5_mZN2at6native12_GLOBAL__N_124unique_dim_cuda_templateIdEESt5tupleIJNSA_6TensorESF_SF_EERKSF_lbbbEUlllE_EE10hipError_tT0_T1_T2_jT3_P12ihipStream_tbPNSt15iterator_traitsISL_E10value_typeEPNSR_ISM_E10value_typeEPSN_NS1_7vsmem_tEENKUlT_SL_SM_SN_E_clIS8_S8_S9_S9_EESK_S10_SL_SM_SN_EUlS10_E1_NS1_11comp_targetILNS1_3genE3ELNS1_11target_archE908ELNS1_3gpuE7ELNS1_3repE0EEENS1_36merge_oddeven_config_static_selectorELNS0_4arch9wavefront6targetE1EEEvSM_,"axG",@progbits,_ZN7rocprim17ROCPRIM_400000_NS6detail17trampoline_kernelINS0_14default_configENS1_38merge_sort_block_merge_config_selectorIlNS0_10empty_typeEEEZZNS1_27merge_sort_block_merge_implIS3_PlPS5_mZN2at6native12_GLOBAL__N_124unique_dim_cuda_templateIdEESt5tupleIJNSA_6TensorESF_SF_EERKSF_lbbbEUlllE_EE10hipError_tT0_T1_T2_jT3_P12ihipStream_tbPNSt15iterator_traitsISL_E10value_typeEPNSR_ISM_E10value_typeEPSN_NS1_7vsmem_tEENKUlT_SL_SM_SN_E_clIS8_S8_S9_S9_EESK_S10_SL_SM_SN_EUlS10_E1_NS1_11comp_targetILNS1_3genE3ELNS1_11target_archE908ELNS1_3gpuE7ELNS1_3repE0EEENS1_36merge_oddeven_config_static_selectorELNS0_4arch9wavefront6targetE1EEEvSM_,comdat
	.globl	_ZN7rocprim17ROCPRIM_400000_NS6detail17trampoline_kernelINS0_14default_configENS1_38merge_sort_block_merge_config_selectorIlNS0_10empty_typeEEEZZNS1_27merge_sort_block_merge_implIS3_PlPS5_mZN2at6native12_GLOBAL__N_124unique_dim_cuda_templateIdEESt5tupleIJNSA_6TensorESF_SF_EERKSF_lbbbEUlllE_EE10hipError_tT0_T1_T2_jT3_P12ihipStream_tbPNSt15iterator_traitsISL_E10value_typeEPNSR_ISM_E10value_typeEPSN_NS1_7vsmem_tEENKUlT_SL_SM_SN_E_clIS8_S8_S9_S9_EESK_S10_SL_SM_SN_EUlS10_E1_NS1_11comp_targetILNS1_3genE3ELNS1_11target_archE908ELNS1_3gpuE7ELNS1_3repE0EEENS1_36merge_oddeven_config_static_selectorELNS0_4arch9wavefront6targetE1EEEvSM_ ; -- Begin function _ZN7rocprim17ROCPRIM_400000_NS6detail17trampoline_kernelINS0_14default_configENS1_38merge_sort_block_merge_config_selectorIlNS0_10empty_typeEEEZZNS1_27merge_sort_block_merge_implIS3_PlPS5_mZN2at6native12_GLOBAL__N_124unique_dim_cuda_templateIdEESt5tupleIJNSA_6TensorESF_SF_EERKSF_lbbbEUlllE_EE10hipError_tT0_T1_T2_jT3_P12ihipStream_tbPNSt15iterator_traitsISL_E10value_typeEPNSR_ISM_E10value_typeEPSN_NS1_7vsmem_tEENKUlT_SL_SM_SN_E_clIS8_S8_S9_S9_EESK_S10_SL_SM_SN_EUlS10_E1_NS1_11comp_targetILNS1_3genE3ELNS1_11target_archE908ELNS1_3gpuE7ELNS1_3repE0EEENS1_36merge_oddeven_config_static_selectorELNS0_4arch9wavefront6targetE1EEEvSM_
	.p2align	8
	.type	_ZN7rocprim17ROCPRIM_400000_NS6detail17trampoline_kernelINS0_14default_configENS1_38merge_sort_block_merge_config_selectorIlNS0_10empty_typeEEEZZNS1_27merge_sort_block_merge_implIS3_PlPS5_mZN2at6native12_GLOBAL__N_124unique_dim_cuda_templateIdEESt5tupleIJNSA_6TensorESF_SF_EERKSF_lbbbEUlllE_EE10hipError_tT0_T1_T2_jT3_P12ihipStream_tbPNSt15iterator_traitsISL_E10value_typeEPNSR_ISM_E10value_typeEPSN_NS1_7vsmem_tEENKUlT_SL_SM_SN_E_clIS8_S8_S9_S9_EESK_S10_SL_SM_SN_EUlS10_E1_NS1_11comp_targetILNS1_3genE3ELNS1_11target_archE908ELNS1_3gpuE7ELNS1_3repE0EEENS1_36merge_oddeven_config_static_selectorELNS0_4arch9wavefront6targetE1EEEvSM_,@function
_ZN7rocprim17ROCPRIM_400000_NS6detail17trampoline_kernelINS0_14default_configENS1_38merge_sort_block_merge_config_selectorIlNS0_10empty_typeEEEZZNS1_27merge_sort_block_merge_implIS3_PlPS5_mZN2at6native12_GLOBAL__N_124unique_dim_cuda_templateIdEESt5tupleIJNSA_6TensorESF_SF_EERKSF_lbbbEUlllE_EE10hipError_tT0_T1_T2_jT3_P12ihipStream_tbPNSt15iterator_traitsISL_E10value_typeEPNSR_ISM_E10value_typeEPSN_NS1_7vsmem_tEENKUlT_SL_SM_SN_E_clIS8_S8_S9_S9_EESK_S10_SL_SM_SN_EUlS10_E1_NS1_11comp_targetILNS1_3genE3ELNS1_11target_archE908ELNS1_3gpuE7ELNS1_3repE0EEENS1_36merge_oddeven_config_static_selectorELNS0_4arch9wavefront6targetE1EEEvSM_: ; @_ZN7rocprim17ROCPRIM_400000_NS6detail17trampoline_kernelINS0_14default_configENS1_38merge_sort_block_merge_config_selectorIlNS0_10empty_typeEEEZZNS1_27merge_sort_block_merge_implIS3_PlPS5_mZN2at6native12_GLOBAL__N_124unique_dim_cuda_templateIdEESt5tupleIJNSA_6TensorESF_SF_EERKSF_lbbbEUlllE_EE10hipError_tT0_T1_T2_jT3_P12ihipStream_tbPNSt15iterator_traitsISL_E10value_typeEPNSR_ISM_E10value_typeEPSN_NS1_7vsmem_tEENKUlT_SL_SM_SN_E_clIS8_S8_S9_S9_EESK_S10_SL_SM_SN_EUlS10_E1_NS1_11comp_targetILNS1_3genE3ELNS1_11target_archE908ELNS1_3gpuE7ELNS1_3repE0EEENS1_36merge_oddeven_config_static_selectorELNS0_4arch9wavefront6targetE1EEEvSM_
; %bb.0:
	.section	.rodata,"a",@progbits
	.p2align	6, 0x0
	.amdhsa_kernel _ZN7rocprim17ROCPRIM_400000_NS6detail17trampoline_kernelINS0_14default_configENS1_38merge_sort_block_merge_config_selectorIlNS0_10empty_typeEEEZZNS1_27merge_sort_block_merge_implIS3_PlPS5_mZN2at6native12_GLOBAL__N_124unique_dim_cuda_templateIdEESt5tupleIJNSA_6TensorESF_SF_EERKSF_lbbbEUlllE_EE10hipError_tT0_T1_T2_jT3_P12ihipStream_tbPNSt15iterator_traitsISL_E10value_typeEPNSR_ISM_E10value_typeEPSN_NS1_7vsmem_tEENKUlT_SL_SM_SN_E_clIS8_S8_S9_S9_EESK_S10_SL_SM_SN_EUlS10_E1_NS1_11comp_targetILNS1_3genE3ELNS1_11target_archE908ELNS1_3gpuE7ELNS1_3repE0EEENS1_36merge_oddeven_config_static_selectorELNS0_4arch9wavefront6targetE1EEEvSM_
		.amdhsa_group_segment_fixed_size 0
		.amdhsa_private_segment_fixed_size 0
		.amdhsa_kernarg_size 64
		.amdhsa_user_sgpr_count 2
		.amdhsa_user_sgpr_dispatch_ptr 0
		.amdhsa_user_sgpr_queue_ptr 0
		.amdhsa_user_sgpr_kernarg_segment_ptr 1
		.amdhsa_user_sgpr_dispatch_id 0
		.amdhsa_user_sgpr_kernarg_preload_length 0
		.amdhsa_user_sgpr_kernarg_preload_offset 0
		.amdhsa_user_sgpr_private_segment_size 0
		.amdhsa_uses_dynamic_stack 0
		.amdhsa_enable_private_segment 0
		.amdhsa_system_sgpr_workgroup_id_x 1
		.amdhsa_system_sgpr_workgroup_id_y 0
		.amdhsa_system_sgpr_workgroup_id_z 0
		.amdhsa_system_sgpr_workgroup_info 0
		.amdhsa_system_vgpr_workitem_id 0
		.amdhsa_next_free_vgpr 1
		.amdhsa_next_free_sgpr 0
		.amdhsa_accum_offset 4
		.amdhsa_reserve_vcc 0
		.amdhsa_float_round_mode_32 0
		.amdhsa_float_round_mode_16_64 0
		.amdhsa_float_denorm_mode_32 3
		.amdhsa_float_denorm_mode_16_64 3
		.amdhsa_dx10_clamp 1
		.amdhsa_ieee_mode 1
		.amdhsa_fp16_overflow 0
		.amdhsa_tg_split 0
		.amdhsa_exception_fp_ieee_invalid_op 0
		.amdhsa_exception_fp_denorm_src 0
		.amdhsa_exception_fp_ieee_div_zero 0
		.amdhsa_exception_fp_ieee_overflow 0
		.amdhsa_exception_fp_ieee_underflow 0
		.amdhsa_exception_fp_ieee_inexact 0
		.amdhsa_exception_int_div_zero 0
	.end_amdhsa_kernel
	.section	.text._ZN7rocprim17ROCPRIM_400000_NS6detail17trampoline_kernelINS0_14default_configENS1_38merge_sort_block_merge_config_selectorIlNS0_10empty_typeEEEZZNS1_27merge_sort_block_merge_implIS3_PlPS5_mZN2at6native12_GLOBAL__N_124unique_dim_cuda_templateIdEESt5tupleIJNSA_6TensorESF_SF_EERKSF_lbbbEUlllE_EE10hipError_tT0_T1_T2_jT3_P12ihipStream_tbPNSt15iterator_traitsISL_E10value_typeEPNSR_ISM_E10value_typeEPSN_NS1_7vsmem_tEENKUlT_SL_SM_SN_E_clIS8_S8_S9_S9_EESK_S10_SL_SM_SN_EUlS10_E1_NS1_11comp_targetILNS1_3genE3ELNS1_11target_archE908ELNS1_3gpuE7ELNS1_3repE0EEENS1_36merge_oddeven_config_static_selectorELNS0_4arch9wavefront6targetE1EEEvSM_,"axG",@progbits,_ZN7rocprim17ROCPRIM_400000_NS6detail17trampoline_kernelINS0_14default_configENS1_38merge_sort_block_merge_config_selectorIlNS0_10empty_typeEEEZZNS1_27merge_sort_block_merge_implIS3_PlPS5_mZN2at6native12_GLOBAL__N_124unique_dim_cuda_templateIdEESt5tupleIJNSA_6TensorESF_SF_EERKSF_lbbbEUlllE_EE10hipError_tT0_T1_T2_jT3_P12ihipStream_tbPNSt15iterator_traitsISL_E10value_typeEPNSR_ISM_E10value_typeEPSN_NS1_7vsmem_tEENKUlT_SL_SM_SN_E_clIS8_S8_S9_S9_EESK_S10_SL_SM_SN_EUlS10_E1_NS1_11comp_targetILNS1_3genE3ELNS1_11target_archE908ELNS1_3gpuE7ELNS1_3repE0EEENS1_36merge_oddeven_config_static_selectorELNS0_4arch9wavefront6targetE1EEEvSM_,comdat
.Lfunc_end784:
	.size	_ZN7rocprim17ROCPRIM_400000_NS6detail17trampoline_kernelINS0_14default_configENS1_38merge_sort_block_merge_config_selectorIlNS0_10empty_typeEEEZZNS1_27merge_sort_block_merge_implIS3_PlPS5_mZN2at6native12_GLOBAL__N_124unique_dim_cuda_templateIdEESt5tupleIJNSA_6TensorESF_SF_EERKSF_lbbbEUlllE_EE10hipError_tT0_T1_T2_jT3_P12ihipStream_tbPNSt15iterator_traitsISL_E10value_typeEPNSR_ISM_E10value_typeEPSN_NS1_7vsmem_tEENKUlT_SL_SM_SN_E_clIS8_S8_S9_S9_EESK_S10_SL_SM_SN_EUlS10_E1_NS1_11comp_targetILNS1_3genE3ELNS1_11target_archE908ELNS1_3gpuE7ELNS1_3repE0EEENS1_36merge_oddeven_config_static_selectorELNS0_4arch9wavefront6targetE1EEEvSM_, .Lfunc_end784-_ZN7rocprim17ROCPRIM_400000_NS6detail17trampoline_kernelINS0_14default_configENS1_38merge_sort_block_merge_config_selectorIlNS0_10empty_typeEEEZZNS1_27merge_sort_block_merge_implIS3_PlPS5_mZN2at6native12_GLOBAL__N_124unique_dim_cuda_templateIdEESt5tupleIJNSA_6TensorESF_SF_EERKSF_lbbbEUlllE_EE10hipError_tT0_T1_T2_jT3_P12ihipStream_tbPNSt15iterator_traitsISL_E10value_typeEPNSR_ISM_E10value_typeEPSN_NS1_7vsmem_tEENKUlT_SL_SM_SN_E_clIS8_S8_S9_S9_EESK_S10_SL_SM_SN_EUlS10_E1_NS1_11comp_targetILNS1_3genE3ELNS1_11target_archE908ELNS1_3gpuE7ELNS1_3repE0EEENS1_36merge_oddeven_config_static_selectorELNS0_4arch9wavefront6targetE1EEEvSM_
                                        ; -- End function
	.section	.AMDGPU.csdata,"",@progbits
; Kernel info:
; codeLenInByte = 0
; NumSgprs: 6
; NumVgprs: 0
; NumAgprs: 0
; TotalNumVgprs: 0
; ScratchSize: 0
; MemoryBound: 0
; FloatMode: 240
; IeeeMode: 1
; LDSByteSize: 0 bytes/workgroup (compile time only)
; SGPRBlocks: 0
; VGPRBlocks: 0
; NumSGPRsForWavesPerEU: 6
; NumVGPRsForWavesPerEU: 1
; AccumOffset: 4
; Occupancy: 8
; WaveLimiterHint : 0
; COMPUTE_PGM_RSRC2:SCRATCH_EN: 0
; COMPUTE_PGM_RSRC2:USER_SGPR: 2
; COMPUTE_PGM_RSRC2:TRAP_HANDLER: 0
; COMPUTE_PGM_RSRC2:TGID_X_EN: 1
; COMPUTE_PGM_RSRC2:TGID_Y_EN: 0
; COMPUTE_PGM_RSRC2:TGID_Z_EN: 0
; COMPUTE_PGM_RSRC2:TIDIG_COMP_CNT: 0
; COMPUTE_PGM_RSRC3_GFX90A:ACCUM_OFFSET: 0
; COMPUTE_PGM_RSRC3_GFX90A:TG_SPLIT: 0
	.section	.text._ZN7rocprim17ROCPRIM_400000_NS6detail17trampoline_kernelINS0_14default_configENS1_38merge_sort_block_merge_config_selectorIlNS0_10empty_typeEEEZZNS1_27merge_sort_block_merge_implIS3_PlPS5_mZN2at6native12_GLOBAL__N_124unique_dim_cuda_templateIdEESt5tupleIJNSA_6TensorESF_SF_EERKSF_lbbbEUlllE_EE10hipError_tT0_T1_T2_jT3_P12ihipStream_tbPNSt15iterator_traitsISL_E10value_typeEPNSR_ISM_E10value_typeEPSN_NS1_7vsmem_tEENKUlT_SL_SM_SN_E_clIS8_S8_S9_S9_EESK_S10_SL_SM_SN_EUlS10_E1_NS1_11comp_targetILNS1_3genE2ELNS1_11target_archE906ELNS1_3gpuE6ELNS1_3repE0EEENS1_36merge_oddeven_config_static_selectorELNS0_4arch9wavefront6targetE1EEEvSM_,"axG",@progbits,_ZN7rocprim17ROCPRIM_400000_NS6detail17trampoline_kernelINS0_14default_configENS1_38merge_sort_block_merge_config_selectorIlNS0_10empty_typeEEEZZNS1_27merge_sort_block_merge_implIS3_PlPS5_mZN2at6native12_GLOBAL__N_124unique_dim_cuda_templateIdEESt5tupleIJNSA_6TensorESF_SF_EERKSF_lbbbEUlllE_EE10hipError_tT0_T1_T2_jT3_P12ihipStream_tbPNSt15iterator_traitsISL_E10value_typeEPNSR_ISM_E10value_typeEPSN_NS1_7vsmem_tEENKUlT_SL_SM_SN_E_clIS8_S8_S9_S9_EESK_S10_SL_SM_SN_EUlS10_E1_NS1_11comp_targetILNS1_3genE2ELNS1_11target_archE906ELNS1_3gpuE6ELNS1_3repE0EEENS1_36merge_oddeven_config_static_selectorELNS0_4arch9wavefront6targetE1EEEvSM_,comdat
	.globl	_ZN7rocprim17ROCPRIM_400000_NS6detail17trampoline_kernelINS0_14default_configENS1_38merge_sort_block_merge_config_selectorIlNS0_10empty_typeEEEZZNS1_27merge_sort_block_merge_implIS3_PlPS5_mZN2at6native12_GLOBAL__N_124unique_dim_cuda_templateIdEESt5tupleIJNSA_6TensorESF_SF_EERKSF_lbbbEUlllE_EE10hipError_tT0_T1_T2_jT3_P12ihipStream_tbPNSt15iterator_traitsISL_E10value_typeEPNSR_ISM_E10value_typeEPSN_NS1_7vsmem_tEENKUlT_SL_SM_SN_E_clIS8_S8_S9_S9_EESK_S10_SL_SM_SN_EUlS10_E1_NS1_11comp_targetILNS1_3genE2ELNS1_11target_archE906ELNS1_3gpuE6ELNS1_3repE0EEENS1_36merge_oddeven_config_static_selectorELNS0_4arch9wavefront6targetE1EEEvSM_ ; -- Begin function _ZN7rocprim17ROCPRIM_400000_NS6detail17trampoline_kernelINS0_14default_configENS1_38merge_sort_block_merge_config_selectorIlNS0_10empty_typeEEEZZNS1_27merge_sort_block_merge_implIS3_PlPS5_mZN2at6native12_GLOBAL__N_124unique_dim_cuda_templateIdEESt5tupleIJNSA_6TensorESF_SF_EERKSF_lbbbEUlllE_EE10hipError_tT0_T1_T2_jT3_P12ihipStream_tbPNSt15iterator_traitsISL_E10value_typeEPNSR_ISM_E10value_typeEPSN_NS1_7vsmem_tEENKUlT_SL_SM_SN_E_clIS8_S8_S9_S9_EESK_S10_SL_SM_SN_EUlS10_E1_NS1_11comp_targetILNS1_3genE2ELNS1_11target_archE906ELNS1_3gpuE6ELNS1_3repE0EEENS1_36merge_oddeven_config_static_selectorELNS0_4arch9wavefront6targetE1EEEvSM_
	.p2align	8
	.type	_ZN7rocprim17ROCPRIM_400000_NS6detail17trampoline_kernelINS0_14default_configENS1_38merge_sort_block_merge_config_selectorIlNS0_10empty_typeEEEZZNS1_27merge_sort_block_merge_implIS3_PlPS5_mZN2at6native12_GLOBAL__N_124unique_dim_cuda_templateIdEESt5tupleIJNSA_6TensorESF_SF_EERKSF_lbbbEUlllE_EE10hipError_tT0_T1_T2_jT3_P12ihipStream_tbPNSt15iterator_traitsISL_E10value_typeEPNSR_ISM_E10value_typeEPSN_NS1_7vsmem_tEENKUlT_SL_SM_SN_E_clIS8_S8_S9_S9_EESK_S10_SL_SM_SN_EUlS10_E1_NS1_11comp_targetILNS1_3genE2ELNS1_11target_archE906ELNS1_3gpuE6ELNS1_3repE0EEENS1_36merge_oddeven_config_static_selectorELNS0_4arch9wavefront6targetE1EEEvSM_,@function
_ZN7rocprim17ROCPRIM_400000_NS6detail17trampoline_kernelINS0_14default_configENS1_38merge_sort_block_merge_config_selectorIlNS0_10empty_typeEEEZZNS1_27merge_sort_block_merge_implIS3_PlPS5_mZN2at6native12_GLOBAL__N_124unique_dim_cuda_templateIdEESt5tupleIJNSA_6TensorESF_SF_EERKSF_lbbbEUlllE_EE10hipError_tT0_T1_T2_jT3_P12ihipStream_tbPNSt15iterator_traitsISL_E10value_typeEPNSR_ISM_E10value_typeEPSN_NS1_7vsmem_tEENKUlT_SL_SM_SN_E_clIS8_S8_S9_S9_EESK_S10_SL_SM_SN_EUlS10_E1_NS1_11comp_targetILNS1_3genE2ELNS1_11target_archE906ELNS1_3gpuE6ELNS1_3repE0EEENS1_36merge_oddeven_config_static_selectorELNS0_4arch9wavefront6targetE1EEEvSM_: ; @_ZN7rocprim17ROCPRIM_400000_NS6detail17trampoline_kernelINS0_14default_configENS1_38merge_sort_block_merge_config_selectorIlNS0_10empty_typeEEEZZNS1_27merge_sort_block_merge_implIS3_PlPS5_mZN2at6native12_GLOBAL__N_124unique_dim_cuda_templateIdEESt5tupleIJNSA_6TensorESF_SF_EERKSF_lbbbEUlllE_EE10hipError_tT0_T1_T2_jT3_P12ihipStream_tbPNSt15iterator_traitsISL_E10value_typeEPNSR_ISM_E10value_typeEPSN_NS1_7vsmem_tEENKUlT_SL_SM_SN_E_clIS8_S8_S9_S9_EESK_S10_SL_SM_SN_EUlS10_E1_NS1_11comp_targetILNS1_3genE2ELNS1_11target_archE906ELNS1_3gpuE6ELNS1_3repE0EEENS1_36merge_oddeven_config_static_selectorELNS0_4arch9wavefront6targetE1EEEvSM_
; %bb.0:
	.section	.rodata,"a",@progbits
	.p2align	6, 0x0
	.amdhsa_kernel _ZN7rocprim17ROCPRIM_400000_NS6detail17trampoline_kernelINS0_14default_configENS1_38merge_sort_block_merge_config_selectorIlNS0_10empty_typeEEEZZNS1_27merge_sort_block_merge_implIS3_PlPS5_mZN2at6native12_GLOBAL__N_124unique_dim_cuda_templateIdEESt5tupleIJNSA_6TensorESF_SF_EERKSF_lbbbEUlllE_EE10hipError_tT0_T1_T2_jT3_P12ihipStream_tbPNSt15iterator_traitsISL_E10value_typeEPNSR_ISM_E10value_typeEPSN_NS1_7vsmem_tEENKUlT_SL_SM_SN_E_clIS8_S8_S9_S9_EESK_S10_SL_SM_SN_EUlS10_E1_NS1_11comp_targetILNS1_3genE2ELNS1_11target_archE906ELNS1_3gpuE6ELNS1_3repE0EEENS1_36merge_oddeven_config_static_selectorELNS0_4arch9wavefront6targetE1EEEvSM_
		.amdhsa_group_segment_fixed_size 0
		.amdhsa_private_segment_fixed_size 0
		.amdhsa_kernarg_size 64
		.amdhsa_user_sgpr_count 2
		.amdhsa_user_sgpr_dispatch_ptr 0
		.amdhsa_user_sgpr_queue_ptr 0
		.amdhsa_user_sgpr_kernarg_segment_ptr 1
		.amdhsa_user_sgpr_dispatch_id 0
		.amdhsa_user_sgpr_kernarg_preload_length 0
		.amdhsa_user_sgpr_kernarg_preload_offset 0
		.amdhsa_user_sgpr_private_segment_size 0
		.amdhsa_uses_dynamic_stack 0
		.amdhsa_enable_private_segment 0
		.amdhsa_system_sgpr_workgroup_id_x 1
		.amdhsa_system_sgpr_workgroup_id_y 0
		.amdhsa_system_sgpr_workgroup_id_z 0
		.amdhsa_system_sgpr_workgroup_info 0
		.amdhsa_system_vgpr_workitem_id 0
		.amdhsa_next_free_vgpr 1
		.amdhsa_next_free_sgpr 0
		.amdhsa_accum_offset 4
		.amdhsa_reserve_vcc 0
		.amdhsa_float_round_mode_32 0
		.amdhsa_float_round_mode_16_64 0
		.amdhsa_float_denorm_mode_32 3
		.amdhsa_float_denorm_mode_16_64 3
		.amdhsa_dx10_clamp 1
		.amdhsa_ieee_mode 1
		.amdhsa_fp16_overflow 0
		.amdhsa_tg_split 0
		.amdhsa_exception_fp_ieee_invalid_op 0
		.amdhsa_exception_fp_denorm_src 0
		.amdhsa_exception_fp_ieee_div_zero 0
		.amdhsa_exception_fp_ieee_overflow 0
		.amdhsa_exception_fp_ieee_underflow 0
		.amdhsa_exception_fp_ieee_inexact 0
		.amdhsa_exception_int_div_zero 0
	.end_amdhsa_kernel
	.section	.text._ZN7rocprim17ROCPRIM_400000_NS6detail17trampoline_kernelINS0_14default_configENS1_38merge_sort_block_merge_config_selectorIlNS0_10empty_typeEEEZZNS1_27merge_sort_block_merge_implIS3_PlPS5_mZN2at6native12_GLOBAL__N_124unique_dim_cuda_templateIdEESt5tupleIJNSA_6TensorESF_SF_EERKSF_lbbbEUlllE_EE10hipError_tT0_T1_T2_jT3_P12ihipStream_tbPNSt15iterator_traitsISL_E10value_typeEPNSR_ISM_E10value_typeEPSN_NS1_7vsmem_tEENKUlT_SL_SM_SN_E_clIS8_S8_S9_S9_EESK_S10_SL_SM_SN_EUlS10_E1_NS1_11comp_targetILNS1_3genE2ELNS1_11target_archE906ELNS1_3gpuE6ELNS1_3repE0EEENS1_36merge_oddeven_config_static_selectorELNS0_4arch9wavefront6targetE1EEEvSM_,"axG",@progbits,_ZN7rocprim17ROCPRIM_400000_NS6detail17trampoline_kernelINS0_14default_configENS1_38merge_sort_block_merge_config_selectorIlNS0_10empty_typeEEEZZNS1_27merge_sort_block_merge_implIS3_PlPS5_mZN2at6native12_GLOBAL__N_124unique_dim_cuda_templateIdEESt5tupleIJNSA_6TensorESF_SF_EERKSF_lbbbEUlllE_EE10hipError_tT0_T1_T2_jT3_P12ihipStream_tbPNSt15iterator_traitsISL_E10value_typeEPNSR_ISM_E10value_typeEPSN_NS1_7vsmem_tEENKUlT_SL_SM_SN_E_clIS8_S8_S9_S9_EESK_S10_SL_SM_SN_EUlS10_E1_NS1_11comp_targetILNS1_3genE2ELNS1_11target_archE906ELNS1_3gpuE6ELNS1_3repE0EEENS1_36merge_oddeven_config_static_selectorELNS0_4arch9wavefront6targetE1EEEvSM_,comdat
.Lfunc_end785:
	.size	_ZN7rocprim17ROCPRIM_400000_NS6detail17trampoline_kernelINS0_14default_configENS1_38merge_sort_block_merge_config_selectorIlNS0_10empty_typeEEEZZNS1_27merge_sort_block_merge_implIS3_PlPS5_mZN2at6native12_GLOBAL__N_124unique_dim_cuda_templateIdEESt5tupleIJNSA_6TensorESF_SF_EERKSF_lbbbEUlllE_EE10hipError_tT0_T1_T2_jT3_P12ihipStream_tbPNSt15iterator_traitsISL_E10value_typeEPNSR_ISM_E10value_typeEPSN_NS1_7vsmem_tEENKUlT_SL_SM_SN_E_clIS8_S8_S9_S9_EESK_S10_SL_SM_SN_EUlS10_E1_NS1_11comp_targetILNS1_3genE2ELNS1_11target_archE906ELNS1_3gpuE6ELNS1_3repE0EEENS1_36merge_oddeven_config_static_selectorELNS0_4arch9wavefront6targetE1EEEvSM_, .Lfunc_end785-_ZN7rocprim17ROCPRIM_400000_NS6detail17trampoline_kernelINS0_14default_configENS1_38merge_sort_block_merge_config_selectorIlNS0_10empty_typeEEEZZNS1_27merge_sort_block_merge_implIS3_PlPS5_mZN2at6native12_GLOBAL__N_124unique_dim_cuda_templateIdEESt5tupleIJNSA_6TensorESF_SF_EERKSF_lbbbEUlllE_EE10hipError_tT0_T1_T2_jT3_P12ihipStream_tbPNSt15iterator_traitsISL_E10value_typeEPNSR_ISM_E10value_typeEPSN_NS1_7vsmem_tEENKUlT_SL_SM_SN_E_clIS8_S8_S9_S9_EESK_S10_SL_SM_SN_EUlS10_E1_NS1_11comp_targetILNS1_3genE2ELNS1_11target_archE906ELNS1_3gpuE6ELNS1_3repE0EEENS1_36merge_oddeven_config_static_selectorELNS0_4arch9wavefront6targetE1EEEvSM_
                                        ; -- End function
	.section	.AMDGPU.csdata,"",@progbits
; Kernel info:
; codeLenInByte = 0
; NumSgprs: 6
; NumVgprs: 0
; NumAgprs: 0
; TotalNumVgprs: 0
; ScratchSize: 0
; MemoryBound: 0
; FloatMode: 240
; IeeeMode: 1
; LDSByteSize: 0 bytes/workgroup (compile time only)
; SGPRBlocks: 0
; VGPRBlocks: 0
; NumSGPRsForWavesPerEU: 6
; NumVGPRsForWavesPerEU: 1
; AccumOffset: 4
; Occupancy: 8
; WaveLimiterHint : 0
; COMPUTE_PGM_RSRC2:SCRATCH_EN: 0
; COMPUTE_PGM_RSRC2:USER_SGPR: 2
; COMPUTE_PGM_RSRC2:TRAP_HANDLER: 0
; COMPUTE_PGM_RSRC2:TGID_X_EN: 1
; COMPUTE_PGM_RSRC2:TGID_Y_EN: 0
; COMPUTE_PGM_RSRC2:TGID_Z_EN: 0
; COMPUTE_PGM_RSRC2:TIDIG_COMP_CNT: 0
; COMPUTE_PGM_RSRC3_GFX90A:ACCUM_OFFSET: 0
; COMPUTE_PGM_RSRC3_GFX90A:TG_SPLIT: 0
	.section	.text._ZN7rocprim17ROCPRIM_400000_NS6detail17trampoline_kernelINS0_14default_configENS1_38merge_sort_block_merge_config_selectorIlNS0_10empty_typeEEEZZNS1_27merge_sort_block_merge_implIS3_PlPS5_mZN2at6native12_GLOBAL__N_124unique_dim_cuda_templateIdEESt5tupleIJNSA_6TensorESF_SF_EERKSF_lbbbEUlllE_EE10hipError_tT0_T1_T2_jT3_P12ihipStream_tbPNSt15iterator_traitsISL_E10value_typeEPNSR_ISM_E10value_typeEPSN_NS1_7vsmem_tEENKUlT_SL_SM_SN_E_clIS8_S8_S9_S9_EESK_S10_SL_SM_SN_EUlS10_E1_NS1_11comp_targetILNS1_3genE9ELNS1_11target_archE1100ELNS1_3gpuE3ELNS1_3repE0EEENS1_36merge_oddeven_config_static_selectorELNS0_4arch9wavefront6targetE1EEEvSM_,"axG",@progbits,_ZN7rocprim17ROCPRIM_400000_NS6detail17trampoline_kernelINS0_14default_configENS1_38merge_sort_block_merge_config_selectorIlNS0_10empty_typeEEEZZNS1_27merge_sort_block_merge_implIS3_PlPS5_mZN2at6native12_GLOBAL__N_124unique_dim_cuda_templateIdEESt5tupleIJNSA_6TensorESF_SF_EERKSF_lbbbEUlllE_EE10hipError_tT0_T1_T2_jT3_P12ihipStream_tbPNSt15iterator_traitsISL_E10value_typeEPNSR_ISM_E10value_typeEPSN_NS1_7vsmem_tEENKUlT_SL_SM_SN_E_clIS8_S8_S9_S9_EESK_S10_SL_SM_SN_EUlS10_E1_NS1_11comp_targetILNS1_3genE9ELNS1_11target_archE1100ELNS1_3gpuE3ELNS1_3repE0EEENS1_36merge_oddeven_config_static_selectorELNS0_4arch9wavefront6targetE1EEEvSM_,comdat
	.globl	_ZN7rocprim17ROCPRIM_400000_NS6detail17trampoline_kernelINS0_14default_configENS1_38merge_sort_block_merge_config_selectorIlNS0_10empty_typeEEEZZNS1_27merge_sort_block_merge_implIS3_PlPS5_mZN2at6native12_GLOBAL__N_124unique_dim_cuda_templateIdEESt5tupleIJNSA_6TensorESF_SF_EERKSF_lbbbEUlllE_EE10hipError_tT0_T1_T2_jT3_P12ihipStream_tbPNSt15iterator_traitsISL_E10value_typeEPNSR_ISM_E10value_typeEPSN_NS1_7vsmem_tEENKUlT_SL_SM_SN_E_clIS8_S8_S9_S9_EESK_S10_SL_SM_SN_EUlS10_E1_NS1_11comp_targetILNS1_3genE9ELNS1_11target_archE1100ELNS1_3gpuE3ELNS1_3repE0EEENS1_36merge_oddeven_config_static_selectorELNS0_4arch9wavefront6targetE1EEEvSM_ ; -- Begin function _ZN7rocprim17ROCPRIM_400000_NS6detail17trampoline_kernelINS0_14default_configENS1_38merge_sort_block_merge_config_selectorIlNS0_10empty_typeEEEZZNS1_27merge_sort_block_merge_implIS3_PlPS5_mZN2at6native12_GLOBAL__N_124unique_dim_cuda_templateIdEESt5tupleIJNSA_6TensorESF_SF_EERKSF_lbbbEUlllE_EE10hipError_tT0_T1_T2_jT3_P12ihipStream_tbPNSt15iterator_traitsISL_E10value_typeEPNSR_ISM_E10value_typeEPSN_NS1_7vsmem_tEENKUlT_SL_SM_SN_E_clIS8_S8_S9_S9_EESK_S10_SL_SM_SN_EUlS10_E1_NS1_11comp_targetILNS1_3genE9ELNS1_11target_archE1100ELNS1_3gpuE3ELNS1_3repE0EEENS1_36merge_oddeven_config_static_selectorELNS0_4arch9wavefront6targetE1EEEvSM_
	.p2align	8
	.type	_ZN7rocprim17ROCPRIM_400000_NS6detail17trampoline_kernelINS0_14default_configENS1_38merge_sort_block_merge_config_selectorIlNS0_10empty_typeEEEZZNS1_27merge_sort_block_merge_implIS3_PlPS5_mZN2at6native12_GLOBAL__N_124unique_dim_cuda_templateIdEESt5tupleIJNSA_6TensorESF_SF_EERKSF_lbbbEUlllE_EE10hipError_tT0_T1_T2_jT3_P12ihipStream_tbPNSt15iterator_traitsISL_E10value_typeEPNSR_ISM_E10value_typeEPSN_NS1_7vsmem_tEENKUlT_SL_SM_SN_E_clIS8_S8_S9_S9_EESK_S10_SL_SM_SN_EUlS10_E1_NS1_11comp_targetILNS1_3genE9ELNS1_11target_archE1100ELNS1_3gpuE3ELNS1_3repE0EEENS1_36merge_oddeven_config_static_selectorELNS0_4arch9wavefront6targetE1EEEvSM_,@function
_ZN7rocprim17ROCPRIM_400000_NS6detail17trampoline_kernelINS0_14default_configENS1_38merge_sort_block_merge_config_selectorIlNS0_10empty_typeEEEZZNS1_27merge_sort_block_merge_implIS3_PlPS5_mZN2at6native12_GLOBAL__N_124unique_dim_cuda_templateIdEESt5tupleIJNSA_6TensorESF_SF_EERKSF_lbbbEUlllE_EE10hipError_tT0_T1_T2_jT3_P12ihipStream_tbPNSt15iterator_traitsISL_E10value_typeEPNSR_ISM_E10value_typeEPSN_NS1_7vsmem_tEENKUlT_SL_SM_SN_E_clIS8_S8_S9_S9_EESK_S10_SL_SM_SN_EUlS10_E1_NS1_11comp_targetILNS1_3genE9ELNS1_11target_archE1100ELNS1_3gpuE3ELNS1_3repE0EEENS1_36merge_oddeven_config_static_selectorELNS0_4arch9wavefront6targetE1EEEvSM_: ; @_ZN7rocprim17ROCPRIM_400000_NS6detail17trampoline_kernelINS0_14default_configENS1_38merge_sort_block_merge_config_selectorIlNS0_10empty_typeEEEZZNS1_27merge_sort_block_merge_implIS3_PlPS5_mZN2at6native12_GLOBAL__N_124unique_dim_cuda_templateIdEESt5tupleIJNSA_6TensorESF_SF_EERKSF_lbbbEUlllE_EE10hipError_tT0_T1_T2_jT3_P12ihipStream_tbPNSt15iterator_traitsISL_E10value_typeEPNSR_ISM_E10value_typeEPSN_NS1_7vsmem_tEENKUlT_SL_SM_SN_E_clIS8_S8_S9_S9_EESK_S10_SL_SM_SN_EUlS10_E1_NS1_11comp_targetILNS1_3genE9ELNS1_11target_archE1100ELNS1_3gpuE3ELNS1_3repE0EEENS1_36merge_oddeven_config_static_selectorELNS0_4arch9wavefront6targetE1EEEvSM_
; %bb.0:
	.section	.rodata,"a",@progbits
	.p2align	6, 0x0
	.amdhsa_kernel _ZN7rocprim17ROCPRIM_400000_NS6detail17trampoline_kernelINS0_14default_configENS1_38merge_sort_block_merge_config_selectorIlNS0_10empty_typeEEEZZNS1_27merge_sort_block_merge_implIS3_PlPS5_mZN2at6native12_GLOBAL__N_124unique_dim_cuda_templateIdEESt5tupleIJNSA_6TensorESF_SF_EERKSF_lbbbEUlllE_EE10hipError_tT0_T1_T2_jT3_P12ihipStream_tbPNSt15iterator_traitsISL_E10value_typeEPNSR_ISM_E10value_typeEPSN_NS1_7vsmem_tEENKUlT_SL_SM_SN_E_clIS8_S8_S9_S9_EESK_S10_SL_SM_SN_EUlS10_E1_NS1_11comp_targetILNS1_3genE9ELNS1_11target_archE1100ELNS1_3gpuE3ELNS1_3repE0EEENS1_36merge_oddeven_config_static_selectorELNS0_4arch9wavefront6targetE1EEEvSM_
		.amdhsa_group_segment_fixed_size 0
		.amdhsa_private_segment_fixed_size 0
		.amdhsa_kernarg_size 64
		.amdhsa_user_sgpr_count 2
		.amdhsa_user_sgpr_dispatch_ptr 0
		.amdhsa_user_sgpr_queue_ptr 0
		.amdhsa_user_sgpr_kernarg_segment_ptr 1
		.amdhsa_user_sgpr_dispatch_id 0
		.amdhsa_user_sgpr_kernarg_preload_length 0
		.amdhsa_user_sgpr_kernarg_preload_offset 0
		.amdhsa_user_sgpr_private_segment_size 0
		.amdhsa_uses_dynamic_stack 0
		.amdhsa_enable_private_segment 0
		.amdhsa_system_sgpr_workgroup_id_x 1
		.amdhsa_system_sgpr_workgroup_id_y 0
		.amdhsa_system_sgpr_workgroup_id_z 0
		.amdhsa_system_sgpr_workgroup_info 0
		.amdhsa_system_vgpr_workitem_id 0
		.amdhsa_next_free_vgpr 1
		.amdhsa_next_free_sgpr 0
		.amdhsa_accum_offset 4
		.amdhsa_reserve_vcc 0
		.amdhsa_float_round_mode_32 0
		.amdhsa_float_round_mode_16_64 0
		.amdhsa_float_denorm_mode_32 3
		.amdhsa_float_denorm_mode_16_64 3
		.amdhsa_dx10_clamp 1
		.amdhsa_ieee_mode 1
		.amdhsa_fp16_overflow 0
		.amdhsa_tg_split 0
		.amdhsa_exception_fp_ieee_invalid_op 0
		.amdhsa_exception_fp_denorm_src 0
		.amdhsa_exception_fp_ieee_div_zero 0
		.amdhsa_exception_fp_ieee_overflow 0
		.amdhsa_exception_fp_ieee_underflow 0
		.amdhsa_exception_fp_ieee_inexact 0
		.amdhsa_exception_int_div_zero 0
	.end_amdhsa_kernel
	.section	.text._ZN7rocprim17ROCPRIM_400000_NS6detail17trampoline_kernelINS0_14default_configENS1_38merge_sort_block_merge_config_selectorIlNS0_10empty_typeEEEZZNS1_27merge_sort_block_merge_implIS3_PlPS5_mZN2at6native12_GLOBAL__N_124unique_dim_cuda_templateIdEESt5tupleIJNSA_6TensorESF_SF_EERKSF_lbbbEUlllE_EE10hipError_tT0_T1_T2_jT3_P12ihipStream_tbPNSt15iterator_traitsISL_E10value_typeEPNSR_ISM_E10value_typeEPSN_NS1_7vsmem_tEENKUlT_SL_SM_SN_E_clIS8_S8_S9_S9_EESK_S10_SL_SM_SN_EUlS10_E1_NS1_11comp_targetILNS1_3genE9ELNS1_11target_archE1100ELNS1_3gpuE3ELNS1_3repE0EEENS1_36merge_oddeven_config_static_selectorELNS0_4arch9wavefront6targetE1EEEvSM_,"axG",@progbits,_ZN7rocprim17ROCPRIM_400000_NS6detail17trampoline_kernelINS0_14default_configENS1_38merge_sort_block_merge_config_selectorIlNS0_10empty_typeEEEZZNS1_27merge_sort_block_merge_implIS3_PlPS5_mZN2at6native12_GLOBAL__N_124unique_dim_cuda_templateIdEESt5tupleIJNSA_6TensorESF_SF_EERKSF_lbbbEUlllE_EE10hipError_tT0_T1_T2_jT3_P12ihipStream_tbPNSt15iterator_traitsISL_E10value_typeEPNSR_ISM_E10value_typeEPSN_NS1_7vsmem_tEENKUlT_SL_SM_SN_E_clIS8_S8_S9_S9_EESK_S10_SL_SM_SN_EUlS10_E1_NS1_11comp_targetILNS1_3genE9ELNS1_11target_archE1100ELNS1_3gpuE3ELNS1_3repE0EEENS1_36merge_oddeven_config_static_selectorELNS0_4arch9wavefront6targetE1EEEvSM_,comdat
.Lfunc_end786:
	.size	_ZN7rocprim17ROCPRIM_400000_NS6detail17trampoline_kernelINS0_14default_configENS1_38merge_sort_block_merge_config_selectorIlNS0_10empty_typeEEEZZNS1_27merge_sort_block_merge_implIS3_PlPS5_mZN2at6native12_GLOBAL__N_124unique_dim_cuda_templateIdEESt5tupleIJNSA_6TensorESF_SF_EERKSF_lbbbEUlllE_EE10hipError_tT0_T1_T2_jT3_P12ihipStream_tbPNSt15iterator_traitsISL_E10value_typeEPNSR_ISM_E10value_typeEPSN_NS1_7vsmem_tEENKUlT_SL_SM_SN_E_clIS8_S8_S9_S9_EESK_S10_SL_SM_SN_EUlS10_E1_NS1_11comp_targetILNS1_3genE9ELNS1_11target_archE1100ELNS1_3gpuE3ELNS1_3repE0EEENS1_36merge_oddeven_config_static_selectorELNS0_4arch9wavefront6targetE1EEEvSM_, .Lfunc_end786-_ZN7rocprim17ROCPRIM_400000_NS6detail17trampoline_kernelINS0_14default_configENS1_38merge_sort_block_merge_config_selectorIlNS0_10empty_typeEEEZZNS1_27merge_sort_block_merge_implIS3_PlPS5_mZN2at6native12_GLOBAL__N_124unique_dim_cuda_templateIdEESt5tupleIJNSA_6TensorESF_SF_EERKSF_lbbbEUlllE_EE10hipError_tT0_T1_T2_jT3_P12ihipStream_tbPNSt15iterator_traitsISL_E10value_typeEPNSR_ISM_E10value_typeEPSN_NS1_7vsmem_tEENKUlT_SL_SM_SN_E_clIS8_S8_S9_S9_EESK_S10_SL_SM_SN_EUlS10_E1_NS1_11comp_targetILNS1_3genE9ELNS1_11target_archE1100ELNS1_3gpuE3ELNS1_3repE0EEENS1_36merge_oddeven_config_static_selectorELNS0_4arch9wavefront6targetE1EEEvSM_
                                        ; -- End function
	.section	.AMDGPU.csdata,"",@progbits
; Kernel info:
; codeLenInByte = 0
; NumSgprs: 6
; NumVgprs: 0
; NumAgprs: 0
; TotalNumVgprs: 0
; ScratchSize: 0
; MemoryBound: 0
; FloatMode: 240
; IeeeMode: 1
; LDSByteSize: 0 bytes/workgroup (compile time only)
; SGPRBlocks: 0
; VGPRBlocks: 0
; NumSGPRsForWavesPerEU: 6
; NumVGPRsForWavesPerEU: 1
; AccumOffset: 4
; Occupancy: 8
; WaveLimiterHint : 0
; COMPUTE_PGM_RSRC2:SCRATCH_EN: 0
; COMPUTE_PGM_RSRC2:USER_SGPR: 2
; COMPUTE_PGM_RSRC2:TRAP_HANDLER: 0
; COMPUTE_PGM_RSRC2:TGID_X_EN: 1
; COMPUTE_PGM_RSRC2:TGID_Y_EN: 0
; COMPUTE_PGM_RSRC2:TGID_Z_EN: 0
; COMPUTE_PGM_RSRC2:TIDIG_COMP_CNT: 0
; COMPUTE_PGM_RSRC3_GFX90A:ACCUM_OFFSET: 0
; COMPUTE_PGM_RSRC3_GFX90A:TG_SPLIT: 0
	.section	.text._ZN7rocprim17ROCPRIM_400000_NS6detail17trampoline_kernelINS0_14default_configENS1_38merge_sort_block_merge_config_selectorIlNS0_10empty_typeEEEZZNS1_27merge_sort_block_merge_implIS3_PlPS5_mZN2at6native12_GLOBAL__N_124unique_dim_cuda_templateIdEESt5tupleIJNSA_6TensorESF_SF_EERKSF_lbbbEUlllE_EE10hipError_tT0_T1_T2_jT3_P12ihipStream_tbPNSt15iterator_traitsISL_E10value_typeEPNSR_ISM_E10value_typeEPSN_NS1_7vsmem_tEENKUlT_SL_SM_SN_E_clIS8_S8_S9_S9_EESK_S10_SL_SM_SN_EUlS10_E1_NS1_11comp_targetILNS1_3genE8ELNS1_11target_archE1030ELNS1_3gpuE2ELNS1_3repE0EEENS1_36merge_oddeven_config_static_selectorELNS0_4arch9wavefront6targetE1EEEvSM_,"axG",@progbits,_ZN7rocprim17ROCPRIM_400000_NS6detail17trampoline_kernelINS0_14default_configENS1_38merge_sort_block_merge_config_selectorIlNS0_10empty_typeEEEZZNS1_27merge_sort_block_merge_implIS3_PlPS5_mZN2at6native12_GLOBAL__N_124unique_dim_cuda_templateIdEESt5tupleIJNSA_6TensorESF_SF_EERKSF_lbbbEUlllE_EE10hipError_tT0_T1_T2_jT3_P12ihipStream_tbPNSt15iterator_traitsISL_E10value_typeEPNSR_ISM_E10value_typeEPSN_NS1_7vsmem_tEENKUlT_SL_SM_SN_E_clIS8_S8_S9_S9_EESK_S10_SL_SM_SN_EUlS10_E1_NS1_11comp_targetILNS1_3genE8ELNS1_11target_archE1030ELNS1_3gpuE2ELNS1_3repE0EEENS1_36merge_oddeven_config_static_selectorELNS0_4arch9wavefront6targetE1EEEvSM_,comdat
	.globl	_ZN7rocprim17ROCPRIM_400000_NS6detail17trampoline_kernelINS0_14default_configENS1_38merge_sort_block_merge_config_selectorIlNS0_10empty_typeEEEZZNS1_27merge_sort_block_merge_implIS3_PlPS5_mZN2at6native12_GLOBAL__N_124unique_dim_cuda_templateIdEESt5tupleIJNSA_6TensorESF_SF_EERKSF_lbbbEUlllE_EE10hipError_tT0_T1_T2_jT3_P12ihipStream_tbPNSt15iterator_traitsISL_E10value_typeEPNSR_ISM_E10value_typeEPSN_NS1_7vsmem_tEENKUlT_SL_SM_SN_E_clIS8_S8_S9_S9_EESK_S10_SL_SM_SN_EUlS10_E1_NS1_11comp_targetILNS1_3genE8ELNS1_11target_archE1030ELNS1_3gpuE2ELNS1_3repE0EEENS1_36merge_oddeven_config_static_selectorELNS0_4arch9wavefront6targetE1EEEvSM_ ; -- Begin function _ZN7rocprim17ROCPRIM_400000_NS6detail17trampoline_kernelINS0_14default_configENS1_38merge_sort_block_merge_config_selectorIlNS0_10empty_typeEEEZZNS1_27merge_sort_block_merge_implIS3_PlPS5_mZN2at6native12_GLOBAL__N_124unique_dim_cuda_templateIdEESt5tupleIJNSA_6TensorESF_SF_EERKSF_lbbbEUlllE_EE10hipError_tT0_T1_T2_jT3_P12ihipStream_tbPNSt15iterator_traitsISL_E10value_typeEPNSR_ISM_E10value_typeEPSN_NS1_7vsmem_tEENKUlT_SL_SM_SN_E_clIS8_S8_S9_S9_EESK_S10_SL_SM_SN_EUlS10_E1_NS1_11comp_targetILNS1_3genE8ELNS1_11target_archE1030ELNS1_3gpuE2ELNS1_3repE0EEENS1_36merge_oddeven_config_static_selectorELNS0_4arch9wavefront6targetE1EEEvSM_
	.p2align	8
	.type	_ZN7rocprim17ROCPRIM_400000_NS6detail17trampoline_kernelINS0_14default_configENS1_38merge_sort_block_merge_config_selectorIlNS0_10empty_typeEEEZZNS1_27merge_sort_block_merge_implIS3_PlPS5_mZN2at6native12_GLOBAL__N_124unique_dim_cuda_templateIdEESt5tupleIJNSA_6TensorESF_SF_EERKSF_lbbbEUlllE_EE10hipError_tT0_T1_T2_jT3_P12ihipStream_tbPNSt15iterator_traitsISL_E10value_typeEPNSR_ISM_E10value_typeEPSN_NS1_7vsmem_tEENKUlT_SL_SM_SN_E_clIS8_S8_S9_S9_EESK_S10_SL_SM_SN_EUlS10_E1_NS1_11comp_targetILNS1_3genE8ELNS1_11target_archE1030ELNS1_3gpuE2ELNS1_3repE0EEENS1_36merge_oddeven_config_static_selectorELNS0_4arch9wavefront6targetE1EEEvSM_,@function
_ZN7rocprim17ROCPRIM_400000_NS6detail17trampoline_kernelINS0_14default_configENS1_38merge_sort_block_merge_config_selectorIlNS0_10empty_typeEEEZZNS1_27merge_sort_block_merge_implIS3_PlPS5_mZN2at6native12_GLOBAL__N_124unique_dim_cuda_templateIdEESt5tupleIJNSA_6TensorESF_SF_EERKSF_lbbbEUlllE_EE10hipError_tT0_T1_T2_jT3_P12ihipStream_tbPNSt15iterator_traitsISL_E10value_typeEPNSR_ISM_E10value_typeEPSN_NS1_7vsmem_tEENKUlT_SL_SM_SN_E_clIS8_S8_S9_S9_EESK_S10_SL_SM_SN_EUlS10_E1_NS1_11comp_targetILNS1_3genE8ELNS1_11target_archE1030ELNS1_3gpuE2ELNS1_3repE0EEENS1_36merge_oddeven_config_static_selectorELNS0_4arch9wavefront6targetE1EEEvSM_: ; @_ZN7rocprim17ROCPRIM_400000_NS6detail17trampoline_kernelINS0_14default_configENS1_38merge_sort_block_merge_config_selectorIlNS0_10empty_typeEEEZZNS1_27merge_sort_block_merge_implIS3_PlPS5_mZN2at6native12_GLOBAL__N_124unique_dim_cuda_templateIdEESt5tupleIJNSA_6TensorESF_SF_EERKSF_lbbbEUlllE_EE10hipError_tT0_T1_T2_jT3_P12ihipStream_tbPNSt15iterator_traitsISL_E10value_typeEPNSR_ISM_E10value_typeEPSN_NS1_7vsmem_tEENKUlT_SL_SM_SN_E_clIS8_S8_S9_S9_EESK_S10_SL_SM_SN_EUlS10_E1_NS1_11comp_targetILNS1_3genE8ELNS1_11target_archE1030ELNS1_3gpuE2ELNS1_3repE0EEENS1_36merge_oddeven_config_static_selectorELNS0_4arch9wavefront6targetE1EEEvSM_
; %bb.0:
	.section	.rodata,"a",@progbits
	.p2align	6, 0x0
	.amdhsa_kernel _ZN7rocprim17ROCPRIM_400000_NS6detail17trampoline_kernelINS0_14default_configENS1_38merge_sort_block_merge_config_selectorIlNS0_10empty_typeEEEZZNS1_27merge_sort_block_merge_implIS3_PlPS5_mZN2at6native12_GLOBAL__N_124unique_dim_cuda_templateIdEESt5tupleIJNSA_6TensorESF_SF_EERKSF_lbbbEUlllE_EE10hipError_tT0_T1_T2_jT3_P12ihipStream_tbPNSt15iterator_traitsISL_E10value_typeEPNSR_ISM_E10value_typeEPSN_NS1_7vsmem_tEENKUlT_SL_SM_SN_E_clIS8_S8_S9_S9_EESK_S10_SL_SM_SN_EUlS10_E1_NS1_11comp_targetILNS1_3genE8ELNS1_11target_archE1030ELNS1_3gpuE2ELNS1_3repE0EEENS1_36merge_oddeven_config_static_selectorELNS0_4arch9wavefront6targetE1EEEvSM_
		.amdhsa_group_segment_fixed_size 0
		.amdhsa_private_segment_fixed_size 0
		.amdhsa_kernarg_size 64
		.amdhsa_user_sgpr_count 2
		.amdhsa_user_sgpr_dispatch_ptr 0
		.amdhsa_user_sgpr_queue_ptr 0
		.amdhsa_user_sgpr_kernarg_segment_ptr 1
		.amdhsa_user_sgpr_dispatch_id 0
		.amdhsa_user_sgpr_kernarg_preload_length 0
		.amdhsa_user_sgpr_kernarg_preload_offset 0
		.amdhsa_user_sgpr_private_segment_size 0
		.amdhsa_uses_dynamic_stack 0
		.amdhsa_enable_private_segment 0
		.amdhsa_system_sgpr_workgroup_id_x 1
		.amdhsa_system_sgpr_workgroup_id_y 0
		.amdhsa_system_sgpr_workgroup_id_z 0
		.amdhsa_system_sgpr_workgroup_info 0
		.amdhsa_system_vgpr_workitem_id 0
		.amdhsa_next_free_vgpr 1
		.amdhsa_next_free_sgpr 0
		.amdhsa_accum_offset 4
		.amdhsa_reserve_vcc 0
		.amdhsa_float_round_mode_32 0
		.amdhsa_float_round_mode_16_64 0
		.amdhsa_float_denorm_mode_32 3
		.amdhsa_float_denorm_mode_16_64 3
		.amdhsa_dx10_clamp 1
		.amdhsa_ieee_mode 1
		.amdhsa_fp16_overflow 0
		.amdhsa_tg_split 0
		.amdhsa_exception_fp_ieee_invalid_op 0
		.amdhsa_exception_fp_denorm_src 0
		.amdhsa_exception_fp_ieee_div_zero 0
		.amdhsa_exception_fp_ieee_overflow 0
		.amdhsa_exception_fp_ieee_underflow 0
		.amdhsa_exception_fp_ieee_inexact 0
		.amdhsa_exception_int_div_zero 0
	.end_amdhsa_kernel
	.section	.text._ZN7rocprim17ROCPRIM_400000_NS6detail17trampoline_kernelINS0_14default_configENS1_38merge_sort_block_merge_config_selectorIlNS0_10empty_typeEEEZZNS1_27merge_sort_block_merge_implIS3_PlPS5_mZN2at6native12_GLOBAL__N_124unique_dim_cuda_templateIdEESt5tupleIJNSA_6TensorESF_SF_EERKSF_lbbbEUlllE_EE10hipError_tT0_T1_T2_jT3_P12ihipStream_tbPNSt15iterator_traitsISL_E10value_typeEPNSR_ISM_E10value_typeEPSN_NS1_7vsmem_tEENKUlT_SL_SM_SN_E_clIS8_S8_S9_S9_EESK_S10_SL_SM_SN_EUlS10_E1_NS1_11comp_targetILNS1_3genE8ELNS1_11target_archE1030ELNS1_3gpuE2ELNS1_3repE0EEENS1_36merge_oddeven_config_static_selectorELNS0_4arch9wavefront6targetE1EEEvSM_,"axG",@progbits,_ZN7rocprim17ROCPRIM_400000_NS6detail17trampoline_kernelINS0_14default_configENS1_38merge_sort_block_merge_config_selectorIlNS0_10empty_typeEEEZZNS1_27merge_sort_block_merge_implIS3_PlPS5_mZN2at6native12_GLOBAL__N_124unique_dim_cuda_templateIdEESt5tupleIJNSA_6TensorESF_SF_EERKSF_lbbbEUlllE_EE10hipError_tT0_T1_T2_jT3_P12ihipStream_tbPNSt15iterator_traitsISL_E10value_typeEPNSR_ISM_E10value_typeEPSN_NS1_7vsmem_tEENKUlT_SL_SM_SN_E_clIS8_S8_S9_S9_EESK_S10_SL_SM_SN_EUlS10_E1_NS1_11comp_targetILNS1_3genE8ELNS1_11target_archE1030ELNS1_3gpuE2ELNS1_3repE0EEENS1_36merge_oddeven_config_static_selectorELNS0_4arch9wavefront6targetE1EEEvSM_,comdat
.Lfunc_end787:
	.size	_ZN7rocprim17ROCPRIM_400000_NS6detail17trampoline_kernelINS0_14default_configENS1_38merge_sort_block_merge_config_selectorIlNS0_10empty_typeEEEZZNS1_27merge_sort_block_merge_implIS3_PlPS5_mZN2at6native12_GLOBAL__N_124unique_dim_cuda_templateIdEESt5tupleIJNSA_6TensorESF_SF_EERKSF_lbbbEUlllE_EE10hipError_tT0_T1_T2_jT3_P12ihipStream_tbPNSt15iterator_traitsISL_E10value_typeEPNSR_ISM_E10value_typeEPSN_NS1_7vsmem_tEENKUlT_SL_SM_SN_E_clIS8_S8_S9_S9_EESK_S10_SL_SM_SN_EUlS10_E1_NS1_11comp_targetILNS1_3genE8ELNS1_11target_archE1030ELNS1_3gpuE2ELNS1_3repE0EEENS1_36merge_oddeven_config_static_selectorELNS0_4arch9wavefront6targetE1EEEvSM_, .Lfunc_end787-_ZN7rocprim17ROCPRIM_400000_NS6detail17trampoline_kernelINS0_14default_configENS1_38merge_sort_block_merge_config_selectorIlNS0_10empty_typeEEEZZNS1_27merge_sort_block_merge_implIS3_PlPS5_mZN2at6native12_GLOBAL__N_124unique_dim_cuda_templateIdEESt5tupleIJNSA_6TensorESF_SF_EERKSF_lbbbEUlllE_EE10hipError_tT0_T1_T2_jT3_P12ihipStream_tbPNSt15iterator_traitsISL_E10value_typeEPNSR_ISM_E10value_typeEPSN_NS1_7vsmem_tEENKUlT_SL_SM_SN_E_clIS8_S8_S9_S9_EESK_S10_SL_SM_SN_EUlS10_E1_NS1_11comp_targetILNS1_3genE8ELNS1_11target_archE1030ELNS1_3gpuE2ELNS1_3repE0EEENS1_36merge_oddeven_config_static_selectorELNS0_4arch9wavefront6targetE1EEEvSM_
                                        ; -- End function
	.section	.AMDGPU.csdata,"",@progbits
; Kernel info:
; codeLenInByte = 0
; NumSgprs: 6
; NumVgprs: 0
; NumAgprs: 0
; TotalNumVgprs: 0
; ScratchSize: 0
; MemoryBound: 0
; FloatMode: 240
; IeeeMode: 1
; LDSByteSize: 0 bytes/workgroup (compile time only)
; SGPRBlocks: 0
; VGPRBlocks: 0
; NumSGPRsForWavesPerEU: 6
; NumVGPRsForWavesPerEU: 1
; AccumOffset: 4
; Occupancy: 8
; WaveLimiterHint : 0
; COMPUTE_PGM_RSRC2:SCRATCH_EN: 0
; COMPUTE_PGM_RSRC2:USER_SGPR: 2
; COMPUTE_PGM_RSRC2:TRAP_HANDLER: 0
; COMPUTE_PGM_RSRC2:TGID_X_EN: 1
; COMPUTE_PGM_RSRC2:TGID_Y_EN: 0
; COMPUTE_PGM_RSRC2:TGID_Z_EN: 0
; COMPUTE_PGM_RSRC2:TIDIG_COMP_CNT: 0
; COMPUTE_PGM_RSRC3_GFX90A:ACCUM_OFFSET: 0
; COMPUTE_PGM_RSRC3_GFX90A:TG_SPLIT: 0
	.section	.text._ZN7rocprim17ROCPRIM_400000_NS6detail17trampoline_kernelINS0_14default_configENS1_35adjacent_difference_config_selectorILb0ElEEZNS1_24adjacent_difference_implIS3_Lb0ELb0EPlS7_ZN2at6native12_GLOBAL__N_124unique_dim_cuda_templateIdEESt5tupleIJNS8_6TensorESD_SD_EERKSD_lbbbEUlllE1_EE10hipError_tPvRmT2_T3_mT4_P12ihipStream_tbEUlT_E_NS1_11comp_targetILNS1_3genE0ELNS1_11target_archE4294967295ELNS1_3gpuE0ELNS1_3repE0EEENS1_30default_config_static_selectorELNS0_4arch9wavefront6targetE1EEEvT1_,"axG",@progbits,_ZN7rocprim17ROCPRIM_400000_NS6detail17trampoline_kernelINS0_14default_configENS1_35adjacent_difference_config_selectorILb0ElEEZNS1_24adjacent_difference_implIS3_Lb0ELb0EPlS7_ZN2at6native12_GLOBAL__N_124unique_dim_cuda_templateIdEESt5tupleIJNS8_6TensorESD_SD_EERKSD_lbbbEUlllE1_EE10hipError_tPvRmT2_T3_mT4_P12ihipStream_tbEUlT_E_NS1_11comp_targetILNS1_3genE0ELNS1_11target_archE4294967295ELNS1_3gpuE0ELNS1_3repE0EEENS1_30default_config_static_selectorELNS0_4arch9wavefront6targetE1EEEvT1_,comdat
	.globl	_ZN7rocprim17ROCPRIM_400000_NS6detail17trampoline_kernelINS0_14default_configENS1_35adjacent_difference_config_selectorILb0ElEEZNS1_24adjacent_difference_implIS3_Lb0ELb0EPlS7_ZN2at6native12_GLOBAL__N_124unique_dim_cuda_templateIdEESt5tupleIJNS8_6TensorESD_SD_EERKSD_lbbbEUlllE1_EE10hipError_tPvRmT2_T3_mT4_P12ihipStream_tbEUlT_E_NS1_11comp_targetILNS1_3genE0ELNS1_11target_archE4294967295ELNS1_3gpuE0ELNS1_3repE0EEENS1_30default_config_static_selectorELNS0_4arch9wavefront6targetE1EEEvT1_ ; -- Begin function _ZN7rocprim17ROCPRIM_400000_NS6detail17trampoline_kernelINS0_14default_configENS1_35adjacent_difference_config_selectorILb0ElEEZNS1_24adjacent_difference_implIS3_Lb0ELb0EPlS7_ZN2at6native12_GLOBAL__N_124unique_dim_cuda_templateIdEESt5tupleIJNS8_6TensorESD_SD_EERKSD_lbbbEUlllE1_EE10hipError_tPvRmT2_T3_mT4_P12ihipStream_tbEUlT_E_NS1_11comp_targetILNS1_3genE0ELNS1_11target_archE4294967295ELNS1_3gpuE0ELNS1_3repE0EEENS1_30default_config_static_selectorELNS0_4arch9wavefront6targetE1EEEvT1_
	.p2align	8
	.type	_ZN7rocprim17ROCPRIM_400000_NS6detail17trampoline_kernelINS0_14default_configENS1_35adjacent_difference_config_selectorILb0ElEEZNS1_24adjacent_difference_implIS3_Lb0ELb0EPlS7_ZN2at6native12_GLOBAL__N_124unique_dim_cuda_templateIdEESt5tupleIJNS8_6TensorESD_SD_EERKSD_lbbbEUlllE1_EE10hipError_tPvRmT2_T3_mT4_P12ihipStream_tbEUlT_E_NS1_11comp_targetILNS1_3genE0ELNS1_11target_archE4294967295ELNS1_3gpuE0ELNS1_3repE0EEENS1_30default_config_static_selectorELNS0_4arch9wavefront6targetE1EEEvT1_,@function
_ZN7rocprim17ROCPRIM_400000_NS6detail17trampoline_kernelINS0_14default_configENS1_35adjacent_difference_config_selectorILb0ElEEZNS1_24adjacent_difference_implIS3_Lb0ELb0EPlS7_ZN2at6native12_GLOBAL__N_124unique_dim_cuda_templateIdEESt5tupleIJNS8_6TensorESD_SD_EERKSD_lbbbEUlllE1_EE10hipError_tPvRmT2_T3_mT4_P12ihipStream_tbEUlT_E_NS1_11comp_targetILNS1_3genE0ELNS1_11target_archE4294967295ELNS1_3gpuE0ELNS1_3repE0EEENS1_30default_config_static_selectorELNS0_4arch9wavefront6targetE1EEEvT1_: ; @_ZN7rocprim17ROCPRIM_400000_NS6detail17trampoline_kernelINS0_14default_configENS1_35adjacent_difference_config_selectorILb0ElEEZNS1_24adjacent_difference_implIS3_Lb0ELb0EPlS7_ZN2at6native12_GLOBAL__N_124unique_dim_cuda_templateIdEESt5tupleIJNS8_6TensorESD_SD_EERKSD_lbbbEUlllE1_EE10hipError_tPvRmT2_T3_mT4_P12ihipStream_tbEUlT_E_NS1_11comp_targetILNS1_3genE0ELNS1_11target_archE4294967295ELNS1_3gpuE0ELNS1_3repE0EEENS1_30default_config_static_selectorELNS0_4arch9wavefront6targetE1EEEvT1_
; %bb.0:
	.section	.rodata,"a",@progbits
	.p2align	6, 0x0
	.amdhsa_kernel _ZN7rocprim17ROCPRIM_400000_NS6detail17trampoline_kernelINS0_14default_configENS1_35adjacent_difference_config_selectorILb0ElEEZNS1_24adjacent_difference_implIS3_Lb0ELb0EPlS7_ZN2at6native12_GLOBAL__N_124unique_dim_cuda_templateIdEESt5tupleIJNS8_6TensorESD_SD_EERKSD_lbbbEUlllE1_EE10hipError_tPvRmT2_T3_mT4_P12ihipStream_tbEUlT_E_NS1_11comp_targetILNS1_3genE0ELNS1_11target_archE4294967295ELNS1_3gpuE0ELNS1_3repE0EEENS1_30default_config_static_selectorELNS0_4arch9wavefront6targetE1EEEvT1_
		.amdhsa_group_segment_fixed_size 0
		.amdhsa_private_segment_fixed_size 0
		.amdhsa_kernarg_size 64
		.amdhsa_user_sgpr_count 2
		.amdhsa_user_sgpr_dispatch_ptr 0
		.amdhsa_user_sgpr_queue_ptr 0
		.amdhsa_user_sgpr_kernarg_segment_ptr 1
		.amdhsa_user_sgpr_dispatch_id 0
		.amdhsa_user_sgpr_kernarg_preload_length 0
		.amdhsa_user_sgpr_kernarg_preload_offset 0
		.amdhsa_user_sgpr_private_segment_size 0
		.amdhsa_uses_dynamic_stack 0
		.amdhsa_enable_private_segment 0
		.amdhsa_system_sgpr_workgroup_id_x 1
		.amdhsa_system_sgpr_workgroup_id_y 0
		.amdhsa_system_sgpr_workgroup_id_z 0
		.amdhsa_system_sgpr_workgroup_info 0
		.amdhsa_system_vgpr_workitem_id 0
		.amdhsa_next_free_vgpr 1
		.amdhsa_next_free_sgpr 0
		.amdhsa_accum_offset 4
		.amdhsa_reserve_vcc 0
		.amdhsa_float_round_mode_32 0
		.amdhsa_float_round_mode_16_64 0
		.amdhsa_float_denorm_mode_32 3
		.amdhsa_float_denorm_mode_16_64 3
		.amdhsa_dx10_clamp 1
		.amdhsa_ieee_mode 1
		.amdhsa_fp16_overflow 0
		.amdhsa_tg_split 0
		.amdhsa_exception_fp_ieee_invalid_op 0
		.amdhsa_exception_fp_denorm_src 0
		.amdhsa_exception_fp_ieee_div_zero 0
		.amdhsa_exception_fp_ieee_overflow 0
		.amdhsa_exception_fp_ieee_underflow 0
		.amdhsa_exception_fp_ieee_inexact 0
		.amdhsa_exception_int_div_zero 0
	.end_amdhsa_kernel
	.section	.text._ZN7rocprim17ROCPRIM_400000_NS6detail17trampoline_kernelINS0_14default_configENS1_35adjacent_difference_config_selectorILb0ElEEZNS1_24adjacent_difference_implIS3_Lb0ELb0EPlS7_ZN2at6native12_GLOBAL__N_124unique_dim_cuda_templateIdEESt5tupleIJNS8_6TensorESD_SD_EERKSD_lbbbEUlllE1_EE10hipError_tPvRmT2_T3_mT4_P12ihipStream_tbEUlT_E_NS1_11comp_targetILNS1_3genE0ELNS1_11target_archE4294967295ELNS1_3gpuE0ELNS1_3repE0EEENS1_30default_config_static_selectorELNS0_4arch9wavefront6targetE1EEEvT1_,"axG",@progbits,_ZN7rocprim17ROCPRIM_400000_NS6detail17trampoline_kernelINS0_14default_configENS1_35adjacent_difference_config_selectorILb0ElEEZNS1_24adjacent_difference_implIS3_Lb0ELb0EPlS7_ZN2at6native12_GLOBAL__N_124unique_dim_cuda_templateIdEESt5tupleIJNS8_6TensorESD_SD_EERKSD_lbbbEUlllE1_EE10hipError_tPvRmT2_T3_mT4_P12ihipStream_tbEUlT_E_NS1_11comp_targetILNS1_3genE0ELNS1_11target_archE4294967295ELNS1_3gpuE0ELNS1_3repE0EEENS1_30default_config_static_selectorELNS0_4arch9wavefront6targetE1EEEvT1_,comdat
.Lfunc_end788:
	.size	_ZN7rocprim17ROCPRIM_400000_NS6detail17trampoline_kernelINS0_14default_configENS1_35adjacent_difference_config_selectorILb0ElEEZNS1_24adjacent_difference_implIS3_Lb0ELb0EPlS7_ZN2at6native12_GLOBAL__N_124unique_dim_cuda_templateIdEESt5tupleIJNS8_6TensorESD_SD_EERKSD_lbbbEUlllE1_EE10hipError_tPvRmT2_T3_mT4_P12ihipStream_tbEUlT_E_NS1_11comp_targetILNS1_3genE0ELNS1_11target_archE4294967295ELNS1_3gpuE0ELNS1_3repE0EEENS1_30default_config_static_selectorELNS0_4arch9wavefront6targetE1EEEvT1_, .Lfunc_end788-_ZN7rocprim17ROCPRIM_400000_NS6detail17trampoline_kernelINS0_14default_configENS1_35adjacent_difference_config_selectorILb0ElEEZNS1_24adjacent_difference_implIS3_Lb0ELb0EPlS7_ZN2at6native12_GLOBAL__N_124unique_dim_cuda_templateIdEESt5tupleIJNS8_6TensorESD_SD_EERKSD_lbbbEUlllE1_EE10hipError_tPvRmT2_T3_mT4_P12ihipStream_tbEUlT_E_NS1_11comp_targetILNS1_3genE0ELNS1_11target_archE4294967295ELNS1_3gpuE0ELNS1_3repE0EEENS1_30default_config_static_selectorELNS0_4arch9wavefront6targetE1EEEvT1_
                                        ; -- End function
	.section	.AMDGPU.csdata,"",@progbits
; Kernel info:
; codeLenInByte = 0
; NumSgprs: 6
; NumVgprs: 0
; NumAgprs: 0
; TotalNumVgprs: 0
; ScratchSize: 0
; MemoryBound: 0
; FloatMode: 240
; IeeeMode: 1
; LDSByteSize: 0 bytes/workgroup (compile time only)
; SGPRBlocks: 0
; VGPRBlocks: 0
; NumSGPRsForWavesPerEU: 6
; NumVGPRsForWavesPerEU: 1
; AccumOffset: 4
; Occupancy: 8
; WaveLimiterHint : 0
; COMPUTE_PGM_RSRC2:SCRATCH_EN: 0
; COMPUTE_PGM_RSRC2:USER_SGPR: 2
; COMPUTE_PGM_RSRC2:TRAP_HANDLER: 0
; COMPUTE_PGM_RSRC2:TGID_X_EN: 1
; COMPUTE_PGM_RSRC2:TGID_Y_EN: 0
; COMPUTE_PGM_RSRC2:TGID_Z_EN: 0
; COMPUTE_PGM_RSRC2:TIDIG_COMP_CNT: 0
; COMPUTE_PGM_RSRC3_GFX90A:ACCUM_OFFSET: 0
; COMPUTE_PGM_RSRC3_GFX90A:TG_SPLIT: 0
	.section	.text._ZN7rocprim17ROCPRIM_400000_NS6detail17trampoline_kernelINS0_14default_configENS1_35adjacent_difference_config_selectorILb0ElEEZNS1_24adjacent_difference_implIS3_Lb0ELb0EPlS7_ZN2at6native12_GLOBAL__N_124unique_dim_cuda_templateIdEESt5tupleIJNS8_6TensorESD_SD_EERKSD_lbbbEUlllE1_EE10hipError_tPvRmT2_T3_mT4_P12ihipStream_tbEUlT_E_NS1_11comp_targetILNS1_3genE10ELNS1_11target_archE1201ELNS1_3gpuE5ELNS1_3repE0EEENS1_30default_config_static_selectorELNS0_4arch9wavefront6targetE1EEEvT1_,"axG",@progbits,_ZN7rocprim17ROCPRIM_400000_NS6detail17trampoline_kernelINS0_14default_configENS1_35adjacent_difference_config_selectorILb0ElEEZNS1_24adjacent_difference_implIS3_Lb0ELb0EPlS7_ZN2at6native12_GLOBAL__N_124unique_dim_cuda_templateIdEESt5tupleIJNS8_6TensorESD_SD_EERKSD_lbbbEUlllE1_EE10hipError_tPvRmT2_T3_mT4_P12ihipStream_tbEUlT_E_NS1_11comp_targetILNS1_3genE10ELNS1_11target_archE1201ELNS1_3gpuE5ELNS1_3repE0EEENS1_30default_config_static_selectorELNS0_4arch9wavefront6targetE1EEEvT1_,comdat
	.globl	_ZN7rocprim17ROCPRIM_400000_NS6detail17trampoline_kernelINS0_14default_configENS1_35adjacent_difference_config_selectorILb0ElEEZNS1_24adjacent_difference_implIS3_Lb0ELb0EPlS7_ZN2at6native12_GLOBAL__N_124unique_dim_cuda_templateIdEESt5tupleIJNS8_6TensorESD_SD_EERKSD_lbbbEUlllE1_EE10hipError_tPvRmT2_T3_mT4_P12ihipStream_tbEUlT_E_NS1_11comp_targetILNS1_3genE10ELNS1_11target_archE1201ELNS1_3gpuE5ELNS1_3repE0EEENS1_30default_config_static_selectorELNS0_4arch9wavefront6targetE1EEEvT1_ ; -- Begin function _ZN7rocprim17ROCPRIM_400000_NS6detail17trampoline_kernelINS0_14default_configENS1_35adjacent_difference_config_selectorILb0ElEEZNS1_24adjacent_difference_implIS3_Lb0ELb0EPlS7_ZN2at6native12_GLOBAL__N_124unique_dim_cuda_templateIdEESt5tupleIJNS8_6TensorESD_SD_EERKSD_lbbbEUlllE1_EE10hipError_tPvRmT2_T3_mT4_P12ihipStream_tbEUlT_E_NS1_11comp_targetILNS1_3genE10ELNS1_11target_archE1201ELNS1_3gpuE5ELNS1_3repE0EEENS1_30default_config_static_selectorELNS0_4arch9wavefront6targetE1EEEvT1_
	.p2align	8
	.type	_ZN7rocprim17ROCPRIM_400000_NS6detail17trampoline_kernelINS0_14default_configENS1_35adjacent_difference_config_selectorILb0ElEEZNS1_24adjacent_difference_implIS3_Lb0ELb0EPlS7_ZN2at6native12_GLOBAL__N_124unique_dim_cuda_templateIdEESt5tupleIJNS8_6TensorESD_SD_EERKSD_lbbbEUlllE1_EE10hipError_tPvRmT2_T3_mT4_P12ihipStream_tbEUlT_E_NS1_11comp_targetILNS1_3genE10ELNS1_11target_archE1201ELNS1_3gpuE5ELNS1_3repE0EEENS1_30default_config_static_selectorELNS0_4arch9wavefront6targetE1EEEvT1_,@function
_ZN7rocprim17ROCPRIM_400000_NS6detail17trampoline_kernelINS0_14default_configENS1_35adjacent_difference_config_selectorILb0ElEEZNS1_24adjacent_difference_implIS3_Lb0ELb0EPlS7_ZN2at6native12_GLOBAL__N_124unique_dim_cuda_templateIdEESt5tupleIJNS8_6TensorESD_SD_EERKSD_lbbbEUlllE1_EE10hipError_tPvRmT2_T3_mT4_P12ihipStream_tbEUlT_E_NS1_11comp_targetILNS1_3genE10ELNS1_11target_archE1201ELNS1_3gpuE5ELNS1_3repE0EEENS1_30default_config_static_selectorELNS0_4arch9wavefront6targetE1EEEvT1_: ; @_ZN7rocprim17ROCPRIM_400000_NS6detail17trampoline_kernelINS0_14default_configENS1_35adjacent_difference_config_selectorILb0ElEEZNS1_24adjacent_difference_implIS3_Lb0ELb0EPlS7_ZN2at6native12_GLOBAL__N_124unique_dim_cuda_templateIdEESt5tupleIJNS8_6TensorESD_SD_EERKSD_lbbbEUlllE1_EE10hipError_tPvRmT2_T3_mT4_P12ihipStream_tbEUlT_E_NS1_11comp_targetILNS1_3genE10ELNS1_11target_archE1201ELNS1_3gpuE5ELNS1_3repE0EEENS1_30default_config_static_selectorELNS0_4arch9wavefront6targetE1EEEvT1_
; %bb.0:
	.section	.rodata,"a",@progbits
	.p2align	6, 0x0
	.amdhsa_kernel _ZN7rocprim17ROCPRIM_400000_NS6detail17trampoline_kernelINS0_14default_configENS1_35adjacent_difference_config_selectorILb0ElEEZNS1_24adjacent_difference_implIS3_Lb0ELb0EPlS7_ZN2at6native12_GLOBAL__N_124unique_dim_cuda_templateIdEESt5tupleIJNS8_6TensorESD_SD_EERKSD_lbbbEUlllE1_EE10hipError_tPvRmT2_T3_mT4_P12ihipStream_tbEUlT_E_NS1_11comp_targetILNS1_3genE10ELNS1_11target_archE1201ELNS1_3gpuE5ELNS1_3repE0EEENS1_30default_config_static_selectorELNS0_4arch9wavefront6targetE1EEEvT1_
		.amdhsa_group_segment_fixed_size 0
		.amdhsa_private_segment_fixed_size 0
		.amdhsa_kernarg_size 64
		.amdhsa_user_sgpr_count 2
		.amdhsa_user_sgpr_dispatch_ptr 0
		.amdhsa_user_sgpr_queue_ptr 0
		.amdhsa_user_sgpr_kernarg_segment_ptr 1
		.amdhsa_user_sgpr_dispatch_id 0
		.amdhsa_user_sgpr_kernarg_preload_length 0
		.amdhsa_user_sgpr_kernarg_preload_offset 0
		.amdhsa_user_sgpr_private_segment_size 0
		.amdhsa_uses_dynamic_stack 0
		.amdhsa_enable_private_segment 0
		.amdhsa_system_sgpr_workgroup_id_x 1
		.amdhsa_system_sgpr_workgroup_id_y 0
		.amdhsa_system_sgpr_workgroup_id_z 0
		.amdhsa_system_sgpr_workgroup_info 0
		.amdhsa_system_vgpr_workitem_id 0
		.amdhsa_next_free_vgpr 1
		.amdhsa_next_free_sgpr 0
		.amdhsa_accum_offset 4
		.amdhsa_reserve_vcc 0
		.amdhsa_float_round_mode_32 0
		.amdhsa_float_round_mode_16_64 0
		.amdhsa_float_denorm_mode_32 3
		.amdhsa_float_denorm_mode_16_64 3
		.amdhsa_dx10_clamp 1
		.amdhsa_ieee_mode 1
		.amdhsa_fp16_overflow 0
		.amdhsa_tg_split 0
		.amdhsa_exception_fp_ieee_invalid_op 0
		.amdhsa_exception_fp_denorm_src 0
		.amdhsa_exception_fp_ieee_div_zero 0
		.amdhsa_exception_fp_ieee_overflow 0
		.amdhsa_exception_fp_ieee_underflow 0
		.amdhsa_exception_fp_ieee_inexact 0
		.amdhsa_exception_int_div_zero 0
	.end_amdhsa_kernel
	.section	.text._ZN7rocprim17ROCPRIM_400000_NS6detail17trampoline_kernelINS0_14default_configENS1_35adjacent_difference_config_selectorILb0ElEEZNS1_24adjacent_difference_implIS3_Lb0ELb0EPlS7_ZN2at6native12_GLOBAL__N_124unique_dim_cuda_templateIdEESt5tupleIJNS8_6TensorESD_SD_EERKSD_lbbbEUlllE1_EE10hipError_tPvRmT2_T3_mT4_P12ihipStream_tbEUlT_E_NS1_11comp_targetILNS1_3genE10ELNS1_11target_archE1201ELNS1_3gpuE5ELNS1_3repE0EEENS1_30default_config_static_selectorELNS0_4arch9wavefront6targetE1EEEvT1_,"axG",@progbits,_ZN7rocprim17ROCPRIM_400000_NS6detail17trampoline_kernelINS0_14default_configENS1_35adjacent_difference_config_selectorILb0ElEEZNS1_24adjacent_difference_implIS3_Lb0ELb0EPlS7_ZN2at6native12_GLOBAL__N_124unique_dim_cuda_templateIdEESt5tupleIJNS8_6TensorESD_SD_EERKSD_lbbbEUlllE1_EE10hipError_tPvRmT2_T3_mT4_P12ihipStream_tbEUlT_E_NS1_11comp_targetILNS1_3genE10ELNS1_11target_archE1201ELNS1_3gpuE5ELNS1_3repE0EEENS1_30default_config_static_selectorELNS0_4arch9wavefront6targetE1EEEvT1_,comdat
.Lfunc_end789:
	.size	_ZN7rocprim17ROCPRIM_400000_NS6detail17trampoline_kernelINS0_14default_configENS1_35adjacent_difference_config_selectorILb0ElEEZNS1_24adjacent_difference_implIS3_Lb0ELb0EPlS7_ZN2at6native12_GLOBAL__N_124unique_dim_cuda_templateIdEESt5tupleIJNS8_6TensorESD_SD_EERKSD_lbbbEUlllE1_EE10hipError_tPvRmT2_T3_mT4_P12ihipStream_tbEUlT_E_NS1_11comp_targetILNS1_3genE10ELNS1_11target_archE1201ELNS1_3gpuE5ELNS1_3repE0EEENS1_30default_config_static_selectorELNS0_4arch9wavefront6targetE1EEEvT1_, .Lfunc_end789-_ZN7rocprim17ROCPRIM_400000_NS6detail17trampoline_kernelINS0_14default_configENS1_35adjacent_difference_config_selectorILb0ElEEZNS1_24adjacent_difference_implIS3_Lb0ELb0EPlS7_ZN2at6native12_GLOBAL__N_124unique_dim_cuda_templateIdEESt5tupleIJNS8_6TensorESD_SD_EERKSD_lbbbEUlllE1_EE10hipError_tPvRmT2_T3_mT4_P12ihipStream_tbEUlT_E_NS1_11comp_targetILNS1_3genE10ELNS1_11target_archE1201ELNS1_3gpuE5ELNS1_3repE0EEENS1_30default_config_static_selectorELNS0_4arch9wavefront6targetE1EEEvT1_
                                        ; -- End function
	.section	.AMDGPU.csdata,"",@progbits
; Kernel info:
; codeLenInByte = 0
; NumSgprs: 6
; NumVgprs: 0
; NumAgprs: 0
; TotalNumVgprs: 0
; ScratchSize: 0
; MemoryBound: 0
; FloatMode: 240
; IeeeMode: 1
; LDSByteSize: 0 bytes/workgroup (compile time only)
; SGPRBlocks: 0
; VGPRBlocks: 0
; NumSGPRsForWavesPerEU: 6
; NumVGPRsForWavesPerEU: 1
; AccumOffset: 4
; Occupancy: 8
; WaveLimiterHint : 0
; COMPUTE_PGM_RSRC2:SCRATCH_EN: 0
; COMPUTE_PGM_RSRC2:USER_SGPR: 2
; COMPUTE_PGM_RSRC2:TRAP_HANDLER: 0
; COMPUTE_PGM_RSRC2:TGID_X_EN: 1
; COMPUTE_PGM_RSRC2:TGID_Y_EN: 0
; COMPUTE_PGM_RSRC2:TGID_Z_EN: 0
; COMPUTE_PGM_RSRC2:TIDIG_COMP_CNT: 0
; COMPUTE_PGM_RSRC3_GFX90A:ACCUM_OFFSET: 0
; COMPUTE_PGM_RSRC3_GFX90A:TG_SPLIT: 0
	.section	.text._ZN7rocprim17ROCPRIM_400000_NS6detail17trampoline_kernelINS0_14default_configENS1_35adjacent_difference_config_selectorILb0ElEEZNS1_24adjacent_difference_implIS3_Lb0ELb0EPlS7_ZN2at6native12_GLOBAL__N_124unique_dim_cuda_templateIdEESt5tupleIJNS8_6TensorESD_SD_EERKSD_lbbbEUlllE1_EE10hipError_tPvRmT2_T3_mT4_P12ihipStream_tbEUlT_E_NS1_11comp_targetILNS1_3genE5ELNS1_11target_archE942ELNS1_3gpuE9ELNS1_3repE0EEENS1_30default_config_static_selectorELNS0_4arch9wavefront6targetE1EEEvT1_,"axG",@progbits,_ZN7rocprim17ROCPRIM_400000_NS6detail17trampoline_kernelINS0_14default_configENS1_35adjacent_difference_config_selectorILb0ElEEZNS1_24adjacent_difference_implIS3_Lb0ELb0EPlS7_ZN2at6native12_GLOBAL__N_124unique_dim_cuda_templateIdEESt5tupleIJNS8_6TensorESD_SD_EERKSD_lbbbEUlllE1_EE10hipError_tPvRmT2_T3_mT4_P12ihipStream_tbEUlT_E_NS1_11comp_targetILNS1_3genE5ELNS1_11target_archE942ELNS1_3gpuE9ELNS1_3repE0EEENS1_30default_config_static_selectorELNS0_4arch9wavefront6targetE1EEEvT1_,comdat
	.globl	_ZN7rocprim17ROCPRIM_400000_NS6detail17trampoline_kernelINS0_14default_configENS1_35adjacent_difference_config_selectorILb0ElEEZNS1_24adjacent_difference_implIS3_Lb0ELb0EPlS7_ZN2at6native12_GLOBAL__N_124unique_dim_cuda_templateIdEESt5tupleIJNS8_6TensorESD_SD_EERKSD_lbbbEUlllE1_EE10hipError_tPvRmT2_T3_mT4_P12ihipStream_tbEUlT_E_NS1_11comp_targetILNS1_3genE5ELNS1_11target_archE942ELNS1_3gpuE9ELNS1_3repE0EEENS1_30default_config_static_selectorELNS0_4arch9wavefront6targetE1EEEvT1_ ; -- Begin function _ZN7rocprim17ROCPRIM_400000_NS6detail17trampoline_kernelINS0_14default_configENS1_35adjacent_difference_config_selectorILb0ElEEZNS1_24adjacent_difference_implIS3_Lb0ELb0EPlS7_ZN2at6native12_GLOBAL__N_124unique_dim_cuda_templateIdEESt5tupleIJNS8_6TensorESD_SD_EERKSD_lbbbEUlllE1_EE10hipError_tPvRmT2_T3_mT4_P12ihipStream_tbEUlT_E_NS1_11comp_targetILNS1_3genE5ELNS1_11target_archE942ELNS1_3gpuE9ELNS1_3repE0EEENS1_30default_config_static_selectorELNS0_4arch9wavefront6targetE1EEEvT1_
	.p2align	8
	.type	_ZN7rocprim17ROCPRIM_400000_NS6detail17trampoline_kernelINS0_14default_configENS1_35adjacent_difference_config_selectorILb0ElEEZNS1_24adjacent_difference_implIS3_Lb0ELb0EPlS7_ZN2at6native12_GLOBAL__N_124unique_dim_cuda_templateIdEESt5tupleIJNS8_6TensorESD_SD_EERKSD_lbbbEUlllE1_EE10hipError_tPvRmT2_T3_mT4_P12ihipStream_tbEUlT_E_NS1_11comp_targetILNS1_3genE5ELNS1_11target_archE942ELNS1_3gpuE9ELNS1_3repE0EEENS1_30default_config_static_selectorELNS0_4arch9wavefront6targetE1EEEvT1_,@function
_ZN7rocprim17ROCPRIM_400000_NS6detail17trampoline_kernelINS0_14default_configENS1_35adjacent_difference_config_selectorILb0ElEEZNS1_24adjacent_difference_implIS3_Lb0ELb0EPlS7_ZN2at6native12_GLOBAL__N_124unique_dim_cuda_templateIdEESt5tupleIJNS8_6TensorESD_SD_EERKSD_lbbbEUlllE1_EE10hipError_tPvRmT2_T3_mT4_P12ihipStream_tbEUlT_E_NS1_11comp_targetILNS1_3genE5ELNS1_11target_archE942ELNS1_3gpuE9ELNS1_3repE0EEENS1_30default_config_static_selectorELNS0_4arch9wavefront6targetE1EEEvT1_: ; @_ZN7rocprim17ROCPRIM_400000_NS6detail17trampoline_kernelINS0_14default_configENS1_35adjacent_difference_config_selectorILb0ElEEZNS1_24adjacent_difference_implIS3_Lb0ELb0EPlS7_ZN2at6native12_GLOBAL__N_124unique_dim_cuda_templateIdEESt5tupleIJNS8_6TensorESD_SD_EERKSD_lbbbEUlllE1_EE10hipError_tPvRmT2_T3_mT4_P12ihipStream_tbEUlT_E_NS1_11comp_targetILNS1_3genE5ELNS1_11target_archE942ELNS1_3gpuE9ELNS1_3repE0EEENS1_30default_config_static_selectorELNS0_4arch9wavefront6targetE1EEEvT1_
; %bb.0:
	s_load_dwordx8 s[4:11], s[0:1], 0x0
	s_load_dwordx4 s[12:15], s[0:1], 0x20
	s_load_dwordx2 s[18:19], s[0:1], 0x38
	s_mov_b32 s1, 0xcec4e8e0
	v_bfrev_b32_e32 v1, 1
	s_waitcnt lgkmcnt(0)
	s_lshl_b64 s[16:17], s[6:7], 3
	s_add_u32 s24, s4, s16
	s_addc_u32 s25, s5, s17
	s_add_u32 s1, 0x150, s1
	s_addc_u32 s3, 0, 0
	v_add_co_u32_e32 v1, vcc, s1, v1
	s_cmp_lg_u64 vcc, 0
	v_readfirstlane_b32 s4, v1
	s_addc_u32 s1, s3, 0x4ec4eb
	s_mul_hi_u32 s5, s4, 0xfffffcc0
	s_mul_i32 s3, s1, 0xfffffcc0
	s_sub_i32 s5, s5, s4
	s_add_i32 s5, s5, s3
	s_mul_i32 s21, s4, 0xfffffcc0
	s_mul_hi_u32 s3, s4, s5
	s_mul_i32 s20, s4, s5
	s_mul_hi_u32 s4, s4, s21
	s_add_u32 s4, s4, s20
	s_addc_u32 s3, 0, s3
	s_mul_hi_u32 s22, s1, s21
	s_mul_i32 s21, s1, s21
	s_add_u32 s4, s4, s21
	s_mul_hi_u32 s20, s1, s5
	s_addc_u32 s3, s3, s22
	s_addc_u32 s4, s20, 0
	s_mul_i32 s5, s1, s5
	s_add_u32 s3, s3, s5
	s_addc_u32 s4, 0, s4
	v_add_co_u32_e32 v1, vcc, s3, v1
	s_cmp_lg_u64 vcc, 0
	s_addc_u32 s1, s1, s4
	v_readfirstlane_b32 s5, v1
	s_mul_i32 s4, s10, s1
	s_mul_hi_u32 s20, s10, s5
	s_mul_hi_u32 s3, s10, s1
	s_add_u32 s4, s20, s4
	s_addc_u32 s3, 0, s3
	s_mul_hi_u32 s21, s11, s5
	s_mul_i32 s5, s11, s5
	s_add_u32 s4, s4, s5
	s_mul_hi_u32 s20, s11, s1
	s_addc_u32 s3, s3, s21
	s_addc_u32 s4, s20, 0
	s_mul_i32 s1, s11, s1
	s_add_u32 s1, s3, s1
	s_addc_u32 s3, 0, s4
	s_add_u32 s4, s1, 1
	s_addc_u32 s5, s3, 0
	s_add_u32 s20, s1, 2
	s_mul_i32 s22, s3, 0x340
	s_mul_hi_u32 s23, s1, 0x340
	s_addc_u32 s21, s3, 0
	s_add_i32 s23, s23, s22
	s_mul_i32 s22, s1, 0x340
	v_mov_b32_e32 v1, s22
	v_sub_co_u32_e32 v1, vcc, s10, v1
	s_movk_i32 s0, 0x340
	s_cmp_lg_u64 vcc, 0
	s_subb_u32 s22, s11, s23
	v_subrev_co_u32_e32 v2, vcc, s0, v1
	s_cmp_lg_u64 vcc, 0
	s_subb_u32 s0, s22, 0
	v_readfirstlane_b32 s23, v2
	s_cmpk_gt_u32 s23, 0x33f
	s_cselect_b32 s23, -1, 0
	s_cmp_eq_u32 s0, 0
	s_cselect_b32 s0, s23, -1
	s_cmp_lg_u32 s0, 0
	s_cselect_b32 s0, s20, s4
	s_cselect_b32 s4, s21, s5
	v_readfirstlane_b32 s5, v1
	s_cmpk_gt_u32 s5, 0x33f
	s_cselect_b32 s5, -1, 0
	s_cmp_eq_u32 s22, 0
	s_cselect_b32 s5, s5, -1
	s_cmp_lg_u32 s5, 0
	s_cselect_b32 s3, s4, s3
	s_cselect_b32 s4, s0, s1
	s_mul_i32 s0, s3, 0x340
	s_mul_hi_u32 s1, s4, 0x340
	s_add_i32 s1, s1, s0
	s_mul_i32 s0, s4, 0x340
	s_sub_u32 s0, s10, s0
	s_subb_u32 s1, s11, s1
	s_cmp_lg_u64 s[0:1], 0
	s_cselect_b64 s[0:1], -1, 0
	v_cndmask_b32_e64 v1, 0, 1, s[0:1]
	s_mul_i32 s6, s2, 0x340
	v_readfirstlane_b32 s0, v1
	s_add_u32 s4, s4, s0
	s_addc_u32 s5, s3, 0
	s_add_u32 s22, s18, s2
	s_addc_u32 s23, s19, 0
	s_add_u32 s2, s4, -1
	s_addc_u32 s3, s5, -1
	v_mov_b64_e32 v[2:3], s[2:3]
	v_cmp_ge_u64_e64 s[0:1], s[22:23], v[2:3]
	s_mov_b32 s7, 0
	s_mov_b64 s[18:19], -1
	s_and_b64 vcc, exec, s[0:1]
	s_mul_i32 s11, s2, 0xfffffcc0
	s_cbranch_vccz .LBB790_28
; %bb.1:
	s_add_i32 s26, s11, s10
	s_lshl_b64 s[18:19], s[6:7], 3
	s_add_u32 s18, s24, s18
	s_addc_u32 s19, s25, s19
	v_cmp_gt_u32_e32 vcc, s26, v0
                                        ; implicit-def: $vgpr2_vgpr3_vgpr4_vgpr5_vgpr6_vgpr7_vgpr8_vgpr9_vgpr10_vgpr11_vgpr12_vgpr13_vgpr14_vgpr15_vgpr16_vgpr17_vgpr18_vgpr19_vgpr20_vgpr21_vgpr22_vgpr23_vgpr24_vgpr25_vgpr26_vgpr27_vgpr28_vgpr29_vgpr30_vgpr31_vgpr32_vgpr33
	s_and_saveexec_b64 s[20:21], vcc
	s_cbranch_execz .LBB790_3
; %bb.2:
	v_lshlrev_b32_e32 v1, 3, v0
	global_load_dwordx2 v[2:3], v1, s[18:19]
.LBB790_3:
	s_or_b64 exec, exec, s[20:21]
	v_or_b32_e32 v1, 64, v0
	v_cmp_gt_u32_e32 vcc, s26, v1
	s_and_saveexec_b64 s[20:21], vcc
	s_cbranch_execz .LBB790_5
; %bb.4:
	v_lshlrev_b32_e32 v1, 3, v0
	global_load_dwordx2 v[4:5], v1, s[18:19] offset:512
.LBB790_5:
	s_or_b64 exec, exec, s[20:21]
	v_or_b32_e32 v1, 0x80, v0
	v_cmp_gt_u32_e32 vcc, s26, v1
	s_and_saveexec_b64 s[20:21], vcc
	s_cbranch_execz .LBB790_7
; %bb.6:
	v_lshlrev_b32_e32 v1, 3, v0
	global_load_dwordx2 v[6:7], v1, s[18:19] offset:1024
.LBB790_7:
	;; [unrolled: 9-line block ×7, first 2 shown]
	s_or_b64 exec, exec, s[20:21]
	v_or_b32_e32 v1, 0x200, v0
	v_cmp_gt_u32_e32 vcc, s26, v1
	s_and_saveexec_b64 s[20:21], vcc
	s_cbranch_execz .LBB790_19
; %bb.18:
	v_lshlrev_b32_e32 v1, 3, v1
	global_load_dwordx2 v[18:19], v1, s[18:19]
.LBB790_19:
	s_or_b64 exec, exec, s[20:21]
	v_or_b32_e32 v1, 0x240, v0
	v_cmp_gt_u32_e32 vcc, s26, v1
	s_and_saveexec_b64 s[20:21], vcc
	s_cbranch_execz .LBB790_21
; %bb.20:
	v_lshlrev_b32_e32 v1, 3, v1
	global_load_dwordx2 v[20:21], v1, s[18:19]
.LBB790_21:
	s_or_b64 exec, exec, s[20:21]
	v_or_b32_e32 v1, 0x280, v0
	v_cmp_gt_u32_e32 vcc, s26, v1
	s_and_saveexec_b64 s[20:21], vcc
	s_cbranch_execz .LBB790_23
; %bb.22:
	v_lshlrev_b32_e32 v1, 3, v1
	global_load_dwordx2 v[22:23], v1, s[18:19]
.LBB790_23:
	s_or_b64 exec, exec, s[20:21]
	v_or_b32_e32 v1, 0x2c0, v0
	v_cmp_gt_u32_e32 vcc, s26, v1
	s_and_saveexec_b64 s[20:21], vcc
	s_cbranch_execz .LBB790_25
; %bb.24:
	v_lshlrev_b32_e32 v1, 3, v1
	global_load_dwordx2 v[24:25], v1, s[18:19]
.LBB790_25:
	s_or_b64 exec, exec, s[20:21]
	v_or_b32_e32 v1, 0x300, v0
	v_cmp_gt_u32_e32 vcc, s26, v1
	s_and_saveexec_b64 s[20:21], vcc
	s_cbranch_execz .LBB790_27
; %bb.26:
	v_lshlrev_b32_e32 v1, 3, v1
	global_load_dwordx2 v[26:27], v1, s[18:19]
.LBB790_27:
	s_or_b64 exec, exec, s[20:21]
	v_lshlrev_b32_e32 v1, 3, v0
	s_mov_b64 s[18:19], 0
	s_waitcnt vmcnt(0)
	ds_write2st64_b64 v1, v[2:3], v[4:5] offset1:1
	ds_write2st64_b64 v1, v[6:7], v[8:9] offset0:2 offset1:3
	ds_write2st64_b64 v1, v[10:11], v[12:13] offset0:4 offset1:5
	;; [unrolled: 1-line block ×5, first 2 shown]
	ds_write_b64 v1, v[26:27] offset:6144
	s_waitcnt lgkmcnt(0)
	; wave barrier
.LBB790_28:
	s_and_b64 vcc, exec, s[18:19]
	v_lshlrev_b32_e32 v48, 3, v0
	s_cbranch_vccz .LBB790_30
; %bb.29:
	s_lshl_b64 s[18:19], s[6:7], 3
	s_add_u32 s18, s24, s18
	s_addc_u32 s19, s25, s19
	v_mov_b32_e32 v49, 0
	v_lshl_add_u64 v[2:3], s[18:19], 0, v[48:49]
	s_movk_i32 s7, 0x1000
	v_add_co_u32_e32 v2, vcc, s7, v2
	global_load_dwordx2 v[4:5], v48, s[18:19]
	global_load_dwordx2 v[6:7], v48, s[18:19] offset:512
	global_load_dwordx2 v[8:9], v48, s[18:19] offset:1024
	;; [unrolled: 1-line block ×7, first 2 shown]
	v_addc_co_u32_e32 v3, vcc, 0, v3, vcc
	global_load_dwordx2 v[20:21], v[2:3], off
	global_load_dwordx2 v[22:23], v[2:3], off offset:512
	global_load_dwordx2 v[24:25], v[2:3], off offset:1024
	;; [unrolled: 1-line block ×4, first 2 shown]
	s_waitcnt vmcnt(11)
	ds_write2st64_b64 v48, v[4:5], v[6:7] offset1:1
	s_waitcnt vmcnt(9)
	ds_write2st64_b64 v48, v[8:9], v[10:11] offset0:2 offset1:3
	s_waitcnt vmcnt(7)
	ds_write2st64_b64 v48, v[12:13], v[14:15] offset0:4 offset1:5
	;; [unrolled: 2-line block ×5, first 2 shown]
	s_waitcnt vmcnt(0)
	ds_write_b64 v48, v[28:29] offset:6144
	s_waitcnt lgkmcnt(0)
	; wave barrier
.LBB790_30:
	v_mul_u32_u24_e32 v1, 13, v0
	v_lshlrev_b32_e32 v1, 3, v1
	s_waitcnt lgkmcnt(0)
	ds_read2_b64 v[2:5], v1 offset1:1
	ds_read2_b64 v[6:9], v1 offset0:2 offset1:3
	ds_read2_b64 v[10:13], v1 offset0:4 offset1:5
	;; [unrolled: 1-line block ×5, first 2 shown]
	ds_read_b64 v[44:45], v1 offset:96
	s_cmp_eq_u64 s[22:23], 0
	s_mov_b64 s[18:19], 0
	s_waitcnt lgkmcnt(0)
	; wave barrier
	s_waitcnt lgkmcnt(0)
	s_cbranch_scc1 .LBB790_39
; %bb.31:
	s_mov_b32 s7, 0
	s_lshl_b64 s[20:21], s[6:7], 3
	s_add_u32 s7, s24, s20
	s_addc_u32 s21, s25, s21
	s_add_u32 s20, s7, -8
	s_addc_u32 s21, s21, -1
	s_load_dwordx2 s[20:21], s[20:21], 0x0
	s_cmp_lg_u64 s[22:23], s[2:3]
	s_cbranch_scc0 .LBB790_40
; %bb.32:
	v_mul_lo_u32 v1, v25, s12
	v_mul_lo_u32 v28, v24, s13
	v_mad_u64_u32 v[26:27], s[24:25], v24, s12, 0
	v_mov_b64_e32 v[46:47], 0
	v_cmp_lt_i64_e64 s[2:3], s[12:13], 1
	v_add3_u32 v27, v27, v28, v1
	v_cmp_gt_i64_e64 s[18:19], s[12:13], 0
	s_and_b64 vcc, exec, s[2:3]
	v_lshl_add_u64 v[26:27], v[26:27], 3, s[14:15]
	v_mov_b64_e32 v[50:51], v[46:47]
	ds_write_b64 v48, v[44:45]
	s_cbranch_vccnz .LBB790_44
; %bb.33:
	v_mul_lo_u32 v1, v45, s12
	v_mul_lo_u32 v30, v44, s13
	v_mad_u64_u32 v[28:29], s[2:3], v44, s12, 0
	v_add3_u32 v29, v29, v30, v1
	v_lshl_add_u64 v[30:31], v[28:29], 3, s[14:15]
	global_load_dwordx2 v[28:29], v[30:31], off
	global_load_dwordx2 v[32:33], v[26:27], off
	v_mov_b64_e32 v[50:51], 1
	s_waitcnt vmcnt(0)
	v_cmp_eq_f64_e32 vcc, v[28:29], v[32:33]
	s_and_saveexec_b64 s[2:3], vcc
	s_cbranch_execz .LBB790_43
; %bb.34:
	s_add_u32 s24, s12, -1
	v_lshl_add_u64 v[28:29], v[26:27], 0, 8
	v_lshl_add_u64 v[30:31], v[30:31], 0, 8
	s_addc_u32 s25, s13, -1
	s_mov_b64 s[26:27], 0
	s_mov_b64 s[30:31], 0
                                        ; implicit-def: $sgpr28_sgpr29
	s_branch .LBB790_37
.LBB790_35:                             ;   in Loop: Header=BB790_37 Depth=1
	global_load_dwordx2 v[32:33], v[30:31], off
	global_load_dwordx2 v[34:35], v[28:29], off
	s_add_u32 s30, s30, 1
	s_addc_u32 s31, s31, 0
	s_andn2_b64 s[28:29], s[28:29], exec
	v_lshl_add_u64 v[28:29], v[28:29], 0, 8
	v_lshl_add_u64 v[30:31], v[30:31], 0, 8
	s_waitcnt vmcnt(0)
	v_cmp_neq_f64_e32 vcc, v[32:33], v[34:35]
	s_and_b64 s[34:35], vcc, exec
	s_or_b64 s[28:29], s[28:29], s[34:35]
.LBB790_36:                             ;   in Loop: Header=BB790_37 Depth=1
	s_and_b64 s[34:35], exec, s[28:29]
	s_or_b64 s[26:27], s[34:35], s[26:27]
	v_mov_b64_e32 v[32:33], s[30:31]
	s_andn2_b64 exec, exec, s[26:27]
	s_cbranch_execz .LBB790_42
.LBB790_37:                             ; =>This Inner Loop Header: Depth=1
	s_or_b64 s[28:29], s[28:29], exec
	s_cmp_eq_u64 s[24:25], s[30:31]
	s_cbranch_scc0 .LBB790_35
; %bb.38:                               ;   in Loop: Header=BB790_37 Depth=1
                                        ; implicit-def: $vgpr28_vgpr29
                                        ; implicit-def: $vgpr30_vgpr31
	s_mov_b64 s[30:31], s[12:13]
	s_branch .LBB790_36
.LBB790_39:
                                        ; implicit-def: $vgpr26_vgpr27_vgpr28_vgpr29
                                        ; implicit-def: $sgpr24_sgpr25
                                        ; implicit-def: $vgpr50_vgpr51
                                        ; implicit-def: $vgpr52_vgpr53
                                        ; implicit-def: $vgpr46_vgpr47
                                        ; implicit-def: $vgpr70_vgpr71
                                        ; implicit-def: $vgpr68_vgpr69
                                        ; implicit-def: $vgpr66_vgpr67
                                        ; implicit-def: $vgpr64_vgpr65
                                        ; implicit-def: $vgpr62_vgpr63
                                        ; implicit-def: $vgpr60_vgpr61
                                        ; implicit-def: $vgpr58_vgpr59
                                        ; implicit-def: $vgpr56_vgpr57
                                        ; implicit-def: $vgpr54_vgpr55
                                        ; implicit-def: $vgpr72_vgpr73
                                        ; implicit-def: $vgpr82_vgpr83
                                        ; implicit-def: $vgpr74_vgpr75
                                        ; implicit-def: $vgpr76_vgpr77
                                        ; implicit-def: $vgpr78_vgpr79
                                        ; implicit-def: $vgpr80_vgpr81
                                        ; implicit-def: $vgpr28_vgpr29_vgpr30_vgpr31
                                        ; implicit-def: $vgpr32_vgpr33_vgpr34_vgpr35
                                        ; implicit-def: $vgpr36_vgpr37_vgpr38_vgpr39
                                        ; implicit-def: $vgpr40_vgpr41_vgpr42_vgpr43
	s_cbranch_execnz .LBB790_303
	s_branch .LBB790_572
.LBB790_40:
                                        ; implicit-def: $sgpr24_sgpr25
                                        ; implicit-def: $vgpr50_vgpr51
                                        ; implicit-def: $vgpr52_vgpr53
                                        ; implicit-def: $vgpr46_vgpr47
                                        ; implicit-def: $vgpr70_vgpr71
                                        ; implicit-def: $vgpr68_vgpr69
                                        ; implicit-def: $vgpr66_vgpr67
                                        ; implicit-def: $vgpr64_vgpr65
                                        ; implicit-def: $vgpr62_vgpr63
                                        ; implicit-def: $vgpr60_vgpr61
                                        ; implicit-def: $vgpr58_vgpr59
                                        ; implicit-def: $vgpr56_vgpr57
                                        ; implicit-def: $vgpr54_vgpr55
	s_cbranch_execnz .LBB790_156
.LBB790_41:
                                        ; implicit-def: $vgpr26_vgpr27_vgpr28_vgpr29
                                        ; implicit-def: $vgpr72_vgpr73
                                        ; implicit-def: $vgpr82_vgpr83
                                        ; implicit-def: $vgpr74_vgpr75
                                        ; implicit-def: $vgpr76_vgpr77
                                        ; implicit-def: $vgpr78_vgpr79
                                        ; implicit-def: $vgpr80_vgpr81
                                        ; implicit-def: $vgpr32_vgpr33_vgpr34_vgpr35
                                        ; implicit-def: $vgpr36_vgpr37_vgpr38_vgpr39
                                        ; implicit-def: $vgpr40_vgpr41_vgpr42_vgpr43
                                        ; implicit-def: $vgpr28_vgpr29_vgpr30_vgpr31
	s_branch .LBB790_572
.LBB790_42:
	s_or_b64 exec, exec, s[26:27]
	v_cmp_gt_i64_e32 vcc, s[12:13], v[32:33]
	s_mov_b32 s7, 0
	v_mov_b32_e32 v51, s7
	v_cndmask_b32_e64 v50, 0, 1, vcc
.LBB790_43:
	s_or_b64 exec, exec, s[2:3]
.LBB790_44:
	v_mul_lo_u32 v1, v23, s12
	v_mul_lo_u32 v30, v22, s13
	v_mad_u64_u32 v[28:29], s[2:3], v22, s12, 0
	v_add3_u32 v29, v29, v30, v1
	v_cndmask_b32_e64 v1, 0, 1, s[18:19]
	v_cmp_ne_u32_e64 s[2:3], 1, v1
	s_andn2_b64 vcc, exec, s[18:19]
	v_lshl_add_u64 v[28:29], v[28:29], 3, s[14:15]
	v_mov_b64_e32 v[52:53], v[46:47]
	s_cbranch_vccnz .LBB790_53
; %bb.45:
	global_load_dwordx2 v[30:31], v[26:27], off
	global_load_dwordx2 v[32:33], v[28:29], off
	v_mov_b64_e32 v[52:53], 1
	s_waitcnt vmcnt(0)
	v_cmp_eq_f64_e32 vcc, v[30:31], v[32:33]
	s_and_saveexec_b64 s[18:19], vcc
	s_cbranch_execz .LBB790_52
; %bb.46:
	s_add_u32 s24, s12, -1
	v_lshl_add_u64 v[30:31], v[28:29], 0, 8
	v_lshl_add_u64 v[26:27], v[26:27], 0, 8
	s_addc_u32 s25, s13, -1
	s_mov_b64 s[26:27], 0
	s_mov_b64 s[30:31], 0
                                        ; implicit-def: $sgpr28_sgpr29
	s_branch .LBB790_49
.LBB790_47:                             ;   in Loop: Header=BB790_49 Depth=1
	global_load_dwordx2 v[32:33], v[26:27], off
	global_load_dwordx2 v[34:35], v[30:31], off
	s_add_u32 s30, s30, 1
	s_addc_u32 s31, s31, 0
	s_andn2_b64 s[28:29], s[28:29], exec
	v_lshl_add_u64 v[30:31], v[30:31], 0, 8
	v_lshl_add_u64 v[26:27], v[26:27], 0, 8
	s_waitcnt vmcnt(0)
	v_cmp_neq_f64_e32 vcc, v[32:33], v[34:35]
	s_and_b64 s[34:35], vcc, exec
	s_or_b64 s[28:29], s[28:29], s[34:35]
.LBB790_48:                             ;   in Loop: Header=BB790_49 Depth=1
	s_and_b64 s[34:35], exec, s[28:29]
	s_or_b64 s[26:27], s[34:35], s[26:27]
	v_mov_b64_e32 v[32:33], s[30:31]
	s_andn2_b64 exec, exec, s[26:27]
	s_cbranch_execz .LBB790_51
.LBB790_49:                             ; =>This Inner Loop Header: Depth=1
	s_or_b64 s[28:29], s[28:29], exec
	s_cmp_eq_u64 s[24:25], s[30:31]
	s_cbranch_scc0 .LBB790_47
; %bb.50:                               ;   in Loop: Header=BB790_49 Depth=1
                                        ; implicit-def: $vgpr30_vgpr31
                                        ; implicit-def: $vgpr26_vgpr27
	s_mov_b64 s[30:31], s[12:13]
	s_branch .LBB790_48
.LBB790_51:
	s_or_b64 exec, exec, s[26:27]
	v_cmp_gt_i64_e32 vcc, s[12:13], v[32:33]
	s_mov_b32 s7, 0
	v_mov_b32_e32 v53, s7
	v_cndmask_b32_e64 v52, 0, 1, vcc
.LBB790_52:
	s_or_b64 exec, exec, s[18:19]
.LBB790_53:
	v_mul_lo_u32 v1, v21, s12
	v_mul_lo_u32 v30, v20, s13
	v_mad_u64_u32 v[26:27], s[18:19], v20, s12, 0
	v_add3_u32 v27, v27, v30, v1
	s_and_b64 vcc, exec, s[2:3]
	v_lshl_add_u64 v[26:27], v[26:27], 3, s[14:15]
	s_cbranch_vccnz .LBB790_62
; %bb.54:
	global_load_dwordx2 v[30:31], v[28:29], off
	global_load_dwordx2 v[32:33], v[26:27], off
	v_mov_b64_e32 v[46:47], 1
	s_waitcnt vmcnt(0)
	v_cmp_eq_f64_e32 vcc, v[30:31], v[32:33]
	s_and_saveexec_b64 s[18:19], vcc
	s_cbranch_execz .LBB790_61
; %bb.55:
	s_add_u32 s24, s12, -1
	v_lshl_add_u64 v[30:31], v[26:27], 0, 8
	v_lshl_add_u64 v[28:29], v[28:29], 0, 8
	s_addc_u32 s25, s13, -1
	s_mov_b64 s[26:27], 0
	s_mov_b64 s[30:31], 0
                                        ; implicit-def: $sgpr28_sgpr29
	s_branch .LBB790_58
.LBB790_56:                             ;   in Loop: Header=BB790_58 Depth=1
	global_load_dwordx2 v[32:33], v[28:29], off
	global_load_dwordx2 v[34:35], v[30:31], off
	s_add_u32 s30, s30, 1
	s_addc_u32 s31, s31, 0
	s_andn2_b64 s[28:29], s[28:29], exec
	v_lshl_add_u64 v[30:31], v[30:31], 0, 8
	v_lshl_add_u64 v[28:29], v[28:29], 0, 8
	s_waitcnt vmcnt(0)
	v_cmp_neq_f64_e32 vcc, v[32:33], v[34:35]
	s_and_b64 s[34:35], vcc, exec
	s_or_b64 s[28:29], s[28:29], s[34:35]
.LBB790_57:                             ;   in Loop: Header=BB790_58 Depth=1
	s_and_b64 s[34:35], exec, s[28:29]
	s_or_b64 s[26:27], s[34:35], s[26:27]
	v_mov_b64_e32 v[32:33], s[30:31]
	s_andn2_b64 exec, exec, s[26:27]
	s_cbranch_execz .LBB790_60
.LBB790_58:                             ; =>This Inner Loop Header: Depth=1
	s_or_b64 s[28:29], s[28:29], exec
	s_cmp_eq_u64 s[24:25], s[30:31]
	s_cbranch_scc0 .LBB790_56
; %bb.59:                               ;   in Loop: Header=BB790_58 Depth=1
                                        ; implicit-def: $vgpr30_vgpr31
                                        ; implicit-def: $vgpr28_vgpr29
	s_mov_b64 s[30:31], s[12:13]
	s_branch .LBB790_57
.LBB790_60:
	s_or_b64 exec, exec, s[26:27]
	v_cmp_gt_i64_e32 vcc, s[12:13], v[32:33]
	s_mov_b32 s7, 0
	v_mov_b32_e32 v47, s7
	v_cndmask_b32_e64 v46, 0, 1, vcc
.LBB790_61:
	s_or_b64 exec, exec, s[18:19]
.LBB790_62:
	v_mul_lo_u32 v1, v19, s12
	v_mul_lo_u32 v30, v18, s13
	v_mad_u64_u32 v[28:29], s[18:19], v18, s12, 0
	v_add3_u32 v29, v29, v30, v1
	v_mov_b64_e32 v[56:57], 0
	s_and_b64 vcc, exec, s[2:3]
	v_lshl_add_u64 v[28:29], v[28:29], 3, s[14:15]
	v_mov_b64_e32 v[54:55], v[56:57]
	s_cbranch_vccnz .LBB790_71
; %bb.63:
	global_load_dwordx2 v[30:31], v[26:27], off
	global_load_dwordx2 v[32:33], v[28:29], off
	v_mov_b64_e32 v[54:55], 1
	s_waitcnt vmcnt(0)
	v_cmp_eq_f64_e32 vcc, v[30:31], v[32:33]
	s_and_saveexec_b64 s[18:19], vcc
	s_cbranch_execz .LBB790_70
; %bb.64:
	s_add_u32 s24, s12, -1
	v_lshl_add_u64 v[30:31], v[28:29], 0, 8
	v_lshl_add_u64 v[26:27], v[26:27], 0, 8
	s_addc_u32 s25, s13, -1
	s_mov_b64 s[26:27], 0
	s_mov_b64 s[30:31], 0
                                        ; implicit-def: $sgpr28_sgpr29
	s_branch .LBB790_67
.LBB790_65:                             ;   in Loop: Header=BB790_67 Depth=1
	global_load_dwordx2 v[32:33], v[26:27], off
	global_load_dwordx2 v[34:35], v[30:31], off
	s_add_u32 s30, s30, 1
	s_addc_u32 s31, s31, 0
	s_andn2_b64 s[28:29], s[28:29], exec
	v_lshl_add_u64 v[30:31], v[30:31], 0, 8
	v_lshl_add_u64 v[26:27], v[26:27], 0, 8
	s_waitcnt vmcnt(0)
	v_cmp_neq_f64_e32 vcc, v[32:33], v[34:35]
	s_and_b64 s[34:35], vcc, exec
	s_or_b64 s[28:29], s[28:29], s[34:35]
.LBB790_66:                             ;   in Loop: Header=BB790_67 Depth=1
	s_and_b64 s[34:35], exec, s[28:29]
	s_or_b64 s[26:27], s[34:35], s[26:27]
	v_mov_b64_e32 v[32:33], s[30:31]
	s_andn2_b64 exec, exec, s[26:27]
	s_cbranch_execz .LBB790_69
.LBB790_67:                             ; =>This Inner Loop Header: Depth=1
	s_or_b64 s[28:29], s[28:29], exec
	s_cmp_eq_u64 s[24:25], s[30:31]
	s_cbranch_scc0 .LBB790_65
; %bb.68:                               ;   in Loop: Header=BB790_67 Depth=1
                                        ; implicit-def: $vgpr30_vgpr31
                                        ; implicit-def: $vgpr26_vgpr27
	s_mov_b64 s[30:31], s[12:13]
	s_branch .LBB790_66
.LBB790_69:
	s_or_b64 exec, exec, s[26:27]
	v_cmp_gt_i64_e32 vcc, s[12:13], v[32:33]
	s_mov_b32 s7, 0
	v_mov_b32_e32 v55, s7
	v_cndmask_b32_e64 v54, 0, 1, vcc
.LBB790_70:
	s_or_b64 exec, exec, s[18:19]
.LBB790_71:
	v_mul_lo_u32 v1, v17, s12
	v_mul_lo_u32 v30, v16, s13
	v_mad_u64_u32 v[26:27], s[18:19], v16, s12, 0
	v_add3_u32 v27, v27, v30, v1
	s_and_b64 vcc, exec, s[2:3]
	v_lshl_add_u64 v[26:27], v[26:27], 3, s[14:15]
	s_cbranch_vccnz .LBB790_80
; %bb.72:
	global_load_dwordx2 v[30:31], v[28:29], off
	global_load_dwordx2 v[32:33], v[26:27], off
	v_mov_b64_e32 v[56:57], 1
	s_waitcnt vmcnt(0)
	v_cmp_eq_f64_e32 vcc, v[30:31], v[32:33]
	s_and_saveexec_b64 s[18:19], vcc
	s_cbranch_execz .LBB790_79
; %bb.73:
	s_add_u32 s24, s12, -1
	v_lshl_add_u64 v[30:31], v[26:27], 0, 8
	v_lshl_add_u64 v[28:29], v[28:29], 0, 8
	s_addc_u32 s25, s13, -1
	s_mov_b64 s[26:27], 0
	s_mov_b64 s[30:31], 0
                                        ; implicit-def: $sgpr28_sgpr29
	s_branch .LBB790_76
.LBB790_74:                             ;   in Loop: Header=BB790_76 Depth=1
	global_load_dwordx2 v[32:33], v[28:29], off
	global_load_dwordx2 v[34:35], v[30:31], off
	s_add_u32 s30, s30, 1
	s_addc_u32 s31, s31, 0
	s_andn2_b64 s[28:29], s[28:29], exec
	v_lshl_add_u64 v[30:31], v[30:31], 0, 8
	v_lshl_add_u64 v[28:29], v[28:29], 0, 8
	s_waitcnt vmcnt(0)
	v_cmp_neq_f64_e32 vcc, v[32:33], v[34:35]
	s_and_b64 s[34:35], vcc, exec
	s_or_b64 s[28:29], s[28:29], s[34:35]
.LBB790_75:                             ;   in Loop: Header=BB790_76 Depth=1
	s_and_b64 s[34:35], exec, s[28:29]
	s_or_b64 s[26:27], s[34:35], s[26:27]
	v_mov_b64_e32 v[32:33], s[30:31]
	s_andn2_b64 exec, exec, s[26:27]
	s_cbranch_execz .LBB790_78
.LBB790_76:                             ; =>This Inner Loop Header: Depth=1
	s_or_b64 s[28:29], s[28:29], exec
	s_cmp_eq_u64 s[24:25], s[30:31]
	s_cbranch_scc0 .LBB790_74
; %bb.77:                               ;   in Loop: Header=BB790_76 Depth=1
                                        ; implicit-def: $vgpr30_vgpr31
                                        ; implicit-def: $vgpr28_vgpr29
	s_mov_b64 s[30:31], s[12:13]
	s_branch .LBB790_75
.LBB790_78:
	s_or_b64 exec, exec, s[26:27]
	v_cmp_gt_i64_e32 vcc, s[12:13], v[32:33]
	s_mov_b32 s7, 0
	v_mov_b32_e32 v57, s7
	v_cndmask_b32_e64 v56, 0, 1, vcc
.LBB790_79:
	s_or_b64 exec, exec, s[18:19]
.LBB790_80:
	v_mul_lo_u32 v1, v15, s12
	v_mul_lo_u32 v30, v14, s13
	v_mad_u64_u32 v[28:29], s[18:19], v14, s12, 0
	v_add3_u32 v29, v29, v30, v1
	v_mov_b64_e32 v[60:61], 0
	s_and_b64 vcc, exec, s[2:3]
	v_lshl_add_u64 v[28:29], v[28:29], 3, s[14:15]
	v_mov_b64_e32 v[58:59], v[60:61]
	s_cbranch_vccnz .LBB790_89
; %bb.81:
	global_load_dwordx2 v[30:31], v[26:27], off
	global_load_dwordx2 v[32:33], v[28:29], off
	v_mov_b64_e32 v[58:59], 1
	s_waitcnt vmcnt(0)
	v_cmp_eq_f64_e32 vcc, v[30:31], v[32:33]
	s_and_saveexec_b64 s[18:19], vcc
	s_cbranch_execz .LBB790_88
; %bb.82:
	s_add_u32 s24, s12, -1
	v_lshl_add_u64 v[30:31], v[28:29], 0, 8
	v_lshl_add_u64 v[26:27], v[26:27], 0, 8
	s_addc_u32 s25, s13, -1
	s_mov_b64 s[26:27], 0
	s_mov_b64 s[30:31], 0
                                        ; implicit-def: $sgpr28_sgpr29
	s_branch .LBB790_85
.LBB790_83:                             ;   in Loop: Header=BB790_85 Depth=1
	global_load_dwordx2 v[32:33], v[26:27], off
	global_load_dwordx2 v[34:35], v[30:31], off
	s_add_u32 s30, s30, 1
	s_addc_u32 s31, s31, 0
	s_andn2_b64 s[28:29], s[28:29], exec
	v_lshl_add_u64 v[30:31], v[30:31], 0, 8
	v_lshl_add_u64 v[26:27], v[26:27], 0, 8
	s_waitcnt vmcnt(0)
	v_cmp_neq_f64_e32 vcc, v[32:33], v[34:35]
	s_and_b64 s[34:35], vcc, exec
	s_or_b64 s[28:29], s[28:29], s[34:35]
.LBB790_84:                             ;   in Loop: Header=BB790_85 Depth=1
	s_and_b64 s[34:35], exec, s[28:29]
	s_or_b64 s[26:27], s[34:35], s[26:27]
	v_mov_b64_e32 v[32:33], s[30:31]
	s_andn2_b64 exec, exec, s[26:27]
	s_cbranch_execz .LBB790_87
.LBB790_85:                             ; =>This Inner Loop Header: Depth=1
	s_or_b64 s[28:29], s[28:29], exec
	s_cmp_eq_u64 s[24:25], s[30:31]
	s_cbranch_scc0 .LBB790_83
; %bb.86:                               ;   in Loop: Header=BB790_85 Depth=1
                                        ; implicit-def: $vgpr30_vgpr31
                                        ; implicit-def: $vgpr26_vgpr27
	s_mov_b64 s[30:31], s[12:13]
	s_branch .LBB790_84
.LBB790_87:
	s_or_b64 exec, exec, s[26:27]
	v_cmp_gt_i64_e32 vcc, s[12:13], v[32:33]
	s_mov_b32 s7, 0
	v_mov_b32_e32 v59, s7
	v_cndmask_b32_e64 v58, 0, 1, vcc
.LBB790_88:
	s_or_b64 exec, exec, s[18:19]
.LBB790_89:
	v_mul_lo_u32 v1, v13, s12
	v_mul_lo_u32 v30, v12, s13
	v_mad_u64_u32 v[26:27], s[18:19], v12, s12, 0
	v_add3_u32 v27, v27, v30, v1
	s_and_b64 vcc, exec, s[2:3]
	v_lshl_add_u64 v[26:27], v[26:27], 3, s[14:15]
	s_cbranch_vccnz .LBB790_98
; %bb.90:
	global_load_dwordx2 v[30:31], v[28:29], off
	global_load_dwordx2 v[32:33], v[26:27], off
	v_mov_b64_e32 v[60:61], 1
	s_waitcnt vmcnt(0)
	v_cmp_eq_f64_e32 vcc, v[30:31], v[32:33]
	s_and_saveexec_b64 s[18:19], vcc
	s_cbranch_execz .LBB790_97
; %bb.91:
	s_add_u32 s24, s12, -1
	v_lshl_add_u64 v[30:31], v[26:27], 0, 8
	v_lshl_add_u64 v[28:29], v[28:29], 0, 8
	s_addc_u32 s25, s13, -1
	s_mov_b64 s[26:27], 0
	s_mov_b64 s[30:31], 0
                                        ; implicit-def: $sgpr28_sgpr29
	s_branch .LBB790_94
.LBB790_92:                             ;   in Loop: Header=BB790_94 Depth=1
	global_load_dwordx2 v[32:33], v[28:29], off
	global_load_dwordx2 v[34:35], v[30:31], off
	s_add_u32 s30, s30, 1
	s_addc_u32 s31, s31, 0
	s_andn2_b64 s[28:29], s[28:29], exec
	v_lshl_add_u64 v[30:31], v[30:31], 0, 8
	v_lshl_add_u64 v[28:29], v[28:29], 0, 8
	s_waitcnt vmcnt(0)
	v_cmp_neq_f64_e32 vcc, v[32:33], v[34:35]
	s_and_b64 s[34:35], vcc, exec
	s_or_b64 s[28:29], s[28:29], s[34:35]
.LBB790_93:                             ;   in Loop: Header=BB790_94 Depth=1
	s_and_b64 s[34:35], exec, s[28:29]
	s_or_b64 s[26:27], s[34:35], s[26:27]
	v_mov_b64_e32 v[32:33], s[30:31]
	s_andn2_b64 exec, exec, s[26:27]
	s_cbranch_execz .LBB790_96
.LBB790_94:                             ; =>This Inner Loop Header: Depth=1
	s_or_b64 s[28:29], s[28:29], exec
	s_cmp_eq_u64 s[24:25], s[30:31]
	s_cbranch_scc0 .LBB790_92
; %bb.95:                               ;   in Loop: Header=BB790_94 Depth=1
                                        ; implicit-def: $vgpr30_vgpr31
                                        ; implicit-def: $vgpr28_vgpr29
	s_mov_b64 s[30:31], s[12:13]
	s_branch .LBB790_93
.LBB790_96:
	s_or_b64 exec, exec, s[26:27]
	v_cmp_gt_i64_e32 vcc, s[12:13], v[32:33]
	s_mov_b32 s7, 0
	v_mov_b32_e32 v61, s7
	v_cndmask_b32_e64 v60, 0, 1, vcc
.LBB790_97:
	s_or_b64 exec, exec, s[18:19]
.LBB790_98:
	v_mul_lo_u32 v1, v11, s12
	v_mul_lo_u32 v30, v10, s13
	v_mad_u64_u32 v[28:29], s[18:19], v10, s12, 0
	v_add3_u32 v29, v29, v30, v1
	v_mov_b64_e32 v[64:65], 0
	s_and_b64 vcc, exec, s[2:3]
	v_lshl_add_u64 v[28:29], v[28:29], 3, s[14:15]
	v_mov_b64_e32 v[62:63], v[64:65]
	s_cbranch_vccnz .LBB790_107
; %bb.99:
	global_load_dwordx2 v[30:31], v[26:27], off
	global_load_dwordx2 v[32:33], v[28:29], off
	v_mov_b64_e32 v[62:63], 1
	s_waitcnt vmcnt(0)
	v_cmp_eq_f64_e32 vcc, v[30:31], v[32:33]
	s_and_saveexec_b64 s[18:19], vcc
	s_cbranch_execz .LBB790_106
; %bb.100:
	s_add_u32 s24, s12, -1
	v_lshl_add_u64 v[30:31], v[28:29], 0, 8
	v_lshl_add_u64 v[26:27], v[26:27], 0, 8
	s_addc_u32 s25, s13, -1
	s_mov_b64 s[26:27], 0
	s_mov_b64 s[30:31], 0
                                        ; implicit-def: $sgpr28_sgpr29
	s_branch .LBB790_103
.LBB790_101:                            ;   in Loop: Header=BB790_103 Depth=1
	global_load_dwordx2 v[32:33], v[26:27], off
	global_load_dwordx2 v[34:35], v[30:31], off
	s_add_u32 s30, s30, 1
	s_addc_u32 s31, s31, 0
	s_andn2_b64 s[28:29], s[28:29], exec
	v_lshl_add_u64 v[30:31], v[30:31], 0, 8
	v_lshl_add_u64 v[26:27], v[26:27], 0, 8
	s_waitcnt vmcnt(0)
	v_cmp_neq_f64_e32 vcc, v[32:33], v[34:35]
	s_and_b64 s[34:35], vcc, exec
	s_or_b64 s[28:29], s[28:29], s[34:35]
.LBB790_102:                            ;   in Loop: Header=BB790_103 Depth=1
	s_and_b64 s[34:35], exec, s[28:29]
	s_or_b64 s[26:27], s[34:35], s[26:27]
	v_mov_b64_e32 v[32:33], s[30:31]
	s_andn2_b64 exec, exec, s[26:27]
	s_cbranch_execz .LBB790_105
.LBB790_103:                            ; =>This Inner Loop Header: Depth=1
	s_or_b64 s[28:29], s[28:29], exec
	s_cmp_eq_u64 s[24:25], s[30:31]
	s_cbranch_scc0 .LBB790_101
; %bb.104:                              ;   in Loop: Header=BB790_103 Depth=1
                                        ; implicit-def: $vgpr30_vgpr31
                                        ; implicit-def: $vgpr26_vgpr27
	s_mov_b64 s[30:31], s[12:13]
	s_branch .LBB790_102
.LBB790_105:
	s_or_b64 exec, exec, s[26:27]
	v_cmp_gt_i64_e32 vcc, s[12:13], v[32:33]
	s_mov_b32 s7, 0
	v_mov_b32_e32 v63, s7
	v_cndmask_b32_e64 v62, 0, 1, vcc
.LBB790_106:
	s_or_b64 exec, exec, s[18:19]
.LBB790_107:
	v_mul_lo_u32 v1, v9, s12
	v_mul_lo_u32 v30, v8, s13
	v_mad_u64_u32 v[26:27], s[18:19], v8, s12, 0
	v_add3_u32 v27, v27, v30, v1
	s_and_b64 vcc, exec, s[2:3]
	v_lshl_add_u64 v[26:27], v[26:27], 3, s[14:15]
	s_cbranch_vccnz .LBB790_116
; %bb.108:
	global_load_dwordx2 v[30:31], v[28:29], off
	global_load_dwordx2 v[32:33], v[26:27], off
	v_mov_b64_e32 v[64:65], 1
	s_waitcnt vmcnt(0)
	v_cmp_eq_f64_e32 vcc, v[30:31], v[32:33]
	s_and_saveexec_b64 s[18:19], vcc
	s_cbranch_execz .LBB790_115
; %bb.109:
	s_add_u32 s24, s12, -1
	v_lshl_add_u64 v[30:31], v[26:27], 0, 8
	v_lshl_add_u64 v[28:29], v[28:29], 0, 8
	s_addc_u32 s25, s13, -1
	s_mov_b64 s[26:27], 0
	s_mov_b64 s[30:31], 0
                                        ; implicit-def: $sgpr28_sgpr29
	s_branch .LBB790_112
.LBB790_110:                            ;   in Loop: Header=BB790_112 Depth=1
	global_load_dwordx2 v[32:33], v[28:29], off
	global_load_dwordx2 v[34:35], v[30:31], off
	s_add_u32 s30, s30, 1
	s_addc_u32 s31, s31, 0
	s_andn2_b64 s[28:29], s[28:29], exec
	v_lshl_add_u64 v[30:31], v[30:31], 0, 8
	v_lshl_add_u64 v[28:29], v[28:29], 0, 8
	s_waitcnt vmcnt(0)
	v_cmp_neq_f64_e32 vcc, v[32:33], v[34:35]
	s_and_b64 s[34:35], vcc, exec
	s_or_b64 s[28:29], s[28:29], s[34:35]
.LBB790_111:                            ;   in Loop: Header=BB790_112 Depth=1
	s_and_b64 s[34:35], exec, s[28:29]
	s_or_b64 s[26:27], s[34:35], s[26:27]
	v_mov_b64_e32 v[32:33], s[30:31]
	s_andn2_b64 exec, exec, s[26:27]
	s_cbranch_execz .LBB790_114
.LBB790_112:                            ; =>This Inner Loop Header: Depth=1
	s_or_b64 s[28:29], s[28:29], exec
	s_cmp_eq_u64 s[24:25], s[30:31]
	s_cbranch_scc0 .LBB790_110
; %bb.113:                              ;   in Loop: Header=BB790_112 Depth=1
                                        ; implicit-def: $vgpr30_vgpr31
                                        ; implicit-def: $vgpr28_vgpr29
	s_mov_b64 s[30:31], s[12:13]
	s_branch .LBB790_111
.LBB790_114:
	s_or_b64 exec, exec, s[26:27]
	v_cmp_gt_i64_e32 vcc, s[12:13], v[32:33]
	s_mov_b32 s7, 0
	v_mov_b32_e32 v65, s7
	v_cndmask_b32_e64 v64, 0, 1, vcc
.LBB790_115:
	s_or_b64 exec, exec, s[18:19]
.LBB790_116:
	v_mul_lo_u32 v1, v7, s12
	v_mul_lo_u32 v30, v6, s13
	v_mad_u64_u32 v[28:29], s[18:19], v6, s12, 0
	v_add3_u32 v29, v29, v30, v1
	v_mov_b64_e32 v[68:69], 0
	s_and_b64 vcc, exec, s[2:3]
	v_lshl_add_u64 v[28:29], v[28:29], 3, s[14:15]
	v_mov_b64_e32 v[66:67], v[68:69]
	s_cbranch_vccnz .LBB790_125
; %bb.117:
	global_load_dwordx2 v[30:31], v[26:27], off
	global_load_dwordx2 v[32:33], v[28:29], off
	v_mov_b64_e32 v[66:67], 1
	s_waitcnt vmcnt(0)
	v_cmp_eq_f64_e32 vcc, v[30:31], v[32:33]
	s_and_saveexec_b64 s[18:19], vcc
	s_cbranch_execz .LBB790_124
; %bb.118:
	s_add_u32 s24, s12, -1
	v_lshl_add_u64 v[30:31], v[28:29], 0, 8
	v_lshl_add_u64 v[26:27], v[26:27], 0, 8
	s_addc_u32 s25, s13, -1
	s_mov_b64 s[26:27], 0
	s_mov_b64 s[30:31], 0
                                        ; implicit-def: $sgpr28_sgpr29
	s_branch .LBB790_121
.LBB790_119:                            ;   in Loop: Header=BB790_121 Depth=1
	global_load_dwordx2 v[32:33], v[26:27], off
	global_load_dwordx2 v[34:35], v[30:31], off
	s_add_u32 s30, s30, 1
	s_addc_u32 s31, s31, 0
	s_andn2_b64 s[28:29], s[28:29], exec
	v_lshl_add_u64 v[30:31], v[30:31], 0, 8
	v_lshl_add_u64 v[26:27], v[26:27], 0, 8
	s_waitcnt vmcnt(0)
	v_cmp_neq_f64_e32 vcc, v[32:33], v[34:35]
	s_and_b64 s[34:35], vcc, exec
	s_or_b64 s[28:29], s[28:29], s[34:35]
.LBB790_120:                            ;   in Loop: Header=BB790_121 Depth=1
	s_and_b64 s[34:35], exec, s[28:29]
	s_or_b64 s[26:27], s[34:35], s[26:27]
	v_mov_b64_e32 v[32:33], s[30:31]
	s_andn2_b64 exec, exec, s[26:27]
	s_cbranch_execz .LBB790_123
.LBB790_121:                            ; =>This Inner Loop Header: Depth=1
	s_or_b64 s[28:29], s[28:29], exec
	s_cmp_eq_u64 s[24:25], s[30:31]
	s_cbranch_scc0 .LBB790_119
; %bb.122:                              ;   in Loop: Header=BB790_121 Depth=1
                                        ; implicit-def: $vgpr30_vgpr31
                                        ; implicit-def: $vgpr26_vgpr27
	s_mov_b64 s[30:31], s[12:13]
	s_branch .LBB790_120
.LBB790_123:
	s_or_b64 exec, exec, s[26:27]
	v_cmp_gt_i64_e32 vcc, s[12:13], v[32:33]
	s_mov_b32 s7, 0
	v_mov_b32_e32 v67, s7
	v_cndmask_b32_e64 v66, 0, 1, vcc
.LBB790_124:
	s_or_b64 exec, exec, s[18:19]
.LBB790_125:
	v_mul_lo_u32 v1, v5, s12
	v_mul_lo_u32 v30, v4, s13
	v_mad_u64_u32 v[26:27], s[18:19], v4, s12, 0
	v_add3_u32 v27, v27, v30, v1
	s_and_b64 vcc, exec, s[2:3]
	v_lshl_add_u64 v[26:27], v[26:27], 3, s[14:15]
	s_cbranch_vccnz .LBB790_134
; %bb.126:
	global_load_dwordx2 v[30:31], v[28:29], off
	global_load_dwordx2 v[32:33], v[26:27], off
	v_mov_b64_e32 v[68:69], 1
	s_waitcnt vmcnt(0)
	v_cmp_eq_f64_e32 vcc, v[30:31], v[32:33]
	s_and_saveexec_b64 s[18:19], vcc
	s_cbranch_execz .LBB790_133
; %bb.127:
	s_add_u32 s24, s12, -1
	v_lshl_add_u64 v[30:31], v[26:27], 0, 8
	v_lshl_add_u64 v[28:29], v[28:29], 0, 8
	s_addc_u32 s25, s13, -1
	s_mov_b64 s[26:27], 0
	s_mov_b64 s[30:31], 0
                                        ; implicit-def: $sgpr28_sgpr29
	s_branch .LBB790_130
.LBB790_128:                            ;   in Loop: Header=BB790_130 Depth=1
	global_load_dwordx2 v[32:33], v[28:29], off
	global_load_dwordx2 v[34:35], v[30:31], off
	s_add_u32 s30, s30, 1
	s_addc_u32 s31, s31, 0
	s_andn2_b64 s[28:29], s[28:29], exec
	v_lshl_add_u64 v[30:31], v[30:31], 0, 8
	v_lshl_add_u64 v[28:29], v[28:29], 0, 8
	s_waitcnt vmcnt(0)
	v_cmp_neq_f64_e32 vcc, v[32:33], v[34:35]
	s_and_b64 s[34:35], vcc, exec
	s_or_b64 s[28:29], s[28:29], s[34:35]
.LBB790_129:                            ;   in Loop: Header=BB790_130 Depth=1
	s_and_b64 s[34:35], exec, s[28:29]
	s_or_b64 s[26:27], s[34:35], s[26:27]
	v_mov_b64_e32 v[32:33], s[30:31]
	s_andn2_b64 exec, exec, s[26:27]
	s_cbranch_execz .LBB790_132
.LBB790_130:                            ; =>This Inner Loop Header: Depth=1
	s_or_b64 s[28:29], s[28:29], exec
	s_cmp_eq_u64 s[24:25], s[30:31]
	s_cbranch_scc0 .LBB790_128
; %bb.131:                              ;   in Loop: Header=BB790_130 Depth=1
                                        ; implicit-def: $vgpr30_vgpr31
                                        ; implicit-def: $vgpr28_vgpr29
	s_mov_b64 s[30:31], s[12:13]
	s_branch .LBB790_129
.LBB790_132:
	s_or_b64 exec, exec, s[26:27]
	v_cmp_gt_i64_e32 vcc, s[12:13], v[32:33]
	s_mov_b32 s7, 0
	v_mov_b32_e32 v69, s7
	v_cndmask_b32_e64 v68, 0, 1, vcc
.LBB790_133:
	s_or_b64 exec, exec, s[18:19]
.LBB790_134:
	s_and_b64 vcc, exec, s[2:3]
	s_cbranch_vccnz .LBB790_141
; %bb.135:
	v_mul_lo_u32 v1, v3, s12
	v_mul_lo_u32 v30, v2, s13
	v_mad_u64_u32 v[28:29], s[18:19], v2, s12, 0
	v_add3_u32 v29, v29, v30, v1
	v_lshl_add_u64 v[28:29], v[28:29], 3, s[14:15]
	global_load_dwordx2 v[30:31], v[26:27], off
	global_load_dwordx2 v[32:33], v[28:29], off
	v_mov_b64_e32 v[70:71], 1
	s_waitcnt vmcnt(0)
	v_cmp_eq_f64_e32 vcc, v[30:31], v[32:33]
	s_and_saveexec_b64 s[18:19], vcc
	s_cbranch_execz .LBB790_143
; %bb.136:
	s_add_u32 s24, s12, -1
	v_lshl_add_u64 v[28:29], v[28:29], 0, 8
	v_lshl_add_u64 v[26:27], v[26:27], 0, 8
	s_addc_u32 s25, s13, -1
	s_mov_b64 s[26:27], 0
	s_mov_b64 s[30:31], 0
                                        ; implicit-def: $sgpr28_sgpr29
	s_branch .LBB790_139
.LBB790_137:                            ;   in Loop: Header=BB790_139 Depth=1
	global_load_dwordx2 v[30:31], v[26:27], off
	global_load_dwordx2 v[32:33], v[28:29], off
	s_add_u32 s30, s30, 1
	s_addc_u32 s31, s31, 0
	s_andn2_b64 s[28:29], s[28:29], exec
	v_lshl_add_u64 v[28:29], v[28:29], 0, 8
	v_lshl_add_u64 v[26:27], v[26:27], 0, 8
	s_waitcnt vmcnt(0)
	v_cmp_neq_f64_e32 vcc, v[30:31], v[32:33]
	s_and_b64 s[34:35], vcc, exec
	s_or_b64 s[28:29], s[28:29], s[34:35]
.LBB790_138:                            ;   in Loop: Header=BB790_139 Depth=1
	s_and_b64 s[34:35], exec, s[28:29]
	s_or_b64 s[26:27], s[34:35], s[26:27]
	v_mov_b64_e32 v[30:31], s[30:31]
	s_andn2_b64 exec, exec, s[26:27]
	s_cbranch_execz .LBB790_142
.LBB790_139:                            ; =>This Inner Loop Header: Depth=1
	s_or_b64 s[28:29], s[28:29], exec
	s_cmp_eq_u64 s[24:25], s[30:31]
	s_cbranch_scc0 .LBB790_137
; %bb.140:                              ;   in Loop: Header=BB790_139 Depth=1
                                        ; implicit-def: $vgpr28_vgpr29
                                        ; implicit-def: $vgpr26_vgpr27
	s_mov_b64 s[30:31], s[12:13]
	s_branch .LBB790_138
.LBB790_141:
	v_mov_b64_e32 v[70:71], 0
	s_branch .LBB790_144
.LBB790_142:
	s_or_b64 exec, exec, s[26:27]
	v_cmp_gt_i64_e32 vcc, s[12:13], v[30:31]
	s_mov_b32 s7, 0
	v_mov_b32_e32 v71, s7
	v_cndmask_b32_e64 v70, 0, 1, vcc
.LBB790_143:
	s_or_b64 exec, exec, s[18:19]
.LBB790_144:
	v_cmp_ne_u32_e32 vcc, 0, v0
	s_waitcnt lgkmcnt(0)
	v_mov_b64_e32 v[26:27], s[20:21]
	s_waitcnt lgkmcnt(0)
	; wave barrier
	s_and_saveexec_b64 s[18:19], vcc
	s_cbranch_execz .LBB790_146
; %bb.145:
	v_add_u32_e32 v1, -8, v48
	ds_read_b64 v[26:27], v1
.LBB790_146:
	s_or_b64 exec, exec, s[18:19]
	s_mov_b64 s[26:27], 0
	s_and_b64 vcc, exec, s[2:3]
	s_mov_b64 s[24:25], 0
	s_cbranch_vccnz .LBB790_155
; %bb.147:
	v_mul_lo_u32 v1, v3, s12
	v_mul_lo_u32 v30, v2, s13
	v_mad_u64_u32 v[28:29], s[2:3], v2, s12, 0
	v_add3_u32 v29, v29, v30, v1
	s_waitcnt lgkmcnt(0)
	v_mul_lo_u32 v1, v27, s12
	v_mul_lo_u32 v30, v26, s13
	v_mad_u64_u32 v[26:27], s[2:3], v26, s12, 0
	v_add3_u32 v27, v27, v30, v1
	v_lshl_add_u64 v[28:29], v[28:29], 3, s[14:15]
	v_lshl_add_u64 v[26:27], v[26:27], 3, s[14:15]
	global_load_dwordx2 v[30:31], v[28:29], off
	global_load_dwordx2 v[32:33], v[26:27], off
	s_mov_b64 s[24:25], -1
	s_waitcnt vmcnt(0)
	v_cmp_eq_f64_e32 vcc, v[30:31], v[32:33]
	s_and_saveexec_b64 s[2:3], vcc
	s_cbranch_execz .LBB790_154
; %bb.148:
	s_add_u32 s18, s12, -1
	v_lshl_add_u64 v[26:27], v[26:27], 0, 8
	v_lshl_add_u64 v[28:29], v[28:29], 0, 8
	s_addc_u32 s19, s13, -1
	s_mov_b64 s[24:25], 0
	s_mov_b64 s[30:31], 0
                                        ; implicit-def: $sgpr28_sgpr29
	s_branch .LBB790_151
.LBB790_149:                            ;   in Loop: Header=BB790_151 Depth=1
	global_load_dwordx2 v[30:31], v[28:29], off
	global_load_dwordx2 v[32:33], v[26:27], off
	s_add_u32 s30, s30, 1
	s_addc_u32 s31, s31, 0
	s_andn2_b64 s[28:29], s[28:29], exec
	v_lshl_add_u64 v[26:27], v[26:27], 0, 8
	v_lshl_add_u64 v[28:29], v[28:29], 0, 8
	s_waitcnt vmcnt(0)
	v_cmp_neq_f64_e32 vcc, v[30:31], v[32:33]
	s_and_b64 s[34:35], vcc, exec
	s_or_b64 s[28:29], s[28:29], s[34:35]
.LBB790_150:                            ;   in Loop: Header=BB790_151 Depth=1
	s_and_b64 s[34:35], exec, s[28:29]
	s_or_b64 s[24:25], s[34:35], s[24:25]
	v_mov_b64_e32 v[30:31], s[30:31]
	s_andn2_b64 exec, exec, s[24:25]
	s_cbranch_execz .LBB790_153
.LBB790_151:                            ; =>This Inner Loop Header: Depth=1
	s_or_b64 s[28:29], s[28:29], exec
	s_cmp_eq_u64 s[18:19], s[30:31]
	s_cbranch_scc0 .LBB790_149
; %bb.152:                              ;   in Loop: Header=BB790_151 Depth=1
                                        ; implicit-def: $vgpr26_vgpr27
                                        ; implicit-def: $vgpr28_vgpr29
	s_mov_b64 s[30:31], s[12:13]
	s_branch .LBB790_150
.LBB790_153:
	s_or_b64 exec, exec, s[24:25]
	v_cmp_gt_i64_e32 vcc, s[12:13], v[30:31]
	s_orn2_b64 s[24:25], vcc, exec
.LBB790_154:
	s_or_b64 exec, exec, s[2:3]
.LBB790_155:
	s_mov_b64 s[18:19], -1
	s_and_b64 vcc, exec, s[26:27]
	s_cbranch_vccz .LBB790_41
.LBB790_156:
	s_mul_i32 s7, s22, 0xfffffcc0
	s_add_i32 s7, s7, s10
	s_waitcnt lgkmcnt(0)
	v_mad_u32_u24 v26, v0, 13, 12
	v_cmp_gt_i64_e64 s[2:3], s[12:13], 0
	v_cmp_gt_u32_e32 vcc, s7, v26
	v_mul_u32_u24_e32 v1, 13, v0
	v_cndmask_b32_e64 v26, 0, 1, s[2:3]
	v_cmp_ne_u32_e64 s[2:3], 1, v26
	v_mov_b64_e32 v[50:51], v[44:45]
	ds_write_b64 v48, v[44:45]
	s_and_saveexec_b64 s[22:23], vcc
	s_cbranch_execz .LBB790_167
; %bb.157:
	s_and_b64 vcc, exec, s[2:3]
	s_cbranch_vccnz .LBB790_164
; %bb.158:
	v_mul_lo_u32 v28, v45, s12
	v_mul_lo_u32 v29, v44, s13
	v_mad_u64_u32 v[26:27], s[24:25], v44, s12, 0
	v_add3_u32 v27, v27, v29, v28
	v_mul_lo_u32 v28, v25, s12
	v_mul_lo_u32 v29, v24, s13
	v_mad_u64_u32 v[30:31], s[24:25], v24, s12, 0
	v_add3_u32 v31, v31, v29, v28
	v_lshl_add_u64 v[28:29], v[26:27], 3, s[14:15]
	v_lshl_add_u64 v[26:27], v[30:31], 3, s[14:15]
	global_load_dwordx2 v[30:31], v[28:29], off
	global_load_dwordx2 v[32:33], v[26:27], off
	v_mov_b64_e32 v[50:51], 1
	s_waitcnt vmcnt(0)
	v_cmp_eq_f64_e32 vcc, v[30:31], v[32:33]
	s_and_saveexec_b64 s[24:25], vcc
	s_cbranch_execz .LBB790_166
; %bb.159:
	s_add_u32 s26, s12, -1
	v_lshl_add_u64 v[26:27], v[26:27], 0, 8
	v_lshl_add_u64 v[28:29], v[28:29], 0, 8
	s_addc_u32 s27, s13, -1
	s_mov_b64 s[28:29], 0
	s_mov_b64 s[34:35], 0
                                        ; implicit-def: $sgpr30_sgpr31
	s_branch .LBB790_162
.LBB790_160:                            ;   in Loop: Header=BB790_162 Depth=1
	global_load_dwordx2 v[30:31], v[28:29], off
	global_load_dwordx2 v[32:33], v[26:27], off
	s_add_u32 s34, s34, 1
	s_addc_u32 s35, s35, 0
	s_andn2_b64 s[30:31], s[30:31], exec
	v_lshl_add_u64 v[26:27], v[26:27], 0, 8
	v_lshl_add_u64 v[28:29], v[28:29], 0, 8
	s_waitcnt vmcnt(0)
	v_cmp_neq_f64_e32 vcc, v[30:31], v[32:33]
	s_and_b64 s[36:37], vcc, exec
	s_or_b64 s[30:31], s[30:31], s[36:37]
.LBB790_161:                            ;   in Loop: Header=BB790_162 Depth=1
	s_and_b64 s[36:37], exec, s[30:31]
	s_or_b64 s[28:29], s[36:37], s[28:29]
	v_mov_b64_e32 v[30:31], s[34:35]
	s_andn2_b64 exec, exec, s[28:29]
	s_cbranch_execz .LBB790_165
.LBB790_162:                            ; =>This Inner Loop Header: Depth=1
	s_or_b64 s[30:31], s[30:31], exec
	s_cmp_eq_u64 s[26:27], s[34:35]
	s_cbranch_scc0 .LBB790_160
; %bb.163:                              ;   in Loop: Header=BB790_162 Depth=1
                                        ; implicit-def: $vgpr26_vgpr27
                                        ; implicit-def: $vgpr28_vgpr29
	s_mov_b64 s[34:35], s[12:13]
	s_branch .LBB790_161
.LBB790_164:
	v_mov_b64_e32 v[50:51], 0
	s_branch .LBB790_167
.LBB790_165:
	s_or_b64 exec, exec, s[28:29]
	v_cmp_gt_i64_e32 vcc, s[12:13], v[30:31]
	s_mov_b32 s26, 0
	v_mov_b32_e32 v51, s26
	v_cndmask_b32_e64 v50, 0, 1, vcc
.LBB790_166:
	s_or_b64 exec, exec, s[24:25]
.LBB790_167:
	s_or_b64 exec, exec, s[22:23]
	v_add_u32_e32 v26, 11, v1
	v_cmp_gt_u32_e32 vcc, s7, v26
	v_mov_b64_e32 v[52:53], v[24:25]
	s_and_saveexec_b64 s[22:23], vcc
	s_cbranch_execz .LBB790_178
; %bb.168:
	s_and_b64 vcc, exec, s[2:3]
	s_cbranch_vccnz .LBB790_175
; %bb.169:
	v_mul_lo_u32 v28, v25, s12
	v_mul_lo_u32 v29, v24, s13
	v_mad_u64_u32 v[26:27], s[24:25], v24, s12, 0
	v_add3_u32 v27, v27, v29, v28
	v_mul_lo_u32 v28, v23, s12
	v_mul_lo_u32 v29, v22, s13
	v_mad_u64_u32 v[30:31], s[24:25], v22, s12, 0
	v_add3_u32 v31, v31, v29, v28
	v_lshl_add_u64 v[28:29], v[26:27], 3, s[14:15]
	v_lshl_add_u64 v[26:27], v[30:31], 3, s[14:15]
	global_load_dwordx2 v[30:31], v[28:29], off
	global_load_dwordx2 v[32:33], v[26:27], off
	v_mov_b64_e32 v[52:53], 1
	s_waitcnt vmcnt(0)
	v_cmp_eq_f64_e32 vcc, v[30:31], v[32:33]
	s_and_saveexec_b64 s[24:25], vcc
	s_cbranch_execz .LBB790_177
; %bb.170:
	s_add_u32 s26, s12, -1
	v_lshl_add_u64 v[26:27], v[26:27], 0, 8
	v_lshl_add_u64 v[28:29], v[28:29], 0, 8
	s_addc_u32 s27, s13, -1
	s_mov_b64 s[28:29], 0
	s_mov_b64 s[34:35], 0
                                        ; implicit-def: $sgpr30_sgpr31
	s_branch .LBB790_173
.LBB790_171:                            ;   in Loop: Header=BB790_173 Depth=1
	global_load_dwordx2 v[30:31], v[28:29], off
	global_load_dwordx2 v[32:33], v[26:27], off
	s_add_u32 s34, s34, 1
	s_addc_u32 s35, s35, 0
	s_andn2_b64 s[30:31], s[30:31], exec
	v_lshl_add_u64 v[26:27], v[26:27], 0, 8
	v_lshl_add_u64 v[28:29], v[28:29], 0, 8
	s_waitcnt vmcnt(0)
	v_cmp_neq_f64_e32 vcc, v[30:31], v[32:33]
	s_and_b64 s[36:37], vcc, exec
	s_or_b64 s[30:31], s[30:31], s[36:37]
.LBB790_172:                            ;   in Loop: Header=BB790_173 Depth=1
	s_and_b64 s[36:37], exec, s[30:31]
	s_or_b64 s[28:29], s[36:37], s[28:29]
	v_mov_b64_e32 v[30:31], s[34:35]
	s_andn2_b64 exec, exec, s[28:29]
	s_cbranch_execz .LBB790_176
.LBB790_173:                            ; =>This Inner Loop Header: Depth=1
	s_or_b64 s[30:31], s[30:31], exec
	s_cmp_eq_u64 s[26:27], s[34:35]
	s_cbranch_scc0 .LBB790_171
; %bb.174:                              ;   in Loop: Header=BB790_173 Depth=1
                                        ; implicit-def: $vgpr26_vgpr27
                                        ; implicit-def: $vgpr28_vgpr29
	s_mov_b64 s[34:35], s[12:13]
	s_branch .LBB790_172
.LBB790_175:
	v_mov_b64_e32 v[52:53], 0
	s_branch .LBB790_178
.LBB790_176:
	s_or_b64 exec, exec, s[28:29]
	v_cmp_gt_i64_e32 vcc, s[12:13], v[30:31]
	s_mov_b32 s26, 0
	v_mov_b32_e32 v53, s26
	v_cndmask_b32_e64 v52, 0, 1, vcc
.LBB790_177:
	s_or_b64 exec, exec, s[24:25]
.LBB790_178:
	s_or_b64 exec, exec, s[22:23]
	v_add_u32_e32 v26, 10, v1
	v_cmp_gt_u32_e32 vcc, s7, v26
	v_mov_b64_e32 v[46:47], v[22:23]
	s_and_saveexec_b64 s[22:23], vcc
	s_cbranch_execz .LBB790_189
; %bb.179:
	s_and_b64 vcc, exec, s[2:3]
	s_cbranch_vccnz .LBB790_186
; %bb.180:
	v_mul_lo_u32 v28, v23, s12
	v_mul_lo_u32 v29, v22, s13
	v_mad_u64_u32 v[26:27], s[24:25], v22, s12, 0
	v_add3_u32 v27, v27, v29, v28
	v_mul_lo_u32 v28, v21, s12
	v_mul_lo_u32 v29, v20, s13
	v_mad_u64_u32 v[30:31], s[24:25], v20, s12, 0
	v_add3_u32 v31, v31, v29, v28
	v_lshl_add_u64 v[28:29], v[26:27], 3, s[14:15]
	v_lshl_add_u64 v[26:27], v[30:31], 3, s[14:15]
	global_load_dwordx2 v[30:31], v[28:29], off
	global_load_dwordx2 v[32:33], v[26:27], off
	v_mov_b64_e32 v[46:47], 1
	s_waitcnt vmcnt(0)
	v_cmp_eq_f64_e32 vcc, v[30:31], v[32:33]
	s_and_saveexec_b64 s[24:25], vcc
	s_cbranch_execz .LBB790_188
; %bb.181:
	s_add_u32 s26, s12, -1
	v_lshl_add_u64 v[26:27], v[26:27], 0, 8
	v_lshl_add_u64 v[28:29], v[28:29], 0, 8
	s_addc_u32 s27, s13, -1
	s_mov_b64 s[28:29], 0
	s_mov_b64 s[34:35], 0
                                        ; implicit-def: $sgpr30_sgpr31
	s_branch .LBB790_184
.LBB790_182:                            ;   in Loop: Header=BB790_184 Depth=1
	global_load_dwordx2 v[30:31], v[28:29], off
	global_load_dwordx2 v[32:33], v[26:27], off
	s_add_u32 s34, s34, 1
	s_addc_u32 s35, s35, 0
	s_andn2_b64 s[30:31], s[30:31], exec
	v_lshl_add_u64 v[26:27], v[26:27], 0, 8
	v_lshl_add_u64 v[28:29], v[28:29], 0, 8
	s_waitcnt vmcnt(0)
	v_cmp_neq_f64_e32 vcc, v[30:31], v[32:33]
	s_and_b64 s[36:37], vcc, exec
	s_or_b64 s[30:31], s[30:31], s[36:37]
.LBB790_183:                            ;   in Loop: Header=BB790_184 Depth=1
	s_and_b64 s[36:37], exec, s[30:31]
	s_or_b64 s[28:29], s[36:37], s[28:29]
	v_mov_b64_e32 v[30:31], s[34:35]
	s_andn2_b64 exec, exec, s[28:29]
	s_cbranch_execz .LBB790_187
.LBB790_184:                            ; =>This Inner Loop Header: Depth=1
	s_or_b64 s[30:31], s[30:31], exec
	s_cmp_eq_u64 s[26:27], s[34:35]
	s_cbranch_scc0 .LBB790_182
; %bb.185:                              ;   in Loop: Header=BB790_184 Depth=1
                                        ; implicit-def: $vgpr26_vgpr27
                                        ; implicit-def: $vgpr28_vgpr29
	s_mov_b64 s[34:35], s[12:13]
	s_branch .LBB790_183
.LBB790_186:
	v_mov_b64_e32 v[46:47], 0
	s_branch .LBB790_189
.LBB790_187:
	s_or_b64 exec, exec, s[28:29]
	v_cmp_gt_i64_e32 vcc, s[12:13], v[30:31]
	s_mov_b32 s26, 0
	v_mov_b32_e32 v47, s26
	v_cndmask_b32_e64 v46, 0, 1, vcc
.LBB790_188:
	s_or_b64 exec, exec, s[24:25]
.LBB790_189:
	s_or_b64 exec, exec, s[22:23]
	v_add_u32_e32 v26, 9, v1
	v_cmp_gt_u32_e32 vcc, s7, v26
	v_mov_b64_e32 v[54:55], v[20:21]
	s_and_saveexec_b64 s[22:23], vcc
	s_cbranch_execz .LBB790_200
; %bb.190:
	s_and_b64 vcc, exec, s[2:3]
	s_cbranch_vccnz .LBB790_197
; %bb.191:
	v_mul_lo_u32 v28, v21, s12
	v_mul_lo_u32 v29, v20, s13
	v_mad_u64_u32 v[26:27], s[24:25], v20, s12, 0
	v_add3_u32 v27, v27, v29, v28
	v_mul_lo_u32 v28, v19, s12
	v_mul_lo_u32 v29, v18, s13
	v_mad_u64_u32 v[30:31], s[24:25], v18, s12, 0
	v_add3_u32 v31, v31, v29, v28
	v_lshl_add_u64 v[28:29], v[26:27], 3, s[14:15]
	v_lshl_add_u64 v[26:27], v[30:31], 3, s[14:15]
	global_load_dwordx2 v[30:31], v[28:29], off
	global_load_dwordx2 v[32:33], v[26:27], off
	v_mov_b64_e32 v[54:55], 1
	s_waitcnt vmcnt(0)
	v_cmp_eq_f64_e32 vcc, v[30:31], v[32:33]
	s_and_saveexec_b64 s[24:25], vcc
	s_cbranch_execz .LBB790_199
; %bb.192:
	s_add_u32 s26, s12, -1
	v_lshl_add_u64 v[26:27], v[26:27], 0, 8
	v_lshl_add_u64 v[28:29], v[28:29], 0, 8
	s_addc_u32 s27, s13, -1
	s_mov_b64 s[28:29], 0
	s_mov_b64 s[34:35], 0
                                        ; implicit-def: $sgpr30_sgpr31
	s_branch .LBB790_195
.LBB790_193:                            ;   in Loop: Header=BB790_195 Depth=1
	global_load_dwordx2 v[30:31], v[28:29], off
	global_load_dwordx2 v[32:33], v[26:27], off
	s_add_u32 s34, s34, 1
	s_addc_u32 s35, s35, 0
	s_andn2_b64 s[30:31], s[30:31], exec
	v_lshl_add_u64 v[26:27], v[26:27], 0, 8
	v_lshl_add_u64 v[28:29], v[28:29], 0, 8
	s_waitcnt vmcnt(0)
	v_cmp_neq_f64_e32 vcc, v[30:31], v[32:33]
	s_and_b64 s[36:37], vcc, exec
	s_or_b64 s[30:31], s[30:31], s[36:37]
.LBB790_194:                            ;   in Loop: Header=BB790_195 Depth=1
	s_and_b64 s[36:37], exec, s[30:31]
	s_or_b64 s[28:29], s[36:37], s[28:29]
	v_mov_b64_e32 v[30:31], s[34:35]
	s_andn2_b64 exec, exec, s[28:29]
	s_cbranch_execz .LBB790_198
.LBB790_195:                            ; =>This Inner Loop Header: Depth=1
	s_or_b64 s[30:31], s[30:31], exec
	s_cmp_eq_u64 s[26:27], s[34:35]
	s_cbranch_scc0 .LBB790_193
; %bb.196:                              ;   in Loop: Header=BB790_195 Depth=1
                                        ; implicit-def: $vgpr26_vgpr27
                                        ; implicit-def: $vgpr28_vgpr29
	s_mov_b64 s[34:35], s[12:13]
	s_branch .LBB790_194
.LBB790_197:
	v_mov_b64_e32 v[54:55], 0
	s_branch .LBB790_200
.LBB790_198:
	s_or_b64 exec, exec, s[28:29]
	v_cmp_gt_i64_e32 vcc, s[12:13], v[30:31]
	s_mov_b32 s26, 0
	v_mov_b32_e32 v55, s26
	v_cndmask_b32_e64 v54, 0, 1, vcc
.LBB790_199:
	s_or_b64 exec, exec, s[24:25]
.LBB790_200:
	s_or_b64 exec, exec, s[22:23]
	v_add_u32_e32 v26, 8, v1
	v_cmp_gt_u32_e32 vcc, s7, v26
	v_mov_b64_e32 v[56:57], v[18:19]
	s_and_saveexec_b64 s[22:23], vcc
	s_cbranch_execz .LBB790_211
; %bb.201:
	s_and_b64 vcc, exec, s[2:3]
	s_cbranch_vccnz .LBB790_208
; %bb.202:
	v_mul_lo_u32 v28, v19, s12
	v_mul_lo_u32 v29, v18, s13
	v_mad_u64_u32 v[26:27], s[24:25], v18, s12, 0
	v_add3_u32 v27, v27, v29, v28
	v_mul_lo_u32 v28, v17, s12
	v_mul_lo_u32 v29, v16, s13
	v_mad_u64_u32 v[30:31], s[24:25], v16, s12, 0
	v_add3_u32 v31, v31, v29, v28
	v_lshl_add_u64 v[28:29], v[26:27], 3, s[14:15]
	v_lshl_add_u64 v[26:27], v[30:31], 3, s[14:15]
	global_load_dwordx2 v[30:31], v[28:29], off
	global_load_dwordx2 v[32:33], v[26:27], off
	v_mov_b64_e32 v[56:57], 1
	s_waitcnt vmcnt(0)
	v_cmp_eq_f64_e32 vcc, v[30:31], v[32:33]
	s_and_saveexec_b64 s[24:25], vcc
	s_cbranch_execz .LBB790_210
; %bb.203:
	s_add_u32 s26, s12, -1
	v_lshl_add_u64 v[26:27], v[26:27], 0, 8
	v_lshl_add_u64 v[28:29], v[28:29], 0, 8
	s_addc_u32 s27, s13, -1
	s_mov_b64 s[28:29], 0
	s_mov_b64 s[34:35], 0
                                        ; implicit-def: $sgpr30_sgpr31
	s_branch .LBB790_206
.LBB790_204:                            ;   in Loop: Header=BB790_206 Depth=1
	global_load_dwordx2 v[30:31], v[28:29], off
	global_load_dwordx2 v[32:33], v[26:27], off
	s_add_u32 s34, s34, 1
	s_addc_u32 s35, s35, 0
	s_andn2_b64 s[30:31], s[30:31], exec
	v_lshl_add_u64 v[26:27], v[26:27], 0, 8
	v_lshl_add_u64 v[28:29], v[28:29], 0, 8
	s_waitcnt vmcnt(0)
	v_cmp_neq_f64_e32 vcc, v[30:31], v[32:33]
	s_and_b64 s[36:37], vcc, exec
	s_or_b64 s[30:31], s[30:31], s[36:37]
.LBB790_205:                            ;   in Loop: Header=BB790_206 Depth=1
	s_and_b64 s[36:37], exec, s[30:31]
	s_or_b64 s[28:29], s[36:37], s[28:29]
	v_mov_b64_e32 v[30:31], s[34:35]
	s_andn2_b64 exec, exec, s[28:29]
	s_cbranch_execz .LBB790_209
.LBB790_206:                            ; =>This Inner Loop Header: Depth=1
	s_or_b64 s[30:31], s[30:31], exec
	s_cmp_eq_u64 s[26:27], s[34:35]
	s_cbranch_scc0 .LBB790_204
; %bb.207:                              ;   in Loop: Header=BB790_206 Depth=1
                                        ; implicit-def: $vgpr26_vgpr27
                                        ; implicit-def: $vgpr28_vgpr29
	s_mov_b64 s[34:35], s[12:13]
	s_branch .LBB790_205
.LBB790_208:
	v_mov_b64_e32 v[56:57], 0
	s_branch .LBB790_211
.LBB790_209:
	s_or_b64 exec, exec, s[28:29]
	v_cmp_gt_i64_e32 vcc, s[12:13], v[30:31]
	s_mov_b32 s26, 0
	v_mov_b32_e32 v57, s26
	v_cndmask_b32_e64 v56, 0, 1, vcc
.LBB790_210:
	s_or_b64 exec, exec, s[24:25]
.LBB790_211:
	s_or_b64 exec, exec, s[22:23]
	v_add_u32_e32 v26, 7, v1
	v_cmp_gt_u32_e32 vcc, s7, v26
	v_mov_b64_e32 v[58:59], v[16:17]
	s_and_saveexec_b64 s[22:23], vcc
	s_cbranch_execz .LBB790_222
; %bb.212:
	s_and_b64 vcc, exec, s[2:3]
	s_cbranch_vccnz .LBB790_219
; %bb.213:
	v_mul_lo_u32 v28, v17, s12
	v_mul_lo_u32 v29, v16, s13
	v_mad_u64_u32 v[26:27], s[24:25], v16, s12, 0
	v_add3_u32 v27, v27, v29, v28
	v_mul_lo_u32 v28, v15, s12
	v_mul_lo_u32 v29, v14, s13
	v_mad_u64_u32 v[30:31], s[24:25], v14, s12, 0
	v_add3_u32 v31, v31, v29, v28
	v_lshl_add_u64 v[28:29], v[26:27], 3, s[14:15]
	v_lshl_add_u64 v[26:27], v[30:31], 3, s[14:15]
	global_load_dwordx2 v[30:31], v[28:29], off
	global_load_dwordx2 v[32:33], v[26:27], off
	v_mov_b64_e32 v[58:59], 1
	s_waitcnt vmcnt(0)
	v_cmp_eq_f64_e32 vcc, v[30:31], v[32:33]
	s_and_saveexec_b64 s[24:25], vcc
	s_cbranch_execz .LBB790_221
; %bb.214:
	s_add_u32 s26, s12, -1
	v_lshl_add_u64 v[26:27], v[26:27], 0, 8
	v_lshl_add_u64 v[28:29], v[28:29], 0, 8
	s_addc_u32 s27, s13, -1
	s_mov_b64 s[28:29], 0
	s_mov_b64 s[34:35], 0
                                        ; implicit-def: $sgpr30_sgpr31
	s_branch .LBB790_217
.LBB790_215:                            ;   in Loop: Header=BB790_217 Depth=1
	global_load_dwordx2 v[30:31], v[28:29], off
	global_load_dwordx2 v[32:33], v[26:27], off
	s_add_u32 s34, s34, 1
	s_addc_u32 s35, s35, 0
	s_andn2_b64 s[30:31], s[30:31], exec
	v_lshl_add_u64 v[26:27], v[26:27], 0, 8
	v_lshl_add_u64 v[28:29], v[28:29], 0, 8
	s_waitcnt vmcnt(0)
	v_cmp_neq_f64_e32 vcc, v[30:31], v[32:33]
	s_and_b64 s[36:37], vcc, exec
	s_or_b64 s[30:31], s[30:31], s[36:37]
.LBB790_216:                            ;   in Loop: Header=BB790_217 Depth=1
	s_and_b64 s[36:37], exec, s[30:31]
	s_or_b64 s[28:29], s[36:37], s[28:29]
	v_mov_b64_e32 v[30:31], s[34:35]
	s_andn2_b64 exec, exec, s[28:29]
	s_cbranch_execz .LBB790_220
.LBB790_217:                            ; =>This Inner Loop Header: Depth=1
	s_or_b64 s[30:31], s[30:31], exec
	s_cmp_eq_u64 s[26:27], s[34:35]
	s_cbranch_scc0 .LBB790_215
; %bb.218:                              ;   in Loop: Header=BB790_217 Depth=1
                                        ; implicit-def: $vgpr26_vgpr27
                                        ; implicit-def: $vgpr28_vgpr29
	s_mov_b64 s[34:35], s[12:13]
	s_branch .LBB790_216
.LBB790_219:
	v_mov_b64_e32 v[58:59], 0
	s_branch .LBB790_222
.LBB790_220:
	s_or_b64 exec, exec, s[28:29]
	v_cmp_gt_i64_e32 vcc, s[12:13], v[30:31]
	s_mov_b32 s26, 0
	v_mov_b32_e32 v59, s26
	v_cndmask_b32_e64 v58, 0, 1, vcc
.LBB790_221:
	s_or_b64 exec, exec, s[24:25]
.LBB790_222:
	s_or_b64 exec, exec, s[22:23]
	v_add_u32_e32 v26, 6, v1
	v_cmp_gt_u32_e32 vcc, s7, v26
	v_mov_b64_e32 v[60:61], v[14:15]
	s_and_saveexec_b64 s[22:23], vcc
	s_cbranch_execz .LBB790_233
; %bb.223:
	s_and_b64 vcc, exec, s[2:3]
	s_cbranch_vccnz .LBB790_230
; %bb.224:
	v_mul_lo_u32 v28, v15, s12
	v_mul_lo_u32 v29, v14, s13
	v_mad_u64_u32 v[26:27], s[24:25], v14, s12, 0
	v_add3_u32 v27, v27, v29, v28
	v_mul_lo_u32 v28, v13, s12
	v_mul_lo_u32 v29, v12, s13
	v_mad_u64_u32 v[30:31], s[24:25], v12, s12, 0
	v_add3_u32 v31, v31, v29, v28
	v_lshl_add_u64 v[28:29], v[26:27], 3, s[14:15]
	v_lshl_add_u64 v[26:27], v[30:31], 3, s[14:15]
	global_load_dwordx2 v[30:31], v[28:29], off
	global_load_dwordx2 v[32:33], v[26:27], off
	v_mov_b64_e32 v[60:61], 1
	s_waitcnt vmcnt(0)
	v_cmp_eq_f64_e32 vcc, v[30:31], v[32:33]
	s_and_saveexec_b64 s[24:25], vcc
	s_cbranch_execz .LBB790_232
; %bb.225:
	s_add_u32 s26, s12, -1
	v_lshl_add_u64 v[26:27], v[26:27], 0, 8
	v_lshl_add_u64 v[28:29], v[28:29], 0, 8
	s_addc_u32 s27, s13, -1
	s_mov_b64 s[28:29], 0
	s_mov_b64 s[34:35], 0
                                        ; implicit-def: $sgpr30_sgpr31
	s_branch .LBB790_228
.LBB790_226:                            ;   in Loop: Header=BB790_228 Depth=1
	global_load_dwordx2 v[30:31], v[28:29], off
	global_load_dwordx2 v[32:33], v[26:27], off
	s_add_u32 s34, s34, 1
	s_addc_u32 s35, s35, 0
	s_andn2_b64 s[30:31], s[30:31], exec
	v_lshl_add_u64 v[26:27], v[26:27], 0, 8
	v_lshl_add_u64 v[28:29], v[28:29], 0, 8
	s_waitcnt vmcnt(0)
	v_cmp_neq_f64_e32 vcc, v[30:31], v[32:33]
	s_and_b64 s[36:37], vcc, exec
	s_or_b64 s[30:31], s[30:31], s[36:37]
.LBB790_227:                            ;   in Loop: Header=BB790_228 Depth=1
	s_and_b64 s[36:37], exec, s[30:31]
	s_or_b64 s[28:29], s[36:37], s[28:29]
	v_mov_b64_e32 v[30:31], s[34:35]
	s_andn2_b64 exec, exec, s[28:29]
	s_cbranch_execz .LBB790_231
.LBB790_228:                            ; =>This Inner Loop Header: Depth=1
	s_or_b64 s[30:31], s[30:31], exec
	s_cmp_eq_u64 s[26:27], s[34:35]
	s_cbranch_scc0 .LBB790_226
; %bb.229:                              ;   in Loop: Header=BB790_228 Depth=1
                                        ; implicit-def: $vgpr26_vgpr27
                                        ; implicit-def: $vgpr28_vgpr29
	s_mov_b64 s[34:35], s[12:13]
	s_branch .LBB790_227
.LBB790_230:
	v_mov_b64_e32 v[60:61], 0
	s_branch .LBB790_233
.LBB790_231:
	s_or_b64 exec, exec, s[28:29]
	v_cmp_gt_i64_e32 vcc, s[12:13], v[30:31]
	s_mov_b32 s26, 0
	v_mov_b32_e32 v61, s26
	v_cndmask_b32_e64 v60, 0, 1, vcc
.LBB790_232:
	s_or_b64 exec, exec, s[24:25]
.LBB790_233:
	s_or_b64 exec, exec, s[22:23]
	v_add_u32_e32 v26, 5, v1
	v_cmp_gt_u32_e32 vcc, s7, v26
	v_mov_b64_e32 v[62:63], v[12:13]
	s_and_saveexec_b64 s[22:23], vcc
	s_cbranch_execz .LBB790_244
; %bb.234:
	s_and_b64 vcc, exec, s[2:3]
	s_cbranch_vccnz .LBB790_241
; %bb.235:
	v_mul_lo_u32 v28, v13, s12
	v_mul_lo_u32 v29, v12, s13
	v_mad_u64_u32 v[26:27], s[24:25], v12, s12, 0
	v_add3_u32 v27, v27, v29, v28
	v_mul_lo_u32 v28, v11, s12
	v_mul_lo_u32 v29, v10, s13
	v_mad_u64_u32 v[30:31], s[24:25], v10, s12, 0
	v_add3_u32 v31, v31, v29, v28
	v_lshl_add_u64 v[28:29], v[26:27], 3, s[14:15]
	v_lshl_add_u64 v[26:27], v[30:31], 3, s[14:15]
	global_load_dwordx2 v[30:31], v[28:29], off
	global_load_dwordx2 v[32:33], v[26:27], off
	v_mov_b64_e32 v[62:63], 1
	s_waitcnt vmcnt(0)
	v_cmp_eq_f64_e32 vcc, v[30:31], v[32:33]
	s_and_saveexec_b64 s[24:25], vcc
	s_cbranch_execz .LBB790_243
; %bb.236:
	s_add_u32 s26, s12, -1
	v_lshl_add_u64 v[26:27], v[26:27], 0, 8
	v_lshl_add_u64 v[28:29], v[28:29], 0, 8
	s_addc_u32 s27, s13, -1
	s_mov_b64 s[28:29], 0
	s_mov_b64 s[34:35], 0
                                        ; implicit-def: $sgpr30_sgpr31
	s_branch .LBB790_239
.LBB790_237:                            ;   in Loop: Header=BB790_239 Depth=1
	global_load_dwordx2 v[30:31], v[28:29], off
	global_load_dwordx2 v[32:33], v[26:27], off
	s_add_u32 s34, s34, 1
	s_addc_u32 s35, s35, 0
	s_andn2_b64 s[30:31], s[30:31], exec
	v_lshl_add_u64 v[26:27], v[26:27], 0, 8
	v_lshl_add_u64 v[28:29], v[28:29], 0, 8
	s_waitcnt vmcnt(0)
	v_cmp_neq_f64_e32 vcc, v[30:31], v[32:33]
	s_and_b64 s[36:37], vcc, exec
	s_or_b64 s[30:31], s[30:31], s[36:37]
.LBB790_238:                            ;   in Loop: Header=BB790_239 Depth=1
	s_and_b64 s[36:37], exec, s[30:31]
	s_or_b64 s[28:29], s[36:37], s[28:29]
	v_mov_b64_e32 v[30:31], s[34:35]
	s_andn2_b64 exec, exec, s[28:29]
	s_cbranch_execz .LBB790_242
.LBB790_239:                            ; =>This Inner Loop Header: Depth=1
	s_or_b64 s[30:31], s[30:31], exec
	s_cmp_eq_u64 s[26:27], s[34:35]
	s_cbranch_scc0 .LBB790_237
; %bb.240:                              ;   in Loop: Header=BB790_239 Depth=1
                                        ; implicit-def: $vgpr26_vgpr27
                                        ; implicit-def: $vgpr28_vgpr29
	s_mov_b64 s[34:35], s[12:13]
	s_branch .LBB790_238
.LBB790_241:
	v_mov_b64_e32 v[62:63], 0
	s_branch .LBB790_244
.LBB790_242:
	s_or_b64 exec, exec, s[28:29]
	v_cmp_gt_i64_e32 vcc, s[12:13], v[30:31]
	s_mov_b32 s26, 0
	v_mov_b32_e32 v63, s26
	v_cndmask_b32_e64 v62, 0, 1, vcc
.LBB790_243:
	s_or_b64 exec, exec, s[24:25]
.LBB790_244:
	s_or_b64 exec, exec, s[22:23]
	v_add_u32_e32 v26, 4, v1
	v_cmp_gt_u32_e32 vcc, s7, v26
	v_mov_b64_e32 v[64:65], v[10:11]
	s_and_saveexec_b64 s[22:23], vcc
	s_cbranch_execz .LBB790_255
; %bb.245:
	s_and_b64 vcc, exec, s[2:3]
	s_cbranch_vccnz .LBB790_252
; %bb.246:
	v_mul_lo_u32 v28, v11, s12
	v_mul_lo_u32 v29, v10, s13
	v_mad_u64_u32 v[26:27], s[24:25], v10, s12, 0
	v_add3_u32 v27, v27, v29, v28
	v_mul_lo_u32 v28, v9, s12
	v_mul_lo_u32 v29, v8, s13
	v_mad_u64_u32 v[30:31], s[24:25], v8, s12, 0
	v_add3_u32 v31, v31, v29, v28
	v_lshl_add_u64 v[28:29], v[26:27], 3, s[14:15]
	v_lshl_add_u64 v[26:27], v[30:31], 3, s[14:15]
	global_load_dwordx2 v[30:31], v[28:29], off
	global_load_dwordx2 v[32:33], v[26:27], off
	v_mov_b64_e32 v[64:65], 1
	s_waitcnt vmcnt(0)
	v_cmp_eq_f64_e32 vcc, v[30:31], v[32:33]
	s_and_saveexec_b64 s[24:25], vcc
	s_cbranch_execz .LBB790_254
; %bb.247:
	s_add_u32 s26, s12, -1
	v_lshl_add_u64 v[26:27], v[26:27], 0, 8
	v_lshl_add_u64 v[28:29], v[28:29], 0, 8
	s_addc_u32 s27, s13, -1
	s_mov_b64 s[28:29], 0
	s_mov_b64 s[34:35], 0
                                        ; implicit-def: $sgpr30_sgpr31
	s_branch .LBB790_250
.LBB790_248:                            ;   in Loop: Header=BB790_250 Depth=1
	global_load_dwordx2 v[30:31], v[28:29], off
	global_load_dwordx2 v[32:33], v[26:27], off
	s_add_u32 s34, s34, 1
	s_addc_u32 s35, s35, 0
	s_andn2_b64 s[30:31], s[30:31], exec
	v_lshl_add_u64 v[26:27], v[26:27], 0, 8
	v_lshl_add_u64 v[28:29], v[28:29], 0, 8
	s_waitcnt vmcnt(0)
	v_cmp_neq_f64_e32 vcc, v[30:31], v[32:33]
	s_and_b64 s[36:37], vcc, exec
	s_or_b64 s[30:31], s[30:31], s[36:37]
.LBB790_249:                            ;   in Loop: Header=BB790_250 Depth=1
	s_and_b64 s[36:37], exec, s[30:31]
	s_or_b64 s[28:29], s[36:37], s[28:29]
	v_mov_b64_e32 v[30:31], s[34:35]
	s_andn2_b64 exec, exec, s[28:29]
	s_cbranch_execz .LBB790_253
.LBB790_250:                            ; =>This Inner Loop Header: Depth=1
	s_or_b64 s[30:31], s[30:31], exec
	s_cmp_eq_u64 s[26:27], s[34:35]
	s_cbranch_scc0 .LBB790_248
; %bb.251:                              ;   in Loop: Header=BB790_250 Depth=1
                                        ; implicit-def: $vgpr26_vgpr27
                                        ; implicit-def: $vgpr28_vgpr29
	s_mov_b64 s[34:35], s[12:13]
	s_branch .LBB790_249
.LBB790_252:
	v_mov_b64_e32 v[64:65], 0
	s_branch .LBB790_255
.LBB790_253:
	s_or_b64 exec, exec, s[28:29]
	v_cmp_gt_i64_e32 vcc, s[12:13], v[30:31]
	s_mov_b32 s26, 0
	v_mov_b32_e32 v65, s26
	v_cndmask_b32_e64 v64, 0, 1, vcc
.LBB790_254:
	s_or_b64 exec, exec, s[24:25]
.LBB790_255:
	s_or_b64 exec, exec, s[22:23]
	v_add_u32_e32 v26, 3, v1
	v_cmp_gt_u32_e32 vcc, s7, v26
	v_mov_b64_e32 v[66:67], v[8:9]
	s_and_saveexec_b64 s[22:23], vcc
	s_cbranch_execz .LBB790_266
; %bb.256:
	s_and_b64 vcc, exec, s[2:3]
	s_cbranch_vccnz .LBB790_263
; %bb.257:
	v_mul_lo_u32 v28, v9, s12
	v_mul_lo_u32 v29, v8, s13
	v_mad_u64_u32 v[26:27], s[24:25], v8, s12, 0
	v_add3_u32 v27, v27, v29, v28
	v_mul_lo_u32 v28, v7, s12
	v_mul_lo_u32 v29, v6, s13
	v_mad_u64_u32 v[30:31], s[24:25], v6, s12, 0
	v_add3_u32 v31, v31, v29, v28
	v_lshl_add_u64 v[28:29], v[26:27], 3, s[14:15]
	v_lshl_add_u64 v[26:27], v[30:31], 3, s[14:15]
	global_load_dwordx2 v[30:31], v[28:29], off
	global_load_dwordx2 v[32:33], v[26:27], off
	v_mov_b64_e32 v[66:67], 1
	s_waitcnt vmcnt(0)
	v_cmp_eq_f64_e32 vcc, v[30:31], v[32:33]
	s_and_saveexec_b64 s[24:25], vcc
	s_cbranch_execz .LBB790_265
; %bb.258:
	s_add_u32 s26, s12, -1
	v_lshl_add_u64 v[26:27], v[26:27], 0, 8
	v_lshl_add_u64 v[28:29], v[28:29], 0, 8
	s_addc_u32 s27, s13, -1
	s_mov_b64 s[28:29], 0
	s_mov_b64 s[34:35], 0
                                        ; implicit-def: $sgpr30_sgpr31
	s_branch .LBB790_261
.LBB790_259:                            ;   in Loop: Header=BB790_261 Depth=1
	global_load_dwordx2 v[30:31], v[28:29], off
	global_load_dwordx2 v[32:33], v[26:27], off
	s_add_u32 s34, s34, 1
	s_addc_u32 s35, s35, 0
	s_andn2_b64 s[30:31], s[30:31], exec
	v_lshl_add_u64 v[26:27], v[26:27], 0, 8
	v_lshl_add_u64 v[28:29], v[28:29], 0, 8
	s_waitcnt vmcnt(0)
	v_cmp_neq_f64_e32 vcc, v[30:31], v[32:33]
	s_and_b64 s[36:37], vcc, exec
	s_or_b64 s[30:31], s[30:31], s[36:37]
.LBB790_260:                            ;   in Loop: Header=BB790_261 Depth=1
	s_and_b64 s[36:37], exec, s[30:31]
	s_or_b64 s[28:29], s[36:37], s[28:29]
	v_mov_b64_e32 v[30:31], s[34:35]
	s_andn2_b64 exec, exec, s[28:29]
	s_cbranch_execz .LBB790_264
.LBB790_261:                            ; =>This Inner Loop Header: Depth=1
	s_or_b64 s[30:31], s[30:31], exec
	s_cmp_eq_u64 s[26:27], s[34:35]
	s_cbranch_scc0 .LBB790_259
; %bb.262:                              ;   in Loop: Header=BB790_261 Depth=1
                                        ; implicit-def: $vgpr26_vgpr27
                                        ; implicit-def: $vgpr28_vgpr29
	s_mov_b64 s[34:35], s[12:13]
	s_branch .LBB790_260
.LBB790_263:
	v_mov_b64_e32 v[66:67], 0
	s_branch .LBB790_266
.LBB790_264:
	s_or_b64 exec, exec, s[28:29]
	v_cmp_gt_i64_e32 vcc, s[12:13], v[30:31]
	s_mov_b32 s26, 0
	v_mov_b32_e32 v67, s26
	v_cndmask_b32_e64 v66, 0, 1, vcc
.LBB790_265:
	s_or_b64 exec, exec, s[24:25]
.LBB790_266:
	s_or_b64 exec, exec, s[22:23]
	v_add_u32_e32 v26, 2, v1
	v_cmp_gt_u32_e32 vcc, s7, v26
	v_mov_b64_e32 v[68:69], v[6:7]
	s_and_saveexec_b64 s[22:23], vcc
	s_cbranch_execz .LBB790_277
; %bb.267:
	s_and_b64 vcc, exec, s[2:3]
	s_cbranch_vccnz .LBB790_274
; %bb.268:
	v_mul_lo_u32 v28, v7, s12
	v_mul_lo_u32 v29, v6, s13
	v_mad_u64_u32 v[26:27], s[24:25], v6, s12, 0
	v_add3_u32 v27, v27, v29, v28
	v_mul_lo_u32 v28, v5, s12
	v_mul_lo_u32 v29, v4, s13
	v_mad_u64_u32 v[30:31], s[24:25], v4, s12, 0
	v_add3_u32 v31, v31, v29, v28
	v_lshl_add_u64 v[28:29], v[26:27], 3, s[14:15]
	v_lshl_add_u64 v[26:27], v[30:31], 3, s[14:15]
	global_load_dwordx2 v[30:31], v[28:29], off
	global_load_dwordx2 v[32:33], v[26:27], off
	v_mov_b64_e32 v[68:69], 1
	s_waitcnt vmcnt(0)
	v_cmp_eq_f64_e32 vcc, v[30:31], v[32:33]
	s_and_saveexec_b64 s[24:25], vcc
	s_cbranch_execz .LBB790_276
; %bb.269:
	s_add_u32 s26, s12, -1
	v_lshl_add_u64 v[26:27], v[26:27], 0, 8
	v_lshl_add_u64 v[28:29], v[28:29], 0, 8
	s_addc_u32 s27, s13, -1
	s_mov_b64 s[28:29], 0
	s_mov_b64 s[34:35], 0
                                        ; implicit-def: $sgpr30_sgpr31
	s_branch .LBB790_272
.LBB790_270:                            ;   in Loop: Header=BB790_272 Depth=1
	global_load_dwordx2 v[30:31], v[28:29], off
	global_load_dwordx2 v[32:33], v[26:27], off
	s_add_u32 s34, s34, 1
	s_addc_u32 s35, s35, 0
	s_andn2_b64 s[30:31], s[30:31], exec
	v_lshl_add_u64 v[26:27], v[26:27], 0, 8
	v_lshl_add_u64 v[28:29], v[28:29], 0, 8
	s_waitcnt vmcnt(0)
	v_cmp_neq_f64_e32 vcc, v[30:31], v[32:33]
	s_and_b64 s[36:37], vcc, exec
	s_or_b64 s[30:31], s[30:31], s[36:37]
.LBB790_271:                            ;   in Loop: Header=BB790_272 Depth=1
	s_and_b64 s[36:37], exec, s[30:31]
	s_or_b64 s[28:29], s[36:37], s[28:29]
	v_mov_b64_e32 v[30:31], s[34:35]
	s_andn2_b64 exec, exec, s[28:29]
	s_cbranch_execz .LBB790_275
.LBB790_272:                            ; =>This Inner Loop Header: Depth=1
	s_or_b64 s[30:31], s[30:31], exec
	s_cmp_eq_u64 s[26:27], s[34:35]
	s_cbranch_scc0 .LBB790_270
; %bb.273:                              ;   in Loop: Header=BB790_272 Depth=1
                                        ; implicit-def: $vgpr26_vgpr27
                                        ; implicit-def: $vgpr28_vgpr29
	s_mov_b64 s[34:35], s[12:13]
	s_branch .LBB790_271
.LBB790_274:
	v_mov_b64_e32 v[68:69], 0
	s_branch .LBB790_277
.LBB790_275:
	s_or_b64 exec, exec, s[28:29]
	v_cmp_gt_i64_e32 vcc, s[12:13], v[30:31]
	s_mov_b32 s26, 0
	v_mov_b32_e32 v69, s26
	v_cndmask_b32_e64 v68, 0, 1, vcc
.LBB790_276:
	s_or_b64 exec, exec, s[24:25]
.LBB790_277:
	s_or_b64 exec, exec, s[22:23]
	v_add_u32_e32 v26, 1, v1
	v_cmp_gt_u32_e32 vcc, s7, v26
	v_mov_b64_e32 v[70:71], v[4:5]
	s_and_saveexec_b64 s[22:23], vcc
	s_cbranch_execz .LBB790_288
; %bb.278:
	s_and_b64 vcc, exec, s[2:3]
	s_cbranch_vccnz .LBB790_285
; %bb.279:
	v_mul_lo_u32 v28, v5, s12
	v_mul_lo_u32 v29, v4, s13
	v_mad_u64_u32 v[26:27], s[24:25], v4, s12, 0
	v_add3_u32 v27, v27, v29, v28
	v_mul_lo_u32 v28, v3, s12
	v_mul_lo_u32 v29, v2, s13
	v_mad_u64_u32 v[30:31], s[24:25], v2, s12, 0
	v_add3_u32 v31, v31, v29, v28
	v_lshl_add_u64 v[28:29], v[26:27], 3, s[14:15]
	v_lshl_add_u64 v[26:27], v[30:31], 3, s[14:15]
	global_load_dwordx2 v[30:31], v[28:29], off
	global_load_dwordx2 v[32:33], v[26:27], off
	v_mov_b64_e32 v[70:71], 1
	s_waitcnt vmcnt(0)
	v_cmp_eq_f64_e32 vcc, v[30:31], v[32:33]
	s_and_saveexec_b64 s[24:25], vcc
	s_cbranch_execz .LBB790_287
; %bb.280:
	s_add_u32 s26, s12, -1
	v_lshl_add_u64 v[26:27], v[26:27], 0, 8
	v_lshl_add_u64 v[28:29], v[28:29], 0, 8
	s_addc_u32 s27, s13, -1
	s_mov_b64 s[28:29], 0
	s_mov_b64 s[34:35], 0
                                        ; implicit-def: $sgpr30_sgpr31
	s_branch .LBB790_283
.LBB790_281:                            ;   in Loop: Header=BB790_283 Depth=1
	global_load_dwordx2 v[30:31], v[28:29], off
	global_load_dwordx2 v[32:33], v[26:27], off
	s_add_u32 s34, s34, 1
	s_addc_u32 s35, s35, 0
	s_andn2_b64 s[30:31], s[30:31], exec
	v_lshl_add_u64 v[26:27], v[26:27], 0, 8
	v_lshl_add_u64 v[28:29], v[28:29], 0, 8
	s_waitcnt vmcnt(0)
	v_cmp_neq_f64_e32 vcc, v[30:31], v[32:33]
	s_and_b64 s[36:37], vcc, exec
	s_or_b64 s[30:31], s[30:31], s[36:37]
.LBB790_282:                            ;   in Loop: Header=BB790_283 Depth=1
	s_and_b64 s[36:37], exec, s[30:31]
	s_or_b64 s[28:29], s[36:37], s[28:29]
	v_mov_b64_e32 v[30:31], s[34:35]
	s_andn2_b64 exec, exec, s[28:29]
	s_cbranch_execz .LBB790_286
.LBB790_283:                            ; =>This Inner Loop Header: Depth=1
	s_or_b64 s[30:31], s[30:31], exec
	s_cmp_eq_u64 s[26:27], s[34:35]
	s_cbranch_scc0 .LBB790_281
; %bb.284:                              ;   in Loop: Header=BB790_283 Depth=1
                                        ; implicit-def: $vgpr26_vgpr27
                                        ; implicit-def: $vgpr28_vgpr29
	s_mov_b64 s[34:35], s[12:13]
	s_branch .LBB790_282
.LBB790_285:
	v_mov_b64_e32 v[70:71], 0
	s_branch .LBB790_288
.LBB790_286:
	s_or_b64 exec, exec, s[28:29]
	v_cmp_gt_i64_e32 vcc, s[12:13], v[30:31]
	s_mov_b32 s26, 0
	v_mov_b32_e32 v71, s26
	v_cndmask_b32_e64 v70, 0, 1, vcc
.LBB790_287:
	s_or_b64 exec, exec, s[24:25]
.LBB790_288:
	s_or_b64 exec, exec, s[22:23]
	v_cmp_ne_u32_e32 vcc, 0, v0
	v_mov_b64_e32 v[26:27], s[20:21]
	s_waitcnt lgkmcnt(0)
	; wave barrier
	s_waitcnt lgkmcnt(0)
	s_and_saveexec_b64 s[20:21], vcc
	s_cbranch_execz .LBB790_290
; %bb.289:
	v_add_u32_e32 v26, -8, v48
	ds_read_b64 v[26:27], v26
.LBB790_290:
	s_or_b64 exec, exec, s[20:21]
	v_cmp_gt_u32_e32 vcc, s7, v1
                                        ; implicit-def: $sgpr24_sgpr25
	s_and_saveexec_b64 s[20:21], vcc
	s_cbranch_execz .LBB790_302
; %bb.291:
	s_and_b64 vcc, exec, s[2:3]
	s_cbranch_vccnz .LBB790_298
; %bb.292:
	v_mul_lo_u32 v1, v3, s12
	v_mul_lo_u32 v30, v2, s13
	v_mad_u64_u32 v[28:29], s[2:3], v2, s12, 0
	v_add3_u32 v29, v29, v30, v1
	s_waitcnt lgkmcnt(0)
	v_mul_lo_u32 v1, v27, s12
	v_mul_lo_u32 v30, v26, s13
	v_mad_u64_u32 v[26:27], s[2:3], v26, s12, 0
	v_add3_u32 v27, v27, v30, v1
	v_lshl_add_u64 v[28:29], v[28:29], 3, s[14:15]
	v_lshl_add_u64 v[26:27], v[26:27], 3, s[14:15]
	global_load_dwordx2 v[30:31], v[28:29], off
	global_load_dwordx2 v[32:33], v[26:27], off
	s_mov_b64 s[22:23], -1
	s_waitcnt vmcnt(0)
	v_cmp_eq_f64_e32 vcc, v[30:31], v[32:33]
	s_and_saveexec_b64 s[2:3], vcc
	s_cbranch_execz .LBB790_300
; %bb.293:
	s_add_u32 s22, s12, -1
	v_lshl_add_u64 v[26:27], v[26:27], 0, 8
	v_lshl_add_u64 v[28:29], v[28:29], 0, 8
	s_addc_u32 s23, s13, -1
	s_mov_b64 s[24:25], 0
	s_mov_b64 s[28:29], 0
                                        ; implicit-def: $sgpr26_sgpr27
	s_branch .LBB790_296
.LBB790_294:                            ;   in Loop: Header=BB790_296 Depth=1
	global_load_dwordx2 v[30:31], v[28:29], off
	global_load_dwordx2 v[32:33], v[26:27], off
	s_add_u32 s28, s28, 1
	s_addc_u32 s29, s29, 0
	s_andn2_b64 s[26:27], s[26:27], exec
	v_lshl_add_u64 v[26:27], v[26:27], 0, 8
	v_lshl_add_u64 v[28:29], v[28:29], 0, 8
	s_waitcnt vmcnt(0)
	v_cmp_neq_f64_e32 vcc, v[30:31], v[32:33]
	s_and_b64 s[30:31], vcc, exec
	s_or_b64 s[26:27], s[26:27], s[30:31]
.LBB790_295:                            ;   in Loop: Header=BB790_296 Depth=1
	s_and_b64 s[30:31], exec, s[26:27]
	s_or_b64 s[24:25], s[30:31], s[24:25]
	v_mov_b64_e32 v[30:31], s[28:29]
	s_andn2_b64 exec, exec, s[24:25]
	s_cbranch_execz .LBB790_299
.LBB790_296:                            ; =>This Inner Loop Header: Depth=1
	s_or_b64 s[26:27], s[26:27], exec
	s_cmp_eq_u64 s[22:23], s[28:29]
	s_cbranch_scc0 .LBB790_294
; %bb.297:                              ;   in Loop: Header=BB790_296 Depth=1
                                        ; implicit-def: $vgpr26_vgpr27
                                        ; implicit-def: $vgpr28_vgpr29
	s_mov_b64 s[28:29], s[12:13]
	s_branch .LBB790_295
.LBB790_298:
	s_mov_b64 s[22:23], 0
	s_branch .LBB790_301
.LBB790_299:
	s_or_b64 exec, exec, s[24:25]
	v_cmp_gt_i64_e32 vcc, s[12:13], v[30:31]
	s_orn2_b64 s[22:23], vcc, exec
.LBB790_300:
	s_or_b64 exec, exec, s[2:3]
.LBB790_301:
	s_and_b64 s[24:25], s[22:23], exec
	s_or_b64 s[18:19], s[18:19], exec
.LBB790_302:
	s_or_b64 exec, exec, s[20:21]
	v_mov_b64_e32 v[72:73], v[52:53]
	s_waitcnt lgkmcnt(0)
	v_mov_b64_e32 v[26:27], v[46:47]
	v_mov_b64_e32 v[82:83], v[70:71]
	;; [unrolled: 1-line block ×10, first 2 shown]
	s_branch .LBB790_572
.LBB790_303:
	s_cmp_lg_u64 s[4:5], 1
	s_cbranch_scc0 .LBB790_311
; %bb.304:
	v_mul_lo_u32 v1, v25, s12
	v_mul_lo_u32 v28, v24, s13
	s_waitcnt lgkmcnt(0)
	v_mad_u64_u32 v[26:27], s[20:21], v24, s12, 0
	v_mov_b64_e32 v[46:47], 0
	v_cmp_lt_i64_e64 s[2:3], s[12:13], 1
	v_add3_u32 v27, v27, v28, v1
	v_cmp_gt_i64_e64 s[4:5], s[12:13], 0
	s_and_b64 vcc, exec, s[2:3]
	v_lshl_add_u64 v[26:27], v[26:27], 3, s[14:15]
	v_mov_b64_e32 v[50:51], v[46:47]
	ds_write_b64 v48, v[44:45]
	s_cbranch_vccnz .LBB790_314
; %bb.305:
	v_mul_lo_u32 v1, v45, s12
	v_mul_lo_u32 v30, v44, s13
	v_mad_u64_u32 v[28:29], s[2:3], v44, s12, 0
	v_add3_u32 v29, v29, v30, v1
	v_lshl_add_u64 v[30:31], v[28:29], 3, s[14:15]
	global_load_dwordx2 v[28:29], v[30:31], off
	global_load_dwordx2 v[32:33], v[26:27], off
	v_mov_b64_e32 v[50:51], 1
	s_waitcnt vmcnt(0)
	v_cmp_eq_f64_e32 vcc, v[28:29], v[32:33]
	s_and_saveexec_b64 s[2:3], vcc
	s_cbranch_execz .LBB790_313
; %bb.306:
	s_add_u32 s20, s12, -1
	v_lshl_add_u64 v[28:29], v[26:27], 0, 8
	v_lshl_add_u64 v[30:31], v[30:31], 0, 8
	s_addc_u32 s21, s13, -1
	s_mov_b64 s[22:23], 0
	s_mov_b64 s[26:27], 0
                                        ; implicit-def: $sgpr24_sgpr25
	s_branch .LBB790_309
.LBB790_307:                            ;   in Loop: Header=BB790_309 Depth=1
	global_load_dwordx2 v[32:33], v[30:31], off
	global_load_dwordx2 v[34:35], v[28:29], off
	s_add_u32 s26, s26, 1
	s_addc_u32 s27, s27, 0
	s_andn2_b64 s[24:25], s[24:25], exec
	v_lshl_add_u64 v[28:29], v[28:29], 0, 8
	v_lshl_add_u64 v[30:31], v[30:31], 0, 8
	s_waitcnt vmcnt(0)
	v_cmp_neq_f64_e32 vcc, v[32:33], v[34:35]
	s_and_b64 s[28:29], vcc, exec
	s_or_b64 s[24:25], s[24:25], s[28:29]
.LBB790_308:                            ;   in Loop: Header=BB790_309 Depth=1
	s_and_b64 s[28:29], exec, s[24:25]
	s_or_b64 s[22:23], s[28:29], s[22:23]
	v_mov_b64_e32 v[32:33], s[26:27]
	s_andn2_b64 exec, exec, s[22:23]
	s_cbranch_execz .LBB790_312
.LBB790_309:                            ; =>This Inner Loop Header: Depth=1
	s_or_b64 s[24:25], s[24:25], exec
	s_cmp_eq_u64 s[20:21], s[26:27]
	s_cbranch_scc0 .LBB790_307
; %bb.310:                              ;   in Loop: Header=BB790_309 Depth=1
                                        ; implicit-def: $vgpr28_vgpr29
                                        ; implicit-def: $vgpr30_vgpr31
	s_mov_b64 s[26:27], s[12:13]
	s_branch .LBB790_308
.LBB790_311:
                                        ; implicit-def: $vgpr26_vgpr27_vgpr28_vgpr29
                                        ; implicit-def: $sgpr24_sgpr25
                                        ; implicit-def: $vgpr50_vgpr51
                                        ; implicit-def: $vgpr52_vgpr53
                                        ; implicit-def: $vgpr46_vgpr47
                                        ; implicit-def: $vgpr70_vgpr71
                                        ; implicit-def: $vgpr68_vgpr69
                                        ; implicit-def: $vgpr66_vgpr67
                                        ; implicit-def: $vgpr64_vgpr65
                                        ; implicit-def: $vgpr62_vgpr63
                                        ; implicit-def: $vgpr60_vgpr61
                                        ; implicit-def: $vgpr58_vgpr59
                                        ; implicit-def: $vgpr56_vgpr57
                                        ; implicit-def: $vgpr54_vgpr55
                                        ; implicit-def: $vgpr72_vgpr73
                                        ; implicit-def: $vgpr82_vgpr83
                                        ; implicit-def: $vgpr74_vgpr75
                                        ; implicit-def: $vgpr76_vgpr77
                                        ; implicit-def: $vgpr78_vgpr79
                                        ; implicit-def: $vgpr80_vgpr81
                                        ; implicit-def: $vgpr28_vgpr29_vgpr30_vgpr31
                                        ; implicit-def: $vgpr32_vgpr33_vgpr34_vgpr35
                                        ; implicit-def: $vgpr36_vgpr37_vgpr38_vgpr39
                                        ; implicit-def: $vgpr40_vgpr41_vgpr42_vgpr43
	s_cbranch_execnz .LBB790_427
	s_branch .LBB790_572
.LBB790_312:
	s_or_b64 exec, exec, s[22:23]
	v_cmp_gt_i64_e32 vcc, s[12:13], v[32:33]
	s_mov_b32 s7, 0
	v_mov_b32_e32 v51, s7
	v_cndmask_b32_e64 v50, 0, 1, vcc
.LBB790_313:
	s_or_b64 exec, exec, s[2:3]
.LBB790_314:
	v_mul_lo_u32 v1, v23, s12
	v_mul_lo_u32 v30, v22, s13
	v_mad_u64_u32 v[28:29], s[2:3], v22, s12, 0
	v_add3_u32 v29, v29, v30, v1
	v_cndmask_b32_e64 v1, 0, 1, s[4:5]
	v_cmp_ne_u32_e64 s[2:3], 1, v1
	s_andn2_b64 vcc, exec, s[4:5]
	v_lshl_add_u64 v[28:29], v[28:29], 3, s[14:15]
	v_mov_b64_e32 v[52:53], v[46:47]
	s_cbranch_vccnz .LBB790_323
; %bb.315:
	global_load_dwordx2 v[30:31], v[26:27], off
	global_load_dwordx2 v[32:33], v[28:29], off
	v_mov_b64_e32 v[52:53], 1
	s_waitcnt vmcnt(0)
	v_cmp_eq_f64_e32 vcc, v[30:31], v[32:33]
	s_and_saveexec_b64 s[4:5], vcc
	s_cbranch_execz .LBB790_322
; %bb.316:
	s_add_u32 s20, s12, -1
	v_lshl_add_u64 v[30:31], v[28:29], 0, 8
	v_lshl_add_u64 v[26:27], v[26:27], 0, 8
	s_addc_u32 s21, s13, -1
	s_mov_b64 s[22:23], 0
	s_mov_b64 s[26:27], 0
                                        ; implicit-def: $sgpr24_sgpr25
	s_branch .LBB790_319
.LBB790_317:                            ;   in Loop: Header=BB790_319 Depth=1
	global_load_dwordx2 v[32:33], v[26:27], off
	global_load_dwordx2 v[34:35], v[30:31], off
	s_add_u32 s26, s26, 1
	s_addc_u32 s27, s27, 0
	s_andn2_b64 s[24:25], s[24:25], exec
	v_lshl_add_u64 v[30:31], v[30:31], 0, 8
	v_lshl_add_u64 v[26:27], v[26:27], 0, 8
	s_waitcnt vmcnt(0)
	v_cmp_neq_f64_e32 vcc, v[32:33], v[34:35]
	s_and_b64 s[28:29], vcc, exec
	s_or_b64 s[24:25], s[24:25], s[28:29]
.LBB790_318:                            ;   in Loop: Header=BB790_319 Depth=1
	s_and_b64 s[28:29], exec, s[24:25]
	s_or_b64 s[22:23], s[28:29], s[22:23]
	v_mov_b64_e32 v[32:33], s[26:27]
	s_andn2_b64 exec, exec, s[22:23]
	s_cbranch_execz .LBB790_321
.LBB790_319:                            ; =>This Inner Loop Header: Depth=1
	s_or_b64 s[24:25], s[24:25], exec
	s_cmp_eq_u64 s[20:21], s[26:27]
	s_cbranch_scc0 .LBB790_317
; %bb.320:                              ;   in Loop: Header=BB790_319 Depth=1
                                        ; implicit-def: $vgpr30_vgpr31
                                        ; implicit-def: $vgpr26_vgpr27
	s_mov_b64 s[26:27], s[12:13]
	s_branch .LBB790_318
.LBB790_321:
	s_or_b64 exec, exec, s[22:23]
	v_cmp_gt_i64_e32 vcc, s[12:13], v[32:33]
	s_mov_b32 s7, 0
	v_mov_b32_e32 v53, s7
	v_cndmask_b32_e64 v52, 0, 1, vcc
.LBB790_322:
	s_or_b64 exec, exec, s[4:5]
.LBB790_323:
	v_mul_lo_u32 v1, v21, s12
	v_mul_lo_u32 v30, v20, s13
	v_mad_u64_u32 v[26:27], s[4:5], v20, s12, 0
	v_add3_u32 v27, v27, v30, v1
	s_and_b64 vcc, exec, s[2:3]
	v_lshl_add_u64 v[26:27], v[26:27], 3, s[14:15]
	s_cbranch_vccnz .LBB790_332
; %bb.324:
	global_load_dwordx2 v[30:31], v[28:29], off
	global_load_dwordx2 v[32:33], v[26:27], off
	v_mov_b64_e32 v[46:47], 1
	s_waitcnt vmcnt(0)
	v_cmp_eq_f64_e32 vcc, v[30:31], v[32:33]
	s_and_saveexec_b64 s[4:5], vcc
	s_cbranch_execz .LBB790_331
; %bb.325:
	s_add_u32 s20, s12, -1
	v_lshl_add_u64 v[30:31], v[26:27], 0, 8
	v_lshl_add_u64 v[28:29], v[28:29], 0, 8
	s_addc_u32 s21, s13, -1
	s_mov_b64 s[22:23], 0
	s_mov_b64 s[26:27], 0
                                        ; implicit-def: $sgpr24_sgpr25
	s_branch .LBB790_328
.LBB790_326:                            ;   in Loop: Header=BB790_328 Depth=1
	global_load_dwordx2 v[32:33], v[28:29], off
	global_load_dwordx2 v[34:35], v[30:31], off
	s_add_u32 s26, s26, 1
	s_addc_u32 s27, s27, 0
	s_andn2_b64 s[24:25], s[24:25], exec
	v_lshl_add_u64 v[30:31], v[30:31], 0, 8
	v_lshl_add_u64 v[28:29], v[28:29], 0, 8
	s_waitcnt vmcnt(0)
	v_cmp_neq_f64_e32 vcc, v[32:33], v[34:35]
	s_and_b64 s[28:29], vcc, exec
	s_or_b64 s[24:25], s[24:25], s[28:29]
.LBB790_327:                            ;   in Loop: Header=BB790_328 Depth=1
	s_and_b64 s[28:29], exec, s[24:25]
	s_or_b64 s[22:23], s[28:29], s[22:23]
	v_mov_b64_e32 v[32:33], s[26:27]
	s_andn2_b64 exec, exec, s[22:23]
	s_cbranch_execz .LBB790_330
.LBB790_328:                            ; =>This Inner Loop Header: Depth=1
	s_or_b64 s[24:25], s[24:25], exec
	s_cmp_eq_u64 s[20:21], s[26:27]
	s_cbranch_scc0 .LBB790_326
; %bb.329:                              ;   in Loop: Header=BB790_328 Depth=1
                                        ; implicit-def: $vgpr30_vgpr31
                                        ; implicit-def: $vgpr28_vgpr29
	s_mov_b64 s[26:27], s[12:13]
	s_branch .LBB790_327
.LBB790_330:
	s_or_b64 exec, exec, s[22:23]
	v_cmp_gt_i64_e32 vcc, s[12:13], v[32:33]
	s_mov_b32 s7, 0
	v_mov_b32_e32 v47, s7
	v_cndmask_b32_e64 v46, 0, 1, vcc
.LBB790_331:
	s_or_b64 exec, exec, s[4:5]
.LBB790_332:
	v_mul_lo_u32 v1, v19, s12
	v_mul_lo_u32 v30, v18, s13
	v_mad_u64_u32 v[28:29], s[4:5], v18, s12, 0
	v_add3_u32 v29, v29, v30, v1
	v_mov_b64_e32 v[56:57], 0
	s_and_b64 vcc, exec, s[2:3]
	v_lshl_add_u64 v[28:29], v[28:29], 3, s[14:15]
	v_mov_b64_e32 v[54:55], v[56:57]
	s_cbranch_vccnz .LBB790_341
; %bb.333:
	global_load_dwordx2 v[30:31], v[26:27], off
	global_load_dwordx2 v[32:33], v[28:29], off
	v_mov_b64_e32 v[54:55], 1
	s_waitcnt vmcnt(0)
	v_cmp_eq_f64_e32 vcc, v[30:31], v[32:33]
	s_and_saveexec_b64 s[4:5], vcc
	s_cbranch_execz .LBB790_340
; %bb.334:
	s_add_u32 s20, s12, -1
	v_lshl_add_u64 v[30:31], v[28:29], 0, 8
	v_lshl_add_u64 v[26:27], v[26:27], 0, 8
	s_addc_u32 s21, s13, -1
	s_mov_b64 s[22:23], 0
	s_mov_b64 s[26:27], 0
                                        ; implicit-def: $sgpr24_sgpr25
	s_branch .LBB790_337
.LBB790_335:                            ;   in Loop: Header=BB790_337 Depth=1
	global_load_dwordx2 v[32:33], v[26:27], off
	global_load_dwordx2 v[34:35], v[30:31], off
	s_add_u32 s26, s26, 1
	s_addc_u32 s27, s27, 0
	s_andn2_b64 s[24:25], s[24:25], exec
	v_lshl_add_u64 v[30:31], v[30:31], 0, 8
	v_lshl_add_u64 v[26:27], v[26:27], 0, 8
	s_waitcnt vmcnt(0)
	v_cmp_neq_f64_e32 vcc, v[32:33], v[34:35]
	s_and_b64 s[28:29], vcc, exec
	s_or_b64 s[24:25], s[24:25], s[28:29]
.LBB790_336:                            ;   in Loop: Header=BB790_337 Depth=1
	s_and_b64 s[28:29], exec, s[24:25]
	s_or_b64 s[22:23], s[28:29], s[22:23]
	v_mov_b64_e32 v[32:33], s[26:27]
	s_andn2_b64 exec, exec, s[22:23]
	s_cbranch_execz .LBB790_339
.LBB790_337:                            ; =>This Inner Loop Header: Depth=1
	s_or_b64 s[24:25], s[24:25], exec
	s_cmp_eq_u64 s[20:21], s[26:27]
	s_cbranch_scc0 .LBB790_335
; %bb.338:                              ;   in Loop: Header=BB790_337 Depth=1
                                        ; implicit-def: $vgpr30_vgpr31
                                        ; implicit-def: $vgpr26_vgpr27
	s_mov_b64 s[26:27], s[12:13]
	s_branch .LBB790_336
.LBB790_339:
	s_or_b64 exec, exec, s[22:23]
	v_cmp_gt_i64_e32 vcc, s[12:13], v[32:33]
	s_mov_b32 s7, 0
	v_mov_b32_e32 v55, s7
	v_cndmask_b32_e64 v54, 0, 1, vcc
.LBB790_340:
	s_or_b64 exec, exec, s[4:5]
.LBB790_341:
	v_mul_lo_u32 v1, v17, s12
	v_mul_lo_u32 v30, v16, s13
	v_mad_u64_u32 v[26:27], s[4:5], v16, s12, 0
	v_add3_u32 v27, v27, v30, v1
	s_and_b64 vcc, exec, s[2:3]
	v_lshl_add_u64 v[26:27], v[26:27], 3, s[14:15]
	s_cbranch_vccnz .LBB790_350
; %bb.342:
	global_load_dwordx2 v[30:31], v[28:29], off
	global_load_dwordx2 v[32:33], v[26:27], off
	v_mov_b64_e32 v[56:57], 1
	s_waitcnt vmcnt(0)
	v_cmp_eq_f64_e32 vcc, v[30:31], v[32:33]
	s_and_saveexec_b64 s[4:5], vcc
	s_cbranch_execz .LBB790_349
; %bb.343:
	s_add_u32 s20, s12, -1
	v_lshl_add_u64 v[30:31], v[26:27], 0, 8
	v_lshl_add_u64 v[28:29], v[28:29], 0, 8
	s_addc_u32 s21, s13, -1
	s_mov_b64 s[22:23], 0
	s_mov_b64 s[26:27], 0
                                        ; implicit-def: $sgpr24_sgpr25
	s_branch .LBB790_346
.LBB790_344:                            ;   in Loop: Header=BB790_346 Depth=1
	global_load_dwordx2 v[32:33], v[28:29], off
	global_load_dwordx2 v[34:35], v[30:31], off
	s_add_u32 s26, s26, 1
	s_addc_u32 s27, s27, 0
	s_andn2_b64 s[24:25], s[24:25], exec
	v_lshl_add_u64 v[30:31], v[30:31], 0, 8
	v_lshl_add_u64 v[28:29], v[28:29], 0, 8
	s_waitcnt vmcnt(0)
	v_cmp_neq_f64_e32 vcc, v[32:33], v[34:35]
	s_and_b64 s[28:29], vcc, exec
	s_or_b64 s[24:25], s[24:25], s[28:29]
.LBB790_345:                            ;   in Loop: Header=BB790_346 Depth=1
	s_and_b64 s[28:29], exec, s[24:25]
	s_or_b64 s[22:23], s[28:29], s[22:23]
	v_mov_b64_e32 v[32:33], s[26:27]
	s_andn2_b64 exec, exec, s[22:23]
	s_cbranch_execz .LBB790_348
.LBB790_346:                            ; =>This Inner Loop Header: Depth=1
	s_or_b64 s[24:25], s[24:25], exec
	s_cmp_eq_u64 s[20:21], s[26:27]
	s_cbranch_scc0 .LBB790_344
; %bb.347:                              ;   in Loop: Header=BB790_346 Depth=1
                                        ; implicit-def: $vgpr30_vgpr31
                                        ; implicit-def: $vgpr28_vgpr29
	s_mov_b64 s[26:27], s[12:13]
	s_branch .LBB790_345
.LBB790_348:
	s_or_b64 exec, exec, s[22:23]
	v_cmp_gt_i64_e32 vcc, s[12:13], v[32:33]
	s_mov_b32 s7, 0
	v_mov_b32_e32 v57, s7
	v_cndmask_b32_e64 v56, 0, 1, vcc
.LBB790_349:
	s_or_b64 exec, exec, s[4:5]
.LBB790_350:
	v_mul_lo_u32 v1, v15, s12
	v_mul_lo_u32 v30, v14, s13
	v_mad_u64_u32 v[28:29], s[4:5], v14, s12, 0
	v_add3_u32 v29, v29, v30, v1
	v_mov_b64_e32 v[60:61], 0
	s_and_b64 vcc, exec, s[2:3]
	v_lshl_add_u64 v[28:29], v[28:29], 3, s[14:15]
	v_mov_b64_e32 v[58:59], v[60:61]
	s_cbranch_vccnz .LBB790_359
; %bb.351:
	global_load_dwordx2 v[30:31], v[26:27], off
	global_load_dwordx2 v[32:33], v[28:29], off
	v_mov_b64_e32 v[58:59], 1
	s_waitcnt vmcnt(0)
	v_cmp_eq_f64_e32 vcc, v[30:31], v[32:33]
	s_and_saveexec_b64 s[4:5], vcc
	s_cbranch_execz .LBB790_358
; %bb.352:
	s_add_u32 s20, s12, -1
	v_lshl_add_u64 v[30:31], v[28:29], 0, 8
	v_lshl_add_u64 v[26:27], v[26:27], 0, 8
	s_addc_u32 s21, s13, -1
	s_mov_b64 s[22:23], 0
	s_mov_b64 s[26:27], 0
                                        ; implicit-def: $sgpr24_sgpr25
	s_branch .LBB790_355
.LBB790_353:                            ;   in Loop: Header=BB790_355 Depth=1
	global_load_dwordx2 v[32:33], v[26:27], off
	global_load_dwordx2 v[34:35], v[30:31], off
	s_add_u32 s26, s26, 1
	s_addc_u32 s27, s27, 0
	s_andn2_b64 s[24:25], s[24:25], exec
	v_lshl_add_u64 v[30:31], v[30:31], 0, 8
	v_lshl_add_u64 v[26:27], v[26:27], 0, 8
	s_waitcnt vmcnt(0)
	v_cmp_neq_f64_e32 vcc, v[32:33], v[34:35]
	s_and_b64 s[28:29], vcc, exec
	s_or_b64 s[24:25], s[24:25], s[28:29]
.LBB790_354:                            ;   in Loop: Header=BB790_355 Depth=1
	s_and_b64 s[28:29], exec, s[24:25]
	s_or_b64 s[22:23], s[28:29], s[22:23]
	v_mov_b64_e32 v[32:33], s[26:27]
	s_andn2_b64 exec, exec, s[22:23]
	s_cbranch_execz .LBB790_357
.LBB790_355:                            ; =>This Inner Loop Header: Depth=1
	s_or_b64 s[24:25], s[24:25], exec
	s_cmp_eq_u64 s[20:21], s[26:27]
	s_cbranch_scc0 .LBB790_353
; %bb.356:                              ;   in Loop: Header=BB790_355 Depth=1
                                        ; implicit-def: $vgpr30_vgpr31
                                        ; implicit-def: $vgpr26_vgpr27
	s_mov_b64 s[26:27], s[12:13]
	s_branch .LBB790_354
.LBB790_357:
	s_or_b64 exec, exec, s[22:23]
	v_cmp_gt_i64_e32 vcc, s[12:13], v[32:33]
	s_mov_b32 s7, 0
	v_mov_b32_e32 v59, s7
	v_cndmask_b32_e64 v58, 0, 1, vcc
.LBB790_358:
	s_or_b64 exec, exec, s[4:5]
.LBB790_359:
	v_mul_lo_u32 v1, v13, s12
	v_mul_lo_u32 v30, v12, s13
	v_mad_u64_u32 v[26:27], s[4:5], v12, s12, 0
	v_add3_u32 v27, v27, v30, v1
	s_and_b64 vcc, exec, s[2:3]
	v_lshl_add_u64 v[26:27], v[26:27], 3, s[14:15]
	s_cbranch_vccnz .LBB790_368
; %bb.360:
	global_load_dwordx2 v[30:31], v[28:29], off
	global_load_dwordx2 v[32:33], v[26:27], off
	v_mov_b64_e32 v[60:61], 1
	s_waitcnt vmcnt(0)
	v_cmp_eq_f64_e32 vcc, v[30:31], v[32:33]
	s_and_saveexec_b64 s[4:5], vcc
	s_cbranch_execz .LBB790_367
; %bb.361:
	s_add_u32 s20, s12, -1
	v_lshl_add_u64 v[30:31], v[26:27], 0, 8
	v_lshl_add_u64 v[28:29], v[28:29], 0, 8
	s_addc_u32 s21, s13, -1
	s_mov_b64 s[22:23], 0
	s_mov_b64 s[26:27], 0
                                        ; implicit-def: $sgpr24_sgpr25
	s_branch .LBB790_364
.LBB790_362:                            ;   in Loop: Header=BB790_364 Depth=1
	global_load_dwordx2 v[32:33], v[28:29], off
	global_load_dwordx2 v[34:35], v[30:31], off
	s_add_u32 s26, s26, 1
	s_addc_u32 s27, s27, 0
	s_andn2_b64 s[24:25], s[24:25], exec
	v_lshl_add_u64 v[30:31], v[30:31], 0, 8
	v_lshl_add_u64 v[28:29], v[28:29], 0, 8
	s_waitcnt vmcnt(0)
	v_cmp_neq_f64_e32 vcc, v[32:33], v[34:35]
	s_and_b64 s[28:29], vcc, exec
	s_or_b64 s[24:25], s[24:25], s[28:29]
.LBB790_363:                            ;   in Loop: Header=BB790_364 Depth=1
	s_and_b64 s[28:29], exec, s[24:25]
	s_or_b64 s[22:23], s[28:29], s[22:23]
	v_mov_b64_e32 v[32:33], s[26:27]
	s_andn2_b64 exec, exec, s[22:23]
	s_cbranch_execz .LBB790_366
.LBB790_364:                            ; =>This Inner Loop Header: Depth=1
	s_or_b64 s[24:25], s[24:25], exec
	s_cmp_eq_u64 s[20:21], s[26:27]
	s_cbranch_scc0 .LBB790_362
; %bb.365:                              ;   in Loop: Header=BB790_364 Depth=1
                                        ; implicit-def: $vgpr30_vgpr31
                                        ; implicit-def: $vgpr28_vgpr29
	s_mov_b64 s[26:27], s[12:13]
	s_branch .LBB790_363
.LBB790_366:
	s_or_b64 exec, exec, s[22:23]
	v_cmp_gt_i64_e32 vcc, s[12:13], v[32:33]
	s_mov_b32 s7, 0
	v_mov_b32_e32 v61, s7
	v_cndmask_b32_e64 v60, 0, 1, vcc
.LBB790_367:
	s_or_b64 exec, exec, s[4:5]
.LBB790_368:
	v_mul_lo_u32 v1, v11, s12
	v_mul_lo_u32 v30, v10, s13
	v_mad_u64_u32 v[28:29], s[4:5], v10, s12, 0
	v_add3_u32 v29, v29, v30, v1
	v_mov_b64_e32 v[64:65], 0
	s_and_b64 vcc, exec, s[2:3]
	v_lshl_add_u64 v[28:29], v[28:29], 3, s[14:15]
	v_mov_b64_e32 v[62:63], v[64:65]
	s_cbranch_vccnz .LBB790_377
; %bb.369:
	global_load_dwordx2 v[30:31], v[26:27], off
	global_load_dwordx2 v[32:33], v[28:29], off
	v_mov_b64_e32 v[62:63], 1
	s_waitcnt vmcnt(0)
	v_cmp_eq_f64_e32 vcc, v[30:31], v[32:33]
	s_and_saveexec_b64 s[4:5], vcc
	s_cbranch_execz .LBB790_376
; %bb.370:
	s_add_u32 s20, s12, -1
	v_lshl_add_u64 v[30:31], v[28:29], 0, 8
	v_lshl_add_u64 v[26:27], v[26:27], 0, 8
	s_addc_u32 s21, s13, -1
	s_mov_b64 s[22:23], 0
	s_mov_b64 s[26:27], 0
                                        ; implicit-def: $sgpr24_sgpr25
	s_branch .LBB790_373
.LBB790_371:                            ;   in Loop: Header=BB790_373 Depth=1
	global_load_dwordx2 v[32:33], v[26:27], off
	global_load_dwordx2 v[34:35], v[30:31], off
	s_add_u32 s26, s26, 1
	s_addc_u32 s27, s27, 0
	s_andn2_b64 s[24:25], s[24:25], exec
	v_lshl_add_u64 v[30:31], v[30:31], 0, 8
	v_lshl_add_u64 v[26:27], v[26:27], 0, 8
	s_waitcnt vmcnt(0)
	v_cmp_neq_f64_e32 vcc, v[32:33], v[34:35]
	s_and_b64 s[28:29], vcc, exec
	s_or_b64 s[24:25], s[24:25], s[28:29]
.LBB790_372:                            ;   in Loop: Header=BB790_373 Depth=1
	s_and_b64 s[28:29], exec, s[24:25]
	s_or_b64 s[22:23], s[28:29], s[22:23]
	v_mov_b64_e32 v[32:33], s[26:27]
	s_andn2_b64 exec, exec, s[22:23]
	s_cbranch_execz .LBB790_375
.LBB790_373:                            ; =>This Inner Loop Header: Depth=1
	s_or_b64 s[24:25], s[24:25], exec
	s_cmp_eq_u64 s[20:21], s[26:27]
	s_cbranch_scc0 .LBB790_371
; %bb.374:                              ;   in Loop: Header=BB790_373 Depth=1
                                        ; implicit-def: $vgpr30_vgpr31
                                        ; implicit-def: $vgpr26_vgpr27
	s_mov_b64 s[26:27], s[12:13]
	s_branch .LBB790_372
.LBB790_375:
	s_or_b64 exec, exec, s[22:23]
	v_cmp_gt_i64_e32 vcc, s[12:13], v[32:33]
	s_mov_b32 s7, 0
	v_mov_b32_e32 v63, s7
	v_cndmask_b32_e64 v62, 0, 1, vcc
.LBB790_376:
	s_or_b64 exec, exec, s[4:5]
.LBB790_377:
	v_mul_lo_u32 v1, v9, s12
	v_mul_lo_u32 v30, v8, s13
	v_mad_u64_u32 v[26:27], s[4:5], v8, s12, 0
	v_add3_u32 v27, v27, v30, v1
	s_and_b64 vcc, exec, s[2:3]
	v_lshl_add_u64 v[26:27], v[26:27], 3, s[14:15]
	s_cbranch_vccnz .LBB790_386
; %bb.378:
	global_load_dwordx2 v[30:31], v[28:29], off
	global_load_dwordx2 v[32:33], v[26:27], off
	v_mov_b64_e32 v[64:65], 1
	s_waitcnt vmcnt(0)
	v_cmp_eq_f64_e32 vcc, v[30:31], v[32:33]
	s_and_saveexec_b64 s[4:5], vcc
	s_cbranch_execz .LBB790_385
; %bb.379:
	s_add_u32 s20, s12, -1
	v_lshl_add_u64 v[30:31], v[26:27], 0, 8
	v_lshl_add_u64 v[28:29], v[28:29], 0, 8
	s_addc_u32 s21, s13, -1
	s_mov_b64 s[22:23], 0
	s_mov_b64 s[26:27], 0
                                        ; implicit-def: $sgpr24_sgpr25
	s_branch .LBB790_382
.LBB790_380:                            ;   in Loop: Header=BB790_382 Depth=1
	global_load_dwordx2 v[32:33], v[28:29], off
	global_load_dwordx2 v[34:35], v[30:31], off
	s_add_u32 s26, s26, 1
	s_addc_u32 s27, s27, 0
	s_andn2_b64 s[24:25], s[24:25], exec
	v_lshl_add_u64 v[30:31], v[30:31], 0, 8
	v_lshl_add_u64 v[28:29], v[28:29], 0, 8
	s_waitcnt vmcnt(0)
	v_cmp_neq_f64_e32 vcc, v[32:33], v[34:35]
	s_and_b64 s[28:29], vcc, exec
	s_or_b64 s[24:25], s[24:25], s[28:29]
.LBB790_381:                            ;   in Loop: Header=BB790_382 Depth=1
	s_and_b64 s[28:29], exec, s[24:25]
	s_or_b64 s[22:23], s[28:29], s[22:23]
	v_mov_b64_e32 v[32:33], s[26:27]
	s_andn2_b64 exec, exec, s[22:23]
	s_cbranch_execz .LBB790_384
.LBB790_382:                            ; =>This Inner Loop Header: Depth=1
	s_or_b64 s[24:25], s[24:25], exec
	s_cmp_eq_u64 s[20:21], s[26:27]
	s_cbranch_scc0 .LBB790_380
; %bb.383:                              ;   in Loop: Header=BB790_382 Depth=1
                                        ; implicit-def: $vgpr30_vgpr31
                                        ; implicit-def: $vgpr28_vgpr29
	s_mov_b64 s[26:27], s[12:13]
	s_branch .LBB790_381
.LBB790_384:
	s_or_b64 exec, exec, s[22:23]
	v_cmp_gt_i64_e32 vcc, s[12:13], v[32:33]
	s_mov_b32 s7, 0
	v_mov_b32_e32 v65, s7
	v_cndmask_b32_e64 v64, 0, 1, vcc
.LBB790_385:
	s_or_b64 exec, exec, s[4:5]
.LBB790_386:
	v_mul_lo_u32 v1, v7, s12
	v_mul_lo_u32 v30, v6, s13
	v_mad_u64_u32 v[28:29], s[4:5], v6, s12, 0
	v_add3_u32 v29, v29, v30, v1
	v_mov_b64_e32 v[68:69], 0
	s_and_b64 vcc, exec, s[2:3]
	v_lshl_add_u64 v[28:29], v[28:29], 3, s[14:15]
	v_mov_b64_e32 v[66:67], v[68:69]
	s_cbranch_vccnz .LBB790_395
; %bb.387:
	global_load_dwordx2 v[30:31], v[26:27], off
	global_load_dwordx2 v[32:33], v[28:29], off
	v_mov_b64_e32 v[66:67], 1
	s_waitcnt vmcnt(0)
	v_cmp_eq_f64_e32 vcc, v[30:31], v[32:33]
	s_and_saveexec_b64 s[4:5], vcc
	s_cbranch_execz .LBB790_394
; %bb.388:
	s_add_u32 s20, s12, -1
	v_lshl_add_u64 v[30:31], v[28:29], 0, 8
	v_lshl_add_u64 v[26:27], v[26:27], 0, 8
	s_addc_u32 s21, s13, -1
	s_mov_b64 s[22:23], 0
	s_mov_b64 s[26:27], 0
                                        ; implicit-def: $sgpr24_sgpr25
	s_branch .LBB790_391
.LBB790_389:                            ;   in Loop: Header=BB790_391 Depth=1
	global_load_dwordx2 v[32:33], v[26:27], off
	global_load_dwordx2 v[34:35], v[30:31], off
	s_add_u32 s26, s26, 1
	s_addc_u32 s27, s27, 0
	s_andn2_b64 s[24:25], s[24:25], exec
	v_lshl_add_u64 v[30:31], v[30:31], 0, 8
	v_lshl_add_u64 v[26:27], v[26:27], 0, 8
	s_waitcnt vmcnt(0)
	v_cmp_neq_f64_e32 vcc, v[32:33], v[34:35]
	s_and_b64 s[28:29], vcc, exec
	s_or_b64 s[24:25], s[24:25], s[28:29]
.LBB790_390:                            ;   in Loop: Header=BB790_391 Depth=1
	s_and_b64 s[28:29], exec, s[24:25]
	s_or_b64 s[22:23], s[28:29], s[22:23]
	v_mov_b64_e32 v[32:33], s[26:27]
	s_andn2_b64 exec, exec, s[22:23]
	s_cbranch_execz .LBB790_393
.LBB790_391:                            ; =>This Inner Loop Header: Depth=1
	s_or_b64 s[24:25], s[24:25], exec
	s_cmp_eq_u64 s[20:21], s[26:27]
	s_cbranch_scc0 .LBB790_389
; %bb.392:                              ;   in Loop: Header=BB790_391 Depth=1
                                        ; implicit-def: $vgpr30_vgpr31
                                        ; implicit-def: $vgpr26_vgpr27
	s_mov_b64 s[26:27], s[12:13]
	s_branch .LBB790_390
.LBB790_393:
	s_or_b64 exec, exec, s[22:23]
	v_cmp_gt_i64_e32 vcc, s[12:13], v[32:33]
	s_mov_b32 s7, 0
	v_mov_b32_e32 v67, s7
	v_cndmask_b32_e64 v66, 0, 1, vcc
.LBB790_394:
	s_or_b64 exec, exec, s[4:5]
.LBB790_395:
	v_mul_lo_u32 v1, v5, s12
	v_mul_lo_u32 v30, v4, s13
	v_mad_u64_u32 v[26:27], s[4:5], v4, s12, 0
	v_add3_u32 v27, v27, v30, v1
	s_and_b64 vcc, exec, s[2:3]
	v_lshl_add_u64 v[26:27], v[26:27], 3, s[14:15]
	s_cbranch_vccnz .LBB790_404
; %bb.396:
	global_load_dwordx2 v[30:31], v[28:29], off
	global_load_dwordx2 v[32:33], v[26:27], off
	v_mov_b64_e32 v[68:69], 1
	s_waitcnt vmcnt(0)
	v_cmp_eq_f64_e32 vcc, v[30:31], v[32:33]
	s_and_saveexec_b64 s[4:5], vcc
	s_cbranch_execz .LBB790_403
; %bb.397:
	s_add_u32 s20, s12, -1
	v_lshl_add_u64 v[30:31], v[26:27], 0, 8
	v_lshl_add_u64 v[28:29], v[28:29], 0, 8
	s_addc_u32 s21, s13, -1
	s_mov_b64 s[22:23], 0
	s_mov_b64 s[26:27], 0
                                        ; implicit-def: $sgpr24_sgpr25
	s_branch .LBB790_400
.LBB790_398:                            ;   in Loop: Header=BB790_400 Depth=1
	global_load_dwordx2 v[32:33], v[28:29], off
	global_load_dwordx2 v[34:35], v[30:31], off
	s_add_u32 s26, s26, 1
	s_addc_u32 s27, s27, 0
	s_andn2_b64 s[24:25], s[24:25], exec
	v_lshl_add_u64 v[30:31], v[30:31], 0, 8
	v_lshl_add_u64 v[28:29], v[28:29], 0, 8
	s_waitcnt vmcnt(0)
	v_cmp_neq_f64_e32 vcc, v[32:33], v[34:35]
	s_and_b64 s[28:29], vcc, exec
	s_or_b64 s[24:25], s[24:25], s[28:29]
.LBB790_399:                            ;   in Loop: Header=BB790_400 Depth=1
	s_and_b64 s[28:29], exec, s[24:25]
	s_or_b64 s[22:23], s[28:29], s[22:23]
	v_mov_b64_e32 v[32:33], s[26:27]
	s_andn2_b64 exec, exec, s[22:23]
	s_cbranch_execz .LBB790_402
.LBB790_400:                            ; =>This Inner Loop Header: Depth=1
	s_or_b64 s[24:25], s[24:25], exec
	s_cmp_eq_u64 s[20:21], s[26:27]
	s_cbranch_scc0 .LBB790_398
; %bb.401:                              ;   in Loop: Header=BB790_400 Depth=1
                                        ; implicit-def: $vgpr30_vgpr31
                                        ; implicit-def: $vgpr28_vgpr29
	s_mov_b64 s[26:27], s[12:13]
	s_branch .LBB790_399
.LBB790_402:
	s_or_b64 exec, exec, s[22:23]
	v_cmp_gt_i64_e32 vcc, s[12:13], v[32:33]
	s_mov_b32 s7, 0
	v_mov_b32_e32 v69, s7
	v_cndmask_b32_e64 v68, 0, 1, vcc
.LBB790_403:
	s_or_b64 exec, exec, s[4:5]
.LBB790_404:
	s_and_b64 vcc, exec, s[2:3]
	s_cbranch_vccnz .LBB790_411
; %bb.405:
	v_mul_lo_u32 v1, v3, s12
	v_mul_lo_u32 v30, v2, s13
	v_mad_u64_u32 v[28:29], s[4:5], v2, s12, 0
	v_add3_u32 v29, v29, v30, v1
	v_lshl_add_u64 v[28:29], v[28:29], 3, s[14:15]
	global_load_dwordx2 v[30:31], v[26:27], off
	global_load_dwordx2 v[32:33], v[28:29], off
	v_mov_b64_e32 v[70:71], 1
	s_waitcnt vmcnt(0)
	v_cmp_eq_f64_e32 vcc, v[30:31], v[32:33]
	s_and_saveexec_b64 s[4:5], vcc
	s_cbranch_execz .LBB790_413
; %bb.406:
	s_add_u32 s20, s12, -1
	v_lshl_add_u64 v[28:29], v[28:29], 0, 8
	v_lshl_add_u64 v[26:27], v[26:27], 0, 8
	s_addc_u32 s21, s13, -1
	s_mov_b64 s[22:23], 0
	s_mov_b64 s[26:27], 0
                                        ; implicit-def: $sgpr24_sgpr25
	s_branch .LBB790_409
.LBB790_407:                            ;   in Loop: Header=BB790_409 Depth=1
	global_load_dwordx2 v[30:31], v[26:27], off
	global_load_dwordx2 v[32:33], v[28:29], off
	s_add_u32 s26, s26, 1
	s_addc_u32 s27, s27, 0
	s_andn2_b64 s[24:25], s[24:25], exec
	v_lshl_add_u64 v[28:29], v[28:29], 0, 8
	v_lshl_add_u64 v[26:27], v[26:27], 0, 8
	s_waitcnt vmcnt(0)
	v_cmp_neq_f64_e32 vcc, v[30:31], v[32:33]
	s_and_b64 s[28:29], vcc, exec
	s_or_b64 s[24:25], s[24:25], s[28:29]
.LBB790_408:                            ;   in Loop: Header=BB790_409 Depth=1
	s_and_b64 s[28:29], exec, s[24:25]
	s_or_b64 s[22:23], s[28:29], s[22:23]
	v_mov_b64_e32 v[30:31], s[26:27]
	s_andn2_b64 exec, exec, s[22:23]
	s_cbranch_execz .LBB790_412
.LBB790_409:                            ; =>This Inner Loop Header: Depth=1
	s_or_b64 s[24:25], s[24:25], exec
	s_cmp_eq_u64 s[20:21], s[26:27]
	s_cbranch_scc0 .LBB790_407
; %bb.410:                              ;   in Loop: Header=BB790_409 Depth=1
                                        ; implicit-def: $vgpr28_vgpr29
                                        ; implicit-def: $vgpr26_vgpr27
	s_mov_b64 s[26:27], s[12:13]
	s_branch .LBB790_408
.LBB790_411:
	v_mov_b64_e32 v[70:71], 0
	s_branch .LBB790_414
.LBB790_412:
	s_or_b64 exec, exec, s[22:23]
	v_cmp_gt_i64_e32 vcc, s[12:13], v[30:31]
	s_mov_b32 s7, 0
	v_mov_b32_e32 v71, s7
	v_cndmask_b32_e64 v70, 0, 1, vcc
.LBB790_413:
	s_or_b64 exec, exec, s[4:5]
.LBB790_414:
	v_cmp_ne_u32_e32 vcc, 0, v0
	s_waitcnt lgkmcnt(0)
	; wave barrier
	s_waitcnt lgkmcnt(0)
                                        ; implicit-def: $sgpr24_sgpr25
	s_and_saveexec_b64 s[4:5], vcc
	s_cbranch_execz .LBB790_426
; %bb.415:
	s_and_b64 vcc, exec, s[2:3]
	s_cbranch_vccnz .LBB790_422
; %bb.416:
	v_add_u32_e32 v26, -8, v48
	ds_read_b64 v[26:27], v26
	v_mul_lo_u32 v1, v3, s12
	v_mul_lo_u32 v30, v2, s13
	v_mad_u64_u32 v[28:29], s[2:3], v2, s12, 0
	v_add3_u32 v29, v29, v30, v1
	s_waitcnt lgkmcnt(0)
	v_mul_lo_u32 v1, v27, s12
	v_mul_lo_u32 v30, v26, s13
	v_mad_u64_u32 v[26:27], s[2:3], v26, s12, 0
	v_add3_u32 v27, v27, v30, v1
	v_lshl_add_u64 v[28:29], v[28:29], 3, s[14:15]
	v_lshl_add_u64 v[26:27], v[26:27], 3, s[14:15]
	global_load_dwordx2 v[30:31], v[28:29], off
	global_load_dwordx2 v[32:33], v[26:27], off
	s_mov_b64 s[20:21], -1
	s_waitcnt vmcnt(0)
	v_cmp_eq_f64_e32 vcc, v[30:31], v[32:33]
	s_and_saveexec_b64 s[2:3], vcc
	s_cbranch_execz .LBB790_424
; %bb.417:
	s_add_u32 s20, s12, -1
	v_lshl_add_u64 v[26:27], v[26:27], 0, 8
	v_lshl_add_u64 v[28:29], v[28:29], 0, 8
	s_addc_u32 s21, s13, -1
	s_mov_b64 s[22:23], 0
	s_mov_b64 s[26:27], 0
                                        ; implicit-def: $sgpr24_sgpr25
	s_branch .LBB790_420
.LBB790_418:                            ;   in Loop: Header=BB790_420 Depth=1
	global_load_dwordx2 v[30:31], v[28:29], off
	global_load_dwordx2 v[32:33], v[26:27], off
	s_add_u32 s26, s26, 1
	s_addc_u32 s27, s27, 0
	s_andn2_b64 s[24:25], s[24:25], exec
	v_lshl_add_u64 v[26:27], v[26:27], 0, 8
	v_lshl_add_u64 v[28:29], v[28:29], 0, 8
	s_waitcnt vmcnt(0)
	v_cmp_neq_f64_e32 vcc, v[30:31], v[32:33]
	s_and_b64 s[28:29], vcc, exec
	s_or_b64 s[24:25], s[24:25], s[28:29]
.LBB790_419:                            ;   in Loop: Header=BB790_420 Depth=1
	s_and_b64 s[28:29], exec, s[24:25]
	s_or_b64 s[22:23], s[28:29], s[22:23]
	v_mov_b64_e32 v[30:31], s[26:27]
	s_andn2_b64 exec, exec, s[22:23]
	s_cbranch_execz .LBB790_423
.LBB790_420:                            ; =>This Inner Loop Header: Depth=1
	s_or_b64 s[24:25], s[24:25], exec
	s_cmp_eq_u64 s[20:21], s[26:27]
	s_cbranch_scc0 .LBB790_418
; %bb.421:                              ;   in Loop: Header=BB790_420 Depth=1
                                        ; implicit-def: $vgpr26_vgpr27
                                        ; implicit-def: $vgpr28_vgpr29
	s_mov_b64 s[26:27], s[12:13]
	s_branch .LBB790_419
.LBB790_422:
	s_mov_b64 s[20:21], 0
	s_branch .LBB790_425
.LBB790_423:
	s_or_b64 exec, exec, s[22:23]
	v_cmp_gt_i64_e32 vcc, s[12:13], v[30:31]
	s_orn2_b64 s[20:21], vcc, exec
.LBB790_424:
	s_or_b64 exec, exec, s[2:3]
.LBB790_425:
	s_and_b64 s[24:25], s[20:21], exec
	s_or_b64 s[18:19], s[18:19], exec
.LBB790_426:
	s_or_b64 exec, exec, s[4:5]
	v_mov_b64_e32 v[72:73], v[52:53]
	v_mov_b64_e32 v[26:27], v[46:47]
	v_mov_b64_e32 v[82:83], v[70:71]
	v_mov_b64_e32 v[74:75], v[68:69]
	v_mov_b64_e32 v[42:43], v[66:67]
	v_mov_b64_e32 v[76:77], v[64:65]
	v_mov_b64_e32 v[38:39], v[62:63]
	v_mov_b64_e32 v[78:79], v[60:61]
	v_mov_b64_e32 v[34:35], v[58:59]
	v_mov_b64_e32 v[80:81], v[56:57]
	v_mov_b64_e32 v[30:31], v[54:55]
	s_branch .LBB790_572
.LBB790_427:
	s_waitcnt lgkmcnt(0)
	v_mad_u32_u24 v26, v0, 13, 12
	v_cmp_gt_i64_e64 s[2:3], s[12:13], 0
	v_cmp_gt_u32_e32 vcc, s10, v26
	v_mul_u32_u24_e32 v1, 13, v0
	v_cndmask_b32_e64 v26, 0, 1, s[2:3]
	v_cmp_ne_u32_e64 s[2:3], 1, v26
	ds_write_b64 v48, v[44:45]
	s_and_saveexec_b64 s[4:5], vcc
	s_cbranch_execz .LBB790_438
; %bb.428:
	s_and_b64 vcc, exec, s[2:3]
	s_cbranch_vccnz .LBB790_435
; %bb.429:
	v_mul_lo_u32 v28, v45, s12
	v_mul_lo_u32 v29, v44, s13
	v_mad_u64_u32 v[26:27], s[20:21], v44, s12, 0
	v_add3_u32 v27, v27, v29, v28
	v_mul_lo_u32 v28, v25, s12
	v_mul_lo_u32 v29, v24, s13
	v_mad_u64_u32 v[30:31], s[20:21], v24, s12, 0
	v_add3_u32 v31, v31, v29, v28
	v_lshl_add_u64 v[28:29], v[26:27], 3, s[14:15]
	v_lshl_add_u64 v[26:27], v[30:31], 3, s[14:15]
	global_load_dwordx2 v[30:31], v[28:29], off
	global_load_dwordx2 v[32:33], v[26:27], off
	v_mov_b64_e32 v[44:45], 1
	s_waitcnt vmcnt(0)
	v_cmp_eq_f64_e32 vcc, v[30:31], v[32:33]
	s_and_saveexec_b64 s[20:21], vcc
	s_cbranch_execz .LBB790_437
; %bb.430:
	s_add_u32 s22, s12, -1
	v_lshl_add_u64 v[26:27], v[26:27], 0, 8
	v_lshl_add_u64 v[28:29], v[28:29], 0, 8
	s_addc_u32 s23, s13, -1
	s_mov_b64 s[24:25], 0
	s_mov_b64 s[28:29], 0
                                        ; implicit-def: $sgpr26_sgpr27
	s_branch .LBB790_433
.LBB790_431:                            ;   in Loop: Header=BB790_433 Depth=1
	global_load_dwordx2 v[30:31], v[28:29], off
	global_load_dwordx2 v[32:33], v[26:27], off
	s_add_u32 s28, s28, 1
	s_addc_u32 s29, s29, 0
	s_andn2_b64 s[26:27], s[26:27], exec
	v_lshl_add_u64 v[26:27], v[26:27], 0, 8
	v_lshl_add_u64 v[28:29], v[28:29], 0, 8
	s_waitcnt vmcnt(0)
	v_cmp_neq_f64_e32 vcc, v[30:31], v[32:33]
	s_and_b64 s[30:31], vcc, exec
	s_or_b64 s[26:27], s[26:27], s[30:31]
.LBB790_432:                            ;   in Loop: Header=BB790_433 Depth=1
	s_and_b64 s[30:31], exec, s[26:27]
	s_or_b64 s[24:25], s[30:31], s[24:25]
	v_mov_b64_e32 v[30:31], s[28:29]
	s_andn2_b64 exec, exec, s[24:25]
	s_cbranch_execz .LBB790_436
.LBB790_433:                            ; =>This Inner Loop Header: Depth=1
	s_or_b64 s[26:27], s[26:27], exec
	s_cmp_eq_u64 s[22:23], s[28:29]
	s_cbranch_scc0 .LBB790_431
; %bb.434:                              ;   in Loop: Header=BB790_433 Depth=1
                                        ; implicit-def: $vgpr26_vgpr27
                                        ; implicit-def: $vgpr28_vgpr29
	s_mov_b64 s[28:29], s[12:13]
	s_branch .LBB790_432
.LBB790_435:
	v_mov_b64_e32 v[44:45], 0
	s_branch .LBB790_438
.LBB790_436:
	s_or_b64 exec, exec, s[24:25]
	v_cmp_gt_i64_e32 vcc, s[12:13], v[30:31]
	s_mov_b32 s7, 0
	v_mov_b32_e32 v45, s7
	v_cndmask_b32_e64 v44, 0, 1, vcc
.LBB790_437:
	s_or_b64 exec, exec, s[20:21]
.LBB790_438:
	s_or_b64 exec, exec, s[4:5]
	v_add_u32_e32 v26, 11, v1
	v_cmp_gt_u32_e32 vcc, s10, v26
	s_and_saveexec_b64 s[4:5], vcc
	s_cbranch_execz .LBB790_449
; %bb.439:
	s_and_b64 vcc, exec, s[2:3]
	s_cbranch_vccnz .LBB790_446
; %bb.440:
	v_mul_lo_u32 v26, v25, s12
	v_mul_lo_u32 v27, v24, s13
	v_mad_u64_u32 v[24:25], s[20:21], v24, s12, 0
	v_add3_u32 v25, v25, v27, v26
	v_mul_lo_u32 v26, v23, s12
	v_mul_lo_u32 v27, v22, s13
	v_mad_u64_u32 v[28:29], s[20:21], v22, s12, 0
	v_add3_u32 v29, v29, v27, v26
	v_lshl_add_u64 v[26:27], v[24:25], 3, s[14:15]
	v_lshl_add_u64 v[28:29], v[28:29], 3, s[14:15]
	global_load_dwordx2 v[24:25], v[26:27], off
	global_load_dwordx2 v[30:31], v[28:29], off
	s_waitcnt vmcnt(0)
	v_cmp_eq_f64_e32 vcc, v[24:25], v[30:31]
	v_mov_b64_e32 v[24:25], 1
	s_and_saveexec_b64 s[20:21], vcc
	s_cbranch_execz .LBB790_448
; %bb.441:
	s_add_u32 s22, s12, -1
	v_lshl_add_u64 v[24:25], v[28:29], 0, 8
	v_lshl_add_u64 v[26:27], v[26:27], 0, 8
	s_addc_u32 s23, s13, -1
	s_mov_b64 s[24:25], 0
	s_mov_b64 s[28:29], 0
                                        ; implicit-def: $sgpr26_sgpr27
	s_branch .LBB790_444
.LBB790_442:                            ;   in Loop: Header=BB790_444 Depth=1
	global_load_dwordx2 v[28:29], v[26:27], off
	global_load_dwordx2 v[30:31], v[24:25], off
	s_add_u32 s28, s28, 1
	s_addc_u32 s29, s29, 0
	s_andn2_b64 s[26:27], s[26:27], exec
	v_lshl_add_u64 v[24:25], v[24:25], 0, 8
	v_lshl_add_u64 v[26:27], v[26:27], 0, 8
	s_waitcnt vmcnt(0)
	v_cmp_neq_f64_e32 vcc, v[28:29], v[30:31]
	s_and_b64 s[30:31], vcc, exec
	s_or_b64 s[26:27], s[26:27], s[30:31]
.LBB790_443:                            ;   in Loop: Header=BB790_444 Depth=1
	s_and_b64 s[30:31], exec, s[26:27]
	s_or_b64 s[24:25], s[30:31], s[24:25]
	v_mov_b64_e32 v[28:29], s[28:29]
	s_andn2_b64 exec, exec, s[24:25]
	s_cbranch_execz .LBB790_447
.LBB790_444:                            ; =>This Inner Loop Header: Depth=1
	s_or_b64 s[26:27], s[26:27], exec
	s_cmp_eq_u64 s[22:23], s[28:29]
	s_cbranch_scc0 .LBB790_442
; %bb.445:                              ;   in Loop: Header=BB790_444 Depth=1
                                        ; implicit-def: $vgpr24_vgpr25
                                        ; implicit-def: $vgpr26_vgpr27
	s_mov_b64 s[28:29], s[12:13]
	s_branch .LBB790_443
.LBB790_446:
	v_mov_b64_e32 v[24:25], 0
	s_branch .LBB790_449
.LBB790_447:
	s_or_b64 exec, exec, s[24:25]
	v_cmp_gt_i64_e32 vcc, s[12:13], v[28:29]
	s_mov_b32 s7, 0
	v_mov_b32_e32 v25, s7
	v_cndmask_b32_e64 v24, 0, 1, vcc
.LBB790_448:
	s_or_b64 exec, exec, s[20:21]
.LBB790_449:
	s_or_b64 exec, exec, s[4:5]
	v_add_u32_e32 v26, 10, v1
	v_cmp_gt_u32_e32 vcc, s10, v26
	s_and_saveexec_b64 s[4:5], vcc
	s_cbranch_execz .LBB790_460
; %bb.450:
	s_and_b64 vcc, exec, s[2:3]
	s_cbranch_vccnz .LBB790_457
; %bb.451:
	v_mul_lo_u32 v26, v23, s12
	v_mul_lo_u32 v27, v22, s13
	v_mad_u64_u32 v[22:23], s[20:21], v22, s12, 0
	v_add3_u32 v23, v23, v27, v26
	v_mul_lo_u32 v26, v21, s12
	v_mul_lo_u32 v27, v20, s13
	v_mad_u64_u32 v[28:29], s[20:21], v20, s12, 0
	v_add3_u32 v29, v29, v27, v26
	v_lshl_add_u64 v[26:27], v[22:23], 3, s[14:15]
	v_lshl_add_u64 v[28:29], v[28:29], 3, s[14:15]
	global_load_dwordx2 v[22:23], v[26:27], off
	global_load_dwordx2 v[30:31], v[28:29], off
	s_waitcnt vmcnt(0)
	v_cmp_eq_f64_e32 vcc, v[22:23], v[30:31]
	v_mov_b64_e32 v[22:23], 1
	s_and_saveexec_b64 s[20:21], vcc
	s_cbranch_execz .LBB790_459
; %bb.452:
	s_add_u32 s22, s12, -1
	v_lshl_add_u64 v[22:23], v[28:29], 0, 8
	v_lshl_add_u64 v[26:27], v[26:27], 0, 8
	s_addc_u32 s23, s13, -1
	s_mov_b64 s[24:25], 0
	s_mov_b64 s[28:29], 0
                                        ; implicit-def: $sgpr26_sgpr27
	s_branch .LBB790_455
.LBB790_453:                            ;   in Loop: Header=BB790_455 Depth=1
	global_load_dwordx2 v[28:29], v[26:27], off
	global_load_dwordx2 v[30:31], v[22:23], off
	s_add_u32 s28, s28, 1
	s_addc_u32 s29, s29, 0
	s_andn2_b64 s[26:27], s[26:27], exec
	v_lshl_add_u64 v[22:23], v[22:23], 0, 8
	v_lshl_add_u64 v[26:27], v[26:27], 0, 8
	s_waitcnt vmcnt(0)
	v_cmp_neq_f64_e32 vcc, v[28:29], v[30:31]
	s_and_b64 s[30:31], vcc, exec
	s_or_b64 s[26:27], s[26:27], s[30:31]
.LBB790_454:                            ;   in Loop: Header=BB790_455 Depth=1
	s_and_b64 s[30:31], exec, s[26:27]
	s_or_b64 s[24:25], s[30:31], s[24:25]
	v_mov_b64_e32 v[28:29], s[28:29]
	s_andn2_b64 exec, exec, s[24:25]
	s_cbranch_execz .LBB790_458
.LBB790_455:                            ; =>This Inner Loop Header: Depth=1
	s_or_b64 s[26:27], s[26:27], exec
	s_cmp_eq_u64 s[22:23], s[28:29]
	s_cbranch_scc0 .LBB790_453
; %bb.456:                              ;   in Loop: Header=BB790_455 Depth=1
                                        ; implicit-def: $vgpr22_vgpr23
                                        ; implicit-def: $vgpr26_vgpr27
	s_mov_b64 s[28:29], s[12:13]
	s_branch .LBB790_454
.LBB790_457:
	v_mov_b64_e32 v[22:23], 0
	s_branch .LBB790_460
.LBB790_458:
	s_or_b64 exec, exec, s[24:25]
	v_cmp_gt_i64_e32 vcc, s[12:13], v[28:29]
	s_mov_b32 s7, 0
	v_mov_b32_e32 v23, s7
	v_cndmask_b32_e64 v22, 0, 1, vcc
.LBB790_459:
	s_or_b64 exec, exec, s[20:21]
.LBB790_460:
	s_or_b64 exec, exec, s[4:5]
	v_add_u32_e32 v26, 9, v1
	v_cmp_gt_u32_e32 vcc, s10, v26
	s_and_saveexec_b64 s[4:5], vcc
	s_cbranch_execz .LBB790_471
; %bb.461:
	s_and_b64 vcc, exec, s[2:3]
	s_cbranch_vccnz .LBB790_468
; %bb.462:
	v_mul_lo_u32 v26, v21, s12
	v_mul_lo_u32 v27, v20, s13
	v_mad_u64_u32 v[20:21], s[20:21], v20, s12, 0
	v_add3_u32 v21, v21, v27, v26
	v_mul_lo_u32 v26, v19, s12
	v_mul_lo_u32 v27, v18, s13
	v_mad_u64_u32 v[28:29], s[20:21], v18, s12, 0
	v_add3_u32 v29, v29, v27, v26
	v_lshl_add_u64 v[26:27], v[20:21], 3, s[14:15]
	v_lshl_add_u64 v[28:29], v[28:29], 3, s[14:15]
	global_load_dwordx2 v[20:21], v[26:27], off
	global_load_dwordx2 v[30:31], v[28:29], off
	s_waitcnt vmcnt(0)
	v_cmp_eq_f64_e32 vcc, v[20:21], v[30:31]
	v_mov_b64_e32 v[20:21], 1
	s_and_saveexec_b64 s[20:21], vcc
	s_cbranch_execz .LBB790_470
; %bb.463:
	s_add_u32 s22, s12, -1
	v_lshl_add_u64 v[20:21], v[28:29], 0, 8
	v_lshl_add_u64 v[26:27], v[26:27], 0, 8
	s_addc_u32 s23, s13, -1
	s_mov_b64 s[24:25], 0
	s_mov_b64 s[28:29], 0
                                        ; implicit-def: $sgpr26_sgpr27
	s_branch .LBB790_466
.LBB790_464:                            ;   in Loop: Header=BB790_466 Depth=1
	global_load_dwordx2 v[28:29], v[26:27], off
	global_load_dwordx2 v[30:31], v[20:21], off
	s_add_u32 s28, s28, 1
	s_addc_u32 s29, s29, 0
	s_andn2_b64 s[26:27], s[26:27], exec
	v_lshl_add_u64 v[20:21], v[20:21], 0, 8
	v_lshl_add_u64 v[26:27], v[26:27], 0, 8
	s_waitcnt vmcnt(0)
	v_cmp_neq_f64_e32 vcc, v[28:29], v[30:31]
	s_and_b64 s[30:31], vcc, exec
	s_or_b64 s[26:27], s[26:27], s[30:31]
.LBB790_465:                            ;   in Loop: Header=BB790_466 Depth=1
	s_and_b64 s[30:31], exec, s[26:27]
	s_or_b64 s[24:25], s[30:31], s[24:25]
	v_mov_b64_e32 v[28:29], s[28:29]
	s_andn2_b64 exec, exec, s[24:25]
	s_cbranch_execz .LBB790_469
.LBB790_466:                            ; =>This Inner Loop Header: Depth=1
	s_or_b64 s[26:27], s[26:27], exec
	s_cmp_eq_u64 s[22:23], s[28:29]
	s_cbranch_scc0 .LBB790_464
; %bb.467:                              ;   in Loop: Header=BB790_466 Depth=1
                                        ; implicit-def: $vgpr20_vgpr21
                                        ; implicit-def: $vgpr26_vgpr27
	s_mov_b64 s[28:29], s[12:13]
	s_branch .LBB790_465
.LBB790_468:
	v_mov_b64_e32 v[20:21], 0
	s_branch .LBB790_471
.LBB790_469:
	s_or_b64 exec, exec, s[24:25]
	v_cmp_gt_i64_e32 vcc, s[12:13], v[28:29]
	s_mov_b32 s7, 0
	v_mov_b32_e32 v21, s7
	v_cndmask_b32_e64 v20, 0, 1, vcc
.LBB790_470:
	s_or_b64 exec, exec, s[20:21]
.LBB790_471:
	s_or_b64 exec, exec, s[4:5]
	v_add_u32_e32 v26, 8, v1
	v_cmp_gt_u32_e32 vcc, s10, v26
	s_and_saveexec_b64 s[4:5], vcc
	s_cbranch_execz .LBB790_482
; %bb.472:
	s_and_b64 vcc, exec, s[2:3]
	s_cbranch_vccnz .LBB790_479
; %bb.473:
	v_mul_lo_u32 v26, v19, s12
	v_mul_lo_u32 v27, v18, s13
	v_mad_u64_u32 v[18:19], s[20:21], v18, s12, 0
	v_add3_u32 v19, v19, v27, v26
	v_mul_lo_u32 v26, v17, s12
	v_mul_lo_u32 v27, v16, s13
	v_mad_u64_u32 v[28:29], s[20:21], v16, s12, 0
	v_add3_u32 v29, v29, v27, v26
	v_lshl_add_u64 v[26:27], v[18:19], 3, s[14:15]
	v_lshl_add_u64 v[28:29], v[28:29], 3, s[14:15]
	global_load_dwordx2 v[18:19], v[26:27], off
	global_load_dwordx2 v[30:31], v[28:29], off
	s_waitcnt vmcnt(0)
	v_cmp_eq_f64_e32 vcc, v[18:19], v[30:31]
	v_mov_b64_e32 v[18:19], 1
	s_and_saveexec_b64 s[20:21], vcc
	s_cbranch_execz .LBB790_481
; %bb.474:
	s_add_u32 s22, s12, -1
	v_lshl_add_u64 v[18:19], v[28:29], 0, 8
	v_lshl_add_u64 v[26:27], v[26:27], 0, 8
	s_addc_u32 s23, s13, -1
	s_mov_b64 s[24:25], 0
	s_mov_b64 s[28:29], 0
                                        ; implicit-def: $sgpr26_sgpr27
	s_branch .LBB790_477
.LBB790_475:                            ;   in Loop: Header=BB790_477 Depth=1
	global_load_dwordx2 v[28:29], v[26:27], off
	global_load_dwordx2 v[30:31], v[18:19], off
	s_add_u32 s28, s28, 1
	s_addc_u32 s29, s29, 0
	s_andn2_b64 s[26:27], s[26:27], exec
	v_lshl_add_u64 v[18:19], v[18:19], 0, 8
	v_lshl_add_u64 v[26:27], v[26:27], 0, 8
	s_waitcnt vmcnt(0)
	v_cmp_neq_f64_e32 vcc, v[28:29], v[30:31]
	s_and_b64 s[30:31], vcc, exec
	s_or_b64 s[26:27], s[26:27], s[30:31]
.LBB790_476:                            ;   in Loop: Header=BB790_477 Depth=1
	s_and_b64 s[30:31], exec, s[26:27]
	s_or_b64 s[24:25], s[30:31], s[24:25]
	v_mov_b64_e32 v[28:29], s[28:29]
	s_andn2_b64 exec, exec, s[24:25]
	s_cbranch_execz .LBB790_480
.LBB790_477:                            ; =>This Inner Loop Header: Depth=1
	s_or_b64 s[26:27], s[26:27], exec
	s_cmp_eq_u64 s[22:23], s[28:29]
	s_cbranch_scc0 .LBB790_475
; %bb.478:                              ;   in Loop: Header=BB790_477 Depth=1
                                        ; implicit-def: $vgpr18_vgpr19
                                        ; implicit-def: $vgpr26_vgpr27
	s_mov_b64 s[28:29], s[12:13]
	s_branch .LBB790_476
.LBB790_479:
	v_mov_b64_e32 v[18:19], 0
	s_branch .LBB790_482
.LBB790_480:
	s_or_b64 exec, exec, s[24:25]
	v_cmp_gt_i64_e32 vcc, s[12:13], v[28:29]
	s_mov_b32 s7, 0
	v_mov_b32_e32 v19, s7
	v_cndmask_b32_e64 v18, 0, 1, vcc
.LBB790_481:
	s_or_b64 exec, exec, s[20:21]
.LBB790_482:
	s_or_b64 exec, exec, s[4:5]
	v_add_u32_e32 v26, 7, v1
	v_cmp_gt_u32_e32 vcc, s10, v26
	s_and_saveexec_b64 s[4:5], vcc
	s_cbranch_execz .LBB790_493
; %bb.483:
	s_and_b64 vcc, exec, s[2:3]
	s_cbranch_vccnz .LBB790_490
; %bb.484:
	v_mul_lo_u32 v26, v17, s12
	v_mul_lo_u32 v27, v16, s13
	v_mad_u64_u32 v[16:17], s[20:21], v16, s12, 0
	v_add3_u32 v17, v17, v27, v26
	v_mul_lo_u32 v26, v15, s12
	v_mul_lo_u32 v27, v14, s13
	v_mad_u64_u32 v[28:29], s[20:21], v14, s12, 0
	v_add3_u32 v29, v29, v27, v26
	v_lshl_add_u64 v[26:27], v[16:17], 3, s[14:15]
	v_lshl_add_u64 v[28:29], v[28:29], 3, s[14:15]
	global_load_dwordx2 v[16:17], v[26:27], off
	global_load_dwordx2 v[30:31], v[28:29], off
	s_waitcnt vmcnt(0)
	v_cmp_eq_f64_e32 vcc, v[16:17], v[30:31]
	v_mov_b64_e32 v[16:17], 1
	s_and_saveexec_b64 s[20:21], vcc
	s_cbranch_execz .LBB790_492
; %bb.485:
	s_add_u32 s22, s12, -1
	v_lshl_add_u64 v[16:17], v[28:29], 0, 8
	v_lshl_add_u64 v[26:27], v[26:27], 0, 8
	s_addc_u32 s23, s13, -1
	s_mov_b64 s[24:25], 0
	s_mov_b64 s[28:29], 0
                                        ; implicit-def: $sgpr26_sgpr27
	s_branch .LBB790_488
.LBB790_486:                            ;   in Loop: Header=BB790_488 Depth=1
	global_load_dwordx2 v[28:29], v[26:27], off
	global_load_dwordx2 v[30:31], v[16:17], off
	s_add_u32 s28, s28, 1
	s_addc_u32 s29, s29, 0
	s_andn2_b64 s[26:27], s[26:27], exec
	v_lshl_add_u64 v[16:17], v[16:17], 0, 8
	v_lshl_add_u64 v[26:27], v[26:27], 0, 8
	s_waitcnt vmcnt(0)
	v_cmp_neq_f64_e32 vcc, v[28:29], v[30:31]
	s_and_b64 s[30:31], vcc, exec
	s_or_b64 s[26:27], s[26:27], s[30:31]
.LBB790_487:                            ;   in Loop: Header=BB790_488 Depth=1
	s_and_b64 s[30:31], exec, s[26:27]
	s_or_b64 s[24:25], s[30:31], s[24:25]
	v_mov_b64_e32 v[28:29], s[28:29]
	s_andn2_b64 exec, exec, s[24:25]
	s_cbranch_execz .LBB790_491
.LBB790_488:                            ; =>This Inner Loop Header: Depth=1
	s_or_b64 s[26:27], s[26:27], exec
	s_cmp_eq_u64 s[22:23], s[28:29]
	s_cbranch_scc0 .LBB790_486
; %bb.489:                              ;   in Loop: Header=BB790_488 Depth=1
                                        ; implicit-def: $vgpr16_vgpr17
                                        ; implicit-def: $vgpr26_vgpr27
	s_mov_b64 s[28:29], s[12:13]
	s_branch .LBB790_487
.LBB790_490:
	v_mov_b64_e32 v[16:17], 0
	s_branch .LBB790_493
.LBB790_491:
	s_or_b64 exec, exec, s[24:25]
	v_cmp_gt_i64_e32 vcc, s[12:13], v[28:29]
	s_mov_b32 s7, 0
	v_mov_b32_e32 v17, s7
	v_cndmask_b32_e64 v16, 0, 1, vcc
.LBB790_492:
	s_or_b64 exec, exec, s[20:21]
.LBB790_493:
	s_or_b64 exec, exec, s[4:5]
	v_add_u32_e32 v26, 6, v1
	v_cmp_gt_u32_e32 vcc, s10, v26
	s_and_saveexec_b64 s[4:5], vcc
	s_cbranch_execz .LBB790_504
; %bb.494:
	s_and_b64 vcc, exec, s[2:3]
	s_cbranch_vccnz .LBB790_501
; %bb.495:
	v_mul_lo_u32 v26, v15, s12
	v_mul_lo_u32 v27, v14, s13
	v_mad_u64_u32 v[14:15], s[20:21], v14, s12, 0
	v_add3_u32 v15, v15, v27, v26
	v_mul_lo_u32 v26, v13, s12
	v_mul_lo_u32 v27, v12, s13
	v_mad_u64_u32 v[28:29], s[20:21], v12, s12, 0
	v_add3_u32 v29, v29, v27, v26
	v_lshl_add_u64 v[26:27], v[14:15], 3, s[14:15]
	v_lshl_add_u64 v[28:29], v[28:29], 3, s[14:15]
	global_load_dwordx2 v[14:15], v[26:27], off
	global_load_dwordx2 v[30:31], v[28:29], off
	s_waitcnt vmcnt(0)
	v_cmp_eq_f64_e32 vcc, v[14:15], v[30:31]
	v_mov_b64_e32 v[14:15], 1
	s_and_saveexec_b64 s[20:21], vcc
	s_cbranch_execz .LBB790_503
; %bb.496:
	s_add_u32 s22, s12, -1
	v_lshl_add_u64 v[14:15], v[28:29], 0, 8
	v_lshl_add_u64 v[26:27], v[26:27], 0, 8
	s_addc_u32 s23, s13, -1
	s_mov_b64 s[24:25], 0
	s_mov_b64 s[28:29], 0
                                        ; implicit-def: $sgpr26_sgpr27
	s_branch .LBB790_499
.LBB790_497:                            ;   in Loop: Header=BB790_499 Depth=1
	global_load_dwordx2 v[28:29], v[26:27], off
	global_load_dwordx2 v[30:31], v[14:15], off
	s_add_u32 s28, s28, 1
	s_addc_u32 s29, s29, 0
	s_andn2_b64 s[26:27], s[26:27], exec
	v_lshl_add_u64 v[14:15], v[14:15], 0, 8
	v_lshl_add_u64 v[26:27], v[26:27], 0, 8
	s_waitcnt vmcnt(0)
	v_cmp_neq_f64_e32 vcc, v[28:29], v[30:31]
	s_and_b64 s[30:31], vcc, exec
	s_or_b64 s[26:27], s[26:27], s[30:31]
.LBB790_498:                            ;   in Loop: Header=BB790_499 Depth=1
	s_and_b64 s[30:31], exec, s[26:27]
	s_or_b64 s[24:25], s[30:31], s[24:25]
	v_mov_b64_e32 v[28:29], s[28:29]
	s_andn2_b64 exec, exec, s[24:25]
	s_cbranch_execz .LBB790_502
.LBB790_499:                            ; =>This Inner Loop Header: Depth=1
	s_or_b64 s[26:27], s[26:27], exec
	s_cmp_eq_u64 s[22:23], s[28:29]
	s_cbranch_scc0 .LBB790_497
; %bb.500:                              ;   in Loop: Header=BB790_499 Depth=1
                                        ; implicit-def: $vgpr14_vgpr15
                                        ; implicit-def: $vgpr26_vgpr27
	s_mov_b64 s[28:29], s[12:13]
	s_branch .LBB790_498
.LBB790_501:
	v_mov_b64_e32 v[14:15], 0
	s_branch .LBB790_504
.LBB790_502:
	s_or_b64 exec, exec, s[24:25]
	v_cmp_gt_i64_e32 vcc, s[12:13], v[28:29]
	s_mov_b32 s7, 0
	v_mov_b32_e32 v15, s7
	v_cndmask_b32_e64 v14, 0, 1, vcc
.LBB790_503:
	s_or_b64 exec, exec, s[20:21]
.LBB790_504:
	s_or_b64 exec, exec, s[4:5]
	v_add_u32_e32 v26, 5, v1
	v_cmp_gt_u32_e32 vcc, s10, v26
	s_and_saveexec_b64 s[4:5], vcc
	s_cbranch_execz .LBB790_515
; %bb.505:
	s_and_b64 vcc, exec, s[2:3]
	s_cbranch_vccnz .LBB790_512
; %bb.506:
	v_mul_lo_u32 v26, v13, s12
	v_mul_lo_u32 v27, v12, s13
	v_mad_u64_u32 v[12:13], s[20:21], v12, s12, 0
	v_add3_u32 v13, v13, v27, v26
	v_mul_lo_u32 v26, v11, s12
	v_mul_lo_u32 v27, v10, s13
	v_mad_u64_u32 v[28:29], s[20:21], v10, s12, 0
	v_add3_u32 v29, v29, v27, v26
	v_lshl_add_u64 v[26:27], v[12:13], 3, s[14:15]
	v_lshl_add_u64 v[28:29], v[28:29], 3, s[14:15]
	global_load_dwordx2 v[12:13], v[26:27], off
	global_load_dwordx2 v[30:31], v[28:29], off
	s_waitcnt vmcnt(0)
	v_cmp_eq_f64_e32 vcc, v[12:13], v[30:31]
	v_mov_b64_e32 v[12:13], 1
	s_and_saveexec_b64 s[20:21], vcc
	s_cbranch_execz .LBB790_514
; %bb.507:
	s_add_u32 s22, s12, -1
	v_lshl_add_u64 v[12:13], v[28:29], 0, 8
	v_lshl_add_u64 v[26:27], v[26:27], 0, 8
	s_addc_u32 s23, s13, -1
	s_mov_b64 s[24:25], 0
	s_mov_b64 s[28:29], 0
                                        ; implicit-def: $sgpr26_sgpr27
	s_branch .LBB790_510
.LBB790_508:                            ;   in Loop: Header=BB790_510 Depth=1
	global_load_dwordx2 v[28:29], v[26:27], off
	global_load_dwordx2 v[30:31], v[12:13], off
	s_add_u32 s28, s28, 1
	s_addc_u32 s29, s29, 0
	s_andn2_b64 s[26:27], s[26:27], exec
	v_lshl_add_u64 v[12:13], v[12:13], 0, 8
	v_lshl_add_u64 v[26:27], v[26:27], 0, 8
	s_waitcnt vmcnt(0)
	v_cmp_neq_f64_e32 vcc, v[28:29], v[30:31]
	s_and_b64 s[30:31], vcc, exec
	s_or_b64 s[26:27], s[26:27], s[30:31]
.LBB790_509:                            ;   in Loop: Header=BB790_510 Depth=1
	s_and_b64 s[30:31], exec, s[26:27]
	s_or_b64 s[24:25], s[30:31], s[24:25]
	v_mov_b64_e32 v[28:29], s[28:29]
	s_andn2_b64 exec, exec, s[24:25]
	s_cbranch_execz .LBB790_513
.LBB790_510:                            ; =>This Inner Loop Header: Depth=1
	s_or_b64 s[26:27], s[26:27], exec
	s_cmp_eq_u64 s[22:23], s[28:29]
	s_cbranch_scc0 .LBB790_508
; %bb.511:                              ;   in Loop: Header=BB790_510 Depth=1
                                        ; implicit-def: $vgpr12_vgpr13
                                        ; implicit-def: $vgpr26_vgpr27
	s_mov_b64 s[28:29], s[12:13]
	s_branch .LBB790_509
.LBB790_512:
	v_mov_b64_e32 v[12:13], 0
	s_branch .LBB790_515
.LBB790_513:
	s_or_b64 exec, exec, s[24:25]
	v_cmp_gt_i64_e32 vcc, s[12:13], v[28:29]
	s_mov_b32 s7, 0
	v_mov_b32_e32 v13, s7
	v_cndmask_b32_e64 v12, 0, 1, vcc
.LBB790_514:
	s_or_b64 exec, exec, s[20:21]
.LBB790_515:
	s_or_b64 exec, exec, s[4:5]
	v_add_u32_e32 v26, 4, v1
	v_cmp_gt_u32_e32 vcc, s10, v26
	s_and_saveexec_b64 s[4:5], vcc
	s_cbranch_execz .LBB790_526
; %bb.516:
	s_and_b64 vcc, exec, s[2:3]
	s_cbranch_vccnz .LBB790_523
; %bb.517:
	v_mul_lo_u32 v26, v11, s12
	v_mul_lo_u32 v27, v10, s13
	v_mad_u64_u32 v[10:11], s[20:21], v10, s12, 0
	v_add3_u32 v11, v11, v27, v26
	v_mul_lo_u32 v26, v9, s12
	v_mul_lo_u32 v27, v8, s13
	v_mad_u64_u32 v[28:29], s[20:21], v8, s12, 0
	v_add3_u32 v29, v29, v27, v26
	v_lshl_add_u64 v[26:27], v[10:11], 3, s[14:15]
	v_lshl_add_u64 v[28:29], v[28:29], 3, s[14:15]
	global_load_dwordx2 v[10:11], v[26:27], off
	global_load_dwordx2 v[30:31], v[28:29], off
	s_waitcnt vmcnt(0)
	v_cmp_eq_f64_e32 vcc, v[10:11], v[30:31]
	v_mov_b64_e32 v[10:11], 1
	s_and_saveexec_b64 s[20:21], vcc
	s_cbranch_execz .LBB790_525
; %bb.518:
	s_add_u32 s22, s12, -1
	v_lshl_add_u64 v[10:11], v[28:29], 0, 8
	v_lshl_add_u64 v[26:27], v[26:27], 0, 8
	s_addc_u32 s23, s13, -1
	s_mov_b64 s[24:25], 0
	s_mov_b64 s[28:29], 0
                                        ; implicit-def: $sgpr26_sgpr27
	s_branch .LBB790_521
.LBB790_519:                            ;   in Loop: Header=BB790_521 Depth=1
	global_load_dwordx2 v[28:29], v[26:27], off
	global_load_dwordx2 v[30:31], v[10:11], off
	s_add_u32 s28, s28, 1
	s_addc_u32 s29, s29, 0
	s_andn2_b64 s[26:27], s[26:27], exec
	v_lshl_add_u64 v[10:11], v[10:11], 0, 8
	v_lshl_add_u64 v[26:27], v[26:27], 0, 8
	s_waitcnt vmcnt(0)
	v_cmp_neq_f64_e32 vcc, v[28:29], v[30:31]
	s_and_b64 s[30:31], vcc, exec
	s_or_b64 s[26:27], s[26:27], s[30:31]
.LBB790_520:                            ;   in Loop: Header=BB790_521 Depth=1
	s_and_b64 s[30:31], exec, s[26:27]
	s_or_b64 s[24:25], s[30:31], s[24:25]
	v_mov_b64_e32 v[28:29], s[28:29]
	s_andn2_b64 exec, exec, s[24:25]
	s_cbranch_execz .LBB790_524
.LBB790_521:                            ; =>This Inner Loop Header: Depth=1
	s_or_b64 s[26:27], s[26:27], exec
	s_cmp_eq_u64 s[22:23], s[28:29]
	s_cbranch_scc0 .LBB790_519
; %bb.522:                              ;   in Loop: Header=BB790_521 Depth=1
                                        ; implicit-def: $vgpr10_vgpr11
                                        ; implicit-def: $vgpr26_vgpr27
	s_mov_b64 s[28:29], s[12:13]
	s_branch .LBB790_520
.LBB790_523:
	v_mov_b64_e32 v[10:11], 0
	s_branch .LBB790_526
.LBB790_524:
	s_or_b64 exec, exec, s[24:25]
	v_cmp_gt_i64_e32 vcc, s[12:13], v[28:29]
	s_mov_b32 s7, 0
	v_mov_b32_e32 v11, s7
	v_cndmask_b32_e64 v10, 0, 1, vcc
.LBB790_525:
	s_or_b64 exec, exec, s[20:21]
.LBB790_526:
	s_or_b64 exec, exec, s[4:5]
	v_add_u32_e32 v26, 3, v1
	v_cmp_gt_u32_e32 vcc, s10, v26
	s_and_saveexec_b64 s[4:5], vcc
	s_cbranch_execz .LBB790_537
; %bb.527:
	s_and_b64 vcc, exec, s[2:3]
	s_cbranch_vccnz .LBB790_534
; %bb.528:
	v_mul_lo_u32 v26, v9, s12
	v_mul_lo_u32 v27, v8, s13
	v_mad_u64_u32 v[8:9], s[20:21], v8, s12, 0
	v_add3_u32 v9, v9, v27, v26
	v_mul_lo_u32 v26, v7, s12
	v_mul_lo_u32 v27, v6, s13
	v_mad_u64_u32 v[28:29], s[20:21], v6, s12, 0
	v_add3_u32 v29, v29, v27, v26
	v_lshl_add_u64 v[26:27], v[8:9], 3, s[14:15]
	v_lshl_add_u64 v[28:29], v[28:29], 3, s[14:15]
	global_load_dwordx2 v[8:9], v[26:27], off
	global_load_dwordx2 v[30:31], v[28:29], off
	s_waitcnt vmcnt(0)
	v_cmp_eq_f64_e32 vcc, v[8:9], v[30:31]
	v_mov_b64_e32 v[8:9], 1
	s_and_saveexec_b64 s[20:21], vcc
	s_cbranch_execz .LBB790_536
; %bb.529:
	s_add_u32 s22, s12, -1
	v_lshl_add_u64 v[8:9], v[28:29], 0, 8
	v_lshl_add_u64 v[26:27], v[26:27], 0, 8
	s_addc_u32 s23, s13, -1
	s_mov_b64 s[24:25], 0
	s_mov_b64 s[28:29], 0
                                        ; implicit-def: $sgpr26_sgpr27
	s_branch .LBB790_532
.LBB790_530:                            ;   in Loop: Header=BB790_532 Depth=1
	global_load_dwordx2 v[28:29], v[26:27], off
	global_load_dwordx2 v[30:31], v[8:9], off
	s_add_u32 s28, s28, 1
	s_addc_u32 s29, s29, 0
	s_andn2_b64 s[26:27], s[26:27], exec
	v_lshl_add_u64 v[8:9], v[8:9], 0, 8
	v_lshl_add_u64 v[26:27], v[26:27], 0, 8
	s_waitcnt vmcnt(0)
	v_cmp_neq_f64_e32 vcc, v[28:29], v[30:31]
	s_and_b64 s[30:31], vcc, exec
	s_or_b64 s[26:27], s[26:27], s[30:31]
.LBB790_531:                            ;   in Loop: Header=BB790_532 Depth=1
	s_and_b64 s[30:31], exec, s[26:27]
	s_or_b64 s[24:25], s[30:31], s[24:25]
	v_mov_b64_e32 v[28:29], s[28:29]
	s_andn2_b64 exec, exec, s[24:25]
	s_cbranch_execz .LBB790_535
.LBB790_532:                            ; =>This Inner Loop Header: Depth=1
	s_or_b64 s[26:27], s[26:27], exec
	s_cmp_eq_u64 s[22:23], s[28:29]
	s_cbranch_scc0 .LBB790_530
; %bb.533:                              ;   in Loop: Header=BB790_532 Depth=1
                                        ; implicit-def: $vgpr8_vgpr9
                                        ; implicit-def: $vgpr26_vgpr27
	s_mov_b64 s[28:29], s[12:13]
	s_branch .LBB790_531
.LBB790_534:
	v_mov_b64_e32 v[8:9], 0
	s_branch .LBB790_537
.LBB790_535:
	s_or_b64 exec, exec, s[24:25]
	v_cmp_gt_i64_e32 vcc, s[12:13], v[28:29]
	s_mov_b32 s7, 0
	v_mov_b32_e32 v9, s7
	v_cndmask_b32_e64 v8, 0, 1, vcc
.LBB790_536:
	s_or_b64 exec, exec, s[20:21]
.LBB790_537:
	s_or_b64 exec, exec, s[4:5]
	v_add_u32_e32 v26, 2, v1
	v_cmp_gt_u32_e32 vcc, s10, v26
	s_and_saveexec_b64 s[4:5], vcc
	s_cbranch_execz .LBB790_548
; %bb.538:
	s_and_b64 vcc, exec, s[2:3]
	s_cbranch_vccnz .LBB790_545
; %bb.539:
	v_mul_lo_u32 v26, v7, s12
	v_mul_lo_u32 v27, v6, s13
	v_mad_u64_u32 v[6:7], s[20:21], v6, s12, 0
	v_add3_u32 v7, v7, v27, v26
	v_mul_lo_u32 v26, v5, s12
	v_mul_lo_u32 v27, v4, s13
	v_mad_u64_u32 v[28:29], s[20:21], v4, s12, 0
	v_add3_u32 v29, v29, v27, v26
	v_lshl_add_u64 v[26:27], v[6:7], 3, s[14:15]
	v_lshl_add_u64 v[28:29], v[28:29], 3, s[14:15]
	global_load_dwordx2 v[6:7], v[26:27], off
	global_load_dwordx2 v[30:31], v[28:29], off
	s_waitcnt vmcnt(0)
	v_cmp_eq_f64_e32 vcc, v[6:7], v[30:31]
	v_mov_b64_e32 v[6:7], 1
	s_and_saveexec_b64 s[20:21], vcc
	s_cbranch_execz .LBB790_547
; %bb.540:
	s_add_u32 s22, s12, -1
	v_lshl_add_u64 v[6:7], v[28:29], 0, 8
	v_lshl_add_u64 v[26:27], v[26:27], 0, 8
	s_addc_u32 s23, s13, -1
	s_mov_b64 s[24:25], 0
	s_mov_b64 s[28:29], 0
                                        ; implicit-def: $sgpr26_sgpr27
	s_branch .LBB790_543
.LBB790_541:                            ;   in Loop: Header=BB790_543 Depth=1
	global_load_dwordx2 v[28:29], v[26:27], off
	global_load_dwordx2 v[30:31], v[6:7], off
	s_add_u32 s28, s28, 1
	s_addc_u32 s29, s29, 0
	s_andn2_b64 s[26:27], s[26:27], exec
	v_lshl_add_u64 v[6:7], v[6:7], 0, 8
	v_lshl_add_u64 v[26:27], v[26:27], 0, 8
	s_waitcnt vmcnt(0)
	v_cmp_neq_f64_e32 vcc, v[28:29], v[30:31]
	s_and_b64 s[30:31], vcc, exec
	s_or_b64 s[26:27], s[26:27], s[30:31]
.LBB790_542:                            ;   in Loop: Header=BB790_543 Depth=1
	s_and_b64 s[30:31], exec, s[26:27]
	s_or_b64 s[24:25], s[30:31], s[24:25]
	v_mov_b64_e32 v[28:29], s[28:29]
	s_andn2_b64 exec, exec, s[24:25]
	s_cbranch_execz .LBB790_546
.LBB790_543:                            ; =>This Inner Loop Header: Depth=1
	s_or_b64 s[26:27], s[26:27], exec
	s_cmp_eq_u64 s[22:23], s[28:29]
	s_cbranch_scc0 .LBB790_541
; %bb.544:                              ;   in Loop: Header=BB790_543 Depth=1
                                        ; implicit-def: $vgpr6_vgpr7
                                        ; implicit-def: $vgpr26_vgpr27
	s_mov_b64 s[28:29], s[12:13]
	s_branch .LBB790_542
.LBB790_545:
	v_mov_b64_e32 v[6:7], 0
	s_branch .LBB790_548
.LBB790_546:
	s_or_b64 exec, exec, s[24:25]
	v_cmp_gt_i64_e32 vcc, s[12:13], v[28:29]
	s_mov_b32 s7, 0
	v_mov_b32_e32 v7, s7
	v_cndmask_b32_e64 v6, 0, 1, vcc
.LBB790_547:
	s_or_b64 exec, exec, s[20:21]
.LBB790_548:
	s_or_b64 exec, exec, s[4:5]
	v_add_u32_e32 v26, 1, v1
	v_cmp_gt_u32_e32 vcc, s10, v26
	s_and_saveexec_b64 s[4:5], vcc
	s_cbranch_execz .LBB790_559
; %bb.549:
	s_and_b64 vcc, exec, s[2:3]
	s_cbranch_vccnz .LBB790_556
; %bb.550:
	v_mul_lo_u32 v26, v5, s12
	v_mul_lo_u32 v27, v4, s13
	v_mad_u64_u32 v[4:5], s[20:21], v4, s12, 0
	v_add3_u32 v5, v5, v27, v26
	v_mul_lo_u32 v26, v3, s12
	v_mul_lo_u32 v27, v2, s13
	v_mad_u64_u32 v[28:29], s[20:21], v2, s12, 0
	v_add3_u32 v29, v29, v27, v26
	v_lshl_add_u64 v[26:27], v[4:5], 3, s[14:15]
	v_lshl_add_u64 v[28:29], v[28:29], 3, s[14:15]
	global_load_dwordx2 v[4:5], v[26:27], off
	global_load_dwordx2 v[30:31], v[28:29], off
	s_waitcnt vmcnt(0)
	v_cmp_eq_f64_e32 vcc, v[4:5], v[30:31]
	v_mov_b64_e32 v[4:5], 1
	s_and_saveexec_b64 s[20:21], vcc
	s_cbranch_execz .LBB790_558
; %bb.551:
	s_add_u32 s22, s12, -1
	v_lshl_add_u64 v[4:5], v[28:29], 0, 8
	v_lshl_add_u64 v[26:27], v[26:27], 0, 8
	s_addc_u32 s23, s13, -1
	s_mov_b64 s[24:25], 0
	s_mov_b64 s[28:29], 0
                                        ; implicit-def: $sgpr26_sgpr27
	s_branch .LBB790_554
.LBB790_552:                            ;   in Loop: Header=BB790_554 Depth=1
	global_load_dwordx2 v[28:29], v[26:27], off
	global_load_dwordx2 v[30:31], v[4:5], off
	s_add_u32 s28, s28, 1
	s_addc_u32 s29, s29, 0
	s_andn2_b64 s[26:27], s[26:27], exec
	v_lshl_add_u64 v[4:5], v[4:5], 0, 8
	v_lshl_add_u64 v[26:27], v[26:27], 0, 8
	s_waitcnt vmcnt(0)
	v_cmp_neq_f64_e32 vcc, v[28:29], v[30:31]
	s_and_b64 s[30:31], vcc, exec
	s_or_b64 s[26:27], s[26:27], s[30:31]
.LBB790_553:                            ;   in Loop: Header=BB790_554 Depth=1
	s_and_b64 s[30:31], exec, s[26:27]
	s_or_b64 s[24:25], s[30:31], s[24:25]
	v_mov_b64_e32 v[28:29], s[28:29]
	s_andn2_b64 exec, exec, s[24:25]
	s_cbranch_execz .LBB790_557
.LBB790_554:                            ; =>This Inner Loop Header: Depth=1
	s_or_b64 s[26:27], s[26:27], exec
	s_cmp_eq_u64 s[22:23], s[28:29]
	s_cbranch_scc0 .LBB790_552
; %bb.555:                              ;   in Loop: Header=BB790_554 Depth=1
                                        ; implicit-def: $vgpr4_vgpr5
                                        ; implicit-def: $vgpr26_vgpr27
	s_mov_b64 s[28:29], s[12:13]
	s_branch .LBB790_553
.LBB790_556:
	v_mov_b64_e32 v[4:5], 0
	s_branch .LBB790_559
.LBB790_557:
	s_or_b64 exec, exec, s[24:25]
	v_cmp_gt_i64_e32 vcc, s[12:13], v[28:29]
	s_mov_b32 s7, 0
	v_mov_b32_e32 v5, s7
	v_cndmask_b32_e64 v4, 0, 1, vcc
.LBB790_558:
	s_or_b64 exec, exec, s[20:21]
.LBB790_559:
	s_or_b64 exec, exec, s[4:5]
	v_cmp_ne_u32_e32 vcc, 0, v0
	v_cmp_gt_u32_e64 s[4:5], s10, v1
	s_and_b64 s[20:21], vcc, s[4:5]
	s_waitcnt lgkmcnt(0)
	; wave barrier
	s_waitcnt lgkmcnt(0)
                                        ; implicit-def: $sgpr24_sgpr25
	s_and_saveexec_b64 s[4:5], s[20:21]
	s_cbranch_execz .LBB790_571
; %bb.560:
	s_and_b64 vcc, exec, s[2:3]
	s_cbranch_vccnz .LBB790_567
; %bb.561:
	v_mul_lo_u32 v1, v3, s12
	v_add_u32_e32 v3, -8, v48
	ds_read_b64 v[26:27], v3
	v_mul_lo_u32 v28, v2, s13
	v_mad_u64_u32 v[2:3], s[2:3], v2, s12, 0
	v_add3_u32 v3, v3, v28, v1
	s_waitcnt lgkmcnt(0)
	v_mul_lo_u32 v1, v27, s12
	v_mul_lo_u32 v27, v26, s13
	v_mad_u64_u32 v[28:29], s[2:3], v26, s12, 0
	v_add3_u32 v29, v29, v27, v1
	v_lshl_add_u64 v[26:27], v[2:3], 3, s[14:15]
	v_lshl_add_u64 v[2:3], v[28:29], 3, s[14:15]
	global_load_dwordx2 v[28:29], v[26:27], off
	global_load_dwordx2 v[30:31], v[2:3], off
	s_mov_b64 s[14:15], -1
	s_waitcnt vmcnt(0)
	v_cmp_eq_f64_e32 vcc, v[28:29], v[30:31]
	s_and_saveexec_b64 s[2:3], vcc
	s_cbranch_execz .LBB790_569
; %bb.562:
	s_add_u32 s14, s12, -1
	v_lshl_add_u64 v[2:3], v[2:3], 0, 8
	v_lshl_add_u64 v[26:27], v[26:27], 0, 8
	s_addc_u32 s15, s13, -1
	s_mov_b64 s[20:21], 0
	s_mov_b64 s[24:25], 0
                                        ; implicit-def: $sgpr22_sgpr23
	s_branch .LBB790_565
.LBB790_563:                            ;   in Loop: Header=BB790_565 Depth=1
	global_load_dwordx2 v[28:29], v[26:27], off
	global_load_dwordx2 v[30:31], v[2:3], off
	s_add_u32 s24, s24, 1
	s_addc_u32 s25, s25, 0
	s_andn2_b64 s[22:23], s[22:23], exec
	v_lshl_add_u64 v[2:3], v[2:3], 0, 8
	v_lshl_add_u64 v[26:27], v[26:27], 0, 8
	s_waitcnt vmcnt(0)
	v_cmp_neq_f64_e32 vcc, v[28:29], v[30:31]
	s_and_b64 s[26:27], vcc, exec
	s_or_b64 s[22:23], s[22:23], s[26:27]
.LBB790_564:                            ;   in Loop: Header=BB790_565 Depth=1
	s_and_b64 s[26:27], exec, s[22:23]
	s_or_b64 s[20:21], s[26:27], s[20:21]
	v_mov_b64_e32 v[28:29], s[24:25]
	s_andn2_b64 exec, exec, s[20:21]
	s_cbranch_execz .LBB790_568
.LBB790_565:                            ; =>This Inner Loop Header: Depth=1
	s_or_b64 s[22:23], s[22:23], exec
	s_cmp_eq_u64 s[14:15], s[24:25]
	s_cbranch_scc0 .LBB790_563
; %bb.566:                              ;   in Loop: Header=BB790_565 Depth=1
                                        ; implicit-def: $vgpr2_vgpr3
                                        ; implicit-def: $vgpr26_vgpr27
	s_mov_b64 s[24:25], s[12:13]
	s_branch .LBB790_564
.LBB790_567:
	s_mov_b64 s[14:15], 0
	s_branch .LBB790_570
.LBB790_568:
	s_or_b64 exec, exec, s[20:21]
	v_cmp_gt_i64_e32 vcc, s[12:13], v[28:29]
	s_orn2_b64 s[14:15], vcc, exec
.LBB790_569:
	s_or_b64 exec, exec, s[2:3]
.LBB790_570:
	s_and_b64 s[24:25], s[14:15], exec
	s_or_b64 s[18:19], s[18:19], exec
.LBB790_571:
	s_or_b64 exec, exec, s[4:5]
	v_mov_b64_e32 v[50:51], v[44:45]
	v_mov_b64_e32 v[52:53], v[24:25]
	;; [unrolled: 1-line block ×23, first 2 shown]
.LBB790_572:
	s_and_saveexec_b64 s[2:3], s[18:19]
	s_cbranch_execz .LBB790_574
; %bb.573:
	s_mov_b32 s4, 0
	v_cndmask_b32_e64 v2, 0, 1, s[24:25]
	v_mov_b32_e32 v3, s4
	v_mov_b64_e32 v[30:31], v[54:55]
	v_mov_b64_e32 v[80:81], v[56:57]
	;; [unrolled: 1-line block ×9, first 2 shown]
	s_waitcnt lgkmcnt(0)
	v_mov_b64_e32 v[26:27], v[46:47]
	v_mov_b64_e32 v[72:73], v[52:53]
.LBB790_574:
	s_or_b64 exec, exec, s[2:3]
	s_add_u32 s4, s8, s16
	s_addc_u32 s5, s9, s17
	s_and_b64 vcc, exec, s[0:1]
	s_waitcnt lgkmcnt(0)
	; wave barrier
	s_waitcnt lgkmcnt(0)
	s_cbranch_vccz .LBB790_600
; %bb.575:
	s_movk_i32 s2, 0x68
	v_mul_u32_u24_e32 v1, 0x68, v0
	v_mov_b32_e32 v4, v82
	v_mov_b32_e32 v5, v83
	v_mul_i32_i24_e32 v28, 0xffffffa0, v0
	ds_write2_b64 v1, v[2:3], v[4:5] offset1:1
	ds_write2_b64 v1, v[74:75], v[42:43] offset0:2 offset1:3
	ds_write2_b64 v1, v[76:77], v[38:39] offset0:4 offset1:5
	;; [unrolled: 1-line block ×5, first 2 shown]
	ds_write_b64 v1, v[50:51] offset:96
	v_mad_u32_u24 v4, v0, s2, v28
	s_waitcnt lgkmcnt(0)
	; wave barrier
	s_waitcnt lgkmcnt(0)
	ds_read2st64_b64 v[44:47], v4 offset0:1 offset1:2
	ds_read2st64_b64 v[20:23], v4 offset0:3 offset1:4
	;; [unrolled: 1-line block ×6, first 2 shown]
	s_mov_b32 s7, 0
	s_add_i32 s11, s11, s10
	s_lshl_b64 s[0:1], s[6:7], 3
	s_add_u32 s0, s4, s0
	s_addc_u32 s1, s5, s1
	v_mov_b32_e32 v49, 0
	v_lshl_add_u64 v[24:25], s[0:1], 0, v[48:49]
	v_cmp_gt_u32_e32 vcc, s11, v0
	s_and_saveexec_b64 s[0:1], vcc
	s_cbranch_execz .LBB790_577
; %bb.576:
	v_add_u32_e32 v1, v1, v28
	ds_read_b64 v[28:29], v1
	s_waitcnt lgkmcnt(0)
	global_store_dwordx2 v[24:25], v[28:29], off
.LBB790_577:
	s_or_b64 exec, exec, s[0:1]
	v_or_b32_e32 v1, 64, v0
	v_cmp_gt_u32_e32 vcc, s11, v1
	s_and_saveexec_b64 s[0:1], vcc
	s_cbranch_execz .LBB790_579
; %bb.578:
	s_waitcnt lgkmcnt(5)
	global_store_dwordx2 v[24:25], v[44:45], off offset:512
.LBB790_579:
	s_or_b64 exec, exec, s[0:1]
	v_or_b32_e32 v1, 0x80, v0
	v_cmp_gt_u32_e32 vcc, s11, v1
	s_and_saveexec_b64 s[0:1], vcc
	s_cbranch_execz .LBB790_581
; %bb.580:
	s_waitcnt lgkmcnt(5)
	global_store_dwordx2 v[24:25], v[46:47], off offset:1024
.LBB790_581:
	;; [unrolled: 9-line block ×7, first 2 shown]
	s_or_b64 exec, exec, s[0:1]
	v_or_b32_e32 v1, 0x200, v0
	v_cmp_gt_u32_e32 vcc, s11, v1
	s_and_saveexec_b64 s[0:1], vcc
	s_cbranch_execz .LBB790_593
; %bb.592:
	s_waitcnt lgkmcnt(2)
	v_add_co_u32_e32 v12, vcc, 0x1000, v24
	s_nop 1
	v_addc_co_u32_e32 v13, vcc, 0, v25, vcc
	global_store_dwordx2 v[12:13], v[14:15], off
.LBB790_593:
	s_or_b64 exec, exec, s[0:1]
	v_or_b32_e32 v1, 0x240, v0
	v_cmp_gt_u32_e32 vcc, s11, v1
	s_and_saveexec_b64 s[0:1], vcc
	s_cbranch_execz .LBB790_595
; %bb.594:
	s_waitcnt lgkmcnt(2)
	v_add_co_u32_e32 v12, vcc, 0x1000, v24
	s_nop 1
	v_addc_co_u32_e32 v13, vcc, 0, v25, vcc
	s_waitcnt lgkmcnt(1)
	global_store_dwordx2 v[12:13], v[8:9], off offset:512
.LBB790_595:
	s_or_b64 exec, exec, s[0:1]
	v_or_b32_e32 v1, 0x280, v0
	v_cmp_gt_u32_e32 vcc, s11, v1
	s_and_saveexec_b64 s[0:1], vcc
	s_cbranch_execz .LBB790_597
; %bb.596:
	s_waitcnt lgkmcnt(1)
	v_add_co_u32_e32 v8, vcc, 0x1000, v24
	s_nop 1
	v_addc_co_u32_e32 v9, vcc, 0, v25, vcc
	global_store_dwordx2 v[8:9], v[10:11], off offset:1024
.LBB790_597:
	s_or_b64 exec, exec, s[0:1]
	v_or_b32_e32 v1, 0x2c0, v0
	v_cmp_gt_u32_e32 vcc, s11, v1
	s_and_saveexec_b64 s[0:1], vcc
	s_cbranch_execz .LBB790_599
; %bb.598:
	s_waitcnt lgkmcnt(1)
	v_add_co_u32_e32 v8, vcc, 0x1000, v24
	s_nop 1
	v_addc_co_u32_e32 v9, vcc, 0, v25, vcc
	s_waitcnt lgkmcnt(0)
	global_store_dwordx2 v[8:9], v[4:5], off offset:1536
.LBB790_599:
	s_or_b64 exec, exec, s[0:1]
	v_or_b32_e32 v1, 0x300, v0
	v_cmp_gt_u32_e64 s[0:1], s11, v1
	s_branch .LBB790_602
.LBB790_600:
	s_mov_b64 s[0:1], 0
                                        ; implicit-def: $vgpr6_vgpr7
                                        ; implicit-def: $vgpr24_vgpr25
	s_cbranch_execz .LBB790_602
; %bb.601:
	s_mov_b32 s7, 0
	s_lshl_b64 s[2:3], s[6:7], 3
	v_mul_u32_u24_e32 v1, 0x68, v0
	s_add_u32 s2, s4, s2
	s_movk_i32 s4, 0x68
	ds_write2_b64 v1, v[2:3], v[82:83] offset1:1
	ds_write2_b64 v1, v[74:75], v[42:43] offset0:2 offset1:3
	ds_write2_b64 v1, v[76:77], v[38:39] offset0:4 offset1:5
	;; [unrolled: 1-line block ×5, first 2 shown]
	ds_write_b64 v1, v[50:51] offset:96
	v_mul_i32_i24_e32 v1, 0xffffffa0, v0
	s_waitcnt lgkmcnt(7)
	v_mad_u32_u24 v4, v0, s4, v1
	s_addc_u32 s3, s5, s3
	s_waitcnt lgkmcnt(0)
	; wave barrier
	s_waitcnt lgkmcnt(0)
	ds_read2st64_b64 v[0:3], v4 offset1:1
	ds_read2st64_b64 v[8:11], v4 offset0:2 offset1:3
	ds_read2st64_b64 v[12:15], v4 offset0:4 offset1:5
	;; [unrolled: 1-line block ×5, first 2 shown]
	ds_read_b64 v[6:7], v4 offset:6144
	v_mov_b32_e32 v49, 0
	v_lshl_add_u64 v[24:25], s[2:3], 0, v[48:49]
	s_waitcnt lgkmcnt(6)
	global_store_dwordx2 v48, v[0:1], s[2:3]
	global_store_dwordx2 v48, v[2:3], s[2:3] offset:512
	s_waitcnt lgkmcnt(5)
	global_store_dwordx2 v48, v[8:9], s[2:3] offset:1024
	global_store_dwordx2 v48, v[10:11], s[2:3] offset:1536
	s_waitcnt lgkmcnt(4)
	global_store_dwordx2 v48, v[12:13], s[2:3] offset:2048
	;; [unrolled: 3-line block ×3, first 2 shown]
	global_store_dwordx2 v48, v[18:19], s[2:3] offset:3584
	v_add_co_u32_e32 v0, vcc, 0x1000, v24
	s_or_b64 s[0:1], s[0:1], exec
	s_nop 0
	v_addc_co_u32_e32 v1, vcc, 0, v25, vcc
	s_waitcnt lgkmcnt(2)
	global_store_dwordx2 v[0:1], v[20:21], off
	global_store_dwordx2 v[0:1], v[22:23], off offset:512
	s_waitcnt lgkmcnt(1)
	global_store_dwordx2 v[0:1], v[26:27], off offset:1024
	global_store_dwordx2 v[0:1], v[28:29], off offset:1536
.LBB790_602:
	s_and_saveexec_b64 s[2:3], s[0:1]
	s_cbranch_execnz .LBB790_604
; %bb.603:
	s_endpgm
.LBB790_604:
	v_add_co_u32_e32 v0, vcc, 0x1000, v24
	s_nop 1
	v_addc_co_u32_e32 v1, vcc, 0, v25, vcc
	s_waitcnt lgkmcnt(0)
	global_store_dwordx2 v[0:1], v[6:7], off offset:2048
	s_endpgm
	.section	.rodata,"a",@progbits
	.p2align	6, 0x0
	.amdhsa_kernel _ZN7rocprim17ROCPRIM_400000_NS6detail17trampoline_kernelINS0_14default_configENS1_35adjacent_difference_config_selectorILb0ElEEZNS1_24adjacent_difference_implIS3_Lb0ELb0EPlS7_ZN2at6native12_GLOBAL__N_124unique_dim_cuda_templateIdEESt5tupleIJNS8_6TensorESD_SD_EERKSD_lbbbEUlllE1_EE10hipError_tPvRmT2_T3_mT4_P12ihipStream_tbEUlT_E_NS1_11comp_targetILNS1_3genE5ELNS1_11target_archE942ELNS1_3gpuE9ELNS1_3repE0EEENS1_30default_config_static_selectorELNS0_4arch9wavefront6targetE1EEEvT1_
		.amdhsa_group_segment_fixed_size 6656
		.amdhsa_private_segment_fixed_size 0
		.amdhsa_kernarg_size 64
		.amdhsa_user_sgpr_count 2
		.amdhsa_user_sgpr_dispatch_ptr 0
		.amdhsa_user_sgpr_queue_ptr 0
		.amdhsa_user_sgpr_kernarg_segment_ptr 1
		.amdhsa_user_sgpr_dispatch_id 0
		.amdhsa_user_sgpr_kernarg_preload_length 0
		.amdhsa_user_sgpr_kernarg_preload_offset 0
		.amdhsa_user_sgpr_private_segment_size 0
		.amdhsa_uses_dynamic_stack 0
		.amdhsa_enable_private_segment 0
		.amdhsa_system_sgpr_workgroup_id_x 1
		.amdhsa_system_sgpr_workgroup_id_y 0
		.amdhsa_system_sgpr_workgroup_id_z 0
		.amdhsa_system_sgpr_workgroup_info 0
		.amdhsa_system_vgpr_workitem_id 0
		.amdhsa_next_free_vgpr 84
		.amdhsa_next_free_sgpr 38
		.amdhsa_accum_offset 84
		.amdhsa_reserve_vcc 1
		.amdhsa_float_round_mode_32 0
		.amdhsa_float_round_mode_16_64 0
		.amdhsa_float_denorm_mode_32 3
		.amdhsa_float_denorm_mode_16_64 3
		.amdhsa_dx10_clamp 1
		.amdhsa_ieee_mode 1
		.amdhsa_fp16_overflow 0
		.amdhsa_tg_split 0
		.amdhsa_exception_fp_ieee_invalid_op 0
		.amdhsa_exception_fp_denorm_src 0
		.amdhsa_exception_fp_ieee_div_zero 0
		.amdhsa_exception_fp_ieee_overflow 0
		.amdhsa_exception_fp_ieee_underflow 0
		.amdhsa_exception_fp_ieee_inexact 0
		.amdhsa_exception_int_div_zero 0
	.end_amdhsa_kernel
	.section	.text._ZN7rocprim17ROCPRIM_400000_NS6detail17trampoline_kernelINS0_14default_configENS1_35adjacent_difference_config_selectorILb0ElEEZNS1_24adjacent_difference_implIS3_Lb0ELb0EPlS7_ZN2at6native12_GLOBAL__N_124unique_dim_cuda_templateIdEESt5tupleIJNS8_6TensorESD_SD_EERKSD_lbbbEUlllE1_EE10hipError_tPvRmT2_T3_mT4_P12ihipStream_tbEUlT_E_NS1_11comp_targetILNS1_3genE5ELNS1_11target_archE942ELNS1_3gpuE9ELNS1_3repE0EEENS1_30default_config_static_selectorELNS0_4arch9wavefront6targetE1EEEvT1_,"axG",@progbits,_ZN7rocprim17ROCPRIM_400000_NS6detail17trampoline_kernelINS0_14default_configENS1_35adjacent_difference_config_selectorILb0ElEEZNS1_24adjacent_difference_implIS3_Lb0ELb0EPlS7_ZN2at6native12_GLOBAL__N_124unique_dim_cuda_templateIdEESt5tupleIJNS8_6TensorESD_SD_EERKSD_lbbbEUlllE1_EE10hipError_tPvRmT2_T3_mT4_P12ihipStream_tbEUlT_E_NS1_11comp_targetILNS1_3genE5ELNS1_11target_archE942ELNS1_3gpuE9ELNS1_3repE0EEENS1_30default_config_static_selectorELNS0_4arch9wavefront6targetE1EEEvT1_,comdat
.Lfunc_end790:
	.size	_ZN7rocprim17ROCPRIM_400000_NS6detail17trampoline_kernelINS0_14default_configENS1_35adjacent_difference_config_selectorILb0ElEEZNS1_24adjacent_difference_implIS3_Lb0ELb0EPlS7_ZN2at6native12_GLOBAL__N_124unique_dim_cuda_templateIdEESt5tupleIJNS8_6TensorESD_SD_EERKSD_lbbbEUlllE1_EE10hipError_tPvRmT2_T3_mT4_P12ihipStream_tbEUlT_E_NS1_11comp_targetILNS1_3genE5ELNS1_11target_archE942ELNS1_3gpuE9ELNS1_3repE0EEENS1_30default_config_static_selectorELNS0_4arch9wavefront6targetE1EEEvT1_, .Lfunc_end790-_ZN7rocprim17ROCPRIM_400000_NS6detail17trampoline_kernelINS0_14default_configENS1_35adjacent_difference_config_selectorILb0ElEEZNS1_24adjacent_difference_implIS3_Lb0ELb0EPlS7_ZN2at6native12_GLOBAL__N_124unique_dim_cuda_templateIdEESt5tupleIJNS8_6TensorESD_SD_EERKSD_lbbbEUlllE1_EE10hipError_tPvRmT2_T3_mT4_P12ihipStream_tbEUlT_E_NS1_11comp_targetILNS1_3genE5ELNS1_11target_archE942ELNS1_3gpuE9ELNS1_3repE0EEENS1_30default_config_static_selectorELNS0_4arch9wavefront6targetE1EEEvT1_
                                        ; -- End function
	.section	.AMDGPU.csdata,"",@progbits
; Kernel info:
; codeLenInByte = 18140
; NumSgprs: 44
; NumVgprs: 84
; NumAgprs: 0
; TotalNumVgprs: 84
; ScratchSize: 0
; MemoryBound: 1
; FloatMode: 240
; IeeeMode: 1
; LDSByteSize: 6656 bytes/workgroup (compile time only)
; SGPRBlocks: 5
; VGPRBlocks: 10
; NumSGPRsForWavesPerEU: 44
; NumVGPRsForWavesPerEU: 84
; AccumOffset: 84
; Occupancy: 3
; WaveLimiterHint : 1
; COMPUTE_PGM_RSRC2:SCRATCH_EN: 0
; COMPUTE_PGM_RSRC2:USER_SGPR: 2
; COMPUTE_PGM_RSRC2:TRAP_HANDLER: 0
; COMPUTE_PGM_RSRC2:TGID_X_EN: 1
; COMPUTE_PGM_RSRC2:TGID_Y_EN: 0
; COMPUTE_PGM_RSRC2:TGID_Z_EN: 0
; COMPUTE_PGM_RSRC2:TIDIG_COMP_CNT: 0
; COMPUTE_PGM_RSRC3_GFX90A:ACCUM_OFFSET: 20
; COMPUTE_PGM_RSRC3_GFX90A:TG_SPLIT: 0
	.section	.text._ZN7rocprim17ROCPRIM_400000_NS6detail17trampoline_kernelINS0_14default_configENS1_35adjacent_difference_config_selectorILb0ElEEZNS1_24adjacent_difference_implIS3_Lb0ELb0EPlS7_ZN2at6native12_GLOBAL__N_124unique_dim_cuda_templateIdEESt5tupleIJNS8_6TensorESD_SD_EERKSD_lbbbEUlllE1_EE10hipError_tPvRmT2_T3_mT4_P12ihipStream_tbEUlT_E_NS1_11comp_targetILNS1_3genE4ELNS1_11target_archE910ELNS1_3gpuE8ELNS1_3repE0EEENS1_30default_config_static_selectorELNS0_4arch9wavefront6targetE1EEEvT1_,"axG",@progbits,_ZN7rocprim17ROCPRIM_400000_NS6detail17trampoline_kernelINS0_14default_configENS1_35adjacent_difference_config_selectorILb0ElEEZNS1_24adjacent_difference_implIS3_Lb0ELb0EPlS7_ZN2at6native12_GLOBAL__N_124unique_dim_cuda_templateIdEESt5tupleIJNS8_6TensorESD_SD_EERKSD_lbbbEUlllE1_EE10hipError_tPvRmT2_T3_mT4_P12ihipStream_tbEUlT_E_NS1_11comp_targetILNS1_3genE4ELNS1_11target_archE910ELNS1_3gpuE8ELNS1_3repE0EEENS1_30default_config_static_selectorELNS0_4arch9wavefront6targetE1EEEvT1_,comdat
	.globl	_ZN7rocprim17ROCPRIM_400000_NS6detail17trampoline_kernelINS0_14default_configENS1_35adjacent_difference_config_selectorILb0ElEEZNS1_24adjacent_difference_implIS3_Lb0ELb0EPlS7_ZN2at6native12_GLOBAL__N_124unique_dim_cuda_templateIdEESt5tupleIJNS8_6TensorESD_SD_EERKSD_lbbbEUlllE1_EE10hipError_tPvRmT2_T3_mT4_P12ihipStream_tbEUlT_E_NS1_11comp_targetILNS1_3genE4ELNS1_11target_archE910ELNS1_3gpuE8ELNS1_3repE0EEENS1_30default_config_static_selectorELNS0_4arch9wavefront6targetE1EEEvT1_ ; -- Begin function _ZN7rocprim17ROCPRIM_400000_NS6detail17trampoline_kernelINS0_14default_configENS1_35adjacent_difference_config_selectorILb0ElEEZNS1_24adjacent_difference_implIS3_Lb0ELb0EPlS7_ZN2at6native12_GLOBAL__N_124unique_dim_cuda_templateIdEESt5tupleIJNS8_6TensorESD_SD_EERKSD_lbbbEUlllE1_EE10hipError_tPvRmT2_T3_mT4_P12ihipStream_tbEUlT_E_NS1_11comp_targetILNS1_3genE4ELNS1_11target_archE910ELNS1_3gpuE8ELNS1_3repE0EEENS1_30default_config_static_selectorELNS0_4arch9wavefront6targetE1EEEvT1_
	.p2align	8
	.type	_ZN7rocprim17ROCPRIM_400000_NS6detail17trampoline_kernelINS0_14default_configENS1_35adjacent_difference_config_selectorILb0ElEEZNS1_24adjacent_difference_implIS3_Lb0ELb0EPlS7_ZN2at6native12_GLOBAL__N_124unique_dim_cuda_templateIdEESt5tupleIJNS8_6TensorESD_SD_EERKSD_lbbbEUlllE1_EE10hipError_tPvRmT2_T3_mT4_P12ihipStream_tbEUlT_E_NS1_11comp_targetILNS1_3genE4ELNS1_11target_archE910ELNS1_3gpuE8ELNS1_3repE0EEENS1_30default_config_static_selectorELNS0_4arch9wavefront6targetE1EEEvT1_,@function
_ZN7rocprim17ROCPRIM_400000_NS6detail17trampoline_kernelINS0_14default_configENS1_35adjacent_difference_config_selectorILb0ElEEZNS1_24adjacent_difference_implIS3_Lb0ELb0EPlS7_ZN2at6native12_GLOBAL__N_124unique_dim_cuda_templateIdEESt5tupleIJNS8_6TensorESD_SD_EERKSD_lbbbEUlllE1_EE10hipError_tPvRmT2_T3_mT4_P12ihipStream_tbEUlT_E_NS1_11comp_targetILNS1_3genE4ELNS1_11target_archE910ELNS1_3gpuE8ELNS1_3repE0EEENS1_30default_config_static_selectorELNS0_4arch9wavefront6targetE1EEEvT1_: ; @_ZN7rocprim17ROCPRIM_400000_NS6detail17trampoline_kernelINS0_14default_configENS1_35adjacent_difference_config_selectorILb0ElEEZNS1_24adjacent_difference_implIS3_Lb0ELb0EPlS7_ZN2at6native12_GLOBAL__N_124unique_dim_cuda_templateIdEESt5tupleIJNS8_6TensorESD_SD_EERKSD_lbbbEUlllE1_EE10hipError_tPvRmT2_T3_mT4_P12ihipStream_tbEUlT_E_NS1_11comp_targetILNS1_3genE4ELNS1_11target_archE910ELNS1_3gpuE8ELNS1_3repE0EEENS1_30default_config_static_selectorELNS0_4arch9wavefront6targetE1EEEvT1_
; %bb.0:
	.section	.rodata,"a",@progbits
	.p2align	6, 0x0
	.amdhsa_kernel _ZN7rocprim17ROCPRIM_400000_NS6detail17trampoline_kernelINS0_14default_configENS1_35adjacent_difference_config_selectorILb0ElEEZNS1_24adjacent_difference_implIS3_Lb0ELb0EPlS7_ZN2at6native12_GLOBAL__N_124unique_dim_cuda_templateIdEESt5tupleIJNS8_6TensorESD_SD_EERKSD_lbbbEUlllE1_EE10hipError_tPvRmT2_T3_mT4_P12ihipStream_tbEUlT_E_NS1_11comp_targetILNS1_3genE4ELNS1_11target_archE910ELNS1_3gpuE8ELNS1_3repE0EEENS1_30default_config_static_selectorELNS0_4arch9wavefront6targetE1EEEvT1_
		.amdhsa_group_segment_fixed_size 0
		.amdhsa_private_segment_fixed_size 0
		.amdhsa_kernarg_size 64
		.amdhsa_user_sgpr_count 2
		.amdhsa_user_sgpr_dispatch_ptr 0
		.amdhsa_user_sgpr_queue_ptr 0
		.amdhsa_user_sgpr_kernarg_segment_ptr 1
		.amdhsa_user_sgpr_dispatch_id 0
		.amdhsa_user_sgpr_kernarg_preload_length 0
		.amdhsa_user_sgpr_kernarg_preload_offset 0
		.amdhsa_user_sgpr_private_segment_size 0
		.amdhsa_uses_dynamic_stack 0
		.amdhsa_enable_private_segment 0
		.amdhsa_system_sgpr_workgroup_id_x 1
		.amdhsa_system_sgpr_workgroup_id_y 0
		.amdhsa_system_sgpr_workgroup_id_z 0
		.amdhsa_system_sgpr_workgroup_info 0
		.amdhsa_system_vgpr_workitem_id 0
		.amdhsa_next_free_vgpr 1
		.amdhsa_next_free_sgpr 0
		.amdhsa_accum_offset 4
		.amdhsa_reserve_vcc 0
		.amdhsa_float_round_mode_32 0
		.amdhsa_float_round_mode_16_64 0
		.amdhsa_float_denorm_mode_32 3
		.amdhsa_float_denorm_mode_16_64 3
		.amdhsa_dx10_clamp 1
		.amdhsa_ieee_mode 1
		.amdhsa_fp16_overflow 0
		.amdhsa_tg_split 0
		.amdhsa_exception_fp_ieee_invalid_op 0
		.amdhsa_exception_fp_denorm_src 0
		.amdhsa_exception_fp_ieee_div_zero 0
		.amdhsa_exception_fp_ieee_overflow 0
		.amdhsa_exception_fp_ieee_underflow 0
		.amdhsa_exception_fp_ieee_inexact 0
		.amdhsa_exception_int_div_zero 0
	.end_amdhsa_kernel
	.section	.text._ZN7rocprim17ROCPRIM_400000_NS6detail17trampoline_kernelINS0_14default_configENS1_35adjacent_difference_config_selectorILb0ElEEZNS1_24adjacent_difference_implIS3_Lb0ELb0EPlS7_ZN2at6native12_GLOBAL__N_124unique_dim_cuda_templateIdEESt5tupleIJNS8_6TensorESD_SD_EERKSD_lbbbEUlllE1_EE10hipError_tPvRmT2_T3_mT4_P12ihipStream_tbEUlT_E_NS1_11comp_targetILNS1_3genE4ELNS1_11target_archE910ELNS1_3gpuE8ELNS1_3repE0EEENS1_30default_config_static_selectorELNS0_4arch9wavefront6targetE1EEEvT1_,"axG",@progbits,_ZN7rocprim17ROCPRIM_400000_NS6detail17trampoline_kernelINS0_14default_configENS1_35adjacent_difference_config_selectorILb0ElEEZNS1_24adjacent_difference_implIS3_Lb0ELb0EPlS7_ZN2at6native12_GLOBAL__N_124unique_dim_cuda_templateIdEESt5tupleIJNS8_6TensorESD_SD_EERKSD_lbbbEUlllE1_EE10hipError_tPvRmT2_T3_mT4_P12ihipStream_tbEUlT_E_NS1_11comp_targetILNS1_3genE4ELNS1_11target_archE910ELNS1_3gpuE8ELNS1_3repE0EEENS1_30default_config_static_selectorELNS0_4arch9wavefront6targetE1EEEvT1_,comdat
.Lfunc_end791:
	.size	_ZN7rocprim17ROCPRIM_400000_NS6detail17trampoline_kernelINS0_14default_configENS1_35adjacent_difference_config_selectorILb0ElEEZNS1_24adjacent_difference_implIS3_Lb0ELb0EPlS7_ZN2at6native12_GLOBAL__N_124unique_dim_cuda_templateIdEESt5tupleIJNS8_6TensorESD_SD_EERKSD_lbbbEUlllE1_EE10hipError_tPvRmT2_T3_mT4_P12ihipStream_tbEUlT_E_NS1_11comp_targetILNS1_3genE4ELNS1_11target_archE910ELNS1_3gpuE8ELNS1_3repE0EEENS1_30default_config_static_selectorELNS0_4arch9wavefront6targetE1EEEvT1_, .Lfunc_end791-_ZN7rocprim17ROCPRIM_400000_NS6detail17trampoline_kernelINS0_14default_configENS1_35adjacent_difference_config_selectorILb0ElEEZNS1_24adjacent_difference_implIS3_Lb0ELb0EPlS7_ZN2at6native12_GLOBAL__N_124unique_dim_cuda_templateIdEESt5tupleIJNS8_6TensorESD_SD_EERKSD_lbbbEUlllE1_EE10hipError_tPvRmT2_T3_mT4_P12ihipStream_tbEUlT_E_NS1_11comp_targetILNS1_3genE4ELNS1_11target_archE910ELNS1_3gpuE8ELNS1_3repE0EEENS1_30default_config_static_selectorELNS0_4arch9wavefront6targetE1EEEvT1_
                                        ; -- End function
	.section	.AMDGPU.csdata,"",@progbits
; Kernel info:
; codeLenInByte = 0
; NumSgprs: 6
; NumVgprs: 0
; NumAgprs: 0
; TotalNumVgprs: 0
; ScratchSize: 0
; MemoryBound: 0
; FloatMode: 240
; IeeeMode: 1
; LDSByteSize: 0 bytes/workgroup (compile time only)
; SGPRBlocks: 0
; VGPRBlocks: 0
; NumSGPRsForWavesPerEU: 6
; NumVGPRsForWavesPerEU: 1
; AccumOffset: 4
; Occupancy: 8
; WaveLimiterHint : 0
; COMPUTE_PGM_RSRC2:SCRATCH_EN: 0
; COMPUTE_PGM_RSRC2:USER_SGPR: 2
; COMPUTE_PGM_RSRC2:TRAP_HANDLER: 0
; COMPUTE_PGM_RSRC2:TGID_X_EN: 1
; COMPUTE_PGM_RSRC2:TGID_Y_EN: 0
; COMPUTE_PGM_RSRC2:TGID_Z_EN: 0
; COMPUTE_PGM_RSRC2:TIDIG_COMP_CNT: 0
; COMPUTE_PGM_RSRC3_GFX90A:ACCUM_OFFSET: 0
; COMPUTE_PGM_RSRC3_GFX90A:TG_SPLIT: 0
	.section	.text._ZN7rocprim17ROCPRIM_400000_NS6detail17trampoline_kernelINS0_14default_configENS1_35adjacent_difference_config_selectorILb0ElEEZNS1_24adjacent_difference_implIS3_Lb0ELb0EPlS7_ZN2at6native12_GLOBAL__N_124unique_dim_cuda_templateIdEESt5tupleIJNS8_6TensorESD_SD_EERKSD_lbbbEUlllE1_EE10hipError_tPvRmT2_T3_mT4_P12ihipStream_tbEUlT_E_NS1_11comp_targetILNS1_3genE3ELNS1_11target_archE908ELNS1_3gpuE7ELNS1_3repE0EEENS1_30default_config_static_selectorELNS0_4arch9wavefront6targetE1EEEvT1_,"axG",@progbits,_ZN7rocprim17ROCPRIM_400000_NS6detail17trampoline_kernelINS0_14default_configENS1_35adjacent_difference_config_selectorILb0ElEEZNS1_24adjacent_difference_implIS3_Lb0ELb0EPlS7_ZN2at6native12_GLOBAL__N_124unique_dim_cuda_templateIdEESt5tupleIJNS8_6TensorESD_SD_EERKSD_lbbbEUlllE1_EE10hipError_tPvRmT2_T3_mT4_P12ihipStream_tbEUlT_E_NS1_11comp_targetILNS1_3genE3ELNS1_11target_archE908ELNS1_3gpuE7ELNS1_3repE0EEENS1_30default_config_static_selectorELNS0_4arch9wavefront6targetE1EEEvT1_,comdat
	.globl	_ZN7rocprim17ROCPRIM_400000_NS6detail17trampoline_kernelINS0_14default_configENS1_35adjacent_difference_config_selectorILb0ElEEZNS1_24adjacent_difference_implIS3_Lb0ELb0EPlS7_ZN2at6native12_GLOBAL__N_124unique_dim_cuda_templateIdEESt5tupleIJNS8_6TensorESD_SD_EERKSD_lbbbEUlllE1_EE10hipError_tPvRmT2_T3_mT4_P12ihipStream_tbEUlT_E_NS1_11comp_targetILNS1_3genE3ELNS1_11target_archE908ELNS1_3gpuE7ELNS1_3repE0EEENS1_30default_config_static_selectorELNS0_4arch9wavefront6targetE1EEEvT1_ ; -- Begin function _ZN7rocprim17ROCPRIM_400000_NS6detail17trampoline_kernelINS0_14default_configENS1_35adjacent_difference_config_selectorILb0ElEEZNS1_24adjacent_difference_implIS3_Lb0ELb0EPlS7_ZN2at6native12_GLOBAL__N_124unique_dim_cuda_templateIdEESt5tupleIJNS8_6TensorESD_SD_EERKSD_lbbbEUlllE1_EE10hipError_tPvRmT2_T3_mT4_P12ihipStream_tbEUlT_E_NS1_11comp_targetILNS1_3genE3ELNS1_11target_archE908ELNS1_3gpuE7ELNS1_3repE0EEENS1_30default_config_static_selectorELNS0_4arch9wavefront6targetE1EEEvT1_
	.p2align	8
	.type	_ZN7rocprim17ROCPRIM_400000_NS6detail17trampoline_kernelINS0_14default_configENS1_35adjacent_difference_config_selectorILb0ElEEZNS1_24adjacent_difference_implIS3_Lb0ELb0EPlS7_ZN2at6native12_GLOBAL__N_124unique_dim_cuda_templateIdEESt5tupleIJNS8_6TensorESD_SD_EERKSD_lbbbEUlllE1_EE10hipError_tPvRmT2_T3_mT4_P12ihipStream_tbEUlT_E_NS1_11comp_targetILNS1_3genE3ELNS1_11target_archE908ELNS1_3gpuE7ELNS1_3repE0EEENS1_30default_config_static_selectorELNS0_4arch9wavefront6targetE1EEEvT1_,@function
_ZN7rocprim17ROCPRIM_400000_NS6detail17trampoline_kernelINS0_14default_configENS1_35adjacent_difference_config_selectorILb0ElEEZNS1_24adjacent_difference_implIS3_Lb0ELb0EPlS7_ZN2at6native12_GLOBAL__N_124unique_dim_cuda_templateIdEESt5tupleIJNS8_6TensorESD_SD_EERKSD_lbbbEUlllE1_EE10hipError_tPvRmT2_T3_mT4_P12ihipStream_tbEUlT_E_NS1_11comp_targetILNS1_3genE3ELNS1_11target_archE908ELNS1_3gpuE7ELNS1_3repE0EEENS1_30default_config_static_selectorELNS0_4arch9wavefront6targetE1EEEvT1_: ; @_ZN7rocprim17ROCPRIM_400000_NS6detail17trampoline_kernelINS0_14default_configENS1_35adjacent_difference_config_selectorILb0ElEEZNS1_24adjacent_difference_implIS3_Lb0ELb0EPlS7_ZN2at6native12_GLOBAL__N_124unique_dim_cuda_templateIdEESt5tupleIJNS8_6TensorESD_SD_EERKSD_lbbbEUlllE1_EE10hipError_tPvRmT2_T3_mT4_P12ihipStream_tbEUlT_E_NS1_11comp_targetILNS1_3genE3ELNS1_11target_archE908ELNS1_3gpuE7ELNS1_3repE0EEENS1_30default_config_static_selectorELNS0_4arch9wavefront6targetE1EEEvT1_
; %bb.0:
	.section	.rodata,"a",@progbits
	.p2align	6, 0x0
	.amdhsa_kernel _ZN7rocprim17ROCPRIM_400000_NS6detail17trampoline_kernelINS0_14default_configENS1_35adjacent_difference_config_selectorILb0ElEEZNS1_24adjacent_difference_implIS3_Lb0ELb0EPlS7_ZN2at6native12_GLOBAL__N_124unique_dim_cuda_templateIdEESt5tupleIJNS8_6TensorESD_SD_EERKSD_lbbbEUlllE1_EE10hipError_tPvRmT2_T3_mT4_P12ihipStream_tbEUlT_E_NS1_11comp_targetILNS1_3genE3ELNS1_11target_archE908ELNS1_3gpuE7ELNS1_3repE0EEENS1_30default_config_static_selectorELNS0_4arch9wavefront6targetE1EEEvT1_
		.amdhsa_group_segment_fixed_size 0
		.amdhsa_private_segment_fixed_size 0
		.amdhsa_kernarg_size 64
		.amdhsa_user_sgpr_count 2
		.amdhsa_user_sgpr_dispatch_ptr 0
		.amdhsa_user_sgpr_queue_ptr 0
		.amdhsa_user_sgpr_kernarg_segment_ptr 1
		.amdhsa_user_sgpr_dispatch_id 0
		.amdhsa_user_sgpr_kernarg_preload_length 0
		.amdhsa_user_sgpr_kernarg_preload_offset 0
		.amdhsa_user_sgpr_private_segment_size 0
		.amdhsa_uses_dynamic_stack 0
		.amdhsa_enable_private_segment 0
		.amdhsa_system_sgpr_workgroup_id_x 1
		.amdhsa_system_sgpr_workgroup_id_y 0
		.amdhsa_system_sgpr_workgroup_id_z 0
		.amdhsa_system_sgpr_workgroup_info 0
		.amdhsa_system_vgpr_workitem_id 0
		.amdhsa_next_free_vgpr 1
		.amdhsa_next_free_sgpr 0
		.amdhsa_accum_offset 4
		.amdhsa_reserve_vcc 0
		.amdhsa_float_round_mode_32 0
		.amdhsa_float_round_mode_16_64 0
		.amdhsa_float_denorm_mode_32 3
		.amdhsa_float_denorm_mode_16_64 3
		.amdhsa_dx10_clamp 1
		.amdhsa_ieee_mode 1
		.amdhsa_fp16_overflow 0
		.amdhsa_tg_split 0
		.amdhsa_exception_fp_ieee_invalid_op 0
		.amdhsa_exception_fp_denorm_src 0
		.amdhsa_exception_fp_ieee_div_zero 0
		.amdhsa_exception_fp_ieee_overflow 0
		.amdhsa_exception_fp_ieee_underflow 0
		.amdhsa_exception_fp_ieee_inexact 0
		.amdhsa_exception_int_div_zero 0
	.end_amdhsa_kernel
	.section	.text._ZN7rocprim17ROCPRIM_400000_NS6detail17trampoline_kernelINS0_14default_configENS1_35adjacent_difference_config_selectorILb0ElEEZNS1_24adjacent_difference_implIS3_Lb0ELb0EPlS7_ZN2at6native12_GLOBAL__N_124unique_dim_cuda_templateIdEESt5tupleIJNS8_6TensorESD_SD_EERKSD_lbbbEUlllE1_EE10hipError_tPvRmT2_T3_mT4_P12ihipStream_tbEUlT_E_NS1_11comp_targetILNS1_3genE3ELNS1_11target_archE908ELNS1_3gpuE7ELNS1_3repE0EEENS1_30default_config_static_selectorELNS0_4arch9wavefront6targetE1EEEvT1_,"axG",@progbits,_ZN7rocprim17ROCPRIM_400000_NS6detail17trampoline_kernelINS0_14default_configENS1_35adjacent_difference_config_selectorILb0ElEEZNS1_24adjacent_difference_implIS3_Lb0ELb0EPlS7_ZN2at6native12_GLOBAL__N_124unique_dim_cuda_templateIdEESt5tupleIJNS8_6TensorESD_SD_EERKSD_lbbbEUlllE1_EE10hipError_tPvRmT2_T3_mT4_P12ihipStream_tbEUlT_E_NS1_11comp_targetILNS1_3genE3ELNS1_11target_archE908ELNS1_3gpuE7ELNS1_3repE0EEENS1_30default_config_static_selectorELNS0_4arch9wavefront6targetE1EEEvT1_,comdat
.Lfunc_end792:
	.size	_ZN7rocprim17ROCPRIM_400000_NS6detail17trampoline_kernelINS0_14default_configENS1_35adjacent_difference_config_selectorILb0ElEEZNS1_24adjacent_difference_implIS3_Lb0ELb0EPlS7_ZN2at6native12_GLOBAL__N_124unique_dim_cuda_templateIdEESt5tupleIJNS8_6TensorESD_SD_EERKSD_lbbbEUlllE1_EE10hipError_tPvRmT2_T3_mT4_P12ihipStream_tbEUlT_E_NS1_11comp_targetILNS1_3genE3ELNS1_11target_archE908ELNS1_3gpuE7ELNS1_3repE0EEENS1_30default_config_static_selectorELNS0_4arch9wavefront6targetE1EEEvT1_, .Lfunc_end792-_ZN7rocprim17ROCPRIM_400000_NS6detail17trampoline_kernelINS0_14default_configENS1_35adjacent_difference_config_selectorILb0ElEEZNS1_24adjacent_difference_implIS3_Lb0ELb0EPlS7_ZN2at6native12_GLOBAL__N_124unique_dim_cuda_templateIdEESt5tupleIJNS8_6TensorESD_SD_EERKSD_lbbbEUlllE1_EE10hipError_tPvRmT2_T3_mT4_P12ihipStream_tbEUlT_E_NS1_11comp_targetILNS1_3genE3ELNS1_11target_archE908ELNS1_3gpuE7ELNS1_3repE0EEENS1_30default_config_static_selectorELNS0_4arch9wavefront6targetE1EEEvT1_
                                        ; -- End function
	.section	.AMDGPU.csdata,"",@progbits
; Kernel info:
; codeLenInByte = 0
; NumSgprs: 6
; NumVgprs: 0
; NumAgprs: 0
; TotalNumVgprs: 0
; ScratchSize: 0
; MemoryBound: 0
; FloatMode: 240
; IeeeMode: 1
; LDSByteSize: 0 bytes/workgroup (compile time only)
; SGPRBlocks: 0
; VGPRBlocks: 0
; NumSGPRsForWavesPerEU: 6
; NumVGPRsForWavesPerEU: 1
; AccumOffset: 4
; Occupancy: 8
; WaveLimiterHint : 0
; COMPUTE_PGM_RSRC2:SCRATCH_EN: 0
; COMPUTE_PGM_RSRC2:USER_SGPR: 2
; COMPUTE_PGM_RSRC2:TRAP_HANDLER: 0
; COMPUTE_PGM_RSRC2:TGID_X_EN: 1
; COMPUTE_PGM_RSRC2:TGID_Y_EN: 0
; COMPUTE_PGM_RSRC2:TGID_Z_EN: 0
; COMPUTE_PGM_RSRC2:TIDIG_COMP_CNT: 0
; COMPUTE_PGM_RSRC3_GFX90A:ACCUM_OFFSET: 0
; COMPUTE_PGM_RSRC3_GFX90A:TG_SPLIT: 0
	.section	.text._ZN7rocprim17ROCPRIM_400000_NS6detail17trampoline_kernelINS0_14default_configENS1_35adjacent_difference_config_selectorILb0ElEEZNS1_24adjacent_difference_implIS3_Lb0ELb0EPlS7_ZN2at6native12_GLOBAL__N_124unique_dim_cuda_templateIdEESt5tupleIJNS8_6TensorESD_SD_EERKSD_lbbbEUlllE1_EE10hipError_tPvRmT2_T3_mT4_P12ihipStream_tbEUlT_E_NS1_11comp_targetILNS1_3genE2ELNS1_11target_archE906ELNS1_3gpuE6ELNS1_3repE0EEENS1_30default_config_static_selectorELNS0_4arch9wavefront6targetE1EEEvT1_,"axG",@progbits,_ZN7rocprim17ROCPRIM_400000_NS6detail17trampoline_kernelINS0_14default_configENS1_35adjacent_difference_config_selectorILb0ElEEZNS1_24adjacent_difference_implIS3_Lb0ELb0EPlS7_ZN2at6native12_GLOBAL__N_124unique_dim_cuda_templateIdEESt5tupleIJNS8_6TensorESD_SD_EERKSD_lbbbEUlllE1_EE10hipError_tPvRmT2_T3_mT4_P12ihipStream_tbEUlT_E_NS1_11comp_targetILNS1_3genE2ELNS1_11target_archE906ELNS1_3gpuE6ELNS1_3repE0EEENS1_30default_config_static_selectorELNS0_4arch9wavefront6targetE1EEEvT1_,comdat
	.globl	_ZN7rocprim17ROCPRIM_400000_NS6detail17trampoline_kernelINS0_14default_configENS1_35adjacent_difference_config_selectorILb0ElEEZNS1_24adjacent_difference_implIS3_Lb0ELb0EPlS7_ZN2at6native12_GLOBAL__N_124unique_dim_cuda_templateIdEESt5tupleIJNS8_6TensorESD_SD_EERKSD_lbbbEUlllE1_EE10hipError_tPvRmT2_T3_mT4_P12ihipStream_tbEUlT_E_NS1_11comp_targetILNS1_3genE2ELNS1_11target_archE906ELNS1_3gpuE6ELNS1_3repE0EEENS1_30default_config_static_selectorELNS0_4arch9wavefront6targetE1EEEvT1_ ; -- Begin function _ZN7rocprim17ROCPRIM_400000_NS6detail17trampoline_kernelINS0_14default_configENS1_35adjacent_difference_config_selectorILb0ElEEZNS1_24adjacent_difference_implIS3_Lb0ELb0EPlS7_ZN2at6native12_GLOBAL__N_124unique_dim_cuda_templateIdEESt5tupleIJNS8_6TensorESD_SD_EERKSD_lbbbEUlllE1_EE10hipError_tPvRmT2_T3_mT4_P12ihipStream_tbEUlT_E_NS1_11comp_targetILNS1_3genE2ELNS1_11target_archE906ELNS1_3gpuE6ELNS1_3repE0EEENS1_30default_config_static_selectorELNS0_4arch9wavefront6targetE1EEEvT1_
	.p2align	8
	.type	_ZN7rocprim17ROCPRIM_400000_NS6detail17trampoline_kernelINS0_14default_configENS1_35adjacent_difference_config_selectorILb0ElEEZNS1_24adjacent_difference_implIS3_Lb0ELb0EPlS7_ZN2at6native12_GLOBAL__N_124unique_dim_cuda_templateIdEESt5tupleIJNS8_6TensorESD_SD_EERKSD_lbbbEUlllE1_EE10hipError_tPvRmT2_T3_mT4_P12ihipStream_tbEUlT_E_NS1_11comp_targetILNS1_3genE2ELNS1_11target_archE906ELNS1_3gpuE6ELNS1_3repE0EEENS1_30default_config_static_selectorELNS0_4arch9wavefront6targetE1EEEvT1_,@function
_ZN7rocprim17ROCPRIM_400000_NS6detail17trampoline_kernelINS0_14default_configENS1_35adjacent_difference_config_selectorILb0ElEEZNS1_24adjacent_difference_implIS3_Lb0ELb0EPlS7_ZN2at6native12_GLOBAL__N_124unique_dim_cuda_templateIdEESt5tupleIJNS8_6TensorESD_SD_EERKSD_lbbbEUlllE1_EE10hipError_tPvRmT2_T3_mT4_P12ihipStream_tbEUlT_E_NS1_11comp_targetILNS1_3genE2ELNS1_11target_archE906ELNS1_3gpuE6ELNS1_3repE0EEENS1_30default_config_static_selectorELNS0_4arch9wavefront6targetE1EEEvT1_: ; @_ZN7rocprim17ROCPRIM_400000_NS6detail17trampoline_kernelINS0_14default_configENS1_35adjacent_difference_config_selectorILb0ElEEZNS1_24adjacent_difference_implIS3_Lb0ELb0EPlS7_ZN2at6native12_GLOBAL__N_124unique_dim_cuda_templateIdEESt5tupleIJNS8_6TensorESD_SD_EERKSD_lbbbEUlllE1_EE10hipError_tPvRmT2_T3_mT4_P12ihipStream_tbEUlT_E_NS1_11comp_targetILNS1_3genE2ELNS1_11target_archE906ELNS1_3gpuE6ELNS1_3repE0EEENS1_30default_config_static_selectorELNS0_4arch9wavefront6targetE1EEEvT1_
; %bb.0:
	.section	.rodata,"a",@progbits
	.p2align	6, 0x0
	.amdhsa_kernel _ZN7rocprim17ROCPRIM_400000_NS6detail17trampoline_kernelINS0_14default_configENS1_35adjacent_difference_config_selectorILb0ElEEZNS1_24adjacent_difference_implIS3_Lb0ELb0EPlS7_ZN2at6native12_GLOBAL__N_124unique_dim_cuda_templateIdEESt5tupleIJNS8_6TensorESD_SD_EERKSD_lbbbEUlllE1_EE10hipError_tPvRmT2_T3_mT4_P12ihipStream_tbEUlT_E_NS1_11comp_targetILNS1_3genE2ELNS1_11target_archE906ELNS1_3gpuE6ELNS1_3repE0EEENS1_30default_config_static_selectorELNS0_4arch9wavefront6targetE1EEEvT1_
		.amdhsa_group_segment_fixed_size 0
		.amdhsa_private_segment_fixed_size 0
		.amdhsa_kernarg_size 64
		.amdhsa_user_sgpr_count 2
		.amdhsa_user_sgpr_dispatch_ptr 0
		.amdhsa_user_sgpr_queue_ptr 0
		.amdhsa_user_sgpr_kernarg_segment_ptr 1
		.amdhsa_user_sgpr_dispatch_id 0
		.amdhsa_user_sgpr_kernarg_preload_length 0
		.amdhsa_user_sgpr_kernarg_preload_offset 0
		.amdhsa_user_sgpr_private_segment_size 0
		.amdhsa_uses_dynamic_stack 0
		.amdhsa_enable_private_segment 0
		.amdhsa_system_sgpr_workgroup_id_x 1
		.amdhsa_system_sgpr_workgroup_id_y 0
		.amdhsa_system_sgpr_workgroup_id_z 0
		.amdhsa_system_sgpr_workgroup_info 0
		.amdhsa_system_vgpr_workitem_id 0
		.amdhsa_next_free_vgpr 1
		.amdhsa_next_free_sgpr 0
		.amdhsa_accum_offset 4
		.amdhsa_reserve_vcc 0
		.amdhsa_float_round_mode_32 0
		.amdhsa_float_round_mode_16_64 0
		.amdhsa_float_denorm_mode_32 3
		.amdhsa_float_denorm_mode_16_64 3
		.amdhsa_dx10_clamp 1
		.amdhsa_ieee_mode 1
		.amdhsa_fp16_overflow 0
		.amdhsa_tg_split 0
		.amdhsa_exception_fp_ieee_invalid_op 0
		.amdhsa_exception_fp_denorm_src 0
		.amdhsa_exception_fp_ieee_div_zero 0
		.amdhsa_exception_fp_ieee_overflow 0
		.amdhsa_exception_fp_ieee_underflow 0
		.amdhsa_exception_fp_ieee_inexact 0
		.amdhsa_exception_int_div_zero 0
	.end_amdhsa_kernel
	.section	.text._ZN7rocprim17ROCPRIM_400000_NS6detail17trampoline_kernelINS0_14default_configENS1_35adjacent_difference_config_selectorILb0ElEEZNS1_24adjacent_difference_implIS3_Lb0ELb0EPlS7_ZN2at6native12_GLOBAL__N_124unique_dim_cuda_templateIdEESt5tupleIJNS8_6TensorESD_SD_EERKSD_lbbbEUlllE1_EE10hipError_tPvRmT2_T3_mT4_P12ihipStream_tbEUlT_E_NS1_11comp_targetILNS1_3genE2ELNS1_11target_archE906ELNS1_3gpuE6ELNS1_3repE0EEENS1_30default_config_static_selectorELNS0_4arch9wavefront6targetE1EEEvT1_,"axG",@progbits,_ZN7rocprim17ROCPRIM_400000_NS6detail17trampoline_kernelINS0_14default_configENS1_35adjacent_difference_config_selectorILb0ElEEZNS1_24adjacent_difference_implIS3_Lb0ELb0EPlS7_ZN2at6native12_GLOBAL__N_124unique_dim_cuda_templateIdEESt5tupleIJNS8_6TensorESD_SD_EERKSD_lbbbEUlllE1_EE10hipError_tPvRmT2_T3_mT4_P12ihipStream_tbEUlT_E_NS1_11comp_targetILNS1_3genE2ELNS1_11target_archE906ELNS1_3gpuE6ELNS1_3repE0EEENS1_30default_config_static_selectorELNS0_4arch9wavefront6targetE1EEEvT1_,comdat
.Lfunc_end793:
	.size	_ZN7rocprim17ROCPRIM_400000_NS6detail17trampoline_kernelINS0_14default_configENS1_35adjacent_difference_config_selectorILb0ElEEZNS1_24adjacent_difference_implIS3_Lb0ELb0EPlS7_ZN2at6native12_GLOBAL__N_124unique_dim_cuda_templateIdEESt5tupleIJNS8_6TensorESD_SD_EERKSD_lbbbEUlllE1_EE10hipError_tPvRmT2_T3_mT4_P12ihipStream_tbEUlT_E_NS1_11comp_targetILNS1_3genE2ELNS1_11target_archE906ELNS1_3gpuE6ELNS1_3repE0EEENS1_30default_config_static_selectorELNS0_4arch9wavefront6targetE1EEEvT1_, .Lfunc_end793-_ZN7rocprim17ROCPRIM_400000_NS6detail17trampoline_kernelINS0_14default_configENS1_35adjacent_difference_config_selectorILb0ElEEZNS1_24adjacent_difference_implIS3_Lb0ELb0EPlS7_ZN2at6native12_GLOBAL__N_124unique_dim_cuda_templateIdEESt5tupleIJNS8_6TensorESD_SD_EERKSD_lbbbEUlllE1_EE10hipError_tPvRmT2_T3_mT4_P12ihipStream_tbEUlT_E_NS1_11comp_targetILNS1_3genE2ELNS1_11target_archE906ELNS1_3gpuE6ELNS1_3repE0EEENS1_30default_config_static_selectorELNS0_4arch9wavefront6targetE1EEEvT1_
                                        ; -- End function
	.section	.AMDGPU.csdata,"",@progbits
; Kernel info:
; codeLenInByte = 0
; NumSgprs: 6
; NumVgprs: 0
; NumAgprs: 0
; TotalNumVgprs: 0
; ScratchSize: 0
; MemoryBound: 0
; FloatMode: 240
; IeeeMode: 1
; LDSByteSize: 0 bytes/workgroup (compile time only)
; SGPRBlocks: 0
; VGPRBlocks: 0
; NumSGPRsForWavesPerEU: 6
; NumVGPRsForWavesPerEU: 1
; AccumOffset: 4
; Occupancy: 8
; WaveLimiterHint : 0
; COMPUTE_PGM_RSRC2:SCRATCH_EN: 0
; COMPUTE_PGM_RSRC2:USER_SGPR: 2
; COMPUTE_PGM_RSRC2:TRAP_HANDLER: 0
; COMPUTE_PGM_RSRC2:TGID_X_EN: 1
; COMPUTE_PGM_RSRC2:TGID_Y_EN: 0
; COMPUTE_PGM_RSRC2:TGID_Z_EN: 0
; COMPUTE_PGM_RSRC2:TIDIG_COMP_CNT: 0
; COMPUTE_PGM_RSRC3_GFX90A:ACCUM_OFFSET: 0
; COMPUTE_PGM_RSRC3_GFX90A:TG_SPLIT: 0
	.section	.text._ZN7rocprim17ROCPRIM_400000_NS6detail17trampoline_kernelINS0_14default_configENS1_35adjacent_difference_config_selectorILb0ElEEZNS1_24adjacent_difference_implIS3_Lb0ELb0EPlS7_ZN2at6native12_GLOBAL__N_124unique_dim_cuda_templateIdEESt5tupleIJNS8_6TensorESD_SD_EERKSD_lbbbEUlllE1_EE10hipError_tPvRmT2_T3_mT4_P12ihipStream_tbEUlT_E_NS1_11comp_targetILNS1_3genE9ELNS1_11target_archE1100ELNS1_3gpuE3ELNS1_3repE0EEENS1_30default_config_static_selectorELNS0_4arch9wavefront6targetE1EEEvT1_,"axG",@progbits,_ZN7rocprim17ROCPRIM_400000_NS6detail17trampoline_kernelINS0_14default_configENS1_35adjacent_difference_config_selectorILb0ElEEZNS1_24adjacent_difference_implIS3_Lb0ELb0EPlS7_ZN2at6native12_GLOBAL__N_124unique_dim_cuda_templateIdEESt5tupleIJNS8_6TensorESD_SD_EERKSD_lbbbEUlllE1_EE10hipError_tPvRmT2_T3_mT4_P12ihipStream_tbEUlT_E_NS1_11comp_targetILNS1_3genE9ELNS1_11target_archE1100ELNS1_3gpuE3ELNS1_3repE0EEENS1_30default_config_static_selectorELNS0_4arch9wavefront6targetE1EEEvT1_,comdat
	.globl	_ZN7rocprim17ROCPRIM_400000_NS6detail17trampoline_kernelINS0_14default_configENS1_35adjacent_difference_config_selectorILb0ElEEZNS1_24adjacent_difference_implIS3_Lb0ELb0EPlS7_ZN2at6native12_GLOBAL__N_124unique_dim_cuda_templateIdEESt5tupleIJNS8_6TensorESD_SD_EERKSD_lbbbEUlllE1_EE10hipError_tPvRmT2_T3_mT4_P12ihipStream_tbEUlT_E_NS1_11comp_targetILNS1_3genE9ELNS1_11target_archE1100ELNS1_3gpuE3ELNS1_3repE0EEENS1_30default_config_static_selectorELNS0_4arch9wavefront6targetE1EEEvT1_ ; -- Begin function _ZN7rocprim17ROCPRIM_400000_NS6detail17trampoline_kernelINS0_14default_configENS1_35adjacent_difference_config_selectorILb0ElEEZNS1_24adjacent_difference_implIS3_Lb0ELb0EPlS7_ZN2at6native12_GLOBAL__N_124unique_dim_cuda_templateIdEESt5tupleIJNS8_6TensorESD_SD_EERKSD_lbbbEUlllE1_EE10hipError_tPvRmT2_T3_mT4_P12ihipStream_tbEUlT_E_NS1_11comp_targetILNS1_3genE9ELNS1_11target_archE1100ELNS1_3gpuE3ELNS1_3repE0EEENS1_30default_config_static_selectorELNS0_4arch9wavefront6targetE1EEEvT1_
	.p2align	8
	.type	_ZN7rocprim17ROCPRIM_400000_NS6detail17trampoline_kernelINS0_14default_configENS1_35adjacent_difference_config_selectorILb0ElEEZNS1_24adjacent_difference_implIS3_Lb0ELb0EPlS7_ZN2at6native12_GLOBAL__N_124unique_dim_cuda_templateIdEESt5tupleIJNS8_6TensorESD_SD_EERKSD_lbbbEUlllE1_EE10hipError_tPvRmT2_T3_mT4_P12ihipStream_tbEUlT_E_NS1_11comp_targetILNS1_3genE9ELNS1_11target_archE1100ELNS1_3gpuE3ELNS1_3repE0EEENS1_30default_config_static_selectorELNS0_4arch9wavefront6targetE1EEEvT1_,@function
_ZN7rocprim17ROCPRIM_400000_NS6detail17trampoline_kernelINS0_14default_configENS1_35adjacent_difference_config_selectorILb0ElEEZNS1_24adjacent_difference_implIS3_Lb0ELb0EPlS7_ZN2at6native12_GLOBAL__N_124unique_dim_cuda_templateIdEESt5tupleIJNS8_6TensorESD_SD_EERKSD_lbbbEUlllE1_EE10hipError_tPvRmT2_T3_mT4_P12ihipStream_tbEUlT_E_NS1_11comp_targetILNS1_3genE9ELNS1_11target_archE1100ELNS1_3gpuE3ELNS1_3repE0EEENS1_30default_config_static_selectorELNS0_4arch9wavefront6targetE1EEEvT1_: ; @_ZN7rocprim17ROCPRIM_400000_NS6detail17trampoline_kernelINS0_14default_configENS1_35adjacent_difference_config_selectorILb0ElEEZNS1_24adjacent_difference_implIS3_Lb0ELb0EPlS7_ZN2at6native12_GLOBAL__N_124unique_dim_cuda_templateIdEESt5tupleIJNS8_6TensorESD_SD_EERKSD_lbbbEUlllE1_EE10hipError_tPvRmT2_T3_mT4_P12ihipStream_tbEUlT_E_NS1_11comp_targetILNS1_3genE9ELNS1_11target_archE1100ELNS1_3gpuE3ELNS1_3repE0EEENS1_30default_config_static_selectorELNS0_4arch9wavefront6targetE1EEEvT1_
; %bb.0:
	.section	.rodata,"a",@progbits
	.p2align	6, 0x0
	.amdhsa_kernel _ZN7rocprim17ROCPRIM_400000_NS6detail17trampoline_kernelINS0_14default_configENS1_35adjacent_difference_config_selectorILb0ElEEZNS1_24adjacent_difference_implIS3_Lb0ELb0EPlS7_ZN2at6native12_GLOBAL__N_124unique_dim_cuda_templateIdEESt5tupleIJNS8_6TensorESD_SD_EERKSD_lbbbEUlllE1_EE10hipError_tPvRmT2_T3_mT4_P12ihipStream_tbEUlT_E_NS1_11comp_targetILNS1_3genE9ELNS1_11target_archE1100ELNS1_3gpuE3ELNS1_3repE0EEENS1_30default_config_static_selectorELNS0_4arch9wavefront6targetE1EEEvT1_
		.amdhsa_group_segment_fixed_size 0
		.amdhsa_private_segment_fixed_size 0
		.amdhsa_kernarg_size 64
		.amdhsa_user_sgpr_count 2
		.amdhsa_user_sgpr_dispatch_ptr 0
		.amdhsa_user_sgpr_queue_ptr 0
		.amdhsa_user_sgpr_kernarg_segment_ptr 1
		.amdhsa_user_sgpr_dispatch_id 0
		.amdhsa_user_sgpr_kernarg_preload_length 0
		.amdhsa_user_sgpr_kernarg_preload_offset 0
		.amdhsa_user_sgpr_private_segment_size 0
		.amdhsa_uses_dynamic_stack 0
		.amdhsa_enable_private_segment 0
		.amdhsa_system_sgpr_workgroup_id_x 1
		.amdhsa_system_sgpr_workgroup_id_y 0
		.amdhsa_system_sgpr_workgroup_id_z 0
		.amdhsa_system_sgpr_workgroup_info 0
		.amdhsa_system_vgpr_workitem_id 0
		.amdhsa_next_free_vgpr 1
		.amdhsa_next_free_sgpr 0
		.amdhsa_accum_offset 4
		.amdhsa_reserve_vcc 0
		.amdhsa_float_round_mode_32 0
		.amdhsa_float_round_mode_16_64 0
		.amdhsa_float_denorm_mode_32 3
		.amdhsa_float_denorm_mode_16_64 3
		.amdhsa_dx10_clamp 1
		.amdhsa_ieee_mode 1
		.amdhsa_fp16_overflow 0
		.amdhsa_tg_split 0
		.amdhsa_exception_fp_ieee_invalid_op 0
		.amdhsa_exception_fp_denorm_src 0
		.amdhsa_exception_fp_ieee_div_zero 0
		.amdhsa_exception_fp_ieee_overflow 0
		.amdhsa_exception_fp_ieee_underflow 0
		.amdhsa_exception_fp_ieee_inexact 0
		.amdhsa_exception_int_div_zero 0
	.end_amdhsa_kernel
	.section	.text._ZN7rocprim17ROCPRIM_400000_NS6detail17trampoline_kernelINS0_14default_configENS1_35adjacent_difference_config_selectorILb0ElEEZNS1_24adjacent_difference_implIS3_Lb0ELb0EPlS7_ZN2at6native12_GLOBAL__N_124unique_dim_cuda_templateIdEESt5tupleIJNS8_6TensorESD_SD_EERKSD_lbbbEUlllE1_EE10hipError_tPvRmT2_T3_mT4_P12ihipStream_tbEUlT_E_NS1_11comp_targetILNS1_3genE9ELNS1_11target_archE1100ELNS1_3gpuE3ELNS1_3repE0EEENS1_30default_config_static_selectorELNS0_4arch9wavefront6targetE1EEEvT1_,"axG",@progbits,_ZN7rocprim17ROCPRIM_400000_NS6detail17trampoline_kernelINS0_14default_configENS1_35adjacent_difference_config_selectorILb0ElEEZNS1_24adjacent_difference_implIS3_Lb0ELb0EPlS7_ZN2at6native12_GLOBAL__N_124unique_dim_cuda_templateIdEESt5tupleIJNS8_6TensorESD_SD_EERKSD_lbbbEUlllE1_EE10hipError_tPvRmT2_T3_mT4_P12ihipStream_tbEUlT_E_NS1_11comp_targetILNS1_3genE9ELNS1_11target_archE1100ELNS1_3gpuE3ELNS1_3repE0EEENS1_30default_config_static_selectorELNS0_4arch9wavefront6targetE1EEEvT1_,comdat
.Lfunc_end794:
	.size	_ZN7rocprim17ROCPRIM_400000_NS6detail17trampoline_kernelINS0_14default_configENS1_35adjacent_difference_config_selectorILb0ElEEZNS1_24adjacent_difference_implIS3_Lb0ELb0EPlS7_ZN2at6native12_GLOBAL__N_124unique_dim_cuda_templateIdEESt5tupleIJNS8_6TensorESD_SD_EERKSD_lbbbEUlllE1_EE10hipError_tPvRmT2_T3_mT4_P12ihipStream_tbEUlT_E_NS1_11comp_targetILNS1_3genE9ELNS1_11target_archE1100ELNS1_3gpuE3ELNS1_3repE0EEENS1_30default_config_static_selectorELNS0_4arch9wavefront6targetE1EEEvT1_, .Lfunc_end794-_ZN7rocprim17ROCPRIM_400000_NS6detail17trampoline_kernelINS0_14default_configENS1_35adjacent_difference_config_selectorILb0ElEEZNS1_24adjacent_difference_implIS3_Lb0ELb0EPlS7_ZN2at6native12_GLOBAL__N_124unique_dim_cuda_templateIdEESt5tupleIJNS8_6TensorESD_SD_EERKSD_lbbbEUlllE1_EE10hipError_tPvRmT2_T3_mT4_P12ihipStream_tbEUlT_E_NS1_11comp_targetILNS1_3genE9ELNS1_11target_archE1100ELNS1_3gpuE3ELNS1_3repE0EEENS1_30default_config_static_selectorELNS0_4arch9wavefront6targetE1EEEvT1_
                                        ; -- End function
	.section	.AMDGPU.csdata,"",@progbits
; Kernel info:
; codeLenInByte = 0
; NumSgprs: 6
; NumVgprs: 0
; NumAgprs: 0
; TotalNumVgprs: 0
; ScratchSize: 0
; MemoryBound: 0
; FloatMode: 240
; IeeeMode: 1
; LDSByteSize: 0 bytes/workgroup (compile time only)
; SGPRBlocks: 0
; VGPRBlocks: 0
; NumSGPRsForWavesPerEU: 6
; NumVGPRsForWavesPerEU: 1
; AccumOffset: 4
; Occupancy: 8
; WaveLimiterHint : 0
; COMPUTE_PGM_RSRC2:SCRATCH_EN: 0
; COMPUTE_PGM_RSRC2:USER_SGPR: 2
; COMPUTE_PGM_RSRC2:TRAP_HANDLER: 0
; COMPUTE_PGM_RSRC2:TGID_X_EN: 1
; COMPUTE_PGM_RSRC2:TGID_Y_EN: 0
; COMPUTE_PGM_RSRC2:TGID_Z_EN: 0
; COMPUTE_PGM_RSRC2:TIDIG_COMP_CNT: 0
; COMPUTE_PGM_RSRC3_GFX90A:ACCUM_OFFSET: 0
; COMPUTE_PGM_RSRC3_GFX90A:TG_SPLIT: 0
	.section	.text._ZN7rocprim17ROCPRIM_400000_NS6detail17trampoline_kernelINS0_14default_configENS1_35adjacent_difference_config_selectorILb0ElEEZNS1_24adjacent_difference_implIS3_Lb0ELb0EPlS7_ZN2at6native12_GLOBAL__N_124unique_dim_cuda_templateIdEESt5tupleIJNS8_6TensorESD_SD_EERKSD_lbbbEUlllE1_EE10hipError_tPvRmT2_T3_mT4_P12ihipStream_tbEUlT_E_NS1_11comp_targetILNS1_3genE8ELNS1_11target_archE1030ELNS1_3gpuE2ELNS1_3repE0EEENS1_30default_config_static_selectorELNS0_4arch9wavefront6targetE1EEEvT1_,"axG",@progbits,_ZN7rocprim17ROCPRIM_400000_NS6detail17trampoline_kernelINS0_14default_configENS1_35adjacent_difference_config_selectorILb0ElEEZNS1_24adjacent_difference_implIS3_Lb0ELb0EPlS7_ZN2at6native12_GLOBAL__N_124unique_dim_cuda_templateIdEESt5tupleIJNS8_6TensorESD_SD_EERKSD_lbbbEUlllE1_EE10hipError_tPvRmT2_T3_mT4_P12ihipStream_tbEUlT_E_NS1_11comp_targetILNS1_3genE8ELNS1_11target_archE1030ELNS1_3gpuE2ELNS1_3repE0EEENS1_30default_config_static_selectorELNS0_4arch9wavefront6targetE1EEEvT1_,comdat
	.globl	_ZN7rocprim17ROCPRIM_400000_NS6detail17trampoline_kernelINS0_14default_configENS1_35adjacent_difference_config_selectorILb0ElEEZNS1_24adjacent_difference_implIS3_Lb0ELb0EPlS7_ZN2at6native12_GLOBAL__N_124unique_dim_cuda_templateIdEESt5tupleIJNS8_6TensorESD_SD_EERKSD_lbbbEUlllE1_EE10hipError_tPvRmT2_T3_mT4_P12ihipStream_tbEUlT_E_NS1_11comp_targetILNS1_3genE8ELNS1_11target_archE1030ELNS1_3gpuE2ELNS1_3repE0EEENS1_30default_config_static_selectorELNS0_4arch9wavefront6targetE1EEEvT1_ ; -- Begin function _ZN7rocprim17ROCPRIM_400000_NS6detail17trampoline_kernelINS0_14default_configENS1_35adjacent_difference_config_selectorILb0ElEEZNS1_24adjacent_difference_implIS3_Lb0ELb0EPlS7_ZN2at6native12_GLOBAL__N_124unique_dim_cuda_templateIdEESt5tupleIJNS8_6TensorESD_SD_EERKSD_lbbbEUlllE1_EE10hipError_tPvRmT2_T3_mT4_P12ihipStream_tbEUlT_E_NS1_11comp_targetILNS1_3genE8ELNS1_11target_archE1030ELNS1_3gpuE2ELNS1_3repE0EEENS1_30default_config_static_selectorELNS0_4arch9wavefront6targetE1EEEvT1_
	.p2align	8
	.type	_ZN7rocprim17ROCPRIM_400000_NS6detail17trampoline_kernelINS0_14default_configENS1_35adjacent_difference_config_selectorILb0ElEEZNS1_24adjacent_difference_implIS3_Lb0ELb0EPlS7_ZN2at6native12_GLOBAL__N_124unique_dim_cuda_templateIdEESt5tupleIJNS8_6TensorESD_SD_EERKSD_lbbbEUlllE1_EE10hipError_tPvRmT2_T3_mT4_P12ihipStream_tbEUlT_E_NS1_11comp_targetILNS1_3genE8ELNS1_11target_archE1030ELNS1_3gpuE2ELNS1_3repE0EEENS1_30default_config_static_selectorELNS0_4arch9wavefront6targetE1EEEvT1_,@function
_ZN7rocprim17ROCPRIM_400000_NS6detail17trampoline_kernelINS0_14default_configENS1_35adjacent_difference_config_selectorILb0ElEEZNS1_24adjacent_difference_implIS3_Lb0ELb0EPlS7_ZN2at6native12_GLOBAL__N_124unique_dim_cuda_templateIdEESt5tupleIJNS8_6TensorESD_SD_EERKSD_lbbbEUlllE1_EE10hipError_tPvRmT2_T3_mT4_P12ihipStream_tbEUlT_E_NS1_11comp_targetILNS1_3genE8ELNS1_11target_archE1030ELNS1_3gpuE2ELNS1_3repE0EEENS1_30default_config_static_selectorELNS0_4arch9wavefront6targetE1EEEvT1_: ; @_ZN7rocprim17ROCPRIM_400000_NS6detail17trampoline_kernelINS0_14default_configENS1_35adjacent_difference_config_selectorILb0ElEEZNS1_24adjacent_difference_implIS3_Lb0ELb0EPlS7_ZN2at6native12_GLOBAL__N_124unique_dim_cuda_templateIdEESt5tupleIJNS8_6TensorESD_SD_EERKSD_lbbbEUlllE1_EE10hipError_tPvRmT2_T3_mT4_P12ihipStream_tbEUlT_E_NS1_11comp_targetILNS1_3genE8ELNS1_11target_archE1030ELNS1_3gpuE2ELNS1_3repE0EEENS1_30default_config_static_selectorELNS0_4arch9wavefront6targetE1EEEvT1_
; %bb.0:
	.section	.rodata,"a",@progbits
	.p2align	6, 0x0
	.amdhsa_kernel _ZN7rocprim17ROCPRIM_400000_NS6detail17trampoline_kernelINS0_14default_configENS1_35adjacent_difference_config_selectorILb0ElEEZNS1_24adjacent_difference_implIS3_Lb0ELb0EPlS7_ZN2at6native12_GLOBAL__N_124unique_dim_cuda_templateIdEESt5tupleIJNS8_6TensorESD_SD_EERKSD_lbbbEUlllE1_EE10hipError_tPvRmT2_T3_mT4_P12ihipStream_tbEUlT_E_NS1_11comp_targetILNS1_3genE8ELNS1_11target_archE1030ELNS1_3gpuE2ELNS1_3repE0EEENS1_30default_config_static_selectorELNS0_4arch9wavefront6targetE1EEEvT1_
		.amdhsa_group_segment_fixed_size 0
		.amdhsa_private_segment_fixed_size 0
		.amdhsa_kernarg_size 64
		.amdhsa_user_sgpr_count 2
		.amdhsa_user_sgpr_dispatch_ptr 0
		.amdhsa_user_sgpr_queue_ptr 0
		.amdhsa_user_sgpr_kernarg_segment_ptr 1
		.amdhsa_user_sgpr_dispatch_id 0
		.amdhsa_user_sgpr_kernarg_preload_length 0
		.amdhsa_user_sgpr_kernarg_preload_offset 0
		.amdhsa_user_sgpr_private_segment_size 0
		.amdhsa_uses_dynamic_stack 0
		.amdhsa_enable_private_segment 0
		.amdhsa_system_sgpr_workgroup_id_x 1
		.amdhsa_system_sgpr_workgroup_id_y 0
		.amdhsa_system_sgpr_workgroup_id_z 0
		.amdhsa_system_sgpr_workgroup_info 0
		.amdhsa_system_vgpr_workitem_id 0
		.amdhsa_next_free_vgpr 1
		.amdhsa_next_free_sgpr 0
		.amdhsa_accum_offset 4
		.amdhsa_reserve_vcc 0
		.amdhsa_float_round_mode_32 0
		.amdhsa_float_round_mode_16_64 0
		.amdhsa_float_denorm_mode_32 3
		.amdhsa_float_denorm_mode_16_64 3
		.amdhsa_dx10_clamp 1
		.amdhsa_ieee_mode 1
		.amdhsa_fp16_overflow 0
		.amdhsa_tg_split 0
		.amdhsa_exception_fp_ieee_invalid_op 0
		.amdhsa_exception_fp_denorm_src 0
		.amdhsa_exception_fp_ieee_div_zero 0
		.amdhsa_exception_fp_ieee_overflow 0
		.amdhsa_exception_fp_ieee_underflow 0
		.amdhsa_exception_fp_ieee_inexact 0
		.amdhsa_exception_int_div_zero 0
	.end_amdhsa_kernel
	.section	.text._ZN7rocprim17ROCPRIM_400000_NS6detail17trampoline_kernelINS0_14default_configENS1_35adjacent_difference_config_selectorILb0ElEEZNS1_24adjacent_difference_implIS3_Lb0ELb0EPlS7_ZN2at6native12_GLOBAL__N_124unique_dim_cuda_templateIdEESt5tupleIJNS8_6TensorESD_SD_EERKSD_lbbbEUlllE1_EE10hipError_tPvRmT2_T3_mT4_P12ihipStream_tbEUlT_E_NS1_11comp_targetILNS1_3genE8ELNS1_11target_archE1030ELNS1_3gpuE2ELNS1_3repE0EEENS1_30default_config_static_selectorELNS0_4arch9wavefront6targetE1EEEvT1_,"axG",@progbits,_ZN7rocprim17ROCPRIM_400000_NS6detail17trampoline_kernelINS0_14default_configENS1_35adjacent_difference_config_selectorILb0ElEEZNS1_24adjacent_difference_implIS3_Lb0ELb0EPlS7_ZN2at6native12_GLOBAL__N_124unique_dim_cuda_templateIdEESt5tupleIJNS8_6TensorESD_SD_EERKSD_lbbbEUlllE1_EE10hipError_tPvRmT2_T3_mT4_P12ihipStream_tbEUlT_E_NS1_11comp_targetILNS1_3genE8ELNS1_11target_archE1030ELNS1_3gpuE2ELNS1_3repE0EEENS1_30default_config_static_selectorELNS0_4arch9wavefront6targetE1EEEvT1_,comdat
.Lfunc_end795:
	.size	_ZN7rocprim17ROCPRIM_400000_NS6detail17trampoline_kernelINS0_14default_configENS1_35adjacent_difference_config_selectorILb0ElEEZNS1_24adjacent_difference_implIS3_Lb0ELb0EPlS7_ZN2at6native12_GLOBAL__N_124unique_dim_cuda_templateIdEESt5tupleIJNS8_6TensorESD_SD_EERKSD_lbbbEUlllE1_EE10hipError_tPvRmT2_T3_mT4_P12ihipStream_tbEUlT_E_NS1_11comp_targetILNS1_3genE8ELNS1_11target_archE1030ELNS1_3gpuE2ELNS1_3repE0EEENS1_30default_config_static_selectorELNS0_4arch9wavefront6targetE1EEEvT1_, .Lfunc_end795-_ZN7rocprim17ROCPRIM_400000_NS6detail17trampoline_kernelINS0_14default_configENS1_35adjacent_difference_config_selectorILb0ElEEZNS1_24adjacent_difference_implIS3_Lb0ELb0EPlS7_ZN2at6native12_GLOBAL__N_124unique_dim_cuda_templateIdEESt5tupleIJNS8_6TensorESD_SD_EERKSD_lbbbEUlllE1_EE10hipError_tPvRmT2_T3_mT4_P12ihipStream_tbEUlT_E_NS1_11comp_targetILNS1_3genE8ELNS1_11target_archE1030ELNS1_3gpuE2ELNS1_3repE0EEENS1_30default_config_static_selectorELNS0_4arch9wavefront6targetE1EEEvT1_
                                        ; -- End function
	.section	.AMDGPU.csdata,"",@progbits
; Kernel info:
; codeLenInByte = 0
; NumSgprs: 6
; NumVgprs: 0
; NumAgprs: 0
; TotalNumVgprs: 0
; ScratchSize: 0
; MemoryBound: 0
; FloatMode: 240
; IeeeMode: 1
; LDSByteSize: 0 bytes/workgroup (compile time only)
; SGPRBlocks: 0
; VGPRBlocks: 0
; NumSGPRsForWavesPerEU: 6
; NumVGPRsForWavesPerEU: 1
; AccumOffset: 4
; Occupancy: 8
; WaveLimiterHint : 0
; COMPUTE_PGM_RSRC2:SCRATCH_EN: 0
; COMPUTE_PGM_RSRC2:USER_SGPR: 2
; COMPUTE_PGM_RSRC2:TRAP_HANDLER: 0
; COMPUTE_PGM_RSRC2:TGID_X_EN: 1
; COMPUTE_PGM_RSRC2:TGID_Y_EN: 0
; COMPUTE_PGM_RSRC2:TGID_Z_EN: 0
; COMPUTE_PGM_RSRC2:TIDIG_COMP_CNT: 0
; COMPUTE_PGM_RSRC3_GFX90A:ACCUM_OFFSET: 0
; COMPUTE_PGM_RSRC3_GFX90A:TG_SPLIT: 0
	.section	.text._ZN7rocprim17ROCPRIM_400000_NS6detail17trampoline_kernelINS0_14default_configENS1_25transform_config_selectorIlLb0EEEZNS1_14transform_implILb0ES3_S5_NS0_18transform_iteratorINS0_17counting_iteratorImlEEZNS1_24adjacent_difference_implIS3_Lb1ELb0EPlSB_ZN2at6native12_GLOBAL__N_124unique_dim_cuda_templateIdEESt5tupleIJNSC_6TensorESH_SH_EERKSH_lbbbEUlllE1_EE10hipError_tPvRmT2_T3_mT4_P12ihipStream_tbEUlmE_lEESB_NS0_8identityIvEEEESM_SP_SQ_mSR_ST_bEUlT_E_NS1_11comp_targetILNS1_3genE0ELNS1_11target_archE4294967295ELNS1_3gpuE0ELNS1_3repE0EEENS1_30default_config_static_selectorELNS0_4arch9wavefront6targetE1EEEvT1_,"axG",@progbits,_ZN7rocprim17ROCPRIM_400000_NS6detail17trampoline_kernelINS0_14default_configENS1_25transform_config_selectorIlLb0EEEZNS1_14transform_implILb0ES3_S5_NS0_18transform_iteratorINS0_17counting_iteratorImlEEZNS1_24adjacent_difference_implIS3_Lb1ELb0EPlSB_ZN2at6native12_GLOBAL__N_124unique_dim_cuda_templateIdEESt5tupleIJNSC_6TensorESH_SH_EERKSH_lbbbEUlllE1_EE10hipError_tPvRmT2_T3_mT4_P12ihipStream_tbEUlmE_lEESB_NS0_8identityIvEEEESM_SP_SQ_mSR_ST_bEUlT_E_NS1_11comp_targetILNS1_3genE0ELNS1_11target_archE4294967295ELNS1_3gpuE0ELNS1_3repE0EEENS1_30default_config_static_selectorELNS0_4arch9wavefront6targetE1EEEvT1_,comdat
	.globl	_ZN7rocprim17ROCPRIM_400000_NS6detail17trampoline_kernelINS0_14default_configENS1_25transform_config_selectorIlLb0EEEZNS1_14transform_implILb0ES3_S5_NS0_18transform_iteratorINS0_17counting_iteratorImlEEZNS1_24adjacent_difference_implIS3_Lb1ELb0EPlSB_ZN2at6native12_GLOBAL__N_124unique_dim_cuda_templateIdEESt5tupleIJNSC_6TensorESH_SH_EERKSH_lbbbEUlllE1_EE10hipError_tPvRmT2_T3_mT4_P12ihipStream_tbEUlmE_lEESB_NS0_8identityIvEEEESM_SP_SQ_mSR_ST_bEUlT_E_NS1_11comp_targetILNS1_3genE0ELNS1_11target_archE4294967295ELNS1_3gpuE0ELNS1_3repE0EEENS1_30default_config_static_selectorELNS0_4arch9wavefront6targetE1EEEvT1_ ; -- Begin function _ZN7rocprim17ROCPRIM_400000_NS6detail17trampoline_kernelINS0_14default_configENS1_25transform_config_selectorIlLb0EEEZNS1_14transform_implILb0ES3_S5_NS0_18transform_iteratorINS0_17counting_iteratorImlEEZNS1_24adjacent_difference_implIS3_Lb1ELb0EPlSB_ZN2at6native12_GLOBAL__N_124unique_dim_cuda_templateIdEESt5tupleIJNSC_6TensorESH_SH_EERKSH_lbbbEUlllE1_EE10hipError_tPvRmT2_T3_mT4_P12ihipStream_tbEUlmE_lEESB_NS0_8identityIvEEEESM_SP_SQ_mSR_ST_bEUlT_E_NS1_11comp_targetILNS1_3genE0ELNS1_11target_archE4294967295ELNS1_3gpuE0ELNS1_3repE0EEENS1_30default_config_static_selectorELNS0_4arch9wavefront6targetE1EEEvT1_
	.p2align	8
	.type	_ZN7rocprim17ROCPRIM_400000_NS6detail17trampoline_kernelINS0_14default_configENS1_25transform_config_selectorIlLb0EEEZNS1_14transform_implILb0ES3_S5_NS0_18transform_iteratorINS0_17counting_iteratorImlEEZNS1_24adjacent_difference_implIS3_Lb1ELb0EPlSB_ZN2at6native12_GLOBAL__N_124unique_dim_cuda_templateIdEESt5tupleIJNSC_6TensorESH_SH_EERKSH_lbbbEUlllE1_EE10hipError_tPvRmT2_T3_mT4_P12ihipStream_tbEUlmE_lEESB_NS0_8identityIvEEEESM_SP_SQ_mSR_ST_bEUlT_E_NS1_11comp_targetILNS1_3genE0ELNS1_11target_archE4294967295ELNS1_3gpuE0ELNS1_3repE0EEENS1_30default_config_static_selectorELNS0_4arch9wavefront6targetE1EEEvT1_,@function
_ZN7rocprim17ROCPRIM_400000_NS6detail17trampoline_kernelINS0_14default_configENS1_25transform_config_selectorIlLb0EEEZNS1_14transform_implILb0ES3_S5_NS0_18transform_iteratorINS0_17counting_iteratorImlEEZNS1_24adjacent_difference_implIS3_Lb1ELb0EPlSB_ZN2at6native12_GLOBAL__N_124unique_dim_cuda_templateIdEESt5tupleIJNSC_6TensorESH_SH_EERKSH_lbbbEUlllE1_EE10hipError_tPvRmT2_T3_mT4_P12ihipStream_tbEUlmE_lEESB_NS0_8identityIvEEEESM_SP_SQ_mSR_ST_bEUlT_E_NS1_11comp_targetILNS1_3genE0ELNS1_11target_archE4294967295ELNS1_3gpuE0ELNS1_3repE0EEENS1_30default_config_static_selectorELNS0_4arch9wavefront6targetE1EEEvT1_: ; @_ZN7rocprim17ROCPRIM_400000_NS6detail17trampoline_kernelINS0_14default_configENS1_25transform_config_selectorIlLb0EEEZNS1_14transform_implILb0ES3_S5_NS0_18transform_iteratorINS0_17counting_iteratorImlEEZNS1_24adjacent_difference_implIS3_Lb1ELb0EPlSB_ZN2at6native12_GLOBAL__N_124unique_dim_cuda_templateIdEESt5tupleIJNSC_6TensorESH_SH_EERKSH_lbbbEUlllE1_EE10hipError_tPvRmT2_T3_mT4_P12ihipStream_tbEUlmE_lEESB_NS0_8identityIvEEEESM_SP_SQ_mSR_ST_bEUlT_E_NS1_11comp_targetILNS1_3genE0ELNS1_11target_archE4294967295ELNS1_3gpuE0ELNS1_3repE0EEENS1_30default_config_static_selectorELNS0_4arch9wavefront6targetE1EEEvT1_
; %bb.0:
	.section	.rodata,"a",@progbits
	.p2align	6, 0x0
	.amdhsa_kernel _ZN7rocprim17ROCPRIM_400000_NS6detail17trampoline_kernelINS0_14default_configENS1_25transform_config_selectorIlLb0EEEZNS1_14transform_implILb0ES3_S5_NS0_18transform_iteratorINS0_17counting_iteratorImlEEZNS1_24adjacent_difference_implIS3_Lb1ELb0EPlSB_ZN2at6native12_GLOBAL__N_124unique_dim_cuda_templateIdEESt5tupleIJNSC_6TensorESH_SH_EERKSH_lbbbEUlllE1_EE10hipError_tPvRmT2_T3_mT4_P12ihipStream_tbEUlmE_lEESB_NS0_8identityIvEEEESM_SP_SQ_mSR_ST_bEUlT_E_NS1_11comp_targetILNS1_3genE0ELNS1_11target_archE4294967295ELNS1_3gpuE0ELNS1_3repE0EEENS1_30default_config_static_selectorELNS0_4arch9wavefront6targetE1EEEvT1_
		.amdhsa_group_segment_fixed_size 0
		.amdhsa_private_segment_fixed_size 0
		.amdhsa_kernarg_size 56
		.amdhsa_user_sgpr_count 2
		.amdhsa_user_sgpr_dispatch_ptr 0
		.amdhsa_user_sgpr_queue_ptr 0
		.amdhsa_user_sgpr_kernarg_segment_ptr 1
		.amdhsa_user_sgpr_dispatch_id 0
		.amdhsa_user_sgpr_kernarg_preload_length 0
		.amdhsa_user_sgpr_kernarg_preload_offset 0
		.amdhsa_user_sgpr_private_segment_size 0
		.amdhsa_uses_dynamic_stack 0
		.amdhsa_enable_private_segment 0
		.amdhsa_system_sgpr_workgroup_id_x 1
		.amdhsa_system_sgpr_workgroup_id_y 0
		.amdhsa_system_sgpr_workgroup_id_z 0
		.amdhsa_system_sgpr_workgroup_info 0
		.amdhsa_system_vgpr_workitem_id 0
		.amdhsa_next_free_vgpr 1
		.amdhsa_next_free_sgpr 0
		.amdhsa_accum_offset 4
		.amdhsa_reserve_vcc 0
		.amdhsa_float_round_mode_32 0
		.amdhsa_float_round_mode_16_64 0
		.amdhsa_float_denorm_mode_32 3
		.amdhsa_float_denorm_mode_16_64 3
		.amdhsa_dx10_clamp 1
		.amdhsa_ieee_mode 1
		.amdhsa_fp16_overflow 0
		.amdhsa_tg_split 0
		.amdhsa_exception_fp_ieee_invalid_op 0
		.amdhsa_exception_fp_denorm_src 0
		.amdhsa_exception_fp_ieee_div_zero 0
		.amdhsa_exception_fp_ieee_overflow 0
		.amdhsa_exception_fp_ieee_underflow 0
		.amdhsa_exception_fp_ieee_inexact 0
		.amdhsa_exception_int_div_zero 0
	.end_amdhsa_kernel
	.section	.text._ZN7rocprim17ROCPRIM_400000_NS6detail17trampoline_kernelINS0_14default_configENS1_25transform_config_selectorIlLb0EEEZNS1_14transform_implILb0ES3_S5_NS0_18transform_iteratorINS0_17counting_iteratorImlEEZNS1_24adjacent_difference_implIS3_Lb1ELb0EPlSB_ZN2at6native12_GLOBAL__N_124unique_dim_cuda_templateIdEESt5tupleIJNSC_6TensorESH_SH_EERKSH_lbbbEUlllE1_EE10hipError_tPvRmT2_T3_mT4_P12ihipStream_tbEUlmE_lEESB_NS0_8identityIvEEEESM_SP_SQ_mSR_ST_bEUlT_E_NS1_11comp_targetILNS1_3genE0ELNS1_11target_archE4294967295ELNS1_3gpuE0ELNS1_3repE0EEENS1_30default_config_static_selectorELNS0_4arch9wavefront6targetE1EEEvT1_,"axG",@progbits,_ZN7rocprim17ROCPRIM_400000_NS6detail17trampoline_kernelINS0_14default_configENS1_25transform_config_selectorIlLb0EEEZNS1_14transform_implILb0ES3_S5_NS0_18transform_iteratorINS0_17counting_iteratorImlEEZNS1_24adjacent_difference_implIS3_Lb1ELb0EPlSB_ZN2at6native12_GLOBAL__N_124unique_dim_cuda_templateIdEESt5tupleIJNSC_6TensorESH_SH_EERKSH_lbbbEUlllE1_EE10hipError_tPvRmT2_T3_mT4_P12ihipStream_tbEUlmE_lEESB_NS0_8identityIvEEEESM_SP_SQ_mSR_ST_bEUlT_E_NS1_11comp_targetILNS1_3genE0ELNS1_11target_archE4294967295ELNS1_3gpuE0ELNS1_3repE0EEENS1_30default_config_static_selectorELNS0_4arch9wavefront6targetE1EEEvT1_,comdat
.Lfunc_end796:
	.size	_ZN7rocprim17ROCPRIM_400000_NS6detail17trampoline_kernelINS0_14default_configENS1_25transform_config_selectorIlLb0EEEZNS1_14transform_implILb0ES3_S5_NS0_18transform_iteratorINS0_17counting_iteratorImlEEZNS1_24adjacent_difference_implIS3_Lb1ELb0EPlSB_ZN2at6native12_GLOBAL__N_124unique_dim_cuda_templateIdEESt5tupleIJNSC_6TensorESH_SH_EERKSH_lbbbEUlllE1_EE10hipError_tPvRmT2_T3_mT4_P12ihipStream_tbEUlmE_lEESB_NS0_8identityIvEEEESM_SP_SQ_mSR_ST_bEUlT_E_NS1_11comp_targetILNS1_3genE0ELNS1_11target_archE4294967295ELNS1_3gpuE0ELNS1_3repE0EEENS1_30default_config_static_selectorELNS0_4arch9wavefront6targetE1EEEvT1_, .Lfunc_end796-_ZN7rocprim17ROCPRIM_400000_NS6detail17trampoline_kernelINS0_14default_configENS1_25transform_config_selectorIlLb0EEEZNS1_14transform_implILb0ES3_S5_NS0_18transform_iteratorINS0_17counting_iteratorImlEEZNS1_24adjacent_difference_implIS3_Lb1ELb0EPlSB_ZN2at6native12_GLOBAL__N_124unique_dim_cuda_templateIdEESt5tupleIJNSC_6TensorESH_SH_EERKSH_lbbbEUlllE1_EE10hipError_tPvRmT2_T3_mT4_P12ihipStream_tbEUlmE_lEESB_NS0_8identityIvEEEESM_SP_SQ_mSR_ST_bEUlT_E_NS1_11comp_targetILNS1_3genE0ELNS1_11target_archE4294967295ELNS1_3gpuE0ELNS1_3repE0EEENS1_30default_config_static_selectorELNS0_4arch9wavefront6targetE1EEEvT1_
                                        ; -- End function
	.section	.AMDGPU.csdata,"",@progbits
; Kernel info:
; codeLenInByte = 0
; NumSgprs: 6
; NumVgprs: 0
; NumAgprs: 0
; TotalNumVgprs: 0
; ScratchSize: 0
; MemoryBound: 0
; FloatMode: 240
; IeeeMode: 1
; LDSByteSize: 0 bytes/workgroup (compile time only)
; SGPRBlocks: 0
; VGPRBlocks: 0
; NumSGPRsForWavesPerEU: 6
; NumVGPRsForWavesPerEU: 1
; AccumOffset: 4
; Occupancy: 8
; WaveLimiterHint : 0
; COMPUTE_PGM_RSRC2:SCRATCH_EN: 0
; COMPUTE_PGM_RSRC2:USER_SGPR: 2
; COMPUTE_PGM_RSRC2:TRAP_HANDLER: 0
; COMPUTE_PGM_RSRC2:TGID_X_EN: 1
; COMPUTE_PGM_RSRC2:TGID_Y_EN: 0
; COMPUTE_PGM_RSRC2:TGID_Z_EN: 0
; COMPUTE_PGM_RSRC2:TIDIG_COMP_CNT: 0
; COMPUTE_PGM_RSRC3_GFX90A:ACCUM_OFFSET: 0
; COMPUTE_PGM_RSRC3_GFX90A:TG_SPLIT: 0
	.section	.text._ZN7rocprim17ROCPRIM_400000_NS6detail17trampoline_kernelINS0_14default_configENS1_25transform_config_selectorIlLb0EEEZNS1_14transform_implILb0ES3_S5_NS0_18transform_iteratorINS0_17counting_iteratorImlEEZNS1_24adjacent_difference_implIS3_Lb1ELb0EPlSB_ZN2at6native12_GLOBAL__N_124unique_dim_cuda_templateIdEESt5tupleIJNSC_6TensorESH_SH_EERKSH_lbbbEUlllE1_EE10hipError_tPvRmT2_T3_mT4_P12ihipStream_tbEUlmE_lEESB_NS0_8identityIvEEEESM_SP_SQ_mSR_ST_bEUlT_E_NS1_11comp_targetILNS1_3genE5ELNS1_11target_archE942ELNS1_3gpuE9ELNS1_3repE0EEENS1_30default_config_static_selectorELNS0_4arch9wavefront6targetE1EEEvT1_,"axG",@progbits,_ZN7rocprim17ROCPRIM_400000_NS6detail17trampoline_kernelINS0_14default_configENS1_25transform_config_selectorIlLb0EEEZNS1_14transform_implILb0ES3_S5_NS0_18transform_iteratorINS0_17counting_iteratorImlEEZNS1_24adjacent_difference_implIS3_Lb1ELb0EPlSB_ZN2at6native12_GLOBAL__N_124unique_dim_cuda_templateIdEESt5tupleIJNSC_6TensorESH_SH_EERKSH_lbbbEUlllE1_EE10hipError_tPvRmT2_T3_mT4_P12ihipStream_tbEUlmE_lEESB_NS0_8identityIvEEEESM_SP_SQ_mSR_ST_bEUlT_E_NS1_11comp_targetILNS1_3genE5ELNS1_11target_archE942ELNS1_3gpuE9ELNS1_3repE0EEENS1_30default_config_static_selectorELNS0_4arch9wavefront6targetE1EEEvT1_,comdat
	.globl	_ZN7rocprim17ROCPRIM_400000_NS6detail17trampoline_kernelINS0_14default_configENS1_25transform_config_selectorIlLb0EEEZNS1_14transform_implILb0ES3_S5_NS0_18transform_iteratorINS0_17counting_iteratorImlEEZNS1_24adjacent_difference_implIS3_Lb1ELb0EPlSB_ZN2at6native12_GLOBAL__N_124unique_dim_cuda_templateIdEESt5tupleIJNSC_6TensorESH_SH_EERKSH_lbbbEUlllE1_EE10hipError_tPvRmT2_T3_mT4_P12ihipStream_tbEUlmE_lEESB_NS0_8identityIvEEEESM_SP_SQ_mSR_ST_bEUlT_E_NS1_11comp_targetILNS1_3genE5ELNS1_11target_archE942ELNS1_3gpuE9ELNS1_3repE0EEENS1_30default_config_static_selectorELNS0_4arch9wavefront6targetE1EEEvT1_ ; -- Begin function _ZN7rocprim17ROCPRIM_400000_NS6detail17trampoline_kernelINS0_14default_configENS1_25transform_config_selectorIlLb0EEEZNS1_14transform_implILb0ES3_S5_NS0_18transform_iteratorINS0_17counting_iteratorImlEEZNS1_24adjacent_difference_implIS3_Lb1ELb0EPlSB_ZN2at6native12_GLOBAL__N_124unique_dim_cuda_templateIdEESt5tupleIJNSC_6TensorESH_SH_EERKSH_lbbbEUlllE1_EE10hipError_tPvRmT2_T3_mT4_P12ihipStream_tbEUlmE_lEESB_NS0_8identityIvEEEESM_SP_SQ_mSR_ST_bEUlT_E_NS1_11comp_targetILNS1_3genE5ELNS1_11target_archE942ELNS1_3gpuE9ELNS1_3repE0EEENS1_30default_config_static_selectorELNS0_4arch9wavefront6targetE1EEEvT1_
	.p2align	8
	.type	_ZN7rocprim17ROCPRIM_400000_NS6detail17trampoline_kernelINS0_14default_configENS1_25transform_config_selectorIlLb0EEEZNS1_14transform_implILb0ES3_S5_NS0_18transform_iteratorINS0_17counting_iteratorImlEEZNS1_24adjacent_difference_implIS3_Lb1ELb0EPlSB_ZN2at6native12_GLOBAL__N_124unique_dim_cuda_templateIdEESt5tupleIJNSC_6TensorESH_SH_EERKSH_lbbbEUlllE1_EE10hipError_tPvRmT2_T3_mT4_P12ihipStream_tbEUlmE_lEESB_NS0_8identityIvEEEESM_SP_SQ_mSR_ST_bEUlT_E_NS1_11comp_targetILNS1_3genE5ELNS1_11target_archE942ELNS1_3gpuE9ELNS1_3repE0EEENS1_30default_config_static_selectorELNS0_4arch9wavefront6targetE1EEEvT1_,@function
_ZN7rocprim17ROCPRIM_400000_NS6detail17trampoline_kernelINS0_14default_configENS1_25transform_config_selectorIlLb0EEEZNS1_14transform_implILb0ES3_S5_NS0_18transform_iteratorINS0_17counting_iteratorImlEEZNS1_24adjacent_difference_implIS3_Lb1ELb0EPlSB_ZN2at6native12_GLOBAL__N_124unique_dim_cuda_templateIdEESt5tupleIJNSC_6TensorESH_SH_EERKSH_lbbbEUlllE1_EE10hipError_tPvRmT2_T3_mT4_P12ihipStream_tbEUlmE_lEESB_NS0_8identityIvEEEESM_SP_SQ_mSR_ST_bEUlT_E_NS1_11comp_targetILNS1_3genE5ELNS1_11target_archE942ELNS1_3gpuE9ELNS1_3repE0EEENS1_30default_config_static_selectorELNS0_4arch9wavefront6targetE1EEEvT1_: ; @_ZN7rocprim17ROCPRIM_400000_NS6detail17trampoline_kernelINS0_14default_configENS1_25transform_config_selectorIlLb0EEEZNS1_14transform_implILb0ES3_S5_NS0_18transform_iteratorINS0_17counting_iteratorImlEEZNS1_24adjacent_difference_implIS3_Lb1ELb0EPlSB_ZN2at6native12_GLOBAL__N_124unique_dim_cuda_templateIdEESt5tupleIJNSC_6TensorESH_SH_EERKSH_lbbbEUlllE1_EE10hipError_tPvRmT2_T3_mT4_P12ihipStream_tbEUlmE_lEESB_NS0_8identityIvEEEESM_SP_SQ_mSR_ST_bEUlT_E_NS1_11comp_targetILNS1_3genE5ELNS1_11target_archE942ELNS1_3gpuE9ELNS1_3repE0EEENS1_30default_config_static_selectorELNS0_4arch9wavefront6targetE1EEEvT1_
; %bb.0:
	s_load_dwordx4 s[8:11], s[0:1], 0x18
	s_load_dwordx2 s[12:13], s[0:1], 0x28
	s_load_dwordx4 s[4:7], s[0:1], 0x0
	s_load_dword s14, s[0:1], 0x10
	s_load_dword s3, s[0:1], 0x38
	s_waitcnt lgkmcnt(0)
	s_lshl_b64 s[0:1], s[8:9], 3
	s_add_u32 s11, s12, s0
	s_addc_u32 s16, s13, s1
	s_lshl_b32 s12, s2, 10
	s_add_i32 s3, s3, -1
	s_add_u32 s0, s4, s12
	s_addc_u32 s1, s5, 0
	s_add_u32 s4, s0, s8
	s_addc_u32 s5, s1, s9
	s_mov_b32 s13, 0
	s_cmp_lg_u32 s2, s3
	v_lshlrev_b32_e32 v6, 3, v0
	s_cbranch_scc0 .LBB797_2
; %bb.1:
	v_mov_b32_e32 v1, 0
	v_lshl_add_u64 v[2:3], s[4:5], 0, v[0:1]
	v_mad_u64_u32 v[4:5], s[0:1], v2, s14, 0
	v_mov_b32_e32 v2, v5
	v_mad_u64_u32 v[2:3], s[0:1], v3, s14, v[2:3]
	s_mov_b32 s15, s13
	v_mov_b32_e32 v5, v2
	v_lshl_add_u64 v[2:3], v[4:5], 3, s[6:7]
	s_lshl_b64 s[0:1], s[14:15], 12
	global_load_dwordx2 v[10:11], v[2:3], off
	v_lshl_add_u64 v[2:3], v[2:3], 0, s[0:1]
	global_load_dwordx2 v[4:5], v[2:3], off
	s_lshl_b64 s[2:3], s[12:13], 3
	s_add_u32 s2, s11, s2
	v_mov_b32_e32 v7, v1
	s_addc_u32 s3, s16, s3
	v_lshl_add_u64 v[8:9], s[2:3], 0, v[6:7]
	s_waitcnt vmcnt(1)
	global_store_dwordx2 v6, v[10:11], s[2:3]
	s_mov_b64 s[2:3], -1
	s_cbranch_execz .LBB797_3
	s_branch .LBB797_12
.LBB797_2:
	s_mov_b64 s[2:3], 0
                                        ; implicit-def: $vgpr4_vgpr5
                                        ; implicit-def: $vgpr8_vgpr9
.LBB797_3:
	s_sub_i32 s8, s10, s12
	v_cmp_gt_u32_e32 vcc, s8, v0
                                        ; implicit-def: $vgpr2_vgpr3_vgpr4_vgpr5
	s_and_saveexec_b64 s[0:1], vcc
	s_cbranch_execz .LBB797_5
; %bb.4:
	v_mov_b32_e32 v1, 0
	v_lshl_add_u64 v[2:3], s[4:5], 0, v[0:1]
	s_waitcnt vmcnt(1)
	v_mad_u64_u32 v[4:5], s[18:19], v2, s14, 0
	v_mov_b32_e32 v2, v5
	v_mad_u64_u32 v[2:3], s[18:19], v3, s14, v[2:3]
	v_mov_b32_e32 v5, v2
	v_lshl_add_u64 v[2:3], v[4:5], 3, s[6:7]
	global_load_dwordx2 v[2:3], v[2:3], off
.LBB797_5:
	s_or_b64 exec, exec, s[0:1]
	v_or_b32_e32 v0, 0x200, v0
	v_cmp_gt_u32_e64 s[0:1], s8, v0
	s_and_saveexec_b64 s[8:9], s[0:1]
	s_cbranch_execz .LBB797_7
; %bb.6:
	v_mov_b32_e32 v1, 0
	v_lshl_add_u64 v[0:1], s[4:5], 0, v[0:1]
	s_waitcnt vmcnt(1)
	v_mad_u64_u32 v[4:5], s[4:5], v0, s14, 0
	v_mov_b32_e32 v0, v5
	v_mad_u64_u32 v[0:1], s[4:5], v1, s14, v[0:1]
	v_mov_b32_e32 v5, v0
	v_lshl_add_u64 v[0:1], v[4:5], 3, s[6:7]
	global_load_dwordx2 v[4:5], v[0:1], off
.LBB797_7:
	s_or_b64 exec, exec, s[8:9]
	s_lshl_b64 s[4:5], s[12:13], 3
	s_add_u32 s4, s11, s4
	s_addc_u32 s5, s16, s5
	v_mov_b32_e32 v7, 0
	v_lshl_add_u64 v[8:9], s[4:5], 0, v[6:7]
	s_and_saveexec_b64 s[4:5], vcc
	s_cbranch_execz .LBB797_9
; %bb.8:
	s_waitcnt vmcnt(0)
	global_store_dwordx2 v[8:9], v[2:3], off
.LBB797_9:
	s_or_b64 exec, exec, s[4:5]
	s_and_saveexec_b64 s[4:5], s[0:1]
; %bb.10:
	s_or_b64 s[2:3], s[2:3], exec
; %bb.11:
	s_or_b64 exec, exec, s[4:5]
.LBB797_12:
	s_and_saveexec_b64 s[0:1], s[2:3]
	s_cbranch_execnz .LBB797_14
; %bb.13:
	s_endpgm
.LBB797_14:
	v_add_co_u32_e32 v0, vcc, 0x1000, v8
	s_nop 1
	v_addc_co_u32_e32 v1, vcc, 0, v9, vcc
	s_waitcnt vmcnt(0)
	global_store_dwordx2 v[0:1], v[4:5], off
	s_endpgm
	.section	.rodata,"a",@progbits
	.p2align	6, 0x0
	.amdhsa_kernel _ZN7rocprim17ROCPRIM_400000_NS6detail17trampoline_kernelINS0_14default_configENS1_25transform_config_selectorIlLb0EEEZNS1_14transform_implILb0ES3_S5_NS0_18transform_iteratorINS0_17counting_iteratorImlEEZNS1_24adjacent_difference_implIS3_Lb1ELb0EPlSB_ZN2at6native12_GLOBAL__N_124unique_dim_cuda_templateIdEESt5tupleIJNSC_6TensorESH_SH_EERKSH_lbbbEUlllE1_EE10hipError_tPvRmT2_T3_mT4_P12ihipStream_tbEUlmE_lEESB_NS0_8identityIvEEEESM_SP_SQ_mSR_ST_bEUlT_E_NS1_11comp_targetILNS1_3genE5ELNS1_11target_archE942ELNS1_3gpuE9ELNS1_3repE0EEENS1_30default_config_static_selectorELNS0_4arch9wavefront6targetE1EEEvT1_
		.amdhsa_group_segment_fixed_size 0
		.amdhsa_private_segment_fixed_size 0
		.amdhsa_kernarg_size 312
		.amdhsa_user_sgpr_count 2
		.amdhsa_user_sgpr_dispatch_ptr 0
		.amdhsa_user_sgpr_queue_ptr 0
		.amdhsa_user_sgpr_kernarg_segment_ptr 1
		.amdhsa_user_sgpr_dispatch_id 0
		.amdhsa_user_sgpr_kernarg_preload_length 0
		.amdhsa_user_sgpr_kernarg_preload_offset 0
		.amdhsa_user_sgpr_private_segment_size 0
		.amdhsa_uses_dynamic_stack 0
		.amdhsa_enable_private_segment 0
		.amdhsa_system_sgpr_workgroup_id_x 1
		.amdhsa_system_sgpr_workgroup_id_y 0
		.amdhsa_system_sgpr_workgroup_id_z 0
		.amdhsa_system_sgpr_workgroup_info 0
		.amdhsa_system_vgpr_workitem_id 0
		.amdhsa_next_free_vgpr 12
		.amdhsa_next_free_sgpr 20
		.amdhsa_accum_offset 12
		.amdhsa_reserve_vcc 1
		.amdhsa_float_round_mode_32 0
		.amdhsa_float_round_mode_16_64 0
		.amdhsa_float_denorm_mode_32 3
		.amdhsa_float_denorm_mode_16_64 3
		.amdhsa_dx10_clamp 1
		.amdhsa_ieee_mode 1
		.amdhsa_fp16_overflow 0
		.amdhsa_tg_split 0
		.amdhsa_exception_fp_ieee_invalid_op 0
		.amdhsa_exception_fp_denorm_src 0
		.amdhsa_exception_fp_ieee_div_zero 0
		.amdhsa_exception_fp_ieee_overflow 0
		.amdhsa_exception_fp_ieee_underflow 0
		.amdhsa_exception_fp_ieee_inexact 0
		.amdhsa_exception_int_div_zero 0
	.end_amdhsa_kernel
	.section	.text._ZN7rocprim17ROCPRIM_400000_NS6detail17trampoline_kernelINS0_14default_configENS1_25transform_config_selectorIlLb0EEEZNS1_14transform_implILb0ES3_S5_NS0_18transform_iteratorINS0_17counting_iteratorImlEEZNS1_24adjacent_difference_implIS3_Lb1ELb0EPlSB_ZN2at6native12_GLOBAL__N_124unique_dim_cuda_templateIdEESt5tupleIJNSC_6TensorESH_SH_EERKSH_lbbbEUlllE1_EE10hipError_tPvRmT2_T3_mT4_P12ihipStream_tbEUlmE_lEESB_NS0_8identityIvEEEESM_SP_SQ_mSR_ST_bEUlT_E_NS1_11comp_targetILNS1_3genE5ELNS1_11target_archE942ELNS1_3gpuE9ELNS1_3repE0EEENS1_30default_config_static_selectorELNS0_4arch9wavefront6targetE1EEEvT1_,"axG",@progbits,_ZN7rocprim17ROCPRIM_400000_NS6detail17trampoline_kernelINS0_14default_configENS1_25transform_config_selectorIlLb0EEEZNS1_14transform_implILb0ES3_S5_NS0_18transform_iteratorINS0_17counting_iteratorImlEEZNS1_24adjacent_difference_implIS3_Lb1ELb0EPlSB_ZN2at6native12_GLOBAL__N_124unique_dim_cuda_templateIdEESt5tupleIJNSC_6TensorESH_SH_EERKSH_lbbbEUlllE1_EE10hipError_tPvRmT2_T3_mT4_P12ihipStream_tbEUlmE_lEESB_NS0_8identityIvEEEESM_SP_SQ_mSR_ST_bEUlT_E_NS1_11comp_targetILNS1_3genE5ELNS1_11target_archE942ELNS1_3gpuE9ELNS1_3repE0EEENS1_30default_config_static_selectorELNS0_4arch9wavefront6targetE1EEEvT1_,comdat
.Lfunc_end797:
	.size	_ZN7rocprim17ROCPRIM_400000_NS6detail17trampoline_kernelINS0_14default_configENS1_25transform_config_selectorIlLb0EEEZNS1_14transform_implILb0ES3_S5_NS0_18transform_iteratorINS0_17counting_iteratorImlEEZNS1_24adjacent_difference_implIS3_Lb1ELb0EPlSB_ZN2at6native12_GLOBAL__N_124unique_dim_cuda_templateIdEESt5tupleIJNSC_6TensorESH_SH_EERKSH_lbbbEUlllE1_EE10hipError_tPvRmT2_T3_mT4_P12ihipStream_tbEUlmE_lEESB_NS0_8identityIvEEEESM_SP_SQ_mSR_ST_bEUlT_E_NS1_11comp_targetILNS1_3genE5ELNS1_11target_archE942ELNS1_3gpuE9ELNS1_3repE0EEENS1_30default_config_static_selectorELNS0_4arch9wavefront6targetE1EEEvT1_, .Lfunc_end797-_ZN7rocprim17ROCPRIM_400000_NS6detail17trampoline_kernelINS0_14default_configENS1_25transform_config_selectorIlLb0EEEZNS1_14transform_implILb0ES3_S5_NS0_18transform_iteratorINS0_17counting_iteratorImlEEZNS1_24adjacent_difference_implIS3_Lb1ELb0EPlSB_ZN2at6native12_GLOBAL__N_124unique_dim_cuda_templateIdEESt5tupleIJNSC_6TensorESH_SH_EERKSH_lbbbEUlllE1_EE10hipError_tPvRmT2_T3_mT4_P12ihipStream_tbEUlmE_lEESB_NS0_8identityIvEEEESM_SP_SQ_mSR_ST_bEUlT_E_NS1_11comp_targetILNS1_3genE5ELNS1_11target_archE942ELNS1_3gpuE9ELNS1_3repE0EEENS1_30default_config_static_selectorELNS0_4arch9wavefront6targetE1EEEvT1_
                                        ; -- End function
	.section	.AMDGPU.csdata,"",@progbits
; Kernel info:
; codeLenInByte = 488
; NumSgprs: 26
; NumVgprs: 12
; NumAgprs: 0
; TotalNumVgprs: 12
; ScratchSize: 0
; MemoryBound: 0
; FloatMode: 240
; IeeeMode: 1
; LDSByteSize: 0 bytes/workgroup (compile time only)
; SGPRBlocks: 3
; VGPRBlocks: 1
; NumSGPRsForWavesPerEU: 26
; NumVGPRsForWavesPerEU: 12
; AccumOffset: 12
; Occupancy: 8
; WaveLimiterHint : 0
; COMPUTE_PGM_RSRC2:SCRATCH_EN: 0
; COMPUTE_PGM_RSRC2:USER_SGPR: 2
; COMPUTE_PGM_RSRC2:TRAP_HANDLER: 0
; COMPUTE_PGM_RSRC2:TGID_X_EN: 1
; COMPUTE_PGM_RSRC2:TGID_Y_EN: 0
; COMPUTE_PGM_RSRC2:TGID_Z_EN: 0
; COMPUTE_PGM_RSRC2:TIDIG_COMP_CNT: 0
; COMPUTE_PGM_RSRC3_GFX90A:ACCUM_OFFSET: 2
; COMPUTE_PGM_RSRC3_GFX90A:TG_SPLIT: 0
	.section	.text._ZN7rocprim17ROCPRIM_400000_NS6detail17trampoline_kernelINS0_14default_configENS1_25transform_config_selectorIlLb0EEEZNS1_14transform_implILb0ES3_S5_NS0_18transform_iteratorINS0_17counting_iteratorImlEEZNS1_24adjacent_difference_implIS3_Lb1ELb0EPlSB_ZN2at6native12_GLOBAL__N_124unique_dim_cuda_templateIdEESt5tupleIJNSC_6TensorESH_SH_EERKSH_lbbbEUlllE1_EE10hipError_tPvRmT2_T3_mT4_P12ihipStream_tbEUlmE_lEESB_NS0_8identityIvEEEESM_SP_SQ_mSR_ST_bEUlT_E_NS1_11comp_targetILNS1_3genE4ELNS1_11target_archE910ELNS1_3gpuE8ELNS1_3repE0EEENS1_30default_config_static_selectorELNS0_4arch9wavefront6targetE1EEEvT1_,"axG",@progbits,_ZN7rocprim17ROCPRIM_400000_NS6detail17trampoline_kernelINS0_14default_configENS1_25transform_config_selectorIlLb0EEEZNS1_14transform_implILb0ES3_S5_NS0_18transform_iteratorINS0_17counting_iteratorImlEEZNS1_24adjacent_difference_implIS3_Lb1ELb0EPlSB_ZN2at6native12_GLOBAL__N_124unique_dim_cuda_templateIdEESt5tupleIJNSC_6TensorESH_SH_EERKSH_lbbbEUlllE1_EE10hipError_tPvRmT2_T3_mT4_P12ihipStream_tbEUlmE_lEESB_NS0_8identityIvEEEESM_SP_SQ_mSR_ST_bEUlT_E_NS1_11comp_targetILNS1_3genE4ELNS1_11target_archE910ELNS1_3gpuE8ELNS1_3repE0EEENS1_30default_config_static_selectorELNS0_4arch9wavefront6targetE1EEEvT1_,comdat
	.globl	_ZN7rocprim17ROCPRIM_400000_NS6detail17trampoline_kernelINS0_14default_configENS1_25transform_config_selectorIlLb0EEEZNS1_14transform_implILb0ES3_S5_NS0_18transform_iteratorINS0_17counting_iteratorImlEEZNS1_24adjacent_difference_implIS3_Lb1ELb0EPlSB_ZN2at6native12_GLOBAL__N_124unique_dim_cuda_templateIdEESt5tupleIJNSC_6TensorESH_SH_EERKSH_lbbbEUlllE1_EE10hipError_tPvRmT2_T3_mT4_P12ihipStream_tbEUlmE_lEESB_NS0_8identityIvEEEESM_SP_SQ_mSR_ST_bEUlT_E_NS1_11comp_targetILNS1_3genE4ELNS1_11target_archE910ELNS1_3gpuE8ELNS1_3repE0EEENS1_30default_config_static_selectorELNS0_4arch9wavefront6targetE1EEEvT1_ ; -- Begin function _ZN7rocprim17ROCPRIM_400000_NS6detail17trampoline_kernelINS0_14default_configENS1_25transform_config_selectorIlLb0EEEZNS1_14transform_implILb0ES3_S5_NS0_18transform_iteratorINS0_17counting_iteratorImlEEZNS1_24adjacent_difference_implIS3_Lb1ELb0EPlSB_ZN2at6native12_GLOBAL__N_124unique_dim_cuda_templateIdEESt5tupleIJNSC_6TensorESH_SH_EERKSH_lbbbEUlllE1_EE10hipError_tPvRmT2_T3_mT4_P12ihipStream_tbEUlmE_lEESB_NS0_8identityIvEEEESM_SP_SQ_mSR_ST_bEUlT_E_NS1_11comp_targetILNS1_3genE4ELNS1_11target_archE910ELNS1_3gpuE8ELNS1_3repE0EEENS1_30default_config_static_selectorELNS0_4arch9wavefront6targetE1EEEvT1_
	.p2align	8
	.type	_ZN7rocprim17ROCPRIM_400000_NS6detail17trampoline_kernelINS0_14default_configENS1_25transform_config_selectorIlLb0EEEZNS1_14transform_implILb0ES3_S5_NS0_18transform_iteratorINS0_17counting_iteratorImlEEZNS1_24adjacent_difference_implIS3_Lb1ELb0EPlSB_ZN2at6native12_GLOBAL__N_124unique_dim_cuda_templateIdEESt5tupleIJNSC_6TensorESH_SH_EERKSH_lbbbEUlllE1_EE10hipError_tPvRmT2_T3_mT4_P12ihipStream_tbEUlmE_lEESB_NS0_8identityIvEEEESM_SP_SQ_mSR_ST_bEUlT_E_NS1_11comp_targetILNS1_3genE4ELNS1_11target_archE910ELNS1_3gpuE8ELNS1_3repE0EEENS1_30default_config_static_selectorELNS0_4arch9wavefront6targetE1EEEvT1_,@function
_ZN7rocprim17ROCPRIM_400000_NS6detail17trampoline_kernelINS0_14default_configENS1_25transform_config_selectorIlLb0EEEZNS1_14transform_implILb0ES3_S5_NS0_18transform_iteratorINS0_17counting_iteratorImlEEZNS1_24adjacent_difference_implIS3_Lb1ELb0EPlSB_ZN2at6native12_GLOBAL__N_124unique_dim_cuda_templateIdEESt5tupleIJNSC_6TensorESH_SH_EERKSH_lbbbEUlllE1_EE10hipError_tPvRmT2_T3_mT4_P12ihipStream_tbEUlmE_lEESB_NS0_8identityIvEEEESM_SP_SQ_mSR_ST_bEUlT_E_NS1_11comp_targetILNS1_3genE4ELNS1_11target_archE910ELNS1_3gpuE8ELNS1_3repE0EEENS1_30default_config_static_selectorELNS0_4arch9wavefront6targetE1EEEvT1_: ; @_ZN7rocprim17ROCPRIM_400000_NS6detail17trampoline_kernelINS0_14default_configENS1_25transform_config_selectorIlLb0EEEZNS1_14transform_implILb0ES3_S5_NS0_18transform_iteratorINS0_17counting_iteratorImlEEZNS1_24adjacent_difference_implIS3_Lb1ELb0EPlSB_ZN2at6native12_GLOBAL__N_124unique_dim_cuda_templateIdEESt5tupleIJNSC_6TensorESH_SH_EERKSH_lbbbEUlllE1_EE10hipError_tPvRmT2_T3_mT4_P12ihipStream_tbEUlmE_lEESB_NS0_8identityIvEEEESM_SP_SQ_mSR_ST_bEUlT_E_NS1_11comp_targetILNS1_3genE4ELNS1_11target_archE910ELNS1_3gpuE8ELNS1_3repE0EEENS1_30default_config_static_selectorELNS0_4arch9wavefront6targetE1EEEvT1_
; %bb.0:
	.section	.rodata,"a",@progbits
	.p2align	6, 0x0
	.amdhsa_kernel _ZN7rocprim17ROCPRIM_400000_NS6detail17trampoline_kernelINS0_14default_configENS1_25transform_config_selectorIlLb0EEEZNS1_14transform_implILb0ES3_S5_NS0_18transform_iteratorINS0_17counting_iteratorImlEEZNS1_24adjacent_difference_implIS3_Lb1ELb0EPlSB_ZN2at6native12_GLOBAL__N_124unique_dim_cuda_templateIdEESt5tupleIJNSC_6TensorESH_SH_EERKSH_lbbbEUlllE1_EE10hipError_tPvRmT2_T3_mT4_P12ihipStream_tbEUlmE_lEESB_NS0_8identityIvEEEESM_SP_SQ_mSR_ST_bEUlT_E_NS1_11comp_targetILNS1_3genE4ELNS1_11target_archE910ELNS1_3gpuE8ELNS1_3repE0EEENS1_30default_config_static_selectorELNS0_4arch9wavefront6targetE1EEEvT1_
		.amdhsa_group_segment_fixed_size 0
		.amdhsa_private_segment_fixed_size 0
		.amdhsa_kernarg_size 56
		.amdhsa_user_sgpr_count 2
		.amdhsa_user_sgpr_dispatch_ptr 0
		.amdhsa_user_sgpr_queue_ptr 0
		.amdhsa_user_sgpr_kernarg_segment_ptr 1
		.amdhsa_user_sgpr_dispatch_id 0
		.amdhsa_user_sgpr_kernarg_preload_length 0
		.amdhsa_user_sgpr_kernarg_preload_offset 0
		.amdhsa_user_sgpr_private_segment_size 0
		.amdhsa_uses_dynamic_stack 0
		.amdhsa_enable_private_segment 0
		.amdhsa_system_sgpr_workgroup_id_x 1
		.amdhsa_system_sgpr_workgroup_id_y 0
		.amdhsa_system_sgpr_workgroup_id_z 0
		.amdhsa_system_sgpr_workgroup_info 0
		.amdhsa_system_vgpr_workitem_id 0
		.amdhsa_next_free_vgpr 1
		.amdhsa_next_free_sgpr 0
		.amdhsa_accum_offset 4
		.amdhsa_reserve_vcc 0
		.amdhsa_float_round_mode_32 0
		.amdhsa_float_round_mode_16_64 0
		.amdhsa_float_denorm_mode_32 3
		.amdhsa_float_denorm_mode_16_64 3
		.amdhsa_dx10_clamp 1
		.amdhsa_ieee_mode 1
		.amdhsa_fp16_overflow 0
		.amdhsa_tg_split 0
		.amdhsa_exception_fp_ieee_invalid_op 0
		.amdhsa_exception_fp_denorm_src 0
		.amdhsa_exception_fp_ieee_div_zero 0
		.amdhsa_exception_fp_ieee_overflow 0
		.amdhsa_exception_fp_ieee_underflow 0
		.amdhsa_exception_fp_ieee_inexact 0
		.amdhsa_exception_int_div_zero 0
	.end_amdhsa_kernel
	.section	.text._ZN7rocprim17ROCPRIM_400000_NS6detail17trampoline_kernelINS0_14default_configENS1_25transform_config_selectorIlLb0EEEZNS1_14transform_implILb0ES3_S5_NS0_18transform_iteratorINS0_17counting_iteratorImlEEZNS1_24adjacent_difference_implIS3_Lb1ELb0EPlSB_ZN2at6native12_GLOBAL__N_124unique_dim_cuda_templateIdEESt5tupleIJNSC_6TensorESH_SH_EERKSH_lbbbEUlllE1_EE10hipError_tPvRmT2_T3_mT4_P12ihipStream_tbEUlmE_lEESB_NS0_8identityIvEEEESM_SP_SQ_mSR_ST_bEUlT_E_NS1_11comp_targetILNS1_3genE4ELNS1_11target_archE910ELNS1_3gpuE8ELNS1_3repE0EEENS1_30default_config_static_selectorELNS0_4arch9wavefront6targetE1EEEvT1_,"axG",@progbits,_ZN7rocprim17ROCPRIM_400000_NS6detail17trampoline_kernelINS0_14default_configENS1_25transform_config_selectorIlLb0EEEZNS1_14transform_implILb0ES3_S5_NS0_18transform_iteratorINS0_17counting_iteratorImlEEZNS1_24adjacent_difference_implIS3_Lb1ELb0EPlSB_ZN2at6native12_GLOBAL__N_124unique_dim_cuda_templateIdEESt5tupleIJNSC_6TensorESH_SH_EERKSH_lbbbEUlllE1_EE10hipError_tPvRmT2_T3_mT4_P12ihipStream_tbEUlmE_lEESB_NS0_8identityIvEEEESM_SP_SQ_mSR_ST_bEUlT_E_NS1_11comp_targetILNS1_3genE4ELNS1_11target_archE910ELNS1_3gpuE8ELNS1_3repE0EEENS1_30default_config_static_selectorELNS0_4arch9wavefront6targetE1EEEvT1_,comdat
.Lfunc_end798:
	.size	_ZN7rocprim17ROCPRIM_400000_NS6detail17trampoline_kernelINS0_14default_configENS1_25transform_config_selectorIlLb0EEEZNS1_14transform_implILb0ES3_S5_NS0_18transform_iteratorINS0_17counting_iteratorImlEEZNS1_24adjacent_difference_implIS3_Lb1ELb0EPlSB_ZN2at6native12_GLOBAL__N_124unique_dim_cuda_templateIdEESt5tupleIJNSC_6TensorESH_SH_EERKSH_lbbbEUlllE1_EE10hipError_tPvRmT2_T3_mT4_P12ihipStream_tbEUlmE_lEESB_NS0_8identityIvEEEESM_SP_SQ_mSR_ST_bEUlT_E_NS1_11comp_targetILNS1_3genE4ELNS1_11target_archE910ELNS1_3gpuE8ELNS1_3repE0EEENS1_30default_config_static_selectorELNS0_4arch9wavefront6targetE1EEEvT1_, .Lfunc_end798-_ZN7rocprim17ROCPRIM_400000_NS6detail17trampoline_kernelINS0_14default_configENS1_25transform_config_selectorIlLb0EEEZNS1_14transform_implILb0ES3_S5_NS0_18transform_iteratorINS0_17counting_iteratorImlEEZNS1_24adjacent_difference_implIS3_Lb1ELb0EPlSB_ZN2at6native12_GLOBAL__N_124unique_dim_cuda_templateIdEESt5tupleIJNSC_6TensorESH_SH_EERKSH_lbbbEUlllE1_EE10hipError_tPvRmT2_T3_mT4_P12ihipStream_tbEUlmE_lEESB_NS0_8identityIvEEEESM_SP_SQ_mSR_ST_bEUlT_E_NS1_11comp_targetILNS1_3genE4ELNS1_11target_archE910ELNS1_3gpuE8ELNS1_3repE0EEENS1_30default_config_static_selectorELNS0_4arch9wavefront6targetE1EEEvT1_
                                        ; -- End function
	.section	.AMDGPU.csdata,"",@progbits
; Kernel info:
; codeLenInByte = 0
; NumSgprs: 6
; NumVgprs: 0
; NumAgprs: 0
; TotalNumVgprs: 0
; ScratchSize: 0
; MemoryBound: 0
; FloatMode: 240
; IeeeMode: 1
; LDSByteSize: 0 bytes/workgroup (compile time only)
; SGPRBlocks: 0
; VGPRBlocks: 0
; NumSGPRsForWavesPerEU: 6
; NumVGPRsForWavesPerEU: 1
; AccumOffset: 4
; Occupancy: 8
; WaveLimiterHint : 0
; COMPUTE_PGM_RSRC2:SCRATCH_EN: 0
; COMPUTE_PGM_RSRC2:USER_SGPR: 2
; COMPUTE_PGM_RSRC2:TRAP_HANDLER: 0
; COMPUTE_PGM_RSRC2:TGID_X_EN: 1
; COMPUTE_PGM_RSRC2:TGID_Y_EN: 0
; COMPUTE_PGM_RSRC2:TGID_Z_EN: 0
; COMPUTE_PGM_RSRC2:TIDIG_COMP_CNT: 0
; COMPUTE_PGM_RSRC3_GFX90A:ACCUM_OFFSET: 0
; COMPUTE_PGM_RSRC3_GFX90A:TG_SPLIT: 0
	.section	.text._ZN7rocprim17ROCPRIM_400000_NS6detail17trampoline_kernelINS0_14default_configENS1_25transform_config_selectorIlLb0EEEZNS1_14transform_implILb0ES3_S5_NS0_18transform_iteratorINS0_17counting_iteratorImlEEZNS1_24adjacent_difference_implIS3_Lb1ELb0EPlSB_ZN2at6native12_GLOBAL__N_124unique_dim_cuda_templateIdEESt5tupleIJNSC_6TensorESH_SH_EERKSH_lbbbEUlllE1_EE10hipError_tPvRmT2_T3_mT4_P12ihipStream_tbEUlmE_lEESB_NS0_8identityIvEEEESM_SP_SQ_mSR_ST_bEUlT_E_NS1_11comp_targetILNS1_3genE3ELNS1_11target_archE908ELNS1_3gpuE7ELNS1_3repE0EEENS1_30default_config_static_selectorELNS0_4arch9wavefront6targetE1EEEvT1_,"axG",@progbits,_ZN7rocprim17ROCPRIM_400000_NS6detail17trampoline_kernelINS0_14default_configENS1_25transform_config_selectorIlLb0EEEZNS1_14transform_implILb0ES3_S5_NS0_18transform_iteratorINS0_17counting_iteratorImlEEZNS1_24adjacent_difference_implIS3_Lb1ELb0EPlSB_ZN2at6native12_GLOBAL__N_124unique_dim_cuda_templateIdEESt5tupleIJNSC_6TensorESH_SH_EERKSH_lbbbEUlllE1_EE10hipError_tPvRmT2_T3_mT4_P12ihipStream_tbEUlmE_lEESB_NS0_8identityIvEEEESM_SP_SQ_mSR_ST_bEUlT_E_NS1_11comp_targetILNS1_3genE3ELNS1_11target_archE908ELNS1_3gpuE7ELNS1_3repE0EEENS1_30default_config_static_selectorELNS0_4arch9wavefront6targetE1EEEvT1_,comdat
	.globl	_ZN7rocprim17ROCPRIM_400000_NS6detail17trampoline_kernelINS0_14default_configENS1_25transform_config_selectorIlLb0EEEZNS1_14transform_implILb0ES3_S5_NS0_18transform_iteratorINS0_17counting_iteratorImlEEZNS1_24adjacent_difference_implIS3_Lb1ELb0EPlSB_ZN2at6native12_GLOBAL__N_124unique_dim_cuda_templateIdEESt5tupleIJNSC_6TensorESH_SH_EERKSH_lbbbEUlllE1_EE10hipError_tPvRmT2_T3_mT4_P12ihipStream_tbEUlmE_lEESB_NS0_8identityIvEEEESM_SP_SQ_mSR_ST_bEUlT_E_NS1_11comp_targetILNS1_3genE3ELNS1_11target_archE908ELNS1_3gpuE7ELNS1_3repE0EEENS1_30default_config_static_selectorELNS0_4arch9wavefront6targetE1EEEvT1_ ; -- Begin function _ZN7rocprim17ROCPRIM_400000_NS6detail17trampoline_kernelINS0_14default_configENS1_25transform_config_selectorIlLb0EEEZNS1_14transform_implILb0ES3_S5_NS0_18transform_iteratorINS0_17counting_iteratorImlEEZNS1_24adjacent_difference_implIS3_Lb1ELb0EPlSB_ZN2at6native12_GLOBAL__N_124unique_dim_cuda_templateIdEESt5tupleIJNSC_6TensorESH_SH_EERKSH_lbbbEUlllE1_EE10hipError_tPvRmT2_T3_mT4_P12ihipStream_tbEUlmE_lEESB_NS0_8identityIvEEEESM_SP_SQ_mSR_ST_bEUlT_E_NS1_11comp_targetILNS1_3genE3ELNS1_11target_archE908ELNS1_3gpuE7ELNS1_3repE0EEENS1_30default_config_static_selectorELNS0_4arch9wavefront6targetE1EEEvT1_
	.p2align	8
	.type	_ZN7rocprim17ROCPRIM_400000_NS6detail17trampoline_kernelINS0_14default_configENS1_25transform_config_selectorIlLb0EEEZNS1_14transform_implILb0ES3_S5_NS0_18transform_iteratorINS0_17counting_iteratorImlEEZNS1_24adjacent_difference_implIS3_Lb1ELb0EPlSB_ZN2at6native12_GLOBAL__N_124unique_dim_cuda_templateIdEESt5tupleIJNSC_6TensorESH_SH_EERKSH_lbbbEUlllE1_EE10hipError_tPvRmT2_T3_mT4_P12ihipStream_tbEUlmE_lEESB_NS0_8identityIvEEEESM_SP_SQ_mSR_ST_bEUlT_E_NS1_11comp_targetILNS1_3genE3ELNS1_11target_archE908ELNS1_3gpuE7ELNS1_3repE0EEENS1_30default_config_static_selectorELNS0_4arch9wavefront6targetE1EEEvT1_,@function
_ZN7rocprim17ROCPRIM_400000_NS6detail17trampoline_kernelINS0_14default_configENS1_25transform_config_selectorIlLb0EEEZNS1_14transform_implILb0ES3_S5_NS0_18transform_iteratorINS0_17counting_iteratorImlEEZNS1_24adjacent_difference_implIS3_Lb1ELb0EPlSB_ZN2at6native12_GLOBAL__N_124unique_dim_cuda_templateIdEESt5tupleIJNSC_6TensorESH_SH_EERKSH_lbbbEUlllE1_EE10hipError_tPvRmT2_T3_mT4_P12ihipStream_tbEUlmE_lEESB_NS0_8identityIvEEEESM_SP_SQ_mSR_ST_bEUlT_E_NS1_11comp_targetILNS1_3genE3ELNS1_11target_archE908ELNS1_3gpuE7ELNS1_3repE0EEENS1_30default_config_static_selectorELNS0_4arch9wavefront6targetE1EEEvT1_: ; @_ZN7rocprim17ROCPRIM_400000_NS6detail17trampoline_kernelINS0_14default_configENS1_25transform_config_selectorIlLb0EEEZNS1_14transform_implILb0ES3_S5_NS0_18transform_iteratorINS0_17counting_iteratorImlEEZNS1_24adjacent_difference_implIS3_Lb1ELb0EPlSB_ZN2at6native12_GLOBAL__N_124unique_dim_cuda_templateIdEESt5tupleIJNSC_6TensorESH_SH_EERKSH_lbbbEUlllE1_EE10hipError_tPvRmT2_T3_mT4_P12ihipStream_tbEUlmE_lEESB_NS0_8identityIvEEEESM_SP_SQ_mSR_ST_bEUlT_E_NS1_11comp_targetILNS1_3genE3ELNS1_11target_archE908ELNS1_3gpuE7ELNS1_3repE0EEENS1_30default_config_static_selectorELNS0_4arch9wavefront6targetE1EEEvT1_
; %bb.0:
	.section	.rodata,"a",@progbits
	.p2align	6, 0x0
	.amdhsa_kernel _ZN7rocprim17ROCPRIM_400000_NS6detail17trampoline_kernelINS0_14default_configENS1_25transform_config_selectorIlLb0EEEZNS1_14transform_implILb0ES3_S5_NS0_18transform_iteratorINS0_17counting_iteratorImlEEZNS1_24adjacent_difference_implIS3_Lb1ELb0EPlSB_ZN2at6native12_GLOBAL__N_124unique_dim_cuda_templateIdEESt5tupleIJNSC_6TensorESH_SH_EERKSH_lbbbEUlllE1_EE10hipError_tPvRmT2_T3_mT4_P12ihipStream_tbEUlmE_lEESB_NS0_8identityIvEEEESM_SP_SQ_mSR_ST_bEUlT_E_NS1_11comp_targetILNS1_3genE3ELNS1_11target_archE908ELNS1_3gpuE7ELNS1_3repE0EEENS1_30default_config_static_selectorELNS0_4arch9wavefront6targetE1EEEvT1_
		.amdhsa_group_segment_fixed_size 0
		.amdhsa_private_segment_fixed_size 0
		.amdhsa_kernarg_size 56
		.amdhsa_user_sgpr_count 2
		.amdhsa_user_sgpr_dispatch_ptr 0
		.amdhsa_user_sgpr_queue_ptr 0
		.amdhsa_user_sgpr_kernarg_segment_ptr 1
		.amdhsa_user_sgpr_dispatch_id 0
		.amdhsa_user_sgpr_kernarg_preload_length 0
		.amdhsa_user_sgpr_kernarg_preload_offset 0
		.amdhsa_user_sgpr_private_segment_size 0
		.amdhsa_uses_dynamic_stack 0
		.amdhsa_enable_private_segment 0
		.amdhsa_system_sgpr_workgroup_id_x 1
		.amdhsa_system_sgpr_workgroup_id_y 0
		.amdhsa_system_sgpr_workgroup_id_z 0
		.amdhsa_system_sgpr_workgroup_info 0
		.amdhsa_system_vgpr_workitem_id 0
		.amdhsa_next_free_vgpr 1
		.amdhsa_next_free_sgpr 0
		.amdhsa_accum_offset 4
		.amdhsa_reserve_vcc 0
		.amdhsa_float_round_mode_32 0
		.amdhsa_float_round_mode_16_64 0
		.amdhsa_float_denorm_mode_32 3
		.amdhsa_float_denorm_mode_16_64 3
		.amdhsa_dx10_clamp 1
		.amdhsa_ieee_mode 1
		.amdhsa_fp16_overflow 0
		.amdhsa_tg_split 0
		.amdhsa_exception_fp_ieee_invalid_op 0
		.amdhsa_exception_fp_denorm_src 0
		.amdhsa_exception_fp_ieee_div_zero 0
		.amdhsa_exception_fp_ieee_overflow 0
		.amdhsa_exception_fp_ieee_underflow 0
		.amdhsa_exception_fp_ieee_inexact 0
		.amdhsa_exception_int_div_zero 0
	.end_amdhsa_kernel
	.section	.text._ZN7rocprim17ROCPRIM_400000_NS6detail17trampoline_kernelINS0_14default_configENS1_25transform_config_selectorIlLb0EEEZNS1_14transform_implILb0ES3_S5_NS0_18transform_iteratorINS0_17counting_iteratorImlEEZNS1_24adjacent_difference_implIS3_Lb1ELb0EPlSB_ZN2at6native12_GLOBAL__N_124unique_dim_cuda_templateIdEESt5tupleIJNSC_6TensorESH_SH_EERKSH_lbbbEUlllE1_EE10hipError_tPvRmT2_T3_mT4_P12ihipStream_tbEUlmE_lEESB_NS0_8identityIvEEEESM_SP_SQ_mSR_ST_bEUlT_E_NS1_11comp_targetILNS1_3genE3ELNS1_11target_archE908ELNS1_3gpuE7ELNS1_3repE0EEENS1_30default_config_static_selectorELNS0_4arch9wavefront6targetE1EEEvT1_,"axG",@progbits,_ZN7rocprim17ROCPRIM_400000_NS6detail17trampoline_kernelINS0_14default_configENS1_25transform_config_selectorIlLb0EEEZNS1_14transform_implILb0ES3_S5_NS0_18transform_iteratorINS0_17counting_iteratorImlEEZNS1_24adjacent_difference_implIS3_Lb1ELb0EPlSB_ZN2at6native12_GLOBAL__N_124unique_dim_cuda_templateIdEESt5tupleIJNSC_6TensorESH_SH_EERKSH_lbbbEUlllE1_EE10hipError_tPvRmT2_T3_mT4_P12ihipStream_tbEUlmE_lEESB_NS0_8identityIvEEEESM_SP_SQ_mSR_ST_bEUlT_E_NS1_11comp_targetILNS1_3genE3ELNS1_11target_archE908ELNS1_3gpuE7ELNS1_3repE0EEENS1_30default_config_static_selectorELNS0_4arch9wavefront6targetE1EEEvT1_,comdat
.Lfunc_end799:
	.size	_ZN7rocprim17ROCPRIM_400000_NS6detail17trampoline_kernelINS0_14default_configENS1_25transform_config_selectorIlLb0EEEZNS1_14transform_implILb0ES3_S5_NS0_18transform_iteratorINS0_17counting_iteratorImlEEZNS1_24adjacent_difference_implIS3_Lb1ELb0EPlSB_ZN2at6native12_GLOBAL__N_124unique_dim_cuda_templateIdEESt5tupleIJNSC_6TensorESH_SH_EERKSH_lbbbEUlllE1_EE10hipError_tPvRmT2_T3_mT4_P12ihipStream_tbEUlmE_lEESB_NS0_8identityIvEEEESM_SP_SQ_mSR_ST_bEUlT_E_NS1_11comp_targetILNS1_3genE3ELNS1_11target_archE908ELNS1_3gpuE7ELNS1_3repE0EEENS1_30default_config_static_selectorELNS0_4arch9wavefront6targetE1EEEvT1_, .Lfunc_end799-_ZN7rocprim17ROCPRIM_400000_NS6detail17trampoline_kernelINS0_14default_configENS1_25transform_config_selectorIlLb0EEEZNS1_14transform_implILb0ES3_S5_NS0_18transform_iteratorINS0_17counting_iteratorImlEEZNS1_24adjacent_difference_implIS3_Lb1ELb0EPlSB_ZN2at6native12_GLOBAL__N_124unique_dim_cuda_templateIdEESt5tupleIJNSC_6TensorESH_SH_EERKSH_lbbbEUlllE1_EE10hipError_tPvRmT2_T3_mT4_P12ihipStream_tbEUlmE_lEESB_NS0_8identityIvEEEESM_SP_SQ_mSR_ST_bEUlT_E_NS1_11comp_targetILNS1_3genE3ELNS1_11target_archE908ELNS1_3gpuE7ELNS1_3repE0EEENS1_30default_config_static_selectorELNS0_4arch9wavefront6targetE1EEEvT1_
                                        ; -- End function
	.section	.AMDGPU.csdata,"",@progbits
; Kernel info:
; codeLenInByte = 0
; NumSgprs: 6
; NumVgprs: 0
; NumAgprs: 0
; TotalNumVgprs: 0
; ScratchSize: 0
; MemoryBound: 0
; FloatMode: 240
; IeeeMode: 1
; LDSByteSize: 0 bytes/workgroup (compile time only)
; SGPRBlocks: 0
; VGPRBlocks: 0
; NumSGPRsForWavesPerEU: 6
; NumVGPRsForWavesPerEU: 1
; AccumOffset: 4
; Occupancy: 8
; WaveLimiterHint : 0
; COMPUTE_PGM_RSRC2:SCRATCH_EN: 0
; COMPUTE_PGM_RSRC2:USER_SGPR: 2
; COMPUTE_PGM_RSRC2:TRAP_HANDLER: 0
; COMPUTE_PGM_RSRC2:TGID_X_EN: 1
; COMPUTE_PGM_RSRC2:TGID_Y_EN: 0
; COMPUTE_PGM_RSRC2:TGID_Z_EN: 0
; COMPUTE_PGM_RSRC2:TIDIG_COMP_CNT: 0
; COMPUTE_PGM_RSRC3_GFX90A:ACCUM_OFFSET: 0
; COMPUTE_PGM_RSRC3_GFX90A:TG_SPLIT: 0
	.section	.text._ZN7rocprim17ROCPRIM_400000_NS6detail17trampoline_kernelINS0_14default_configENS1_25transform_config_selectorIlLb0EEEZNS1_14transform_implILb0ES3_S5_NS0_18transform_iteratorINS0_17counting_iteratorImlEEZNS1_24adjacent_difference_implIS3_Lb1ELb0EPlSB_ZN2at6native12_GLOBAL__N_124unique_dim_cuda_templateIdEESt5tupleIJNSC_6TensorESH_SH_EERKSH_lbbbEUlllE1_EE10hipError_tPvRmT2_T3_mT4_P12ihipStream_tbEUlmE_lEESB_NS0_8identityIvEEEESM_SP_SQ_mSR_ST_bEUlT_E_NS1_11comp_targetILNS1_3genE2ELNS1_11target_archE906ELNS1_3gpuE6ELNS1_3repE0EEENS1_30default_config_static_selectorELNS0_4arch9wavefront6targetE1EEEvT1_,"axG",@progbits,_ZN7rocprim17ROCPRIM_400000_NS6detail17trampoline_kernelINS0_14default_configENS1_25transform_config_selectorIlLb0EEEZNS1_14transform_implILb0ES3_S5_NS0_18transform_iteratorINS0_17counting_iteratorImlEEZNS1_24adjacent_difference_implIS3_Lb1ELb0EPlSB_ZN2at6native12_GLOBAL__N_124unique_dim_cuda_templateIdEESt5tupleIJNSC_6TensorESH_SH_EERKSH_lbbbEUlllE1_EE10hipError_tPvRmT2_T3_mT4_P12ihipStream_tbEUlmE_lEESB_NS0_8identityIvEEEESM_SP_SQ_mSR_ST_bEUlT_E_NS1_11comp_targetILNS1_3genE2ELNS1_11target_archE906ELNS1_3gpuE6ELNS1_3repE0EEENS1_30default_config_static_selectorELNS0_4arch9wavefront6targetE1EEEvT1_,comdat
	.globl	_ZN7rocprim17ROCPRIM_400000_NS6detail17trampoline_kernelINS0_14default_configENS1_25transform_config_selectorIlLb0EEEZNS1_14transform_implILb0ES3_S5_NS0_18transform_iteratorINS0_17counting_iteratorImlEEZNS1_24adjacent_difference_implIS3_Lb1ELb0EPlSB_ZN2at6native12_GLOBAL__N_124unique_dim_cuda_templateIdEESt5tupleIJNSC_6TensorESH_SH_EERKSH_lbbbEUlllE1_EE10hipError_tPvRmT2_T3_mT4_P12ihipStream_tbEUlmE_lEESB_NS0_8identityIvEEEESM_SP_SQ_mSR_ST_bEUlT_E_NS1_11comp_targetILNS1_3genE2ELNS1_11target_archE906ELNS1_3gpuE6ELNS1_3repE0EEENS1_30default_config_static_selectorELNS0_4arch9wavefront6targetE1EEEvT1_ ; -- Begin function _ZN7rocprim17ROCPRIM_400000_NS6detail17trampoline_kernelINS0_14default_configENS1_25transform_config_selectorIlLb0EEEZNS1_14transform_implILb0ES3_S5_NS0_18transform_iteratorINS0_17counting_iteratorImlEEZNS1_24adjacent_difference_implIS3_Lb1ELb0EPlSB_ZN2at6native12_GLOBAL__N_124unique_dim_cuda_templateIdEESt5tupleIJNSC_6TensorESH_SH_EERKSH_lbbbEUlllE1_EE10hipError_tPvRmT2_T3_mT4_P12ihipStream_tbEUlmE_lEESB_NS0_8identityIvEEEESM_SP_SQ_mSR_ST_bEUlT_E_NS1_11comp_targetILNS1_3genE2ELNS1_11target_archE906ELNS1_3gpuE6ELNS1_3repE0EEENS1_30default_config_static_selectorELNS0_4arch9wavefront6targetE1EEEvT1_
	.p2align	8
	.type	_ZN7rocprim17ROCPRIM_400000_NS6detail17trampoline_kernelINS0_14default_configENS1_25transform_config_selectorIlLb0EEEZNS1_14transform_implILb0ES3_S5_NS0_18transform_iteratorINS0_17counting_iteratorImlEEZNS1_24adjacent_difference_implIS3_Lb1ELb0EPlSB_ZN2at6native12_GLOBAL__N_124unique_dim_cuda_templateIdEESt5tupleIJNSC_6TensorESH_SH_EERKSH_lbbbEUlllE1_EE10hipError_tPvRmT2_T3_mT4_P12ihipStream_tbEUlmE_lEESB_NS0_8identityIvEEEESM_SP_SQ_mSR_ST_bEUlT_E_NS1_11comp_targetILNS1_3genE2ELNS1_11target_archE906ELNS1_3gpuE6ELNS1_3repE0EEENS1_30default_config_static_selectorELNS0_4arch9wavefront6targetE1EEEvT1_,@function
_ZN7rocprim17ROCPRIM_400000_NS6detail17trampoline_kernelINS0_14default_configENS1_25transform_config_selectorIlLb0EEEZNS1_14transform_implILb0ES3_S5_NS0_18transform_iteratorINS0_17counting_iteratorImlEEZNS1_24adjacent_difference_implIS3_Lb1ELb0EPlSB_ZN2at6native12_GLOBAL__N_124unique_dim_cuda_templateIdEESt5tupleIJNSC_6TensorESH_SH_EERKSH_lbbbEUlllE1_EE10hipError_tPvRmT2_T3_mT4_P12ihipStream_tbEUlmE_lEESB_NS0_8identityIvEEEESM_SP_SQ_mSR_ST_bEUlT_E_NS1_11comp_targetILNS1_3genE2ELNS1_11target_archE906ELNS1_3gpuE6ELNS1_3repE0EEENS1_30default_config_static_selectorELNS0_4arch9wavefront6targetE1EEEvT1_: ; @_ZN7rocprim17ROCPRIM_400000_NS6detail17trampoline_kernelINS0_14default_configENS1_25transform_config_selectorIlLb0EEEZNS1_14transform_implILb0ES3_S5_NS0_18transform_iteratorINS0_17counting_iteratorImlEEZNS1_24adjacent_difference_implIS3_Lb1ELb0EPlSB_ZN2at6native12_GLOBAL__N_124unique_dim_cuda_templateIdEESt5tupleIJNSC_6TensorESH_SH_EERKSH_lbbbEUlllE1_EE10hipError_tPvRmT2_T3_mT4_P12ihipStream_tbEUlmE_lEESB_NS0_8identityIvEEEESM_SP_SQ_mSR_ST_bEUlT_E_NS1_11comp_targetILNS1_3genE2ELNS1_11target_archE906ELNS1_3gpuE6ELNS1_3repE0EEENS1_30default_config_static_selectorELNS0_4arch9wavefront6targetE1EEEvT1_
; %bb.0:
	.section	.rodata,"a",@progbits
	.p2align	6, 0x0
	.amdhsa_kernel _ZN7rocprim17ROCPRIM_400000_NS6detail17trampoline_kernelINS0_14default_configENS1_25transform_config_selectorIlLb0EEEZNS1_14transform_implILb0ES3_S5_NS0_18transform_iteratorINS0_17counting_iteratorImlEEZNS1_24adjacent_difference_implIS3_Lb1ELb0EPlSB_ZN2at6native12_GLOBAL__N_124unique_dim_cuda_templateIdEESt5tupleIJNSC_6TensorESH_SH_EERKSH_lbbbEUlllE1_EE10hipError_tPvRmT2_T3_mT4_P12ihipStream_tbEUlmE_lEESB_NS0_8identityIvEEEESM_SP_SQ_mSR_ST_bEUlT_E_NS1_11comp_targetILNS1_3genE2ELNS1_11target_archE906ELNS1_3gpuE6ELNS1_3repE0EEENS1_30default_config_static_selectorELNS0_4arch9wavefront6targetE1EEEvT1_
		.amdhsa_group_segment_fixed_size 0
		.amdhsa_private_segment_fixed_size 0
		.amdhsa_kernarg_size 56
		.amdhsa_user_sgpr_count 2
		.amdhsa_user_sgpr_dispatch_ptr 0
		.amdhsa_user_sgpr_queue_ptr 0
		.amdhsa_user_sgpr_kernarg_segment_ptr 1
		.amdhsa_user_sgpr_dispatch_id 0
		.amdhsa_user_sgpr_kernarg_preload_length 0
		.amdhsa_user_sgpr_kernarg_preload_offset 0
		.amdhsa_user_sgpr_private_segment_size 0
		.amdhsa_uses_dynamic_stack 0
		.amdhsa_enable_private_segment 0
		.amdhsa_system_sgpr_workgroup_id_x 1
		.amdhsa_system_sgpr_workgroup_id_y 0
		.amdhsa_system_sgpr_workgroup_id_z 0
		.amdhsa_system_sgpr_workgroup_info 0
		.amdhsa_system_vgpr_workitem_id 0
		.amdhsa_next_free_vgpr 1
		.amdhsa_next_free_sgpr 0
		.amdhsa_accum_offset 4
		.amdhsa_reserve_vcc 0
		.amdhsa_float_round_mode_32 0
		.amdhsa_float_round_mode_16_64 0
		.amdhsa_float_denorm_mode_32 3
		.amdhsa_float_denorm_mode_16_64 3
		.amdhsa_dx10_clamp 1
		.amdhsa_ieee_mode 1
		.amdhsa_fp16_overflow 0
		.amdhsa_tg_split 0
		.amdhsa_exception_fp_ieee_invalid_op 0
		.amdhsa_exception_fp_denorm_src 0
		.amdhsa_exception_fp_ieee_div_zero 0
		.amdhsa_exception_fp_ieee_overflow 0
		.amdhsa_exception_fp_ieee_underflow 0
		.amdhsa_exception_fp_ieee_inexact 0
		.amdhsa_exception_int_div_zero 0
	.end_amdhsa_kernel
	.section	.text._ZN7rocprim17ROCPRIM_400000_NS6detail17trampoline_kernelINS0_14default_configENS1_25transform_config_selectorIlLb0EEEZNS1_14transform_implILb0ES3_S5_NS0_18transform_iteratorINS0_17counting_iteratorImlEEZNS1_24adjacent_difference_implIS3_Lb1ELb0EPlSB_ZN2at6native12_GLOBAL__N_124unique_dim_cuda_templateIdEESt5tupleIJNSC_6TensorESH_SH_EERKSH_lbbbEUlllE1_EE10hipError_tPvRmT2_T3_mT4_P12ihipStream_tbEUlmE_lEESB_NS0_8identityIvEEEESM_SP_SQ_mSR_ST_bEUlT_E_NS1_11comp_targetILNS1_3genE2ELNS1_11target_archE906ELNS1_3gpuE6ELNS1_3repE0EEENS1_30default_config_static_selectorELNS0_4arch9wavefront6targetE1EEEvT1_,"axG",@progbits,_ZN7rocprim17ROCPRIM_400000_NS6detail17trampoline_kernelINS0_14default_configENS1_25transform_config_selectorIlLb0EEEZNS1_14transform_implILb0ES3_S5_NS0_18transform_iteratorINS0_17counting_iteratorImlEEZNS1_24adjacent_difference_implIS3_Lb1ELb0EPlSB_ZN2at6native12_GLOBAL__N_124unique_dim_cuda_templateIdEESt5tupleIJNSC_6TensorESH_SH_EERKSH_lbbbEUlllE1_EE10hipError_tPvRmT2_T3_mT4_P12ihipStream_tbEUlmE_lEESB_NS0_8identityIvEEEESM_SP_SQ_mSR_ST_bEUlT_E_NS1_11comp_targetILNS1_3genE2ELNS1_11target_archE906ELNS1_3gpuE6ELNS1_3repE0EEENS1_30default_config_static_selectorELNS0_4arch9wavefront6targetE1EEEvT1_,comdat
.Lfunc_end800:
	.size	_ZN7rocprim17ROCPRIM_400000_NS6detail17trampoline_kernelINS0_14default_configENS1_25transform_config_selectorIlLb0EEEZNS1_14transform_implILb0ES3_S5_NS0_18transform_iteratorINS0_17counting_iteratorImlEEZNS1_24adjacent_difference_implIS3_Lb1ELb0EPlSB_ZN2at6native12_GLOBAL__N_124unique_dim_cuda_templateIdEESt5tupleIJNSC_6TensorESH_SH_EERKSH_lbbbEUlllE1_EE10hipError_tPvRmT2_T3_mT4_P12ihipStream_tbEUlmE_lEESB_NS0_8identityIvEEEESM_SP_SQ_mSR_ST_bEUlT_E_NS1_11comp_targetILNS1_3genE2ELNS1_11target_archE906ELNS1_3gpuE6ELNS1_3repE0EEENS1_30default_config_static_selectorELNS0_4arch9wavefront6targetE1EEEvT1_, .Lfunc_end800-_ZN7rocprim17ROCPRIM_400000_NS6detail17trampoline_kernelINS0_14default_configENS1_25transform_config_selectorIlLb0EEEZNS1_14transform_implILb0ES3_S5_NS0_18transform_iteratorINS0_17counting_iteratorImlEEZNS1_24adjacent_difference_implIS3_Lb1ELb0EPlSB_ZN2at6native12_GLOBAL__N_124unique_dim_cuda_templateIdEESt5tupleIJNSC_6TensorESH_SH_EERKSH_lbbbEUlllE1_EE10hipError_tPvRmT2_T3_mT4_P12ihipStream_tbEUlmE_lEESB_NS0_8identityIvEEEESM_SP_SQ_mSR_ST_bEUlT_E_NS1_11comp_targetILNS1_3genE2ELNS1_11target_archE906ELNS1_3gpuE6ELNS1_3repE0EEENS1_30default_config_static_selectorELNS0_4arch9wavefront6targetE1EEEvT1_
                                        ; -- End function
	.section	.AMDGPU.csdata,"",@progbits
; Kernel info:
; codeLenInByte = 0
; NumSgprs: 6
; NumVgprs: 0
; NumAgprs: 0
; TotalNumVgprs: 0
; ScratchSize: 0
; MemoryBound: 0
; FloatMode: 240
; IeeeMode: 1
; LDSByteSize: 0 bytes/workgroup (compile time only)
; SGPRBlocks: 0
; VGPRBlocks: 0
; NumSGPRsForWavesPerEU: 6
; NumVGPRsForWavesPerEU: 1
; AccumOffset: 4
; Occupancy: 8
; WaveLimiterHint : 0
; COMPUTE_PGM_RSRC2:SCRATCH_EN: 0
; COMPUTE_PGM_RSRC2:USER_SGPR: 2
; COMPUTE_PGM_RSRC2:TRAP_HANDLER: 0
; COMPUTE_PGM_RSRC2:TGID_X_EN: 1
; COMPUTE_PGM_RSRC2:TGID_Y_EN: 0
; COMPUTE_PGM_RSRC2:TGID_Z_EN: 0
; COMPUTE_PGM_RSRC2:TIDIG_COMP_CNT: 0
; COMPUTE_PGM_RSRC3_GFX90A:ACCUM_OFFSET: 0
; COMPUTE_PGM_RSRC3_GFX90A:TG_SPLIT: 0
	.section	.text._ZN7rocprim17ROCPRIM_400000_NS6detail17trampoline_kernelINS0_14default_configENS1_25transform_config_selectorIlLb0EEEZNS1_14transform_implILb0ES3_S5_NS0_18transform_iteratorINS0_17counting_iteratorImlEEZNS1_24adjacent_difference_implIS3_Lb1ELb0EPlSB_ZN2at6native12_GLOBAL__N_124unique_dim_cuda_templateIdEESt5tupleIJNSC_6TensorESH_SH_EERKSH_lbbbEUlllE1_EE10hipError_tPvRmT2_T3_mT4_P12ihipStream_tbEUlmE_lEESB_NS0_8identityIvEEEESM_SP_SQ_mSR_ST_bEUlT_E_NS1_11comp_targetILNS1_3genE10ELNS1_11target_archE1201ELNS1_3gpuE5ELNS1_3repE0EEENS1_30default_config_static_selectorELNS0_4arch9wavefront6targetE1EEEvT1_,"axG",@progbits,_ZN7rocprim17ROCPRIM_400000_NS6detail17trampoline_kernelINS0_14default_configENS1_25transform_config_selectorIlLb0EEEZNS1_14transform_implILb0ES3_S5_NS0_18transform_iteratorINS0_17counting_iteratorImlEEZNS1_24adjacent_difference_implIS3_Lb1ELb0EPlSB_ZN2at6native12_GLOBAL__N_124unique_dim_cuda_templateIdEESt5tupleIJNSC_6TensorESH_SH_EERKSH_lbbbEUlllE1_EE10hipError_tPvRmT2_T3_mT4_P12ihipStream_tbEUlmE_lEESB_NS0_8identityIvEEEESM_SP_SQ_mSR_ST_bEUlT_E_NS1_11comp_targetILNS1_3genE10ELNS1_11target_archE1201ELNS1_3gpuE5ELNS1_3repE0EEENS1_30default_config_static_selectorELNS0_4arch9wavefront6targetE1EEEvT1_,comdat
	.globl	_ZN7rocprim17ROCPRIM_400000_NS6detail17trampoline_kernelINS0_14default_configENS1_25transform_config_selectorIlLb0EEEZNS1_14transform_implILb0ES3_S5_NS0_18transform_iteratorINS0_17counting_iteratorImlEEZNS1_24adjacent_difference_implIS3_Lb1ELb0EPlSB_ZN2at6native12_GLOBAL__N_124unique_dim_cuda_templateIdEESt5tupleIJNSC_6TensorESH_SH_EERKSH_lbbbEUlllE1_EE10hipError_tPvRmT2_T3_mT4_P12ihipStream_tbEUlmE_lEESB_NS0_8identityIvEEEESM_SP_SQ_mSR_ST_bEUlT_E_NS1_11comp_targetILNS1_3genE10ELNS1_11target_archE1201ELNS1_3gpuE5ELNS1_3repE0EEENS1_30default_config_static_selectorELNS0_4arch9wavefront6targetE1EEEvT1_ ; -- Begin function _ZN7rocprim17ROCPRIM_400000_NS6detail17trampoline_kernelINS0_14default_configENS1_25transform_config_selectorIlLb0EEEZNS1_14transform_implILb0ES3_S5_NS0_18transform_iteratorINS0_17counting_iteratorImlEEZNS1_24adjacent_difference_implIS3_Lb1ELb0EPlSB_ZN2at6native12_GLOBAL__N_124unique_dim_cuda_templateIdEESt5tupleIJNSC_6TensorESH_SH_EERKSH_lbbbEUlllE1_EE10hipError_tPvRmT2_T3_mT4_P12ihipStream_tbEUlmE_lEESB_NS0_8identityIvEEEESM_SP_SQ_mSR_ST_bEUlT_E_NS1_11comp_targetILNS1_3genE10ELNS1_11target_archE1201ELNS1_3gpuE5ELNS1_3repE0EEENS1_30default_config_static_selectorELNS0_4arch9wavefront6targetE1EEEvT1_
	.p2align	8
	.type	_ZN7rocprim17ROCPRIM_400000_NS6detail17trampoline_kernelINS0_14default_configENS1_25transform_config_selectorIlLb0EEEZNS1_14transform_implILb0ES3_S5_NS0_18transform_iteratorINS0_17counting_iteratorImlEEZNS1_24adjacent_difference_implIS3_Lb1ELb0EPlSB_ZN2at6native12_GLOBAL__N_124unique_dim_cuda_templateIdEESt5tupleIJNSC_6TensorESH_SH_EERKSH_lbbbEUlllE1_EE10hipError_tPvRmT2_T3_mT4_P12ihipStream_tbEUlmE_lEESB_NS0_8identityIvEEEESM_SP_SQ_mSR_ST_bEUlT_E_NS1_11comp_targetILNS1_3genE10ELNS1_11target_archE1201ELNS1_3gpuE5ELNS1_3repE0EEENS1_30default_config_static_selectorELNS0_4arch9wavefront6targetE1EEEvT1_,@function
_ZN7rocprim17ROCPRIM_400000_NS6detail17trampoline_kernelINS0_14default_configENS1_25transform_config_selectorIlLb0EEEZNS1_14transform_implILb0ES3_S5_NS0_18transform_iteratorINS0_17counting_iteratorImlEEZNS1_24adjacent_difference_implIS3_Lb1ELb0EPlSB_ZN2at6native12_GLOBAL__N_124unique_dim_cuda_templateIdEESt5tupleIJNSC_6TensorESH_SH_EERKSH_lbbbEUlllE1_EE10hipError_tPvRmT2_T3_mT4_P12ihipStream_tbEUlmE_lEESB_NS0_8identityIvEEEESM_SP_SQ_mSR_ST_bEUlT_E_NS1_11comp_targetILNS1_3genE10ELNS1_11target_archE1201ELNS1_3gpuE5ELNS1_3repE0EEENS1_30default_config_static_selectorELNS0_4arch9wavefront6targetE1EEEvT1_: ; @_ZN7rocprim17ROCPRIM_400000_NS6detail17trampoline_kernelINS0_14default_configENS1_25transform_config_selectorIlLb0EEEZNS1_14transform_implILb0ES3_S5_NS0_18transform_iteratorINS0_17counting_iteratorImlEEZNS1_24adjacent_difference_implIS3_Lb1ELb0EPlSB_ZN2at6native12_GLOBAL__N_124unique_dim_cuda_templateIdEESt5tupleIJNSC_6TensorESH_SH_EERKSH_lbbbEUlllE1_EE10hipError_tPvRmT2_T3_mT4_P12ihipStream_tbEUlmE_lEESB_NS0_8identityIvEEEESM_SP_SQ_mSR_ST_bEUlT_E_NS1_11comp_targetILNS1_3genE10ELNS1_11target_archE1201ELNS1_3gpuE5ELNS1_3repE0EEENS1_30default_config_static_selectorELNS0_4arch9wavefront6targetE1EEEvT1_
; %bb.0:
	.section	.rodata,"a",@progbits
	.p2align	6, 0x0
	.amdhsa_kernel _ZN7rocprim17ROCPRIM_400000_NS6detail17trampoline_kernelINS0_14default_configENS1_25transform_config_selectorIlLb0EEEZNS1_14transform_implILb0ES3_S5_NS0_18transform_iteratorINS0_17counting_iteratorImlEEZNS1_24adjacent_difference_implIS3_Lb1ELb0EPlSB_ZN2at6native12_GLOBAL__N_124unique_dim_cuda_templateIdEESt5tupleIJNSC_6TensorESH_SH_EERKSH_lbbbEUlllE1_EE10hipError_tPvRmT2_T3_mT4_P12ihipStream_tbEUlmE_lEESB_NS0_8identityIvEEEESM_SP_SQ_mSR_ST_bEUlT_E_NS1_11comp_targetILNS1_3genE10ELNS1_11target_archE1201ELNS1_3gpuE5ELNS1_3repE0EEENS1_30default_config_static_selectorELNS0_4arch9wavefront6targetE1EEEvT1_
		.amdhsa_group_segment_fixed_size 0
		.amdhsa_private_segment_fixed_size 0
		.amdhsa_kernarg_size 56
		.amdhsa_user_sgpr_count 2
		.amdhsa_user_sgpr_dispatch_ptr 0
		.amdhsa_user_sgpr_queue_ptr 0
		.amdhsa_user_sgpr_kernarg_segment_ptr 1
		.amdhsa_user_sgpr_dispatch_id 0
		.amdhsa_user_sgpr_kernarg_preload_length 0
		.amdhsa_user_sgpr_kernarg_preload_offset 0
		.amdhsa_user_sgpr_private_segment_size 0
		.amdhsa_uses_dynamic_stack 0
		.amdhsa_enable_private_segment 0
		.amdhsa_system_sgpr_workgroup_id_x 1
		.amdhsa_system_sgpr_workgroup_id_y 0
		.amdhsa_system_sgpr_workgroup_id_z 0
		.amdhsa_system_sgpr_workgroup_info 0
		.amdhsa_system_vgpr_workitem_id 0
		.amdhsa_next_free_vgpr 1
		.amdhsa_next_free_sgpr 0
		.amdhsa_accum_offset 4
		.amdhsa_reserve_vcc 0
		.amdhsa_float_round_mode_32 0
		.amdhsa_float_round_mode_16_64 0
		.amdhsa_float_denorm_mode_32 3
		.amdhsa_float_denorm_mode_16_64 3
		.amdhsa_dx10_clamp 1
		.amdhsa_ieee_mode 1
		.amdhsa_fp16_overflow 0
		.amdhsa_tg_split 0
		.amdhsa_exception_fp_ieee_invalid_op 0
		.amdhsa_exception_fp_denorm_src 0
		.amdhsa_exception_fp_ieee_div_zero 0
		.amdhsa_exception_fp_ieee_overflow 0
		.amdhsa_exception_fp_ieee_underflow 0
		.amdhsa_exception_fp_ieee_inexact 0
		.amdhsa_exception_int_div_zero 0
	.end_amdhsa_kernel
	.section	.text._ZN7rocprim17ROCPRIM_400000_NS6detail17trampoline_kernelINS0_14default_configENS1_25transform_config_selectorIlLb0EEEZNS1_14transform_implILb0ES3_S5_NS0_18transform_iteratorINS0_17counting_iteratorImlEEZNS1_24adjacent_difference_implIS3_Lb1ELb0EPlSB_ZN2at6native12_GLOBAL__N_124unique_dim_cuda_templateIdEESt5tupleIJNSC_6TensorESH_SH_EERKSH_lbbbEUlllE1_EE10hipError_tPvRmT2_T3_mT4_P12ihipStream_tbEUlmE_lEESB_NS0_8identityIvEEEESM_SP_SQ_mSR_ST_bEUlT_E_NS1_11comp_targetILNS1_3genE10ELNS1_11target_archE1201ELNS1_3gpuE5ELNS1_3repE0EEENS1_30default_config_static_selectorELNS0_4arch9wavefront6targetE1EEEvT1_,"axG",@progbits,_ZN7rocprim17ROCPRIM_400000_NS6detail17trampoline_kernelINS0_14default_configENS1_25transform_config_selectorIlLb0EEEZNS1_14transform_implILb0ES3_S5_NS0_18transform_iteratorINS0_17counting_iteratorImlEEZNS1_24adjacent_difference_implIS3_Lb1ELb0EPlSB_ZN2at6native12_GLOBAL__N_124unique_dim_cuda_templateIdEESt5tupleIJNSC_6TensorESH_SH_EERKSH_lbbbEUlllE1_EE10hipError_tPvRmT2_T3_mT4_P12ihipStream_tbEUlmE_lEESB_NS0_8identityIvEEEESM_SP_SQ_mSR_ST_bEUlT_E_NS1_11comp_targetILNS1_3genE10ELNS1_11target_archE1201ELNS1_3gpuE5ELNS1_3repE0EEENS1_30default_config_static_selectorELNS0_4arch9wavefront6targetE1EEEvT1_,comdat
.Lfunc_end801:
	.size	_ZN7rocprim17ROCPRIM_400000_NS6detail17trampoline_kernelINS0_14default_configENS1_25transform_config_selectorIlLb0EEEZNS1_14transform_implILb0ES3_S5_NS0_18transform_iteratorINS0_17counting_iteratorImlEEZNS1_24adjacent_difference_implIS3_Lb1ELb0EPlSB_ZN2at6native12_GLOBAL__N_124unique_dim_cuda_templateIdEESt5tupleIJNSC_6TensorESH_SH_EERKSH_lbbbEUlllE1_EE10hipError_tPvRmT2_T3_mT4_P12ihipStream_tbEUlmE_lEESB_NS0_8identityIvEEEESM_SP_SQ_mSR_ST_bEUlT_E_NS1_11comp_targetILNS1_3genE10ELNS1_11target_archE1201ELNS1_3gpuE5ELNS1_3repE0EEENS1_30default_config_static_selectorELNS0_4arch9wavefront6targetE1EEEvT1_, .Lfunc_end801-_ZN7rocprim17ROCPRIM_400000_NS6detail17trampoline_kernelINS0_14default_configENS1_25transform_config_selectorIlLb0EEEZNS1_14transform_implILb0ES3_S5_NS0_18transform_iteratorINS0_17counting_iteratorImlEEZNS1_24adjacent_difference_implIS3_Lb1ELb0EPlSB_ZN2at6native12_GLOBAL__N_124unique_dim_cuda_templateIdEESt5tupleIJNSC_6TensorESH_SH_EERKSH_lbbbEUlllE1_EE10hipError_tPvRmT2_T3_mT4_P12ihipStream_tbEUlmE_lEESB_NS0_8identityIvEEEESM_SP_SQ_mSR_ST_bEUlT_E_NS1_11comp_targetILNS1_3genE10ELNS1_11target_archE1201ELNS1_3gpuE5ELNS1_3repE0EEENS1_30default_config_static_selectorELNS0_4arch9wavefront6targetE1EEEvT1_
                                        ; -- End function
	.section	.AMDGPU.csdata,"",@progbits
; Kernel info:
; codeLenInByte = 0
; NumSgprs: 6
; NumVgprs: 0
; NumAgprs: 0
; TotalNumVgprs: 0
; ScratchSize: 0
; MemoryBound: 0
; FloatMode: 240
; IeeeMode: 1
; LDSByteSize: 0 bytes/workgroup (compile time only)
; SGPRBlocks: 0
; VGPRBlocks: 0
; NumSGPRsForWavesPerEU: 6
; NumVGPRsForWavesPerEU: 1
; AccumOffset: 4
; Occupancy: 8
; WaveLimiterHint : 0
; COMPUTE_PGM_RSRC2:SCRATCH_EN: 0
; COMPUTE_PGM_RSRC2:USER_SGPR: 2
; COMPUTE_PGM_RSRC2:TRAP_HANDLER: 0
; COMPUTE_PGM_RSRC2:TGID_X_EN: 1
; COMPUTE_PGM_RSRC2:TGID_Y_EN: 0
; COMPUTE_PGM_RSRC2:TGID_Z_EN: 0
; COMPUTE_PGM_RSRC2:TIDIG_COMP_CNT: 0
; COMPUTE_PGM_RSRC3_GFX90A:ACCUM_OFFSET: 0
; COMPUTE_PGM_RSRC3_GFX90A:TG_SPLIT: 0
	.section	.text._ZN7rocprim17ROCPRIM_400000_NS6detail17trampoline_kernelINS0_14default_configENS1_25transform_config_selectorIlLb0EEEZNS1_14transform_implILb0ES3_S5_NS0_18transform_iteratorINS0_17counting_iteratorImlEEZNS1_24adjacent_difference_implIS3_Lb1ELb0EPlSB_ZN2at6native12_GLOBAL__N_124unique_dim_cuda_templateIdEESt5tupleIJNSC_6TensorESH_SH_EERKSH_lbbbEUlllE1_EE10hipError_tPvRmT2_T3_mT4_P12ihipStream_tbEUlmE_lEESB_NS0_8identityIvEEEESM_SP_SQ_mSR_ST_bEUlT_E_NS1_11comp_targetILNS1_3genE10ELNS1_11target_archE1200ELNS1_3gpuE4ELNS1_3repE0EEENS1_30default_config_static_selectorELNS0_4arch9wavefront6targetE1EEEvT1_,"axG",@progbits,_ZN7rocprim17ROCPRIM_400000_NS6detail17trampoline_kernelINS0_14default_configENS1_25transform_config_selectorIlLb0EEEZNS1_14transform_implILb0ES3_S5_NS0_18transform_iteratorINS0_17counting_iteratorImlEEZNS1_24adjacent_difference_implIS3_Lb1ELb0EPlSB_ZN2at6native12_GLOBAL__N_124unique_dim_cuda_templateIdEESt5tupleIJNSC_6TensorESH_SH_EERKSH_lbbbEUlllE1_EE10hipError_tPvRmT2_T3_mT4_P12ihipStream_tbEUlmE_lEESB_NS0_8identityIvEEEESM_SP_SQ_mSR_ST_bEUlT_E_NS1_11comp_targetILNS1_3genE10ELNS1_11target_archE1200ELNS1_3gpuE4ELNS1_3repE0EEENS1_30default_config_static_selectorELNS0_4arch9wavefront6targetE1EEEvT1_,comdat
	.globl	_ZN7rocprim17ROCPRIM_400000_NS6detail17trampoline_kernelINS0_14default_configENS1_25transform_config_selectorIlLb0EEEZNS1_14transform_implILb0ES3_S5_NS0_18transform_iteratorINS0_17counting_iteratorImlEEZNS1_24adjacent_difference_implIS3_Lb1ELb0EPlSB_ZN2at6native12_GLOBAL__N_124unique_dim_cuda_templateIdEESt5tupleIJNSC_6TensorESH_SH_EERKSH_lbbbEUlllE1_EE10hipError_tPvRmT2_T3_mT4_P12ihipStream_tbEUlmE_lEESB_NS0_8identityIvEEEESM_SP_SQ_mSR_ST_bEUlT_E_NS1_11comp_targetILNS1_3genE10ELNS1_11target_archE1200ELNS1_3gpuE4ELNS1_3repE0EEENS1_30default_config_static_selectorELNS0_4arch9wavefront6targetE1EEEvT1_ ; -- Begin function _ZN7rocprim17ROCPRIM_400000_NS6detail17trampoline_kernelINS0_14default_configENS1_25transform_config_selectorIlLb0EEEZNS1_14transform_implILb0ES3_S5_NS0_18transform_iteratorINS0_17counting_iteratorImlEEZNS1_24adjacent_difference_implIS3_Lb1ELb0EPlSB_ZN2at6native12_GLOBAL__N_124unique_dim_cuda_templateIdEESt5tupleIJNSC_6TensorESH_SH_EERKSH_lbbbEUlllE1_EE10hipError_tPvRmT2_T3_mT4_P12ihipStream_tbEUlmE_lEESB_NS0_8identityIvEEEESM_SP_SQ_mSR_ST_bEUlT_E_NS1_11comp_targetILNS1_3genE10ELNS1_11target_archE1200ELNS1_3gpuE4ELNS1_3repE0EEENS1_30default_config_static_selectorELNS0_4arch9wavefront6targetE1EEEvT1_
	.p2align	8
	.type	_ZN7rocprim17ROCPRIM_400000_NS6detail17trampoline_kernelINS0_14default_configENS1_25transform_config_selectorIlLb0EEEZNS1_14transform_implILb0ES3_S5_NS0_18transform_iteratorINS0_17counting_iteratorImlEEZNS1_24adjacent_difference_implIS3_Lb1ELb0EPlSB_ZN2at6native12_GLOBAL__N_124unique_dim_cuda_templateIdEESt5tupleIJNSC_6TensorESH_SH_EERKSH_lbbbEUlllE1_EE10hipError_tPvRmT2_T3_mT4_P12ihipStream_tbEUlmE_lEESB_NS0_8identityIvEEEESM_SP_SQ_mSR_ST_bEUlT_E_NS1_11comp_targetILNS1_3genE10ELNS1_11target_archE1200ELNS1_3gpuE4ELNS1_3repE0EEENS1_30default_config_static_selectorELNS0_4arch9wavefront6targetE1EEEvT1_,@function
_ZN7rocprim17ROCPRIM_400000_NS6detail17trampoline_kernelINS0_14default_configENS1_25transform_config_selectorIlLb0EEEZNS1_14transform_implILb0ES3_S5_NS0_18transform_iteratorINS0_17counting_iteratorImlEEZNS1_24adjacent_difference_implIS3_Lb1ELb0EPlSB_ZN2at6native12_GLOBAL__N_124unique_dim_cuda_templateIdEESt5tupleIJNSC_6TensorESH_SH_EERKSH_lbbbEUlllE1_EE10hipError_tPvRmT2_T3_mT4_P12ihipStream_tbEUlmE_lEESB_NS0_8identityIvEEEESM_SP_SQ_mSR_ST_bEUlT_E_NS1_11comp_targetILNS1_3genE10ELNS1_11target_archE1200ELNS1_3gpuE4ELNS1_3repE0EEENS1_30default_config_static_selectorELNS0_4arch9wavefront6targetE1EEEvT1_: ; @_ZN7rocprim17ROCPRIM_400000_NS6detail17trampoline_kernelINS0_14default_configENS1_25transform_config_selectorIlLb0EEEZNS1_14transform_implILb0ES3_S5_NS0_18transform_iteratorINS0_17counting_iteratorImlEEZNS1_24adjacent_difference_implIS3_Lb1ELb0EPlSB_ZN2at6native12_GLOBAL__N_124unique_dim_cuda_templateIdEESt5tupleIJNSC_6TensorESH_SH_EERKSH_lbbbEUlllE1_EE10hipError_tPvRmT2_T3_mT4_P12ihipStream_tbEUlmE_lEESB_NS0_8identityIvEEEESM_SP_SQ_mSR_ST_bEUlT_E_NS1_11comp_targetILNS1_3genE10ELNS1_11target_archE1200ELNS1_3gpuE4ELNS1_3repE0EEENS1_30default_config_static_selectorELNS0_4arch9wavefront6targetE1EEEvT1_
; %bb.0:
	.section	.rodata,"a",@progbits
	.p2align	6, 0x0
	.amdhsa_kernel _ZN7rocprim17ROCPRIM_400000_NS6detail17trampoline_kernelINS0_14default_configENS1_25transform_config_selectorIlLb0EEEZNS1_14transform_implILb0ES3_S5_NS0_18transform_iteratorINS0_17counting_iteratorImlEEZNS1_24adjacent_difference_implIS3_Lb1ELb0EPlSB_ZN2at6native12_GLOBAL__N_124unique_dim_cuda_templateIdEESt5tupleIJNSC_6TensorESH_SH_EERKSH_lbbbEUlllE1_EE10hipError_tPvRmT2_T3_mT4_P12ihipStream_tbEUlmE_lEESB_NS0_8identityIvEEEESM_SP_SQ_mSR_ST_bEUlT_E_NS1_11comp_targetILNS1_3genE10ELNS1_11target_archE1200ELNS1_3gpuE4ELNS1_3repE0EEENS1_30default_config_static_selectorELNS0_4arch9wavefront6targetE1EEEvT1_
		.amdhsa_group_segment_fixed_size 0
		.amdhsa_private_segment_fixed_size 0
		.amdhsa_kernarg_size 56
		.amdhsa_user_sgpr_count 2
		.amdhsa_user_sgpr_dispatch_ptr 0
		.amdhsa_user_sgpr_queue_ptr 0
		.amdhsa_user_sgpr_kernarg_segment_ptr 1
		.amdhsa_user_sgpr_dispatch_id 0
		.amdhsa_user_sgpr_kernarg_preload_length 0
		.amdhsa_user_sgpr_kernarg_preload_offset 0
		.amdhsa_user_sgpr_private_segment_size 0
		.amdhsa_uses_dynamic_stack 0
		.amdhsa_enable_private_segment 0
		.amdhsa_system_sgpr_workgroup_id_x 1
		.amdhsa_system_sgpr_workgroup_id_y 0
		.amdhsa_system_sgpr_workgroup_id_z 0
		.amdhsa_system_sgpr_workgroup_info 0
		.amdhsa_system_vgpr_workitem_id 0
		.amdhsa_next_free_vgpr 1
		.amdhsa_next_free_sgpr 0
		.amdhsa_accum_offset 4
		.amdhsa_reserve_vcc 0
		.amdhsa_float_round_mode_32 0
		.amdhsa_float_round_mode_16_64 0
		.amdhsa_float_denorm_mode_32 3
		.amdhsa_float_denorm_mode_16_64 3
		.amdhsa_dx10_clamp 1
		.amdhsa_ieee_mode 1
		.amdhsa_fp16_overflow 0
		.amdhsa_tg_split 0
		.amdhsa_exception_fp_ieee_invalid_op 0
		.amdhsa_exception_fp_denorm_src 0
		.amdhsa_exception_fp_ieee_div_zero 0
		.amdhsa_exception_fp_ieee_overflow 0
		.amdhsa_exception_fp_ieee_underflow 0
		.amdhsa_exception_fp_ieee_inexact 0
		.amdhsa_exception_int_div_zero 0
	.end_amdhsa_kernel
	.section	.text._ZN7rocprim17ROCPRIM_400000_NS6detail17trampoline_kernelINS0_14default_configENS1_25transform_config_selectorIlLb0EEEZNS1_14transform_implILb0ES3_S5_NS0_18transform_iteratorINS0_17counting_iteratorImlEEZNS1_24adjacent_difference_implIS3_Lb1ELb0EPlSB_ZN2at6native12_GLOBAL__N_124unique_dim_cuda_templateIdEESt5tupleIJNSC_6TensorESH_SH_EERKSH_lbbbEUlllE1_EE10hipError_tPvRmT2_T3_mT4_P12ihipStream_tbEUlmE_lEESB_NS0_8identityIvEEEESM_SP_SQ_mSR_ST_bEUlT_E_NS1_11comp_targetILNS1_3genE10ELNS1_11target_archE1200ELNS1_3gpuE4ELNS1_3repE0EEENS1_30default_config_static_selectorELNS0_4arch9wavefront6targetE1EEEvT1_,"axG",@progbits,_ZN7rocprim17ROCPRIM_400000_NS6detail17trampoline_kernelINS0_14default_configENS1_25transform_config_selectorIlLb0EEEZNS1_14transform_implILb0ES3_S5_NS0_18transform_iteratorINS0_17counting_iteratorImlEEZNS1_24adjacent_difference_implIS3_Lb1ELb0EPlSB_ZN2at6native12_GLOBAL__N_124unique_dim_cuda_templateIdEESt5tupleIJNSC_6TensorESH_SH_EERKSH_lbbbEUlllE1_EE10hipError_tPvRmT2_T3_mT4_P12ihipStream_tbEUlmE_lEESB_NS0_8identityIvEEEESM_SP_SQ_mSR_ST_bEUlT_E_NS1_11comp_targetILNS1_3genE10ELNS1_11target_archE1200ELNS1_3gpuE4ELNS1_3repE0EEENS1_30default_config_static_selectorELNS0_4arch9wavefront6targetE1EEEvT1_,comdat
.Lfunc_end802:
	.size	_ZN7rocprim17ROCPRIM_400000_NS6detail17trampoline_kernelINS0_14default_configENS1_25transform_config_selectorIlLb0EEEZNS1_14transform_implILb0ES3_S5_NS0_18transform_iteratorINS0_17counting_iteratorImlEEZNS1_24adjacent_difference_implIS3_Lb1ELb0EPlSB_ZN2at6native12_GLOBAL__N_124unique_dim_cuda_templateIdEESt5tupleIJNSC_6TensorESH_SH_EERKSH_lbbbEUlllE1_EE10hipError_tPvRmT2_T3_mT4_P12ihipStream_tbEUlmE_lEESB_NS0_8identityIvEEEESM_SP_SQ_mSR_ST_bEUlT_E_NS1_11comp_targetILNS1_3genE10ELNS1_11target_archE1200ELNS1_3gpuE4ELNS1_3repE0EEENS1_30default_config_static_selectorELNS0_4arch9wavefront6targetE1EEEvT1_, .Lfunc_end802-_ZN7rocprim17ROCPRIM_400000_NS6detail17trampoline_kernelINS0_14default_configENS1_25transform_config_selectorIlLb0EEEZNS1_14transform_implILb0ES3_S5_NS0_18transform_iteratorINS0_17counting_iteratorImlEEZNS1_24adjacent_difference_implIS3_Lb1ELb0EPlSB_ZN2at6native12_GLOBAL__N_124unique_dim_cuda_templateIdEESt5tupleIJNSC_6TensorESH_SH_EERKSH_lbbbEUlllE1_EE10hipError_tPvRmT2_T3_mT4_P12ihipStream_tbEUlmE_lEESB_NS0_8identityIvEEEESM_SP_SQ_mSR_ST_bEUlT_E_NS1_11comp_targetILNS1_3genE10ELNS1_11target_archE1200ELNS1_3gpuE4ELNS1_3repE0EEENS1_30default_config_static_selectorELNS0_4arch9wavefront6targetE1EEEvT1_
                                        ; -- End function
	.section	.AMDGPU.csdata,"",@progbits
; Kernel info:
; codeLenInByte = 0
; NumSgprs: 6
; NumVgprs: 0
; NumAgprs: 0
; TotalNumVgprs: 0
; ScratchSize: 0
; MemoryBound: 0
; FloatMode: 240
; IeeeMode: 1
; LDSByteSize: 0 bytes/workgroup (compile time only)
; SGPRBlocks: 0
; VGPRBlocks: 0
; NumSGPRsForWavesPerEU: 6
; NumVGPRsForWavesPerEU: 1
; AccumOffset: 4
; Occupancy: 8
; WaveLimiterHint : 0
; COMPUTE_PGM_RSRC2:SCRATCH_EN: 0
; COMPUTE_PGM_RSRC2:USER_SGPR: 2
; COMPUTE_PGM_RSRC2:TRAP_HANDLER: 0
; COMPUTE_PGM_RSRC2:TGID_X_EN: 1
; COMPUTE_PGM_RSRC2:TGID_Y_EN: 0
; COMPUTE_PGM_RSRC2:TGID_Z_EN: 0
; COMPUTE_PGM_RSRC2:TIDIG_COMP_CNT: 0
; COMPUTE_PGM_RSRC3_GFX90A:ACCUM_OFFSET: 0
; COMPUTE_PGM_RSRC3_GFX90A:TG_SPLIT: 0
	.section	.text._ZN7rocprim17ROCPRIM_400000_NS6detail17trampoline_kernelINS0_14default_configENS1_25transform_config_selectorIlLb0EEEZNS1_14transform_implILb0ES3_S5_NS0_18transform_iteratorINS0_17counting_iteratorImlEEZNS1_24adjacent_difference_implIS3_Lb1ELb0EPlSB_ZN2at6native12_GLOBAL__N_124unique_dim_cuda_templateIdEESt5tupleIJNSC_6TensorESH_SH_EERKSH_lbbbEUlllE1_EE10hipError_tPvRmT2_T3_mT4_P12ihipStream_tbEUlmE_lEESB_NS0_8identityIvEEEESM_SP_SQ_mSR_ST_bEUlT_E_NS1_11comp_targetILNS1_3genE9ELNS1_11target_archE1100ELNS1_3gpuE3ELNS1_3repE0EEENS1_30default_config_static_selectorELNS0_4arch9wavefront6targetE1EEEvT1_,"axG",@progbits,_ZN7rocprim17ROCPRIM_400000_NS6detail17trampoline_kernelINS0_14default_configENS1_25transform_config_selectorIlLb0EEEZNS1_14transform_implILb0ES3_S5_NS0_18transform_iteratorINS0_17counting_iteratorImlEEZNS1_24adjacent_difference_implIS3_Lb1ELb0EPlSB_ZN2at6native12_GLOBAL__N_124unique_dim_cuda_templateIdEESt5tupleIJNSC_6TensorESH_SH_EERKSH_lbbbEUlllE1_EE10hipError_tPvRmT2_T3_mT4_P12ihipStream_tbEUlmE_lEESB_NS0_8identityIvEEEESM_SP_SQ_mSR_ST_bEUlT_E_NS1_11comp_targetILNS1_3genE9ELNS1_11target_archE1100ELNS1_3gpuE3ELNS1_3repE0EEENS1_30default_config_static_selectorELNS0_4arch9wavefront6targetE1EEEvT1_,comdat
	.globl	_ZN7rocprim17ROCPRIM_400000_NS6detail17trampoline_kernelINS0_14default_configENS1_25transform_config_selectorIlLb0EEEZNS1_14transform_implILb0ES3_S5_NS0_18transform_iteratorINS0_17counting_iteratorImlEEZNS1_24adjacent_difference_implIS3_Lb1ELb0EPlSB_ZN2at6native12_GLOBAL__N_124unique_dim_cuda_templateIdEESt5tupleIJNSC_6TensorESH_SH_EERKSH_lbbbEUlllE1_EE10hipError_tPvRmT2_T3_mT4_P12ihipStream_tbEUlmE_lEESB_NS0_8identityIvEEEESM_SP_SQ_mSR_ST_bEUlT_E_NS1_11comp_targetILNS1_3genE9ELNS1_11target_archE1100ELNS1_3gpuE3ELNS1_3repE0EEENS1_30default_config_static_selectorELNS0_4arch9wavefront6targetE1EEEvT1_ ; -- Begin function _ZN7rocprim17ROCPRIM_400000_NS6detail17trampoline_kernelINS0_14default_configENS1_25transform_config_selectorIlLb0EEEZNS1_14transform_implILb0ES3_S5_NS0_18transform_iteratorINS0_17counting_iteratorImlEEZNS1_24adjacent_difference_implIS3_Lb1ELb0EPlSB_ZN2at6native12_GLOBAL__N_124unique_dim_cuda_templateIdEESt5tupleIJNSC_6TensorESH_SH_EERKSH_lbbbEUlllE1_EE10hipError_tPvRmT2_T3_mT4_P12ihipStream_tbEUlmE_lEESB_NS0_8identityIvEEEESM_SP_SQ_mSR_ST_bEUlT_E_NS1_11comp_targetILNS1_3genE9ELNS1_11target_archE1100ELNS1_3gpuE3ELNS1_3repE0EEENS1_30default_config_static_selectorELNS0_4arch9wavefront6targetE1EEEvT1_
	.p2align	8
	.type	_ZN7rocprim17ROCPRIM_400000_NS6detail17trampoline_kernelINS0_14default_configENS1_25transform_config_selectorIlLb0EEEZNS1_14transform_implILb0ES3_S5_NS0_18transform_iteratorINS0_17counting_iteratorImlEEZNS1_24adjacent_difference_implIS3_Lb1ELb0EPlSB_ZN2at6native12_GLOBAL__N_124unique_dim_cuda_templateIdEESt5tupleIJNSC_6TensorESH_SH_EERKSH_lbbbEUlllE1_EE10hipError_tPvRmT2_T3_mT4_P12ihipStream_tbEUlmE_lEESB_NS0_8identityIvEEEESM_SP_SQ_mSR_ST_bEUlT_E_NS1_11comp_targetILNS1_3genE9ELNS1_11target_archE1100ELNS1_3gpuE3ELNS1_3repE0EEENS1_30default_config_static_selectorELNS0_4arch9wavefront6targetE1EEEvT1_,@function
_ZN7rocprim17ROCPRIM_400000_NS6detail17trampoline_kernelINS0_14default_configENS1_25transform_config_selectorIlLb0EEEZNS1_14transform_implILb0ES3_S5_NS0_18transform_iteratorINS0_17counting_iteratorImlEEZNS1_24adjacent_difference_implIS3_Lb1ELb0EPlSB_ZN2at6native12_GLOBAL__N_124unique_dim_cuda_templateIdEESt5tupleIJNSC_6TensorESH_SH_EERKSH_lbbbEUlllE1_EE10hipError_tPvRmT2_T3_mT4_P12ihipStream_tbEUlmE_lEESB_NS0_8identityIvEEEESM_SP_SQ_mSR_ST_bEUlT_E_NS1_11comp_targetILNS1_3genE9ELNS1_11target_archE1100ELNS1_3gpuE3ELNS1_3repE0EEENS1_30default_config_static_selectorELNS0_4arch9wavefront6targetE1EEEvT1_: ; @_ZN7rocprim17ROCPRIM_400000_NS6detail17trampoline_kernelINS0_14default_configENS1_25transform_config_selectorIlLb0EEEZNS1_14transform_implILb0ES3_S5_NS0_18transform_iteratorINS0_17counting_iteratorImlEEZNS1_24adjacent_difference_implIS3_Lb1ELb0EPlSB_ZN2at6native12_GLOBAL__N_124unique_dim_cuda_templateIdEESt5tupleIJNSC_6TensorESH_SH_EERKSH_lbbbEUlllE1_EE10hipError_tPvRmT2_T3_mT4_P12ihipStream_tbEUlmE_lEESB_NS0_8identityIvEEEESM_SP_SQ_mSR_ST_bEUlT_E_NS1_11comp_targetILNS1_3genE9ELNS1_11target_archE1100ELNS1_3gpuE3ELNS1_3repE0EEENS1_30default_config_static_selectorELNS0_4arch9wavefront6targetE1EEEvT1_
; %bb.0:
	.section	.rodata,"a",@progbits
	.p2align	6, 0x0
	.amdhsa_kernel _ZN7rocprim17ROCPRIM_400000_NS6detail17trampoline_kernelINS0_14default_configENS1_25transform_config_selectorIlLb0EEEZNS1_14transform_implILb0ES3_S5_NS0_18transform_iteratorINS0_17counting_iteratorImlEEZNS1_24adjacent_difference_implIS3_Lb1ELb0EPlSB_ZN2at6native12_GLOBAL__N_124unique_dim_cuda_templateIdEESt5tupleIJNSC_6TensorESH_SH_EERKSH_lbbbEUlllE1_EE10hipError_tPvRmT2_T3_mT4_P12ihipStream_tbEUlmE_lEESB_NS0_8identityIvEEEESM_SP_SQ_mSR_ST_bEUlT_E_NS1_11comp_targetILNS1_3genE9ELNS1_11target_archE1100ELNS1_3gpuE3ELNS1_3repE0EEENS1_30default_config_static_selectorELNS0_4arch9wavefront6targetE1EEEvT1_
		.amdhsa_group_segment_fixed_size 0
		.amdhsa_private_segment_fixed_size 0
		.amdhsa_kernarg_size 56
		.amdhsa_user_sgpr_count 2
		.amdhsa_user_sgpr_dispatch_ptr 0
		.amdhsa_user_sgpr_queue_ptr 0
		.amdhsa_user_sgpr_kernarg_segment_ptr 1
		.amdhsa_user_sgpr_dispatch_id 0
		.amdhsa_user_sgpr_kernarg_preload_length 0
		.amdhsa_user_sgpr_kernarg_preload_offset 0
		.amdhsa_user_sgpr_private_segment_size 0
		.amdhsa_uses_dynamic_stack 0
		.amdhsa_enable_private_segment 0
		.amdhsa_system_sgpr_workgroup_id_x 1
		.amdhsa_system_sgpr_workgroup_id_y 0
		.amdhsa_system_sgpr_workgroup_id_z 0
		.amdhsa_system_sgpr_workgroup_info 0
		.amdhsa_system_vgpr_workitem_id 0
		.amdhsa_next_free_vgpr 1
		.amdhsa_next_free_sgpr 0
		.amdhsa_accum_offset 4
		.amdhsa_reserve_vcc 0
		.amdhsa_float_round_mode_32 0
		.amdhsa_float_round_mode_16_64 0
		.amdhsa_float_denorm_mode_32 3
		.amdhsa_float_denorm_mode_16_64 3
		.amdhsa_dx10_clamp 1
		.amdhsa_ieee_mode 1
		.amdhsa_fp16_overflow 0
		.amdhsa_tg_split 0
		.amdhsa_exception_fp_ieee_invalid_op 0
		.amdhsa_exception_fp_denorm_src 0
		.amdhsa_exception_fp_ieee_div_zero 0
		.amdhsa_exception_fp_ieee_overflow 0
		.amdhsa_exception_fp_ieee_underflow 0
		.amdhsa_exception_fp_ieee_inexact 0
		.amdhsa_exception_int_div_zero 0
	.end_amdhsa_kernel
	.section	.text._ZN7rocprim17ROCPRIM_400000_NS6detail17trampoline_kernelINS0_14default_configENS1_25transform_config_selectorIlLb0EEEZNS1_14transform_implILb0ES3_S5_NS0_18transform_iteratorINS0_17counting_iteratorImlEEZNS1_24adjacent_difference_implIS3_Lb1ELb0EPlSB_ZN2at6native12_GLOBAL__N_124unique_dim_cuda_templateIdEESt5tupleIJNSC_6TensorESH_SH_EERKSH_lbbbEUlllE1_EE10hipError_tPvRmT2_T3_mT4_P12ihipStream_tbEUlmE_lEESB_NS0_8identityIvEEEESM_SP_SQ_mSR_ST_bEUlT_E_NS1_11comp_targetILNS1_3genE9ELNS1_11target_archE1100ELNS1_3gpuE3ELNS1_3repE0EEENS1_30default_config_static_selectorELNS0_4arch9wavefront6targetE1EEEvT1_,"axG",@progbits,_ZN7rocprim17ROCPRIM_400000_NS6detail17trampoline_kernelINS0_14default_configENS1_25transform_config_selectorIlLb0EEEZNS1_14transform_implILb0ES3_S5_NS0_18transform_iteratorINS0_17counting_iteratorImlEEZNS1_24adjacent_difference_implIS3_Lb1ELb0EPlSB_ZN2at6native12_GLOBAL__N_124unique_dim_cuda_templateIdEESt5tupleIJNSC_6TensorESH_SH_EERKSH_lbbbEUlllE1_EE10hipError_tPvRmT2_T3_mT4_P12ihipStream_tbEUlmE_lEESB_NS0_8identityIvEEEESM_SP_SQ_mSR_ST_bEUlT_E_NS1_11comp_targetILNS1_3genE9ELNS1_11target_archE1100ELNS1_3gpuE3ELNS1_3repE0EEENS1_30default_config_static_selectorELNS0_4arch9wavefront6targetE1EEEvT1_,comdat
.Lfunc_end803:
	.size	_ZN7rocprim17ROCPRIM_400000_NS6detail17trampoline_kernelINS0_14default_configENS1_25transform_config_selectorIlLb0EEEZNS1_14transform_implILb0ES3_S5_NS0_18transform_iteratorINS0_17counting_iteratorImlEEZNS1_24adjacent_difference_implIS3_Lb1ELb0EPlSB_ZN2at6native12_GLOBAL__N_124unique_dim_cuda_templateIdEESt5tupleIJNSC_6TensorESH_SH_EERKSH_lbbbEUlllE1_EE10hipError_tPvRmT2_T3_mT4_P12ihipStream_tbEUlmE_lEESB_NS0_8identityIvEEEESM_SP_SQ_mSR_ST_bEUlT_E_NS1_11comp_targetILNS1_3genE9ELNS1_11target_archE1100ELNS1_3gpuE3ELNS1_3repE0EEENS1_30default_config_static_selectorELNS0_4arch9wavefront6targetE1EEEvT1_, .Lfunc_end803-_ZN7rocprim17ROCPRIM_400000_NS6detail17trampoline_kernelINS0_14default_configENS1_25transform_config_selectorIlLb0EEEZNS1_14transform_implILb0ES3_S5_NS0_18transform_iteratorINS0_17counting_iteratorImlEEZNS1_24adjacent_difference_implIS3_Lb1ELb0EPlSB_ZN2at6native12_GLOBAL__N_124unique_dim_cuda_templateIdEESt5tupleIJNSC_6TensorESH_SH_EERKSH_lbbbEUlllE1_EE10hipError_tPvRmT2_T3_mT4_P12ihipStream_tbEUlmE_lEESB_NS0_8identityIvEEEESM_SP_SQ_mSR_ST_bEUlT_E_NS1_11comp_targetILNS1_3genE9ELNS1_11target_archE1100ELNS1_3gpuE3ELNS1_3repE0EEENS1_30default_config_static_selectorELNS0_4arch9wavefront6targetE1EEEvT1_
                                        ; -- End function
	.section	.AMDGPU.csdata,"",@progbits
; Kernel info:
; codeLenInByte = 0
; NumSgprs: 6
; NumVgprs: 0
; NumAgprs: 0
; TotalNumVgprs: 0
; ScratchSize: 0
; MemoryBound: 0
; FloatMode: 240
; IeeeMode: 1
; LDSByteSize: 0 bytes/workgroup (compile time only)
; SGPRBlocks: 0
; VGPRBlocks: 0
; NumSGPRsForWavesPerEU: 6
; NumVGPRsForWavesPerEU: 1
; AccumOffset: 4
; Occupancy: 8
; WaveLimiterHint : 0
; COMPUTE_PGM_RSRC2:SCRATCH_EN: 0
; COMPUTE_PGM_RSRC2:USER_SGPR: 2
; COMPUTE_PGM_RSRC2:TRAP_HANDLER: 0
; COMPUTE_PGM_RSRC2:TGID_X_EN: 1
; COMPUTE_PGM_RSRC2:TGID_Y_EN: 0
; COMPUTE_PGM_RSRC2:TGID_Z_EN: 0
; COMPUTE_PGM_RSRC2:TIDIG_COMP_CNT: 0
; COMPUTE_PGM_RSRC3_GFX90A:ACCUM_OFFSET: 0
; COMPUTE_PGM_RSRC3_GFX90A:TG_SPLIT: 0
	.section	.text._ZN7rocprim17ROCPRIM_400000_NS6detail17trampoline_kernelINS0_14default_configENS1_25transform_config_selectorIlLb0EEEZNS1_14transform_implILb0ES3_S5_NS0_18transform_iteratorINS0_17counting_iteratorImlEEZNS1_24adjacent_difference_implIS3_Lb1ELb0EPlSB_ZN2at6native12_GLOBAL__N_124unique_dim_cuda_templateIdEESt5tupleIJNSC_6TensorESH_SH_EERKSH_lbbbEUlllE1_EE10hipError_tPvRmT2_T3_mT4_P12ihipStream_tbEUlmE_lEESB_NS0_8identityIvEEEESM_SP_SQ_mSR_ST_bEUlT_E_NS1_11comp_targetILNS1_3genE8ELNS1_11target_archE1030ELNS1_3gpuE2ELNS1_3repE0EEENS1_30default_config_static_selectorELNS0_4arch9wavefront6targetE1EEEvT1_,"axG",@progbits,_ZN7rocprim17ROCPRIM_400000_NS6detail17trampoline_kernelINS0_14default_configENS1_25transform_config_selectorIlLb0EEEZNS1_14transform_implILb0ES3_S5_NS0_18transform_iteratorINS0_17counting_iteratorImlEEZNS1_24adjacent_difference_implIS3_Lb1ELb0EPlSB_ZN2at6native12_GLOBAL__N_124unique_dim_cuda_templateIdEESt5tupleIJNSC_6TensorESH_SH_EERKSH_lbbbEUlllE1_EE10hipError_tPvRmT2_T3_mT4_P12ihipStream_tbEUlmE_lEESB_NS0_8identityIvEEEESM_SP_SQ_mSR_ST_bEUlT_E_NS1_11comp_targetILNS1_3genE8ELNS1_11target_archE1030ELNS1_3gpuE2ELNS1_3repE0EEENS1_30default_config_static_selectorELNS0_4arch9wavefront6targetE1EEEvT1_,comdat
	.globl	_ZN7rocprim17ROCPRIM_400000_NS6detail17trampoline_kernelINS0_14default_configENS1_25transform_config_selectorIlLb0EEEZNS1_14transform_implILb0ES3_S5_NS0_18transform_iteratorINS0_17counting_iteratorImlEEZNS1_24adjacent_difference_implIS3_Lb1ELb0EPlSB_ZN2at6native12_GLOBAL__N_124unique_dim_cuda_templateIdEESt5tupleIJNSC_6TensorESH_SH_EERKSH_lbbbEUlllE1_EE10hipError_tPvRmT2_T3_mT4_P12ihipStream_tbEUlmE_lEESB_NS0_8identityIvEEEESM_SP_SQ_mSR_ST_bEUlT_E_NS1_11comp_targetILNS1_3genE8ELNS1_11target_archE1030ELNS1_3gpuE2ELNS1_3repE0EEENS1_30default_config_static_selectorELNS0_4arch9wavefront6targetE1EEEvT1_ ; -- Begin function _ZN7rocprim17ROCPRIM_400000_NS6detail17trampoline_kernelINS0_14default_configENS1_25transform_config_selectorIlLb0EEEZNS1_14transform_implILb0ES3_S5_NS0_18transform_iteratorINS0_17counting_iteratorImlEEZNS1_24adjacent_difference_implIS3_Lb1ELb0EPlSB_ZN2at6native12_GLOBAL__N_124unique_dim_cuda_templateIdEESt5tupleIJNSC_6TensorESH_SH_EERKSH_lbbbEUlllE1_EE10hipError_tPvRmT2_T3_mT4_P12ihipStream_tbEUlmE_lEESB_NS0_8identityIvEEEESM_SP_SQ_mSR_ST_bEUlT_E_NS1_11comp_targetILNS1_3genE8ELNS1_11target_archE1030ELNS1_3gpuE2ELNS1_3repE0EEENS1_30default_config_static_selectorELNS0_4arch9wavefront6targetE1EEEvT1_
	.p2align	8
	.type	_ZN7rocprim17ROCPRIM_400000_NS6detail17trampoline_kernelINS0_14default_configENS1_25transform_config_selectorIlLb0EEEZNS1_14transform_implILb0ES3_S5_NS0_18transform_iteratorINS0_17counting_iteratorImlEEZNS1_24adjacent_difference_implIS3_Lb1ELb0EPlSB_ZN2at6native12_GLOBAL__N_124unique_dim_cuda_templateIdEESt5tupleIJNSC_6TensorESH_SH_EERKSH_lbbbEUlllE1_EE10hipError_tPvRmT2_T3_mT4_P12ihipStream_tbEUlmE_lEESB_NS0_8identityIvEEEESM_SP_SQ_mSR_ST_bEUlT_E_NS1_11comp_targetILNS1_3genE8ELNS1_11target_archE1030ELNS1_3gpuE2ELNS1_3repE0EEENS1_30default_config_static_selectorELNS0_4arch9wavefront6targetE1EEEvT1_,@function
_ZN7rocprim17ROCPRIM_400000_NS6detail17trampoline_kernelINS0_14default_configENS1_25transform_config_selectorIlLb0EEEZNS1_14transform_implILb0ES3_S5_NS0_18transform_iteratorINS0_17counting_iteratorImlEEZNS1_24adjacent_difference_implIS3_Lb1ELb0EPlSB_ZN2at6native12_GLOBAL__N_124unique_dim_cuda_templateIdEESt5tupleIJNSC_6TensorESH_SH_EERKSH_lbbbEUlllE1_EE10hipError_tPvRmT2_T3_mT4_P12ihipStream_tbEUlmE_lEESB_NS0_8identityIvEEEESM_SP_SQ_mSR_ST_bEUlT_E_NS1_11comp_targetILNS1_3genE8ELNS1_11target_archE1030ELNS1_3gpuE2ELNS1_3repE0EEENS1_30default_config_static_selectorELNS0_4arch9wavefront6targetE1EEEvT1_: ; @_ZN7rocprim17ROCPRIM_400000_NS6detail17trampoline_kernelINS0_14default_configENS1_25transform_config_selectorIlLb0EEEZNS1_14transform_implILb0ES3_S5_NS0_18transform_iteratorINS0_17counting_iteratorImlEEZNS1_24adjacent_difference_implIS3_Lb1ELb0EPlSB_ZN2at6native12_GLOBAL__N_124unique_dim_cuda_templateIdEESt5tupleIJNSC_6TensorESH_SH_EERKSH_lbbbEUlllE1_EE10hipError_tPvRmT2_T3_mT4_P12ihipStream_tbEUlmE_lEESB_NS0_8identityIvEEEESM_SP_SQ_mSR_ST_bEUlT_E_NS1_11comp_targetILNS1_3genE8ELNS1_11target_archE1030ELNS1_3gpuE2ELNS1_3repE0EEENS1_30default_config_static_selectorELNS0_4arch9wavefront6targetE1EEEvT1_
; %bb.0:
	.section	.rodata,"a",@progbits
	.p2align	6, 0x0
	.amdhsa_kernel _ZN7rocprim17ROCPRIM_400000_NS6detail17trampoline_kernelINS0_14default_configENS1_25transform_config_selectorIlLb0EEEZNS1_14transform_implILb0ES3_S5_NS0_18transform_iteratorINS0_17counting_iteratorImlEEZNS1_24adjacent_difference_implIS3_Lb1ELb0EPlSB_ZN2at6native12_GLOBAL__N_124unique_dim_cuda_templateIdEESt5tupleIJNSC_6TensorESH_SH_EERKSH_lbbbEUlllE1_EE10hipError_tPvRmT2_T3_mT4_P12ihipStream_tbEUlmE_lEESB_NS0_8identityIvEEEESM_SP_SQ_mSR_ST_bEUlT_E_NS1_11comp_targetILNS1_3genE8ELNS1_11target_archE1030ELNS1_3gpuE2ELNS1_3repE0EEENS1_30default_config_static_selectorELNS0_4arch9wavefront6targetE1EEEvT1_
		.amdhsa_group_segment_fixed_size 0
		.amdhsa_private_segment_fixed_size 0
		.amdhsa_kernarg_size 56
		.amdhsa_user_sgpr_count 2
		.amdhsa_user_sgpr_dispatch_ptr 0
		.amdhsa_user_sgpr_queue_ptr 0
		.amdhsa_user_sgpr_kernarg_segment_ptr 1
		.amdhsa_user_sgpr_dispatch_id 0
		.amdhsa_user_sgpr_kernarg_preload_length 0
		.amdhsa_user_sgpr_kernarg_preload_offset 0
		.amdhsa_user_sgpr_private_segment_size 0
		.amdhsa_uses_dynamic_stack 0
		.amdhsa_enable_private_segment 0
		.amdhsa_system_sgpr_workgroup_id_x 1
		.amdhsa_system_sgpr_workgroup_id_y 0
		.amdhsa_system_sgpr_workgroup_id_z 0
		.amdhsa_system_sgpr_workgroup_info 0
		.amdhsa_system_vgpr_workitem_id 0
		.amdhsa_next_free_vgpr 1
		.amdhsa_next_free_sgpr 0
		.amdhsa_accum_offset 4
		.amdhsa_reserve_vcc 0
		.amdhsa_float_round_mode_32 0
		.amdhsa_float_round_mode_16_64 0
		.amdhsa_float_denorm_mode_32 3
		.amdhsa_float_denorm_mode_16_64 3
		.amdhsa_dx10_clamp 1
		.amdhsa_ieee_mode 1
		.amdhsa_fp16_overflow 0
		.amdhsa_tg_split 0
		.amdhsa_exception_fp_ieee_invalid_op 0
		.amdhsa_exception_fp_denorm_src 0
		.amdhsa_exception_fp_ieee_div_zero 0
		.amdhsa_exception_fp_ieee_overflow 0
		.amdhsa_exception_fp_ieee_underflow 0
		.amdhsa_exception_fp_ieee_inexact 0
		.amdhsa_exception_int_div_zero 0
	.end_amdhsa_kernel
	.section	.text._ZN7rocprim17ROCPRIM_400000_NS6detail17trampoline_kernelINS0_14default_configENS1_25transform_config_selectorIlLb0EEEZNS1_14transform_implILb0ES3_S5_NS0_18transform_iteratorINS0_17counting_iteratorImlEEZNS1_24adjacent_difference_implIS3_Lb1ELb0EPlSB_ZN2at6native12_GLOBAL__N_124unique_dim_cuda_templateIdEESt5tupleIJNSC_6TensorESH_SH_EERKSH_lbbbEUlllE1_EE10hipError_tPvRmT2_T3_mT4_P12ihipStream_tbEUlmE_lEESB_NS0_8identityIvEEEESM_SP_SQ_mSR_ST_bEUlT_E_NS1_11comp_targetILNS1_3genE8ELNS1_11target_archE1030ELNS1_3gpuE2ELNS1_3repE0EEENS1_30default_config_static_selectorELNS0_4arch9wavefront6targetE1EEEvT1_,"axG",@progbits,_ZN7rocprim17ROCPRIM_400000_NS6detail17trampoline_kernelINS0_14default_configENS1_25transform_config_selectorIlLb0EEEZNS1_14transform_implILb0ES3_S5_NS0_18transform_iteratorINS0_17counting_iteratorImlEEZNS1_24adjacent_difference_implIS3_Lb1ELb0EPlSB_ZN2at6native12_GLOBAL__N_124unique_dim_cuda_templateIdEESt5tupleIJNSC_6TensorESH_SH_EERKSH_lbbbEUlllE1_EE10hipError_tPvRmT2_T3_mT4_P12ihipStream_tbEUlmE_lEESB_NS0_8identityIvEEEESM_SP_SQ_mSR_ST_bEUlT_E_NS1_11comp_targetILNS1_3genE8ELNS1_11target_archE1030ELNS1_3gpuE2ELNS1_3repE0EEENS1_30default_config_static_selectorELNS0_4arch9wavefront6targetE1EEEvT1_,comdat
.Lfunc_end804:
	.size	_ZN7rocprim17ROCPRIM_400000_NS6detail17trampoline_kernelINS0_14default_configENS1_25transform_config_selectorIlLb0EEEZNS1_14transform_implILb0ES3_S5_NS0_18transform_iteratorINS0_17counting_iteratorImlEEZNS1_24adjacent_difference_implIS3_Lb1ELb0EPlSB_ZN2at6native12_GLOBAL__N_124unique_dim_cuda_templateIdEESt5tupleIJNSC_6TensorESH_SH_EERKSH_lbbbEUlllE1_EE10hipError_tPvRmT2_T3_mT4_P12ihipStream_tbEUlmE_lEESB_NS0_8identityIvEEEESM_SP_SQ_mSR_ST_bEUlT_E_NS1_11comp_targetILNS1_3genE8ELNS1_11target_archE1030ELNS1_3gpuE2ELNS1_3repE0EEENS1_30default_config_static_selectorELNS0_4arch9wavefront6targetE1EEEvT1_, .Lfunc_end804-_ZN7rocprim17ROCPRIM_400000_NS6detail17trampoline_kernelINS0_14default_configENS1_25transform_config_selectorIlLb0EEEZNS1_14transform_implILb0ES3_S5_NS0_18transform_iteratorINS0_17counting_iteratorImlEEZNS1_24adjacent_difference_implIS3_Lb1ELb0EPlSB_ZN2at6native12_GLOBAL__N_124unique_dim_cuda_templateIdEESt5tupleIJNSC_6TensorESH_SH_EERKSH_lbbbEUlllE1_EE10hipError_tPvRmT2_T3_mT4_P12ihipStream_tbEUlmE_lEESB_NS0_8identityIvEEEESM_SP_SQ_mSR_ST_bEUlT_E_NS1_11comp_targetILNS1_3genE8ELNS1_11target_archE1030ELNS1_3gpuE2ELNS1_3repE0EEENS1_30default_config_static_selectorELNS0_4arch9wavefront6targetE1EEEvT1_
                                        ; -- End function
	.section	.AMDGPU.csdata,"",@progbits
; Kernel info:
; codeLenInByte = 0
; NumSgprs: 6
; NumVgprs: 0
; NumAgprs: 0
; TotalNumVgprs: 0
; ScratchSize: 0
; MemoryBound: 0
; FloatMode: 240
; IeeeMode: 1
; LDSByteSize: 0 bytes/workgroup (compile time only)
; SGPRBlocks: 0
; VGPRBlocks: 0
; NumSGPRsForWavesPerEU: 6
; NumVGPRsForWavesPerEU: 1
; AccumOffset: 4
; Occupancy: 8
; WaveLimiterHint : 0
; COMPUTE_PGM_RSRC2:SCRATCH_EN: 0
; COMPUTE_PGM_RSRC2:USER_SGPR: 2
; COMPUTE_PGM_RSRC2:TRAP_HANDLER: 0
; COMPUTE_PGM_RSRC2:TGID_X_EN: 1
; COMPUTE_PGM_RSRC2:TGID_Y_EN: 0
; COMPUTE_PGM_RSRC2:TGID_Z_EN: 0
; COMPUTE_PGM_RSRC2:TIDIG_COMP_CNT: 0
; COMPUTE_PGM_RSRC3_GFX90A:ACCUM_OFFSET: 0
; COMPUTE_PGM_RSRC3_GFX90A:TG_SPLIT: 0
	.section	.text._ZN7rocprim17ROCPRIM_400000_NS6detail17trampoline_kernelINS0_14default_configENS1_35adjacent_difference_config_selectorILb1ElEEZNS1_24adjacent_difference_implIS3_Lb1ELb0EPlS7_ZN2at6native12_GLOBAL__N_124unique_dim_cuda_templateIdEESt5tupleIJNS8_6TensorESD_SD_EERKSD_lbbbEUlllE1_EE10hipError_tPvRmT2_T3_mT4_P12ihipStream_tbEUlT_E_NS1_11comp_targetILNS1_3genE0ELNS1_11target_archE4294967295ELNS1_3gpuE0ELNS1_3repE0EEENS1_30default_config_static_selectorELNS0_4arch9wavefront6targetE1EEEvT1_,"axG",@progbits,_ZN7rocprim17ROCPRIM_400000_NS6detail17trampoline_kernelINS0_14default_configENS1_35adjacent_difference_config_selectorILb1ElEEZNS1_24adjacent_difference_implIS3_Lb1ELb0EPlS7_ZN2at6native12_GLOBAL__N_124unique_dim_cuda_templateIdEESt5tupleIJNS8_6TensorESD_SD_EERKSD_lbbbEUlllE1_EE10hipError_tPvRmT2_T3_mT4_P12ihipStream_tbEUlT_E_NS1_11comp_targetILNS1_3genE0ELNS1_11target_archE4294967295ELNS1_3gpuE0ELNS1_3repE0EEENS1_30default_config_static_selectorELNS0_4arch9wavefront6targetE1EEEvT1_,comdat
	.globl	_ZN7rocprim17ROCPRIM_400000_NS6detail17trampoline_kernelINS0_14default_configENS1_35adjacent_difference_config_selectorILb1ElEEZNS1_24adjacent_difference_implIS3_Lb1ELb0EPlS7_ZN2at6native12_GLOBAL__N_124unique_dim_cuda_templateIdEESt5tupleIJNS8_6TensorESD_SD_EERKSD_lbbbEUlllE1_EE10hipError_tPvRmT2_T3_mT4_P12ihipStream_tbEUlT_E_NS1_11comp_targetILNS1_3genE0ELNS1_11target_archE4294967295ELNS1_3gpuE0ELNS1_3repE0EEENS1_30default_config_static_selectorELNS0_4arch9wavefront6targetE1EEEvT1_ ; -- Begin function _ZN7rocprim17ROCPRIM_400000_NS6detail17trampoline_kernelINS0_14default_configENS1_35adjacent_difference_config_selectorILb1ElEEZNS1_24adjacent_difference_implIS3_Lb1ELb0EPlS7_ZN2at6native12_GLOBAL__N_124unique_dim_cuda_templateIdEESt5tupleIJNS8_6TensorESD_SD_EERKSD_lbbbEUlllE1_EE10hipError_tPvRmT2_T3_mT4_P12ihipStream_tbEUlT_E_NS1_11comp_targetILNS1_3genE0ELNS1_11target_archE4294967295ELNS1_3gpuE0ELNS1_3repE0EEENS1_30default_config_static_selectorELNS0_4arch9wavefront6targetE1EEEvT1_
	.p2align	8
	.type	_ZN7rocprim17ROCPRIM_400000_NS6detail17trampoline_kernelINS0_14default_configENS1_35adjacent_difference_config_selectorILb1ElEEZNS1_24adjacent_difference_implIS3_Lb1ELb0EPlS7_ZN2at6native12_GLOBAL__N_124unique_dim_cuda_templateIdEESt5tupleIJNS8_6TensorESD_SD_EERKSD_lbbbEUlllE1_EE10hipError_tPvRmT2_T3_mT4_P12ihipStream_tbEUlT_E_NS1_11comp_targetILNS1_3genE0ELNS1_11target_archE4294967295ELNS1_3gpuE0ELNS1_3repE0EEENS1_30default_config_static_selectorELNS0_4arch9wavefront6targetE1EEEvT1_,@function
_ZN7rocprim17ROCPRIM_400000_NS6detail17trampoline_kernelINS0_14default_configENS1_35adjacent_difference_config_selectorILb1ElEEZNS1_24adjacent_difference_implIS3_Lb1ELb0EPlS7_ZN2at6native12_GLOBAL__N_124unique_dim_cuda_templateIdEESt5tupleIJNS8_6TensorESD_SD_EERKSD_lbbbEUlllE1_EE10hipError_tPvRmT2_T3_mT4_P12ihipStream_tbEUlT_E_NS1_11comp_targetILNS1_3genE0ELNS1_11target_archE4294967295ELNS1_3gpuE0ELNS1_3repE0EEENS1_30default_config_static_selectorELNS0_4arch9wavefront6targetE1EEEvT1_: ; @_ZN7rocprim17ROCPRIM_400000_NS6detail17trampoline_kernelINS0_14default_configENS1_35adjacent_difference_config_selectorILb1ElEEZNS1_24adjacent_difference_implIS3_Lb1ELb0EPlS7_ZN2at6native12_GLOBAL__N_124unique_dim_cuda_templateIdEESt5tupleIJNS8_6TensorESD_SD_EERKSD_lbbbEUlllE1_EE10hipError_tPvRmT2_T3_mT4_P12ihipStream_tbEUlT_E_NS1_11comp_targetILNS1_3genE0ELNS1_11target_archE4294967295ELNS1_3gpuE0ELNS1_3repE0EEENS1_30default_config_static_selectorELNS0_4arch9wavefront6targetE1EEEvT1_
; %bb.0:
	.section	.rodata,"a",@progbits
	.p2align	6, 0x0
	.amdhsa_kernel _ZN7rocprim17ROCPRIM_400000_NS6detail17trampoline_kernelINS0_14default_configENS1_35adjacent_difference_config_selectorILb1ElEEZNS1_24adjacent_difference_implIS3_Lb1ELb0EPlS7_ZN2at6native12_GLOBAL__N_124unique_dim_cuda_templateIdEESt5tupleIJNS8_6TensorESD_SD_EERKSD_lbbbEUlllE1_EE10hipError_tPvRmT2_T3_mT4_P12ihipStream_tbEUlT_E_NS1_11comp_targetILNS1_3genE0ELNS1_11target_archE4294967295ELNS1_3gpuE0ELNS1_3repE0EEENS1_30default_config_static_selectorELNS0_4arch9wavefront6targetE1EEEvT1_
		.amdhsa_group_segment_fixed_size 0
		.amdhsa_private_segment_fixed_size 0
		.amdhsa_kernarg_size 64
		.amdhsa_user_sgpr_count 2
		.amdhsa_user_sgpr_dispatch_ptr 0
		.amdhsa_user_sgpr_queue_ptr 0
		.amdhsa_user_sgpr_kernarg_segment_ptr 1
		.amdhsa_user_sgpr_dispatch_id 0
		.amdhsa_user_sgpr_kernarg_preload_length 0
		.amdhsa_user_sgpr_kernarg_preload_offset 0
		.amdhsa_user_sgpr_private_segment_size 0
		.amdhsa_uses_dynamic_stack 0
		.amdhsa_enable_private_segment 0
		.amdhsa_system_sgpr_workgroup_id_x 1
		.amdhsa_system_sgpr_workgroup_id_y 0
		.amdhsa_system_sgpr_workgroup_id_z 0
		.amdhsa_system_sgpr_workgroup_info 0
		.amdhsa_system_vgpr_workitem_id 0
		.amdhsa_next_free_vgpr 1
		.amdhsa_next_free_sgpr 0
		.amdhsa_accum_offset 4
		.amdhsa_reserve_vcc 0
		.amdhsa_float_round_mode_32 0
		.amdhsa_float_round_mode_16_64 0
		.amdhsa_float_denorm_mode_32 3
		.amdhsa_float_denorm_mode_16_64 3
		.amdhsa_dx10_clamp 1
		.amdhsa_ieee_mode 1
		.amdhsa_fp16_overflow 0
		.amdhsa_tg_split 0
		.amdhsa_exception_fp_ieee_invalid_op 0
		.amdhsa_exception_fp_denorm_src 0
		.amdhsa_exception_fp_ieee_div_zero 0
		.amdhsa_exception_fp_ieee_overflow 0
		.amdhsa_exception_fp_ieee_underflow 0
		.amdhsa_exception_fp_ieee_inexact 0
		.amdhsa_exception_int_div_zero 0
	.end_amdhsa_kernel
	.section	.text._ZN7rocprim17ROCPRIM_400000_NS6detail17trampoline_kernelINS0_14default_configENS1_35adjacent_difference_config_selectorILb1ElEEZNS1_24adjacent_difference_implIS3_Lb1ELb0EPlS7_ZN2at6native12_GLOBAL__N_124unique_dim_cuda_templateIdEESt5tupleIJNS8_6TensorESD_SD_EERKSD_lbbbEUlllE1_EE10hipError_tPvRmT2_T3_mT4_P12ihipStream_tbEUlT_E_NS1_11comp_targetILNS1_3genE0ELNS1_11target_archE4294967295ELNS1_3gpuE0ELNS1_3repE0EEENS1_30default_config_static_selectorELNS0_4arch9wavefront6targetE1EEEvT1_,"axG",@progbits,_ZN7rocprim17ROCPRIM_400000_NS6detail17trampoline_kernelINS0_14default_configENS1_35adjacent_difference_config_selectorILb1ElEEZNS1_24adjacent_difference_implIS3_Lb1ELb0EPlS7_ZN2at6native12_GLOBAL__N_124unique_dim_cuda_templateIdEESt5tupleIJNS8_6TensorESD_SD_EERKSD_lbbbEUlllE1_EE10hipError_tPvRmT2_T3_mT4_P12ihipStream_tbEUlT_E_NS1_11comp_targetILNS1_3genE0ELNS1_11target_archE4294967295ELNS1_3gpuE0ELNS1_3repE0EEENS1_30default_config_static_selectorELNS0_4arch9wavefront6targetE1EEEvT1_,comdat
.Lfunc_end805:
	.size	_ZN7rocprim17ROCPRIM_400000_NS6detail17trampoline_kernelINS0_14default_configENS1_35adjacent_difference_config_selectorILb1ElEEZNS1_24adjacent_difference_implIS3_Lb1ELb0EPlS7_ZN2at6native12_GLOBAL__N_124unique_dim_cuda_templateIdEESt5tupleIJNS8_6TensorESD_SD_EERKSD_lbbbEUlllE1_EE10hipError_tPvRmT2_T3_mT4_P12ihipStream_tbEUlT_E_NS1_11comp_targetILNS1_3genE0ELNS1_11target_archE4294967295ELNS1_3gpuE0ELNS1_3repE0EEENS1_30default_config_static_selectorELNS0_4arch9wavefront6targetE1EEEvT1_, .Lfunc_end805-_ZN7rocprim17ROCPRIM_400000_NS6detail17trampoline_kernelINS0_14default_configENS1_35adjacent_difference_config_selectorILb1ElEEZNS1_24adjacent_difference_implIS3_Lb1ELb0EPlS7_ZN2at6native12_GLOBAL__N_124unique_dim_cuda_templateIdEESt5tupleIJNS8_6TensorESD_SD_EERKSD_lbbbEUlllE1_EE10hipError_tPvRmT2_T3_mT4_P12ihipStream_tbEUlT_E_NS1_11comp_targetILNS1_3genE0ELNS1_11target_archE4294967295ELNS1_3gpuE0ELNS1_3repE0EEENS1_30default_config_static_selectorELNS0_4arch9wavefront6targetE1EEEvT1_
                                        ; -- End function
	.section	.AMDGPU.csdata,"",@progbits
; Kernel info:
; codeLenInByte = 0
; NumSgprs: 6
; NumVgprs: 0
; NumAgprs: 0
; TotalNumVgprs: 0
; ScratchSize: 0
; MemoryBound: 0
; FloatMode: 240
; IeeeMode: 1
; LDSByteSize: 0 bytes/workgroup (compile time only)
; SGPRBlocks: 0
; VGPRBlocks: 0
; NumSGPRsForWavesPerEU: 6
; NumVGPRsForWavesPerEU: 1
; AccumOffset: 4
; Occupancy: 8
; WaveLimiterHint : 0
; COMPUTE_PGM_RSRC2:SCRATCH_EN: 0
; COMPUTE_PGM_RSRC2:USER_SGPR: 2
; COMPUTE_PGM_RSRC2:TRAP_HANDLER: 0
; COMPUTE_PGM_RSRC2:TGID_X_EN: 1
; COMPUTE_PGM_RSRC2:TGID_Y_EN: 0
; COMPUTE_PGM_RSRC2:TGID_Z_EN: 0
; COMPUTE_PGM_RSRC2:TIDIG_COMP_CNT: 0
; COMPUTE_PGM_RSRC3_GFX90A:ACCUM_OFFSET: 0
; COMPUTE_PGM_RSRC3_GFX90A:TG_SPLIT: 0
	.section	.text._ZN7rocprim17ROCPRIM_400000_NS6detail17trampoline_kernelINS0_14default_configENS1_35adjacent_difference_config_selectorILb1ElEEZNS1_24adjacent_difference_implIS3_Lb1ELb0EPlS7_ZN2at6native12_GLOBAL__N_124unique_dim_cuda_templateIdEESt5tupleIJNS8_6TensorESD_SD_EERKSD_lbbbEUlllE1_EE10hipError_tPvRmT2_T3_mT4_P12ihipStream_tbEUlT_E_NS1_11comp_targetILNS1_3genE10ELNS1_11target_archE1201ELNS1_3gpuE5ELNS1_3repE0EEENS1_30default_config_static_selectorELNS0_4arch9wavefront6targetE1EEEvT1_,"axG",@progbits,_ZN7rocprim17ROCPRIM_400000_NS6detail17trampoline_kernelINS0_14default_configENS1_35adjacent_difference_config_selectorILb1ElEEZNS1_24adjacent_difference_implIS3_Lb1ELb0EPlS7_ZN2at6native12_GLOBAL__N_124unique_dim_cuda_templateIdEESt5tupleIJNS8_6TensorESD_SD_EERKSD_lbbbEUlllE1_EE10hipError_tPvRmT2_T3_mT4_P12ihipStream_tbEUlT_E_NS1_11comp_targetILNS1_3genE10ELNS1_11target_archE1201ELNS1_3gpuE5ELNS1_3repE0EEENS1_30default_config_static_selectorELNS0_4arch9wavefront6targetE1EEEvT1_,comdat
	.globl	_ZN7rocprim17ROCPRIM_400000_NS6detail17trampoline_kernelINS0_14default_configENS1_35adjacent_difference_config_selectorILb1ElEEZNS1_24adjacent_difference_implIS3_Lb1ELb0EPlS7_ZN2at6native12_GLOBAL__N_124unique_dim_cuda_templateIdEESt5tupleIJNS8_6TensorESD_SD_EERKSD_lbbbEUlllE1_EE10hipError_tPvRmT2_T3_mT4_P12ihipStream_tbEUlT_E_NS1_11comp_targetILNS1_3genE10ELNS1_11target_archE1201ELNS1_3gpuE5ELNS1_3repE0EEENS1_30default_config_static_selectorELNS0_4arch9wavefront6targetE1EEEvT1_ ; -- Begin function _ZN7rocprim17ROCPRIM_400000_NS6detail17trampoline_kernelINS0_14default_configENS1_35adjacent_difference_config_selectorILb1ElEEZNS1_24adjacent_difference_implIS3_Lb1ELb0EPlS7_ZN2at6native12_GLOBAL__N_124unique_dim_cuda_templateIdEESt5tupleIJNS8_6TensorESD_SD_EERKSD_lbbbEUlllE1_EE10hipError_tPvRmT2_T3_mT4_P12ihipStream_tbEUlT_E_NS1_11comp_targetILNS1_3genE10ELNS1_11target_archE1201ELNS1_3gpuE5ELNS1_3repE0EEENS1_30default_config_static_selectorELNS0_4arch9wavefront6targetE1EEEvT1_
	.p2align	8
	.type	_ZN7rocprim17ROCPRIM_400000_NS6detail17trampoline_kernelINS0_14default_configENS1_35adjacent_difference_config_selectorILb1ElEEZNS1_24adjacent_difference_implIS3_Lb1ELb0EPlS7_ZN2at6native12_GLOBAL__N_124unique_dim_cuda_templateIdEESt5tupleIJNS8_6TensorESD_SD_EERKSD_lbbbEUlllE1_EE10hipError_tPvRmT2_T3_mT4_P12ihipStream_tbEUlT_E_NS1_11comp_targetILNS1_3genE10ELNS1_11target_archE1201ELNS1_3gpuE5ELNS1_3repE0EEENS1_30default_config_static_selectorELNS0_4arch9wavefront6targetE1EEEvT1_,@function
_ZN7rocprim17ROCPRIM_400000_NS6detail17trampoline_kernelINS0_14default_configENS1_35adjacent_difference_config_selectorILb1ElEEZNS1_24adjacent_difference_implIS3_Lb1ELb0EPlS7_ZN2at6native12_GLOBAL__N_124unique_dim_cuda_templateIdEESt5tupleIJNS8_6TensorESD_SD_EERKSD_lbbbEUlllE1_EE10hipError_tPvRmT2_T3_mT4_P12ihipStream_tbEUlT_E_NS1_11comp_targetILNS1_3genE10ELNS1_11target_archE1201ELNS1_3gpuE5ELNS1_3repE0EEENS1_30default_config_static_selectorELNS0_4arch9wavefront6targetE1EEEvT1_: ; @_ZN7rocprim17ROCPRIM_400000_NS6detail17trampoline_kernelINS0_14default_configENS1_35adjacent_difference_config_selectorILb1ElEEZNS1_24adjacent_difference_implIS3_Lb1ELb0EPlS7_ZN2at6native12_GLOBAL__N_124unique_dim_cuda_templateIdEESt5tupleIJNS8_6TensorESD_SD_EERKSD_lbbbEUlllE1_EE10hipError_tPvRmT2_T3_mT4_P12ihipStream_tbEUlT_E_NS1_11comp_targetILNS1_3genE10ELNS1_11target_archE1201ELNS1_3gpuE5ELNS1_3repE0EEENS1_30default_config_static_selectorELNS0_4arch9wavefront6targetE1EEEvT1_
; %bb.0:
	.section	.rodata,"a",@progbits
	.p2align	6, 0x0
	.amdhsa_kernel _ZN7rocprim17ROCPRIM_400000_NS6detail17trampoline_kernelINS0_14default_configENS1_35adjacent_difference_config_selectorILb1ElEEZNS1_24adjacent_difference_implIS3_Lb1ELb0EPlS7_ZN2at6native12_GLOBAL__N_124unique_dim_cuda_templateIdEESt5tupleIJNS8_6TensorESD_SD_EERKSD_lbbbEUlllE1_EE10hipError_tPvRmT2_T3_mT4_P12ihipStream_tbEUlT_E_NS1_11comp_targetILNS1_3genE10ELNS1_11target_archE1201ELNS1_3gpuE5ELNS1_3repE0EEENS1_30default_config_static_selectorELNS0_4arch9wavefront6targetE1EEEvT1_
		.amdhsa_group_segment_fixed_size 0
		.amdhsa_private_segment_fixed_size 0
		.amdhsa_kernarg_size 64
		.amdhsa_user_sgpr_count 2
		.amdhsa_user_sgpr_dispatch_ptr 0
		.amdhsa_user_sgpr_queue_ptr 0
		.amdhsa_user_sgpr_kernarg_segment_ptr 1
		.amdhsa_user_sgpr_dispatch_id 0
		.amdhsa_user_sgpr_kernarg_preload_length 0
		.amdhsa_user_sgpr_kernarg_preload_offset 0
		.amdhsa_user_sgpr_private_segment_size 0
		.amdhsa_uses_dynamic_stack 0
		.amdhsa_enable_private_segment 0
		.amdhsa_system_sgpr_workgroup_id_x 1
		.amdhsa_system_sgpr_workgroup_id_y 0
		.amdhsa_system_sgpr_workgroup_id_z 0
		.amdhsa_system_sgpr_workgroup_info 0
		.amdhsa_system_vgpr_workitem_id 0
		.amdhsa_next_free_vgpr 1
		.amdhsa_next_free_sgpr 0
		.amdhsa_accum_offset 4
		.amdhsa_reserve_vcc 0
		.amdhsa_float_round_mode_32 0
		.amdhsa_float_round_mode_16_64 0
		.amdhsa_float_denorm_mode_32 3
		.amdhsa_float_denorm_mode_16_64 3
		.amdhsa_dx10_clamp 1
		.amdhsa_ieee_mode 1
		.amdhsa_fp16_overflow 0
		.amdhsa_tg_split 0
		.amdhsa_exception_fp_ieee_invalid_op 0
		.amdhsa_exception_fp_denorm_src 0
		.amdhsa_exception_fp_ieee_div_zero 0
		.amdhsa_exception_fp_ieee_overflow 0
		.amdhsa_exception_fp_ieee_underflow 0
		.amdhsa_exception_fp_ieee_inexact 0
		.amdhsa_exception_int_div_zero 0
	.end_amdhsa_kernel
	.section	.text._ZN7rocprim17ROCPRIM_400000_NS6detail17trampoline_kernelINS0_14default_configENS1_35adjacent_difference_config_selectorILb1ElEEZNS1_24adjacent_difference_implIS3_Lb1ELb0EPlS7_ZN2at6native12_GLOBAL__N_124unique_dim_cuda_templateIdEESt5tupleIJNS8_6TensorESD_SD_EERKSD_lbbbEUlllE1_EE10hipError_tPvRmT2_T3_mT4_P12ihipStream_tbEUlT_E_NS1_11comp_targetILNS1_3genE10ELNS1_11target_archE1201ELNS1_3gpuE5ELNS1_3repE0EEENS1_30default_config_static_selectorELNS0_4arch9wavefront6targetE1EEEvT1_,"axG",@progbits,_ZN7rocprim17ROCPRIM_400000_NS6detail17trampoline_kernelINS0_14default_configENS1_35adjacent_difference_config_selectorILb1ElEEZNS1_24adjacent_difference_implIS3_Lb1ELb0EPlS7_ZN2at6native12_GLOBAL__N_124unique_dim_cuda_templateIdEESt5tupleIJNS8_6TensorESD_SD_EERKSD_lbbbEUlllE1_EE10hipError_tPvRmT2_T3_mT4_P12ihipStream_tbEUlT_E_NS1_11comp_targetILNS1_3genE10ELNS1_11target_archE1201ELNS1_3gpuE5ELNS1_3repE0EEENS1_30default_config_static_selectorELNS0_4arch9wavefront6targetE1EEEvT1_,comdat
.Lfunc_end806:
	.size	_ZN7rocprim17ROCPRIM_400000_NS6detail17trampoline_kernelINS0_14default_configENS1_35adjacent_difference_config_selectorILb1ElEEZNS1_24adjacent_difference_implIS3_Lb1ELb0EPlS7_ZN2at6native12_GLOBAL__N_124unique_dim_cuda_templateIdEESt5tupleIJNS8_6TensorESD_SD_EERKSD_lbbbEUlllE1_EE10hipError_tPvRmT2_T3_mT4_P12ihipStream_tbEUlT_E_NS1_11comp_targetILNS1_3genE10ELNS1_11target_archE1201ELNS1_3gpuE5ELNS1_3repE0EEENS1_30default_config_static_selectorELNS0_4arch9wavefront6targetE1EEEvT1_, .Lfunc_end806-_ZN7rocprim17ROCPRIM_400000_NS6detail17trampoline_kernelINS0_14default_configENS1_35adjacent_difference_config_selectorILb1ElEEZNS1_24adjacent_difference_implIS3_Lb1ELb0EPlS7_ZN2at6native12_GLOBAL__N_124unique_dim_cuda_templateIdEESt5tupleIJNS8_6TensorESD_SD_EERKSD_lbbbEUlllE1_EE10hipError_tPvRmT2_T3_mT4_P12ihipStream_tbEUlT_E_NS1_11comp_targetILNS1_3genE10ELNS1_11target_archE1201ELNS1_3gpuE5ELNS1_3repE0EEENS1_30default_config_static_selectorELNS0_4arch9wavefront6targetE1EEEvT1_
                                        ; -- End function
	.section	.AMDGPU.csdata,"",@progbits
; Kernel info:
; codeLenInByte = 0
; NumSgprs: 6
; NumVgprs: 0
; NumAgprs: 0
; TotalNumVgprs: 0
; ScratchSize: 0
; MemoryBound: 0
; FloatMode: 240
; IeeeMode: 1
; LDSByteSize: 0 bytes/workgroup (compile time only)
; SGPRBlocks: 0
; VGPRBlocks: 0
; NumSGPRsForWavesPerEU: 6
; NumVGPRsForWavesPerEU: 1
; AccumOffset: 4
; Occupancy: 8
; WaveLimiterHint : 0
; COMPUTE_PGM_RSRC2:SCRATCH_EN: 0
; COMPUTE_PGM_RSRC2:USER_SGPR: 2
; COMPUTE_PGM_RSRC2:TRAP_HANDLER: 0
; COMPUTE_PGM_RSRC2:TGID_X_EN: 1
; COMPUTE_PGM_RSRC2:TGID_Y_EN: 0
; COMPUTE_PGM_RSRC2:TGID_Z_EN: 0
; COMPUTE_PGM_RSRC2:TIDIG_COMP_CNT: 0
; COMPUTE_PGM_RSRC3_GFX90A:ACCUM_OFFSET: 0
; COMPUTE_PGM_RSRC3_GFX90A:TG_SPLIT: 0
	.section	.text._ZN7rocprim17ROCPRIM_400000_NS6detail17trampoline_kernelINS0_14default_configENS1_35adjacent_difference_config_selectorILb1ElEEZNS1_24adjacent_difference_implIS3_Lb1ELb0EPlS7_ZN2at6native12_GLOBAL__N_124unique_dim_cuda_templateIdEESt5tupleIJNS8_6TensorESD_SD_EERKSD_lbbbEUlllE1_EE10hipError_tPvRmT2_T3_mT4_P12ihipStream_tbEUlT_E_NS1_11comp_targetILNS1_3genE5ELNS1_11target_archE942ELNS1_3gpuE9ELNS1_3repE0EEENS1_30default_config_static_selectorELNS0_4arch9wavefront6targetE1EEEvT1_,"axG",@progbits,_ZN7rocprim17ROCPRIM_400000_NS6detail17trampoline_kernelINS0_14default_configENS1_35adjacent_difference_config_selectorILb1ElEEZNS1_24adjacent_difference_implIS3_Lb1ELb0EPlS7_ZN2at6native12_GLOBAL__N_124unique_dim_cuda_templateIdEESt5tupleIJNS8_6TensorESD_SD_EERKSD_lbbbEUlllE1_EE10hipError_tPvRmT2_T3_mT4_P12ihipStream_tbEUlT_E_NS1_11comp_targetILNS1_3genE5ELNS1_11target_archE942ELNS1_3gpuE9ELNS1_3repE0EEENS1_30default_config_static_selectorELNS0_4arch9wavefront6targetE1EEEvT1_,comdat
	.globl	_ZN7rocprim17ROCPRIM_400000_NS6detail17trampoline_kernelINS0_14default_configENS1_35adjacent_difference_config_selectorILb1ElEEZNS1_24adjacent_difference_implIS3_Lb1ELb0EPlS7_ZN2at6native12_GLOBAL__N_124unique_dim_cuda_templateIdEESt5tupleIJNS8_6TensorESD_SD_EERKSD_lbbbEUlllE1_EE10hipError_tPvRmT2_T3_mT4_P12ihipStream_tbEUlT_E_NS1_11comp_targetILNS1_3genE5ELNS1_11target_archE942ELNS1_3gpuE9ELNS1_3repE0EEENS1_30default_config_static_selectorELNS0_4arch9wavefront6targetE1EEEvT1_ ; -- Begin function _ZN7rocprim17ROCPRIM_400000_NS6detail17trampoline_kernelINS0_14default_configENS1_35adjacent_difference_config_selectorILb1ElEEZNS1_24adjacent_difference_implIS3_Lb1ELb0EPlS7_ZN2at6native12_GLOBAL__N_124unique_dim_cuda_templateIdEESt5tupleIJNS8_6TensorESD_SD_EERKSD_lbbbEUlllE1_EE10hipError_tPvRmT2_T3_mT4_P12ihipStream_tbEUlT_E_NS1_11comp_targetILNS1_3genE5ELNS1_11target_archE942ELNS1_3gpuE9ELNS1_3repE0EEENS1_30default_config_static_selectorELNS0_4arch9wavefront6targetE1EEEvT1_
	.p2align	8
	.type	_ZN7rocprim17ROCPRIM_400000_NS6detail17trampoline_kernelINS0_14default_configENS1_35adjacent_difference_config_selectorILb1ElEEZNS1_24adjacent_difference_implIS3_Lb1ELb0EPlS7_ZN2at6native12_GLOBAL__N_124unique_dim_cuda_templateIdEESt5tupleIJNS8_6TensorESD_SD_EERKSD_lbbbEUlllE1_EE10hipError_tPvRmT2_T3_mT4_P12ihipStream_tbEUlT_E_NS1_11comp_targetILNS1_3genE5ELNS1_11target_archE942ELNS1_3gpuE9ELNS1_3repE0EEENS1_30default_config_static_selectorELNS0_4arch9wavefront6targetE1EEEvT1_,@function
_ZN7rocprim17ROCPRIM_400000_NS6detail17trampoline_kernelINS0_14default_configENS1_35adjacent_difference_config_selectorILb1ElEEZNS1_24adjacent_difference_implIS3_Lb1ELb0EPlS7_ZN2at6native12_GLOBAL__N_124unique_dim_cuda_templateIdEESt5tupleIJNS8_6TensorESD_SD_EERKSD_lbbbEUlllE1_EE10hipError_tPvRmT2_T3_mT4_P12ihipStream_tbEUlT_E_NS1_11comp_targetILNS1_3genE5ELNS1_11target_archE942ELNS1_3gpuE9ELNS1_3repE0EEENS1_30default_config_static_selectorELNS0_4arch9wavefront6targetE1EEEvT1_: ; @_ZN7rocprim17ROCPRIM_400000_NS6detail17trampoline_kernelINS0_14default_configENS1_35adjacent_difference_config_selectorILb1ElEEZNS1_24adjacent_difference_implIS3_Lb1ELb0EPlS7_ZN2at6native12_GLOBAL__N_124unique_dim_cuda_templateIdEESt5tupleIJNS8_6TensorESD_SD_EERKSD_lbbbEUlllE1_EE10hipError_tPvRmT2_T3_mT4_P12ihipStream_tbEUlT_E_NS1_11comp_targetILNS1_3genE5ELNS1_11target_archE942ELNS1_3gpuE9ELNS1_3repE0EEENS1_30default_config_static_selectorELNS0_4arch9wavefront6targetE1EEEvT1_
; %bb.0:
	s_load_dwordx16 s[4:19], s[0:1], 0x0
	s_mov_b32 s1, 0x545d15a0
	v_bfrev_b32_e32 v1, 4
	s_movk_i32 s0, 0xb00
	s_mul_i32 s20, s2, 0xb00
	s_waitcnt lgkmcnt(0)
	s_lshl_b64 s[6:7], s[6:7], 3
	s_add_u32 s30, s4, s6
	s_addc_u32 s31, s5, s7
	s_add_u32 s1, 0x74, s1
	s_addc_u32 s4, 0, 0
	v_add_co_u32_e32 v1, vcc, s1, v1
	s_cmp_lg_u64 vcc, 0
	v_readfirstlane_b32 s5, v1
	s_addc_u32 s1, s4, 0x1745d1
	s_mul_hi_u32 s21, s5, 0xfffff500
	s_mul_i32 s4, s1, 0xfffff500
	s_sub_i32 s21, s21, s5
	s_add_i32 s21, s21, s4
	s_mul_i32 s23, s5, 0xfffff500
	s_mul_hi_u32 s4, s5, s21
	s_mul_i32 s22, s5, s21
	s_mul_hi_u32 s5, s5, s23
	s_add_u32 s5, s5, s22
	s_addc_u32 s4, 0, s4
	s_mul_hi_u32 s24, s1, s23
	s_mul_i32 s23, s1, s23
	s_add_u32 s5, s5, s23
	s_mul_hi_u32 s22, s1, s21
	s_addc_u32 s4, s4, s24
	s_addc_u32 s5, s22, 0
	s_mul_i32 s21, s1, s21
	s_add_u32 s4, s4, s21
	s_addc_u32 s5, 0, s5
	v_add_co_u32_e32 v1, vcc, s4, v1
	s_cmp_lg_u64 vcc, 0
	s_addc_u32 s1, s1, s5
	v_readfirstlane_b32 s21, v1
	s_mul_i32 s5, s10, s1
	s_mul_hi_u32 s22, s10, s21
	s_mul_hi_u32 s4, s10, s1
	s_add_u32 s5, s22, s5
	s_addc_u32 s4, 0, s4
	s_mul_hi_u32 s23, s11, s21
	s_mul_i32 s21, s11, s21
	s_add_u32 s5, s5, s21
	s_mul_hi_u32 s22, s11, s1
	s_addc_u32 s4, s4, s23
	s_addc_u32 s5, s22, 0
	s_mul_i32 s1, s11, s1
	s_add_u32 s1, s4, s1
	s_addc_u32 s4, 0, s5
	s_add_u32 s5, s1, 1
	s_addc_u32 s21, s4, 0
	s_add_u32 s22, s1, 2
	s_mul_i32 s24, s4, 0xb00
	s_mul_hi_u32 s25, s1, 0xb00
	s_addc_u32 s23, s4, 0
	s_add_i32 s25, s25, s24
	s_mul_i32 s24, s1, 0xb00
	v_mov_b32_e32 v1, s24
	v_sub_co_u32_e32 v1, vcc, s10, v1
	s_cmp_lg_u64 vcc, 0
	s_subb_u32 s24, s11, s25
	v_subrev_co_u32_e32 v2, vcc, s0, v1
	s_cmp_lg_u64 vcc, 0
	s_subb_u32 s0, s24, 0
	v_readfirstlane_b32 s25, v2
	s_cmpk_gt_u32 s25, 0xaff
	s_cselect_b32 s25, -1, 0
	s_cmp_eq_u32 s0, 0
	s_cselect_b32 s0, s25, -1
	s_cmp_lg_u32 s0, 0
	s_cselect_b32 s0, s22, s5
	s_cselect_b32 s5, s23, s21
	v_readfirstlane_b32 s21, v1
	s_cmpk_gt_u32 s21, 0xaff
	s_cselect_b32 s21, -1, 0
	s_cmp_eq_u32 s24, 0
	s_cselect_b32 s21, s21, -1
	s_cmp_lg_u32 s21, 0
	s_cselect_b32 s5, s5, s4
	s_cselect_b32 s4, s0, s1
	s_mul_i32 s0, s5, 0xb00
	s_mul_hi_u32 s1, s4, 0xb00
	s_add_i32 s1, s1, s0
	s_mul_i32 s0, s4, 0xb00
	s_sub_u32 s0, s10, s0
	s_subb_u32 s1, s11, s1
	s_cmp_lg_u64 s[0:1], 0
	s_cselect_b64 s[0:1], -1, 0
	v_cndmask_b32_e64 v1, 0, 1, s[0:1]
	s_mov_b32 s3, 0
	v_readfirstlane_b32 s0, v1
	s_add_u32 s4, s4, s0
	s_addc_u32 s5, s5, 0
	s_add_u32 s24, s18, s2
	s_addc_u32 s25, s19, 0
	s_add_u32 s26, s4, -1
	s_addc_u32 s27, s5, -1
	v_mov_b64_e32 v[2:3], s[26:27]
	v_cmp_ge_u64_e64 s[0:1], s[24:25], v[2:3]
	s_mov_b64 s[22:23], -1
	s_and_b64 vcc, exec, s[0:1]
	s_mul_i32 s11, s26, 0xfffff500
	s_cbranch_vccz .LBB807_24
; %bb.1:
	s_mov_b32 s21, s3
	s_add_i32 s33, s11, s10
	s_lshl_b64 s[22:23], s[20:21], 3
	s_add_u32 s22, s30, s22
	s_addc_u32 s23, s31, s23
	v_cmp_gt_u32_e32 vcc, s33, v0
                                        ; implicit-def: $vgpr2_vgpr3_vgpr4_vgpr5_vgpr6_vgpr7_vgpr8_vgpr9_vgpr10_vgpr11_vgpr12_vgpr13_vgpr14_vgpr15_vgpr16_vgpr17_vgpr18_vgpr19_vgpr20_vgpr21_vgpr22_vgpr23_vgpr24_vgpr25_vgpr26_vgpr27_vgpr28_vgpr29_vgpr30_vgpr31_vgpr32_vgpr33
	s_and_saveexec_b64 s[28:29], vcc
	s_cbranch_execz .LBB807_3
; %bb.2:
	v_lshlrev_b32_e32 v1, 3, v0
	global_load_dwordx2 v[2:3], v1, s[22:23]
.LBB807_3:
	s_or_b64 exec, exec, s[28:29]
	v_or_b32_e32 v1, 0x100, v0
	v_cmp_gt_u32_e32 vcc, s33, v1
	s_and_saveexec_b64 s[28:29], vcc
	s_cbranch_execz .LBB807_5
; %bb.4:
	v_lshlrev_b32_e32 v1, 3, v0
	global_load_dwordx2 v[4:5], v1, s[22:23] offset:2048
.LBB807_5:
	s_or_b64 exec, exec, s[28:29]
	v_or_b32_e32 v1, 0x200, v0
	v_cmp_gt_u32_e32 vcc, s33, v1
	s_and_saveexec_b64 s[28:29], vcc
	s_cbranch_execz .LBB807_7
; %bb.6:
	v_lshlrev_b32_e32 v1, 3, v1
	global_load_dwordx2 v[6:7], v1, s[22:23]
.LBB807_7:
	s_or_b64 exec, exec, s[28:29]
	v_or_b32_e32 v1, 0x300, v0
	v_cmp_gt_u32_e32 vcc, s33, v1
	s_and_saveexec_b64 s[28:29], vcc
	s_cbranch_execz .LBB807_9
; %bb.8:
	v_lshlrev_b32_e32 v1, 3, v1
	global_load_dwordx2 v[8:9], v1, s[22:23]
.LBB807_9:
	;; [unrolled: 9-line block ×9, first 2 shown]
	s_or_b64 exec, exec, s[28:29]
	v_lshlrev_b32_e32 v1, 3, v0
	s_mov_b64 s[22:23], 0
	s_waitcnt vmcnt(0)
	ds_write2st64_b64 v1, v[2:3], v[4:5] offset1:4
	ds_write2st64_b64 v1, v[6:7], v[8:9] offset0:8 offset1:12
	ds_write2st64_b64 v1, v[10:11], v[12:13] offset0:16 offset1:20
	;; [unrolled: 1-line block ×4, first 2 shown]
	ds_write_b64 v1, v[22:23] offset:20480
	s_waitcnt lgkmcnt(0)
	s_barrier
.LBB807_24:
	s_and_b64 vcc, exec, s[22:23]
	v_lshlrev_b32_e32 v40, 3, v0
	s_cbranch_vccz .LBB807_26
; %bb.25:
	s_mov_b32 s21, 0
	s_lshl_b64 s[22:23], s[20:21], 3
	s_add_u32 s22, s30, s22
	s_addc_u32 s23, s31, s23
	v_mov_b32_e32 v41, 0
	v_lshl_add_u64 v[2:3], s[22:23], 0, v[40:41]
	v_add_co_u32_e32 v8, vcc, 0x1000, v2
	global_load_dwordx2 v[4:5], v40, s[22:23]
	global_load_dwordx2 v[6:7], v40, s[22:23] offset:2048
	v_addc_co_u32_e32 v9, vcc, 0, v3, vcc
	v_add_co_u32_e32 v10, vcc, 0x2000, v2
	s_nop 1
	v_addc_co_u32_e32 v11, vcc, 0, v3, vcc
	global_load_dwordx2 v[12:13], v[8:9], off
	global_load_dwordx2 v[14:15], v[8:9], off offset:2048
	global_load_dwordx2 v[16:17], v[10:11], off
	global_load_dwordx2 v[18:19], v[10:11], off offset:2048
	v_add_co_u32_e32 v8, vcc, 0x3000, v2
	s_nop 1
	v_addc_co_u32_e32 v9, vcc, 0, v3, vcc
	v_add_co_u32_e32 v10, vcc, 0x4000, v2
	s_nop 1
	v_addc_co_u32_e32 v11, vcc, 0, v3, vcc
	global_load_dwordx2 v[20:21], v[8:9], off
	global_load_dwordx2 v[22:23], v[8:9], off offset:2048
	global_load_dwordx2 v[24:25], v[10:11], off
	global_load_dwordx2 v[26:27], v[10:11], off offset:2048
	v_add_co_u32_e32 v2, vcc, 0x5000, v2
	s_nop 1
	v_addc_co_u32_e32 v3, vcc, 0, v3, vcc
	global_load_dwordx2 v[2:3], v[2:3], off
	s_waitcnt vmcnt(9)
	ds_write2st64_b64 v40, v[4:5], v[6:7] offset1:4
	s_waitcnt vmcnt(7)
	ds_write2st64_b64 v40, v[12:13], v[14:15] offset0:8 offset1:12
	s_waitcnt vmcnt(5)
	ds_write2st64_b64 v40, v[16:17], v[18:19] offset0:16 offset1:20
	;; [unrolled: 2-line block ×4, first 2 shown]
	s_waitcnt vmcnt(0)
	ds_write_b64 v40, v[2:3] offset:20480
	s_waitcnt lgkmcnt(0)
	s_barrier
.LBB807_26:
	v_mul_u32_u24_e32 v1, 11, v0
	v_lshlrev_b32_e32 v1, 3, v1
	ds_read2_b64 v[2:5], v1 offset1:1
	ds_read2_b64 v[6:9], v1 offset0:2 offset1:3
	ds_read2_b64 v[10:13], v1 offset0:4 offset1:5
	;; [unrolled: 1-line block ×4, first 2 shown]
	ds_read_b64 v[36:37], v1 offset:80
	s_cmp_eq_u64 s[24:25], 0
	s_mov_b64 s[22:23], 0
	s_waitcnt lgkmcnt(0)
	s_barrier
	s_cbranch_scc1 .LBB807_35
; %bb.27:
	s_lshl_b64 s[18:19], s[18:19], 3
	s_add_u32 s16, s16, s18
	s_addc_u32 s17, s17, s19
	s_lshl_b64 s[2:3], s[2:3], 3
	s_add_u32 s2, s16, s2
	s_addc_u32 s3, s17, s3
	s_add_u32 s2, s2, -8
	s_addc_u32 s3, s3, -1
	s_load_dwordx2 s[16:17], s[2:3], 0x0
	s_cmp_lg_u64 s[24:25], s[26:27]
	s_cbranch_scc0 .LBB807_36
; %bb.28:
	v_mul_lo_u32 v1, v21, s12
	v_mul_lo_u32 v24, v20, s13
	v_mad_u64_u32 v[22:23], s[22:23], v20, s12, 0
	v_mov_b64_e32 v[38:39], 0
	v_cmp_lt_i64_e64 s[2:3], s[12:13], 1
	v_add3_u32 v23, v23, v24, v1
	v_cmp_gt_i64_e64 s[18:19], s[12:13], 0
	s_and_b64 vcc, exec, s[2:3]
	v_lshl_add_u64 v[22:23], v[22:23], 3, s[14:15]
	v_mov_b64_e32 v[42:43], v[38:39]
	ds_write_b64 v40, v[36:37]
	s_cbranch_vccnz .LBB807_40
; %bb.29:
	v_mul_lo_u32 v1, v37, s12
	v_mul_lo_u32 v26, v36, s13
	v_mad_u64_u32 v[24:25], s[2:3], v36, s12, 0
	v_add3_u32 v25, v25, v26, v1
	v_lshl_add_u64 v[26:27], v[24:25], 3, s[14:15]
	global_load_dwordx2 v[24:25], v[26:27], off
	global_load_dwordx2 v[28:29], v[22:23], off
	v_mov_b64_e32 v[42:43], 1
	s_waitcnt vmcnt(0)
	v_cmp_eq_f64_e32 vcc, v[24:25], v[28:29]
	s_and_saveexec_b64 s[2:3], vcc
	s_cbranch_execz .LBB807_39
; %bb.30:
	s_add_u32 s22, s12, -1
	v_lshl_add_u64 v[24:25], v[22:23], 0, 8
	v_lshl_add_u64 v[26:27], v[26:27], 0, 8
	s_addc_u32 s23, s13, -1
	s_mov_b64 s[26:27], 0
	s_mov_b64 s[30:31], 0
                                        ; implicit-def: $sgpr28_sgpr29
	s_branch .LBB807_33
.LBB807_31:                             ;   in Loop: Header=BB807_33 Depth=1
	global_load_dwordx2 v[28:29], v[26:27], off
	global_load_dwordx2 v[30:31], v[24:25], off
	s_add_u32 s30, s30, 1
	s_addc_u32 s31, s31, 0
	s_andn2_b64 s[28:29], s[28:29], exec
	v_lshl_add_u64 v[24:25], v[24:25], 0, 8
	v_lshl_add_u64 v[26:27], v[26:27], 0, 8
	s_waitcnt vmcnt(0)
	v_cmp_neq_f64_e32 vcc, v[28:29], v[30:31]
	s_and_b64 s[34:35], vcc, exec
	s_or_b64 s[28:29], s[28:29], s[34:35]
.LBB807_32:                             ;   in Loop: Header=BB807_33 Depth=1
	s_and_b64 s[34:35], exec, s[28:29]
	s_or_b64 s[26:27], s[34:35], s[26:27]
	v_mov_b64_e32 v[28:29], s[30:31]
	s_andn2_b64 exec, exec, s[26:27]
	s_cbranch_execz .LBB807_38
.LBB807_33:                             ; =>This Inner Loop Header: Depth=1
	s_or_b64 s[28:29], s[28:29], exec
	s_cmp_eq_u64 s[22:23], s[30:31]
	s_cbranch_scc0 .LBB807_31
; %bb.34:                               ;   in Loop: Header=BB807_33 Depth=1
                                        ; implicit-def: $vgpr24_vgpr25
                                        ; implicit-def: $vgpr26_vgpr27
	s_mov_b64 s[30:31], s[12:13]
	s_branch .LBB807_32
.LBB807_35:
                                        ; implicit-def: $vgpr22_vgpr23_vgpr24_vgpr25
                                        ; implicit-def: $sgpr18_sgpr19
                                        ; implicit-def: $vgpr42_vgpr43
                                        ; implicit-def: $vgpr44_vgpr45
                                        ; implicit-def: $vgpr38_vgpr39
                                        ; implicit-def: $vgpr58_vgpr59
                                        ; implicit-def: $vgpr56_vgpr57
                                        ; implicit-def: $vgpr54_vgpr55
                                        ; implicit-def: $vgpr52_vgpr53
                                        ; implicit-def: $vgpr50_vgpr51
                                        ; implicit-def: $vgpr48_vgpr49
                                        ; implicit-def: $vgpr46_vgpr47
                                        ; implicit-def: $vgpr60_vgpr61
                                        ; implicit-def: $vgpr68_vgpr69
                                        ; implicit-def: $vgpr62_vgpr63
                                        ; implicit-def: $vgpr64_vgpr65
                                        ; implicit-def: $vgpr66_vgpr67
                                        ; implicit-def: $vgpr24_vgpr25_vgpr26_vgpr27
                                        ; implicit-def: $vgpr28_vgpr29_vgpr30_vgpr31
                                        ; implicit-def: $vgpr32_vgpr33_vgpr34_vgpr35
	s_cbranch_execnz .LBB807_259
	s_branch .LBB807_488
.LBB807_36:
                                        ; implicit-def: $sgpr18_sgpr19
                                        ; implicit-def: $vgpr42_vgpr43
                                        ; implicit-def: $vgpr44_vgpr45
                                        ; implicit-def: $vgpr38_vgpr39
                                        ; implicit-def: $vgpr58_vgpr59
                                        ; implicit-def: $vgpr56_vgpr57
                                        ; implicit-def: $vgpr54_vgpr55
                                        ; implicit-def: $vgpr52_vgpr53
                                        ; implicit-def: $vgpr50_vgpr51
                                        ; implicit-def: $vgpr48_vgpr49
                                        ; implicit-def: $vgpr46_vgpr47
	s_cbranch_execnz .LBB807_134
.LBB807_37:
                                        ; implicit-def: $vgpr22_vgpr23_vgpr24_vgpr25
                                        ; implicit-def: $vgpr60_vgpr61
                                        ; implicit-def: $vgpr68_vgpr69
                                        ; implicit-def: $vgpr62_vgpr63
                                        ; implicit-def: $vgpr64_vgpr65
                                        ; implicit-def: $vgpr66_vgpr67
                                        ; implicit-def: $vgpr28_vgpr29_vgpr30_vgpr31
                                        ; implicit-def: $vgpr32_vgpr33_vgpr34_vgpr35
                                        ; implicit-def: $vgpr24_vgpr25_vgpr26_vgpr27
	s_branch .LBB807_488
.LBB807_38:
	s_or_b64 exec, exec, s[26:27]
	v_cmp_gt_i64_e32 vcc, s[12:13], v[28:29]
	s_mov_b32 s21, 0
	v_mov_b32_e32 v43, s21
	v_cndmask_b32_e64 v42, 0, 1, vcc
.LBB807_39:
	s_or_b64 exec, exec, s[2:3]
.LBB807_40:
	v_mul_lo_u32 v1, v19, s12
	v_mul_lo_u32 v26, v18, s13
	v_mad_u64_u32 v[24:25], s[2:3], v18, s12, 0
	v_add3_u32 v25, v25, v26, v1
	v_cndmask_b32_e64 v1, 0, 1, s[18:19]
	v_cmp_ne_u32_e64 s[2:3], 1, v1
	s_andn2_b64 vcc, exec, s[18:19]
	v_lshl_add_u64 v[24:25], v[24:25], 3, s[14:15]
	v_mov_b64_e32 v[44:45], v[38:39]
	s_cbranch_vccnz .LBB807_49
; %bb.41:
	global_load_dwordx2 v[26:27], v[22:23], off
	global_load_dwordx2 v[28:29], v[24:25], off
	v_mov_b64_e32 v[44:45], 1
	s_waitcnt vmcnt(0)
	v_cmp_eq_f64_e32 vcc, v[26:27], v[28:29]
	s_and_saveexec_b64 s[18:19], vcc
	s_cbranch_execz .LBB807_48
; %bb.42:
	s_add_u32 s22, s12, -1
	v_lshl_add_u64 v[26:27], v[24:25], 0, 8
	v_lshl_add_u64 v[22:23], v[22:23], 0, 8
	s_addc_u32 s23, s13, -1
	s_mov_b64 s[26:27], 0
	s_mov_b64 s[30:31], 0
                                        ; implicit-def: $sgpr28_sgpr29
	s_branch .LBB807_45
.LBB807_43:                             ;   in Loop: Header=BB807_45 Depth=1
	global_load_dwordx2 v[28:29], v[22:23], off
	global_load_dwordx2 v[30:31], v[26:27], off
	s_add_u32 s30, s30, 1
	s_addc_u32 s31, s31, 0
	s_andn2_b64 s[28:29], s[28:29], exec
	v_lshl_add_u64 v[26:27], v[26:27], 0, 8
	v_lshl_add_u64 v[22:23], v[22:23], 0, 8
	s_waitcnt vmcnt(0)
	v_cmp_neq_f64_e32 vcc, v[28:29], v[30:31]
	s_and_b64 s[34:35], vcc, exec
	s_or_b64 s[28:29], s[28:29], s[34:35]
.LBB807_44:                             ;   in Loop: Header=BB807_45 Depth=1
	s_and_b64 s[34:35], exec, s[28:29]
	s_or_b64 s[26:27], s[34:35], s[26:27]
	v_mov_b64_e32 v[28:29], s[30:31]
	s_andn2_b64 exec, exec, s[26:27]
	s_cbranch_execz .LBB807_47
.LBB807_45:                             ; =>This Inner Loop Header: Depth=1
	s_or_b64 s[28:29], s[28:29], exec
	s_cmp_eq_u64 s[22:23], s[30:31]
	s_cbranch_scc0 .LBB807_43
; %bb.46:                               ;   in Loop: Header=BB807_45 Depth=1
                                        ; implicit-def: $vgpr26_vgpr27
                                        ; implicit-def: $vgpr22_vgpr23
	s_mov_b64 s[30:31], s[12:13]
	s_branch .LBB807_44
.LBB807_47:
	s_or_b64 exec, exec, s[26:27]
	v_cmp_gt_i64_e32 vcc, s[12:13], v[28:29]
	s_mov_b32 s21, 0
	v_mov_b32_e32 v45, s21
	v_cndmask_b32_e64 v44, 0, 1, vcc
.LBB807_48:
	s_or_b64 exec, exec, s[18:19]
.LBB807_49:
	v_mul_lo_u32 v1, v17, s12
	v_mul_lo_u32 v26, v16, s13
	v_mad_u64_u32 v[22:23], s[18:19], v16, s12, 0
	v_add3_u32 v23, v23, v26, v1
	s_and_b64 vcc, exec, s[2:3]
	v_lshl_add_u64 v[22:23], v[22:23], 3, s[14:15]
	s_cbranch_vccnz .LBB807_58
; %bb.50:
	global_load_dwordx2 v[26:27], v[24:25], off
	global_load_dwordx2 v[28:29], v[22:23], off
	v_mov_b64_e32 v[38:39], 1
	s_waitcnt vmcnt(0)
	v_cmp_eq_f64_e32 vcc, v[26:27], v[28:29]
	s_and_saveexec_b64 s[18:19], vcc
	s_cbranch_execz .LBB807_57
; %bb.51:
	s_add_u32 s22, s12, -1
	v_lshl_add_u64 v[26:27], v[22:23], 0, 8
	v_lshl_add_u64 v[24:25], v[24:25], 0, 8
	s_addc_u32 s23, s13, -1
	s_mov_b64 s[26:27], 0
	s_mov_b64 s[30:31], 0
                                        ; implicit-def: $sgpr28_sgpr29
	s_branch .LBB807_54
.LBB807_52:                             ;   in Loop: Header=BB807_54 Depth=1
	global_load_dwordx2 v[28:29], v[24:25], off
	global_load_dwordx2 v[30:31], v[26:27], off
	s_add_u32 s30, s30, 1
	s_addc_u32 s31, s31, 0
	s_andn2_b64 s[28:29], s[28:29], exec
	v_lshl_add_u64 v[26:27], v[26:27], 0, 8
	v_lshl_add_u64 v[24:25], v[24:25], 0, 8
	s_waitcnt vmcnt(0)
	v_cmp_neq_f64_e32 vcc, v[28:29], v[30:31]
	s_and_b64 s[34:35], vcc, exec
	s_or_b64 s[28:29], s[28:29], s[34:35]
.LBB807_53:                             ;   in Loop: Header=BB807_54 Depth=1
	s_and_b64 s[34:35], exec, s[28:29]
	s_or_b64 s[26:27], s[34:35], s[26:27]
	v_mov_b64_e32 v[28:29], s[30:31]
	s_andn2_b64 exec, exec, s[26:27]
	s_cbranch_execz .LBB807_56
.LBB807_54:                             ; =>This Inner Loop Header: Depth=1
	s_or_b64 s[28:29], s[28:29], exec
	s_cmp_eq_u64 s[22:23], s[30:31]
	s_cbranch_scc0 .LBB807_52
; %bb.55:                               ;   in Loop: Header=BB807_54 Depth=1
                                        ; implicit-def: $vgpr26_vgpr27
                                        ; implicit-def: $vgpr24_vgpr25
	s_mov_b64 s[30:31], s[12:13]
	s_branch .LBB807_53
.LBB807_56:
	s_or_b64 exec, exec, s[26:27]
	v_cmp_gt_i64_e32 vcc, s[12:13], v[28:29]
	s_mov_b32 s21, 0
	v_mov_b32_e32 v39, s21
	v_cndmask_b32_e64 v38, 0, 1, vcc
.LBB807_57:
	s_or_b64 exec, exec, s[18:19]
.LBB807_58:
	v_mul_lo_u32 v1, v15, s12
	v_mul_lo_u32 v26, v14, s13
	v_mad_u64_u32 v[24:25], s[18:19], v14, s12, 0
	v_add3_u32 v25, v25, v26, v1
	v_mov_b64_e32 v[48:49], 0
	s_and_b64 vcc, exec, s[2:3]
	v_lshl_add_u64 v[24:25], v[24:25], 3, s[14:15]
	v_mov_b64_e32 v[46:47], v[48:49]
	s_cbranch_vccnz .LBB807_67
; %bb.59:
	global_load_dwordx2 v[26:27], v[22:23], off
	global_load_dwordx2 v[28:29], v[24:25], off
	v_mov_b64_e32 v[46:47], 1
	s_waitcnt vmcnt(0)
	v_cmp_eq_f64_e32 vcc, v[26:27], v[28:29]
	s_and_saveexec_b64 s[18:19], vcc
	s_cbranch_execz .LBB807_66
; %bb.60:
	s_add_u32 s22, s12, -1
	v_lshl_add_u64 v[26:27], v[24:25], 0, 8
	v_lshl_add_u64 v[22:23], v[22:23], 0, 8
	s_addc_u32 s23, s13, -1
	s_mov_b64 s[26:27], 0
	s_mov_b64 s[30:31], 0
                                        ; implicit-def: $sgpr28_sgpr29
	s_branch .LBB807_63
.LBB807_61:                             ;   in Loop: Header=BB807_63 Depth=1
	global_load_dwordx2 v[28:29], v[22:23], off
	global_load_dwordx2 v[30:31], v[26:27], off
	s_add_u32 s30, s30, 1
	s_addc_u32 s31, s31, 0
	s_andn2_b64 s[28:29], s[28:29], exec
	v_lshl_add_u64 v[26:27], v[26:27], 0, 8
	v_lshl_add_u64 v[22:23], v[22:23], 0, 8
	s_waitcnt vmcnt(0)
	v_cmp_neq_f64_e32 vcc, v[28:29], v[30:31]
	s_and_b64 s[34:35], vcc, exec
	s_or_b64 s[28:29], s[28:29], s[34:35]
.LBB807_62:                             ;   in Loop: Header=BB807_63 Depth=1
	s_and_b64 s[34:35], exec, s[28:29]
	s_or_b64 s[26:27], s[34:35], s[26:27]
	v_mov_b64_e32 v[28:29], s[30:31]
	s_andn2_b64 exec, exec, s[26:27]
	s_cbranch_execz .LBB807_65
.LBB807_63:                             ; =>This Inner Loop Header: Depth=1
	s_or_b64 s[28:29], s[28:29], exec
	s_cmp_eq_u64 s[22:23], s[30:31]
	s_cbranch_scc0 .LBB807_61
; %bb.64:                               ;   in Loop: Header=BB807_63 Depth=1
                                        ; implicit-def: $vgpr26_vgpr27
                                        ; implicit-def: $vgpr22_vgpr23
	s_mov_b64 s[30:31], s[12:13]
	s_branch .LBB807_62
.LBB807_65:
	s_or_b64 exec, exec, s[26:27]
	v_cmp_gt_i64_e32 vcc, s[12:13], v[28:29]
	s_mov_b32 s21, 0
	v_mov_b32_e32 v47, s21
	v_cndmask_b32_e64 v46, 0, 1, vcc
.LBB807_66:
	s_or_b64 exec, exec, s[18:19]
.LBB807_67:
	v_mul_lo_u32 v1, v13, s12
	v_mul_lo_u32 v26, v12, s13
	v_mad_u64_u32 v[22:23], s[18:19], v12, s12, 0
	v_add3_u32 v23, v23, v26, v1
	s_and_b64 vcc, exec, s[2:3]
	v_lshl_add_u64 v[22:23], v[22:23], 3, s[14:15]
	s_cbranch_vccnz .LBB807_76
; %bb.68:
	global_load_dwordx2 v[26:27], v[24:25], off
	global_load_dwordx2 v[28:29], v[22:23], off
	v_mov_b64_e32 v[48:49], 1
	s_waitcnt vmcnt(0)
	v_cmp_eq_f64_e32 vcc, v[26:27], v[28:29]
	s_and_saveexec_b64 s[18:19], vcc
	s_cbranch_execz .LBB807_75
; %bb.69:
	s_add_u32 s22, s12, -1
	v_lshl_add_u64 v[26:27], v[22:23], 0, 8
	v_lshl_add_u64 v[24:25], v[24:25], 0, 8
	s_addc_u32 s23, s13, -1
	s_mov_b64 s[26:27], 0
	s_mov_b64 s[30:31], 0
                                        ; implicit-def: $sgpr28_sgpr29
	s_branch .LBB807_72
.LBB807_70:                             ;   in Loop: Header=BB807_72 Depth=1
	global_load_dwordx2 v[28:29], v[24:25], off
	global_load_dwordx2 v[30:31], v[26:27], off
	s_add_u32 s30, s30, 1
	s_addc_u32 s31, s31, 0
	s_andn2_b64 s[28:29], s[28:29], exec
	v_lshl_add_u64 v[26:27], v[26:27], 0, 8
	v_lshl_add_u64 v[24:25], v[24:25], 0, 8
	s_waitcnt vmcnt(0)
	v_cmp_neq_f64_e32 vcc, v[28:29], v[30:31]
	s_and_b64 s[34:35], vcc, exec
	s_or_b64 s[28:29], s[28:29], s[34:35]
.LBB807_71:                             ;   in Loop: Header=BB807_72 Depth=1
	s_and_b64 s[34:35], exec, s[28:29]
	s_or_b64 s[26:27], s[34:35], s[26:27]
	v_mov_b64_e32 v[28:29], s[30:31]
	s_andn2_b64 exec, exec, s[26:27]
	s_cbranch_execz .LBB807_74
.LBB807_72:                             ; =>This Inner Loop Header: Depth=1
	s_or_b64 s[28:29], s[28:29], exec
	s_cmp_eq_u64 s[22:23], s[30:31]
	s_cbranch_scc0 .LBB807_70
; %bb.73:                               ;   in Loop: Header=BB807_72 Depth=1
                                        ; implicit-def: $vgpr26_vgpr27
                                        ; implicit-def: $vgpr24_vgpr25
	s_mov_b64 s[30:31], s[12:13]
	s_branch .LBB807_71
.LBB807_74:
	s_or_b64 exec, exec, s[26:27]
	v_cmp_gt_i64_e32 vcc, s[12:13], v[28:29]
	s_mov_b32 s21, 0
	v_mov_b32_e32 v49, s21
	v_cndmask_b32_e64 v48, 0, 1, vcc
.LBB807_75:
	s_or_b64 exec, exec, s[18:19]
.LBB807_76:
	v_mul_lo_u32 v1, v11, s12
	v_mul_lo_u32 v26, v10, s13
	v_mad_u64_u32 v[24:25], s[18:19], v10, s12, 0
	v_add3_u32 v25, v25, v26, v1
	v_mov_b64_e32 v[52:53], 0
	s_and_b64 vcc, exec, s[2:3]
	v_lshl_add_u64 v[24:25], v[24:25], 3, s[14:15]
	v_mov_b64_e32 v[50:51], v[52:53]
	s_cbranch_vccnz .LBB807_85
; %bb.77:
	global_load_dwordx2 v[26:27], v[22:23], off
	global_load_dwordx2 v[28:29], v[24:25], off
	v_mov_b64_e32 v[50:51], 1
	s_waitcnt vmcnt(0)
	v_cmp_eq_f64_e32 vcc, v[26:27], v[28:29]
	s_and_saveexec_b64 s[18:19], vcc
	s_cbranch_execz .LBB807_84
; %bb.78:
	s_add_u32 s22, s12, -1
	v_lshl_add_u64 v[26:27], v[24:25], 0, 8
	v_lshl_add_u64 v[22:23], v[22:23], 0, 8
	s_addc_u32 s23, s13, -1
	s_mov_b64 s[26:27], 0
	s_mov_b64 s[30:31], 0
                                        ; implicit-def: $sgpr28_sgpr29
	s_branch .LBB807_81
.LBB807_79:                             ;   in Loop: Header=BB807_81 Depth=1
	global_load_dwordx2 v[28:29], v[22:23], off
	global_load_dwordx2 v[30:31], v[26:27], off
	s_add_u32 s30, s30, 1
	s_addc_u32 s31, s31, 0
	s_andn2_b64 s[28:29], s[28:29], exec
	v_lshl_add_u64 v[26:27], v[26:27], 0, 8
	v_lshl_add_u64 v[22:23], v[22:23], 0, 8
	s_waitcnt vmcnt(0)
	v_cmp_neq_f64_e32 vcc, v[28:29], v[30:31]
	s_and_b64 s[34:35], vcc, exec
	s_or_b64 s[28:29], s[28:29], s[34:35]
.LBB807_80:                             ;   in Loop: Header=BB807_81 Depth=1
	s_and_b64 s[34:35], exec, s[28:29]
	s_or_b64 s[26:27], s[34:35], s[26:27]
	v_mov_b64_e32 v[28:29], s[30:31]
	s_andn2_b64 exec, exec, s[26:27]
	s_cbranch_execz .LBB807_83
.LBB807_81:                             ; =>This Inner Loop Header: Depth=1
	s_or_b64 s[28:29], s[28:29], exec
	s_cmp_eq_u64 s[22:23], s[30:31]
	s_cbranch_scc0 .LBB807_79
; %bb.82:                               ;   in Loop: Header=BB807_81 Depth=1
                                        ; implicit-def: $vgpr26_vgpr27
                                        ; implicit-def: $vgpr22_vgpr23
	s_mov_b64 s[30:31], s[12:13]
	s_branch .LBB807_80
.LBB807_83:
	s_or_b64 exec, exec, s[26:27]
	v_cmp_gt_i64_e32 vcc, s[12:13], v[28:29]
	s_mov_b32 s21, 0
	v_mov_b32_e32 v51, s21
	v_cndmask_b32_e64 v50, 0, 1, vcc
.LBB807_84:
	s_or_b64 exec, exec, s[18:19]
.LBB807_85:
	v_mul_lo_u32 v1, v9, s12
	v_mul_lo_u32 v26, v8, s13
	v_mad_u64_u32 v[22:23], s[18:19], v8, s12, 0
	v_add3_u32 v23, v23, v26, v1
	s_and_b64 vcc, exec, s[2:3]
	v_lshl_add_u64 v[22:23], v[22:23], 3, s[14:15]
	s_cbranch_vccnz .LBB807_94
; %bb.86:
	global_load_dwordx2 v[26:27], v[24:25], off
	global_load_dwordx2 v[28:29], v[22:23], off
	v_mov_b64_e32 v[52:53], 1
	s_waitcnt vmcnt(0)
	v_cmp_eq_f64_e32 vcc, v[26:27], v[28:29]
	s_and_saveexec_b64 s[18:19], vcc
	s_cbranch_execz .LBB807_93
; %bb.87:
	s_add_u32 s22, s12, -1
	v_lshl_add_u64 v[26:27], v[22:23], 0, 8
	v_lshl_add_u64 v[24:25], v[24:25], 0, 8
	s_addc_u32 s23, s13, -1
	s_mov_b64 s[26:27], 0
	s_mov_b64 s[30:31], 0
                                        ; implicit-def: $sgpr28_sgpr29
	s_branch .LBB807_90
.LBB807_88:                             ;   in Loop: Header=BB807_90 Depth=1
	global_load_dwordx2 v[28:29], v[24:25], off
	global_load_dwordx2 v[30:31], v[26:27], off
	s_add_u32 s30, s30, 1
	s_addc_u32 s31, s31, 0
	s_andn2_b64 s[28:29], s[28:29], exec
	v_lshl_add_u64 v[26:27], v[26:27], 0, 8
	v_lshl_add_u64 v[24:25], v[24:25], 0, 8
	s_waitcnt vmcnt(0)
	v_cmp_neq_f64_e32 vcc, v[28:29], v[30:31]
	s_and_b64 s[34:35], vcc, exec
	s_or_b64 s[28:29], s[28:29], s[34:35]
.LBB807_89:                             ;   in Loop: Header=BB807_90 Depth=1
	s_and_b64 s[34:35], exec, s[28:29]
	s_or_b64 s[26:27], s[34:35], s[26:27]
	v_mov_b64_e32 v[28:29], s[30:31]
	s_andn2_b64 exec, exec, s[26:27]
	s_cbranch_execz .LBB807_92
.LBB807_90:                             ; =>This Inner Loop Header: Depth=1
	s_or_b64 s[28:29], s[28:29], exec
	s_cmp_eq_u64 s[22:23], s[30:31]
	s_cbranch_scc0 .LBB807_88
; %bb.91:                               ;   in Loop: Header=BB807_90 Depth=1
                                        ; implicit-def: $vgpr26_vgpr27
                                        ; implicit-def: $vgpr24_vgpr25
	s_mov_b64 s[30:31], s[12:13]
	s_branch .LBB807_89
.LBB807_92:
	s_or_b64 exec, exec, s[26:27]
	v_cmp_gt_i64_e32 vcc, s[12:13], v[28:29]
	s_mov_b32 s21, 0
	v_mov_b32_e32 v53, s21
	v_cndmask_b32_e64 v52, 0, 1, vcc
.LBB807_93:
	s_or_b64 exec, exec, s[18:19]
.LBB807_94:
	v_mul_lo_u32 v1, v7, s12
	v_mul_lo_u32 v26, v6, s13
	v_mad_u64_u32 v[24:25], s[18:19], v6, s12, 0
	v_add3_u32 v25, v25, v26, v1
	v_mov_b64_e32 v[56:57], 0
	s_and_b64 vcc, exec, s[2:3]
	v_lshl_add_u64 v[24:25], v[24:25], 3, s[14:15]
	v_mov_b64_e32 v[54:55], v[56:57]
	s_cbranch_vccnz .LBB807_103
; %bb.95:
	global_load_dwordx2 v[26:27], v[22:23], off
	global_load_dwordx2 v[28:29], v[24:25], off
	v_mov_b64_e32 v[54:55], 1
	s_waitcnt vmcnt(0)
	v_cmp_eq_f64_e32 vcc, v[26:27], v[28:29]
	s_and_saveexec_b64 s[18:19], vcc
	s_cbranch_execz .LBB807_102
; %bb.96:
	s_add_u32 s22, s12, -1
	v_lshl_add_u64 v[26:27], v[24:25], 0, 8
	v_lshl_add_u64 v[22:23], v[22:23], 0, 8
	s_addc_u32 s23, s13, -1
	s_mov_b64 s[26:27], 0
	s_mov_b64 s[30:31], 0
                                        ; implicit-def: $sgpr28_sgpr29
	s_branch .LBB807_99
.LBB807_97:                             ;   in Loop: Header=BB807_99 Depth=1
	global_load_dwordx2 v[28:29], v[22:23], off
	global_load_dwordx2 v[30:31], v[26:27], off
	s_add_u32 s30, s30, 1
	s_addc_u32 s31, s31, 0
	s_andn2_b64 s[28:29], s[28:29], exec
	v_lshl_add_u64 v[26:27], v[26:27], 0, 8
	v_lshl_add_u64 v[22:23], v[22:23], 0, 8
	s_waitcnt vmcnt(0)
	v_cmp_neq_f64_e32 vcc, v[28:29], v[30:31]
	s_and_b64 s[34:35], vcc, exec
	s_or_b64 s[28:29], s[28:29], s[34:35]
.LBB807_98:                             ;   in Loop: Header=BB807_99 Depth=1
	s_and_b64 s[34:35], exec, s[28:29]
	s_or_b64 s[26:27], s[34:35], s[26:27]
	v_mov_b64_e32 v[28:29], s[30:31]
	s_andn2_b64 exec, exec, s[26:27]
	s_cbranch_execz .LBB807_101
.LBB807_99:                             ; =>This Inner Loop Header: Depth=1
	s_or_b64 s[28:29], s[28:29], exec
	s_cmp_eq_u64 s[22:23], s[30:31]
	s_cbranch_scc0 .LBB807_97
; %bb.100:                              ;   in Loop: Header=BB807_99 Depth=1
                                        ; implicit-def: $vgpr26_vgpr27
                                        ; implicit-def: $vgpr22_vgpr23
	s_mov_b64 s[30:31], s[12:13]
	s_branch .LBB807_98
.LBB807_101:
	s_or_b64 exec, exec, s[26:27]
	v_cmp_gt_i64_e32 vcc, s[12:13], v[28:29]
	s_mov_b32 s21, 0
	v_mov_b32_e32 v55, s21
	v_cndmask_b32_e64 v54, 0, 1, vcc
.LBB807_102:
	s_or_b64 exec, exec, s[18:19]
.LBB807_103:
	v_mul_lo_u32 v1, v5, s12
	v_mul_lo_u32 v26, v4, s13
	v_mad_u64_u32 v[22:23], s[18:19], v4, s12, 0
	v_add3_u32 v23, v23, v26, v1
	s_and_b64 vcc, exec, s[2:3]
	v_lshl_add_u64 v[22:23], v[22:23], 3, s[14:15]
	s_cbranch_vccnz .LBB807_112
; %bb.104:
	global_load_dwordx2 v[26:27], v[24:25], off
	global_load_dwordx2 v[28:29], v[22:23], off
	v_mov_b64_e32 v[56:57], 1
	s_waitcnt vmcnt(0)
	v_cmp_eq_f64_e32 vcc, v[26:27], v[28:29]
	s_and_saveexec_b64 s[18:19], vcc
	s_cbranch_execz .LBB807_111
; %bb.105:
	s_add_u32 s22, s12, -1
	v_lshl_add_u64 v[26:27], v[22:23], 0, 8
	v_lshl_add_u64 v[24:25], v[24:25], 0, 8
	s_addc_u32 s23, s13, -1
	s_mov_b64 s[26:27], 0
	s_mov_b64 s[30:31], 0
                                        ; implicit-def: $sgpr28_sgpr29
	s_branch .LBB807_108
.LBB807_106:                            ;   in Loop: Header=BB807_108 Depth=1
	global_load_dwordx2 v[28:29], v[24:25], off
	global_load_dwordx2 v[30:31], v[26:27], off
	s_add_u32 s30, s30, 1
	s_addc_u32 s31, s31, 0
	s_andn2_b64 s[28:29], s[28:29], exec
	v_lshl_add_u64 v[26:27], v[26:27], 0, 8
	v_lshl_add_u64 v[24:25], v[24:25], 0, 8
	s_waitcnt vmcnt(0)
	v_cmp_neq_f64_e32 vcc, v[28:29], v[30:31]
	s_and_b64 s[34:35], vcc, exec
	s_or_b64 s[28:29], s[28:29], s[34:35]
.LBB807_107:                            ;   in Loop: Header=BB807_108 Depth=1
	s_and_b64 s[34:35], exec, s[28:29]
	s_or_b64 s[26:27], s[34:35], s[26:27]
	v_mov_b64_e32 v[28:29], s[30:31]
	s_andn2_b64 exec, exec, s[26:27]
	s_cbranch_execz .LBB807_110
.LBB807_108:                            ; =>This Inner Loop Header: Depth=1
	s_or_b64 s[28:29], s[28:29], exec
	s_cmp_eq_u64 s[22:23], s[30:31]
	s_cbranch_scc0 .LBB807_106
; %bb.109:                              ;   in Loop: Header=BB807_108 Depth=1
                                        ; implicit-def: $vgpr26_vgpr27
                                        ; implicit-def: $vgpr24_vgpr25
	s_mov_b64 s[30:31], s[12:13]
	s_branch .LBB807_107
.LBB807_110:
	s_or_b64 exec, exec, s[26:27]
	v_cmp_gt_i64_e32 vcc, s[12:13], v[28:29]
	s_mov_b32 s21, 0
	v_mov_b32_e32 v57, s21
	v_cndmask_b32_e64 v56, 0, 1, vcc
.LBB807_111:
	s_or_b64 exec, exec, s[18:19]
.LBB807_112:
	s_and_b64 vcc, exec, s[2:3]
	s_cbranch_vccnz .LBB807_119
; %bb.113:
	v_mul_lo_u32 v1, v3, s12
	v_mul_lo_u32 v26, v2, s13
	v_mad_u64_u32 v[24:25], s[18:19], v2, s12, 0
	v_add3_u32 v25, v25, v26, v1
	v_lshl_add_u64 v[24:25], v[24:25], 3, s[14:15]
	global_load_dwordx2 v[26:27], v[22:23], off
	global_load_dwordx2 v[28:29], v[24:25], off
	v_mov_b64_e32 v[58:59], 1
	s_waitcnt vmcnt(0)
	v_cmp_eq_f64_e32 vcc, v[26:27], v[28:29]
	s_and_saveexec_b64 s[18:19], vcc
	s_cbranch_execz .LBB807_121
; %bb.114:
	s_add_u32 s22, s12, -1
	v_lshl_add_u64 v[24:25], v[24:25], 0, 8
	v_lshl_add_u64 v[22:23], v[22:23], 0, 8
	s_addc_u32 s23, s13, -1
	s_mov_b64 s[26:27], 0
	s_mov_b64 s[30:31], 0
                                        ; implicit-def: $sgpr28_sgpr29
	s_branch .LBB807_117
.LBB807_115:                            ;   in Loop: Header=BB807_117 Depth=1
	global_load_dwordx2 v[26:27], v[22:23], off
	global_load_dwordx2 v[28:29], v[24:25], off
	s_add_u32 s30, s30, 1
	s_addc_u32 s31, s31, 0
	s_andn2_b64 s[28:29], s[28:29], exec
	v_lshl_add_u64 v[24:25], v[24:25], 0, 8
	v_lshl_add_u64 v[22:23], v[22:23], 0, 8
	s_waitcnt vmcnt(0)
	v_cmp_neq_f64_e32 vcc, v[26:27], v[28:29]
	s_and_b64 s[34:35], vcc, exec
	s_or_b64 s[28:29], s[28:29], s[34:35]
.LBB807_116:                            ;   in Loop: Header=BB807_117 Depth=1
	s_and_b64 s[34:35], exec, s[28:29]
	s_or_b64 s[26:27], s[34:35], s[26:27]
	v_mov_b64_e32 v[26:27], s[30:31]
	s_andn2_b64 exec, exec, s[26:27]
	s_cbranch_execz .LBB807_120
.LBB807_117:                            ; =>This Inner Loop Header: Depth=1
	s_or_b64 s[28:29], s[28:29], exec
	s_cmp_eq_u64 s[22:23], s[30:31]
	s_cbranch_scc0 .LBB807_115
; %bb.118:                              ;   in Loop: Header=BB807_117 Depth=1
                                        ; implicit-def: $vgpr24_vgpr25
                                        ; implicit-def: $vgpr22_vgpr23
	s_mov_b64 s[30:31], s[12:13]
	s_branch .LBB807_116
.LBB807_119:
	v_mov_b64_e32 v[58:59], 0
	s_branch .LBB807_122
.LBB807_120:
	s_or_b64 exec, exec, s[26:27]
	v_cmp_gt_i64_e32 vcc, s[12:13], v[26:27]
	s_mov_b32 s21, 0
	v_mov_b32_e32 v59, s21
	v_cndmask_b32_e64 v58, 0, 1, vcc
.LBB807_121:
	s_or_b64 exec, exec, s[18:19]
.LBB807_122:
	v_cmp_ne_u32_e32 vcc, 0, v0
	s_waitcnt lgkmcnt(0)
	v_mov_b64_e32 v[22:23], s[16:17]
	s_barrier
	s_and_saveexec_b64 s[18:19], vcc
	s_cbranch_execz .LBB807_124
; %bb.123:
	v_add_u32_e32 v1, -8, v40
	ds_read_b64 v[22:23], v1
.LBB807_124:
	s_or_b64 exec, exec, s[18:19]
	s_mov_b64 s[26:27], 0
	s_and_b64 vcc, exec, s[2:3]
	s_mov_b64 s[18:19], 0
	s_cbranch_vccnz .LBB807_133
; %bb.125:
	v_mul_lo_u32 v1, v3, s12
	v_mul_lo_u32 v26, v2, s13
	v_mad_u64_u32 v[24:25], s[2:3], v2, s12, 0
	v_add3_u32 v25, v25, v26, v1
	s_waitcnt lgkmcnt(0)
	v_mul_lo_u32 v1, v23, s12
	v_mul_lo_u32 v26, v22, s13
	v_mad_u64_u32 v[22:23], s[2:3], v22, s12, 0
	v_add3_u32 v23, v23, v26, v1
	v_lshl_add_u64 v[24:25], v[24:25], 3, s[14:15]
	v_lshl_add_u64 v[22:23], v[22:23], 3, s[14:15]
	global_load_dwordx2 v[26:27], v[24:25], off
	global_load_dwordx2 v[28:29], v[22:23], off
	s_mov_b64 s[18:19], -1
	s_waitcnt vmcnt(0)
	v_cmp_eq_f64_e32 vcc, v[26:27], v[28:29]
	s_and_saveexec_b64 s[2:3], vcc
	s_cbranch_execz .LBB807_132
; %bb.126:
	s_add_u32 s18, s12, -1
	v_lshl_add_u64 v[22:23], v[22:23], 0, 8
	v_lshl_add_u64 v[24:25], v[24:25], 0, 8
	s_addc_u32 s19, s13, -1
	s_mov_b64 s[22:23], 0
	s_mov_b64 s[30:31], 0
                                        ; implicit-def: $sgpr28_sgpr29
	s_branch .LBB807_129
.LBB807_127:                            ;   in Loop: Header=BB807_129 Depth=1
	global_load_dwordx2 v[26:27], v[24:25], off
	global_load_dwordx2 v[28:29], v[22:23], off
	s_add_u32 s30, s30, 1
	s_addc_u32 s31, s31, 0
	s_andn2_b64 s[28:29], s[28:29], exec
	v_lshl_add_u64 v[22:23], v[22:23], 0, 8
	v_lshl_add_u64 v[24:25], v[24:25], 0, 8
	s_waitcnt vmcnt(0)
	v_cmp_neq_f64_e32 vcc, v[26:27], v[28:29]
	s_and_b64 s[34:35], vcc, exec
	s_or_b64 s[28:29], s[28:29], s[34:35]
.LBB807_128:                            ;   in Loop: Header=BB807_129 Depth=1
	s_and_b64 s[34:35], exec, s[28:29]
	s_or_b64 s[22:23], s[34:35], s[22:23]
	v_mov_b64_e32 v[26:27], s[30:31]
	s_andn2_b64 exec, exec, s[22:23]
	s_cbranch_execz .LBB807_131
.LBB807_129:                            ; =>This Inner Loop Header: Depth=1
	s_or_b64 s[28:29], s[28:29], exec
	s_cmp_eq_u64 s[18:19], s[30:31]
	s_cbranch_scc0 .LBB807_127
; %bb.130:                              ;   in Loop: Header=BB807_129 Depth=1
                                        ; implicit-def: $vgpr22_vgpr23
                                        ; implicit-def: $vgpr24_vgpr25
	s_mov_b64 s[30:31], s[12:13]
	s_branch .LBB807_128
.LBB807_131:
	s_or_b64 exec, exec, s[22:23]
	v_cmp_gt_i64_e32 vcc, s[12:13], v[26:27]
	s_orn2_b64 s[18:19], vcc, exec
.LBB807_132:
	s_or_b64 exec, exec, s[2:3]
.LBB807_133:
	s_mov_b64 s[22:23], -1
	s_and_b64 vcc, exec, s[26:27]
	s_cbranch_vccz .LBB807_37
.LBB807_134:
	s_mul_i32 s21, s24, 0xfffff500
	s_add_i32 s21, s21, s10
	s_waitcnt lgkmcnt(0)
	v_mad_u32_u24 v22, v0, 11, 10
	v_cmp_gt_i64_e64 s[2:3], s[12:13], 0
	v_cmp_gt_u32_e32 vcc, s21, v22
	v_mul_u32_u24_e32 v1, 11, v0
	v_cndmask_b32_e64 v22, 0, 1, s[2:3]
	v_cmp_ne_u32_e64 s[2:3], 1, v22
	v_mov_b64_e32 v[42:43], v[36:37]
	ds_write_b64 v40, v[36:37]
	s_and_saveexec_b64 s[18:19], vcc
	s_cbranch_execz .LBB807_145
; %bb.135:
	s_and_b64 vcc, exec, s[2:3]
	s_cbranch_vccnz .LBB807_142
; %bb.136:
	v_mul_lo_u32 v24, v37, s12
	v_mul_lo_u32 v25, v36, s13
	v_mad_u64_u32 v[22:23], s[24:25], v36, s12, 0
	v_add3_u32 v23, v23, v25, v24
	v_mul_lo_u32 v24, v21, s12
	v_mul_lo_u32 v25, v20, s13
	v_mad_u64_u32 v[26:27], s[24:25], v20, s12, 0
	v_add3_u32 v27, v27, v25, v24
	v_lshl_add_u64 v[24:25], v[22:23], 3, s[14:15]
	v_lshl_add_u64 v[22:23], v[26:27], 3, s[14:15]
	global_load_dwordx2 v[26:27], v[24:25], off
	global_load_dwordx2 v[28:29], v[22:23], off
	v_mov_b64_e32 v[42:43], 1
	s_waitcnt vmcnt(0)
	v_cmp_eq_f64_e32 vcc, v[26:27], v[28:29]
	s_and_saveexec_b64 s[24:25], vcc
	s_cbranch_execz .LBB807_144
; %bb.137:
	s_add_u32 s26, s12, -1
	v_lshl_add_u64 v[22:23], v[22:23], 0, 8
	v_lshl_add_u64 v[24:25], v[24:25], 0, 8
	s_addc_u32 s27, s13, -1
	s_mov_b64 s[28:29], 0
	s_mov_b64 s[34:35], 0
                                        ; implicit-def: $sgpr30_sgpr31
	s_branch .LBB807_140
.LBB807_138:                            ;   in Loop: Header=BB807_140 Depth=1
	global_load_dwordx2 v[26:27], v[24:25], off
	global_load_dwordx2 v[28:29], v[22:23], off
	s_add_u32 s34, s34, 1
	s_addc_u32 s35, s35, 0
	s_andn2_b64 s[30:31], s[30:31], exec
	v_lshl_add_u64 v[22:23], v[22:23], 0, 8
	v_lshl_add_u64 v[24:25], v[24:25], 0, 8
	s_waitcnt vmcnt(0)
	v_cmp_neq_f64_e32 vcc, v[26:27], v[28:29]
	s_and_b64 s[36:37], vcc, exec
	s_or_b64 s[30:31], s[30:31], s[36:37]
.LBB807_139:                            ;   in Loop: Header=BB807_140 Depth=1
	s_and_b64 s[36:37], exec, s[30:31]
	s_or_b64 s[28:29], s[36:37], s[28:29]
	v_mov_b64_e32 v[26:27], s[34:35]
	s_andn2_b64 exec, exec, s[28:29]
	s_cbranch_execz .LBB807_143
.LBB807_140:                            ; =>This Inner Loop Header: Depth=1
	s_or_b64 s[30:31], s[30:31], exec
	s_cmp_eq_u64 s[26:27], s[34:35]
	s_cbranch_scc0 .LBB807_138
; %bb.141:                              ;   in Loop: Header=BB807_140 Depth=1
                                        ; implicit-def: $vgpr22_vgpr23
                                        ; implicit-def: $vgpr24_vgpr25
	s_mov_b64 s[34:35], s[12:13]
	s_branch .LBB807_139
.LBB807_142:
	v_mov_b64_e32 v[42:43], 0
	s_branch .LBB807_145
.LBB807_143:
	s_or_b64 exec, exec, s[28:29]
	v_cmp_gt_i64_e32 vcc, s[12:13], v[26:27]
	s_mov_b32 s26, 0
	v_mov_b32_e32 v43, s26
	v_cndmask_b32_e64 v42, 0, 1, vcc
.LBB807_144:
	s_or_b64 exec, exec, s[24:25]
.LBB807_145:
	s_or_b64 exec, exec, s[18:19]
	v_add_u32_e32 v22, 9, v1
	v_cmp_gt_u32_e32 vcc, s21, v22
	v_mov_b64_e32 v[44:45], v[20:21]
	s_and_saveexec_b64 s[18:19], vcc
	s_cbranch_execz .LBB807_156
; %bb.146:
	s_and_b64 vcc, exec, s[2:3]
	s_cbranch_vccnz .LBB807_153
; %bb.147:
	v_mul_lo_u32 v24, v21, s12
	v_mul_lo_u32 v25, v20, s13
	v_mad_u64_u32 v[22:23], s[24:25], v20, s12, 0
	v_add3_u32 v23, v23, v25, v24
	v_mul_lo_u32 v24, v19, s12
	v_mul_lo_u32 v25, v18, s13
	v_mad_u64_u32 v[26:27], s[24:25], v18, s12, 0
	v_add3_u32 v27, v27, v25, v24
	v_lshl_add_u64 v[24:25], v[22:23], 3, s[14:15]
	v_lshl_add_u64 v[22:23], v[26:27], 3, s[14:15]
	global_load_dwordx2 v[26:27], v[24:25], off
	global_load_dwordx2 v[28:29], v[22:23], off
	v_mov_b64_e32 v[44:45], 1
	s_waitcnt vmcnt(0)
	v_cmp_eq_f64_e32 vcc, v[26:27], v[28:29]
	s_and_saveexec_b64 s[24:25], vcc
	s_cbranch_execz .LBB807_155
; %bb.148:
	s_add_u32 s26, s12, -1
	v_lshl_add_u64 v[22:23], v[22:23], 0, 8
	v_lshl_add_u64 v[24:25], v[24:25], 0, 8
	s_addc_u32 s27, s13, -1
	s_mov_b64 s[28:29], 0
	s_mov_b64 s[34:35], 0
                                        ; implicit-def: $sgpr30_sgpr31
	s_branch .LBB807_151
.LBB807_149:                            ;   in Loop: Header=BB807_151 Depth=1
	global_load_dwordx2 v[26:27], v[24:25], off
	global_load_dwordx2 v[28:29], v[22:23], off
	s_add_u32 s34, s34, 1
	s_addc_u32 s35, s35, 0
	s_andn2_b64 s[30:31], s[30:31], exec
	v_lshl_add_u64 v[22:23], v[22:23], 0, 8
	v_lshl_add_u64 v[24:25], v[24:25], 0, 8
	s_waitcnt vmcnt(0)
	v_cmp_neq_f64_e32 vcc, v[26:27], v[28:29]
	s_and_b64 s[36:37], vcc, exec
	s_or_b64 s[30:31], s[30:31], s[36:37]
.LBB807_150:                            ;   in Loop: Header=BB807_151 Depth=1
	s_and_b64 s[36:37], exec, s[30:31]
	s_or_b64 s[28:29], s[36:37], s[28:29]
	v_mov_b64_e32 v[26:27], s[34:35]
	s_andn2_b64 exec, exec, s[28:29]
	s_cbranch_execz .LBB807_154
.LBB807_151:                            ; =>This Inner Loop Header: Depth=1
	s_or_b64 s[30:31], s[30:31], exec
	s_cmp_eq_u64 s[26:27], s[34:35]
	s_cbranch_scc0 .LBB807_149
; %bb.152:                              ;   in Loop: Header=BB807_151 Depth=1
                                        ; implicit-def: $vgpr22_vgpr23
                                        ; implicit-def: $vgpr24_vgpr25
	s_mov_b64 s[34:35], s[12:13]
	s_branch .LBB807_150
.LBB807_153:
	v_mov_b64_e32 v[44:45], 0
	s_branch .LBB807_156
.LBB807_154:
	s_or_b64 exec, exec, s[28:29]
	v_cmp_gt_i64_e32 vcc, s[12:13], v[26:27]
	s_mov_b32 s26, 0
	v_mov_b32_e32 v45, s26
	v_cndmask_b32_e64 v44, 0, 1, vcc
.LBB807_155:
	s_or_b64 exec, exec, s[24:25]
.LBB807_156:
	s_or_b64 exec, exec, s[18:19]
	v_add_u32_e32 v22, 8, v1
	v_cmp_gt_u32_e32 vcc, s21, v22
	v_mov_b64_e32 v[38:39], v[18:19]
	s_and_saveexec_b64 s[18:19], vcc
	s_cbranch_execz .LBB807_167
; %bb.157:
	s_and_b64 vcc, exec, s[2:3]
	s_cbranch_vccnz .LBB807_164
; %bb.158:
	v_mul_lo_u32 v24, v19, s12
	v_mul_lo_u32 v25, v18, s13
	v_mad_u64_u32 v[22:23], s[24:25], v18, s12, 0
	v_add3_u32 v23, v23, v25, v24
	v_mul_lo_u32 v24, v17, s12
	v_mul_lo_u32 v25, v16, s13
	v_mad_u64_u32 v[26:27], s[24:25], v16, s12, 0
	v_add3_u32 v27, v27, v25, v24
	v_lshl_add_u64 v[24:25], v[22:23], 3, s[14:15]
	v_lshl_add_u64 v[22:23], v[26:27], 3, s[14:15]
	global_load_dwordx2 v[26:27], v[24:25], off
	global_load_dwordx2 v[28:29], v[22:23], off
	v_mov_b64_e32 v[38:39], 1
	s_waitcnt vmcnt(0)
	v_cmp_eq_f64_e32 vcc, v[26:27], v[28:29]
	s_and_saveexec_b64 s[24:25], vcc
	s_cbranch_execz .LBB807_166
; %bb.159:
	s_add_u32 s26, s12, -1
	v_lshl_add_u64 v[22:23], v[22:23], 0, 8
	v_lshl_add_u64 v[24:25], v[24:25], 0, 8
	s_addc_u32 s27, s13, -1
	s_mov_b64 s[28:29], 0
	s_mov_b64 s[34:35], 0
                                        ; implicit-def: $sgpr30_sgpr31
	s_branch .LBB807_162
.LBB807_160:                            ;   in Loop: Header=BB807_162 Depth=1
	global_load_dwordx2 v[26:27], v[24:25], off
	global_load_dwordx2 v[28:29], v[22:23], off
	s_add_u32 s34, s34, 1
	s_addc_u32 s35, s35, 0
	s_andn2_b64 s[30:31], s[30:31], exec
	v_lshl_add_u64 v[22:23], v[22:23], 0, 8
	v_lshl_add_u64 v[24:25], v[24:25], 0, 8
	s_waitcnt vmcnt(0)
	v_cmp_neq_f64_e32 vcc, v[26:27], v[28:29]
	s_and_b64 s[36:37], vcc, exec
	s_or_b64 s[30:31], s[30:31], s[36:37]
.LBB807_161:                            ;   in Loop: Header=BB807_162 Depth=1
	s_and_b64 s[36:37], exec, s[30:31]
	s_or_b64 s[28:29], s[36:37], s[28:29]
	v_mov_b64_e32 v[26:27], s[34:35]
	s_andn2_b64 exec, exec, s[28:29]
	s_cbranch_execz .LBB807_165
.LBB807_162:                            ; =>This Inner Loop Header: Depth=1
	s_or_b64 s[30:31], s[30:31], exec
	s_cmp_eq_u64 s[26:27], s[34:35]
	s_cbranch_scc0 .LBB807_160
; %bb.163:                              ;   in Loop: Header=BB807_162 Depth=1
                                        ; implicit-def: $vgpr22_vgpr23
                                        ; implicit-def: $vgpr24_vgpr25
	s_mov_b64 s[34:35], s[12:13]
	s_branch .LBB807_161
.LBB807_164:
	v_mov_b64_e32 v[38:39], 0
	s_branch .LBB807_167
.LBB807_165:
	s_or_b64 exec, exec, s[28:29]
	v_cmp_gt_i64_e32 vcc, s[12:13], v[26:27]
	s_mov_b32 s26, 0
	v_mov_b32_e32 v39, s26
	v_cndmask_b32_e64 v38, 0, 1, vcc
.LBB807_166:
	s_or_b64 exec, exec, s[24:25]
.LBB807_167:
	s_or_b64 exec, exec, s[18:19]
	v_add_u32_e32 v22, 7, v1
	v_cmp_gt_u32_e32 vcc, s21, v22
	v_mov_b64_e32 v[46:47], v[16:17]
	s_and_saveexec_b64 s[18:19], vcc
	s_cbranch_execz .LBB807_178
; %bb.168:
	s_and_b64 vcc, exec, s[2:3]
	s_cbranch_vccnz .LBB807_175
; %bb.169:
	v_mul_lo_u32 v24, v17, s12
	v_mul_lo_u32 v25, v16, s13
	v_mad_u64_u32 v[22:23], s[24:25], v16, s12, 0
	v_add3_u32 v23, v23, v25, v24
	v_mul_lo_u32 v24, v15, s12
	v_mul_lo_u32 v25, v14, s13
	v_mad_u64_u32 v[26:27], s[24:25], v14, s12, 0
	v_add3_u32 v27, v27, v25, v24
	v_lshl_add_u64 v[24:25], v[22:23], 3, s[14:15]
	v_lshl_add_u64 v[22:23], v[26:27], 3, s[14:15]
	global_load_dwordx2 v[26:27], v[24:25], off
	global_load_dwordx2 v[28:29], v[22:23], off
	v_mov_b64_e32 v[46:47], 1
	s_waitcnt vmcnt(0)
	v_cmp_eq_f64_e32 vcc, v[26:27], v[28:29]
	s_and_saveexec_b64 s[24:25], vcc
	s_cbranch_execz .LBB807_177
; %bb.170:
	s_add_u32 s26, s12, -1
	v_lshl_add_u64 v[22:23], v[22:23], 0, 8
	v_lshl_add_u64 v[24:25], v[24:25], 0, 8
	s_addc_u32 s27, s13, -1
	s_mov_b64 s[28:29], 0
	s_mov_b64 s[34:35], 0
                                        ; implicit-def: $sgpr30_sgpr31
	s_branch .LBB807_173
.LBB807_171:                            ;   in Loop: Header=BB807_173 Depth=1
	global_load_dwordx2 v[26:27], v[24:25], off
	global_load_dwordx2 v[28:29], v[22:23], off
	s_add_u32 s34, s34, 1
	s_addc_u32 s35, s35, 0
	s_andn2_b64 s[30:31], s[30:31], exec
	v_lshl_add_u64 v[22:23], v[22:23], 0, 8
	v_lshl_add_u64 v[24:25], v[24:25], 0, 8
	s_waitcnt vmcnt(0)
	v_cmp_neq_f64_e32 vcc, v[26:27], v[28:29]
	s_and_b64 s[36:37], vcc, exec
	s_or_b64 s[30:31], s[30:31], s[36:37]
.LBB807_172:                            ;   in Loop: Header=BB807_173 Depth=1
	s_and_b64 s[36:37], exec, s[30:31]
	s_or_b64 s[28:29], s[36:37], s[28:29]
	v_mov_b64_e32 v[26:27], s[34:35]
	s_andn2_b64 exec, exec, s[28:29]
	s_cbranch_execz .LBB807_176
.LBB807_173:                            ; =>This Inner Loop Header: Depth=1
	s_or_b64 s[30:31], s[30:31], exec
	s_cmp_eq_u64 s[26:27], s[34:35]
	s_cbranch_scc0 .LBB807_171
; %bb.174:                              ;   in Loop: Header=BB807_173 Depth=1
                                        ; implicit-def: $vgpr22_vgpr23
                                        ; implicit-def: $vgpr24_vgpr25
	s_mov_b64 s[34:35], s[12:13]
	s_branch .LBB807_172
.LBB807_175:
	v_mov_b64_e32 v[46:47], 0
	s_branch .LBB807_178
.LBB807_176:
	s_or_b64 exec, exec, s[28:29]
	v_cmp_gt_i64_e32 vcc, s[12:13], v[26:27]
	s_mov_b32 s26, 0
	v_mov_b32_e32 v47, s26
	v_cndmask_b32_e64 v46, 0, 1, vcc
.LBB807_177:
	s_or_b64 exec, exec, s[24:25]
.LBB807_178:
	s_or_b64 exec, exec, s[18:19]
	v_add_u32_e32 v22, 6, v1
	v_cmp_gt_u32_e32 vcc, s21, v22
	v_mov_b64_e32 v[48:49], v[14:15]
	s_and_saveexec_b64 s[18:19], vcc
	s_cbranch_execz .LBB807_189
; %bb.179:
	s_and_b64 vcc, exec, s[2:3]
	s_cbranch_vccnz .LBB807_186
; %bb.180:
	v_mul_lo_u32 v24, v15, s12
	v_mul_lo_u32 v25, v14, s13
	v_mad_u64_u32 v[22:23], s[24:25], v14, s12, 0
	v_add3_u32 v23, v23, v25, v24
	v_mul_lo_u32 v24, v13, s12
	v_mul_lo_u32 v25, v12, s13
	v_mad_u64_u32 v[26:27], s[24:25], v12, s12, 0
	v_add3_u32 v27, v27, v25, v24
	v_lshl_add_u64 v[24:25], v[22:23], 3, s[14:15]
	v_lshl_add_u64 v[22:23], v[26:27], 3, s[14:15]
	global_load_dwordx2 v[26:27], v[24:25], off
	global_load_dwordx2 v[28:29], v[22:23], off
	v_mov_b64_e32 v[48:49], 1
	s_waitcnt vmcnt(0)
	v_cmp_eq_f64_e32 vcc, v[26:27], v[28:29]
	s_and_saveexec_b64 s[24:25], vcc
	s_cbranch_execz .LBB807_188
; %bb.181:
	s_add_u32 s26, s12, -1
	v_lshl_add_u64 v[22:23], v[22:23], 0, 8
	v_lshl_add_u64 v[24:25], v[24:25], 0, 8
	s_addc_u32 s27, s13, -1
	s_mov_b64 s[28:29], 0
	s_mov_b64 s[34:35], 0
                                        ; implicit-def: $sgpr30_sgpr31
	s_branch .LBB807_184
.LBB807_182:                            ;   in Loop: Header=BB807_184 Depth=1
	global_load_dwordx2 v[26:27], v[24:25], off
	global_load_dwordx2 v[28:29], v[22:23], off
	s_add_u32 s34, s34, 1
	s_addc_u32 s35, s35, 0
	s_andn2_b64 s[30:31], s[30:31], exec
	v_lshl_add_u64 v[22:23], v[22:23], 0, 8
	v_lshl_add_u64 v[24:25], v[24:25], 0, 8
	s_waitcnt vmcnt(0)
	v_cmp_neq_f64_e32 vcc, v[26:27], v[28:29]
	s_and_b64 s[36:37], vcc, exec
	s_or_b64 s[30:31], s[30:31], s[36:37]
.LBB807_183:                            ;   in Loop: Header=BB807_184 Depth=1
	s_and_b64 s[36:37], exec, s[30:31]
	s_or_b64 s[28:29], s[36:37], s[28:29]
	v_mov_b64_e32 v[26:27], s[34:35]
	s_andn2_b64 exec, exec, s[28:29]
	s_cbranch_execz .LBB807_187
.LBB807_184:                            ; =>This Inner Loop Header: Depth=1
	s_or_b64 s[30:31], s[30:31], exec
	s_cmp_eq_u64 s[26:27], s[34:35]
	s_cbranch_scc0 .LBB807_182
; %bb.185:                              ;   in Loop: Header=BB807_184 Depth=1
                                        ; implicit-def: $vgpr22_vgpr23
                                        ; implicit-def: $vgpr24_vgpr25
	s_mov_b64 s[34:35], s[12:13]
	s_branch .LBB807_183
.LBB807_186:
	v_mov_b64_e32 v[48:49], 0
	s_branch .LBB807_189
.LBB807_187:
	s_or_b64 exec, exec, s[28:29]
	v_cmp_gt_i64_e32 vcc, s[12:13], v[26:27]
	s_mov_b32 s26, 0
	v_mov_b32_e32 v49, s26
	v_cndmask_b32_e64 v48, 0, 1, vcc
.LBB807_188:
	s_or_b64 exec, exec, s[24:25]
.LBB807_189:
	s_or_b64 exec, exec, s[18:19]
	v_add_u32_e32 v22, 5, v1
	v_cmp_gt_u32_e32 vcc, s21, v22
	v_mov_b64_e32 v[50:51], v[12:13]
	s_and_saveexec_b64 s[18:19], vcc
	s_cbranch_execz .LBB807_200
; %bb.190:
	s_and_b64 vcc, exec, s[2:3]
	s_cbranch_vccnz .LBB807_197
; %bb.191:
	v_mul_lo_u32 v24, v13, s12
	v_mul_lo_u32 v25, v12, s13
	v_mad_u64_u32 v[22:23], s[24:25], v12, s12, 0
	v_add3_u32 v23, v23, v25, v24
	v_mul_lo_u32 v24, v11, s12
	v_mul_lo_u32 v25, v10, s13
	v_mad_u64_u32 v[26:27], s[24:25], v10, s12, 0
	v_add3_u32 v27, v27, v25, v24
	v_lshl_add_u64 v[24:25], v[22:23], 3, s[14:15]
	v_lshl_add_u64 v[22:23], v[26:27], 3, s[14:15]
	global_load_dwordx2 v[26:27], v[24:25], off
	global_load_dwordx2 v[28:29], v[22:23], off
	v_mov_b64_e32 v[50:51], 1
	s_waitcnt vmcnt(0)
	v_cmp_eq_f64_e32 vcc, v[26:27], v[28:29]
	s_and_saveexec_b64 s[24:25], vcc
	s_cbranch_execz .LBB807_199
; %bb.192:
	s_add_u32 s26, s12, -1
	v_lshl_add_u64 v[22:23], v[22:23], 0, 8
	v_lshl_add_u64 v[24:25], v[24:25], 0, 8
	s_addc_u32 s27, s13, -1
	s_mov_b64 s[28:29], 0
	s_mov_b64 s[34:35], 0
                                        ; implicit-def: $sgpr30_sgpr31
	s_branch .LBB807_195
.LBB807_193:                            ;   in Loop: Header=BB807_195 Depth=1
	global_load_dwordx2 v[26:27], v[24:25], off
	global_load_dwordx2 v[28:29], v[22:23], off
	s_add_u32 s34, s34, 1
	s_addc_u32 s35, s35, 0
	s_andn2_b64 s[30:31], s[30:31], exec
	v_lshl_add_u64 v[22:23], v[22:23], 0, 8
	v_lshl_add_u64 v[24:25], v[24:25], 0, 8
	s_waitcnt vmcnt(0)
	v_cmp_neq_f64_e32 vcc, v[26:27], v[28:29]
	s_and_b64 s[36:37], vcc, exec
	s_or_b64 s[30:31], s[30:31], s[36:37]
.LBB807_194:                            ;   in Loop: Header=BB807_195 Depth=1
	s_and_b64 s[36:37], exec, s[30:31]
	s_or_b64 s[28:29], s[36:37], s[28:29]
	v_mov_b64_e32 v[26:27], s[34:35]
	s_andn2_b64 exec, exec, s[28:29]
	s_cbranch_execz .LBB807_198
.LBB807_195:                            ; =>This Inner Loop Header: Depth=1
	s_or_b64 s[30:31], s[30:31], exec
	s_cmp_eq_u64 s[26:27], s[34:35]
	s_cbranch_scc0 .LBB807_193
; %bb.196:                              ;   in Loop: Header=BB807_195 Depth=1
                                        ; implicit-def: $vgpr22_vgpr23
                                        ; implicit-def: $vgpr24_vgpr25
	s_mov_b64 s[34:35], s[12:13]
	s_branch .LBB807_194
.LBB807_197:
	v_mov_b64_e32 v[50:51], 0
	s_branch .LBB807_200
.LBB807_198:
	s_or_b64 exec, exec, s[28:29]
	v_cmp_gt_i64_e32 vcc, s[12:13], v[26:27]
	s_mov_b32 s26, 0
	v_mov_b32_e32 v51, s26
	v_cndmask_b32_e64 v50, 0, 1, vcc
.LBB807_199:
	s_or_b64 exec, exec, s[24:25]
.LBB807_200:
	s_or_b64 exec, exec, s[18:19]
	v_add_u32_e32 v22, 4, v1
	v_cmp_gt_u32_e32 vcc, s21, v22
	v_mov_b64_e32 v[52:53], v[10:11]
	s_and_saveexec_b64 s[18:19], vcc
	s_cbranch_execz .LBB807_211
; %bb.201:
	s_and_b64 vcc, exec, s[2:3]
	s_cbranch_vccnz .LBB807_208
; %bb.202:
	v_mul_lo_u32 v24, v11, s12
	v_mul_lo_u32 v25, v10, s13
	v_mad_u64_u32 v[22:23], s[24:25], v10, s12, 0
	v_add3_u32 v23, v23, v25, v24
	v_mul_lo_u32 v24, v9, s12
	v_mul_lo_u32 v25, v8, s13
	v_mad_u64_u32 v[26:27], s[24:25], v8, s12, 0
	v_add3_u32 v27, v27, v25, v24
	v_lshl_add_u64 v[24:25], v[22:23], 3, s[14:15]
	v_lshl_add_u64 v[22:23], v[26:27], 3, s[14:15]
	global_load_dwordx2 v[26:27], v[24:25], off
	global_load_dwordx2 v[28:29], v[22:23], off
	v_mov_b64_e32 v[52:53], 1
	s_waitcnt vmcnt(0)
	v_cmp_eq_f64_e32 vcc, v[26:27], v[28:29]
	s_and_saveexec_b64 s[24:25], vcc
	s_cbranch_execz .LBB807_210
; %bb.203:
	s_add_u32 s26, s12, -1
	v_lshl_add_u64 v[22:23], v[22:23], 0, 8
	v_lshl_add_u64 v[24:25], v[24:25], 0, 8
	s_addc_u32 s27, s13, -1
	s_mov_b64 s[28:29], 0
	s_mov_b64 s[34:35], 0
                                        ; implicit-def: $sgpr30_sgpr31
	s_branch .LBB807_206
.LBB807_204:                            ;   in Loop: Header=BB807_206 Depth=1
	global_load_dwordx2 v[26:27], v[24:25], off
	global_load_dwordx2 v[28:29], v[22:23], off
	s_add_u32 s34, s34, 1
	s_addc_u32 s35, s35, 0
	s_andn2_b64 s[30:31], s[30:31], exec
	v_lshl_add_u64 v[22:23], v[22:23], 0, 8
	v_lshl_add_u64 v[24:25], v[24:25], 0, 8
	s_waitcnt vmcnt(0)
	v_cmp_neq_f64_e32 vcc, v[26:27], v[28:29]
	s_and_b64 s[36:37], vcc, exec
	s_or_b64 s[30:31], s[30:31], s[36:37]
.LBB807_205:                            ;   in Loop: Header=BB807_206 Depth=1
	s_and_b64 s[36:37], exec, s[30:31]
	s_or_b64 s[28:29], s[36:37], s[28:29]
	v_mov_b64_e32 v[26:27], s[34:35]
	s_andn2_b64 exec, exec, s[28:29]
	s_cbranch_execz .LBB807_209
.LBB807_206:                            ; =>This Inner Loop Header: Depth=1
	s_or_b64 s[30:31], s[30:31], exec
	s_cmp_eq_u64 s[26:27], s[34:35]
	s_cbranch_scc0 .LBB807_204
; %bb.207:                              ;   in Loop: Header=BB807_206 Depth=1
                                        ; implicit-def: $vgpr22_vgpr23
                                        ; implicit-def: $vgpr24_vgpr25
	s_mov_b64 s[34:35], s[12:13]
	s_branch .LBB807_205
.LBB807_208:
	v_mov_b64_e32 v[52:53], 0
	s_branch .LBB807_211
.LBB807_209:
	s_or_b64 exec, exec, s[28:29]
	v_cmp_gt_i64_e32 vcc, s[12:13], v[26:27]
	s_mov_b32 s26, 0
	v_mov_b32_e32 v53, s26
	v_cndmask_b32_e64 v52, 0, 1, vcc
.LBB807_210:
	s_or_b64 exec, exec, s[24:25]
.LBB807_211:
	s_or_b64 exec, exec, s[18:19]
	v_add_u32_e32 v22, 3, v1
	v_cmp_gt_u32_e32 vcc, s21, v22
	v_mov_b64_e32 v[54:55], v[8:9]
	s_and_saveexec_b64 s[18:19], vcc
	s_cbranch_execz .LBB807_222
; %bb.212:
	s_and_b64 vcc, exec, s[2:3]
	s_cbranch_vccnz .LBB807_219
; %bb.213:
	v_mul_lo_u32 v24, v9, s12
	v_mul_lo_u32 v25, v8, s13
	v_mad_u64_u32 v[22:23], s[24:25], v8, s12, 0
	v_add3_u32 v23, v23, v25, v24
	v_mul_lo_u32 v24, v7, s12
	v_mul_lo_u32 v25, v6, s13
	v_mad_u64_u32 v[26:27], s[24:25], v6, s12, 0
	v_add3_u32 v27, v27, v25, v24
	v_lshl_add_u64 v[24:25], v[22:23], 3, s[14:15]
	v_lshl_add_u64 v[22:23], v[26:27], 3, s[14:15]
	global_load_dwordx2 v[26:27], v[24:25], off
	global_load_dwordx2 v[28:29], v[22:23], off
	v_mov_b64_e32 v[54:55], 1
	s_waitcnt vmcnt(0)
	v_cmp_eq_f64_e32 vcc, v[26:27], v[28:29]
	s_and_saveexec_b64 s[24:25], vcc
	s_cbranch_execz .LBB807_221
; %bb.214:
	s_add_u32 s26, s12, -1
	v_lshl_add_u64 v[22:23], v[22:23], 0, 8
	v_lshl_add_u64 v[24:25], v[24:25], 0, 8
	s_addc_u32 s27, s13, -1
	s_mov_b64 s[28:29], 0
	s_mov_b64 s[34:35], 0
                                        ; implicit-def: $sgpr30_sgpr31
	s_branch .LBB807_217
.LBB807_215:                            ;   in Loop: Header=BB807_217 Depth=1
	global_load_dwordx2 v[26:27], v[24:25], off
	global_load_dwordx2 v[28:29], v[22:23], off
	s_add_u32 s34, s34, 1
	s_addc_u32 s35, s35, 0
	s_andn2_b64 s[30:31], s[30:31], exec
	v_lshl_add_u64 v[22:23], v[22:23], 0, 8
	v_lshl_add_u64 v[24:25], v[24:25], 0, 8
	s_waitcnt vmcnt(0)
	v_cmp_neq_f64_e32 vcc, v[26:27], v[28:29]
	s_and_b64 s[36:37], vcc, exec
	s_or_b64 s[30:31], s[30:31], s[36:37]
.LBB807_216:                            ;   in Loop: Header=BB807_217 Depth=1
	s_and_b64 s[36:37], exec, s[30:31]
	s_or_b64 s[28:29], s[36:37], s[28:29]
	v_mov_b64_e32 v[26:27], s[34:35]
	s_andn2_b64 exec, exec, s[28:29]
	s_cbranch_execz .LBB807_220
.LBB807_217:                            ; =>This Inner Loop Header: Depth=1
	s_or_b64 s[30:31], s[30:31], exec
	s_cmp_eq_u64 s[26:27], s[34:35]
	s_cbranch_scc0 .LBB807_215
; %bb.218:                              ;   in Loop: Header=BB807_217 Depth=1
                                        ; implicit-def: $vgpr22_vgpr23
                                        ; implicit-def: $vgpr24_vgpr25
	s_mov_b64 s[34:35], s[12:13]
	s_branch .LBB807_216
.LBB807_219:
	v_mov_b64_e32 v[54:55], 0
	s_branch .LBB807_222
.LBB807_220:
	s_or_b64 exec, exec, s[28:29]
	v_cmp_gt_i64_e32 vcc, s[12:13], v[26:27]
	s_mov_b32 s26, 0
	v_mov_b32_e32 v55, s26
	v_cndmask_b32_e64 v54, 0, 1, vcc
.LBB807_221:
	s_or_b64 exec, exec, s[24:25]
.LBB807_222:
	s_or_b64 exec, exec, s[18:19]
	v_add_u32_e32 v22, 2, v1
	v_cmp_gt_u32_e32 vcc, s21, v22
	v_mov_b64_e32 v[56:57], v[6:7]
	s_and_saveexec_b64 s[18:19], vcc
	s_cbranch_execz .LBB807_233
; %bb.223:
	s_and_b64 vcc, exec, s[2:3]
	s_cbranch_vccnz .LBB807_230
; %bb.224:
	v_mul_lo_u32 v24, v7, s12
	v_mul_lo_u32 v25, v6, s13
	v_mad_u64_u32 v[22:23], s[24:25], v6, s12, 0
	v_add3_u32 v23, v23, v25, v24
	v_mul_lo_u32 v24, v5, s12
	v_mul_lo_u32 v25, v4, s13
	v_mad_u64_u32 v[26:27], s[24:25], v4, s12, 0
	v_add3_u32 v27, v27, v25, v24
	v_lshl_add_u64 v[24:25], v[22:23], 3, s[14:15]
	v_lshl_add_u64 v[22:23], v[26:27], 3, s[14:15]
	global_load_dwordx2 v[26:27], v[24:25], off
	global_load_dwordx2 v[28:29], v[22:23], off
	v_mov_b64_e32 v[56:57], 1
	s_waitcnt vmcnt(0)
	v_cmp_eq_f64_e32 vcc, v[26:27], v[28:29]
	s_and_saveexec_b64 s[24:25], vcc
	s_cbranch_execz .LBB807_232
; %bb.225:
	s_add_u32 s26, s12, -1
	v_lshl_add_u64 v[22:23], v[22:23], 0, 8
	v_lshl_add_u64 v[24:25], v[24:25], 0, 8
	s_addc_u32 s27, s13, -1
	s_mov_b64 s[28:29], 0
	s_mov_b64 s[34:35], 0
                                        ; implicit-def: $sgpr30_sgpr31
	s_branch .LBB807_228
.LBB807_226:                            ;   in Loop: Header=BB807_228 Depth=1
	global_load_dwordx2 v[26:27], v[24:25], off
	global_load_dwordx2 v[28:29], v[22:23], off
	s_add_u32 s34, s34, 1
	s_addc_u32 s35, s35, 0
	s_andn2_b64 s[30:31], s[30:31], exec
	v_lshl_add_u64 v[22:23], v[22:23], 0, 8
	v_lshl_add_u64 v[24:25], v[24:25], 0, 8
	s_waitcnt vmcnt(0)
	v_cmp_neq_f64_e32 vcc, v[26:27], v[28:29]
	s_and_b64 s[36:37], vcc, exec
	s_or_b64 s[30:31], s[30:31], s[36:37]
.LBB807_227:                            ;   in Loop: Header=BB807_228 Depth=1
	s_and_b64 s[36:37], exec, s[30:31]
	s_or_b64 s[28:29], s[36:37], s[28:29]
	v_mov_b64_e32 v[26:27], s[34:35]
	s_andn2_b64 exec, exec, s[28:29]
	s_cbranch_execz .LBB807_231
.LBB807_228:                            ; =>This Inner Loop Header: Depth=1
	s_or_b64 s[30:31], s[30:31], exec
	s_cmp_eq_u64 s[26:27], s[34:35]
	s_cbranch_scc0 .LBB807_226
; %bb.229:                              ;   in Loop: Header=BB807_228 Depth=1
                                        ; implicit-def: $vgpr22_vgpr23
                                        ; implicit-def: $vgpr24_vgpr25
	s_mov_b64 s[34:35], s[12:13]
	s_branch .LBB807_227
.LBB807_230:
	v_mov_b64_e32 v[56:57], 0
	s_branch .LBB807_233
.LBB807_231:
	s_or_b64 exec, exec, s[28:29]
	v_cmp_gt_i64_e32 vcc, s[12:13], v[26:27]
	s_mov_b32 s26, 0
	v_mov_b32_e32 v57, s26
	v_cndmask_b32_e64 v56, 0, 1, vcc
.LBB807_232:
	s_or_b64 exec, exec, s[24:25]
.LBB807_233:
	s_or_b64 exec, exec, s[18:19]
	v_add_u32_e32 v22, 1, v1
	v_cmp_gt_u32_e32 vcc, s21, v22
	v_mov_b64_e32 v[58:59], v[4:5]
	s_and_saveexec_b64 s[18:19], vcc
	s_cbranch_execz .LBB807_244
; %bb.234:
	s_and_b64 vcc, exec, s[2:3]
	s_cbranch_vccnz .LBB807_241
; %bb.235:
	v_mul_lo_u32 v24, v5, s12
	v_mul_lo_u32 v25, v4, s13
	v_mad_u64_u32 v[22:23], s[24:25], v4, s12, 0
	v_add3_u32 v23, v23, v25, v24
	v_mul_lo_u32 v24, v3, s12
	v_mul_lo_u32 v25, v2, s13
	v_mad_u64_u32 v[26:27], s[24:25], v2, s12, 0
	v_add3_u32 v27, v27, v25, v24
	v_lshl_add_u64 v[24:25], v[22:23], 3, s[14:15]
	v_lshl_add_u64 v[22:23], v[26:27], 3, s[14:15]
	global_load_dwordx2 v[26:27], v[24:25], off
	global_load_dwordx2 v[28:29], v[22:23], off
	v_mov_b64_e32 v[58:59], 1
	s_waitcnt vmcnt(0)
	v_cmp_eq_f64_e32 vcc, v[26:27], v[28:29]
	s_and_saveexec_b64 s[24:25], vcc
	s_cbranch_execz .LBB807_243
; %bb.236:
	s_add_u32 s26, s12, -1
	v_lshl_add_u64 v[22:23], v[22:23], 0, 8
	v_lshl_add_u64 v[24:25], v[24:25], 0, 8
	s_addc_u32 s27, s13, -1
	s_mov_b64 s[28:29], 0
	s_mov_b64 s[34:35], 0
                                        ; implicit-def: $sgpr30_sgpr31
	s_branch .LBB807_239
.LBB807_237:                            ;   in Loop: Header=BB807_239 Depth=1
	global_load_dwordx2 v[26:27], v[24:25], off
	global_load_dwordx2 v[28:29], v[22:23], off
	s_add_u32 s34, s34, 1
	s_addc_u32 s35, s35, 0
	s_andn2_b64 s[30:31], s[30:31], exec
	v_lshl_add_u64 v[22:23], v[22:23], 0, 8
	v_lshl_add_u64 v[24:25], v[24:25], 0, 8
	s_waitcnt vmcnt(0)
	v_cmp_neq_f64_e32 vcc, v[26:27], v[28:29]
	s_and_b64 s[36:37], vcc, exec
	s_or_b64 s[30:31], s[30:31], s[36:37]
.LBB807_238:                            ;   in Loop: Header=BB807_239 Depth=1
	s_and_b64 s[36:37], exec, s[30:31]
	s_or_b64 s[28:29], s[36:37], s[28:29]
	v_mov_b64_e32 v[26:27], s[34:35]
	s_andn2_b64 exec, exec, s[28:29]
	s_cbranch_execz .LBB807_242
.LBB807_239:                            ; =>This Inner Loop Header: Depth=1
	s_or_b64 s[30:31], s[30:31], exec
	s_cmp_eq_u64 s[26:27], s[34:35]
	s_cbranch_scc0 .LBB807_237
; %bb.240:                              ;   in Loop: Header=BB807_239 Depth=1
                                        ; implicit-def: $vgpr22_vgpr23
                                        ; implicit-def: $vgpr24_vgpr25
	s_mov_b64 s[34:35], s[12:13]
	s_branch .LBB807_238
.LBB807_241:
	v_mov_b64_e32 v[58:59], 0
	s_branch .LBB807_244
.LBB807_242:
	s_or_b64 exec, exec, s[28:29]
	v_cmp_gt_i64_e32 vcc, s[12:13], v[26:27]
	s_mov_b32 s26, 0
	v_mov_b32_e32 v59, s26
	v_cndmask_b32_e64 v58, 0, 1, vcc
.LBB807_243:
	s_or_b64 exec, exec, s[24:25]
.LBB807_244:
	s_or_b64 exec, exec, s[18:19]
	v_cmp_ne_u32_e32 vcc, 0, v0
	v_mov_b64_e32 v[22:23], s[16:17]
	s_waitcnt lgkmcnt(0)
	s_barrier
	s_and_saveexec_b64 s[16:17], vcc
	s_cbranch_execz .LBB807_246
; %bb.245:
	v_add_u32_e32 v22, -8, v40
	ds_read_b64 v[22:23], v22
.LBB807_246:
	s_or_b64 exec, exec, s[16:17]
	v_cmp_gt_u32_e32 vcc, s21, v1
                                        ; implicit-def: $sgpr18_sgpr19
	s_and_saveexec_b64 s[16:17], vcc
	s_cbranch_execz .LBB807_258
; %bb.247:
	s_and_b64 vcc, exec, s[2:3]
	s_cbranch_vccnz .LBB807_254
; %bb.248:
	v_mul_lo_u32 v1, v3, s12
	v_mul_lo_u32 v26, v2, s13
	v_mad_u64_u32 v[24:25], s[2:3], v2, s12, 0
	v_add3_u32 v25, v25, v26, v1
	s_waitcnt lgkmcnt(0)
	v_mul_lo_u32 v1, v23, s12
	v_mul_lo_u32 v26, v22, s13
	v_mad_u64_u32 v[22:23], s[2:3], v22, s12, 0
	v_add3_u32 v23, v23, v26, v1
	v_lshl_add_u64 v[24:25], v[24:25], 3, s[14:15]
	v_lshl_add_u64 v[22:23], v[22:23], 3, s[14:15]
	global_load_dwordx2 v[26:27], v[24:25], off
	global_load_dwordx2 v[28:29], v[22:23], off
	s_mov_b64 s[18:19], -1
	s_waitcnt vmcnt(0)
	v_cmp_eq_f64_e32 vcc, v[26:27], v[28:29]
	s_and_saveexec_b64 s[2:3], vcc
	s_cbranch_execz .LBB807_256
; %bb.249:
	s_add_u32 s18, s12, -1
	v_lshl_add_u64 v[22:23], v[22:23], 0, 8
	v_lshl_add_u64 v[24:25], v[24:25], 0, 8
	s_addc_u32 s19, s13, -1
	s_mov_b64 s[24:25], 0
	s_mov_b64 s[28:29], 0
                                        ; implicit-def: $sgpr26_sgpr27
	s_branch .LBB807_252
.LBB807_250:                            ;   in Loop: Header=BB807_252 Depth=1
	global_load_dwordx2 v[26:27], v[24:25], off
	global_load_dwordx2 v[28:29], v[22:23], off
	s_add_u32 s28, s28, 1
	s_addc_u32 s29, s29, 0
	s_andn2_b64 s[26:27], s[26:27], exec
	v_lshl_add_u64 v[22:23], v[22:23], 0, 8
	v_lshl_add_u64 v[24:25], v[24:25], 0, 8
	s_waitcnt vmcnt(0)
	v_cmp_neq_f64_e32 vcc, v[26:27], v[28:29]
	s_and_b64 s[30:31], vcc, exec
	s_or_b64 s[26:27], s[26:27], s[30:31]
.LBB807_251:                            ;   in Loop: Header=BB807_252 Depth=1
	s_and_b64 s[30:31], exec, s[26:27]
	s_or_b64 s[24:25], s[30:31], s[24:25]
	v_mov_b64_e32 v[26:27], s[28:29]
	s_andn2_b64 exec, exec, s[24:25]
	s_cbranch_execz .LBB807_255
.LBB807_252:                            ; =>This Inner Loop Header: Depth=1
	s_or_b64 s[26:27], s[26:27], exec
	s_cmp_eq_u64 s[18:19], s[28:29]
	s_cbranch_scc0 .LBB807_250
; %bb.253:                              ;   in Loop: Header=BB807_252 Depth=1
                                        ; implicit-def: $vgpr22_vgpr23
                                        ; implicit-def: $vgpr24_vgpr25
	s_mov_b64 s[28:29], s[12:13]
	s_branch .LBB807_251
.LBB807_254:
	s_mov_b64 s[18:19], 0
	s_branch .LBB807_257
.LBB807_255:
	s_or_b64 exec, exec, s[24:25]
	v_cmp_gt_i64_e32 vcc, s[12:13], v[26:27]
	s_orn2_b64 s[18:19], vcc, exec
.LBB807_256:
	s_or_b64 exec, exec, s[2:3]
.LBB807_257:
	s_and_b64 s[18:19], s[18:19], exec
	s_or_b64 s[22:23], s[22:23], exec
.LBB807_258:
	s_or_b64 exec, exec, s[16:17]
	v_mov_b64_e32 v[60:61], v[44:45]
	s_waitcnt lgkmcnt(0)
	v_mov_b64_e32 v[22:23], v[38:39]
	v_mov_b64_e32 v[68:69], v[58:59]
	v_mov_b64_e32 v[62:63], v[56:57]
	v_mov_b64_e32 v[34:35], v[54:55]
	v_mov_b64_e32 v[64:65], v[52:53]
	v_mov_b64_e32 v[30:31], v[50:51]
	v_mov_b64_e32 v[66:67], v[48:49]
	v_mov_b64_e32 v[26:27], v[46:47]
	s_branch .LBB807_488
.LBB807_259:
	s_cmp_lg_u64 s[4:5], 1
	s_cbranch_scc0 .LBB807_267
; %bb.260:
	v_mul_lo_u32 v1, v21, s12
	v_mul_lo_u32 v24, v20, s13
	s_waitcnt lgkmcnt(0)
	v_mad_u64_u32 v[22:23], s[16:17], v20, s12, 0
	v_mov_b64_e32 v[38:39], 0
	v_cmp_lt_i64_e64 s[2:3], s[12:13], 1
	v_add3_u32 v23, v23, v24, v1
	v_cmp_gt_i64_e64 s[4:5], s[12:13], 0
	s_and_b64 vcc, exec, s[2:3]
	v_lshl_add_u64 v[22:23], v[22:23], 3, s[14:15]
	v_mov_b64_e32 v[42:43], v[38:39]
	ds_write_b64 v40, v[36:37]
	s_cbranch_vccnz .LBB807_270
; %bb.261:
	v_mul_lo_u32 v1, v37, s12
	v_mul_lo_u32 v26, v36, s13
	v_mad_u64_u32 v[24:25], s[2:3], v36, s12, 0
	v_add3_u32 v25, v25, v26, v1
	v_lshl_add_u64 v[26:27], v[24:25], 3, s[14:15]
	global_load_dwordx2 v[24:25], v[26:27], off
	global_load_dwordx2 v[28:29], v[22:23], off
	v_mov_b64_e32 v[42:43], 1
	s_waitcnt vmcnt(0)
	v_cmp_eq_f64_e32 vcc, v[24:25], v[28:29]
	s_and_saveexec_b64 s[2:3], vcc
	s_cbranch_execz .LBB807_269
; %bb.262:
	s_add_u32 s16, s12, -1
	v_lshl_add_u64 v[24:25], v[22:23], 0, 8
	v_lshl_add_u64 v[26:27], v[26:27], 0, 8
	s_addc_u32 s17, s13, -1
	s_mov_b64 s[18:19], 0
	s_mov_b64 s[26:27], 0
                                        ; implicit-def: $sgpr24_sgpr25
	s_branch .LBB807_265
.LBB807_263:                            ;   in Loop: Header=BB807_265 Depth=1
	global_load_dwordx2 v[28:29], v[26:27], off
	global_load_dwordx2 v[30:31], v[24:25], off
	s_add_u32 s26, s26, 1
	s_addc_u32 s27, s27, 0
	s_andn2_b64 s[24:25], s[24:25], exec
	v_lshl_add_u64 v[24:25], v[24:25], 0, 8
	v_lshl_add_u64 v[26:27], v[26:27], 0, 8
	s_waitcnt vmcnt(0)
	v_cmp_neq_f64_e32 vcc, v[28:29], v[30:31]
	s_and_b64 s[28:29], vcc, exec
	s_or_b64 s[24:25], s[24:25], s[28:29]
.LBB807_264:                            ;   in Loop: Header=BB807_265 Depth=1
	s_and_b64 s[28:29], exec, s[24:25]
	s_or_b64 s[18:19], s[28:29], s[18:19]
	v_mov_b64_e32 v[28:29], s[26:27]
	s_andn2_b64 exec, exec, s[18:19]
	s_cbranch_execz .LBB807_268
.LBB807_265:                            ; =>This Inner Loop Header: Depth=1
	s_or_b64 s[24:25], s[24:25], exec
	s_cmp_eq_u64 s[16:17], s[26:27]
	s_cbranch_scc0 .LBB807_263
; %bb.266:                              ;   in Loop: Header=BB807_265 Depth=1
                                        ; implicit-def: $vgpr24_vgpr25
                                        ; implicit-def: $vgpr26_vgpr27
	s_mov_b64 s[26:27], s[12:13]
	s_branch .LBB807_264
.LBB807_267:
                                        ; implicit-def: $vgpr22_vgpr23_vgpr24_vgpr25
                                        ; implicit-def: $sgpr18_sgpr19
                                        ; implicit-def: $vgpr42_vgpr43
                                        ; implicit-def: $vgpr44_vgpr45
                                        ; implicit-def: $vgpr38_vgpr39
                                        ; implicit-def: $vgpr58_vgpr59
                                        ; implicit-def: $vgpr56_vgpr57
                                        ; implicit-def: $vgpr54_vgpr55
                                        ; implicit-def: $vgpr52_vgpr53
                                        ; implicit-def: $vgpr50_vgpr51
                                        ; implicit-def: $vgpr48_vgpr49
                                        ; implicit-def: $vgpr46_vgpr47
                                        ; implicit-def: $vgpr60_vgpr61
                                        ; implicit-def: $vgpr68_vgpr69
                                        ; implicit-def: $vgpr62_vgpr63
                                        ; implicit-def: $vgpr64_vgpr65
                                        ; implicit-def: $vgpr66_vgpr67
                                        ; implicit-def: $vgpr24_vgpr25_vgpr26_vgpr27
                                        ; implicit-def: $vgpr28_vgpr29_vgpr30_vgpr31
                                        ; implicit-def: $vgpr32_vgpr33_vgpr34_vgpr35
	s_cbranch_execnz .LBB807_365
	s_branch .LBB807_488
.LBB807_268:
	s_or_b64 exec, exec, s[18:19]
	v_cmp_gt_i64_e32 vcc, s[12:13], v[28:29]
	s_mov_b32 s16, 0
	v_mov_b32_e32 v43, s16
	v_cndmask_b32_e64 v42, 0, 1, vcc
.LBB807_269:
	s_or_b64 exec, exec, s[2:3]
.LBB807_270:
	v_mul_lo_u32 v1, v19, s12
	v_mul_lo_u32 v26, v18, s13
	v_mad_u64_u32 v[24:25], s[2:3], v18, s12, 0
	v_add3_u32 v25, v25, v26, v1
	v_cndmask_b32_e64 v1, 0, 1, s[4:5]
	v_cmp_ne_u32_e64 s[2:3], 1, v1
	s_andn2_b64 vcc, exec, s[4:5]
	v_lshl_add_u64 v[24:25], v[24:25], 3, s[14:15]
	v_mov_b64_e32 v[44:45], v[38:39]
	s_cbranch_vccnz .LBB807_279
; %bb.271:
	global_load_dwordx2 v[26:27], v[22:23], off
	global_load_dwordx2 v[28:29], v[24:25], off
	v_mov_b64_e32 v[44:45], 1
	s_waitcnt vmcnt(0)
	v_cmp_eq_f64_e32 vcc, v[26:27], v[28:29]
	s_and_saveexec_b64 s[4:5], vcc
	s_cbranch_execz .LBB807_278
; %bb.272:
	s_add_u32 s16, s12, -1
	v_lshl_add_u64 v[26:27], v[24:25], 0, 8
	v_lshl_add_u64 v[22:23], v[22:23], 0, 8
	s_addc_u32 s17, s13, -1
	s_mov_b64 s[18:19], 0
	s_mov_b64 s[26:27], 0
                                        ; implicit-def: $sgpr24_sgpr25
	s_branch .LBB807_275
.LBB807_273:                            ;   in Loop: Header=BB807_275 Depth=1
	global_load_dwordx2 v[28:29], v[22:23], off
	global_load_dwordx2 v[30:31], v[26:27], off
	s_add_u32 s26, s26, 1
	s_addc_u32 s27, s27, 0
	s_andn2_b64 s[24:25], s[24:25], exec
	v_lshl_add_u64 v[26:27], v[26:27], 0, 8
	v_lshl_add_u64 v[22:23], v[22:23], 0, 8
	s_waitcnt vmcnt(0)
	v_cmp_neq_f64_e32 vcc, v[28:29], v[30:31]
	s_and_b64 s[28:29], vcc, exec
	s_or_b64 s[24:25], s[24:25], s[28:29]
.LBB807_274:                            ;   in Loop: Header=BB807_275 Depth=1
	s_and_b64 s[28:29], exec, s[24:25]
	s_or_b64 s[18:19], s[28:29], s[18:19]
	v_mov_b64_e32 v[28:29], s[26:27]
	s_andn2_b64 exec, exec, s[18:19]
	s_cbranch_execz .LBB807_277
.LBB807_275:                            ; =>This Inner Loop Header: Depth=1
	s_or_b64 s[24:25], s[24:25], exec
	s_cmp_eq_u64 s[16:17], s[26:27]
	s_cbranch_scc0 .LBB807_273
; %bb.276:                              ;   in Loop: Header=BB807_275 Depth=1
                                        ; implicit-def: $vgpr26_vgpr27
                                        ; implicit-def: $vgpr22_vgpr23
	s_mov_b64 s[26:27], s[12:13]
	s_branch .LBB807_274
.LBB807_277:
	s_or_b64 exec, exec, s[18:19]
	v_cmp_gt_i64_e32 vcc, s[12:13], v[28:29]
	s_mov_b32 s16, 0
	v_mov_b32_e32 v45, s16
	v_cndmask_b32_e64 v44, 0, 1, vcc
.LBB807_278:
	s_or_b64 exec, exec, s[4:5]
.LBB807_279:
	v_mul_lo_u32 v1, v17, s12
	v_mul_lo_u32 v26, v16, s13
	v_mad_u64_u32 v[22:23], s[4:5], v16, s12, 0
	v_add3_u32 v23, v23, v26, v1
	s_and_b64 vcc, exec, s[2:3]
	v_lshl_add_u64 v[22:23], v[22:23], 3, s[14:15]
	s_cbranch_vccnz .LBB807_288
; %bb.280:
	global_load_dwordx2 v[26:27], v[24:25], off
	global_load_dwordx2 v[28:29], v[22:23], off
	v_mov_b64_e32 v[38:39], 1
	s_waitcnt vmcnt(0)
	v_cmp_eq_f64_e32 vcc, v[26:27], v[28:29]
	s_and_saveexec_b64 s[4:5], vcc
	s_cbranch_execz .LBB807_287
; %bb.281:
	s_add_u32 s16, s12, -1
	v_lshl_add_u64 v[26:27], v[22:23], 0, 8
	v_lshl_add_u64 v[24:25], v[24:25], 0, 8
	s_addc_u32 s17, s13, -1
	s_mov_b64 s[18:19], 0
	s_mov_b64 s[26:27], 0
                                        ; implicit-def: $sgpr24_sgpr25
	s_branch .LBB807_284
.LBB807_282:                            ;   in Loop: Header=BB807_284 Depth=1
	global_load_dwordx2 v[28:29], v[24:25], off
	global_load_dwordx2 v[30:31], v[26:27], off
	s_add_u32 s26, s26, 1
	s_addc_u32 s27, s27, 0
	s_andn2_b64 s[24:25], s[24:25], exec
	v_lshl_add_u64 v[26:27], v[26:27], 0, 8
	v_lshl_add_u64 v[24:25], v[24:25], 0, 8
	s_waitcnt vmcnt(0)
	v_cmp_neq_f64_e32 vcc, v[28:29], v[30:31]
	s_and_b64 s[28:29], vcc, exec
	s_or_b64 s[24:25], s[24:25], s[28:29]
.LBB807_283:                            ;   in Loop: Header=BB807_284 Depth=1
	s_and_b64 s[28:29], exec, s[24:25]
	s_or_b64 s[18:19], s[28:29], s[18:19]
	v_mov_b64_e32 v[28:29], s[26:27]
	s_andn2_b64 exec, exec, s[18:19]
	s_cbranch_execz .LBB807_286
.LBB807_284:                            ; =>This Inner Loop Header: Depth=1
	s_or_b64 s[24:25], s[24:25], exec
	s_cmp_eq_u64 s[16:17], s[26:27]
	s_cbranch_scc0 .LBB807_282
; %bb.285:                              ;   in Loop: Header=BB807_284 Depth=1
                                        ; implicit-def: $vgpr26_vgpr27
                                        ; implicit-def: $vgpr24_vgpr25
	s_mov_b64 s[26:27], s[12:13]
	s_branch .LBB807_283
.LBB807_286:
	s_or_b64 exec, exec, s[18:19]
	v_cmp_gt_i64_e32 vcc, s[12:13], v[28:29]
	s_mov_b32 s16, 0
	v_mov_b32_e32 v39, s16
	v_cndmask_b32_e64 v38, 0, 1, vcc
.LBB807_287:
	s_or_b64 exec, exec, s[4:5]
.LBB807_288:
	v_mul_lo_u32 v1, v15, s12
	v_mul_lo_u32 v26, v14, s13
	v_mad_u64_u32 v[24:25], s[4:5], v14, s12, 0
	v_add3_u32 v25, v25, v26, v1
	v_mov_b64_e32 v[48:49], 0
	s_and_b64 vcc, exec, s[2:3]
	v_lshl_add_u64 v[24:25], v[24:25], 3, s[14:15]
	v_mov_b64_e32 v[46:47], v[48:49]
	s_cbranch_vccnz .LBB807_297
; %bb.289:
	global_load_dwordx2 v[26:27], v[22:23], off
	global_load_dwordx2 v[28:29], v[24:25], off
	v_mov_b64_e32 v[46:47], 1
	s_waitcnt vmcnt(0)
	v_cmp_eq_f64_e32 vcc, v[26:27], v[28:29]
	s_and_saveexec_b64 s[4:5], vcc
	s_cbranch_execz .LBB807_296
; %bb.290:
	s_add_u32 s16, s12, -1
	v_lshl_add_u64 v[26:27], v[24:25], 0, 8
	v_lshl_add_u64 v[22:23], v[22:23], 0, 8
	s_addc_u32 s17, s13, -1
	s_mov_b64 s[18:19], 0
	s_mov_b64 s[26:27], 0
                                        ; implicit-def: $sgpr24_sgpr25
	s_branch .LBB807_293
.LBB807_291:                            ;   in Loop: Header=BB807_293 Depth=1
	global_load_dwordx2 v[28:29], v[22:23], off
	global_load_dwordx2 v[30:31], v[26:27], off
	s_add_u32 s26, s26, 1
	s_addc_u32 s27, s27, 0
	s_andn2_b64 s[24:25], s[24:25], exec
	v_lshl_add_u64 v[26:27], v[26:27], 0, 8
	v_lshl_add_u64 v[22:23], v[22:23], 0, 8
	s_waitcnt vmcnt(0)
	v_cmp_neq_f64_e32 vcc, v[28:29], v[30:31]
	s_and_b64 s[28:29], vcc, exec
	s_or_b64 s[24:25], s[24:25], s[28:29]
.LBB807_292:                            ;   in Loop: Header=BB807_293 Depth=1
	s_and_b64 s[28:29], exec, s[24:25]
	s_or_b64 s[18:19], s[28:29], s[18:19]
	v_mov_b64_e32 v[28:29], s[26:27]
	s_andn2_b64 exec, exec, s[18:19]
	s_cbranch_execz .LBB807_295
.LBB807_293:                            ; =>This Inner Loop Header: Depth=1
	s_or_b64 s[24:25], s[24:25], exec
	s_cmp_eq_u64 s[16:17], s[26:27]
	s_cbranch_scc0 .LBB807_291
; %bb.294:                              ;   in Loop: Header=BB807_293 Depth=1
                                        ; implicit-def: $vgpr26_vgpr27
                                        ; implicit-def: $vgpr22_vgpr23
	s_mov_b64 s[26:27], s[12:13]
	s_branch .LBB807_292
.LBB807_295:
	s_or_b64 exec, exec, s[18:19]
	v_cmp_gt_i64_e32 vcc, s[12:13], v[28:29]
	s_mov_b32 s16, 0
	v_mov_b32_e32 v47, s16
	v_cndmask_b32_e64 v46, 0, 1, vcc
.LBB807_296:
	s_or_b64 exec, exec, s[4:5]
.LBB807_297:
	v_mul_lo_u32 v1, v13, s12
	v_mul_lo_u32 v26, v12, s13
	v_mad_u64_u32 v[22:23], s[4:5], v12, s12, 0
	v_add3_u32 v23, v23, v26, v1
	s_and_b64 vcc, exec, s[2:3]
	v_lshl_add_u64 v[22:23], v[22:23], 3, s[14:15]
	s_cbranch_vccnz .LBB807_306
; %bb.298:
	global_load_dwordx2 v[26:27], v[24:25], off
	global_load_dwordx2 v[28:29], v[22:23], off
	v_mov_b64_e32 v[48:49], 1
	s_waitcnt vmcnt(0)
	v_cmp_eq_f64_e32 vcc, v[26:27], v[28:29]
	s_and_saveexec_b64 s[4:5], vcc
	s_cbranch_execz .LBB807_305
; %bb.299:
	s_add_u32 s16, s12, -1
	v_lshl_add_u64 v[26:27], v[22:23], 0, 8
	v_lshl_add_u64 v[24:25], v[24:25], 0, 8
	s_addc_u32 s17, s13, -1
	s_mov_b64 s[18:19], 0
	s_mov_b64 s[26:27], 0
                                        ; implicit-def: $sgpr24_sgpr25
	s_branch .LBB807_302
.LBB807_300:                            ;   in Loop: Header=BB807_302 Depth=1
	global_load_dwordx2 v[28:29], v[24:25], off
	global_load_dwordx2 v[30:31], v[26:27], off
	s_add_u32 s26, s26, 1
	s_addc_u32 s27, s27, 0
	s_andn2_b64 s[24:25], s[24:25], exec
	v_lshl_add_u64 v[26:27], v[26:27], 0, 8
	v_lshl_add_u64 v[24:25], v[24:25], 0, 8
	s_waitcnt vmcnt(0)
	v_cmp_neq_f64_e32 vcc, v[28:29], v[30:31]
	s_and_b64 s[28:29], vcc, exec
	s_or_b64 s[24:25], s[24:25], s[28:29]
.LBB807_301:                            ;   in Loop: Header=BB807_302 Depth=1
	s_and_b64 s[28:29], exec, s[24:25]
	s_or_b64 s[18:19], s[28:29], s[18:19]
	v_mov_b64_e32 v[28:29], s[26:27]
	s_andn2_b64 exec, exec, s[18:19]
	s_cbranch_execz .LBB807_304
.LBB807_302:                            ; =>This Inner Loop Header: Depth=1
	s_or_b64 s[24:25], s[24:25], exec
	s_cmp_eq_u64 s[16:17], s[26:27]
	s_cbranch_scc0 .LBB807_300
; %bb.303:                              ;   in Loop: Header=BB807_302 Depth=1
                                        ; implicit-def: $vgpr26_vgpr27
                                        ; implicit-def: $vgpr24_vgpr25
	s_mov_b64 s[26:27], s[12:13]
	s_branch .LBB807_301
.LBB807_304:
	s_or_b64 exec, exec, s[18:19]
	v_cmp_gt_i64_e32 vcc, s[12:13], v[28:29]
	s_mov_b32 s16, 0
	v_mov_b32_e32 v49, s16
	v_cndmask_b32_e64 v48, 0, 1, vcc
.LBB807_305:
	s_or_b64 exec, exec, s[4:5]
.LBB807_306:
	v_mul_lo_u32 v1, v11, s12
	v_mul_lo_u32 v26, v10, s13
	v_mad_u64_u32 v[24:25], s[4:5], v10, s12, 0
	v_add3_u32 v25, v25, v26, v1
	v_mov_b64_e32 v[52:53], 0
	s_and_b64 vcc, exec, s[2:3]
	v_lshl_add_u64 v[24:25], v[24:25], 3, s[14:15]
	v_mov_b64_e32 v[50:51], v[52:53]
	s_cbranch_vccnz .LBB807_315
; %bb.307:
	global_load_dwordx2 v[26:27], v[22:23], off
	global_load_dwordx2 v[28:29], v[24:25], off
	v_mov_b64_e32 v[50:51], 1
	s_waitcnt vmcnt(0)
	v_cmp_eq_f64_e32 vcc, v[26:27], v[28:29]
	s_and_saveexec_b64 s[4:5], vcc
	s_cbranch_execz .LBB807_314
; %bb.308:
	s_add_u32 s16, s12, -1
	v_lshl_add_u64 v[26:27], v[24:25], 0, 8
	v_lshl_add_u64 v[22:23], v[22:23], 0, 8
	s_addc_u32 s17, s13, -1
	s_mov_b64 s[18:19], 0
	s_mov_b64 s[26:27], 0
                                        ; implicit-def: $sgpr24_sgpr25
	s_branch .LBB807_311
.LBB807_309:                            ;   in Loop: Header=BB807_311 Depth=1
	global_load_dwordx2 v[28:29], v[22:23], off
	global_load_dwordx2 v[30:31], v[26:27], off
	s_add_u32 s26, s26, 1
	s_addc_u32 s27, s27, 0
	s_andn2_b64 s[24:25], s[24:25], exec
	v_lshl_add_u64 v[26:27], v[26:27], 0, 8
	v_lshl_add_u64 v[22:23], v[22:23], 0, 8
	s_waitcnt vmcnt(0)
	v_cmp_neq_f64_e32 vcc, v[28:29], v[30:31]
	s_and_b64 s[28:29], vcc, exec
	s_or_b64 s[24:25], s[24:25], s[28:29]
.LBB807_310:                            ;   in Loop: Header=BB807_311 Depth=1
	s_and_b64 s[28:29], exec, s[24:25]
	s_or_b64 s[18:19], s[28:29], s[18:19]
	v_mov_b64_e32 v[28:29], s[26:27]
	s_andn2_b64 exec, exec, s[18:19]
	s_cbranch_execz .LBB807_313
.LBB807_311:                            ; =>This Inner Loop Header: Depth=1
	s_or_b64 s[24:25], s[24:25], exec
	s_cmp_eq_u64 s[16:17], s[26:27]
	s_cbranch_scc0 .LBB807_309
; %bb.312:                              ;   in Loop: Header=BB807_311 Depth=1
                                        ; implicit-def: $vgpr26_vgpr27
                                        ; implicit-def: $vgpr22_vgpr23
	s_mov_b64 s[26:27], s[12:13]
	s_branch .LBB807_310
.LBB807_313:
	s_or_b64 exec, exec, s[18:19]
	v_cmp_gt_i64_e32 vcc, s[12:13], v[28:29]
	s_mov_b32 s16, 0
	v_mov_b32_e32 v51, s16
	v_cndmask_b32_e64 v50, 0, 1, vcc
.LBB807_314:
	s_or_b64 exec, exec, s[4:5]
.LBB807_315:
	v_mul_lo_u32 v1, v9, s12
	v_mul_lo_u32 v26, v8, s13
	v_mad_u64_u32 v[22:23], s[4:5], v8, s12, 0
	v_add3_u32 v23, v23, v26, v1
	s_and_b64 vcc, exec, s[2:3]
	v_lshl_add_u64 v[22:23], v[22:23], 3, s[14:15]
	s_cbranch_vccnz .LBB807_324
; %bb.316:
	global_load_dwordx2 v[26:27], v[24:25], off
	global_load_dwordx2 v[28:29], v[22:23], off
	v_mov_b64_e32 v[52:53], 1
	s_waitcnt vmcnt(0)
	v_cmp_eq_f64_e32 vcc, v[26:27], v[28:29]
	s_and_saveexec_b64 s[4:5], vcc
	s_cbranch_execz .LBB807_323
; %bb.317:
	s_add_u32 s16, s12, -1
	v_lshl_add_u64 v[26:27], v[22:23], 0, 8
	v_lshl_add_u64 v[24:25], v[24:25], 0, 8
	s_addc_u32 s17, s13, -1
	s_mov_b64 s[18:19], 0
	s_mov_b64 s[26:27], 0
                                        ; implicit-def: $sgpr24_sgpr25
	s_branch .LBB807_320
.LBB807_318:                            ;   in Loop: Header=BB807_320 Depth=1
	global_load_dwordx2 v[28:29], v[24:25], off
	global_load_dwordx2 v[30:31], v[26:27], off
	s_add_u32 s26, s26, 1
	s_addc_u32 s27, s27, 0
	s_andn2_b64 s[24:25], s[24:25], exec
	v_lshl_add_u64 v[26:27], v[26:27], 0, 8
	v_lshl_add_u64 v[24:25], v[24:25], 0, 8
	s_waitcnt vmcnt(0)
	v_cmp_neq_f64_e32 vcc, v[28:29], v[30:31]
	s_and_b64 s[28:29], vcc, exec
	s_or_b64 s[24:25], s[24:25], s[28:29]
.LBB807_319:                            ;   in Loop: Header=BB807_320 Depth=1
	s_and_b64 s[28:29], exec, s[24:25]
	s_or_b64 s[18:19], s[28:29], s[18:19]
	v_mov_b64_e32 v[28:29], s[26:27]
	s_andn2_b64 exec, exec, s[18:19]
	s_cbranch_execz .LBB807_322
.LBB807_320:                            ; =>This Inner Loop Header: Depth=1
	s_or_b64 s[24:25], s[24:25], exec
	s_cmp_eq_u64 s[16:17], s[26:27]
	s_cbranch_scc0 .LBB807_318
; %bb.321:                              ;   in Loop: Header=BB807_320 Depth=1
                                        ; implicit-def: $vgpr26_vgpr27
                                        ; implicit-def: $vgpr24_vgpr25
	s_mov_b64 s[26:27], s[12:13]
	s_branch .LBB807_319
.LBB807_322:
	s_or_b64 exec, exec, s[18:19]
	v_cmp_gt_i64_e32 vcc, s[12:13], v[28:29]
	s_mov_b32 s16, 0
	v_mov_b32_e32 v53, s16
	v_cndmask_b32_e64 v52, 0, 1, vcc
.LBB807_323:
	s_or_b64 exec, exec, s[4:5]
.LBB807_324:
	v_mul_lo_u32 v1, v7, s12
	v_mul_lo_u32 v26, v6, s13
	v_mad_u64_u32 v[24:25], s[4:5], v6, s12, 0
	v_add3_u32 v25, v25, v26, v1
	v_mov_b64_e32 v[56:57], 0
	s_and_b64 vcc, exec, s[2:3]
	v_lshl_add_u64 v[24:25], v[24:25], 3, s[14:15]
	v_mov_b64_e32 v[54:55], v[56:57]
	s_cbranch_vccnz .LBB807_333
; %bb.325:
	global_load_dwordx2 v[26:27], v[22:23], off
	global_load_dwordx2 v[28:29], v[24:25], off
	v_mov_b64_e32 v[54:55], 1
	s_waitcnt vmcnt(0)
	v_cmp_eq_f64_e32 vcc, v[26:27], v[28:29]
	s_and_saveexec_b64 s[4:5], vcc
	s_cbranch_execz .LBB807_332
; %bb.326:
	s_add_u32 s16, s12, -1
	v_lshl_add_u64 v[26:27], v[24:25], 0, 8
	v_lshl_add_u64 v[22:23], v[22:23], 0, 8
	s_addc_u32 s17, s13, -1
	s_mov_b64 s[18:19], 0
	s_mov_b64 s[26:27], 0
                                        ; implicit-def: $sgpr24_sgpr25
	s_branch .LBB807_329
.LBB807_327:                            ;   in Loop: Header=BB807_329 Depth=1
	global_load_dwordx2 v[28:29], v[22:23], off
	global_load_dwordx2 v[30:31], v[26:27], off
	s_add_u32 s26, s26, 1
	s_addc_u32 s27, s27, 0
	s_andn2_b64 s[24:25], s[24:25], exec
	v_lshl_add_u64 v[26:27], v[26:27], 0, 8
	v_lshl_add_u64 v[22:23], v[22:23], 0, 8
	s_waitcnt vmcnt(0)
	v_cmp_neq_f64_e32 vcc, v[28:29], v[30:31]
	s_and_b64 s[28:29], vcc, exec
	s_or_b64 s[24:25], s[24:25], s[28:29]
.LBB807_328:                            ;   in Loop: Header=BB807_329 Depth=1
	s_and_b64 s[28:29], exec, s[24:25]
	s_or_b64 s[18:19], s[28:29], s[18:19]
	v_mov_b64_e32 v[28:29], s[26:27]
	s_andn2_b64 exec, exec, s[18:19]
	s_cbranch_execz .LBB807_331
.LBB807_329:                            ; =>This Inner Loop Header: Depth=1
	s_or_b64 s[24:25], s[24:25], exec
	s_cmp_eq_u64 s[16:17], s[26:27]
	s_cbranch_scc0 .LBB807_327
; %bb.330:                              ;   in Loop: Header=BB807_329 Depth=1
                                        ; implicit-def: $vgpr26_vgpr27
                                        ; implicit-def: $vgpr22_vgpr23
	s_mov_b64 s[26:27], s[12:13]
	s_branch .LBB807_328
.LBB807_331:
	s_or_b64 exec, exec, s[18:19]
	v_cmp_gt_i64_e32 vcc, s[12:13], v[28:29]
	s_mov_b32 s16, 0
	v_mov_b32_e32 v55, s16
	v_cndmask_b32_e64 v54, 0, 1, vcc
.LBB807_332:
	s_or_b64 exec, exec, s[4:5]
.LBB807_333:
	v_mul_lo_u32 v1, v5, s12
	v_mul_lo_u32 v26, v4, s13
	v_mad_u64_u32 v[22:23], s[4:5], v4, s12, 0
	v_add3_u32 v23, v23, v26, v1
	s_and_b64 vcc, exec, s[2:3]
	v_lshl_add_u64 v[22:23], v[22:23], 3, s[14:15]
	s_cbranch_vccnz .LBB807_342
; %bb.334:
	global_load_dwordx2 v[26:27], v[24:25], off
	global_load_dwordx2 v[28:29], v[22:23], off
	v_mov_b64_e32 v[56:57], 1
	s_waitcnt vmcnt(0)
	v_cmp_eq_f64_e32 vcc, v[26:27], v[28:29]
	s_and_saveexec_b64 s[4:5], vcc
	s_cbranch_execz .LBB807_341
; %bb.335:
	s_add_u32 s16, s12, -1
	v_lshl_add_u64 v[26:27], v[22:23], 0, 8
	v_lshl_add_u64 v[24:25], v[24:25], 0, 8
	s_addc_u32 s17, s13, -1
	s_mov_b64 s[18:19], 0
	s_mov_b64 s[26:27], 0
                                        ; implicit-def: $sgpr24_sgpr25
	s_branch .LBB807_338
.LBB807_336:                            ;   in Loop: Header=BB807_338 Depth=1
	global_load_dwordx2 v[28:29], v[24:25], off
	global_load_dwordx2 v[30:31], v[26:27], off
	s_add_u32 s26, s26, 1
	s_addc_u32 s27, s27, 0
	s_andn2_b64 s[24:25], s[24:25], exec
	v_lshl_add_u64 v[26:27], v[26:27], 0, 8
	v_lshl_add_u64 v[24:25], v[24:25], 0, 8
	s_waitcnt vmcnt(0)
	v_cmp_neq_f64_e32 vcc, v[28:29], v[30:31]
	s_and_b64 s[28:29], vcc, exec
	s_or_b64 s[24:25], s[24:25], s[28:29]
.LBB807_337:                            ;   in Loop: Header=BB807_338 Depth=1
	s_and_b64 s[28:29], exec, s[24:25]
	s_or_b64 s[18:19], s[28:29], s[18:19]
	v_mov_b64_e32 v[28:29], s[26:27]
	s_andn2_b64 exec, exec, s[18:19]
	s_cbranch_execz .LBB807_340
.LBB807_338:                            ; =>This Inner Loop Header: Depth=1
	s_or_b64 s[24:25], s[24:25], exec
	s_cmp_eq_u64 s[16:17], s[26:27]
	s_cbranch_scc0 .LBB807_336
; %bb.339:                              ;   in Loop: Header=BB807_338 Depth=1
                                        ; implicit-def: $vgpr26_vgpr27
                                        ; implicit-def: $vgpr24_vgpr25
	s_mov_b64 s[26:27], s[12:13]
	s_branch .LBB807_337
.LBB807_340:
	s_or_b64 exec, exec, s[18:19]
	v_cmp_gt_i64_e32 vcc, s[12:13], v[28:29]
	s_mov_b32 s16, 0
	v_mov_b32_e32 v57, s16
	v_cndmask_b32_e64 v56, 0, 1, vcc
.LBB807_341:
	s_or_b64 exec, exec, s[4:5]
.LBB807_342:
	s_and_b64 vcc, exec, s[2:3]
	s_cbranch_vccnz .LBB807_349
; %bb.343:
	v_mul_lo_u32 v1, v3, s12
	v_mul_lo_u32 v26, v2, s13
	v_mad_u64_u32 v[24:25], s[4:5], v2, s12, 0
	v_add3_u32 v25, v25, v26, v1
	v_lshl_add_u64 v[24:25], v[24:25], 3, s[14:15]
	global_load_dwordx2 v[26:27], v[22:23], off
	global_load_dwordx2 v[28:29], v[24:25], off
	v_mov_b64_e32 v[58:59], 1
	s_waitcnt vmcnt(0)
	v_cmp_eq_f64_e32 vcc, v[26:27], v[28:29]
	s_and_saveexec_b64 s[4:5], vcc
	s_cbranch_execz .LBB807_351
; %bb.344:
	s_add_u32 s16, s12, -1
	v_lshl_add_u64 v[24:25], v[24:25], 0, 8
	v_lshl_add_u64 v[22:23], v[22:23], 0, 8
	s_addc_u32 s17, s13, -1
	s_mov_b64 s[18:19], 0
	s_mov_b64 s[26:27], 0
                                        ; implicit-def: $sgpr24_sgpr25
	s_branch .LBB807_347
.LBB807_345:                            ;   in Loop: Header=BB807_347 Depth=1
	global_load_dwordx2 v[26:27], v[22:23], off
	global_load_dwordx2 v[28:29], v[24:25], off
	s_add_u32 s26, s26, 1
	s_addc_u32 s27, s27, 0
	s_andn2_b64 s[24:25], s[24:25], exec
	v_lshl_add_u64 v[24:25], v[24:25], 0, 8
	v_lshl_add_u64 v[22:23], v[22:23], 0, 8
	s_waitcnt vmcnt(0)
	v_cmp_neq_f64_e32 vcc, v[26:27], v[28:29]
	s_and_b64 s[28:29], vcc, exec
	s_or_b64 s[24:25], s[24:25], s[28:29]
.LBB807_346:                            ;   in Loop: Header=BB807_347 Depth=1
	s_and_b64 s[28:29], exec, s[24:25]
	s_or_b64 s[18:19], s[28:29], s[18:19]
	v_mov_b64_e32 v[26:27], s[26:27]
	s_andn2_b64 exec, exec, s[18:19]
	s_cbranch_execz .LBB807_350
.LBB807_347:                            ; =>This Inner Loop Header: Depth=1
	s_or_b64 s[24:25], s[24:25], exec
	s_cmp_eq_u64 s[16:17], s[26:27]
	s_cbranch_scc0 .LBB807_345
; %bb.348:                              ;   in Loop: Header=BB807_347 Depth=1
                                        ; implicit-def: $vgpr24_vgpr25
                                        ; implicit-def: $vgpr22_vgpr23
	s_mov_b64 s[26:27], s[12:13]
	s_branch .LBB807_346
.LBB807_349:
	v_mov_b64_e32 v[58:59], 0
	s_branch .LBB807_352
.LBB807_350:
	s_or_b64 exec, exec, s[18:19]
	v_cmp_gt_i64_e32 vcc, s[12:13], v[26:27]
	s_mov_b32 s16, 0
	v_mov_b32_e32 v59, s16
	v_cndmask_b32_e64 v58, 0, 1, vcc
.LBB807_351:
	s_or_b64 exec, exec, s[4:5]
.LBB807_352:
	v_cmp_ne_u32_e32 vcc, 0, v0
	s_waitcnt lgkmcnt(0)
	s_barrier
	s_waitcnt lgkmcnt(0)
                                        ; implicit-def: $sgpr18_sgpr19
	s_and_saveexec_b64 s[4:5], vcc
	s_cbranch_execz .LBB807_364
; %bb.353:
	s_and_b64 vcc, exec, s[2:3]
	s_cbranch_vccnz .LBB807_360
; %bb.354:
	v_add_u32_e32 v22, -8, v40
	ds_read_b64 v[22:23], v22
	v_mul_lo_u32 v1, v3, s12
	v_mul_lo_u32 v26, v2, s13
	v_mad_u64_u32 v[24:25], s[2:3], v2, s12, 0
	v_add3_u32 v25, v25, v26, v1
	s_waitcnt lgkmcnt(0)
	v_mul_lo_u32 v1, v23, s12
	v_mul_lo_u32 v26, v22, s13
	v_mad_u64_u32 v[22:23], s[2:3], v22, s12, 0
	v_add3_u32 v23, v23, v26, v1
	v_lshl_add_u64 v[24:25], v[24:25], 3, s[14:15]
	v_lshl_add_u64 v[22:23], v[22:23], 3, s[14:15]
	global_load_dwordx2 v[26:27], v[24:25], off
	global_load_dwordx2 v[28:29], v[22:23], off
	s_mov_b64 s[16:17], -1
	s_waitcnt vmcnt(0)
	v_cmp_eq_f64_e32 vcc, v[26:27], v[28:29]
	s_and_saveexec_b64 s[2:3], vcc
	s_cbranch_execz .LBB807_362
; %bb.355:
	s_add_u32 s16, s12, -1
	v_lshl_add_u64 v[22:23], v[22:23], 0, 8
	v_lshl_add_u64 v[24:25], v[24:25], 0, 8
	s_addc_u32 s17, s13, -1
	s_mov_b64 s[18:19], 0
	s_mov_b64 s[26:27], 0
                                        ; implicit-def: $sgpr24_sgpr25
	s_branch .LBB807_358
.LBB807_356:                            ;   in Loop: Header=BB807_358 Depth=1
	global_load_dwordx2 v[26:27], v[24:25], off
	global_load_dwordx2 v[28:29], v[22:23], off
	s_add_u32 s26, s26, 1
	s_addc_u32 s27, s27, 0
	s_andn2_b64 s[24:25], s[24:25], exec
	v_lshl_add_u64 v[22:23], v[22:23], 0, 8
	v_lshl_add_u64 v[24:25], v[24:25], 0, 8
	s_waitcnt vmcnt(0)
	v_cmp_neq_f64_e32 vcc, v[26:27], v[28:29]
	s_and_b64 s[28:29], vcc, exec
	s_or_b64 s[24:25], s[24:25], s[28:29]
.LBB807_357:                            ;   in Loop: Header=BB807_358 Depth=1
	s_and_b64 s[28:29], exec, s[24:25]
	s_or_b64 s[18:19], s[28:29], s[18:19]
	v_mov_b64_e32 v[26:27], s[26:27]
	s_andn2_b64 exec, exec, s[18:19]
	s_cbranch_execz .LBB807_361
.LBB807_358:                            ; =>This Inner Loop Header: Depth=1
	s_or_b64 s[24:25], s[24:25], exec
	s_cmp_eq_u64 s[16:17], s[26:27]
	s_cbranch_scc0 .LBB807_356
; %bb.359:                              ;   in Loop: Header=BB807_358 Depth=1
                                        ; implicit-def: $vgpr22_vgpr23
                                        ; implicit-def: $vgpr24_vgpr25
	s_mov_b64 s[26:27], s[12:13]
	s_branch .LBB807_357
.LBB807_360:
	s_mov_b64 s[16:17], 0
	s_branch .LBB807_363
.LBB807_361:
	s_or_b64 exec, exec, s[18:19]
	v_cmp_gt_i64_e32 vcc, s[12:13], v[26:27]
	s_orn2_b64 s[16:17], vcc, exec
.LBB807_362:
	s_or_b64 exec, exec, s[2:3]
.LBB807_363:
	s_and_b64 s[18:19], s[16:17], exec
	s_or_b64 s[22:23], s[22:23], exec
.LBB807_364:
	s_or_b64 exec, exec, s[4:5]
	v_mov_b64_e32 v[60:61], v[44:45]
	v_mov_b64_e32 v[22:23], v[38:39]
	;; [unrolled: 1-line block ×9, first 2 shown]
	s_branch .LBB807_488
.LBB807_365:
	s_waitcnt lgkmcnt(0)
	v_mad_u32_u24 v22, v0, 11, 10
	v_cmp_gt_i64_e64 s[2:3], s[12:13], 0
	v_cmp_gt_u32_e32 vcc, s10, v22
	v_mul_u32_u24_e32 v1, 11, v0
	v_cndmask_b32_e64 v22, 0, 1, s[2:3]
	v_cmp_ne_u32_e64 s[2:3], 1, v22
	ds_write_b64 v40, v[36:37]
	s_and_saveexec_b64 s[4:5], vcc
	s_cbranch_execz .LBB807_376
; %bb.366:
	s_and_b64 vcc, exec, s[2:3]
	s_cbranch_vccnz .LBB807_373
; %bb.367:
	v_mul_lo_u32 v24, v37, s12
	v_mul_lo_u32 v25, v36, s13
	v_mad_u64_u32 v[22:23], s[16:17], v36, s12, 0
	v_add3_u32 v23, v23, v25, v24
	v_mul_lo_u32 v24, v21, s12
	v_mul_lo_u32 v25, v20, s13
	v_mad_u64_u32 v[26:27], s[16:17], v20, s12, 0
	v_add3_u32 v27, v27, v25, v24
	v_lshl_add_u64 v[24:25], v[22:23], 3, s[14:15]
	v_lshl_add_u64 v[22:23], v[26:27], 3, s[14:15]
	global_load_dwordx2 v[26:27], v[24:25], off
	global_load_dwordx2 v[28:29], v[22:23], off
	v_mov_b64_e32 v[36:37], 1
	s_waitcnt vmcnt(0)
	v_cmp_eq_f64_e32 vcc, v[26:27], v[28:29]
	s_and_saveexec_b64 s[16:17], vcc
	s_cbranch_execz .LBB807_375
; %bb.368:
	s_add_u32 s18, s12, -1
	v_lshl_add_u64 v[22:23], v[22:23], 0, 8
	v_lshl_add_u64 v[24:25], v[24:25], 0, 8
	s_addc_u32 s19, s13, -1
	s_mov_b64 s[24:25], 0
	s_mov_b64 s[28:29], 0
                                        ; implicit-def: $sgpr26_sgpr27
	s_branch .LBB807_371
.LBB807_369:                            ;   in Loop: Header=BB807_371 Depth=1
	global_load_dwordx2 v[26:27], v[24:25], off
	global_load_dwordx2 v[28:29], v[22:23], off
	s_add_u32 s28, s28, 1
	s_addc_u32 s29, s29, 0
	s_andn2_b64 s[26:27], s[26:27], exec
	v_lshl_add_u64 v[22:23], v[22:23], 0, 8
	v_lshl_add_u64 v[24:25], v[24:25], 0, 8
	s_waitcnt vmcnt(0)
	v_cmp_neq_f64_e32 vcc, v[26:27], v[28:29]
	s_and_b64 s[30:31], vcc, exec
	s_or_b64 s[26:27], s[26:27], s[30:31]
.LBB807_370:                            ;   in Loop: Header=BB807_371 Depth=1
	s_and_b64 s[30:31], exec, s[26:27]
	s_or_b64 s[24:25], s[30:31], s[24:25]
	v_mov_b64_e32 v[26:27], s[28:29]
	s_andn2_b64 exec, exec, s[24:25]
	s_cbranch_execz .LBB807_374
.LBB807_371:                            ; =>This Inner Loop Header: Depth=1
	s_or_b64 s[26:27], s[26:27], exec
	s_cmp_eq_u64 s[18:19], s[28:29]
	s_cbranch_scc0 .LBB807_369
; %bb.372:                              ;   in Loop: Header=BB807_371 Depth=1
                                        ; implicit-def: $vgpr22_vgpr23
                                        ; implicit-def: $vgpr24_vgpr25
	s_mov_b64 s[28:29], s[12:13]
	s_branch .LBB807_370
.LBB807_373:
	v_mov_b64_e32 v[36:37], 0
	s_branch .LBB807_376
.LBB807_374:
	s_or_b64 exec, exec, s[24:25]
	v_cmp_gt_i64_e32 vcc, s[12:13], v[26:27]
	s_mov_b32 s18, 0
	v_mov_b32_e32 v37, s18
	v_cndmask_b32_e64 v36, 0, 1, vcc
.LBB807_375:
	s_or_b64 exec, exec, s[16:17]
.LBB807_376:
	s_or_b64 exec, exec, s[4:5]
	v_add_u32_e32 v22, 9, v1
	v_cmp_gt_u32_e32 vcc, s10, v22
	s_and_saveexec_b64 s[4:5], vcc
	s_cbranch_execz .LBB807_387
; %bb.377:
	s_and_b64 vcc, exec, s[2:3]
	s_cbranch_vccnz .LBB807_384
; %bb.378:
	v_mul_lo_u32 v22, v21, s12
	v_mul_lo_u32 v23, v20, s13
	v_mad_u64_u32 v[20:21], s[16:17], v20, s12, 0
	v_add3_u32 v21, v21, v23, v22
	v_mul_lo_u32 v22, v19, s12
	v_mul_lo_u32 v23, v18, s13
	v_mad_u64_u32 v[24:25], s[16:17], v18, s12, 0
	v_add3_u32 v25, v25, v23, v22
	v_lshl_add_u64 v[22:23], v[20:21], 3, s[14:15]
	v_lshl_add_u64 v[24:25], v[24:25], 3, s[14:15]
	global_load_dwordx2 v[20:21], v[22:23], off
	global_load_dwordx2 v[26:27], v[24:25], off
	s_waitcnt vmcnt(0)
	v_cmp_eq_f64_e32 vcc, v[20:21], v[26:27]
	v_mov_b64_e32 v[20:21], 1
	s_and_saveexec_b64 s[16:17], vcc
	s_cbranch_execz .LBB807_386
; %bb.379:
	s_add_u32 s18, s12, -1
	v_lshl_add_u64 v[20:21], v[24:25], 0, 8
	v_lshl_add_u64 v[22:23], v[22:23], 0, 8
	s_addc_u32 s19, s13, -1
	s_mov_b64 s[24:25], 0
	s_mov_b64 s[28:29], 0
                                        ; implicit-def: $sgpr26_sgpr27
	s_branch .LBB807_382
.LBB807_380:                            ;   in Loop: Header=BB807_382 Depth=1
	global_load_dwordx2 v[24:25], v[22:23], off
	global_load_dwordx2 v[26:27], v[20:21], off
	s_add_u32 s28, s28, 1
	s_addc_u32 s29, s29, 0
	s_andn2_b64 s[26:27], s[26:27], exec
	v_lshl_add_u64 v[20:21], v[20:21], 0, 8
	v_lshl_add_u64 v[22:23], v[22:23], 0, 8
	s_waitcnt vmcnt(0)
	v_cmp_neq_f64_e32 vcc, v[24:25], v[26:27]
	s_and_b64 s[30:31], vcc, exec
	s_or_b64 s[26:27], s[26:27], s[30:31]
.LBB807_381:                            ;   in Loop: Header=BB807_382 Depth=1
	s_and_b64 s[30:31], exec, s[26:27]
	s_or_b64 s[24:25], s[30:31], s[24:25]
	v_mov_b64_e32 v[24:25], s[28:29]
	s_andn2_b64 exec, exec, s[24:25]
	s_cbranch_execz .LBB807_385
.LBB807_382:                            ; =>This Inner Loop Header: Depth=1
	s_or_b64 s[26:27], s[26:27], exec
	s_cmp_eq_u64 s[18:19], s[28:29]
	s_cbranch_scc0 .LBB807_380
; %bb.383:                              ;   in Loop: Header=BB807_382 Depth=1
                                        ; implicit-def: $vgpr20_vgpr21
                                        ; implicit-def: $vgpr22_vgpr23
	s_mov_b64 s[28:29], s[12:13]
	s_branch .LBB807_381
.LBB807_384:
	v_mov_b64_e32 v[20:21], 0
	s_branch .LBB807_387
.LBB807_385:
	s_or_b64 exec, exec, s[24:25]
	v_cmp_gt_i64_e32 vcc, s[12:13], v[24:25]
	s_mov_b32 s18, 0
	v_mov_b32_e32 v21, s18
	v_cndmask_b32_e64 v20, 0, 1, vcc
.LBB807_386:
	s_or_b64 exec, exec, s[16:17]
.LBB807_387:
	s_or_b64 exec, exec, s[4:5]
	v_add_u32_e32 v22, 8, v1
	v_cmp_gt_u32_e32 vcc, s10, v22
	s_and_saveexec_b64 s[4:5], vcc
	s_cbranch_execz .LBB807_398
; %bb.388:
	s_and_b64 vcc, exec, s[2:3]
	s_cbranch_vccnz .LBB807_395
; %bb.389:
	v_mul_lo_u32 v22, v19, s12
	v_mul_lo_u32 v23, v18, s13
	v_mad_u64_u32 v[18:19], s[16:17], v18, s12, 0
	v_add3_u32 v19, v19, v23, v22
	v_mul_lo_u32 v22, v17, s12
	v_mul_lo_u32 v23, v16, s13
	v_mad_u64_u32 v[24:25], s[16:17], v16, s12, 0
	v_add3_u32 v25, v25, v23, v22
	v_lshl_add_u64 v[22:23], v[18:19], 3, s[14:15]
	v_lshl_add_u64 v[24:25], v[24:25], 3, s[14:15]
	global_load_dwordx2 v[18:19], v[22:23], off
	global_load_dwordx2 v[26:27], v[24:25], off
	s_waitcnt vmcnt(0)
	v_cmp_eq_f64_e32 vcc, v[18:19], v[26:27]
	v_mov_b64_e32 v[18:19], 1
	s_and_saveexec_b64 s[16:17], vcc
	s_cbranch_execz .LBB807_397
; %bb.390:
	s_add_u32 s18, s12, -1
	v_lshl_add_u64 v[18:19], v[24:25], 0, 8
	v_lshl_add_u64 v[22:23], v[22:23], 0, 8
	s_addc_u32 s19, s13, -1
	s_mov_b64 s[24:25], 0
	s_mov_b64 s[28:29], 0
                                        ; implicit-def: $sgpr26_sgpr27
	s_branch .LBB807_393
.LBB807_391:                            ;   in Loop: Header=BB807_393 Depth=1
	global_load_dwordx2 v[24:25], v[22:23], off
	global_load_dwordx2 v[26:27], v[18:19], off
	s_add_u32 s28, s28, 1
	s_addc_u32 s29, s29, 0
	s_andn2_b64 s[26:27], s[26:27], exec
	v_lshl_add_u64 v[18:19], v[18:19], 0, 8
	v_lshl_add_u64 v[22:23], v[22:23], 0, 8
	s_waitcnt vmcnt(0)
	v_cmp_neq_f64_e32 vcc, v[24:25], v[26:27]
	s_and_b64 s[30:31], vcc, exec
	s_or_b64 s[26:27], s[26:27], s[30:31]
.LBB807_392:                            ;   in Loop: Header=BB807_393 Depth=1
	s_and_b64 s[30:31], exec, s[26:27]
	s_or_b64 s[24:25], s[30:31], s[24:25]
	v_mov_b64_e32 v[24:25], s[28:29]
	s_andn2_b64 exec, exec, s[24:25]
	s_cbranch_execz .LBB807_396
.LBB807_393:                            ; =>This Inner Loop Header: Depth=1
	s_or_b64 s[26:27], s[26:27], exec
	s_cmp_eq_u64 s[18:19], s[28:29]
	s_cbranch_scc0 .LBB807_391
; %bb.394:                              ;   in Loop: Header=BB807_393 Depth=1
                                        ; implicit-def: $vgpr18_vgpr19
                                        ; implicit-def: $vgpr22_vgpr23
	s_mov_b64 s[28:29], s[12:13]
	s_branch .LBB807_392
.LBB807_395:
	v_mov_b64_e32 v[18:19], 0
	s_branch .LBB807_398
.LBB807_396:
	s_or_b64 exec, exec, s[24:25]
	v_cmp_gt_i64_e32 vcc, s[12:13], v[24:25]
	s_mov_b32 s18, 0
	v_mov_b32_e32 v19, s18
	v_cndmask_b32_e64 v18, 0, 1, vcc
.LBB807_397:
	s_or_b64 exec, exec, s[16:17]
.LBB807_398:
	s_or_b64 exec, exec, s[4:5]
	v_add_u32_e32 v22, 7, v1
	v_cmp_gt_u32_e32 vcc, s10, v22
	s_and_saveexec_b64 s[4:5], vcc
	s_cbranch_execz .LBB807_409
; %bb.399:
	s_and_b64 vcc, exec, s[2:3]
	s_cbranch_vccnz .LBB807_406
; %bb.400:
	v_mul_lo_u32 v22, v17, s12
	v_mul_lo_u32 v23, v16, s13
	v_mad_u64_u32 v[16:17], s[16:17], v16, s12, 0
	v_add3_u32 v17, v17, v23, v22
	v_mul_lo_u32 v22, v15, s12
	v_mul_lo_u32 v23, v14, s13
	v_mad_u64_u32 v[24:25], s[16:17], v14, s12, 0
	v_add3_u32 v25, v25, v23, v22
	v_lshl_add_u64 v[22:23], v[16:17], 3, s[14:15]
	v_lshl_add_u64 v[24:25], v[24:25], 3, s[14:15]
	global_load_dwordx2 v[16:17], v[22:23], off
	global_load_dwordx2 v[26:27], v[24:25], off
	s_waitcnt vmcnt(0)
	v_cmp_eq_f64_e32 vcc, v[16:17], v[26:27]
	v_mov_b64_e32 v[16:17], 1
	s_and_saveexec_b64 s[16:17], vcc
	s_cbranch_execz .LBB807_408
; %bb.401:
	s_add_u32 s18, s12, -1
	v_lshl_add_u64 v[16:17], v[24:25], 0, 8
	v_lshl_add_u64 v[22:23], v[22:23], 0, 8
	s_addc_u32 s19, s13, -1
	s_mov_b64 s[24:25], 0
	s_mov_b64 s[28:29], 0
                                        ; implicit-def: $sgpr26_sgpr27
	s_branch .LBB807_404
.LBB807_402:                            ;   in Loop: Header=BB807_404 Depth=1
	global_load_dwordx2 v[24:25], v[22:23], off
	global_load_dwordx2 v[26:27], v[16:17], off
	s_add_u32 s28, s28, 1
	s_addc_u32 s29, s29, 0
	s_andn2_b64 s[26:27], s[26:27], exec
	v_lshl_add_u64 v[16:17], v[16:17], 0, 8
	v_lshl_add_u64 v[22:23], v[22:23], 0, 8
	s_waitcnt vmcnt(0)
	v_cmp_neq_f64_e32 vcc, v[24:25], v[26:27]
	s_and_b64 s[30:31], vcc, exec
	s_or_b64 s[26:27], s[26:27], s[30:31]
.LBB807_403:                            ;   in Loop: Header=BB807_404 Depth=1
	s_and_b64 s[30:31], exec, s[26:27]
	s_or_b64 s[24:25], s[30:31], s[24:25]
	v_mov_b64_e32 v[24:25], s[28:29]
	s_andn2_b64 exec, exec, s[24:25]
	s_cbranch_execz .LBB807_407
.LBB807_404:                            ; =>This Inner Loop Header: Depth=1
	s_or_b64 s[26:27], s[26:27], exec
	s_cmp_eq_u64 s[18:19], s[28:29]
	s_cbranch_scc0 .LBB807_402
; %bb.405:                              ;   in Loop: Header=BB807_404 Depth=1
                                        ; implicit-def: $vgpr16_vgpr17
                                        ; implicit-def: $vgpr22_vgpr23
	s_mov_b64 s[28:29], s[12:13]
	s_branch .LBB807_403
.LBB807_406:
	v_mov_b64_e32 v[16:17], 0
	s_branch .LBB807_409
.LBB807_407:
	s_or_b64 exec, exec, s[24:25]
	v_cmp_gt_i64_e32 vcc, s[12:13], v[24:25]
	s_mov_b32 s18, 0
	v_mov_b32_e32 v17, s18
	v_cndmask_b32_e64 v16, 0, 1, vcc
.LBB807_408:
	s_or_b64 exec, exec, s[16:17]
.LBB807_409:
	s_or_b64 exec, exec, s[4:5]
	v_add_u32_e32 v22, 6, v1
	v_cmp_gt_u32_e32 vcc, s10, v22
	s_and_saveexec_b64 s[4:5], vcc
	s_cbranch_execz .LBB807_420
; %bb.410:
	s_and_b64 vcc, exec, s[2:3]
	s_cbranch_vccnz .LBB807_417
; %bb.411:
	v_mul_lo_u32 v22, v15, s12
	v_mul_lo_u32 v23, v14, s13
	v_mad_u64_u32 v[14:15], s[16:17], v14, s12, 0
	v_add3_u32 v15, v15, v23, v22
	v_mul_lo_u32 v22, v13, s12
	v_mul_lo_u32 v23, v12, s13
	v_mad_u64_u32 v[24:25], s[16:17], v12, s12, 0
	v_add3_u32 v25, v25, v23, v22
	v_lshl_add_u64 v[22:23], v[14:15], 3, s[14:15]
	v_lshl_add_u64 v[24:25], v[24:25], 3, s[14:15]
	global_load_dwordx2 v[14:15], v[22:23], off
	global_load_dwordx2 v[26:27], v[24:25], off
	s_waitcnt vmcnt(0)
	v_cmp_eq_f64_e32 vcc, v[14:15], v[26:27]
	v_mov_b64_e32 v[14:15], 1
	s_and_saveexec_b64 s[16:17], vcc
	s_cbranch_execz .LBB807_419
; %bb.412:
	s_add_u32 s18, s12, -1
	v_lshl_add_u64 v[14:15], v[24:25], 0, 8
	v_lshl_add_u64 v[22:23], v[22:23], 0, 8
	s_addc_u32 s19, s13, -1
	s_mov_b64 s[24:25], 0
	s_mov_b64 s[28:29], 0
                                        ; implicit-def: $sgpr26_sgpr27
	s_branch .LBB807_415
.LBB807_413:                            ;   in Loop: Header=BB807_415 Depth=1
	global_load_dwordx2 v[24:25], v[22:23], off
	global_load_dwordx2 v[26:27], v[14:15], off
	s_add_u32 s28, s28, 1
	s_addc_u32 s29, s29, 0
	s_andn2_b64 s[26:27], s[26:27], exec
	v_lshl_add_u64 v[14:15], v[14:15], 0, 8
	v_lshl_add_u64 v[22:23], v[22:23], 0, 8
	s_waitcnt vmcnt(0)
	v_cmp_neq_f64_e32 vcc, v[24:25], v[26:27]
	s_and_b64 s[30:31], vcc, exec
	s_or_b64 s[26:27], s[26:27], s[30:31]
.LBB807_414:                            ;   in Loop: Header=BB807_415 Depth=1
	s_and_b64 s[30:31], exec, s[26:27]
	s_or_b64 s[24:25], s[30:31], s[24:25]
	v_mov_b64_e32 v[24:25], s[28:29]
	s_andn2_b64 exec, exec, s[24:25]
	s_cbranch_execz .LBB807_418
.LBB807_415:                            ; =>This Inner Loop Header: Depth=1
	s_or_b64 s[26:27], s[26:27], exec
	s_cmp_eq_u64 s[18:19], s[28:29]
	s_cbranch_scc0 .LBB807_413
; %bb.416:                              ;   in Loop: Header=BB807_415 Depth=1
                                        ; implicit-def: $vgpr14_vgpr15
                                        ; implicit-def: $vgpr22_vgpr23
	s_mov_b64 s[28:29], s[12:13]
	s_branch .LBB807_414
.LBB807_417:
	v_mov_b64_e32 v[14:15], 0
	s_branch .LBB807_420
.LBB807_418:
	s_or_b64 exec, exec, s[24:25]
	v_cmp_gt_i64_e32 vcc, s[12:13], v[24:25]
	s_mov_b32 s18, 0
	v_mov_b32_e32 v15, s18
	v_cndmask_b32_e64 v14, 0, 1, vcc
.LBB807_419:
	s_or_b64 exec, exec, s[16:17]
.LBB807_420:
	s_or_b64 exec, exec, s[4:5]
	v_add_u32_e32 v22, 5, v1
	v_cmp_gt_u32_e32 vcc, s10, v22
	s_and_saveexec_b64 s[4:5], vcc
	s_cbranch_execz .LBB807_431
; %bb.421:
	s_and_b64 vcc, exec, s[2:3]
	s_cbranch_vccnz .LBB807_428
; %bb.422:
	v_mul_lo_u32 v22, v13, s12
	v_mul_lo_u32 v23, v12, s13
	v_mad_u64_u32 v[12:13], s[16:17], v12, s12, 0
	v_add3_u32 v13, v13, v23, v22
	v_mul_lo_u32 v22, v11, s12
	v_mul_lo_u32 v23, v10, s13
	v_mad_u64_u32 v[24:25], s[16:17], v10, s12, 0
	v_add3_u32 v25, v25, v23, v22
	v_lshl_add_u64 v[22:23], v[12:13], 3, s[14:15]
	v_lshl_add_u64 v[24:25], v[24:25], 3, s[14:15]
	global_load_dwordx2 v[12:13], v[22:23], off
	global_load_dwordx2 v[26:27], v[24:25], off
	s_waitcnt vmcnt(0)
	v_cmp_eq_f64_e32 vcc, v[12:13], v[26:27]
	v_mov_b64_e32 v[12:13], 1
	s_and_saveexec_b64 s[16:17], vcc
	s_cbranch_execz .LBB807_430
; %bb.423:
	s_add_u32 s18, s12, -1
	v_lshl_add_u64 v[12:13], v[24:25], 0, 8
	v_lshl_add_u64 v[22:23], v[22:23], 0, 8
	s_addc_u32 s19, s13, -1
	s_mov_b64 s[24:25], 0
	s_mov_b64 s[28:29], 0
                                        ; implicit-def: $sgpr26_sgpr27
	s_branch .LBB807_426
.LBB807_424:                            ;   in Loop: Header=BB807_426 Depth=1
	global_load_dwordx2 v[24:25], v[22:23], off
	global_load_dwordx2 v[26:27], v[12:13], off
	s_add_u32 s28, s28, 1
	s_addc_u32 s29, s29, 0
	s_andn2_b64 s[26:27], s[26:27], exec
	v_lshl_add_u64 v[12:13], v[12:13], 0, 8
	v_lshl_add_u64 v[22:23], v[22:23], 0, 8
	s_waitcnt vmcnt(0)
	v_cmp_neq_f64_e32 vcc, v[24:25], v[26:27]
	s_and_b64 s[30:31], vcc, exec
	s_or_b64 s[26:27], s[26:27], s[30:31]
.LBB807_425:                            ;   in Loop: Header=BB807_426 Depth=1
	s_and_b64 s[30:31], exec, s[26:27]
	s_or_b64 s[24:25], s[30:31], s[24:25]
	v_mov_b64_e32 v[24:25], s[28:29]
	s_andn2_b64 exec, exec, s[24:25]
	s_cbranch_execz .LBB807_429
.LBB807_426:                            ; =>This Inner Loop Header: Depth=1
	s_or_b64 s[26:27], s[26:27], exec
	s_cmp_eq_u64 s[18:19], s[28:29]
	s_cbranch_scc0 .LBB807_424
; %bb.427:                              ;   in Loop: Header=BB807_426 Depth=1
                                        ; implicit-def: $vgpr12_vgpr13
                                        ; implicit-def: $vgpr22_vgpr23
	s_mov_b64 s[28:29], s[12:13]
	s_branch .LBB807_425
.LBB807_428:
	v_mov_b64_e32 v[12:13], 0
	s_branch .LBB807_431
.LBB807_429:
	s_or_b64 exec, exec, s[24:25]
	v_cmp_gt_i64_e32 vcc, s[12:13], v[24:25]
	s_mov_b32 s18, 0
	v_mov_b32_e32 v13, s18
	v_cndmask_b32_e64 v12, 0, 1, vcc
.LBB807_430:
	s_or_b64 exec, exec, s[16:17]
.LBB807_431:
	s_or_b64 exec, exec, s[4:5]
	v_add_u32_e32 v22, 4, v1
	v_cmp_gt_u32_e32 vcc, s10, v22
	s_and_saveexec_b64 s[4:5], vcc
	s_cbranch_execz .LBB807_442
; %bb.432:
	s_and_b64 vcc, exec, s[2:3]
	s_cbranch_vccnz .LBB807_439
; %bb.433:
	v_mul_lo_u32 v22, v11, s12
	v_mul_lo_u32 v23, v10, s13
	v_mad_u64_u32 v[10:11], s[16:17], v10, s12, 0
	v_add3_u32 v11, v11, v23, v22
	v_mul_lo_u32 v22, v9, s12
	v_mul_lo_u32 v23, v8, s13
	v_mad_u64_u32 v[24:25], s[16:17], v8, s12, 0
	v_add3_u32 v25, v25, v23, v22
	v_lshl_add_u64 v[22:23], v[10:11], 3, s[14:15]
	v_lshl_add_u64 v[24:25], v[24:25], 3, s[14:15]
	global_load_dwordx2 v[10:11], v[22:23], off
	global_load_dwordx2 v[26:27], v[24:25], off
	s_waitcnt vmcnt(0)
	v_cmp_eq_f64_e32 vcc, v[10:11], v[26:27]
	v_mov_b64_e32 v[10:11], 1
	s_and_saveexec_b64 s[16:17], vcc
	s_cbranch_execz .LBB807_441
; %bb.434:
	s_add_u32 s18, s12, -1
	v_lshl_add_u64 v[10:11], v[24:25], 0, 8
	v_lshl_add_u64 v[22:23], v[22:23], 0, 8
	s_addc_u32 s19, s13, -1
	s_mov_b64 s[24:25], 0
	s_mov_b64 s[28:29], 0
                                        ; implicit-def: $sgpr26_sgpr27
	s_branch .LBB807_437
.LBB807_435:                            ;   in Loop: Header=BB807_437 Depth=1
	global_load_dwordx2 v[24:25], v[22:23], off
	global_load_dwordx2 v[26:27], v[10:11], off
	s_add_u32 s28, s28, 1
	s_addc_u32 s29, s29, 0
	s_andn2_b64 s[26:27], s[26:27], exec
	v_lshl_add_u64 v[10:11], v[10:11], 0, 8
	v_lshl_add_u64 v[22:23], v[22:23], 0, 8
	s_waitcnt vmcnt(0)
	v_cmp_neq_f64_e32 vcc, v[24:25], v[26:27]
	s_and_b64 s[30:31], vcc, exec
	s_or_b64 s[26:27], s[26:27], s[30:31]
.LBB807_436:                            ;   in Loop: Header=BB807_437 Depth=1
	s_and_b64 s[30:31], exec, s[26:27]
	s_or_b64 s[24:25], s[30:31], s[24:25]
	v_mov_b64_e32 v[24:25], s[28:29]
	s_andn2_b64 exec, exec, s[24:25]
	s_cbranch_execz .LBB807_440
.LBB807_437:                            ; =>This Inner Loop Header: Depth=1
	s_or_b64 s[26:27], s[26:27], exec
	s_cmp_eq_u64 s[18:19], s[28:29]
	s_cbranch_scc0 .LBB807_435
; %bb.438:                              ;   in Loop: Header=BB807_437 Depth=1
                                        ; implicit-def: $vgpr10_vgpr11
                                        ; implicit-def: $vgpr22_vgpr23
	s_mov_b64 s[28:29], s[12:13]
	s_branch .LBB807_436
.LBB807_439:
	v_mov_b64_e32 v[10:11], 0
	s_branch .LBB807_442
.LBB807_440:
	s_or_b64 exec, exec, s[24:25]
	v_cmp_gt_i64_e32 vcc, s[12:13], v[24:25]
	s_mov_b32 s18, 0
	v_mov_b32_e32 v11, s18
	v_cndmask_b32_e64 v10, 0, 1, vcc
.LBB807_441:
	s_or_b64 exec, exec, s[16:17]
.LBB807_442:
	s_or_b64 exec, exec, s[4:5]
	v_add_u32_e32 v22, 3, v1
	v_cmp_gt_u32_e32 vcc, s10, v22
	s_and_saveexec_b64 s[4:5], vcc
	s_cbranch_execz .LBB807_453
; %bb.443:
	s_and_b64 vcc, exec, s[2:3]
	s_cbranch_vccnz .LBB807_450
; %bb.444:
	v_mul_lo_u32 v22, v9, s12
	v_mul_lo_u32 v23, v8, s13
	v_mad_u64_u32 v[8:9], s[16:17], v8, s12, 0
	v_add3_u32 v9, v9, v23, v22
	v_mul_lo_u32 v22, v7, s12
	v_mul_lo_u32 v23, v6, s13
	v_mad_u64_u32 v[24:25], s[16:17], v6, s12, 0
	v_add3_u32 v25, v25, v23, v22
	v_lshl_add_u64 v[22:23], v[8:9], 3, s[14:15]
	v_lshl_add_u64 v[24:25], v[24:25], 3, s[14:15]
	global_load_dwordx2 v[8:9], v[22:23], off
	global_load_dwordx2 v[26:27], v[24:25], off
	s_waitcnt vmcnt(0)
	v_cmp_eq_f64_e32 vcc, v[8:9], v[26:27]
	v_mov_b64_e32 v[8:9], 1
	s_and_saveexec_b64 s[16:17], vcc
	s_cbranch_execz .LBB807_452
; %bb.445:
	s_add_u32 s18, s12, -1
	v_lshl_add_u64 v[8:9], v[24:25], 0, 8
	v_lshl_add_u64 v[22:23], v[22:23], 0, 8
	s_addc_u32 s19, s13, -1
	s_mov_b64 s[24:25], 0
	s_mov_b64 s[28:29], 0
                                        ; implicit-def: $sgpr26_sgpr27
	s_branch .LBB807_448
.LBB807_446:                            ;   in Loop: Header=BB807_448 Depth=1
	global_load_dwordx2 v[24:25], v[22:23], off
	global_load_dwordx2 v[26:27], v[8:9], off
	s_add_u32 s28, s28, 1
	s_addc_u32 s29, s29, 0
	s_andn2_b64 s[26:27], s[26:27], exec
	v_lshl_add_u64 v[8:9], v[8:9], 0, 8
	v_lshl_add_u64 v[22:23], v[22:23], 0, 8
	s_waitcnt vmcnt(0)
	v_cmp_neq_f64_e32 vcc, v[24:25], v[26:27]
	s_and_b64 s[30:31], vcc, exec
	s_or_b64 s[26:27], s[26:27], s[30:31]
.LBB807_447:                            ;   in Loop: Header=BB807_448 Depth=1
	s_and_b64 s[30:31], exec, s[26:27]
	s_or_b64 s[24:25], s[30:31], s[24:25]
	v_mov_b64_e32 v[24:25], s[28:29]
	s_andn2_b64 exec, exec, s[24:25]
	s_cbranch_execz .LBB807_451
.LBB807_448:                            ; =>This Inner Loop Header: Depth=1
	s_or_b64 s[26:27], s[26:27], exec
	s_cmp_eq_u64 s[18:19], s[28:29]
	s_cbranch_scc0 .LBB807_446
; %bb.449:                              ;   in Loop: Header=BB807_448 Depth=1
                                        ; implicit-def: $vgpr8_vgpr9
                                        ; implicit-def: $vgpr22_vgpr23
	s_mov_b64 s[28:29], s[12:13]
	s_branch .LBB807_447
.LBB807_450:
	v_mov_b64_e32 v[8:9], 0
	s_branch .LBB807_453
.LBB807_451:
	s_or_b64 exec, exec, s[24:25]
	v_cmp_gt_i64_e32 vcc, s[12:13], v[24:25]
	s_mov_b32 s18, 0
	v_mov_b32_e32 v9, s18
	v_cndmask_b32_e64 v8, 0, 1, vcc
.LBB807_452:
	s_or_b64 exec, exec, s[16:17]
.LBB807_453:
	s_or_b64 exec, exec, s[4:5]
	v_add_u32_e32 v22, 2, v1
	v_cmp_gt_u32_e32 vcc, s10, v22
	s_and_saveexec_b64 s[4:5], vcc
	s_cbranch_execz .LBB807_464
; %bb.454:
	s_and_b64 vcc, exec, s[2:3]
	s_cbranch_vccnz .LBB807_461
; %bb.455:
	v_mul_lo_u32 v22, v7, s12
	v_mul_lo_u32 v23, v6, s13
	v_mad_u64_u32 v[6:7], s[16:17], v6, s12, 0
	v_add3_u32 v7, v7, v23, v22
	v_mul_lo_u32 v22, v5, s12
	v_mul_lo_u32 v23, v4, s13
	v_mad_u64_u32 v[24:25], s[16:17], v4, s12, 0
	v_add3_u32 v25, v25, v23, v22
	v_lshl_add_u64 v[22:23], v[6:7], 3, s[14:15]
	v_lshl_add_u64 v[24:25], v[24:25], 3, s[14:15]
	global_load_dwordx2 v[6:7], v[22:23], off
	global_load_dwordx2 v[26:27], v[24:25], off
	s_waitcnt vmcnt(0)
	v_cmp_eq_f64_e32 vcc, v[6:7], v[26:27]
	v_mov_b64_e32 v[6:7], 1
	s_and_saveexec_b64 s[16:17], vcc
	s_cbranch_execz .LBB807_463
; %bb.456:
	s_add_u32 s18, s12, -1
	v_lshl_add_u64 v[6:7], v[24:25], 0, 8
	v_lshl_add_u64 v[22:23], v[22:23], 0, 8
	s_addc_u32 s19, s13, -1
	s_mov_b64 s[24:25], 0
	s_mov_b64 s[28:29], 0
                                        ; implicit-def: $sgpr26_sgpr27
	s_branch .LBB807_459
.LBB807_457:                            ;   in Loop: Header=BB807_459 Depth=1
	global_load_dwordx2 v[24:25], v[22:23], off
	global_load_dwordx2 v[26:27], v[6:7], off
	s_add_u32 s28, s28, 1
	s_addc_u32 s29, s29, 0
	s_andn2_b64 s[26:27], s[26:27], exec
	v_lshl_add_u64 v[6:7], v[6:7], 0, 8
	v_lshl_add_u64 v[22:23], v[22:23], 0, 8
	s_waitcnt vmcnt(0)
	v_cmp_neq_f64_e32 vcc, v[24:25], v[26:27]
	s_and_b64 s[30:31], vcc, exec
	s_or_b64 s[26:27], s[26:27], s[30:31]
.LBB807_458:                            ;   in Loop: Header=BB807_459 Depth=1
	s_and_b64 s[30:31], exec, s[26:27]
	s_or_b64 s[24:25], s[30:31], s[24:25]
	v_mov_b64_e32 v[24:25], s[28:29]
	s_andn2_b64 exec, exec, s[24:25]
	s_cbranch_execz .LBB807_462
.LBB807_459:                            ; =>This Inner Loop Header: Depth=1
	s_or_b64 s[26:27], s[26:27], exec
	s_cmp_eq_u64 s[18:19], s[28:29]
	s_cbranch_scc0 .LBB807_457
; %bb.460:                              ;   in Loop: Header=BB807_459 Depth=1
                                        ; implicit-def: $vgpr6_vgpr7
                                        ; implicit-def: $vgpr22_vgpr23
	s_mov_b64 s[28:29], s[12:13]
	s_branch .LBB807_458
.LBB807_461:
	v_mov_b64_e32 v[6:7], 0
	s_branch .LBB807_464
.LBB807_462:
	s_or_b64 exec, exec, s[24:25]
	v_cmp_gt_i64_e32 vcc, s[12:13], v[24:25]
	s_mov_b32 s18, 0
	v_mov_b32_e32 v7, s18
	v_cndmask_b32_e64 v6, 0, 1, vcc
.LBB807_463:
	s_or_b64 exec, exec, s[16:17]
.LBB807_464:
	s_or_b64 exec, exec, s[4:5]
	v_add_u32_e32 v22, 1, v1
	v_cmp_gt_u32_e32 vcc, s10, v22
	s_and_saveexec_b64 s[4:5], vcc
	s_cbranch_execz .LBB807_475
; %bb.465:
	s_and_b64 vcc, exec, s[2:3]
	s_cbranch_vccnz .LBB807_472
; %bb.466:
	v_mul_lo_u32 v22, v5, s12
	v_mul_lo_u32 v23, v4, s13
	v_mad_u64_u32 v[4:5], s[16:17], v4, s12, 0
	v_add3_u32 v5, v5, v23, v22
	v_mul_lo_u32 v22, v3, s12
	v_mul_lo_u32 v23, v2, s13
	v_mad_u64_u32 v[24:25], s[16:17], v2, s12, 0
	v_add3_u32 v25, v25, v23, v22
	v_lshl_add_u64 v[22:23], v[4:5], 3, s[14:15]
	v_lshl_add_u64 v[24:25], v[24:25], 3, s[14:15]
	global_load_dwordx2 v[4:5], v[22:23], off
	global_load_dwordx2 v[26:27], v[24:25], off
	s_waitcnt vmcnt(0)
	v_cmp_eq_f64_e32 vcc, v[4:5], v[26:27]
	v_mov_b64_e32 v[4:5], 1
	s_and_saveexec_b64 s[16:17], vcc
	s_cbranch_execz .LBB807_474
; %bb.467:
	s_add_u32 s18, s12, -1
	v_lshl_add_u64 v[4:5], v[24:25], 0, 8
	v_lshl_add_u64 v[22:23], v[22:23], 0, 8
	s_addc_u32 s19, s13, -1
	s_mov_b64 s[24:25], 0
	s_mov_b64 s[28:29], 0
                                        ; implicit-def: $sgpr26_sgpr27
	s_branch .LBB807_470
.LBB807_468:                            ;   in Loop: Header=BB807_470 Depth=1
	global_load_dwordx2 v[24:25], v[22:23], off
	global_load_dwordx2 v[26:27], v[4:5], off
	s_add_u32 s28, s28, 1
	s_addc_u32 s29, s29, 0
	s_andn2_b64 s[26:27], s[26:27], exec
	v_lshl_add_u64 v[4:5], v[4:5], 0, 8
	v_lshl_add_u64 v[22:23], v[22:23], 0, 8
	s_waitcnt vmcnt(0)
	v_cmp_neq_f64_e32 vcc, v[24:25], v[26:27]
	s_and_b64 s[30:31], vcc, exec
	s_or_b64 s[26:27], s[26:27], s[30:31]
.LBB807_469:                            ;   in Loop: Header=BB807_470 Depth=1
	s_and_b64 s[30:31], exec, s[26:27]
	s_or_b64 s[24:25], s[30:31], s[24:25]
	v_mov_b64_e32 v[24:25], s[28:29]
	s_andn2_b64 exec, exec, s[24:25]
	s_cbranch_execz .LBB807_473
.LBB807_470:                            ; =>This Inner Loop Header: Depth=1
	s_or_b64 s[26:27], s[26:27], exec
	s_cmp_eq_u64 s[18:19], s[28:29]
	s_cbranch_scc0 .LBB807_468
; %bb.471:                              ;   in Loop: Header=BB807_470 Depth=1
                                        ; implicit-def: $vgpr4_vgpr5
                                        ; implicit-def: $vgpr22_vgpr23
	s_mov_b64 s[28:29], s[12:13]
	s_branch .LBB807_469
.LBB807_472:
	v_mov_b64_e32 v[4:5], 0
	s_branch .LBB807_475
.LBB807_473:
	s_or_b64 exec, exec, s[24:25]
	v_cmp_gt_i64_e32 vcc, s[12:13], v[24:25]
	s_mov_b32 s18, 0
	v_mov_b32_e32 v5, s18
	v_cndmask_b32_e64 v4, 0, 1, vcc
.LBB807_474:
	s_or_b64 exec, exec, s[16:17]
.LBB807_475:
	s_or_b64 exec, exec, s[4:5]
	v_cmp_ne_u32_e32 vcc, 0, v0
	v_cmp_gt_u32_e64 s[4:5], s10, v1
	s_and_b64 s[16:17], vcc, s[4:5]
	s_waitcnt lgkmcnt(0)
	s_barrier
	s_waitcnt lgkmcnt(0)
                                        ; implicit-def: $sgpr18_sgpr19
	s_and_saveexec_b64 s[4:5], s[16:17]
	s_cbranch_execz .LBB807_487
; %bb.476:
	s_and_b64 vcc, exec, s[2:3]
	s_cbranch_vccnz .LBB807_483
; %bb.477:
	v_mul_lo_u32 v1, v3, s12
	v_add_u32_e32 v3, -8, v40
	ds_read_b64 v[22:23], v3
	v_mul_lo_u32 v24, v2, s13
	v_mad_u64_u32 v[2:3], s[2:3], v2, s12, 0
	v_add3_u32 v3, v3, v24, v1
	s_waitcnt lgkmcnt(0)
	v_mul_lo_u32 v1, v23, s12
	v_mul_lo_u32 v23, v22, s13
	v_mad_u64_u32 v[24:25], s[2:3], v22, s12, 0
	v_add3_u32 v25, v25, v23, v1
	v_lshl_add_u64 v[22:23], v[2:3], 3, s[14:15]
	v_lshl_add_u64 v[2:3], v[24:25], 3, s[14:15]
	global_load_dwordx2 v[24:25], v[22:23], off
	global_load_dwordx2 v[26:27], v[2:3], off
	s_mov_b64 s[14:15], -1
	s_waitcnt vmcnt(0)
	v_cmp_eq_f64_e32 vcc, v[24:25], v[26:27]
	s_and_saveexec_b64 s[2:3], vcc
	s_cbranch_execz .LBB807_485
; %bb.478:
	s_add_u32 s14, s12, -1
	v_lshl_add_u64 v[2:3], v[2:3], 0, 8
	v_lshl_add_u64 v[22:23], v[22:23], 0, 8
	s_addc_u32 s15, s13, -1
	s_mov_b64 s[16:17], 0
	s_mov_b64 s[24:25], 0
                                        ; implicit-def: $sgpr18_sgpr19
	s_branch .LBB807_481
.LBB807_479:                            ;   in Loop: Header=BB807_481 Depth=1
	global_load_dwordx2 v[24:25], v[22:23], off
	global_load_dwordx2 v[26:27], v[2:3], off
	s_add_u32 s24, s24, 1
	s_addc_u32 s25, s25, 0
	s_andn2_b64 s[18:19], s[18:19], exec
	v_lshl_add_u64 v[2:3], v[2:3], 0, 8
	v_lshl_add_u64 v[22:23], v[22:23], 0, 8
	s_waitcnt vmcnt(0)
	v_cmp_neq_f64_e32 vcc, v[24:25], v[26:27]
	s_and_b64 s[26:27], vcc, exec
	s_or_b64 s[18:19], s[18:19], s[26:27]
.LBB807_480:                            ;   in Loop: Header=BB807_481 Depth=1
	s_and_b64 s[26:27], exec, s[18:19]
	s_or_b64 s[16:17], s[26:27], s[16:17]
	v_mov_b64_e32 v[24:25], s[24:25]
	s_andn2_b64 exec, exec, s[16:17]
	s_cbranch_execz .LBB807_484
.LBB807_481:                            ; =>This Inner Loop Header: Depth=1
	s_or_b64 s[18:19], s[18:19], exec
	s_cmp_eq_u64 s[14:15], s[24:25]
	s_cbranch_scc0 .LBB807_479
; %bb.482:                              ;   in Loop: Header=BB807_481 Depth=1
                                        ; implicit-def: $vgpr2_vgpr3
                                        ; implicit-def: $vgpr22_vgpr23
	s_mov_b64 s[24:25], s[12:13]
	s_branch .LBB807_480
.LBB807_483:
	s_mov_b64 s[14:15], 0
	s_branch .LBB807_486
.LBB807_484:
	s_or_b64 exec, exec, s[16:17]
	v_cmp_gt_i64_e32 vcc, s[12:13], v[24:25]
	s_orn2_b64 s[14:15], vcc, exec
.LBB807_485:
	s_or_b64 exec, exec, s[2:3]
.LBB807_486:
	s_and_b64 s[18:19], s[14:15], exec
	s_or_b64 s[22:23], s[22:23], exec
.LBB807_487:
	s_or_b64 exec, exec, s[4:5]
	v_mov_b64_e32 v[42:43], v[36:37]
	v_mov_b64_e32 v[44:45], v[20:21]
	;; [unrolled: 1-line block ×19, first 2 shown]
.LBB807_488:
	s_and_saveexec_b64 s[2:3], s[22:23]
	s_cbranch_execz .LBB807_490
; %bb.489:
	s_mov_b32 s4, 0
	v_cndmask_b32_e64 v2, 0, 1, s[18:19]
	v_mov_b32_e32 v3, s4
	v_mov_b64_e32 v[26:27], v[46:47]
	v_mov_b64_e32 v[66:67], v[48:49]
	;; [unrolled: 1-line block ×7, first 2 shown]
	s_waitcnt lgkmcnt(0)
	v_mov_b64_e32 v[22:23], v[38:39]
	v_mov_b64_e32 v[60:61], v[44:45]
.LBB807_490:
	s_or_b64 exec, exec, s[2:3]
	s_add_u32 s4, s8, s6
	s_addc_u32 s5, s9, s7
	s_and_b64 vcc, exec, s[0:1]
	s_waitcnt lgkmcnt(0)
	s_barrier
	s_cbranch_vccz .LBB807_512
; %bb.491:
	s_movk_i32 s2, 0x58
	v_mul_u32_u24_e32 v1, 0x58, v0
	v_mov_b32_e32 v4, v68
	v_mov_b32_e32 v5, v69
	v_mul_i32_i24_e32 v24, 0xffffffb0, v0
	ds_write2_b64 v1, v[2:3], v[4:5] offset1:1
	ds_write2_b64 v1, v[62:63], v[34:35] offset0:2 offset1:3
	ds_write2_b64 v1, v[64:65], v[30:31] offset0:4 offset1:5
	;; [unrolled: 1-line block ×4, first 2 shown]
	ds_write_b64 v1, v[42:43] offset:80
	v_mad_u32_u24 v4, v0, s2, v24
	s_waitcnt lgkmcnt(0)
	s_barrier
	ds_read2st64_b64 v[36:39], v4 offset0:4 offset1:8
	ds_read2st64_b64 v[16:19], v4 offset0:12 offset1:16
	;; [unrolled: 1-line block ×5, first 2 shown]
	s_mov_b32 s21, 0
	s_add_i32 s11, s11, s10
	s_lshl_b64 s[0:1], s[20:21], 3
	s_add_u32 s0, s4, s0
	s_addc_u32 s1, s5, s1
	v_mov_b32_e32 v41, 0
	v_lshl_add_u64 v[20:21], s[0:1], 0, v[40:41]
	v_cmp_gt_u32_e32 vcc, s11, v0
	s_and_saveexec_b64 s[0:1], vcc
	s_cbranch_execz .LBB807_493
; %bb.492:
	v_add_u32_e32 v1, v1, v24
	ds_read_b64 v[24:25], v1
	s_waitcnt lgkmcnt(0)
	global_store_dwordx2 v[20:21], v[24:25], off
.LBB807_493:
	s_or_b64 exec, exec, s[0:1]
	v_or_b32_e32 v1, 0x100, v0
	v_cmp_gt_u32_e32 vcc, s11, v1
	s_and_saveexec_b64 s[0:1], vcc
	s_cbranch_execz .LBB807_495
; %bb.494:
	s_waitcnt lgkmcnt(4)
	global_store_dwordx2 v[20:21], v[36:37], off offset:2048
.LBB807_495:
	s_or_b64 exec, exec, s[0:1]
	v_or_b32_e32 v1, 0x200, v0
	v_cmp_gt_u32_e32 vcc, s11, v1
	s_and_saveexec_b64 s[0:1], vcc
	s_cbranch_execz .LBB807_497
; %bb.496:
	v_add_co_u32_e32 v24, vcc, 0x1000, v20
	s_nop 1
	v_addc_co_u32_e32 v25, vcc, 0, v21, vcc
	s_waitcnt lgkmcnt(4)
	global_store_dwordx2 v[24:25], v[38:39], off
.LBB807_497:
	s_or_b64 exec, exec, s[0:1]
	v_or_b32_e32 v1, 0x300, v0
	v_cmp_gt_u32_e32 vcc, s11, v1
	s_and_saveexec_b64 s[0:1], vcc
	s_cbranch_execz .LBB807_499
; %bb.498:
	v_add_co_u32_e32 v24, vcc, 0x1000, v20
	s_nop 1
	v_addc_co_u32_e32 v25, vcc, 0, v21, vcc
	s_waitcnt lgkmcnt(3)
	global_store_dwordx2 v[24:25], v[16:17], off offset:2048
.LBB807_499:
	s_or_b64 exec, exec, s[0:1]
	v_or_b32_e32 v1, 0x400, v0
	v_cmp_gt_u32_e32 vcc, s11, v1
	s_and_saveexec_b64 s[0:1], vcc
	s_cbranch_execz .LBB807_501
; %bb.500:
	s_waitcnt lgkmcnt(3)
	v_add_co_u32_e32 v16, vcc, 0x2000, v20
	s_nop 1
	v_addc_co_u32_e32 v17, vcc, 0, v21, vcc
	global_store_dwordx2 v[16:17], v[18:19], off
.LBB807_501:
	s_or_b64 exec, exec, s[0:1]
	v_or_b32_e32 v1, 0x500, v0
	v_cmp_gt_u32_e32 vcc, s11, v1
	s_and_saveexec_b64 s[0:1], vcc
	s_cbranch_execz .LBB807_503
; %bb.502:
	s_waitcnt lgkmcnt(3)
	v_add_co_u32_e32 v16, vcc, 0x2000, v20
	s_nop 1
	v_addc_co_u32_e32 v17, vcc, 0, v21, vcc
	s_waitcnt lgkmcnt(2)
	global_store_dwordx2 v[16:17], v[12:13], off offset:2048
.LBB807_503:
	s_or_b64 exec, exec, s[0:1]
	v_or_b32_e32 v1, 0x600, v0
	v_cmp_gt_u32_e32 vcc, s11, v1
	s_and_saveexec_b64 s[0:1], vcc
	s_cbranch_execz .LBB807_505
; %bb.504:
	s_waitcnt lgkmcnt(2)
	v_add_co_u32_e32 v12, vcc, 0x3000, v20
	s_nop 1
	v_addc_co_u32_e32 v13, vcc, 0, v21, vcc
	global_store_dwordx2 v[12:13], v[14:15], off
.LBB807_505:
	s_or_b64 exec, exec, s[0:1]
	v_or_b32_e32 v1, 0x700, v0
	v_cmp_gt_u32_e32 vcc, s11, v1
	s_and_saveexec_b64 s[0:1], vcc
	s_cbranch_execz .LBB807_507
; %bb.506:
	s_waitcnt lgkmcnt(2)
	v_add_co_u32_e32 v12, vcc, 0x3000, v20
	s_nop 1
	v_addc_co_u32_e32 v13, vcc, 0, v21, vcc
	s_waitcnt lgkmcnt(1)
	global_store_dwordx2 v[12:13], v[8:9], off offset:2048
.LBB807_507:
	;; [unrolled: 25-line block ×3, first 2 shown]
	s_or_b64 exec, exec, s[0:1]
	v_or_b32_e32 v1, 0xa00, v0
	v_cmp_gt_u32_e64 s[0:1], s11, v1
	s_branch .LBB807_514
.LBB807_512:
	s_mov_b64 s[0:1], 0
                                        ; implicit-def: $vgpr6_vgpr7
                                        ; implicit-def: $vgpr20_vgpr21
	s_cbranch_execz .LBB807_514
; %bb.513:
	s_mov_b32 s21, 0
	s_lshl_b64 s[2:3], s[20:21], 3
	v_mul_u32_u24_e32 v1, 0x58, v0
	s_add_u32 s2, s4, s2
	s_movk_i32 s4, 0x58
	ds_write2_b64 v1, v[2:3], v[68:69] offset1:1
	ds_write2_b64 v1, v[62:63], v[34:35] offset0:2 offset1:3
	ds_write2_b64 v1, v[64:65], v[30:31] offset0:4 offset1:5
	;; [unrolled: 1-line block ×4, first 2 shown]
	ds_write_b64 v1, v[42:43] offset:80
	v_mul_i32_i24_e32 v1, 0xffffffb0, v0
	s_addc_u32 s3, s5, s3
	s_waitcnt lgkmcnt(6)
	v_mad_u32_u24 v4, v0, s4, v1
	v_mov_b32_e32 v41, 0
	s_waitcnt lgkmcnt(0)
	s_barrier
	ds_read2st64_b64 v[0:3], v4 offset1:4
	ds_read2st64_b64 v[8:11], v4 offset0:8 offset1:12
	ds_read2st64_b64 v[12:15], v4 offset0:16 offset1:20
	;; [unrolled: 1-line block ×4, first 2 shown]
	ds_read_b64 v[6:7], v4 offset:20480
	v_lshl_add_u64 v[20:21], s[2:3], 0, v[40:41]
	s_waitcnt lgkmcnt(5)
	global_store_dwordx2 v40, v[0:1], s[2:3]
	global_store_dwordx2 v40, v[2:3], s[2:3] offset:2048
	s_movk_i32 s2, 0x1000
	v_add_co_u32_e32 v0, vcc, s2, v20
	s_movk_i32 s2, 0x2000
	s_nop 0
	v_addc_co_u32_e32 v1, vcc, 0, v21, vcc
	v_add_co_u32_e32 v2, vcc, s2, v20
	s_or_b64 s[0:1], s[0:1], exec
	s_nop 0
	v_addc_co_u32_e32 v3, vcc, 0, v21, vcc
	s_waitcnt lgkmcnt(4)
	global_store_dwordx2 v[2:3], v[8:9], off offset:-4096
	global_store_dwordx2 v[0:1], v[10:11], off offset:2048
	s_waitcnt lgkmcnt(3)
	global_store_dwordx2 v[2:3], v[12:13], off
	global_store_dwordx2 v[2:3], v[14:15], off offset:2048
	v_add_co_u32_e32 v0, vcc, 0x3000, v20
	s_nop 1
	v_addc_co_u32_e32 v1, vcc, 0, v21, vcc
	s_waitcnt lgkmcnt(2)
	global_store_dwordx2 v[0:1], v[16:17], off
	global_store_dwordx2 v[0:1], v[18:19], off offset:2048
	v_add_co_u32_e32 v0, vcc, 0x4000, v20
	s_nop 1
	v_addc_co_u32_e32 v1, vcc, 0, v21, vcc
	s_waitcnt lgkmcnt(1)
	global_store_dwordx2 v[0:1], v[22:23], off
	global_store_dwordx2 v[0:1], v[24:25], off offset:2048
.LBB807_514:
	s_and_saveexec_b64 s[2:3], s[0:1]
	s_cbranch_execnz .LBB807_516
; %bb.515:
	s_endpgm
.LBB807_516:
	v_add_co_u32_e32 v0, vcc, 0x5000, v20
	s_nop 1
	v_addc_co_u32_e32 v1, vcc, 0, v21, vcc
	s_waitcnt lgkmcnt(0)
	global_store_dwordx2 v[0:1], v[6:7], off
	s_endpgm
	.section	.rodata,"a",@progbits
	.p2align	6, 0x0
	.amdhsa_kernel _ZN7rocprim17ROCPRIM_400000_NS6detail17trampoline_kernelINS0_14default_configENS1_35adjacent_difference_config_selectorILb1ElEEZNS1_24adjacent_difference_implIS3_Lb1ELb0EPlS7_ZN2at6native12_GLOBAL__N_124unique_dim_cuda_templateIdEESt5tupleIJNS8_6TensorESD_SD_EERKSD_lbbbEUlllE1_EE10hipError_tPvRmT2_T3_mT4_P12ihipStream_tbEUlT_E_NS1_11comp_targetILNS1_3genE5ELNS1_11target_archE942ELNS1_3gpuE9ELNS1_3repE0EEENS1_30default_config_static_selectorELNS0_4arch9wavefront6targetE1EEEvT1_
		.amdhsa_group_segment_fixed_size 22528
		.amdhsa_private_segment_fixed_size 0
		.amdhsa_kernarg_size 64
		.amdhsa_user_sgpr_count 2
		.amdhsa_user_sgpr_dispatch_ptr 0
		.amdhsa_user_sgpr_queue_ptr 0
		.amdhsa_user_sgpr_kernarg_segment_ptr 1
		.amdhsa_user_sgpr_dispatch_id 0
		.amdhsa_user_sgpr_kernarg_preload_length 0
		.amdhsa_user_sgpr_kernarg_preload_offset 0
		.amdhsa_user_sgpr_private_segment_size 0
		.amdhsa_uses_dynamic_stack 0
		.amdhsa_enable_private_segment 0
		.amdhsa_system_sgpr_workgroup_id_x 1
		.amdhsa_system_sgpr_workgroup_id_y 0
		.amdhsa_system_sgpr_workgroup_id_z 0
		.amdhsa_system_sgpr_workgroup_info 0
		.amdhsa_system_vgpr_workitem_id 0
		.amdhsa_next_free_vgpr 70
		.amdhsa_next_free_sgpr 38
		.amdhsa_accum_offset 72
		.amdhsa_reserve_vcc 1
		.amdhsa_float_round_mode_32 0
		.amdhsa_float_round_mode_16_64 0
		.amdhsa_float_denorm_mode_32 3
		.amdhsa_float_denorm_mode_16_64 3
		.amdhsa_dx10_clamp 1
		.amdhsa_ieee_mode 1
		.amdhsa_fp16_overflow 0
		.amdhsa_tg_split 0
		.amdhsa_exception_fp_ieee_invalid_op 0
		.amdhsa_exception_fp_denorm_src 0
		.amdhsa_exception_fp_ieee_div_zero 0
		.amdhsa_exception_fp_ieee_overflow 0
		.amdhsa_exception_fp_ieee_underflow 0
		.amdhsa_exception_fp_ieee_inexact 0
		.amdhsa_exception_int_div_zero 0
	.end_amdhsa_kernel
	.section	.text._ZN7rocprim17ROCPRIM_400000_NS6detail17trampoline_kernelINS0_14default_configENS1_35adjacent_difference_config_selectorILb1ElEEZNS1_24adjacent_difference_implIS3_Lb1ELb0EPlS7_ZN2at6native12_GLOBAL__N_124unique_dim_cuda_templateIdEESt5tupleIJNS8_6TensorESD_SD_EERKSD_lbbbEUlllE1_EE10hipError_tPvRmT2_T3_mT4_P12ihipStream_tbEUlT_E_NS1_11comp_targetILNS1_3genE5ELNS1_11target_archE942ELNS1_3gpuE9ELNS1_3repE0EEENS1_30default_config_static_selectorELNS0_4arch9wavefront6targetE1EEEvT1_,"axG",@progbits,_ZN7rocprim17ROCPRIM_400000_NS6detail17trampoline_kernelINS0_14default_configENS1_35adjacent_difference_config_selectorILb1ElEEZNS1_24adjacent_difference_implIS3_Lb1ELb0EPlS7_ZN2at6native12_GLOBAL__N_124unique_dim_cuda_templateIdEESt5tupleIJNS8_6TensorESD_SD_EERKSD_lbbbEUlllE1_EE10hipError_tPvRmT2_T3_mT4_P12ihipStream_tbEUlT_E_NS1_11comp_targetILNS1_3genE5ELNS1_11target_archE942ELNS1_3gpuE9ELNS1_3repE0EEENS1_30default_config_static_selectorELNS0_4arch9wavefront6targetE1EEEvT1_,comdat
.Lfunc_end807:
	.size	_ZN7rocprim17ROCPRIM_400000_NS6detail17trampoline_kernelINS0_14default_configENS1_35adjacent_difference_config_selectorILb1ElEEZNS1_24adjacent_difference_implIS3_Lb1ELb0EPlS7_ZN2at6native12_GLOBAL__N_124unique_dim_cuda_templateIdEESt5tupleIJNS8_6TensorESD_SD_EERKSD_lbbbEUlllE1_EE10hipError_tPvRmT2_T3_mT4_P12ihipStream_tbEUlT_E_NS1_11comp_targetILNS1_3genE5ELNS1_11target_archE942ELNS1_3gpuE9ELNS1_3repE0EEENS1_30default_config_static_selectorELNS0_4arch9wavefront6targetE1EEEvT1_, .Lfunc_end807-_ZN7rocprim17ROCPRIM_400000_NS6detail17trampoline_kernelINS0_14default_configENS1_35adjacent_difference_config_selectorILb1ElEEZNS1_24adjacent_difference_implIS3_Lb1ELb0EPlS7_ZN2at6native12_GLOBAL__N_124unique_dim_cuda_templateIdEESt5tupleIJNS8_6TensorESD_SD_EERKSD_lbbbEUlllE1_EE10hipError_tPvRmT2_T3_mT4_P12ihipStream_tbEUlT_E_NS1_11comp_targetILNS1_3genE5ELNS1_11target_archE942ELNS1_3gpuE9ELNS1_3repE0EEENS1_30default_config_static_selectorELNS0_4arch9wavefront6targetE1EEEvT1_
                                        ; -- End function
	.section	.AMDGPU.csdata,"",@progbits
; Kernel info:
; codeLenInByte = 15780
; NumSgprs: 44
; NumVgprs: 70
; NumAgprs: 0
; TotalNumVgprs: 70
; ScratchSize: 0
; MemoryBound: 1
; FloatMode: 240
; IeeeMode: 1
; LDSByteSize: 22528 bytes/workgroup (compile time only)
; SGPRBlocks: 5
; VGPRBlocks: 8
; NumSGPRsForWavesPerEU: 44
; NumVGPRsForWavesPerEU: 70
; AccumOffset: 72
; Occupancy: 2
; WaveLimiterHint : 1
; COMPUTE_PGM_RSRC2:SCRATCH_EN: 0
; COMPUTE_PGM_RSRC2:USER_SGPR: 2
; COMPUTE_PGM_RSRC2:TRAP_HANDLER: 0
; COMPUTE_PGM_RSRC2:TGID_X_EN: 1
; COMPUTE_PGM_RSRC2:TGID_Y_EN: 0
; COMPUTE_PGM_RSRC2:TGID_Z_EN: 0
; COMPUTE_PGM_RSRC2:TIDIG_COMP_CNT: 0
; COMPUTE_PGM_RSRC3_GFX90A:ACCUM_OFFSET: 17
; COMPUTE_PGM_RSRC3_GFX90A:TG_SPLIT: 0
	.section	.text._ZN7rocprim17ROCPRIM_400000_NS6detail17trampoline_kernelINS0_14default_configENS1_35adjacent_difference_config_selectorILb1ElEEZNS1_24adjacent_difference_implIS3_Lb1ELb0EPlS7_ZN2at6native12_GLOBAL__N_124unique_dim_cuda_templateIdEESt5tupleIJNS8_6TensorESD_SD_EERKSD_lbbbEUlllE1_EE10hipError_tPvRmT2_T3_mT4_P12ihipStream_tbEUlT_E_NS1_11comp_targetILNS1_3genE4ELNS1_11target_archE910ELNS1_3gpuE8ELNS1_3repE0EEENS1_30default_config_static_selectorELNS0_4arch9wavefront6targetE1EEEvT1_,"axG",@progbits,_ZN7rocprim17ROCPRIM_400000_NS6detail17trampoline_kernelINS0_14default_configENS1_35adjacent_difference_config_selectorILb1ElEEZNS1_24adjacent_difference_implIS3_Lb1ELb0EPlS7_ZN2at6native12_GLOBAL__N_124unique_dim_cuda_templateIdEESt5tupleIJNS8_6TensorESD_SD_EERKSD_lbbbEUlllE1_EE10hipError_tPvRmT2_T3_mT4_P12ihipStream_tbEUlT_E_NS1_11comp_targetILNS1_3genE4ELNS1_11target_archE910ELNS1_3gpuE8ELNS1_3repE0EEENS1_30default_config_static_selectorELNS0_4arch9wavefront6targetE1EEEvT1_,comdat
	.globl	_ZN7rocprim17ROCPRIM_400000_NS6detail17trampoline_kernelINS0_14default_configENS1_35adjacent_difference_config_selectorILb1ElEEZNS1_24adjacent_difference_implIS3_Lb1ELb0EPlS7_ZN2at6native12_GLOBAL__N_124unique_dim_cuda_templateIdEESt5tupleIJNS8_6TensorESD_SD_EERKSD_lbbbEUlllE1_EE10hipError_tPvRmT2_T3_mT4_P12ihipStream_tbEUlT_E_NS1_11comp_targetILNS1_3genE4ELNS1_11target_archE910ELNS1_3gpuE8ELNS1_3repE0EEENS1_30default_config_static_selectorELNS0_4arch9wavefront6targetE1EEEvT1_ ; -- Begin function _ZN7rocprim17ROCPRIM_400000_NS6detail17trampoline_kernelINS0_14default_configENS1_35adjacent_difference_config_selectorILb1ElEEZNS1_24adjacent_difference_implIS3_Lb1ELb0EPlS7_ZN2at6native12_GLOBAL__N_124unique_dim_cuda_templateIdEESt5tupleIJNS8_6TensorESD_SD_EERKSD_lbbbEUlllE1_EE10hipError_tPvRmT2_T3_mT4_P12ihipStream_tbEUlT_E_NS1_11comp_targetILNS1_3genE4ELNS1_11target_archE910ELNS1_3gpuE8ELNS1_3repE0EEENS1_30default_config_static_selectorELNS0_4arch9wavefront6targetE1EEEvT1_
	.p2align	8
	.type	_ZN7rocprim17ROCPRIM_400000_NS6detail17trampoline_kernelINS0_14default_configENS1_35adjacent_difference_config_selectorILb1ElEEZNS1_24adjacent_difference_implIS3_Lb1ELb0EPlS7_ZN2at6native12_GLOBAL__N_124unique_dim_cuda_templateIdEESt5tupleIJNS8_6TensorESD_SD_EERKSD_lbbbEUlllE1_EE10hipError_tPvRmT2_T3_mT4_P12ihipStream_tbEUlT_E_NS1_11comp_targetILNS1_3genE4ELNS1_11target_archE910ELNS1_3gpuE8ELNS1_3repE0EEENS1_30default_config_static_selectorELNS0_4arch9wavefront6targetE1EEEvT1_,@function
_ZN7rocprim17ROCPRIM_400000_NS6detail17trampoline_kernelINS0_14default_configENS1_35adjacent_difference_config_selectorILb1ElEEZNS1_24adjacent_difference_implIS3_Lb1ELb0EPlS7_ZN2at6native12_GLOBAL__N_124unique_dim_cuda_templateIdEESt5tupleIJNS8_6TensorESD_SD_EERKSD_lbbbEUlllE1_EE10hipError_tPvRmT2_T3_mT4_P12ihipStream_tbEUlT_E_NS1_11comp_targetILNS1_3genE4ELNS1_11target_archE910ELNS1_3gpuE8ELNS1_3repE0EEENS1_30default_config_static_selectorELNS0_4arch9wavefront6targetE1EEEvT1_: ; @_ZN7rocprim17ROCPRIM_400000_NS6detail17trampoline_kernelINS0_14default_configENS1_35adjacent_difference_config_selectorILb1ElEEZNS1_24adjacent_difference_implIS3_Lb1ELb0EPlS7_ZN2at6native12_GLOBAL__N_124unique_dim_cuda_templateIdEESt5tupleIJNS8_6TensorESD_SD_EERKSD_lbbbEUlllE1_EE10hipError_tPvRmT2_T3_mT4_P12ihipStream_tbEUlT_E_NS1_11comp_targetILNS1_3genE4ELNS1_11target_archE910ELNS1_3gpuE8ELNS1_3repE0EEENS1_30default_config_static_selectorELNS0_4arch9wavefront6targetE1EEEvT1_
; %bb.0:
	.section	.rodata,"a",@progbits
	.p2align	6, 0x0
	.amdhsa_kernel _ZN7rocprim17ROCPRIM_400000_NS6detail17trampoline_kernelINS0_14default_configENS1_35adjacent_difference_config_selectorILb1ElEEZNS1_24adjacent_difference_implIS3_Lb1ELb0EPlS7_ZN2at6native12_GLOBAL__N_124unique_dim_cuda_templateIdEESt5tupleIJNS8_6TensorESD_SD_EERKSD_lbbbEUlllE1_EE10hipError_tPvRmT2_T3_mT4_P12ihipStream_tbEUlT_E_NS1_11comp_targetILNS1_3genE4ELNS1_11target_archE910ELNS1_3gpuE8ELNS1_3repE0EEENS1_30default_config_static_selectorELNS0_4arch9wavefront6targetE1EEEvT1_
		.amdhsa_group_segment_fixed_size 0
		.amdhsa_private_segment_fixed_size 0
		.amdhsa_kernarg_size 64
		.amdhsa_user_sgpr_count 2
		.amdhsa_user_sgpr_dispatch_ptr 0
		.amdhsa_user_sgpr_queue_ptr 0
		.amdhsa_user_sgpr_kernarg_segment_ptr 1
		.amdhsa_user_sgpr_dispatch_id 0
		.amdhsa_user_sgpr_kernarg_preload_length 0
		.amdhsa_user_sgpr_kernarg_preload_offset 0
		.amdhsa_user_sgpr_private_segment_size 0
		.amdhsa_uses_dynamic_stack 0
		.amdhsa_enable_private_segment 0
		.amdhsa_system_sgpr_workgroup_id_x 1
		.amdhsa_system_sgpr_workgroup_id_y 0
		.amdhsa_system_sgpr_workgroup_id_z 0
		.amdhsa_system_sgpr_workgroup_info 0
		.amdhsa_system_vgpr_workitem_id 0
		.amdhsa_next_free_vgpr 1
		.amdhsa_next_free_sgpr 0
		.amdhsa_accum_offset 4
		.amdhsa_reserve_vcc 0
		.amdhsa_float_round_mode_32 0
		.amdhsa_float_round_mode_16_64 0
		.amdhsa_float_denorm_mode_32 3
		.amdhsa_float_denorm_mode_16_64 3
		.amdhsa_dx10_clamp 1
		.amdhsa_ieee_mode 1
		.amdhsa_fp16_overflow 0
		.amdhsa_tg_split 0
		.amdhsa_exception_fp_ieee_invalid_op 0
		.amdhsa_exception_fp_denorm_src 0
		.amdhsa_exception_fp_ieee_div_zero 0
		.amdhsa_exception_fp_ieee_overflow 0
		.amdhsa_exception_fp_ieee_underflow 0
		.amdhsa_exception_fp_ieee_inexact 0
		.amdhsa_exception_int_div_zero 0
	.end_amdhsa_kernel
	.section	.text._ZN7rocprim17ROCPRIM_400000_NS6detail17trampoline_kernelINS0_14default_configENS1_35adjacent_difference_config_selectorILb1ElEEZNS1_24adjacent_difference_implIS3_Lb1ELb0EPlS7_ZN2at6native12_GLOBAL__N_124unique_dim_cuda_templateIdEESt5tupleIJNS8_6TensorESD_SD_EERKSD_lbbbEUlllE1_EE10hipError_tPvRmT2_T3_mT4_P12ihipStream_tbEUlT_E_NS1_11comp_targetILNS1_3genE4ELNS1_11target_archE910ELNS1_3gpuE8ELNS1_3repE0EEENS1_30default_config_static_selectorELNS0_4arch9wavefront6targetE1EEEvT1_,"axG",@progbits,_ZN7rocprim17ROCPRIM_400000_NS6detail17trampoline_kernelINS0_14default_configENS1_35adjacent_difference_config_selectorILb1ElEEZNS1_24adjacent_difference_implIS3_Lb1ELb0EPlS7_ZN2at6native12_GLOBAL__N_124unique_dim_cuda_templateIdEESt5tupleIJNS8_6TensorESD_SD_EERKSD_lbbbEUlllE1_EE10hipError_tPvRmT2_T3_mT4_P12ihipStream_tbEUlT_E_NS1_11comp_targetILNS1_3genE4ELNS1_11target_archE910ELNS1_3gpuE8ELNS1_3repE0EEENS1_30default_config_static_selectorELNS0_4arch9wavefront6targetE1EEEvT1_,comdat
.Lfunc_end808:
	.size	_ZN7rocprim17ROCPRIM_400000_NS6detail17trampoline_kernelINS0_14default_configENS1_35adjacent_difference_config_selectorILb1ElEEZNS1_24adjacent_difference_implIS3_Lb1ELb0EPlS7_ZN2at6native12_GLOBAL__N_124unique_dim_cuda_templateIdEESt5tupleIJNS8_6TensorESD_SD_EERKSD_lbbbEUlllE1_EE10hipError_tPvRmT2_T3_mT4_P12ihipStream_tbEUlT_E_NS1_11comp_targetILNS1_3genE4ELNS1_11target_archE910ELNS1_3gpuE8ELNS1_3repE0EEENS1_30default_config_static_selectorELNS0_4arch9wavefront6targetE1EEEvT1_, .Lfunc_end808-_ZN7rocprim17ROCPRIM_400000_NS6detail17trampoline_kernelINS0_14default_configENS1_35adjacent_difference_config_selectorILb1ElEEZNS1_24adjacent_difference_implIS3_Lb1ELb0EPlS7_ZN2at6native12_GLOBAL__N_124unique_dim_cuda_templateIdEESt5tupleIJNS8_6TensorESD_SD_EERKSD_lbbbEUlllE1_EE10hipError_tPvRmT2_T3_mT4_P12ihipStream_tbEUlT_E_NS1_11comp_targetILNS1_3genE4ELNS1_11target_archE910ELNS1_3gpuE8ELNS1_3repE0EEENS1_30default_config_static_selectorELNS0_4arch9wavefront6targetE1EEEvT1_
                                        ; -- End function
	.section	.AMDGPU.csdata,"",@progbits
; Kernel info:
; codeLenInByte = 0
; NumSgprs: 6
; NumVgprs: 0
; NumAgprs: 0
; TotalNumVgprs: 0
; ScratchSize: 0
; MemoryBound: 0
; FloatMode: 240
; IeeeMode: 1
; LDSByteSize: 0 bytes/workgroup (compile time only)
; SGPRBlocks: 0
; VGPRBlocks: 0
; NumSGPRsForWavesPerEU: 6
; NumVGPRsForWavesPerEU: 1
; AccumOffset: 4
; Occupancy: 8
; WaveLimiterHint : 0
; COMPUTE_PGM_RSRC2:SCRATCH_EN: 0
; COMPUTE_PGM_RSRC2:USER_SGPR: 2
; COMPUTE_PGM_RSRC2:TRAP_HANDLER: 0
; COMPUTE_PGM_RSRC2:TGID_X_EN: 1
; COMPUTE_PGM_RSRC2:TGID_Y_EN: 0
; COMPUTE_PGM_RSRC2:TGID_Z_EN: 0
; COMPUTE_PGM_RSRC2:TIDIG_COMP_CNT: 0
; COMPUTE_PGM_RSRC3_GFX90A:ACCUM_OFFSET: 0
; COMPUTE_PGM_RSRC3_GFX90A:TG_SPLIT: 0
	.section	.text._ZN7rocprim17ROCPRIM_400000_NS6detail17trampoline_kernelINS0_14default_configENS1_35adjacent_difference_config_selectorILb1ElEEZNS1_24adjacent_difference_implIS3_Lb1ELb0EPlS7_ZN2at6native12_GLOBAL__N_124unique_dim_cuda_templateIdEESt5tupleIJNS8_6TensorESD_SD_EERKSD_lbbbEUlllE1_EE10hipError_tPvRmT2_T3_mT4_P12ihipStream_tbEUlT_E_NS1_11comp_targetILNS1_3genE3ELNS1_11target_archE908ELNS1_3gpuE7ELNS1_3repE0EEENS1_30default_config_static_selectorELNS0_4arch9wavefront6targetE1EEEvT1_,"axG",@progbits,_ZN7rocprim17ROCPRIM_400000_NS6detail17trampoline_kernelINS0_14default_configENS1_35adjacent_difference_config_selectorILb1ElEEZNS1_24adjacent_difference_implIS3_Lb1ELb0EPlS7_ZN2at6native12_GLOBAL__N_124unique_dim_cuda_templateIdEESt5tupleIJNS8_6TensorESD_SD_EERKSD_lbbbEUlllE1_EE10hipError_tPvRmT2_T3_mT4_P12ihipStream_tbEUlT_E_NS1_11comp_targetILNS1_3genE3ELNS1_11target_archE908ELNS1_3gpuE7ELNS1_3repE0EEENS1_30default_config_static_selectorELNS0_4arch9wavefront6targetE1EEEvT1_,comdat
	.globl	_ZN7rocprim17ROCPRIM_400000_NS6detail17trampoline_kernelINS0_14default_configENS1_35adjacent_difference_config_selectorILb1ElEEZNS1_24adjacent_difference_implIS3_Lb1ELb0EPlS7_ZN2at6native12_GLOBAL__N_124unique_dim_cuda_templateIdEESt5tupleIJNS8_6TensorESD_SD_EERKSD_lbbbEUlllE1_EE10hipError_tPvRmT2_T3_mT4_P12ihipStream_tbEUlT_E_NS1_11comp_targetILNS1_3genE3ELNS1_11target_archE908ELNS1_3gpuE7ELNS1_3repE0EEENS1_30default_config_static_selectorELNS0_4arch9wavefront6targetE1EEEvT1_ ; -- Begin function _ZN7rocprim17ROCPRIM_400000_NS6detail17trampoline_kernelINS0_14default_configENS1_35adjacent_difference_config_selectorILb1ElEEZNS1_24adjacent_difference_implIS3_Lb1ELb0EPlS7_ZN2at6native12_GLOBAL__N_124unique_dim_cuda_templateIdEESt5tupleIJNS8_6TensorESD_SD_EERKSD_lbbbEUlllE1_EE10hipError_tPvRmT2_T3_mT4_P12ihipStream_tbEUlT_E_NS1_11comp_targetILNS1_3genE3ELNS1_11target_archE908ELNS1_3gpuE7ELNS1_3repE0EEENS1_30default_config_static_selectorELNS0_4arch9wavefront6targetE1EEEvT1_
	.p2align	8
	.type	_ZN7rocprim17ROCPRIM_400000_NS6detail17trampoline_kernelINS0_14default_configENS1_35adjacent_difference_config_selectorILb1ElEEZNS1_24adjacent_difference_implIS3_Lb1ELb0EPlS7_ZN2at6native12_GLOBAL__N_124unique_dim_cuda_templateIdEESt5tupleIJNS8_6TensorESD_SD_EERKSD_lbbbEUlllE1_EE10hipError_tPvRmT2_T3_mT4_P12ihipStream_tbEUlT_E_NS1_11comp_targetILNS1_3genE3ELNS1_11target_archE908ELNS1_3gpuE7ELNS1_3repE0EEENS1_30default_config_static_selectorELNS0_4arch9wavefront6targetE1EEEvT1_,@function
_ZN7rocprim17ROCPRIM_400000_NS6detail17trampoline_kernelINS0_14default_configENS1_35adjacent_difference_config_selectorILb1ElEEZNS1_24adjacent_difference_implIS3_Lb1ELb0EPlS7_ZN2at6native12_GLOBAL__N_124unique_dim_cuda_templateIdEESt5tupleIJNS8_6TensorESD_SD_EERKSD_lbbbEUlllE1_EE10hipError_tPvRmT2_T3_mT4_P12ihipStream_tbEUlT_E_NS1_11comp_targetILNS1_3genE3ELNS1_11target_archE908ELNS1_3gpuE7ELNS1_3repE0EEENS1_30default_config_static_selectorELNS0_4arch9wavefront6targetE1EEEvT1_: ; @_ZN7rocprim17ROCPRIM_400000_NS6detail17trampoline_kernelINS0_14default_configENS1_35adjacent_difference_config_selectorILb1ElEEZNS1_24adjacent_difference_implIS3_Lb1ELb0EPlS7_ZN2at6native12_GLOBAL__N_124unique_dim_cuda_templateIdEESt5tupleIJNS8_6TensorESD_SD_EERKSD_lbbbEUlllE1_EE10hipError_tPvRmT2_T3_mT4_P12ihipStream_tbEUlT_E_NS1_11comp_targetILNS1_3genE3ELNS1_11target_archE908ELNS1_3gpuE7ELNS1_3repE0EEENS1_30default_config_static_selectorELNS0_4arch9wavefront6targetE1EEEvT1_
; %bb.0:
	.section	.rodata,"a",@progbits
	.p2align	6, 0x0
	.amdhsa_kernel _ZN7rocprim17ROCPRIM_400000_NS6detail17trampoline_kernelINS0_14default_configENS1_35adjacent_difference_config_selectorILb1ElEEZNS1_24adjacent_difference_implIS3_Lb1ELb0EPlS7_ZN2at6native12_GLOBAL__N_124unique_dim_cuda_templateIdEESt5tupleIJNS8_6TensorESD_SD_EERKSD_lbbbEUlllE1_EE10hipError_tPvRmT2_T3_mT4_P12ihipStream_tbEUlT_E_NS1_11comp_targetILNS1_3genE3ELNS1_11target_archE908ELNS1_3gpuE7ELNS1_3repE0EEENS1_30default_config_static_selectorELNS0_4arch9wavefront6targetE1EEEvT1_
		.amdhsa_group_segment_fixed_size 0
		.amdhsa_private_segment_fixed_size 0
		.amdhsa_kernarg_size 64
		.amdhsa_user_sgpr_count 2
		.amdhsa_user_sgpr_dispatch_ptr 0
		.amdhsa_user_sgpr_queue_ptr 0
		.amdhsa_user_sgpr_kernarg_segment_ptr 1
		.amdhsa_user_sgpr_dispatch_id 0
		.amdhsa_user_sgpr_kernarg_preload_length 0
		.amdhsa_user_sgpr_kernarg_preload_offset 0
		.amdhsa_user_sgpr_private_segment_size 0
		.amdhsa_uses_dynamic_stack 0
		.amdhsa_enable_private_segment 0
		.amdhsa_system_sgpr_workgroup_id_x 1
		.amdhsa_system_sgpr_workgroup_id_y 0
		.amdhsa_system_sgpr_workgroup_id_z 0
		.amdhsa_system_sgpr_workgroup_info 0
		.amdhsa_system_vgpr_workitem_id 0
		.amdhsa_next_free_vgpr 1
		.amdhsa_next_free_sgpr 0
		.amdhsa_accum_offset 4
		.amdhsa_reserve_vcc 0
		.amdhsa_float_round_mode_32 0
		.amdhsa_float_round_mode_16_64 0
		.amdhsa_float_denorm_mode_32 3
		.amdhsa_float_denorm_mode_16_64 3
		.amdhsa_dx10_clamp 1
		.amdhsa_ieee_mode 1
		.amdhsa_fp16_overflow 0
		.amdhsa_tg_split 0
		.amdhsa_exception_fp_ieee_invalid_op 0
		.amdhsa_exception_fp_denorm_src 0
		.amdhsa_exception_fp_ieee_div_zero 0
		.amdhsa_exception_fp_ieee_overflow 0
		.amdhsa_exception_fp_ieee_underflow 0
		.amdhsa_exception_fp_ieee_inexact 0
		.amdhsa_exception_int_div_zero 0
	.end_amdhsa_kernel
	.section	.text._ZN7rocprim17ROCPRIM_400000_NS6detail17trampoline_kernelINS0_14default_configENS1_35adjacent_difference_config_selectorILb1ElEEZNS1_24adjacent_difference_implIS3_Lb1ELb0EPlS7_ZN2at6native12_GLOBAL__N_124unique_dim_cuda_templateIdEESt5tupleIJNS8_6TensorESD_SD_EERKSD_lbbbEUlllE1_EE10hipError_tPvRmT2_T3_mT4_P12ihipStream_tbEUlT_E_NS1_11comp_targetILNS1_3genE3ELNS1_11target_archE908ELNS1_3gpuE7ELNS1_3repE0EEENS1_30default_config_static_selectorELNS0_4arch9wavefront6targetE1EEEvT1_,"axG",@progbits,_ZN7rocprim17ROCPRIM_400000_NS6detail17trampoline_kernelINS0_14default_configENS1_35adjacent_difference_config_selectorILb1ElEEZNS1_24adjacent_difference_implIS3_Lb1ELb0EPlS7_ZN2at6native12_GLOBAL__N_124unique_dim_cuda_templateIdEESt5tupleIJNS8_6TensorESD_SD_EERKSD_lbbbEUlllE1_EE10hipError_tPvRmT2_T3_mT4_P12ihipStream_tbEUlT_E_NS1_11comp_targetILNS1_3genE3ELNS1_11target_archE908ELNS1_3gpuE7ELNS1_3repE0EEENS1_30default_config_static_selectorELNS0_4arch9wavefront6targetE1EEEvT1_,comdat
.Lfunc_end809:
	.size	_ZN7rocprim17ROCPRIM_400000_NS6detail17trampoline_kernelINS0_14default_configENS1_35adjacent_difference_config_selectorILb1ElEEZNS1_24adjacent_difference_implIS3_Lb1ELb0EPlS7_ZN2at6native12_GLOBAL__N_124unique_dim_cuda_templateIdEESt5tupleIJNS8_6TensorESD_SD_EERKSD_lbbbEUlllE1_EE10hipError_tPvRmT2_T3_mT4_P12ihipStream_tbEUlT_E_NS1_11comp_targetILNS1_3genE3ELNS1_11target_archE908ELNS1_3gpuE7ELNS1_3repE0EEENS1_30default_config_static_selectorELNS0_4arch9wavefront6targetE1EEEvT1_, .Lfunc_end809-_ZN7rocprim17ROCPRIM_400000_NS6detail17trampoline_kernelINS0_14default_configENS1_35adjacent_difference_config_selectorILb1ElEEZNS1_24adjacent_difference_implIS3_Lb1ELb0EPlS7_ZN2at6native12_GLOBAL__N_124unique_dim_cuda_templateIdEESt5tupleIJNS8_6TensorESD_SD_EERKSD_lbbbEUlllE1_EE10hipError_tPvRmT2_T3_mT4_P12ihipStream_tbEUlT_E_NS1_11comp_targetILNS1_3genE3ELNS1_11target_archE908ELNS1_3gpuE7ELNS1_3repE0EEENS1_30default_config_static_selectorELNS0_4arch9wavefront6targetE1EEEvT1_
                                        ; -- End function
	.section	.AMDGPU.csdata,"",@progbits
; Kernel info:
; codeLenInByte = 0
; NumSgprs: 6
; NumVgprs: 0
; NumAgprs: 0
; TotalNumVgprs: 0
; ScratchSize: 0
; MemoryBound: 0
; FloatMode: 240
; IeeeMode: 1
; LDSByteSize: 0 bytes/workgroup (compile time only)
; SGPRBlocks: 0
; VGPRBlocks: 0
; NumSGPRsForWavesPerEU: 6
; NumVGPRsForWavesPerEU: 1
; AccumOffset: 4
; Occupancy: 8
; WaveLimiterHint : 0
; COMPUTE_PGM_RSRC2:SCRATCH_EN: 0
; COMPUTE_PGM_RSRC2:USER_SGPR: 2
; COMPUTE_PGM_RSRC2:TRAP_HANDLER: 0
; COMPUTE_PGM_RSRC2:TGID_X_EN: 1
; COMPUTE_PGM_RSRC2:TGID_Y_EN: 0
; COMPUTE_PGM_RSRC2:TGID_Z_EN: 0
; COMPUTE_PGM_RSRC2:TIDIG_COMP_CNT: 0
; COMPUTE_PGM_RSRC3_GFX90A:ACCUM_OFFSET: 0
; COMPUTE_PGM_RSRC3_GFX90A:TG_SPLIT: 0
	.section	.text._ZN7rocprim17ROCPRIM_400000_NS6detail17trampoline_kernelINS0_14default_configENS1_35adjacent_difference_config_selectorILb1ElEEZNS1_24adjacent_difference_implIS3_Lb1ELb0EPlS7_ZN2at6native12_GLOBAL__N_124unique_dim_cuda_templateIdEESt5tupleIJNS8_6TensorESD_SD_EERKSD_lbbbEUlllE1_EE10hipError_tPvRmT2_T3_mT4_P12ihipStream_tbEUlT_E_NS1_11comp_targetILNS1_3genE2ELNS1_11target_archE906ELNS1_3gpuE6ELNS1_3repE0EEENS1_30default_config_static_selectorELNS0_4arch9wavefront6targetE1EEEvT1_,"axG",@progbits,_ZN7rocprim17ROCPRIM_400000_NS6detail17trampoline_kernelINS0_14default_configENS1_35adjacent_difference_config_selectorILb1ElEEZNS1_24adjacent_difference_implIS3_Lb1ELb0EPlS7_ZN2at6native12_GLOBAL__N_124unique_dim_cuda_templateIdEESt5tupleIJNS8_6TensorESD_SD_EERKSD_lbbbEUlllE1_EE10hipError_tPvRmT2_T3_mT4_P12ihipStream_tbEUlT_E_NS1_11comp_targetILNS1_3genE2ELNS1_11target_archE906ELNS1_3gpuE6ELNS1_3repE0EEENS1_30default_config_static_selectorELNS0_4arch9wavefront6targetE1EEEvT1_,comdat
	.globl	_ZN7rocprim17ROCPRIM_400000_NS6detail17trampoline_kernelINS0_14default_configENS1_35adjacent_difference_config_selectorILb1ElEEZNS1_24adjacent_difference_implIS3_Lb1ELb0EPlS7_ZN2at6native12_GLOBAL__N_124unique_dim_cuda_templateIdEESt5tupleIJNS8_6TensorESD_SD_EERKSD_lbbbEUlllE1_EE10hipError_tPvRmT2_T3_mT4_P12ihipStream_tbEUlT_E_NS1_11comp_targetILNS1_3genE2ELNS1_11target_archE906ELNS1_3gpuE6ELNS1_3repE0EEENS1_30default_config_static_selectorELNS0_4arch9wavefront6targetE1EEEvT1_ ; -- Begin function _ZN7rocprim17ROCPRIM_400000_NS6detail17trampoline_kernelINS0_14default_configENS1_35adjacent_difference_config_selectorILb1ElEEZNS1_24adjacent_difference_implIS3_Lb1ELb0EPlS7_ZN2at6native12_GLOBAL__N_124unique_dim_cuda_templateIdEESt5tupleIJNS8_6TensorESD_SD_EERKSD_lbbbEUlllE1_EE10hipError_tPvRmT2_T3_mT4_P12ihipStream_tbEUlT_E_NS1_11comp_targetILNS1_3genE2ELNS1_11target_archE906ELNS1_3gpuE6ELNS1_3repE0EEENS1_30default_config_static_selectorELNS0_4arch9wavefront6targetE1EEEvT1_
	.p2align	8
	.type	_ZN7rocprim17ROCPRIM_400000_NS6detail17trampoline_kernelINS0_14default_configENS1_35adjacent_difference_config_selectorILb1ElEEZNS1_24adjacent_difference_implIS3_Lb1ELb0EPlS7_ZN2at6native12_GLOBAL__N_124unique_dim_cuda_templateIdEESt5tupleIJNS8_6TensorESD_SD_EERKSD_lbbbEUlllE1_EE10hipError_tPvRmT2_T3_mT4_P12ihipStream_tbEUlT_E_NS1_11comp_targetILNS1_3genE2ELNS1_11target_archE906ELNS1_3gpuE6ELNS1_3repE0EEENS1_30default_config_static_selectorELNS0_4arch9wavefront6targetE1EEEvT1_,@function
_ZN7rocprim17ROCPRIM_400000_NS6detail17trampoline_kernelINS0_14default_configENS1_35adjacent_difference_config_selectorILb1ElEEZNS1_24adjacent_difference_implIS3_Lb1ELb0EPlS7_ZN2at6native12_GLOBAL__N_124unique_dim_cuda_templateIdEESt5tupleIJNS8_6TensorESD_SD_EERKSD_lbbbEUlllE1_EE10hipError_tPvRmT2_T3_mT4_P12ihipStream_tbEUlT_E_NS1_11comp_targetILNS1_3genE2ELNS1_11target_archE906ELNS1_3gpuE6ELNS1_3repE0EEENS1_30default_config_static_selectorELNS0_4arch9wavefront6targetE1EEEvT1_: ; @_ZN7rocprim17ROCPRIM_400000_NS6detail17trampoline_kernelINS0_14default_configENS1_35adjacent_difference_config_selectorILb1ElEEZNS1_24adjacent_difference_implIS3_Lb1ELb0EPlS7_ZN2at6native12_GLOBAL__N_124unique_dim_cuda_templateIdEESt5tupleIJNS8_6TensorESD_SD_EERKSD_lbbbEUlllE1_EE10hipError_tPvRmT2_T3_mT4_P12ihipStream_tbEUlT_E_NS1_11comp_targetILNS1_3genE2ELNS1_11target_archE906ELNS1_3gpuE6ELNS1_3repE0EEENS1_30default_config_static_selectorELNS0_4arch9wavefront6targetE1EEEvT1_
; %bb.0:
	.section	.rodata,"a",@progbits
	.p2align	6, 0x0
	.amdhsa_kernel _ZN7rocprim17ROCPRIM_400000_NS6detail17trampoline_kernelINS0_14default_configENS1_35adjacent_difference_config_selectorILb1ElEEZNS1_24adjacent_difference_implIS3_Lb1ELb0EPlS7_ZN2at6native12_GLOBAL__N_124unique_dim_cuda_templateIdEESt5tupleIJNS8_6TensorESD_SD_EERKSD_lbbbEUlllE1_EE10hipError_tPvRmT2_T3_mT4_P12ihipStream_tbEUlT_E_NS1_11comp_targetILNS1_3genE2ELNS1_11target_archE906ELNS1_3gpuE6ELNS1_3repE0EEENS1_30default_config_static_selectorELNS0_4arch9wavefront6targetE1EEEvT1_
		.amdhsa_group_segment_fixed_size 0
		.amdhsa_private_segment_fixed_size 0
		.amdhsa_kernarg_size 64
		.amdhsa_user_sgpr_count 2
		.amdhsa_user_sgpr_dispatch_ptr 0
		.amdhsa_user_sgpr_queue_ptr 0
		.amdhsa_user_sgpr_kernarg_segment_ptr 1
		.amdhsa_user_sgpr_dispatch_id 0
		.amdhsa_user_sgpr_kernarg_preload_length 0
		.amdhsa_user_sgpr_kernarg_preload_offset 0
		.amdhsa_user_sgpr_private_segment_size 0
		.amdhsa_uses_dynamic_stack 0
		.amdhsa_enable_private_segment 0
		.amdhsa_system_sgpr_workgroup_id_x 1
		.amdhsa_system_sgpr_workgroup_id_y 0
		.amdhsa_system_sgpr_workgroup_id_z 0
		.amdhsa_system_sgpr_workgroup_info 0
		.amdhsa_system_vgpr_workitem_id 0
		.amdhsa_next_free_vgpr 1
		.amdhsa_next_free_sgpr 0
		.amdhsa_accum_offset 4
		.amdhsa_reserve_vcc 0
		.amdhsa_float_round_mode_32 0
		.amdhsa_float_round_mode_16_64 0
		.amdhsa_float_denorm_mode_32 3
		.amdhsa_float_denorm_mode_16_64 3
		.amdhsa_dx10_clamp 1
		.amdhsa_ieee_mode 1
		.amdhsa_fp16_overflow 0
		.amdhsa_tg_split 0
		.amdhsa_exception_fp_ieee_invalid_op 0
		.amdhsa_exception_fp_denorm_src 0
		.amdhsa_exception_fp_ieee_div_zero 0
		.amdhsa_exception_fp_ieee_overflow 0
		.amdhsa_exception_fp_ieee_underflow 0
		.amdhsa_exception_fp_ieee_inexact 0
		.amdhsa_exception_int_div_zero 0
	.end_amdhsa_kernel
	.section	.text._ZN7rocprim17ROCPRIM_400000_NS6detail17trampoline_kernelINS0_14default_configENS1_35adjacent_difference_config_selectorILb1ElEEZNS1_24adjacent_difference_implIS3_Lb1ELb0EPlS7_ZN2at6native12_GLOBAL__N_124unique_dim_cuda_templateIdEESt5tupleIJNS8_6TensorESD_SD_EERKSD_lbbbEUlllE1_EE10hipError_tPvRmT2_T3_mT4_P12ihipStream_tbEUlT_E_NS1_11comp_targetILNS1_3genE2ELNS1_11target_archE906ELNS1_3gpuE6ELNS1_3repE0EEENS1_30default_config_static_selectorELNS0_4arch9wavefront6targetE1EEEvT1_,"axG",@progbits,_ZN7rocprim17ROCPRIM_400000_NS6detail17trampoline_kernelINS0_14default_configENS1_35adjacent_difference_config_selectorILb1ElEEZNS1_24adjacent_difference_implIS3_Lb1ELb0EPlS7_ZN2at6native12_GLOBAL__N_124unique_dim_cuda_templateIdEESt5tupleIJNS8_6TensorESD_SD_EERKSD_lbbbEUlllE1_EE10hipError_tPvRmT2_T3_mT4_P12ihipStream_tbEUlT_E_NS1_11comp_targetILNS1_3genE2ELNS1_11target_archE906ELNS1_3gpuE6ELNS1_3repE0EEENS1_30default_config_static_selectorELNS0_4arch9wavefront6targetE1EEEvT1_,comdat
.Lfunc_end810:
	.size	_ZN7rocprim17ROCPRIM_400000_NS6detail17trampoline_kernelINS0_14default_configENS1_35adjacent_difference_config_selectorILb1ElEEZNS1_24adjacent_difference_implIS3_Lb1ELb0EPlS7_ZN2at6native12_GLOBAL__N_124unique_dim_cuda_templateIdEESt5tupleIJNS8_6TensorESD_SD_EERKSD_lbbbEUlllE1_EE10hipError_tPvRmT2_T3_mT4_P12ihipStream_tbEUlT_E_NS1_11comp_targetILNS1_3genE2ELNS1_11target_archE906ELNS1_3gpuE6ELNS1_3repE0EEENS1_30default_config_static_selectorELNS0_4arch9wavefront6targetE1EEEvT1_, .Lfunc_end810-_ZN7rocprim17ROCPRIM_400000_NS6detail17trampoline_kernelINS0_14default_configENS1_35adjacent_difference_config_selectorILb1ElEEZNS1_24adjacent_difference_implIS3_Lb1ELb0EPlS7_ZN2at6native12_GLOBAL__N_124unique_dim_cuda_templateIdEESt5tupleIJNS8_6TensorESD_SD_EERKSD_lbbbEUlllE1_EE10hipError_tPvRmT2_T3_mT4_P12ihipStream_tbEUlT_E_NS1_11comp_targetILNS1_3genE2ELNS1_11target_archE906ELNS1_3gpuE6ELNS1_3repE0EEENS1_30default_config_static_selectorELNS0_4arch9wavefront6targetE1EEEvT1_
                                        ; -- End function
	.section	.AMDGPU.csdata,"",@progbits
; Kernel info:
; codeLenInByte = 0
; NumSgprs: 6
; NumVgprs: 0
; NumAgprs: 0
; TotalNumVgprs: 0
; ScratchSize: 0
; MemoryBound: 0
; FloatMode: 240
; IeeeMode: 1
; LDSByteSize: 0 bytes/workgroup (compile time only)
; SGPRBlocks: 0
; VGPRBlocks: 0
; NumSGPRsForWavesPerEU: 6
; NumVGPRsForWavesPerEU: 1
; AccumOffset: 4
; Occupancy: 8
; WaveLimiterHint : 0
; COMPUTE_PGM_RSRC2:SCRATCH_EN: 0
; COMPUTE_PGM_RSRC2:USER_SGPR: 2
; COMPUTE_PGM_RSRC2:TRAP_HANDLER: 0
; COMPUTE_PGM_RSRC2:TGID_X_EN: 1
; COMPUTE_PGM_RSRC2:TGID_Y_EN: 0
; COMPUTE_PGM_RSRC2:TGID_Z_EN: 0
; COMPUTE_PGM_RSRC2:TIDIG_COMP_CNT: 0
; COMPUTE_PGM_RSRC3_GFX90A:ACCUM_OFFSET: 0
; COMPUTE_PGM_RSRC3_GFX90A:TG_SPLIT: 0
	.section	.text._ZN7rocprim17ROCPRIM_400000_NS6detail17trampoline_kernelINS0_14default_configENS1_35adjacent_difference_config_selectorILb1ElEEZNS1_24adjacent_difference_implIS3_Lb1ELb0EPlS7_ZN2at6native12_GLOBAL__N_124unique_dim_cuda_templateIdEESt5tupleIJNS8_6TensorESD_SD_EERKSD_lbbbEUlllE1_EE10hipError_tPvRmT2_T3_mT4_P12ihipStream_tbEUlT_E_NS1_11comp_targetILNS1_3genE9ELNS1_11target_archE1100ELNS1_3gpuE3ELNS1_3repE0EEENS1_30default_config_static_selectorELNS0_4arch9wavefront6targetE1EEEvT1_,"axG",@progbits,_ZN7rocprim17ROCPRIM_400000_NS6detail17trampoline_kernelINS0_14default_configENS1_35adjacent_difference_config_selectorILb1ElEEZNS1_24adjacent_difference_implIS3_Lb1ELb0EPlS7_ZN2at6native12_GLOBAL__N_124unique_dim_cuda_templateIdEESt5tupleIJNS8_6TensorESD_SD_EERKSD_lbbbEUlllE1_EE10hipError_tPvRmT2_T3_mT4_P12ihipStream_tbEUlT_E_NS1_11comp_targetILNS1_3genE9ELNS1_11target_archE1100ELNS1_3gpuE3ELNS1_3repE0EEENS1_30default_config_static_selectorELNS0_4arch9wavefront6targetE1EEEvT1_,comdat
	.globl	_ZN7rocprim17ROCPRIM_400000_NS6detail17trampoline_kernelINS0_14default_configENS1_35adjacent_difference_config_selectorILb1ElEEZNS1_24adjacent_difference_implIS3_Lb1ELb0EPlS7_ZN2at6native12_GLOBAL__N_124unique_dim_cuda_templateIdEESt5tupleIJNS8_6TensorESD_SD_EERKSD_lbbbEUlllE1_EE10hipError_tPvRmT2_T3_mT4_P12ihipStream_tbEUlT_E_NS1_11comp_targetILNS1_3genE9ELNS1_11target_archE1100ELNS1_3gpuE3ELNS1_3repE0EEENS1_30default_config_static_selectorELNS0_4arch9wavefront6targetE1EEEvT1_ ; -- Begin function _ZN7rocprim17ROCPRIM_400000_NS6detail17trampoline_kernelINS0_14default_configENS1_35adjacent_difference_config_selectorILb1ElEEZNS1_24adjacent_difference_implIS3_Lb1ELb0EPlS7_ZN2at6native12_GLOBAL__N_124unique_dim_cuda_templateIdEESt5tupleIJNS8_6TensorESD_SD_EERKSD_lbbbEUlllE1_EE10hipError_tPvRmT2_T3_mT4_P12ihipStream_tbEUlT_E_NS1_11comp_targetILNS1_3genE9ELNS1_11target_archE1100ELNS1_3gpuE3ELNS1_3repE0EEENS1_30default_config_static_selectorELNS0_4arch9wavefront6targetE1EEEvT1_
	.p2align	8
	.type	_ZN7rocprim17ROCPRIM_400000_NS6detail17trampoline_kernelINS0_14default_configENS1_35adjacent_difference_config_selectorILb1ElEEZNS1_24adjacent_difference_implIS3_Lb1ELb0EPlS7_ZN2at6native12_GLOBAL__N_124unique_dim_cuda_templateIdEESt5tupleIJNS8_6TensorESD_SD_EERKSD_lbbbEUlllE1_EE10hipError_tPvRmT2_T3_mT4_P12ihipStream_tbEUlT_E_NS1_11comp_targetILNS1_3genE9ELNS1_11target_archE1100ELNS1_3gpuE3ELNS1_3repE0EEENS1_30default_config_static_selectorELNS0_4arch9wavefront6targetE1EEEvT1_,@function
_ZN7rocprim17ROCPRIM_400000_NS6detail17trampoline_kernelINS0_14default_configENS1_35adjacent_difference_config_selectorILb1ElEEZNS1_24adjacent_difference_implIS3_Lb1ELb0EPlS7_ZN2at6native12_GLOBAL__N_124unique_dim_cuda_templateIdEESt5tupleIJNS8_6TensorESD_SD_EERKSD_lbbbEUlllE1_EE10hipError_tPvRmT2_T3_mT4_P12ihipStream_tbEUlT_E_NS1_11comp_targetILNS1_3genE9ELNS1_11target_archE1100ELNS1_3gpuE3ELNS1_3repE0EEENS1_30default_config_static_selectorELNS0_4arch9wavefront6targetE1EEEvT1_: ; @_ZN7rocprim17ROCPRIM_400000_NS6detail17trampoline_kernelINS0_14default_configENS1_35adjacent_difference_config_selectorILb1ElEEZNS1_24adjacent_difference_implIS3_Lb1ELb0EPlS7_ZN2at6native12_GLOBAL__N_124unique_dim_cuda_templateIdEESt5tupleIJNS8_6TensorESD_SD_EERKSD_lbbbEUlllE1_EE10hipError_tPvRmT2_T3_mT4_P12ihipStream_tbEUlT_E_NS1_11comp_targetILNS1_3genE9ELNS1_11target_archE1100ELNS1_3gpuE3ELNS1_3repE0EEENS1_30default_config_static_selectorELNS0_4arch9wavefront6targetE1EEEvT1_
; %bb.0:
	.section	.rodata,"a",@progbits
	.p2align	6, 0x0
	.amdhsa_kernel _ZN7rocprim17ROCPRIM_400000_NS6detail17trampoline_kernelINS0_14default_configENS1_35adjacent_difference_config_selectorILb1ElEEZNS1_24adjacent_difference_implIS3_Lb1ELb0EPlS7_ZN2at6native12_GLOBAL__N_124unique_dim_cuda_templateIdEESt5tupleIJNS8_6TensorESD_SD_EERKSD_lbbbEUlllE1_EE10hipError_tPvRmT2_T3_mT4_P12ihipStream_tbEUlT_E_NS1_11comp_targetILNS1_3genE9ELNS1_11target_archE1100ELNS1_3gpuE3ELNS1_3repE0EEENS1_30default_config_static_selectorELNS0_4arch9wavefront6targetE1EEEvT1_
		.amdhsa_group_segment_fixed_size 0
		.amdhsa_private_segment_fixed_size 0
		.amdhsa_kernarg_size 64
		.amdhsa_user_sgpr_count 2
		.amdhsa_user_sgpr_dispatch_ptr 0
		.amdhsa_user_sgpr_queue_ptr 0
		.amdhsa_user_sgpr_kernarg_segment_ptr 1
		.amdhsa_user_sgpr_dispatch_id 0
		.amdhsa_user_sgpr_kernarg_preload_length 0
		.amdhsa_user_sgpr_kernarg_preload_offset 0
		.amdhsa_user_sgpr_private_segment_size 0
		.amdhsa_uses_dynamic_stack 0
		.amdhsa_enable_private_segment 0
		.amdhsa_system_sgpr_workgroup_id_x 1
		.amdhsa_system_sgpr_workgroup_id_y 0
		.amdhsa_system_sgpr_workgroup_id_z 0
		.amdhsa_system_sgpr_workgroup_info 0
		.amdhsa_system_vgpr_workitem_id 0
		.amdhsa_next_free_vgpr 1
		.amdhsa_next_free_sgpr 0
		.amdhsa_accum_offset 4
		.amdhsa_reserve_vcc 0
		.amdhsa_float_round_mode_32 0
		.amdhsa_float_round_mode_16_64 0
		.amdhsa_float_denorm_mode_32 3
		.amdhsa_float_denorm_mode_16_64 3
		.amdhsa_dx10_clamp 1
		.amdhsa_ieee_mode 1
		.amdhsa_fp16_overflow 0
		.amdhsa_tg_split 0
		.amdhsa_exception_fp_ieee_invalid_op 0
		.amdhsa_exception_fp_denorm_src 0
		.amdhsa_exception_fp_ieee_div_zero 0
		.amdhsa_exception_fp_ieee_overflow 0
		.amdhsa_exception_fp_ieee_underflow 0
		.amdhsa_exception_fp_ieee_inexact 0
		.amdhsa_exception_int_div_zero 0
	.end_amdhsa_kernel
	.section	.text._ZN7rocprim17ROCPRIM_400000_NS6detail17trampoline_kernelINS0_14default_configENS1_35adjacent_difference_config_selectorILb1ElEEZNS1_24adjacent_difference_implIS3_Lb1ELb0EPlS7_ZN2at6native12_GLOBAL__N_124unique_dim_cuda_templateIdEESt5tupleIJNS8_6TensorESD_SD_EERKSD_lbbbEUlllE1_EE10hipError_tPvRmT2_T3_mT4_P12ihipStream_tbEUlT_E_NS1_11comp_targetILNS1_3genE9ELNS1_11target_archE1100ELNS1_3gpuE3ELNS1_3repE0EEENS1_30default_config_static_selectorELNS0_4arch9wavefront6targetE1EEEvT1_,"axG",@progbits,_ZN7rocprim17ROCPRIM_400000_NS6detail17trampoline_kernelINS0_14default_configENS1_35adjacent_difference_config_selectorILb1ElEEZNS1_24adjacent_difference_implIS3_Lb1ELb0EPlS7_ZN2at6native12_GLOBAL__N_124unique_dim_cuda_templateIdEESt5tupleIJNS8_6TensorESD_SD_EERKSD_lbbbEUlllE1_EE10hipError_tPvRmT2_T3_mT4_P12ihipStream_tbEUlT_E_NS1_11comp_targetILNS1_3genE9ELNS1_11target_archE1100ELNS1_3gpuE3ELNS1_3repE0EEENS1_30default_config_static_selectorELNS0_4arch9wavefront6targetE1EEEvT1_,comdat
.Lfunc_end811:
	.size	_ZN7rocprim17ROCPRIM_400000_NS6detail17trampoline_kernelINS0_14default_configENS1_35adjacent_difference_config_selectorILb1ElEEZNS1_24adjacent_difference_implIS3_Lb1ELb0EPlS7_ZN2at6native12_GLOBAL__N_124unique_dim_cuda_templateIdEESt5tupleIJNS8_6TensorESD_SD_EERKSD_lbbbEUlllE1_EE10hipError_tPvRmT2_T3_mT4_P12ihipStream_tbEUlT_E_NS1_11comp_targetILNS1_3genE9ELNS1_11target_archE1100ELNS1_3gpuE3ELNS1_3repE0EEENS1_30default_config_static_selectorELNS0_4arch9wavefront6targetE1EEEvT1_, .Lfunc_end811-_ZN7rocprim17ROCPRIM_400000_NS6detail17trampoline_kernelINS0_14default_configENS1_35adjacent_difference_config_selectorILb1ElEEZNS1_24adjacent_difference_implIS3_Lb1ELb0EPlS7_ZN2at6native12_GLOBAL__N_124unique_dim_cuda_templateIdEESt5tupleIJNS8_6TensorESD_SD_EERKSD_lbbbEUlllE1_EE10hipError_tPvRmT2_T3_mT4_P12ihipStream_tbEUlT_E_NS1_11comp_targetILNS1_3genE9ELNS1_11target_archE1100ELNS1_3gpuE3ELNS1_3repE0EEENS1_30default_config_static_selectorELNS0_4arch9wavefront6targetE1EEEvT1_
                                        ; -- End function
	.section	.AMDGPU.csdata,"",@progbits
; Kernel info:
; codeLenInByte = 0
; NumSgprs: 6
; NumVgprs: 0
; NumAgprs: 0
; TotalNumVgprs: 0
; ScratchSize: 0
; MemoryBound: 0
; FloatMode: 240
; IeeeMode: 1
; LDSByteSize: 0 bytes/workgroup (compile time only)
; SGPRBlocks: 0
; VGPRBlocks: 0
; NumSGPRsForWavesPerEU: 6
; NumVGPRsForWavesPerEU: 1
; AccumOffset: 4
; Occupancy: 8
; WaveLimiterHint : 0
; COMPUTE_PGM_RSRC2:SCRATCH_EN: 0
; COMPUTE_PGM_RSRC2:USER_SGPR: 2
; COMPUTE_PGM_RSRC2:TRAP_HANDLER: 0
; COMPUTE_PGM_RSRC2:TGID_X_EN: 1
; COMPUTE_PGM_RSRC2:TGID_Y_EN: 0
; COMPUTE_PGM_RSRC2:TGID_Z_EN: 0
; COMPUTE_PGM_RSRC2:TIDIG_COMP_CNT: 0
; COMPUTE_PGM_RSRC3_GFX90A:ACCUM_OFFSET: 0
; COMPUTE_PGM_RSRC3_GFX90A:TG_SPLIT: 0
	.section	.text._ZN7rocprim17ROCPRIM_400000_NS6detail17trampoline_kernelINS0_14default_configENS1_35adjacent_difference_config_selectorILb1ElEEZNS1_24adjacent_difference_implIS3_Lb1ELb0EPlS7_ZN2at6native12_GLOBAL__N_124unique_dim_cuda_templateIdEESt5tupleIJNS8_6TensorESD_SD_EERKSD_lbbbEUlllE1_EE10hipError_tPvRmT2_T3_mT4_P12ihipStream_tbEUlT_E_NS1_11comp_targetILNS1_3genE8ELNS1_11target_archE1030ELNS1_3gpuE2ELNS1_3repE0EEENS1_30default_config_static_selectorELNS0_4arch9wavefront6targetE1EEEvT1_,"axG",@progbits,_ZN7rocprim17ROCPRIM_400000_NS6detail17trampoline_kernelINS0_14default_configENS1_35adjacent_difference_config_selectorILb1ElEEZNS1_24adjacent_difference_implIS3_Lb1ELb0EPlS7_ZN2at6native12_GLOBAL__N_124unique_dim_cuda_templateIdEESt5tupleIJNS8_6TensorESD_SD_EERKSD_lbbbEUlllE1_EE10hipError_tPvRmT2_T3_mT4_P12ihipStream_tbEUlT_E_NS1_11comp_targetILNS1_3genE8ELNS1_11target_archE1030ELNS1_3gpuE2ELNS1_3repE0EEENS1_30default_config_static_selectorELNS0_4arch9wavefront6targetE1EEEvT1_,comdat
	.globl	_ZN7rocprim17ROCPRIM_400000_NS6detail17trampoline_kernelINS0_14default_configENS1_35adjacent_difference_config_selectorILb1ElEEZNS1_24adjacent_difference_implIS3_Lb1ELb0EPlS7_ZN2at6native12_GLOBAL__N_124unique_dim_cuda_templateIdEESt5tupleIJNS8_6TensorESD_SD_EERKSD_lbbbEUlllE1_EE10hipError_tPvRmT2_T3_mT4_P12ihipStream_tbEUlT_E_NS1_11comp_targetILNS1_3genE8ELNS1_11target_archE1030ELNS1_3gpuE2ELNS1_3repE0EEENS1_30default_config_static_selectorELNS0_4arch9wavefront6targetE1EEEvT1_ ; -- Begin function _ZN7rocprim17ROCPRIM_400000_NS6detail17trampoline_kernelINS0_14default_configENS1_35adjacent_difference_config_selectorILb1ElEEZNS1_24adjacent_difference_implIS3_Lb1ELb0EPlS7_ZN2at6native12_GLOBAL__N_124unique_dim_cuda_templateIdEESt5tupleIJNS8_6TensorESD_SD_EERKSD_lbbbEUlllE1_EE10hipError_tPvRmT2_T3_mT4_P12ihipStream_tbEUlT_E_NS1_11comp_targetILNS1_3genE8ELNS1_11target_archE1030ELNS1_3gpuE2ELNS1_3repE0EEENS1_30default_config_static_selectorELNS0_4arch9wavefront6targetE1EEEvT1_
	.p2align	8
	.type	_ZN7rocprim17ROCPRIM_400000_NS6detail17trampoline_kernelINS0_14default_configENS1_35adjacent_difference_config_selectorILb1ElEEZNS1_24adjacent_difference_implIS3_Lb1ELb0EPlS7_ZN2at6native12_GLOBAL__N_124unique_dim_cuda_templateIdEESt5tupleIJNS8_6TensorESD_SD_EERKSD_lbbbEUlllE1_EE10hipError_tPvRmT2_T3_mT4_P12ihipStream_tbEUlT_E_NS1_11comp_targetILNS1_3genE8ELNS1_11target_archE1030ELNS1_3gpuE2ELNS1_3repE0EEENS1_30default_config_static_selectorELNS0_4arch9wavefront6targetE1EEEvT1_,@function
_ZN7rocprim17ROCPRIM_400000_NS6detail17trampoline_kernelINS0_14default_configENS1_35adjacent_difference_config_selectorILb1ElEEZNS1_24adjacent_difference_implIS3_Lb1ELb0EPlS7_ZN2at6native12_GLOBAL__N_124unique_dim_cuda_templateIdEESt5tupleIJNS8_6TensorESD_SD_EERKSD_lbbbEUlllE1_EE10hipError_tPvRmT2_T3_mT4_P12ihipStream_tbEUlT_E_NS1_11comp_targetILNS1_3genE8ELNS1_11target_archE1030ELNS1_3gpuE2ELNS1_3repE0EEENS1_30default_config_static_selectorELNS0_4arch9wavefront6targetE1EEEvT1_: ; @_ZN7rocprim17ROCPRIM_400000_NS6detail17trampoline_kernelINS0_14default_configENS1_35adjacent_difference_config_selectorILb1ElEEZNS1_24adjacent_difference_implIS3_Lb1ELb0EPlS7_ZN2at6native12_GLOBAL__N_124unique_dim_cuda_templateIdEESt5tupleIJNS8_6TensorESD_SD_EERKSD_lbbbEUlllE1_EE10hipError_tPvRmT2_T3_mT4_P12ihipStream_tbEUlT_E_NS1_11comp_targetILNS1_3genE8ELNS1_11target_archE1030ELNS1_3gpuE2ELNS1_3repE0EEENS1_30default_config_static_selectorELNS0_4arch9wavefront6targetE1EEEvT1_
; %bb.0:
	.section	.rodata,"a",@progbits
	.p2align	6, 0x0
	.amdhsa_kernel _ZN7rocprim17ROCPRIM_400000_NS6detail17trampoline_kernelINS0_14default_configENS1_35adjacent_difference_config_selectorILb1ElEEZNS1_24adjacent_difference_implIS3_Lb1ELb0EPlS7_ZN2at6native12_GLOBAL__N_124unique_dim_cuda_templateIdEESt5tupleIJNS8_6TensorESD_SD_EERKSD_lbbbEUlllE1_EE10hipError_tPvRmT2_T3_mT4_P12ihipStream_tbEUlT_E_NS1_11comp_targetILNS1_3genE8ELNS1_11target_archE1030ELNS1_3gpuE2ELNS1_3repE0EEENS1_30default_config_static_selectorELNS0_4arch9wavefront6targetE1EEEvT1_
		.amdhsa_group_segment_fixed_size 0
		.amdhsa_private_segment_fixed_size 0
		.amdhsa_kernarg_size 64
		.amdhsa_user_sgpr_count 2
		.amdhsa_user_sgpr_dispatch_ptr 0
		.amdhsa_user_sgpr_queue_ptr 0
		.amdhsa_user_sgpr_kernarg_segment_ptr 1
		.amdhsa_user_sgpr_dispatch_id 0
		.amdhsa_user_sgpr_kernarg_preload_length 0
		.amdhsa_user_sgpr_kernarg_preload_offset 0
		.amdhsa_user_sgpr_private_segment_size 0
		.amdhsa_uses_dynamic_stack 0
		.amdhsa_enable_private_segment 0
		.amdhsa_system_sgpr_workgroup_id_x 1
		.amdhsa_system_sgpr_workgroup_id_y 0
		.amdhsa_system_sgpr_workgroup_id_z 0
		.amdhsa_system_sgpr_workgroup_info 0
		.amdhsa_system_vgpr_workitem_id 0
		.amdhsa_next_free_vgpr 1
		.amdhsa_next_free_sgpr 0
		.amdhsa_accum_offset 4
		.amdhsa_reserve_vcc 0
		.amdhsa_float_round_mode_32 0
		.amdhsa_float_round_mode_16_64 0
		.amdhsa_float_denorm_mode_32 3
		.amdhsa_float_denorm_mode_16_64 3
		.amdhsa_dx10_clamp 1
		.amdhsa_ieee_mode 1
		.amdhsa_fp16_overflow 0
		.amdhsa_tg_split 0
		.amdhsa_exception_fp_ieee_invalid_op 0
		.amdhsa_exception_fp_denorm_src 0
		.amdhsa_exception_fp_ieee_div_zero 0
		.amdhsa_exception_fp_ieee_overflow 0
		.amdhsa_exception_fp_ieee_underflow 0
		.amdhsa_exception_fp_ieee_inexact 0
		.amdhsa_exception_int_div_zero 0
	.end_amdhsa_kernel
	.section	.text._ZN7rocprim17ROCPRIM_400000_NS6detail17trampoline_kernelINS0_14default_configENS1_35adjacent_difference_config_selectorILb1ElEEZNS1_24adjacent_difference_implIS3_Lb1ELb0EPlS7_ZN2at6native12_GLOBAL__N_124unique_dim_cuda_templateIdEESt5tupleIJNS8_6TensorESD_SD_EERKSD_lbbbEUlllE1_EE10hipError_tPvRmT2_T3_mT4_P12ihipStream_tbEUlT_E_NS1_11comp_targetILNS1_3genE8ELNS1_11target_archE1030ELNS1_3gpuE2ELNS1_3repE0EEENS1_30default_config_static_selectorELNS0_4arch9wavefront6targetE1EEEvT1_,"axG",@progbits,_ZN7rocprim17ROCPRIM_400000_NS6detail17trampoline_kernelINS0_14default_configENS1_35adjacent_difference_config_selectorILb1ElEEZNS1_24adjacent_difference_implIS3_Lb1ELb0EPlS7_ZN2at6native12_GLOBAL__N_124unique_dim_cuda_templateIdEESt5tupleIJNS8_6TensorESD_SD_EERKSD_lbbbEUlllE1_EE10hipError_tPvRmT2_T3_mT4_P12ihipStream_tbEUlT_E_NS1_11comp_targetILNS1_3genE8ELNS1_11target_archE1030ELNS1_3gpuE2ELNS1_3repE0EEENS1_30default_config_static_selectorELNS0_4arch9wavefront6targetE1EEEvT1_,comdat
.Lfunc_end812:
	.size	_ZN7rocprim17ROCPRIM_400000_NS6detail17trampoline_kernelINS0_14default_configENS1_35adjacent_difference_config_selectorILb1ElEEZNS1_24adjacent_difference_implIS3_Lb1ELb0EPlS7_ZN2at6native12_GLOBAL__N_124unique_dim_cuda_templateIdEESt5tupleIJNS8_6TensorESD_SD_EERKSD_lbbbEUlllE1_EE10hipError_tPvRmT2_T3_mT4_P12ihipStream_tbEUlT_E_NS1_11comp_targetILNS1_3genE8ELNS1_11target_archE1030ELNS1_3gpuE2ELNS1_3repE0EEENS1_30default_config_static_selectorELNS0_4arch9wavefront6targetE1EEEvT1_, .Lfunc_end812-_ZN7rocprim17ROCPRIM_400000_NS6detail17trampoline_kernelINS0_14default_configENS1_35adjacent_difference_config_selectorILb1ElEEZNS1_24adjacent_difference_implIS3_Lb1ELb0EPlS7_ZN2at6native12_GLOBAL__N_124unique_dim_cuda_templateIdEESt5tupleIJNS8_6TensorESD_SD_EERKSD_lbbbEUlllE1_EE10hipError_tPvRmT2_T3_mT4_P12ihipStream_tbEUlT_E_NS1_11comp_targetILNS1_3genE8ELNS1_11target_archE1030ELNS1_3gpuE2ELNS1_3repE0EEENS1_30default_config_static_selectorELNS0_4arch9wavefront6targetE1EEEvT1_
                                        ; -- End function
	.section	.AMDGPU.csdata,"",@progbits
; Kernel info:
; codeLenInByte = 0
; NumSgprs: 6
; NumVgprs: 0
; NumAgprs: 0
; TotalNumVgprs: 0
; ScratchSize: 0
; MemoryBound: 0
; FloatMode: 240
; IeeeMode: 1
; LDSByteSize: 0 bytes/workgroup (compile time only)
; SGPRBlocks: 0
; VGPRBlocks: 0
; NumSGPRsForWavesPerEU: 6
; NumVGPRsForWavesPerEU: 1
; AccumOffset: 4
; Occupancy: 8
; WaveLimiterHint : 0
; COMPUTE_PGM_RSRC2:SCRATCH_EN: 0
; COMPUTE_PGM_RSRC2:USER_SGPR: 2
; COMPUTE_PGM_RSRC2:TRAP_HANDLER: 0
; COMPUTE_PGM_RSRC2:TGID_X_EN: 1
; COMPUTE_PGM_RSRC2:TGID_Y_EN: 0
; COMPUTE_PGM_RSRC2:TGID_Z_EN: 0
; COMPUTE_PGM_RSRC2:TIDIG_COMP_CNT: 0
; COMPUTE_PGM_RSRC3_GFX90A:ACCUM_OFFSET: 0
; COMPUTE_PGM_RSRC3_GFX90A:TG_SPLIT: 0
	.section	.text._ZN7rocprim17ROCPRIM_400000_NS6detail17trampoline_kernelINS0_14default_configENS1_25partition_config_selectorILNS1_17partition_subalgoE8ElNS0_10empty_typeEbEEZZNS1_14partition_implILS5_8ELb0ES3_jPlPS6_PKS6_NS0_5tupleIJS9_S6_EEENSD_IJSA_SA_EEENS0_18inequality_wrapperIZN2at6native12_GLOBAL__N_124unique_dim_cuda_templateIdEESt5tupleIJNSH_6TensorESM_SM_EERKSM_lbbbEUlllE0_EEPmJS6_EEE10hipError_tPvRmT3_T4_T5_T6_T7_T9_mT8_P12ihipStream_tbDpT10_ENKUlT_T0_E_clISt17integral_constantIbLb0EES1C_EEDaS17_S18_EUlS17_E_NS1_11comp_targetILNS1_3genE0ELNS1_11target_archE4294967295ELNS1_3gpuE0ELNS1_3repE0EEENS1_30default_config_static_selectorELNS0_4arch9wavefront6targetE1EEEvT1_,"axG",@progbits,_ZN7rocprim17ROCPRIM_400000_NS6detail17trampoline_kernelINS0_14default_configENS1_25partition_config_selectorILNS1_17partition_subalgoE8ElNS0_10empty_typeEbEEZZNS1_14partition_implILS5_8ELb0ES3_jPlPS6_PKS6_NS0_5tupleIJS9_S6_EEENSD_IJSA_SA_EEENS0_18inequality_wrapperIZN2at6native12_GLOBAL__N_124unique_dim_cuda_templateIdEESt5tupleIJNSH_6TensorESM_SM_EERKSM_lbbbEUlllE0_EEPmJS6_EEE10hipError_tPvRmT3_T4_T5_T6_T7_T9_mT8_P12ihipStream_tbDpT10_ENKUlT_T0_E_clISt17integral_constantIbLb0EES1C_EEDaS17_S18_EUlS17_E_NS1_11comp_targetILNS1_3genE0ELNS1_11target_archE4294967295ELNS1_3gpuE0ELNS1_3repE0EEENS1_30default_config_static_selectorELNS0_4arch9wavefront6targetE1EEEvT1_,comdat
	.globl	_ZN7rocprim17ROCPRIM_400000_NS6detail17trampoline_kernelINS0_14default_configENS1_25partition_config_selectorILNS1_17partition_subalgoE8ElNS0_10empty_typeEbEEZZNS1_14partition_implILS5_8ELb0ES3_jPlPS6_PKS6_NS0_5tupleIJS9_S6_EEENSD_IJSA_SA_EEENS0_18inequality_wrapperIZN2at6native12_GLOBAL__N_124unique_dim_cuda_templateIdEESt5tupleIJNSH_6TensorESM_SM_EERKSM_lbbbEUlllE0_EEPmJS6_EEE10hipError_tPvRmT3_T4_T5_T6_T7_T9_mT8_P12ihipStream_tbDpT10_ENKUlT_T0_E_clISt17integral_constantIbLb0EES1C_EEDaS17_S18_EUlS17_E_NS1_11comp_targetILNS1_3genE0ELNS1_11target_archE4294967295ELNS1_3gpuE0ELNS1_3repE0EEENS1_30default_config_static_selectorELNS0_4arch9wavefront6targetE1EEEvT1_ ; -- Begin function _ZN7rocprim17ROCPRIM_400000_NS6detail17trampoline_kernelINS0_14default_configENS1_25partition_config_selectorILNS1_17partition_subalgoE8ElNS0_10empty_typeEbEEZZNS1_14partition_implILS5_8ELb0ES3_jPlPS6_PKS6_NS0_5tupleIJS9_S6_EEENSD_IJSA_SA_EEENS0_18inequality_wrapperIZN2at6native12_GLOBAL__N_124unique_dim_cuda_templateIdEESt5tupleIJNSH_6TensorESM_SM_EERKSM_lbbbEUlllE0_EEPmJS6_EEE10hipError_tPvRmT3_T4_T5_T6_T7_T9_mT8_P12ihipStream_tbDpT10_ENKUlT_T0_E_clISt17integral_constantIbLb0EES1C_EEDaS17_S18_EUlS17_E_NS1_11comp_targetILNS1_3genE0ELNS1_11target_archE4294967295ELNS1_3gpuE0ELNS1_3repE0EEENS1_30default_config_static_selectorELNS0_4arch9wavefront6targetE1EEEvT1_
	.p2align	8
	.type	_ZN7rocprim17ROCPRIM_400000_NS6detail17trampoline_kernelINS0_14default_configENS1_25partition_config_selectorILNS1_17partition_subalgoE8ElNS0_10empty_typeEbEEZZNS1_14partition_implILS5_8ELb0ES3_jPlPS6_PKS6_NS0_5tupleIJS9_S6_EEENSD_IJSA_SA_EEENS0_18inequality_wrapperIZN2at6native12_GLOBAL__N_124unique_dim_cuda_templateIdEESt5tupleIJNSH_6TensorESM_SM_EERKSM_lbbbEUlllE0_EEPmJS6_EEE10hipError_tPvRmT3_T4_T5_T6_T7_T9_mT8_P12ihipStream_tbDpT10_ENKUlT_T0_E_clISt17integral_constantIbLb0EES1C_EEDaS17_S18_EUlS17_E_NS1_11comp_targetILNS1_3genE0ELNS1_11target_archE4294967295ELNS1_3gpuE0ELNS1_3repE0EEENS1_30default_config_static_selectorELNS0_4arch9wavefront6targetE1EEEvT1_,@function
_ZN7rocprim17ROCPRIM_400000_NS6detail17trampoline_kernelINS0_14default_configENS1_25partition_config_selectorILNS1_17partition_subalgoE8ElNS0_10empty_typeEbEEZZNS1_14partition_implILS5_8ELb0ES3_jPlPS6_PKS6_NS0_5tupleIJS9_S6_EEENSD_IJSA_SA_EEENS0_18inequality_wrapperIZN2at6native12_GLOBAL__N_124unique_dim_cuda_templateIdEESt5tupleIJNSH_6TensorESM_SM_EERKSM_lbbbEUlllE0_EEPmJS6_EEE10hipError_tPvRmT3_T4_T5_T6_T7_T9_mT8_P12ihipStream_tbDpT10_ENKUlT_T0_E_clISt17integral_constantIbLb0EES1C_EEDaS17_S18_EUlS17_E_NS1_11comp_targetILNS1_3genE0ELNS1_11target_archE4294967295ELNS1_3gpuE0ELNS1_3repE0EEENS1_30default_config_static_selectorELNS0_4arch9wavefront6targetE1EEEvT1_: ; @_ZN7rocprim17ROCPRIM_400000_NS6detail17trampoline_kernelINS0_14default_configENS1_25partition_config_selectorILNS1_17partition_subalgoE8ElNS0_10empty_typeEbEEZZNS1_14partition_implILS5_8ELb0ES3_jPlPS6_PKS6_NS0_5tupleIJS9_S6_EEENSD_IJSA_SA_EEENS0_18inequality_wrapperIZN2at6native12_GLOBAL__N_124unique_dim_cuda_templateIdEESt5tupleIJNSH_6TensorESM_SM_EERKSM_lbbbEUlllE0_EEPmJS6_EEE10hipError_tPvRmT3_T4_T5_T6_T7_T9_mT8_P12ihipStream_tbDpT10_ENKUlT_T0_E_clISt17integral_constantIbLb0EES1C_EEDaS17_S18_EUlS17_E_NS1_11comp_targetILNS1_3genE0ELNS1_11target_archE4294967295ELNS1_3gpuE0ELNS1_3repE0EEENS1_30default_config_static_selectorELNS0_4arch9wavefront6targetE1EEEvT1_
; %bb.0:
	.section	.rodata,"a",@progbits
	.p2align	6, 0x0
	.amdhsa_kernel _ZN7rocprim17ROCPRIM_400000_NS6detail17trampoline_kernelINS0_14default_configENS1_25partition_config_selectorILNS1_17partition_subalgoE8ElNS0_10empty_typeEbEEZZNS1_14partition_implILS5_8ELb0ES3_jPlPS6_PKS6_NS0_5tupleIJS9_S6_EEENSD_IJSA_SA_EEENS0_18inequality_wrapperIZN2at6native12_GLOBAL__N_124unique_dim_cuda_templateIdEESt5tupleIJNSH_6TensorESM_SM_EERKSM_lbbbEUlllE0_EEPmJS6_EEE10hipError_tPvRmT3_T4_T5_T6_T7_T9_mT8_P12ihipStream_tbDpT10_ENKUlT_T0_E_clISt17integral_constantIbLb0EES1C_EEDaS17_S18_EUlS17_E_NS1_11comp_targetILNS1_3genE0ELNS1_11target_archE4294967295ELNS1_3gpuE0ELNS1_3repE0EEENS1_30default_config_static_selectorELNS0_4arch9wavefront6targetE1EEEvT1_
		.amdhsa_group_segment_fixed_size 0
		.amdhsa_private_segment_fixed_size 0
		.amdhsa_kernarg_size 120
		.amdhsa_user_sgpr_count 2
		.amdhsa_user_sgpr_dispatch_ptr 0
		.amdhsa_user_sgpr_queue_ptr 0
		.amdhsa_user_sgpr_kernarg_segment_ptr 1
		.amdhsa_user_sgpr_dispatch_id 0
		.amdhsa_user_sgpr_kernarg_preload_length 0
		.amdhsa_user_sgpr_kernarg_preload_offset 0
		.amdhsa_user_sgpr_private_segment_size 0
		.amdhsa_uses_dynamic_stack 0
		.amdhsa_enable_private_segment 0
		.amdhsa_system_sgpr_workgroup_id_x 1
		.amdhsa_system_sgpr_workgroup_id_y 0
		.amdhsa_system_sgpr_workgroup_id_z 0
		.amdhsa_system_sgpr_workgroup_info 0
		.amdhsa_system_vgpr_workitem_id 0
		.amdhsa_next_free_vgpr 1
		.amdhsa_next_free_sgpr 0
		.amdhsa_accum_offset 4
		.amdhsa_reserve_vcc 0
		.amdhsa_float_round_mode_32 0
		.amdhsa_float_round_mode_16_64 0
		.amdhsa_float_denorm_mode_32 3
		.amdhsa_float_denorm_mode_16_64 3
		.amdhsa_dx10_clamp 1
		.amdhsa_ieee_mode 1
		.amdhsa_fp16_overflow 0
		.amdhsa_tg_split 0
		.amdhsa_exception_fp_ieee_invalid_op 0
		.amdhsa_exception_fp_denorm_src 0
		.amdhsa_exception_fp_ieee_div_zero 0
		.amdhsa_exception_fp_ieee_overflow 0
		.amdhsa_exception_fp_ieee_underflow 0
		.amdhsa_exception_fp_ieee_inexact 0
		.amdhsa_exception_int_div_zero 0
	.end_amdhsa_kernel
	.section	.text._ZN7rocprim17ROCPRIM_400000_NS6detail17trampoline_kernelINS0_14default_configENS1_25partition_config_selectorILNS1_17partition_subalgoE8ElNS0_10empty_typeEbEEZZNS1_14partition_implILS5_8ELb0ES3_jPlPS6_PKS6_NS0_5tupleIJS9_S6_EEENSD_IJSA_SA_EEENS0_18inequality_wrapperIZN2at6native12_GLOBAL__N_124unique_dim_cuda_templateIdEESt5tupleIJNSH_6TensorESM_SM_EERKSM_lbbbEUlllE0_EEPmJS6_EEE10hipError_tPvRmT3_T4_T5_T6_T7_T9_mT8_P12ihipStream_tbDpT10_ENKUlT_T0_E_clISt17integral_constantIbLb0EES1C_EEDaS17_S18_EUlS17_E_NS1_11comp_targetILNS1_3genE0ELNS1_11target_archE4294967295ELNS1_3gpuE0ELNS1_3repE0EEENS1_30default_config_static_selectorELNS0_4arch9wavefront6targetE1EEEvT1_,"axG",@progbits,_ZN7rocprim17ROCPRIM_400000_NS6detail17trampoline_kernelINS0_14default_configENS1_25partition_config_selectorILNS1_17partition_subalgoE8ElNS0_10empty_typeEbEEZZNS1_14partition_implILS5_8ELb0ES3_jPlPS6_PKS6_NS0_5tupleIJS9_S6_EEENSD_IJSA_SA_EEENS0_18inequality_wrapperIZN2at6native12_GLOBAL__N_124unique_dim_cuda_templateIdEESt5tupleIJNSH_6TensorESM_SM_EERKSM_lbbbEUlllE0_EEPmJS6_EEE10hipError_tPvRmT3_T4_T5_T6_T7_T9_mT8_P12ihipStream_tbDpT10_ENKUlT_T0_E_clISt17integral_constantIbLb0EES1C_EEDaS17_S18_EUlS17_E_NS1_11comp_targetILNS1_3genE0ELNS1_11target_archE4294967295ELNS1_3gpuE0ELNS1_3repE0EEENS1_30default_config_static_selectorELNS0_4arch9wavefront6targetE1EEEvT1_,comdat
.Lfunc_end813:
	.size	_ZN7rocprim17ROCPRIM_400000_NS6detail17trampoline_kernelINS0_14default_configENS1_25partition_config_selectorILNS1_17partition_subalgoE8ElNS0_10empty_typeEbEEZZNS1_14partition_implILS5_8ELb0ES3_jPlPS6_PKS6_NS0_5tupleIJS9_S6_EEENSD_IJSA_SA_EEENS0_18inequality_wrapperIZN2at6native12_GLOBAL__N_124unique_dim_cuda_templateIdEESt5tupleIJNSH_6TensorESM_SM_EERKSM_lbbbEUlllE0_EEPmJS6_EEE10hipError_tPvRmT3_T4_T5_T6_T7_T9_mT8_P12ihipStream_tbDpT10_ENKUlT_T0_E_clISt17integral_constantIbLb0EES1C_EEDaS17_S18_EUlS17_E_NS1_11comp_targetILNS1_3genE0ELNS1_11target_archE4294967295ELNS1_3gpuE0ELNS1_3repE0EEENS1_30default_config_static_selectorELNS0_4arch9wavefront6targetE1EEEvT1_, .Lfunc_end813-_ZN7rocprim17ROCPRIM_400000_NS6detail17trampoline_kernelINS0_14default_configENS1_25partition_config_selectorILNS1_17partition_subalgoE8ElNS0_10empty_typeEbEEZZNS1_14partition_implILS5_8ELb0ES3_jPlPS6_PKS6_NS0_5tupleIJS9_S6_EEENSD_IJSA_SA_EEENS0_18inequality_wrapperIZN2at6native12_GLOBAL__N_124unique_dim_cuda_templateIdEESt5tupleIJNSH_6TensorESM_SM_EERKSM_lbbbEUlllE0_EEPmJS6_EEE10hipError_tPvRmT3_T4_T5_T6_T7_T9_mT8_P12ihipStream_tbDpT10_ENKUlT_T0_E_clISt17integral_constantIbLb0EES1C_EEDaS17_S18_EUlS17_E_NS1_11comp_targetILNS1_3genE0ELNS1_11target_archE4294967295ELNS1_3gpuE0ELNS1_3repE0EEENS1_30default_config_static_selectorELNS0_4arch9wavefront6targetE1EEEvT1_
                                        ; -- End function
	.section	.AMDGPU.csdata,"",@progbits
; Kernel info:
; codeLenInByte = 0
; NumSgprs: 6
; NumVgprs: 0
; NumAgprs: 0
; TotalNumVgprs: 0
; ScratchSize: 0
; MemoryBound: 0
; FloatMode: 240
; IeeeMode: 1
; LDSByteSize: 0 bytes/workgroup (compile time only)
; SGPRBlocks: 0
; VGPRBlocks: 0
; NumSGPRsForWavesPerEU: 6
; NumVGPRsForWavesPerEU: 1
; AccumOffset: 4
; Occupancy: 8
; WaveLimiterHint : 0
; COMPUTE_PGM_RSRC2:SCRATCH_EN: 0
; COMPUTE_PGM_RSRC2:USER_SGPR: 2
; COMPUTE_PGM_RSRC2:TRAP_HANDLER: 0
; COMPUTE_PGM_RSRC2:TGID_X_EN: 1
; COMPUTE_PGM_RSRC2:TGID_Y_EN: 0
; COMPUTE_PGM_RSRC2:TGID_Z_EN: 0
; COMPUTE_PGM_RSRC2:TIDIG_COMP_CNT: 0
; COMPUTE_PGM_RSRC3_GFX90A:ACCUM_OFFSET: 0
; COMPUTE_PGM_RSRC3_GFX90A:TG_SPLIT: 0
	.section	.text._ZN7rocprim17ROCPRIM_400000_NS6detail17trampoline_kernelINS0_14default_configENS1_25partition_config_selectorILNS1_17partition_subalgoE8ElNS0_10empty_typeEbEEZZNS1_14partition_implILS5_8ELb0ES3_jPlPS6_PKS6_NS0_5tupleIJS9_S6_EEENSD_IJSA_SA_EEENS0_18inequality_wrapperIZN2at6native12_GLOBAL__N_124unique_dim_cuda_templateIdEESt5tupleIJNSH_6TensorESM_SM_EERKSM_lbbbEUlllE0_EEPmJS6_EEE10hipError_tPvRmT3_T4_T5_T6_T7_T9_mT8_P12ihipStream_tbDpT10_ENKUlT_T0_E_clISt17integral_constantIbLb0EES1C_EEDaS17_S18_EUlS17_E_NS1_11comp_targetILNS1_3genE5ELNS1_11target_archE942ELNS1_3gpuE9ELNS1_3repE0EEENS1_30default_config_static_selectorELNS0_4arch9wavefront6targetE1EEEvT1_,"axG",@progbits,_ZN7rocprim17ROCPRIM_400000_NS6detail17trampoline_kernelINS0_14default_configENS1_25partition_config_selectorILNS1_17partition_subalgoE8ElNS0_10empty_typeEbEEZZNS1_14partition_implILS5_8ELb0ES3_jPlPS6_PKS6_NS0_5tupleIJS9_S6_EEENSD_IJSA_SA_EEENS0_18inequality_wrapperIZN2at6native12_GLOBAL__N_124unique_dim_cuda_templateIdEESt5tupleIJNSH_6TensorESM_SM_EERKSM_lbbbEUlllE0_EEPmJS6_EEE10hipError_tPvRmT3_T4_T5_T6_T7_T9_mT8_P12ihipStream_tbDpT10_ENKUlT_T0_E_clISt17integral_constantIbLb0EES1C_EEDaS17_S18_EUlS17_E_NS1_11comp_targetILNS1_3genE5ELNS1_11target_archE942ELNS1_3gpuE9ELNS1_3repE0EEENS1_30default_config_static_selectorELNS0_4arch9wavefront6targetE1EEEvT1_,comdat
	.globl	_ZN7rocprim17ROCPRIM_400000_NS6detail17trampoline_kernelINS0_14default_configENS1_25partition_config_selectorILNS1_17partition_subalgoE8ElNS0_10empty_typeEbEEZZNS1_14partition_implILS5_8ELb0ES3_jPlPS6_PKS6_NS0_5tupleIJS9_S6_EEENSD_IJSA_SA_EEENS0_18inequality_wrapperIZN2at6native12_GLOBAL__N_124unique_dim_cuda_templateIdEESt5tupleIJNSH_6TensorESM_SM_EERKSM_lbbbEUlllE0_EEPmJS6_EEE10hipError_tPvRmT3_T4_T5_T6_T7_T9_mT8_P12ihipStream_tbDpT10_ENKUlT_T0_E_clISt17integral_constantIbLb0EES1C_EEDaS17_S18_EUlS17_E_NS1_11comp_targetILNS1_3genE5ELNS1_11target_archE942ELNS1_3gpuE9ELNS1_3repE0EEENS1_30default_config_static_selectorELNS0_4arch9wavefront6targetE1EEEvT1_ ; -- Begin function _ZN7rocprim17ROCPRIM_400000_NS6detail17trampoline_kernelINS0_14default_configENS1_25partition_config_selectorILNS1_17partition_subalgoE8ElNS0_10empty_typeEbEEZZNS1_14partition_implILS5_8ELb0ES3_jPlPS6_PKS6_NS0_5tupleIJS9_S6_EEENSD_IJSA_SA_EEENS0_18inequality_wrapperIZN2at6native12_GLOBAL__N_124unique_dim_cuda_templateIdEESt5tupleIJNSH_6TensorESM_SM_EERKSM_lbbbEUlllE0_EEPmJS6_EEE10hipError_tPvRmT3_T4_T5_T6_T7_T9_mT8_P12ihipStream_tbDpT10_ENKUlT_T0_E_clISt17integral_constantIbLb0EES1C_EEDaS17_S18_EUlS17_E_NS1_11comp_targetILNS1_3genE5ELNS1_11target_archE942ELNS1_3gpuE9ELNS1_3repE0EEENS1_30default_config_static_selectorELNS0_4arch9wavefront6targetE1EEEvT1_
	.p2align	8
	.type	_ZN7rocprim17ROCPRIM_400000_NS6detail17trampoline_kernelINS0_14default_configENS1_25partition_config_selectorILNS1_17partition_subalgoE8ElNS0_10empty_typeEbEEZZNS1_14partition_implILS5_8ELb0ES3_jPlPS6_PKS6_NS0_5tupleIJS9_S6_EEENSD_IJSA_SA_EEENS0_18inequality_wrapperIZN2at6native12_GLOBAL__N_124unique_dim_cuda_templateIdEESt5tupleIJNSH_6TensorESM_SM_EERKSM_lbbbEUlllE0_EEPmJS6_EEE10hipError_tPvRmT3_T4_T5_T6_T7_T9_mT8_P12ihipStream_tbDpT10_ENKUlT_T0_E_clISt17integral_constantIbLb0EES1C_EEDaS17_S18_EUlS17_E_NS1_11comp_targetILNS1_3genE5ELNS1_11target_archE942ELNS1_3gpuE9ELNS1_3repE0EEENS1_30default_config_static_selectorELNS0_4arch9wavefront6targetE1EEEvT1_,@function
_ZN7rocprim17ROCPRIM_400000_NS6detail17trampoline_kernelINS0_14default_configENS1_25partition_config_selectorILNS1_17partition_subalgoE8ElNS0_10empty_typeEbEEZZNS1_14partition_implILS5_8ELb0ES3_jPlPS6_PKS6_NS0_5tupleIJS9_S6_EEENSD_IJSA_SA_EEENS0_18inequality_wrapperIZN2at6native12_GLOBAL__N_124unique_dim_cuda_templateIdEESt5tupleIJNSH_6TensorESM_SM_EERKSM_lbbbEUlllE0_EEPmJS6_EEE10hipError_tPvRmT3_T4_T5_T6_T7_T9_mT8_P12ihipStream_tbDpT10_ENKUlT_T0_E_clISt17integral_constantIbLb0EES1C_EEDaS17_S18_EUlS17_E_NS1_11comp_targetILNS1_3genE5ELNS1_11target_archE942ELNS1_3gpuE9ELNS1_3repE0EEENS1_30default_config_static_selectorELNS0_4arch9wavefront6targetE1EEEvT1_: ; @_ZN7rocprim17ROCPRIM_400000_NS6detail17trampoline_kernelINS0_14default_configENS1_25partition_config_selectorILNS1_17partition_subalgoE8ElNS0_10empty_typeEbEEZZNS1_14partition_implILS5_8ELb0ES3_jPlPS6_PKS6_NS0_5tupleIJS9_S6_EEENSD_IJSA_SA_EEENS0_18inequality_wrapperIZN2at6native12_GLOBAL__N_124unique_dim_cuda_templateIdEESt5tupleIJNSH_6TensorESM_SM_EERKSM_lbbbEUlllE0_EEPmJS6_EEE10hipError_tPvRmT3_T4_T5_T6_T7_T9_mT8_P12ihipStream_tbDpT10_ENKUlT_T0_E_clISt17integral_constantIbLb0EES1C_EEDaS17_S18_EUlS17_E_NS1_11comp_targetILNS1_3genE5ELNS1_11target_archE942ELNS1_3gpuE9ELNS1_3repE0EEENS1_30default_config_static_selectorELNS0_4arch9wavefront6targetE1EEEvT1_
; %bb.0:
	s_load_dwordx8 s[20:27], s[0:1], 0x40
	s_load_dwordx4 s[4:7], s[0:1], 0x8
	s_load_dwordx4 s[28:31], s[0:1], 0x60
	s_load_dword s3, s[0:1], 0x70
	s_waitcnt lgkmcnt(0)
	v_mov_b32_e32 v2, s24
	s_lshl_b64 s[8:9], s[6:7], 3
	s_add_u32 s12, s4, s8
	s_mul_i32 s8, s3, 0xe00
	s_addc_u32 s13, s5, s9
	s_add_i32 s10, s3, -1
	s_add_i32 s3, s8, s6
	s_sub_i32 s3, s24, s3
	s_add_u32 s8, s6, s8
	s_addc_u32 s9, s7, 0
	v_mov_b32_e32 v3, s25
	s_cmp_eq_u32 s2, s10
	s_load_dwordx2 s[22:23], s[22:23], 0x0
	v_cmp_ge_u64_e32 vcc, s[8:9], v[2:3]
	s_cselect_b64 s[24:25], -1, 0
	s_mul_i32 s4, s2, 0xe00
	s_mov_b32 s5, 0
	s_and_b64 s[8:9], s[24:25], vcc
	s_xor_b64 s[34:35], s[8:9], -1
	s_lshl_b64 s[4:5], s[4:5], 3
	s_add_u32 s4, s12, s4
	s_mov_b64 s[10:11], -1
	s_addc_u32 s5, s13, s5
	s_and_b64 vcc, exec, s[34:35]
	s_cbranch_vccz .LBB814_2
; %bb.1:
	v_lshlrev_b32_e32 v2, 3, v0
	v_mov_b32_e32 v3, 0
	v_lshl_add_u64 v[4:5], s[4:5], 0, v[2:3]
	v_add_co_u32_e32 v8, vcc, 0x1000, v4
	global_load_dwordx2 v[6:7], v2, s[4:5]
	s_nop 0
	v_addc_co_u32_e32 v9, vcc, 0, v5, vcc
	v_add_co_u32_e32 v10, vcc, 0x2000, v4
	s_mov_b64 s[10:11], 0
	s_nop 0
	v_addc_co_u32_e32 v11, vcc, 0, v5, vcc
	v_add_co_u32_e32 v12, vcc, 0x3000, v4
	s_nop 1
	v_addc_co_u32_e32 v13, vcc, 0, v5, vcc
	v_add_co_u32_e32 v14, vcc, 0x4000, v4
	s_nop 1
	v_addc_co_u32_e32 v15, vcc, 0, v5, vcc
	global_load_dwordx2 v[16:17], v[8:9], off
	global_load_dwordx2 v[18:19], v[10:11], off
	;; [unrolled: 1-line block ×4, first 2 shown]
	v_add_co_u32_e32 v8, vcc, 0x5000, v4
	s_nop 1
	v_addc_co_u32_e32 v9, vcc, 0, v5, vcc
	v_add_co_u32_e32 v4, vcc, 0x6000, v4
	global_load_dwordx2 v[8:9], v[8:9], off
	s_nop 0
	v_addc_co_u32_e32 v5, vcc, 0, v5, vcc
	global_load_dwordx2 v[4:5], v[4:5], off
	s_waitcnt vmcnt(5)
	ds_write2st64_b64 v2, v[6:7], v[16:17] offset1:8
	s_waitcnt vmcnt(3)
	ds_write2st64_b64 v2, v[18:19], v[20:21] offset0:16 offset1:24
	s_waitcnt vmcnt(1)
	ds_write2st64_b64 v2, v[22:23], v[8:9] offset0:32 offset1:40
	s_waitcnt vmcnt(0)
	ds_write_b64 v2, v[4:5] offset:24576
	s_waitcnt lgkmcnt(0)
	s_barrier
.LBB814_2:
	s_andn2_b64 vcc, exec, s[10:11]
	s_addk_i32 s3, 0xe00
	s_cbranch_vccnz .LBB814_18
; %bb.3:
	v_cmp_gt_u32_e32 vcc, s3, v0
                                        ; implicit-def: $vgpr2_vgpr3_vgpr4_vgpr5_vgpr6_vgpr7_vgpr8_vgpr9_vgpr10_vgpr11_vgpr12_vgpr13_vgpr14_vgpr15_vgpr16_vgpr17
	s_and_saveexec_b64 s[10:11], vcc
	s_cbranch_execz .LBB814_5
; %bb.4:
	v_lshlrev_b32_e32 v1, 3, v0
	global_load_dwordx2 v[2:3], v1, s[4:5]
.LBB814_5:
	s_or_b64 exec, exec, s[10:11]
	v_or_b32_e32 v1, 0x200, v0
	v_cmp_gt_u32_e32 vcc, s3, v1
	s_and_saveexec_b64 s[10:11], vcc
	s_cbranch_execz .LBB814_7
; %bb.6:
	v_lshlrev_b32_e32 v1, 3, v1
	global_load_dwordx2 v[4:5], v1, s[4:5]
.LBB814_7:
	s_or_b64 exec, exec, s[10:11]
	v_or_b32_e32 v1, 0x400, v0
	v_cmp_gt_u32_e32 vcc, s3, v1
	;; [unrolled: 9-line block ×6, first 2 shown]
	s_and_saveexec_b64 s[10:11], vcc
	s_cbranch_execz .LBB814_17
; %bb.16:
	v_lshlrev_b32_e32 v1, 3, v1
	global_load_dwordx2 v[14:15], v1, s[4:5]
.LBB814_17:
	s_or_b64 exec, exec, s[10:11]
	v_lshlrev_b32_e32 v1, 3, v0
	s_waitcnt vmcnt(0)
	ds_write2st64_b64 v1, v[2:3], v[4:5] offset1:8
	ds_write2st64_b64 v1, v[6:7], v[8:9] offset0:16 offset1:24
	ds_write2st64_b64 v1, v[10:11], v[12:13] offset0:32 offset1:40
	ds_write_b64 v1, v[14:15] offset:24576
	s_waitcnt lgkmcnt(0)
	s_barrier
.LBB814_18:
	v_mul_u32_u24_e32 v1, 7, v0
	v_lshlrev_b32_e32 v30, 3, v1
	s_waitcnt lgkmcnt(0)
	ds_read2_b64 v[10:13], v30 offset1:1
	ds_read2_b64 v[6:9], v30 offset0:2 offset1:3
	ds_read2_b64 v[2:5], v30 offset0:4 offset1:5
	ds_read_b64 v[14:15], v30 offset:48
	s_cmp_lg_u32 s2, 0
	s_cselect_b64 s[16:17], -1, 0
	s_cmp_lg_u64 s[6:7], 0
	s_cselect_b64 s[6:7], -1, 0
	s_or_b64 s[6:7], s[16:17], s[6:7]
	v_mad_u32_u24 v25, v0, 7, 1
	v_mad_u32_u24 v24, v0, 7, 2
	;; [unrolled: 1-line block ×6, first 2 shown]
	s_mov_b64 s[10:11], 0
	s_and_b64 vcc, exec, s[6:7]
	v_cmp_gt_i64_e64 s[12:13], s[26:27], 0
	s_waitcnt lgkmcnt(0)
	s_barrier
	s_cbranch_vccz .LBB814_27
; %bb.19:
	s_add_u32 s4, s4, -8
	s_addc_u32 s5, s5, -1
	s_load_dwordx2 s[6:7], s[4:5], 0x0
	v_cndmask_b32_e64 v16, 0, 1, s[12:13]
	v_lshlrev_b32_e32 v31, 3, v0
	s_and_b64 vcc, exec, s[34:35]
	v_cmp_ne_u32_e64 s[4:5], 1, v16
	ds_write_b64 v31, v[14:15]
	s_cbranch_vccz .LBB814_29
; %bb.20:
	v_mul_lo_u32 v18, v5, s26
	v_mul_lo_u32 v19, v4, s27
	v_mad_u64_u32 v[16:17], s[12:13], v4, s26, 0
	v_add3_u32 v17, v17, v19, v18
	s_and_b64 vcc, exec, s[4:5]
	v_lshl_add_u64 v[16:17], v[16:17], 3, s[28:29]
	s_cbranch_vccnz .LBB814_32
; %bb.21:
	v_mul_lo_u32 v20, v15, s26
	v_mul_lo_u32 v21, v14, s27
	v_mad_u64_u32 v[18:19], s[10:11], v14, s26, 0
	v_add3_u32 v19, v19, v21, v20
	v_lshl_add_u64 v[18:19], v[18:19], 3, s[28:29]
	global_load_dwordx2 v[20:21], v[16:17], off
	global_load_dwordx2 v[22:23], v[18:19], off
	s_mov_b64 s[10:11], -1
	s_waitcnt vmcnt(0)
	v_cmp_eq_f64_e32 vcc, v[20:21], v[22:23]
	s_and_saveexec_b64 s[12:13], vcc
	s_cbranch_execz .LBB814_31
; %bb.22:
	s_add_u32 s10, s26, -1
	v_lshl_add_u64 v[18:19], v[18:19], 0, 8
	v_lshl_add_u64 v[20:21], v[16:17], 0, 8
	s_addc_u32 s11, s27, -1
	s_mov_b64 s[14:15], 0
	s_mov_b64 s[36:37], 0
                                        ; implicit-def: $sgpr18_sgpr19
	s_branch .LBB814_25
.LBB814_23:                             ;   in Loop: Header=BB814_25 Depth=1
	global_load_dwordx2 v[22:23], v[20:21], off
	global_load_dwordx2 v[32:33], v[18:19], off
	s_add_u32 s36, s36, 1
	s_addc_u32 s37, s37, 0
	s_andn2_b64 s[18:19], s[18:19], exec
	v_lshl_add_u64 v[18:19], v[18:19], 0, 8
	v_lshl_add_u64 v[20:21], v[20:21], 0, 8
	s_waitcnt vmcnt(0)
	v_cmp_neq_f64_e32 vcc, v[22:23], v[32:33]
	s_and_b64 s[38:39], vcc, exec
	s_or_b64 s[18:19], s[18:19], s[38:39]
.LBB814_24:                             ;   in Loop: Header=BB814_25 Depth=1
	s_and_b64 s[38:39], exec, s[18:19]
	s_or_b64 s[14:15], s[38:39], s[14:15]
	v_mov_b64_e32 v[22:23], s[36:37]
	s_andn2_b64 exec, exec, s[14:15]
	s_cbranch_execz .LBB814_30
.LBB814_25:                             ; =>This Inner Loop Header: Depth=1
	s_or_b64 s[18:19], s[18:19], exec
	s_cmp_eq_u64 s[10:11], s[36:37]
	s_cbranch_scc0 .LBB814_23
; %bb.26:                               ;   in Loop: Header=BB814_25 Depth=1
                                        ; implicit-def: $vgpr18_vgpr19
                                        ; implicit-def: $vgpr20_vgpr21
	s_mov_b64 s[36:37], s[26:27]
	s_branch .LBB814_24
.LBB814_27:
                                        ; implicit-def: $sgpr18_sgpr19
                                        ; implicit-def: $vgpr34
                                        ; implicit-def: $vgpr33
                                        ; implicit-def: $vgpr32
                                        ; implicit-def: $vgpr20
	s_branch .LBB814_170
.LBB814_28:
                                        ; implicit-def: $vgpr16_vgpr17
	s_branch .LBB814_318
.LBB814_29:
                                        ; implicit-def: $sgpr18_sgpr19
                                        ; implicit-def: $vgpr34
                                        ; implicit-def: $vgpr33
                                        ; implicit-def: $vgpr32
                                        ; implicit-def: $vgpr20
	s_cbranch_execnz .LBB814_89
	s_branch .LBB814_169
.LBB814_30:
	s_or_b64 exec, exec, s[14:15]
	v_cmp_gt_i64_e32 vcc, s[26:27], v[22:23]
	s_orn2_b64 s[10:11], vcc, exec
.LBB814_31:
	s_or_b64 exec, exec, s[12:13]
.LBB814_32:
	v_mul_lo_u32 v20, v3, s26
	v_mul_lo_u32 v21, v2, s27
	v_mad_u64_u32 v[18:19], s[12:13], v2, s26, 0
	v_add3_u32 v19, v19, v21, v20
	s_mov_b64 s[12:13], 0
	s_and_b64 vcc, exec, s[4:5]
	v_lshl_add_u64 v[18:19], v[18:19], 3, s[28:29]
	s_mov_b64 s[14:15], 0
	s_cbranch_vccnz .LBB814_41
; %bb.33:
	global_load_dwordx2 v[20:21], v[18:19], off
	global_load_dwordx2 v[22:23], v[16:17], off
	s_mov_b64 s[14:15], -1
	s_waitcnt vmcnt(0)
	v_cmp_eq_f64_e32 vcc, v[20:21], v[22:23]
	s_and_saveexec_b64 s[18:19], vcc
	s_cbranch_execz .LBB814_40
; %bb.34:
	s_add_u32 s14, s26, -1
	v_lshl_add_u64 v[16:17], v[16:17], 0, 8
	v_lshl_add_u64 v[20:21], v[18:19], 0, 8
	s_addc_u32 s15, s27, -1
	s_mov_b64 s[36:37], 0
	s_mov_b64 s[40:41], 0
                                        ; implicit-def: $sgpr38_sgpr39
	s_branch .LBB814_37
.LBB814_35:                             ;   in Loop: Header=BB814_37 Depth=1
	global_load_dwordx2 v[22:23], v[20:21], off
	global_load_dwordx2 v[32:33], v[16:17], off
	s_add_u32 s40, s40, 1
	s_addc_u32 s41, s41, 0
	s_andn2_b64 s[38:39], s[38:39], exec
	v_lshl_add_u64 v[16:17], v[16:17], 0, 8
	v_lshl_add_u64 v[20:21], v[20:21], 0, 8
	s_waitcnt vmcnt(0)
	v_cmp_neq_f64_e32 vcc, v[22:23], v[32:33]
	s_and_b64 s[42:43], vcc, exec
	s_or_b64 s[38:39], s[38:39], s[42:43]
.LBB814_36:                             ;   in Loop: Header=BB814_37 Depth=1
	s_and_b64 s[42:43], exec, s[38:39]
	s_or_b64 s[36:37], s[42:43], s[36:37]
	v_mov_b64_e32 v[22:23], s[40:41]
	s_andn2_b64 exec, exec, s[36:37]
	s_cbranch_execz .LBB814_39
.LBB814_37:                             ; =>This Inner Loop Header: Depth=1
	s_or_b64 s[38:39], s[38:39], exec
	s_cmp_eq_u64 s[14:15], s[40:41]
	s_cbranch_scc0 .LBB814_35
; %bb.38:                               ;   in Loop: Header=BB814_37 Depth=1
                                        ; implicit-def: $vgpr16_vgpr17
                                        ; implicit-def: $vgpr20_vgpr21
	s_mov_b64 s[40:41], s[26:27]
	s_branch .LBB814_36
.LBB814_39:
	s_or_b64 exec, exec, s[36:37]
	v_cmp_gt_i64_e32 vcc, s[26:27], v[22:23]
	s_orn2_b64 s[14:15], vcc, exec
.LBB814_40:
	s_or_b64 exec, exec, s[18:19]
.LBB814_41:
	v_mul_lo_u32 v20, v9, s26
	v_mul_lo_u32 v21, v8, s27
	v_mad_u64_u32 v[16:17], s[18:19], v8, s26, 0
	v_add3_u32 v17, v17, v21, v20
	s_and_b64 vcc, exec, s[4:5]
	v_lshl_add_u64 v[16:17], v[16:17], 3, s[28:29]
	s_cbranch_vccnz .LBB814_50
; %bb.42:
	global_load_dwordx2 v[20:21], v[16:17], off
	global_load_dwordx2 v[22:23], v[18:19], off
	s_mov_b64 s[12:13], -1
	s_waitcnt vmcnt(0)
	v_cmp_eq_f64_e32 vcc, v[20:21], v[22:23]
	s_and_saveexec_b64 s[18:19], vcc
	s_cbranch_execz .LBB814_49
; %bb.43:
	s_add_u32 s12, s26, -1
	v_lshl_add_u64 v[18:19], v[18:19], 0, 8
	v_lshl_add_u64 v[20:21], v[16:17], 0, 8
	s_addc_u32 s13, s27, -1
	s_mov_b64 s[36:37], 0
	s_mov_b64 s[40:41], 0
                                        ; implicit-def: $sgpr38_sgpr39
	s_branch .LBB814_46
.LBB814_44:                             ;   in Loop: Header=BB814_46 Depth=1
	global_load_dwordx2 v[22:23], v[20:21], off
	global_load_dwordx2 v[32:33], v[18:19], off
	s_add_u32 s40, s40, 1
	s_addc_u32 s41, s41, 0
	s_andn2_b64 s[38:39], s[38:39], exec
	v_lshl_add_u64 v[18:19], v[18:19], 0, 8
	v_lshl_add_u64 v[20:21], v[20:21], 0, 8
	s_waitcnt vmcnt(0)
	v_cmp_neq_f64_e32 vcc, v[22:23], v[32:33]
	s_and_b64 s[42:43], vcc, exec
	s_or_b64 s[38:39], s[38:39], s[42:43]
.LBB814_45:                             ;   in Loop: Header=BB814_46 Depth=1
	s_and_b64 s[42:43], exec, s[38:39]
	s_or_b64 s[36:37], s[42:43], s[36:37]
	v_mov_b64_e32 v[22:23], s[40:41]
	s_andn2_b64 exec, exec, s[36:37]
	s_cbranch_execz .LBB814_48
.LBB814_46:                             ; =>This Inner Loop Header: Depth=1
	s_or_b64 s[38:39], s[38:39], exec
	s_cmp_eq_u64 s[12:13], s[40:41]
	s_cbranch_scc0 .LBB814_44
; %bb.47:                               ;   in Loop: Header=BB814_46 Depth=1
                                        ; implicit-def: $vgpr18_vgpr19
                                        ; implicit-def: $vgpr20_vgpr21
	s_mov_b64 s[40:41], s[26:27]
	s_branch .LBB814_45
.LBB814_48:
	s_or_b64 exec, exec, s[36:37]
	v_cmp_gt_i64_e32 vcc, s[26:27], v[22:23]
	s_orn2_b64 s[12:13], vcc, exec
.LBB814_49:
	s_or_b64 exec, exec, s[18:19]
.LBB814_50:
	v_mul_lo_u32 v20, v7, s26
	v_mul_lo_u32 v21, v6, s27
	v_mad_u64_u32 v[18:19], s[18:19], v6, s26, 0
	v_add3_u32 v19, v19, v21, v20
	s_mov_b64 s[18:19], 0
	s_and_b64 vcc, exec, s[4:5]
	v_lshl_add_u64 v[20:21], v[18:19], 3, s[28:29]
	s_mov_b64 s[36:37], 0
	s_cbranch_vccnz .LBB814_59
; %bb.51:
	global_load_dwordx2 v[18:19], v[20:21], off
	global_load_dwordx2 v[22:23], v[16:17], off
	s_mov_b64 s[36:37], -1
	s_waitcnt vmcnt(0)
	v_cmp_eq_f64_e32 vcc, v[18:19], v[22:23]
	s_and_saveexec_b64 s[38:39], vcc
	s_cbranch_execz .LBB814_58
; %bb.52:
	s_add_u32 s36, s26, -1
	v_lshl_add_u64 v[16:17], v[16:17], 0, 8
	v_lshl_add_u64 v[18:19], v[20:21], 0, 8
	s_addc_u32 s37, s27, -1
	s_mov_b64 s[40:41], 0
	s_mov_b64 s[44:45], 0
                                        ; implicit-def: $sgpr42_sgpr43
	s_branch .LBB814_55
.LBB814_53:                             ;   in Loop: Header=BB814_55 Depth=1
	global_load_dwordx2 v[22:23], v[18:19], off
	global_load_dwordx2 v[32:33], v[16:17], off
	s_add_u32 s44, s44, 1
	s_addc_u32 s45, s45, 0
	s_andn2_b64 s[42:43], s[42:43], exec
	v_lshl_add_u64 v[16:17], v[16:17], 0, 8
	v_lshl_add_u64 v[18:19], v[18:19], 0, 8
	s_waitcnt vmcnt(0)
	v_cmp_neq_f64_e32 vcc, v[22:23], v[32:33]
	s_and_b64 s[46:47], vcc, exec
	s_or_b64 s[42:43], s[42:43], s[46:47]
.LBB814_54:                             ;   in Loop: Header=BB814_55 Depth=1
	s_and_b64 s[46:47], exec, s[42:43]
	s_or_b64 s[40:41], s[46:47], s[40:41]
	v_mov_b64_e32 v[22:23], s[44:45]
	s_andn2_b64 exec, exec, s[40:41]
	s_cbranch_execz .LBB814_57
.LBB814_55:                             ; =>This Inner Loop Header: Depth=1
	s_or_b64 s[42:43], s[42:43], exec
	s_cmp_eq_u64 s[36:37], s[44:45]
	s_cbranch_scc0 .LBB814_53
; %bb.56:                               ;   in Loop: Header=BB814_55 Depth=1
                                        ; implicit-def: $vgpr16_vgpr17
                                        ; implicit-def: $vgpr18_vgpr19
	s_mov_b64 s[44:45], s[26:27]
	s_branch .LBB814_54
.LBB814_57:
	s_or_b64 exec, exec, s[40:41]
	v_cmp_gt_i64_e32 vcc, s[26:27], v[22:23]
	s_orn2_b64 s[36:37], vcc, exec
.LBB814_58:
	s_or_b64 exec, exec, s[38:39]
.LBB814_59:
	v_mul_lo_u32 v18, v13, s26
	v_mul_lo_u32 v19, v12, s27
	v_mad_u64_u32 v[16:17], s[38:39], v12, s26, 0
	v_add3_u32 v17, v17, v19, v18
	s_and_b64 vcc, exec, s[4:5]
	v_lshl_add_u64 v[18:19], v[16:17], 3, s[28:29]
	s_cbranch_vccnz .LBB814_68
; %bb.60:
	global_load_dwordx2 v[16:17], v[18:19], off
	global_load_dwordx2 v[22:23], v[20:21], off
	s_mov_b64 s[18:19], -1
	s_waitcnt vmcnt(0)
	v_cmp_eq_f64_e32 vcc, v[16:17], v[22:23]
	s_and_saveexec_b64 s[38:39], vcc
	s_cbranch_execz .LBB814_67
; %bb.61:
	s_add_u32 s18, s26, -1
	v_lshl_add_u64 v[16:17], v[20:21], 0, 8
	v_lshl_add_u64 v[20:21], v[18:19], 0, 8
	s_addc_u32 s19, s27, -1
	s_mov_b64 s[40:41], 0
	s_mov_b64 s[44:45], 0
                                        ; implicit-def: $sgpr42_sgpr43
	s_branch .LBB814_64
.LBB814_62:                             ;   in Loop: Header=BB814_64 Depth=1
	global_load_dwordx2 v[22:23], v[20:21], off
	global_load_dwordx2 v[32:33], v[16:17], off
	s_add_u32 s44, s44, 1
	s_addc_u32 s45, s45, 0
	s_andn2_b64 s[42:43], s[42:43], exec
	v_lshl_add_u64 v[16:17], v[16:17], 0, 8
	v_lshl_add_u64 v[20:21], v[20:21], 0, 8
	s_waitcnt vmcnt(0)
	v_cmp_neq_f64_e32 vcc, v[22:23], v[32:33]
	s_and_b64 s[46:47], vcc, exec
	s_or_b64 s[42:43], s[42:43], s[46:47]
.LBB814_63:                             ;   in Loop: Header=BB814_64 Depth=1
	s_and_b64 s[46:47], exec, s[42:43]
	s_or_b64 s[40:41], s[46:47], s[40:41]
	v_mov_b64_e32 v[22:23], s[44:45]
	s_andn2_b64 exec, exec, s[40:41]
	s_cbranch_execz .LBB814_66
.LBB814_64:                             ; =>This Inner Loop Header: Depth=1
	s_or_b64 s[42:43], s[42:43], exec
	s_cmp_eq_u64 s[18:19], s[44:45]
	s_cbranch_scc0 .LBB814_62
; %bb.65:                               ;   in Loop: Header=BB814_64 Depth=1
                                        ; implicit-def: $vgpr16_vgpr17
                                        ; implicit-def: $vgpr20_vgpr21
	s_mov_b64 s[44:45], s[26:27]
	s_branch .LBB814_63
.LBB814_66:
	s_or_b64 exec, exec, s[40:41]
	v_cmp_gt_i64_e32 vcc, s[26:27], v[22:23]
	s_orn2_b64 s[18:19], vcc, exec
.LBB814_67:
	s_or_b64 exec, exec, s[38:39]
.LBB814_68:
	v_mul_lo_u32 v20, v11, s26
	v_mul_lo_u32 v21, v10, s27
	v_mad_u64_u32 v[16:17], s[38:39], v10, s26, 0
	v_add3_u32 v17, v17, v21, v20
	s_mov_b64 s[40:41], 0
	s_and_b64 vcc, exec, s[4:5]
	v_lshl_add_u64 v[16:17], v[16:17], 3, s[28:29]
	s_cbranch_vccnz .LBB814_77
; %bb.69:
	global_load_dwordx2 v[20:21], v[16:17], off
	global_load_dwordx2 v[22:23], v[18:19], off
	s_mov_b64 s[40:41], -1
	s_waitcnt vmcnt(0)
	v_cmp_eq_f64_e32 vcc, v[20:21], v[22:23]
	s_and_saveexec_b64 s[38:39], vcc
	s_cbranch_execz .LBB814_76
; %bb.70:
	s_add_u32 s40, s26, -1
	v_lshl_add_u64 v[18:19], v[18:19], 0, 8
	v_lshl_add_u64 v[20:21], v[16:17], 0, 8
	s_addc_u32 s41, s27, -1
	s_mov_b64 s[42:43], 0
	s_mov_b64 s[46:47], 0
                                        ; implicit-def: $sgpr44_sgpr45
	s_branch .LBB814_73
.LBB814_71:                             ;   in Loop: Header=BB814_73 Depth=1
	global_load_dwordx2 v[22:23], v[20:21], off
	global_load_dwordx2 v[32:33], v[18:19], off
	s_add_u32 s46, s46, 1
	s_addc_u32 s47, s47, 0
	s_andn2_b64 s[44:45], s[44:45], exec
	v_lshl_add_u64 v[18:19], v[18:19], 0, 8
	v_lshl_add_u64 v[20:21], v[20:21], 0, 8
	s_waitcnt vmcnt(0)
	v_cmp_neq_f64_e32 vcc, v[22:23], v[32:33]
	s_and_b64 s[48:49], vcc, exec
	s_or_b64 s[44:45], s[44:45], s[48:49]
.LBB814_72:                             ;   in Loop: Header=BB814_73 Depth=1
	s_and_b64 s[48:49], exec, s[44:45]
	s_or_b64 s[42:43], s[48:49], s[42:43]
	v_mov_b64_e32 v[22:23], s[46:47]
	s_andn2_b64 exec, exec, s[42:43]
	s_cbranch_execz .LBB814_75
.LBB814_73:                             ; =>This Inner Loop Header: Depth=1
	s_or_b64 s[44:45], s[44:45], exec
	s_cmp_eq_u64 s[40:41], s[46:47]
	s_cbranch_scc0 .LBB814_71
; %bb.74:                               ;   in Loop: Header=BB814_73 Depth=1
                                        ; implicit-def: $vgpr18_vgpr19
                                        ; implicit-def: $vgpr20_vgpr21
	s_mov_b64 s[46:47], s[26:27]
	s_branch .LBB814_72
.LBB814_75:
	s_or_b64 exec, exec, s[42:43]
	v_cmp_gt_i64_e32 vcc, s[26:27], v[22:23]
	s_orn2_b64 s[40:41], vcc, exec
.LBB814_76:
	s_or_b64 exec, exec, s[38:39]
.LBB814_77:
	v_cmp_ne_u32_e32 vcc, 0, v0
	s_waitcnt lgkmcnt(0)
	v_mov_b64_e32 v[18:19], s[6:7]
	s_barrier
	s_and_saveexec_b64 s[38:39], vcc
	s_cbranch_execz .LBB814_79
; %bb.78:
	v_add_u32_e32 v18, -8, v31
	ds_read_b64 v[18:19], v18
.LBB814_79:
	s_or_b64 exec, exec, s[38:39]
	v_cndmask_b32_e64 v21, 0, 1, s[36:37]
	v_cndmask_b32_e64 v20, 0, 1, s[18:19]
	v_cndmask_b32_e64 v22, 0, 1, s[40:41]
	v_lshlrev_b16_e32 v21, 8, v21
	v_lshlrev_b16_e32 v22, 8, v22
	v_or_b32_sdwa v23, v20, v21 dst_sel:WORD_1 dst_unused:UNUSED_PAD src0_sel:DWORD src1_sel:DWORD
	s_mov_b64 s[36:37], 0
	s_and_b64 vcc, exec, s[4:5]
	s_mov_b64 s[18:19], 0
	s_cbranch_vccnz .LBB814_88
; %bb.80:
	s_waitcnt lgkmcnt(0)
	v_mul_lo_u32 v20, v19, s26
	v_mul_lo_u32 v21, v18, s27
	v_mad_u64_u32 v[18:19], s[18:19], v18, s26, 0
	v_add3_u32 v19, v19, v21, v20
	v_lshl_add_u64 v[18:19], v[18:19], 3, s[28:29]
	global_load_dwordx2 v[20:21], v[18:19], off
	global_load_dwordx2 v[32:33], v[16:17], off
	s_mov_b64 s[18:19], -1
	s_waitcnt vmcnt(0)
	v_cmp_eq_f64_e32 vcc, v[20:21], v[32:33]
	s_and_saveexec_b64 s[38:39], vcc
	s_cbranch_execz .LBB814_87
; %bb.81:
	s_add_u32 s18, s26, -1
	v_lshl_add_u64 v[16:17], v[16:17], 0, 8
	v_lshl_add_u64 v[18:19], v[18:19], 0, 8
	s_addc_u32 s19, s27, -1
	s_mov_b64 s[40:41], 0
	s_mov_b64 s[44:45], 0
                                        ; implicit-def: $sgpr42_sgpr43
	s_branch .LBB814_84
.LBB814_82:                             ;   in Loop: Header=BB814_84 Depth=1
	global_load_dwordx2 v[20:21], v[18:19], off
	global_load_dwordx2 v[32:33], v[16:17], off
	s_add_u32 s44, s44, 1
	s_addc_u32 s45, s45, 0
	s_andn2_b64 s[42:43], s[42:43], exec
	v_lshl_add_u64 v[16:17], v[16:17], 0, 8
	v_lshl_add_u64 v[18:19], v[18:19], 0, 8
	s_waitcnt vmcnt(0)
	v_cmp_neq_f64_e32 vcc, v[20:21], v[32:33]
	s_and_b64 s[46:47], vcc, exec
	s_or_b64 s[42:43], s[42:43], s[46:47]
.LBB814_83:                             ;   in Loop: Header=BB814_84 Depth=1
	s_and_b64 s[46:47], exec, s[42:43]
	s_or_b64 s[40:41], s[46:47], s[40:41]
	v_mov_b64_e32 v[20:21], s[44:45]
	s_andn2_b64 exec, exec, s[40:41]
	s_cbranch_execz .LBB814_86
.LBB814_84:                             ; =>This Inner Loop Header: Depth=1
	s_or_b64 s[42:43], s[42:43], exec
	s_cmp_eq_u64 s[18:19], s[44:45]
	s_cbranch_scc0 .LBB814_82
; %bb.85:                               ;   in Loop: Header=BB814_84 Depth=1
                                        ; implicit-def: $vgpr16_vgpr17
                                        ; implicit-def: $vgpr18_vgpr19
	s_mov_b64 s[44:45], s[26:27]
	s_branch .LBB814_83
.LBB814_86:
	s_or_b64 exec, exec, s[40:41]
	v_cmp_gt_i64_e32 vcc, s[26:27], v[20:21]
	s_orn2_b64 s[18:19], vcc, exec
.LBB814_87:
	s_or_b64 exec, exec, s[38:39]
.LBB814_88:
	v_cndmask_b32_e64 v32, 0, 1, s[12:13]
	v_cndmask_b32_e64 v33, 0, 1, s[14:15]
	;; [unrolled: 1-line block ×3, first 2 shown]
	v_or_b32_e32 v20, v22, v23
	s_and_b64 vcc, exec, s[36:37]
	s_cbranch_vccz .LBB814_169
.LBB814_89:
	v_cmp_gt_u32_e32 vcc, s3, v27
	s_mov_b64 s[12:13], 0
	s_mov_b64 s[10:11], 0
	s_and_saveexec_b64 s[14:15], vcc
	s_cbranch_execz .LBB814_100
; %bb.90:
	s_and_b64 vcc, exec, s[4:5]
	s_mov_b64 s[18:19], 0
	s_cbranch_vccnz .LBB814_99
; %bb.91:
	s_waitcnt lgkmcnt(0)
	v_mul_lo_u32 v18, v5, s26
	v_mul_lo_u32 v19, v4, s27
	v_mad_u64_u32 v[16:17], s[10:11], v4, s26, 0
	v_add3_u32 v17, v17, v19, v18
	v_mul_lo_u32 v18, v15, s26
	v_mul_lo_u32 v19, v14, s27
	v_mad_u64_u32 v[20:21], s[10:11], v14, s26, 0
	v_add3_u32 v21, v21, v19, v18
	v_lshl_add_u64 v[18:19], v[16:17], 3, s[28:29]
	v_lshl_add_u64 v[16:17], v[20:21], 3, s[28:29]
	global_load_dwordx2 v[20:21], v[18:19], off
	global_load_dwordx2 v[22:23], v[16:17], off
	s_mov_b64 s[18:19], -1
	s_waitcnt vmcnt(0)
	v_cmp_eq_f64_e32 vcc, v[20:21], v[22:23]
	s_and_saveexec_b64 s[10:11], vcc
	s_cbranch_execz .LBB814_98
; %bb.92:
	s_add_u32 s18, s26, -1
	v_lshl_add_u64 v[16:17], v[16:17], 0, 8
	v_lshl_add_u64 v[18:19], v[18:19], 0, 8
	s_addc_u32 s19, s27, -1
	s_mov_b64 s[36:37], 0
	s_mov_b64 s[40:41], 0
                                        ; implicit-def: $sgpr38_sgpr39
	s_branch .LBB814_95
.LBB814_93:                             ;   in Loop: Header=BB814_95 Depth=1
	global_load_dwordx2 v[20:21], v[18:19], off
	global_load_dwordx2 v[22:23], v[16:17], off
	s_add_u32 s40, s40, 1
	s_addc_u32 s41, s41, 0
	s_andn2_b64 s[38:39], s[38:39], exec
	v_lshl_add_u64 v[16:17], v[16:17], 0, 8
	v_lshl_add_u64 v[18:19], v[18:19], 0, 8
	s_waitcnt vmcnt(0)
	v_cmp_neq_f64_e32 vcc, v[20:21], v[22:23]
	s_and_b64 s[42:43], vcc, exec
	s_or_b64 s[38:39], s[38:39], s[42:43]
.LBB814_94:                             ;   in Loop: Header=BB814_95 Depth=1
	s_and_b64 s[42:43], exec, s[38:39]
	s_or_b64 s[36:37], s[42:43], s[36:37]
	v_mov_b64_e32 v[20:21], s[40:41]
	s_andn2_b64 exec, exec, s[36:37]
	s_cbranch_execz .LBB814_97
.LBB814_95:                             ; =>This Inner Loop Header: Depth=1
	s_or_b64 s[38:39], s[38:39], exec
	s_cmp_eq_u64 s[18:19], s[40:41]
	s_cbranch_scc0 .LBB814_93
; %bb.96:                               ;   in Loop: Header=BB814_95 Depth=1
                                        ; implicit-def: $vgpr16_vgpr17
                                        ; implicit-def: $vgpr18_vgpr19
	s_mov_b64 s[40:41], s[26:27]
	s_branch .LBB814_94
.LBB814_97:
	s_or_b64 exec, exec, s[36:37]
	v_cmp_gt_i64_e32 vcc, s[26:27], v[20:21]
	s_orn2_b64 s[18:19], vcc, exec
.LBB814_98:
	s_or_b64 exec, exec, s[10:11]
.LBB814_99:
	s_and_b64 s[10:11], s[18:19], exec
.LBB814_100:
	s_or_b64 exec, exec, s[14:15]
	v_cmp_gt_u32_e32 vcc, s3, v29
	s_and_saveexec_b64 s[14:15], vcc
	s_cbranch_execz .LBB814_111
; %bb.101:
	s_and_b64 vcc, exec, s[4:5]
	s_mov_b64 s[18:19], 0
	s_cbranch_vccnz .LBB814_110
; %bb.102:
	s_waitcnt lgkmcnt(0)
	v_mul_lo_u32 v18, v3, s26
	v_mul_lo_u32 v19, v2, s27
	v_mad_u64_u32 v[16:17], s[12:13], v2, s26, 0
	v_add3_u32 v17, v17, v19, v18
	v_mul_lo_u32 v18, v5, s26
	v_mul_lo_u32 v19, v4, s27
	v_mad_u64_u32 v[20:21], s[12:13], v4, s26, 0
	v_add3_u32 v21, v21, v19, v18
	v_lshl_add_u64 v[18:19], v[16:17], 3, s[28:29]
	v_lshl_add_u64 v[16:17], v[20:21], 3, s[28:29]
	global_load_dwordx2 v[20:21], v[18:19], off
	global_load_dwordx2 v[22:23], v[16:17], off
	s_mov_b64 s[18:19], -1
	s_waitcnt vmcnt(0)
	v_cmp_eq_f64_e32 vcc, v[20:21], v[22:23]
	s_and_saveexec_b64 s[12:13], vcc
	s_cbranch_execz .LBB814_109
; %bb.103:
	s_add_u32 s18, s26, -1
	v_lshl_add_u64 v[16:17], v[16:17], 0, 8
	v_lshl_add_u64 v[18:19], v[18:19], 0, 8
	s_addc_u32 s19, s27, -1
	s_mov_b64 s[36:37], 0
	s_mov_b64 s[40:41], 0
                                        ; implicit-def: $sgpr38_sgpr39
	s_branch .LBB814_106
.LBB814_104:                            ;   in Loop: Header=BB814_106 Depth=1
	global_load_dwordx2 v[20:21], v[18:19], off
	global_load_dwordx2 v[22:23], v[16:17], off
	s_add_u32 s40, s40, 1
	s_addc_u32 s41, s41, 0
	s_andn2_b64 s[38:39], s[38:39], exec
	v_lshl_add_u64 v[16:17], v[16:17], 0, 8
	v_lshl_add_u64 v[18:19], v[18:19], 0, 8
	s_waitcnt vmcnt(0)
	v_cmp_neq_f64_e32 vcc, v[20:21], v[22:23]
	s_and_b64 s[42:43], vcc, exec
	s_or_b64 s[38:39], s[38:39], s[42:43]
.LBB814_105:                            ;   in Loop: Header=BB814_106 Depth=1
	s_and_b64 s[42:43], exec, s[38:39]
	s_or_b64 s[36:37], s[42:43], s[36:37]
	v_mov_b64_e32 v[20:21], s[40:41]
	s_andn2_b64 exec, exec, s[36:37]
	s_cbranch_execz .LBB814_108
.LBB814_106:                            ; =>This Inner Loop Header: Depth=1
	s_or_b64 s[38:39], s[38:39], exec
	s_cmp_eq_u64 s[18:19], s[40:41]
	s_cbranch_scc0 .LBB814_104
; %bb.107:                              ;   in Loop: Header=BB814_106 Depth=1
                                        ; implicit-def: $vgpr16_vgpr17
                                        ; implicit-def: $vgpr18_vgpr19
	s_mov_b64 s[40:41], s[26:27]
	s_branch .LBB814_105
.LBB814_108:
	s_or_b64 exec, exec, s[36:37]
	v_cmp_gt_i64_e32 vcc, s[26:27], v[20:21]
	s_orn2_b64 s[18:19], vcc, exec
.LBB814_109:
	s_or_b64 exec, exec, s[12:13]
.LBB814_110:
	s_and_b64 s[12:13], s[18:19], exec
.LBB814_111:
	s_or_b64 exec, exec, s[14:15]
	v_cmp_gt_u32_e32 vcc, s3, v26
	s_mov_b64 s[18:19], 0
	s_mov_b64 s[14:15], 0
	s_and_saveexec_b64 s[36:37], vcc
	s_cbranch_execz .LBB814_122
; %bb.112:
	s_and_b64 vcc, exec, s[4:5]
	s_mov_b64 s[38:39], 0
	s_cbranch_vccnz .LBB814_121
; %bb.113:
	s_waitcnt lgkmcnt(0)
	v_mul_lo_u32 v18, v9, s26
	v_mul_lo_u32 v19, v8, s27
	v_mad_u64_u32 v[16:17], s[14:15], v8, s26, 0
	v_add3_u32 v17, v17, v19, v18
	v_mul_lo_u32 v18, v3, s26
	v_mul_lo_u32 v19, v2, s27
	v_mad_u64_u32 v[20:21], s[14:15], v2, s26, 0
	v_add3_u32 v21, v21, v19, v18
	v_lshl_add_u64 v[18:19], v[16:17], 3, s[28:29]
	v_lshl_add_u64 v[16:17], v[20:21], 3, s[28:29]
	global_load_dwordx2 v[20:21], v[18:19], off
	global_load_dwordx2 v[22:23], v[16:17], off
	s_mov_b64 s[38:39], -1
	s_waitcnt vmcnt(0)
	v_cmp_eq_f64_e32 vcc, v[20:21], v[22:23]
	s_and_saveexec_b64 s[14:15], vcc
	s_cbranch_execz .LBB814_120
; %bb.114:
	s_add_u32 s38, s26, -1
	v_lshl_add_u64 v[16:17], v[16:17], 0, 8
	v_lshl_add_u64 v[18:19], v[18:19], 0, 8
	s_addc_u32 s39, s27, -1
	s_mov_b64 s[40:41], 0
	s_mov_b64 s[44:45], 0
                                        ; implicit-def: $sgpr42_sgpr43
	s_branch .LBB814_117
.LBB814_115:                            ;   in Loop: Header=BB814_117 Depth=1
	global_load_dwordx2 v[20:21], v[18:19], off
	global_load_dwordx2 v[22:23], v[16:17], off
	s_add_u32 s44, s44, 1
	s_addc_u32 s45, s45, 0
	s_andn2_b64 s[42:43], s[42:43], exec
	v_lshl_add_u64 v[16:17], v[16:17], 0, 8
	v_lshl_add_u64 v[18:19], v[18:19], 0, 8
	s_waitcnt vmcnt(0)
	v_cmp_neq_f64_e32 vcc, v[20:21], v[22:23]
	s_and_b64 s[46:47], vcc, exec
	s_or_b64 s[42:43], s[42:43], s[46:47]
.LBB814_116:                            ;   in Loop: Header=BB814_117 Depth=1
	s_and_b64 s[46:47], exec, s[42:43]
	s_or_b64 s[40:41], s[46:47], s[40:41]
	v_mov_b64_e32 v[20:21], s[44:45]
	s_andn2_b64 exec, exec, s[40:41]
	s_cbranch_execz .LBB814_119
.LBB814_117:                            ; =>This Inner Loop Header: Depth=1
	s_or_b64 s[42:43], s[42:43], exec
	s_cmp_eq_u64 s[38:39], s[44:45]
	s_cbranch_scc0 .LBB814_115
; %bb.118:                              ;   in Loop: Header=BB814_117 Depth=1
                                        ; implicit-def: $vgpr16_vgpr17
                                        ; implicit-def: $vgpr18_vgpr19
	s_mov_b64 s[44:45], s[26:27]
	s_branch .LBB814_116
.LBB814_119:
	s_or_b64 exec, exec, s[40:41]
	v_cmp_gt_i64_e32 vcc, s[26:27], v[20:21]
	s_orn2_b64 s[38:39], vcc, exec
.LBB814_120:
	s_or_b64 exec, exec, s[14:15]
.LBB814_121:
	s_and_b64 s[14:15], s[38:39], exec
.LBB814_122:
	s_or_b64 exec, exec, s[36:37]
	v_cmp_gt_u32_e32 vcc, s3, v28
	s_and_saveexec_b64 s[36:37], vcc
	s_cbranch_execz .LBB814_133
; %bb.123:
	s_and_b64 vcc, exec, s[4:5]
	s_mov_b64 s[38:39], 0
	s_cbranch_vccnz .LBB814_132
; %bb.124:
	s_waitcnt lgkmcnt(0)
	v_mul_lo_u32 v18, v7, s26
	v_mul_lo_u32 v19, v6, s27
	v_mad_u64_u32 v[16:17], s[18:19], v6, s26, 0
	v_add3_u32 v17, v17, v19, v18
	v_mul_lo_u32 v18, v9, s26
	v_mul_lo_u32 v19, v8, s27
	v_mad_u64_u32 v[20:21], s[18:19], v8, s26, 0
	v_add3_u32 v21, v21, v19, v18
	v_lshl_add_u64 v[18:19], v[16:17], 3, s[28:29]
	v_lshl_add_u64 v[16:17], v[20:21], 3, s[28:29]
	global_load_dwordx2 v[20:21], v[18:19], off
	global_load_dwordx2 v[22:23], v[16:17], off
	s_mov_b64 s[38:39], -1
	s_waitcnt vmcnt(0)
	v_cmp_eq_f64_e32 vcc, v[20:21], v[22:23]
	s_and_saveexec_b64 s[18:19], vcc
	s_cbranch_execz .LBB814_131
; %bb.125:
	s_add_u32 s38, s26, -1
	v_lshl_add_u64 v[16:17], v[16:17], 0, 8
	v_lshl_add_u64 v[18:19], v[18:19], 0, 8
	s_addc_u32 s39, s27, -1
	s_mov_b64 s[40:41], 0
	s_mov_b64 s[44:45], 0
                                        ; implicit-def: $sgpr42_sgpr43
	s_branch .LBB814_128
.LBB814_126:                            ;   in Loop: Header=BB814_128 Depth=1
	global_load_dwordx2 v[20:21], v[18:19], off
	global_load_dwordx2 v[22:23], v[16:17], off
	s_add_u32 s44, s44, 1
	s_addc_u32 s45, s45, 0
	s_andn2_b64 s[42:43], s[42:43], exec
	v_lshl_add_u64 v[16:17], v[16:17], 0, 8
	v_lshl_add_u64 v[18:19], v[18:19], 0, 8
	s_waitcnt vmcnt(0)
	v_cmp_neq_f64_e32 vcc, v[20:21], v[22:23]
	s_and_b64 s[46:47], vcc, exec
	s_or_b64 s[42:43], s[42:43], s[46:47]
.LBB814_127:                            ;   in Loop: Header=BB814_128 Depth=1
	s_and_b64 s[46:47], exec, s[42:43]
	s_or_b64 s[40:41], s[46:47], s[40:41]
	v_mov_b64_e32 v[20:21], s[44:45]
	s_andn2_b64 exec, exec, s[40:41]
	s_cbranch_execz .LBB814_130
.LBB814_128:                            ; =>This Inner Loop Header: Depth=1
	s_or_b64 s[42:43], s[42:43], exec
	s_cmp_eq_u64 s[38:39], s[44:45]
	s_cbranch_scc0 .LBB814_126
; %bb.129:                              ;   in Loop: Header=BB814_128 Depth=1
                                        ; implicit-def: $vgpr16_vgpr17
                                        ; implicit-def: $vgpr18_vgpr19
	s_mov_b64 s[44:45], s[26:27]
	s_branch .LBB814_127
.LBB814_130:
	s_or_b64 exec, exec, s[40:41]
	v_cmp_gt_i64_e32 vcc, s[26:27], v[20:21]
	s_orn2_b64 s[38:39], vcc, exec
.LBB814_131:
	s_or_b64 exec, exec, s[18:19]
.LBB814_132:
	s_and_b64 s[18:19], s[38:39], exec
.LBB814_133:
	s_or_b64 exec, exec, s[36:37]
	v_cmp_gt_u32_e32 vcc, s3, v24
	s_mov_b64 s[36:37], 0
	s_mov_b64 s[38:39], 0
	s_and_saveexec_b64 s[40:41], vcc
	s_cbranch_execz .LBB814_144
; %bb.134:
	s_and_b64 vcc, exec, s[4:5]
	s_mov_b64 s[42:43], 0
	s_cbranch_vccnz .LBB814_143
; %bb.135:
	s_waitcnt lgkmcnt(0)
	v_mul_lo_u32 v18, v13, s26
	v_mul_lo_u32 v19, v12, s27
	v_mad_u64_u32 v[16:17], s[38:39], v12, s26, 0
	v_add3_u32 v17, v17, v19, v18
	v_mul_lo_u32 v18, v7, s26
	v_mul_lo_u32 v19, v6, s27
	v_mad_u64_u32 v[20:21], s[38:39], v6, s26, 0
	v_add3_u32 v21, v21, v19, v18
	v_lshl_add_u64 v[18:19], v[16:17], 3, s[28:29]
	v_lshl_add_u64 v[16:17], v[20:21], 3, s[28:29]
	global_load_dwordx2 v[20:21], v[18:19], off
	global_load_dwordx2 v[22:23], v[16:17], off
	s_mov_b64 s[42:43], -1
	s_waitcnt vmcnt(0)
	v_cmp_eq_f64_e32 vcc, v[20:21], v[22:23]
	s_and_saveexec_b64 s[38:39], vcc
	s_cbranch_execz .LBB814_142
; %bb.136:
	s_add_u32 s42, s26, -1
	v_lshl_add_u64 v[16:17], v[16:17], 0, 8
	v_lshl_add_u64 v[18:19], v[18:19], 0, 8
	s_addc_u32 s43, s27, -1
	s_mov_b64 s[44:45], 0
	s_mov_b64 s[48:49], 0
                                        ; implicit-def: $sgpr46_sgpr47
	s_branch .LBB814_139
.LBB814_137:                            ;   in Loop: Header=BB814_139 Depth=1
	global_load_dwordx2 v[20:21], v[18:19], off
	global_load_dwordx2 v[22:23], v[16:17], off
	s_add_u32 s48, s48, 1
	s_addc_u32 s49, s49, 0
	s_andn2_b64 s[46:47], s[46:47], exec
	v_lshl_add_u64 v[16:17], v[16:17], 0, 8
	v_lshl_add_u64 v[18:19], v[18:19], 0, 8
	s_waitcnt vmcnt(0)
	v_cmp_neq_f64_e32 vcc, v[20:21], v[22:23]
	s_and_b64 s[50:51], vcc, exec
	s_or_b64 s[46:47], s[46:47], s[50:51]
.LBB814_138:                            ;   in Loop: Header=BB814_139 Depth=1
	s_and_b64 s[50:51], exec, s[46:47]
	s_or_b64 s[44:45], s[50:51], s[44:45]
	v_mov_b64_e32 v[20:21], s[48:49]
	s_andn2_b64 exec, exec, s[44:45]
	s_cbranch_execz .LBB814_141
.LBB814_139:                            ; =>This Inner Loop Header: Depth=1
	s_or_b64 s[46:47], s[46:47], exec
	s_cmp_eq_u64 s[42:43], s[48:49]
	s_cbranch_scc0 .LBB814_137
; %bb.140:                              ;   in Loop: Header=BB814_139 Depth=1
                                        ; implicit-def: $vgpr16_vgpr17
                                        ; implicit-def: $vgpr18_vgpr19
	s_mov_b64 s[48:49], s[26:27]
	s_branch .LBB814_138
.LBB814_141:
	s_or_b64 exec, exec, s[44:45]
	v_cmp_gt_i64_e32 vcc, s[26:27], v[20:21]
	s_orn2_b64 s[42:43], vcc, exec
.LBB814_142:
	s_or_b64 exec, exec, s[38:39]
.LBB814_143:
	s_and_b64 s[38:39], s[42:43], exec
.LBB814_144:
	s_or_b64 exec, exec, s[40:41]
	v_cmp_gt_u32_e32 vcc, s3, v25
	s_and_saveexec_b64 s[40:41], vcc
	s_cbranch_execz .LBB814_155
; %bb.145:
	s_and_b64 vcc, exec, s[4:5]
	s_mov_b64 s[42:43], 0
	s_cbranch_vccnz .LBB814_154
; %bb.146:
	s_waitcnt lgkmcnt(0)
	v_mul_lo_u32 v18, v11, s26
	v_mul_lo_u32 v19, v10, s27
	v_mad_u64_u32 v[16:17], s[36:37], v10, s26, 0
	v_add3_u32 v17, v17, v19, v18
	v_mul_lo_u32 v18, v13, s26
	v_mul_lo_u32 v19, v12, s27
	v_mad_u64_u32 v[20:21], s[36:37], v12, s26, 0
	v_add3_u32 v21, v21, v19, v18
	v_lshl_add_u64 v[18:19], v[16:17], 3, s[28:29]
	v_lshl_add_u64 v[16:17], v[20:21], 3, s[28:29]
	global_load_dwordx2 v[20:21], v[18:19], off
	global_load_dwordx2 v[22:23], v[16:17], off
	s_mov_b64 s[42:43], -1
	s_waitcnt vmcnt(0)
	v_cmp_eq_f64_e32 vcc, v[20:21], v[22:23]
	s_and_saveexec_b64 s[36:37], vcc
	s_cbranch_execz .LBB814_153
; %bb.147:
	s_add_u32 s42, s26, -1
	v_lshl_add_u64 v[16:17], v[16:17], 0, 8
	v_lshl_add_u64 v[18:19], v[18:19], 0, 8
	s_addc_u32 s43, s27, -1
	s_mov_b64 s[44:45], 0
	s_mov_b64 s[48:49], 0
                                        ; implicit-def: $sgpr46_sgpr47
	s_branch .LBB814_150
.LBB814_148:                            ;   in Loop: Header=BB814_150 Depth=1
	global_load_dwordx2 v[20:21], v[18:19], off
	global_load_dwordx2 v[22:23], v[16:17], off
	s_add_u32 s48, s48, 1
	s_addc_u32 s49, s49, 0
	s_andn2_b64 s[46:47], s[46:47], exec
	v_lshl_add_u64 v[16:17], v[16:17], 0, 8
	v_lshl_add_u64 v[18:19], v[18:19], 0, 8
	s_waitcnt vmcnt(0)
	v_cmp_neq_f64_e32 vcc, v[20:21], v[22:23]
	s_and_b64 s[50:51], vcc, exec
	s_or_b64 s[46:47], s[46:47], s[50:51]
.LBB814_149:                            ;   in Loop: Header=BB814_150 Depth=1
	s_and_b64 s[50:51], exec, s[46:47]
	s_or_b64 s[44:45], s[50:51], s[44:45]
	v_mov_b64_e32 v[20:21], s[48:49]
	s_andn2_b64 exec, exec, s[44:45]
	s_cbranch_execz .LBB814_152
.LBB814_150:                            ; =>This Inner Loop Header: Depth=1
	s_or_b64 s[46:47], s[46:47], exec
	s_cmp_eq_u64 s[42:43], s[48:49]
	s_cbranch_scc0 .LBB814_148
; %bb.151:                              ;   in Loop: Header=BB814_150 Depth=1
                                        ; implicit-def: $vgpr16_vgpr17
                                        ; implicit-def: $vgpr18_vgpr19
	s_mov_b64 s[48:49], s[26:27]
	s_branch .LBB814_149
.LBB814_152:
	s_or_b64 exec, exec, s[44:45]
	v_cmp_gt_i64_e32 vcc, s[26:27], v[20:21]
	s_orn2_b64 s[42:43], vcc, exec
.LBB814_153:
	s_or_b64 exec, exec, s[36:37]
.LBB814_154:
	s_and_b64 s[36:37], s[42:43], exec
.LBB814_155:
	s_or_b64 exec, exec, s[40:41]
	v_cmp_ne_u32_e32 vcc, 0, v0
	s_waitcnt lgkmcnt(0)
	v_mov_b64_e32 v[16:17], s[6:7]
	s_barrier
	s_and_saveexec_b64 s[6:7], vcc
	s_cbranch_execz .LBB814_157
; %bb.156:
	v_add_u32_e32 v16, -8, v31
	ds_read_b64 v[16:17], v16
.LBB814_157:
	s_or_b64 exec, exec, s[6:7]
	v_cndmask_b32_e64 v19, 0, 1, s[18:19]
	v_cndmask_b32_e64 v18, 0, 1, s[38:39]
	;; [unrolled: 1-line block ×3, first 2 shown]
	v_lshlrev_b16_e32 v19, 8, v19
	v_cmp_gt_u32_e32 vcc, s3, v1
	v_lshlrev_b16_e32 v22, 8, v20
	v_or_b32_sdwa v23, v18, v19 dst_sel:WORD_1 dst_unused:UNUSED_PAD src0_sel:DWORD src1_sel:DWORD
	s_mov_b64 s[18:19], 0
	s_and_saveexec_b64 s[6:7], vcc
	s_cbranch_execz .LBB814_168
; %bb.158:
	s_and_b64 vcc, exec, s[4:5]
	s_cbranch_vccnz .LBB814_167
; %bb.159:
	s_waitcnt lgkmcnt(0)
	v_mul_lo_u32 v18, v17, s26
	v_mul_lo_u32 v19, v16, s27
	v_mad_u64_u32 v[16:17], s[4:5], v16, s26, 0
	v_add3_u32 v17, v17, v19, v18
	v_mul_lo_u32 v18, v11, s26
	v_mul_lo_u32 v19, v10, s27
	v_mad_u64_u32 v[20:21], s[4:5], v10, s26, 0
	v_add3_u32 v21, v21, v19, v18
	v_lshl_add_u64 v[18:19], v[16:17], 3, s[28:29]
	v_lshl_add_u64 v[16:17], v[20:21], 3, s[28:29]
	global_load_dwordx2 v[20:21], v[18:19], off
	global_load_dwordx2 v[32:33], v[16:17], off
	s_mov_b64 s[18:19], -1
	s_waitcnt vmcnt(0)
	v_cmp_eq_f64_e32 vcc, v[20:21], v[32:33]
	s_and_saveexec_b64 s[4:5], vcc
	s_cbranch_execz .LBB814_166
; %bb.160:
	s_add_u32 s18, s26, -1
	v_lshl_add_u64 v[16:17], v[16:17], 0, 8
	v_lshl_add_u64 v[18:19], v[18:19], 0, 8
	s_addc_u32 s19, s27, -1
	s_mov_b64 s[36:37], 0
	s_mov_b64 s[40:41], 0
                                        ; implicit-def: $sgpr38_sgpr39
	s_branch .LBB814_163
.LBB814_161:                            ;   in Loop: Header=BB814_163 Depth=1
	global_load_dwordx2 v[20:21], v[18:19], off
	global_load_dwordx2 v[32:33], v[16:17], off
	s_add_u32 s40, s40, 1
	s_addc_u32 s41, s41, 0
	s_andn2_b64 s[38:39], s[38:39], exec
	v_lshl_add_u64 v[16:17], v[16:17], 0, 8
	v_lshl_add_u64 v[18:19], v[18:19], 0, 8
	s_waitcnt vmcnt(0)
	v_cmp_neq_f64_e32 vcc, v[20:21], v[32:33]
	s_and_b64 s[42:43], vcc, exec
	s_or_b64 s[38:39], s[38:39], s[42:43]
.LBB814_162:                            ;   in Loop: Header=BB814_163 Depth=1
	s_and_b64 s[42:43], exec, s[38:39]
	s_or_b64 s[36:37], s[42:43], s[36:37]
	v_mov_b64_e32 v[20:21], s[40:41]
	s_andn2_b64 exec, exec, s[36:37]
	s_cbranch_execz .LBB814_165
.LBB814_163:                            ; =>This Inner Loop Header: Depth=1
	s_or_b64 s[38:39], s[38:39], exec
	s_cmp_eq_u64 s[18:19], s[40:41]
	s_cbranch_scc0 .LBB814_161
; %bb.164:                              ;   in Loop: Header=BB814_163 Depth=1
                                        ; implicit-def: $vgpr16_vgpr17
                                        ; implicit-def: $vgpr18_vgpr19
	s_mov_b64 s[40:41], s[26:27]
	s_branch .LBB814_162
.LBB814_165:
	s_or_b64 exec, exec, s[36:37]
	v_cmp_gt_i64_e32 vcc, s[26:27], v[20:21]
	s_orn2_b64 s[18:19], vcc, exec
.LBB814_166:
	s_or_b64 exec, exec, s[4:5]
.LBB814_167:
	s_and_b64 s[18:19], s[18:19], exec
.LBB814_168:
	s_or_b64 exec, exec, s[6:7]
	v_cndmask_b32_e64 v32, 0, 1, s[14:15]
	v_cndmask_b32_e64 v33, 0, 1, s[12:13]
	v_cndmask_b32_e64 v34, 0, 1, s[10:11]
	v_or_b32_e32 v20, v22, v23
.LBB814_169:
	s_mov_b64 s[10:11], -1
	s_cbranch_execnz .LBB814_28
.LBB814_170:
	s_movk_i32 s4, 0xffd0
	v_mad_i32_i24 v30, v0, s4, v30
	s_mov_b64 s[12:13], 0
	s_waitcnt lgkmcnt(0)
	v_cmp_gt_i64_e64 s[6:7], s[26:27], 0
	s_and_b64 vcc, exec, s[34:35]
	ds_write_b64 v30, v[14:15]
	s_cbranch_vccz .LBB814_178
; %bb.171:
	v_mul_lo_u32 v18, v5, s26
	v_mul_lo_u32 v19, v4, s27
	v_mad_u64_u32 v[16:17], s[4:5], v4, s26, 0
	v_add3_u32 v17, v17, v19, v18
	v_cndmask_b32_e64 v18, 0, 1, s[6:7]
	v_cmp_ne_u32_e64 s[4:5], 1, v18
	s_andn2_b64 vcc, exec, s[6:7]
	v_lshl_add_u64 v[16:17], v[16:17], 3, s[28:29]
	s_cbranch_vccnz .LBB814_181
; %bb.172:
	v_mul_lo_u32 v20, v15, s26
	v_mul_lo_u32 v21, v14, s27
	v_mad_u64_u32 v[18:19], s[12:13], v14, s26, 0
	v_add3_u32 v19, v19, v21, v20
	v_lshl_add_u64 v[18:19], v[18:19], 3, s[28:29]
	global_load_dwordx2 v[20:21], v[16:17], off
	global_load_dwordx2 v[22:23], v[18:19], off
	s_mov_b64 s[12:13], -1
	s_waitcnt vmcnt(0)
	v_cmp_eq_f64_e32 vcc, v[20:21], v[22:23]
	s_and_saveexec_b64 s[14:15], vcc
	s_cbranch_execz .LBB814_180
; %bb.173:
	s_add_u32 s12, s26, -1
	v_lshl_add_u64 v[18:19], v[18:19], 0, 8
	v_lshl_add_u64 v[20:21], v[16:17], 0, 8
	s_addc_u32 s13, s27, -1
	s_mov_b64 s[18:19], 0
	s_mov_b64 s[38:39], 0
                                        ; implicit-def: $sgpr36_sgpr37
	s_branch .LBB814_176
.LBB814_174:                            ;   in Loop: Header=BB814_176 Depth=1
	global_load_dwordx2 v[22:23], v[20:21], off
	global_load_dwordx2 v[32:33], v[18:19], off
	s_add_u32 s38, s38, 1
	s_addc_u32 s39, s39, 0
	s_andn2_b64 s[36:37], s[36:37], exec
	v_lshl_add_u64 v[18:19], v[18:19], 0, 8
	v_lshl_add_u64 v[20:21], v[20:21], 0, 8
	s_waitcnt vmcnt(0)
	v_cmp_neq_f64_e32 vcc, v[22:23], v[32:33]
	s_and_b64 s[40:41], vcc, exec
	s_or_b64 s[36:37], s[36:37], s[40:41]
.LBB814_175:                            ;   in Loop: Header=BB814_176 Depth=1
	s_and_b64 s[40:41], exec, s[36:37]
	s_or_b64 s[18:19], s[40:41], s[18:19]
	v_mov_b64_e32 v[22:23], s[38:39]
	s_andn2_b64 exec, exec, s[18:19]
	s_cbranch_execz .LBB814_179
.LBB814_176:                            ; =>This Inner Loop Header: Depth=1
	s_or_b64 s[36:37], s[36:37], exec
	s_cmp_eq_u64 s[12:13], s[38:39]
	s_cbranch_scc0 .LBB814_174
; %bb.177:                              ;   in Loop: Header=BB814_176 Depth=1
                                        ; implicit-def: $vgpr18_vgpr19
                                        ; implicit-def: $vgpr20_vgpr21
	s_mov_b64 s[38:39], s[26:27]
	s_branch .LBB814_175
.LBB814_178:
                                        ; implicit-def: $sgpr18_sgpr19
                                        ; implicit-def: $vgpr34
                                        ; implicit-def: $vgpr33
                                        ; implicit-def: $vgpr32
                                        ; implicit-def: $vgpr20
                                        ; implicit-def: $vgpr16_vgpr17
	s_cbranch_execnz .LBB814_238
	s_branch .LBB814_318
.LBB814_179:
	s_or_b64 exec, exec, s[18:19]
	v_cmp_gt_i64_e32 vcc, s[26:27], v[22:23]
	s_orn2_b64 s[12:13], vcc, exec
.LBB814_180:
	s_or_b64 exec, exec, s[14:15]
.LBB814_181:
	v_mul_lo_u32 v20, v3, s26
	v_mul_lo_u32 v21, v2, s27
	v_mad_u64_u32 v[18:19], s[14:15], v2, s26, 0
	v_add3_u32 v19, v19, v21, v20
	s_mov_b64 s[14:15], 0
	s_and_b64 vcc, exec, s[4:5]
	v_lshl_add_u64 v[18:19], v[18:19], 3, s[28:29]
	s_mov_b64 s[18:19], 0
	s_cbranch_vccnz .LBB814_190
; %bb.182:
	global_load_dwordx2 v[20:21], v[18:19], off
	global_load_dwordx2 v[22:23], v[16:17], off
	s_mov_b64 s[18:19], -1
	s_waitcnt vmcnt(0)
	v_cmp_eq_f64_e32 vcc, v[20:21], v[22:23]
	s_and_saveexec_b64 s[36:37], vcc
	s_cbranch_execz .LBB814_189
; %bb.183:
	s_add_u32 s18, s26, -1
	v_lshl_add_u64 v[16:17], v[16:17], 0, 8
	v_lshl_add_u64 v[20:21], v[18:19], 0, 8
	s_addc_u32 s19, s27, -1
	s_mov_b64 s[38:39], 0
	s_mov_b64 s[42:43], 0
                                        ; implicit-def: $sgpr40_sgpr41
	s_branch .LBB814_186
.LBB814_184:                            ;   in Loop: Header=BB814_186 Depth=1
	global_load_dwordx2 v[22:23], v[20:21], off
	global_load_dwordx2 v[32:33], v[16:17], off
	s_add_u32 s42, s42, 1
	s_addc_u32 s43, s43, 0
	s_andn2_b64 s[40:41], s[40:41], exec
	v_lshl_add_u64 v[16:17], v[16:17], 0, 8
	v_lshl_add_u64 v[20:21], v[20:21], 0, 8
	s_waitcnt vmcnt(0)
	v_cmp_neq_f64_e32 vcc, v[22:23], v[32:33]
	s_and_b64 s[44:45], vcc, exec
	s_or_b64 s[40:41], s[40:41], s[44:45]
.LBB814_185:                            ;   in Loop: Header=BB814_186 Depth=1
	s_and_b64 s[44:45], exec, s[40:41]
	s_or_b64 s[38:39], s[44:45], s[38:39]
	v_mov_b64_e32 v[22:23], s[42:43]
	s_andn2_b64 exec, exec, s[38:39]
	s_cbranch_execz .LBB814_188
.LBB814_186:                            ; =>This Inner Loop Header: Depth=1
	s_or_b64 s[40:41], s[40:41], exec
	s_cmp_eq_u64 s[18:19], s[42:43]
	s_cbranch_scc0 .LBB814_184
; %bb.187:                              ;   in Loop: Header=BB814_186 Depth=1
                                        ; implicit-def: $vgpr16_vgpr17
                                        ; implicit-def: $vgpr20_vgpr21
	s_mov_b64 s[42:43], s[26:27]
	s_branch .LBB814_185
.LBB814_188:
	s_or_b64 exec, exec, s[38:39]
	v_cmp_gt_i64_e32 vcc, s[26:27], v[22:23]
	s_orn2_b64 s[18:19], vcc, exec
.LBB814_189:
	s_or_b64 exec, exec, s[36:37]
.LBB814_190:
	v_mul_lo_u32 v20, v9, s26
	v_mul_lo_u32 v21, v8, s27
	v_mad_u64_u32 v[16:17], s[36:37], v8, s26, 0
	v_add3_u32 v17, v17, v21, v20
	s_and_b64 vcc, exec, s[4:5]
	v_lshl_add_u64 v[16:17], v[16:17], 3, s[28:29]
	s_cbranch_vccnz .LBB814_199
; %bb.191:
	global_load_dwordx2 v[20:21], v[16:17], off
	global_load_dwordx2 v[22:23], v[18:19], off
	s_mov_b64 s[14:15], -1
	s_waitcnt vmcnt(0)
	v_cmp_eq_f64_e32 vcc, v[20:21], v[22:23]
	s_and_saveexec_b64 s[36:37], vcc
	s_cbranch_execz .LBB814_198
; %bb.192:
	s_add_u32 s14, s26, -1
	v_lshl_add_u64 v[18:19], v[18:19], 0, 8
	v_lshl_add_u64 v[20:21], v[16:17], 0, 8
	s_addc_u32 s15, s27, -1
	s_mov_b64 s[38:39], 0
	s_mov_b64 s[42:43], 0
                                        ; implicit-def: $sgpr40_sgpr41
	s_branch .LBB814_195
.LBB814_193:                            ;   in Loop: Header=BB814_195 Depth=1
	global_load_dwordx2 v[22:23], v[20:21], off
	global_load_dwordx2 v[32:33], v[18:19], off
	s_add_u32 s42, s42, 1
	s_addc_u32 s43, s43, 0
	s_andn2_b64 s[40:41], s[40:41], exec
	v_lshl_add_u64 v[18:19], v[18:19], 0, 8
	v_lshl_add_u64 v[20:21], v[20:21], 0, 8
	s_waitcnt vmcnt(0)
	v_cmp_neq_f64_e32 vcc, v[22:23], v[32:33]
	s_and_b64 s[44:45], vcc, exec
	s_or_b64 s[40:41], s[40:41], s[44:45]
.LBB814_194:                            ;   in Loop: Header=BB814_195 Depth=1
	s_and_b64 s[44:45], exec, s[40:41]
	s_or_b64 s[38:39], s[44:45], s[38:39]
	v_mov_b64_e32 v[22:23], s[42:43]
	s_andn2_b64 exec, exec, s[38:39]
	s_cbranch_execz .LBB814_197
.LBB814_195:                            ; =>This Inner Loop Header: Depth=1
	s_or_b64 s[40:41], s[40:41], exec
	s_cmp_eq_u64 s[14:15], s[42:43]
	s_cbranch_scc0 .LBB814_193
; %bb.196:                              ;   in Loop: Header=BB814_195 Depth=1
                                        ; implicit-def: $vgpr18_vgpr19
                                        ; implicit-def: $vgpr20_vgpr21
	s_mov_b64 s[42:43], s[26:27]
	s_branch .LBB814_194
.LBB814_197:
	s_or_b64 exec, exec, s[38:39]
	v_cmp_gt_i64_e32 vcc, s[26:27], v[22:23]
	s_orn2_b64 s[14:15], vcc, exec
.LBB814_198:
	s_or_b64 exec, exec, s[36:37]
.LBB814_199:
	v_mul_lo_u32 v20, v7, s26
	v_mul_lo_u32 v21, v6, s27
	v_mad_u64_u32 v[18:19], s[36:37], v6, s26, 0
	v_add3_u32 v19, v19, v21, v20
	s_mov_b64 s[36:37], 0
	s_and_b64 vcc, exec, s[4:5]
	v_lshl_add_u64 v[18:19], v[18:19], 3, s[28:29]
	s_mov_b64 s[38:39], 0
	s_cbranch_vccnz .LBB814_208
; %bb.200:
	global_load_dwordx2 v[20:21], v[18:19], off
	global_load_dwordx2 v[22:23], v[16:17], off
	s_mov_b64 s[38:39], -1
	s_waitcnt vmcnt(0)
	v_cmp_eq_f64_e32 vcc, v[20:21], v[22:23]
	s_and_saveexec_b64 s[40:41], vcc
	s_cbranch_execz .LBB814_207
; %bb.201:
	s_add_u32 s38, s26, -1
	v_lshl_add_u64 v[16:17], v[16:17], 0, 8
	v_lshl_add_u64 v[20:21], v[18:19], 0, 8
	s_addc_u32 s39, s27, -1
	s_mov_b64 s[42:43], 0
	s_mov_b64 s[46:47], 0
                                        ; implicit-def: $sgpr44_sgpr45
	s_branch .LBB814_204
.LBB814_202:                            ;   in Loop: Header=BB814_204 Depth=1
	global_load_dwordx2 v[22:23], v[20:21], off
	global_load_dwordx2 v[32:33], v[16:17], off
	s_add_u32 s46, s46, 1
	s_addc_u32 s47, s47, 0
	s_andn2_b64 s[44:45], s[44:45], exec
	v_lshl_add_u64 v[16:17], v[16:17], 0, 8
	v_lshl_add_u64 v[20:21], v[20:21], 0, 8
	s_waitcnt vmcnt(0)
	v_cmp_neq_f64_e32 vcc, v[22:23], v[32:33]
	s_and_b64 s[48:49], vcc, exec
	s_or_b64 s[44:45], s[44:45], s[48:49]
.LBB814_203:                            ;   in Loop: Header=BB814_204 Depth=1
	s_and_b64 s[48:49], exec, s[44:45]
	s_or_b64 s[42:43], s[48:49], s[42:43]
	v_mov_b64_e32 v[22:23], s[46:47]
	s_andn2_b64 exec, exec, s[42:43]
	s_cbranch_execz .LBB814_206
.LBB814_204:                            ; =>This Inner Loop Header: Depth=1
	s_or_b64 s[44:45], s[44:45], exec
	s_cmp_eq_u64 s[38:39], s[46:47]
	s_cbranch_scc0 .LBB814_202
; %bb.205:                              ;   in Loop: Header=BB814_204 Depth=1
                                        ; implicit-def: $vgpr16_vgpr17
                                        ; implicit-def: $vgpr20_vgpr21
	s_mov_b64 s[46:47], s[26:27]
	s_branch .LBB814_203
.LBB814_206:
	s_or_b64 exec, exec, s[42:43]
	v_cmp_gt_i64_e32 vcc, s[26:27], v[22:23]
	s_orn2_b64 s[38:39], vcc, exec
.LBB814_207:
	s_or_b64 exec, exec, s[40:41]
.LBB814_208:
	v_mul_lo_u32 v20, v13, s26
	v_mul_lo_u32 v21, v12, s27
	v_mad_u64_u32 v[16:17], s[40:41], v12, s26, 0
	v_add3_u32 v17, v17, v21, v20
	s_and_b64 vcc, exec, s[4:5]
	v_lshl_add_u64 v[16:17], v[16:17], 3, s[28:29]
	s_cbranch_vccnz .LBB814_217
; %bb.209:
	global_load_dwordx2 v[20:21], v[16:17], off
	global_load_dwordx2 v[22:23], v[18:19], off
	s_mov_b64 s[36:37], -1
	s_waitcnt vmcnt(0)
	v_cmp_eq_f64_e32 vcc, v[20:21], v[22:23]
	s_and_saveexec_b64 s[40:41], vcc
	s_cbranch_execz .LBB814_216
; %bb.210:
	s_add_u32 s36, s26, -1
	v_lshl_add_u64 v[18:19], v[18:19], 0, 8
	v_lshl_add_u64 v[20:21], v[16:17], 0, 8
	s_addc_u32 s37, s27, -1
	s_mov_b64 s[42:43], 0
	s_mov_b64 s[46:47], 0
                                        ; implicit-def: $sgpr44_sgpr45
	s_branch .LBB814_213
.LBB814_211:                            ;   in Loop: Header=BB814_213 Depth=1
	global_load_dwordx2 v[22:23], v[20:21], off
	global_load_dwordx2 v[32:33], v[18:19], off
	s_add_u32 s46, s46, 1
	s_addc_u32 s47, s47, 0
	s_andn2_b64 s[44:45], s[44:45], exec
	v_lshl_add_u64 v[18:19], v[18:19], 0, 8
	v_lshl_add_u64 v[20:21], v[20:21], 0, 8
	s_waitcnt vmcnt(0)
	v_cmp_neq_f64_e32 vcc, v[22:23], v[32:33]
	s_and_b64 s[48:49], vcc, exec
	s_or_b64 s[44:45], s[44:45], s[48:49]
.LBB814_212:                            ;   in Loop: Header=BB814_213 Depth=1
	s_and_b64 s[48:49], exec, s[44:45]
	s_or_b64 s[42:43], s[48:49], s[42:43]
	v_mov_b64_e32 v[22:23], s[46:47]
	s_andn2_b64 exec, exec, s[42:43]
	s_cbranch_execz .LBB814_215
.LBB814_213:                            ; =>This Inner Loop Header: Depth=1
	s_or_b64 s[44:45], s[44:45], exec
	s_cmp_eq_u64 s[36:37], s[46:47]
	s_cbranch_scc0 .LBB814_211
; %bb.214:                              ;   in Loop: Header=BB814_213 Depth=1
                                        ; implicit-def: $vgpr18_vgpr19
                                        ; implicit-def: $vgpr20_vgpr21
	s_mov_b64 s[46:47], s[26:27]
	s_branch .LBB814_212
.LBB814_215:
	s_or_b64 exec, exec, s[42:43]
	v_cmp_gt_i64_e32 vcc, s[26:27], v[22:23]
	s_orn2_b64 s[36:37], vcc, exec
.LBB814_216:
	s_or_b64 exec, exec, s[40:41]
.LBB814_217:
	v_mul_lo_u32 v20, v11, s26
	v_mul_lo_u32 v21, v10, s27
	v_mad_u64_u32 v[18:19], s[40:41], v10, s26, 0
	v_add3_u32 v19, v19, v21, v20
	s_and_b64 vcc, exec, s[4:5]
	s_mov_b64 s[42:43], 0
	s_cbranch_vccnz .LBB814_226
; %bb.218:
	v_lshl_add_u64 v[20:21], v[18:19], 3, s[28:29]
	global_load_dwordx2 v[22:23], v[20:21], off
	global_load_dwordx2 v[32:33], v[16:17], off
	s_mov_b64 s[42:43], -1
	s_waitcnt vmcnt(0)
	v_cmp_eq_f64_e32 vcc, v[22:23], v[32:33]
	s_and_saveexec_b64 s[40:41], vcc
	s_cbranch_execz .LBB814_225
; %bb.219:
	s_add_u32 s42, s26, -1
	v_lshl_add_u64 v[16:17], v[16:17], 0, 8
	v_lshl_add_u64 v[20:21], v[20:21], 0, 8
	s_addc_u32 s43, s27, -1
	s_mov_b64 s[44:45], 0
	s_mov_b64 s[48:49], 0
                                        ; implicit-def: $sgpr46_sgpr47
	s_branch .LBB814_222
.LBB814_220:                            ;   in Loop: Header=BB814_222 Depth=1
	global_load_dwordx2 v[22:23], v[20:21], off
	global_load_dwordx2 v[32:33], v[16:17], off
	s_add_u32 s48, s48, 1
	s_addc_u32 s49, s49, 0
	s_andn2_b64 s[46:47], s[46:47], exec
	v_lshl_add_u64 v[16:17], v[16:17], 0, 8
	v_lshl_add_u64 v[20:21], v[20:21], 0, 8
	s_waitcnt vmcnt(0)
	v_cmp_neq_f64_e32 vcc, v[22:23], v[32:33]
	s_and_b64 s[50:51], vcc, exec
	s_or_b64 s[46:47], s[46:47], s[50:51]
.LBB814_221:                            ;   in Loop: Header=BB814_222 Depth=1
	s_and_b64 s[50:51], exec, s[46:47]
	s_or_b64 s[44:45], s[50:51], s[44:45]
	v_mov_b64_e32 v[22:23], s[48:49]
	s_andn2_b64 exec, exec, s[44:45]
	s_cbranch_execz .LBB814_224
.LBB814_222:                            ; =>This Inner Loop Header: Depth=1
	s_or_b64 s[46:47], s[46:47], exec
	s_cmp_eq_u64 s[42:43], s[48:49]
	s_cbranch_scc0 .LBB814_220
; %bb.223:                              ;   in Loop: Header=BB814_222 Depth=1
                                        ; implicit-def: $vgpr16_vgpr17
                                        ; implicit-def: $vgpr20_vgpr21
	s_mov_b64 s[48:49], s[26:27]
	s_branch .LBB814_221
.LBB814_224:
	s_or_b64 exec, exec, s[44:45]
	v_cmp_gt_i64_e32 vcc, s[26:27], v[22:23]
	s_orn2_b64 s[42:43], vcc, exec
.LBB814_225:
	s_or_b64 exec, exec, s[40:41]
.LBB814_226:
	v_cndmask_b32_e64 v17, 0, 1, s[38:39]
	v_cndmask_b32_e64 v16, 0, 1, s[36:37]
	;; [unrolled: 1-line block ×3, first 2 shown]
	v_lshlrev_b16_e32 v17, 8, v17
	v_cndmask_b32_e64 v32, 0, 1, s[14:15]
	v_cndmask_b32_e64 v20, 0, 1, s[42:43]
	v_or_b32_sdwa v16, v16, v17 dst_sel:WORD_1 dst_unused:UNUSED_PAD src0_sel:DWORD src1_sel:DWORD
	v_lshlrev_b16_e32 v17, 8, v33
	v_lshlrev_b16_e32 v20, 8, v20
	v_or_b32_e32 v17, v32, v17
	v_or_b32_e32 v20, 1, v20
	v_and_b32_e32 v17, 0xffff, v17
	v_cndmask_b32_e64 v34, 0, 1, s[12:13]
	v_or_b32_sdwa v16, v20, v16 dst_sel:DWORD dst_unused:UNUSED_PAD src0_sel:WORD_0 src1_sel:DWORD
	v_lshl_or_b32 v17, v34, 16, v17
	v_cmp_ne_u32_e32 vcc, 0, v0
	s_waitcnt lgkmcnt(0)
	s_barrier
	s_waitcnt lgkmcnt(0)
                                        ; implicit-def: $sgpr18_sgpr19
                                        ; implicit-def: $vgpr20
	s_and_saveexec_b64 s[12:13], vcc
	s_xor_b64 s[12:13], exec, s[12:13]
	s_cbranch_execz .LBB814_237
; %bb.227:
	s_mov_b32 s33, 0x3020104
	s_and_b64 vcc, exec, s[4:5]
	s_mov_b64 s[14:15], 0
	s_cbranch_vccnz .LBB814_236
; %bb.228:
	v_add_u32_e32 v17, -8, v30
	ds_read_b64 v[20:21], v17
	v_lshl_add_u64 v[18:19], v[18:19], 3, s[28:29]
	s_mov_b64 s[14:15], -1
	s_waitcnt lgkmcnt(0)
	v_mul_lo_u32 v17, v21, s26
	v_mul_lo_u32 v22, v20, s27
	v_mad_u64_u32 v[20:21], s[4:5], v20, s26, 0
	v_add3_u32 v21, v21, v22, v17
	v_lshl_add_u64 v[20:21], v[20:21], 3, s[28:29]
	global_load_dwordx2 v[22:23], v[20:21], off
	global_load_dwordx2 v[36:37], v[18:19], off
	s_waitcnt vmcnt(0)
	v_cmp_eq_f64_e32 vcc, v[22:23], v[36:37]
	s_and_saveexec_b64 s[4:5], vcc
	s_cbranch_execz .LBB814_235
; %bb.229:
	s_add_u32 s14, s26, -1
	v_lshl_add_u64 v[18:19], v[18:19], 0, 8
	v_lshl_add_u64 v[20:21], v[20:21], 0, 8
	s_addc_u32 s15, s27, -1
	s_mov_b64 s[18:19], 0
	s_mov_b64 s[38:39], 0
                                        ; implicit-def: $sgpr36_sgpr37
	s_branch .LBB814_232
.LBB814_230:                            ;   in Loop: Header=BB814_232 Depth=1
	global_load_dwordx2 v[22:23], v[20:21], off
	global_load_dwordx2 v[36:37], v[18:19], off
	s_add_u32 s38, s38, 1
	s_addc_u32 s39, s39, 0
	s_andn2_b64 s[36:37], s[36:37], exec
	v_lshl_add_u64 v[18:19], v[18:19], 0, 8
	v_lshl_add_u64 v[20:21], v[20:21], 0, 8
	s_waitcnt vmcnt(0)
	v_cmp_neq_f64_e32 vcc, v[22:23], v[36:37]
	s_and_b64 s[40:41], vcc, exec
	s_or_b64 s[36:37], s[36:37], s[40:41]
.LBB814_231:                            ;   in Loop: Header=BB814_232 Depth=1
	s_and_b64 s[40:41], exec, s[36:37]
	s_or_b64 s[18:19], s[40:41], s[18:19]
	v_mov_b64_e32 v[22:23], s[38:39]
	s_andn2_b64 exec, exec, s[18:19]
	s_cbranch_execz .LBB814_234
.LBB814_232:                            ; =>This Inner Loop Header: Depth=1
	s_or_b64 s[36:37], s[36:37], exec
	s_cmp_eq_u64 s[14:15], s[38:39]
	s_cbranch_scc0 .LBB814_230
; %bb.233:                              ;   in Loop: Header=BB814_232 Depth=1
                                        ; implicit-def: $vgpr18_vgpr19
                                        ; implicit-def: $vgpr20_vgpr21
	s_mov_b64 s[38:39], s[26:27]
	s_branch .LBB814_231
.LBB814_234:
	s_or_b64 exec, exec, s[18:19]
	v_cmp_gt_i64_e32 vcc, s[26:27], v[22:23]
	s_orn2_b64 s[14:15], vcc, exec
.LBB814_235:
	s_or_b64 exec, exec, s[4:5]
.LBB814_236:
	v_perm_b32 v20, v16, v16, s33
	s_and_b64 s[18:19], s[14:15], exec
	s_or_b64 s[10:11], s[10:11], exec
                                        ; implicit-def: $vgpr16_vgpr17
.LBB814_237:
	s_or_b64 exec, exec, s[12:13]
	s_branch .LBB814_318
.LBB814_238:
	v_cmp_gt_u32_e32 vcc, s3, v27
	s_mov_b64 s[12:13], 0
	s_mov_b64 s[4:5], 0
	s_and_saveexec_b64 s[14:15], vcc
	s_cbranch_execz .LBB814_249
; %bb.239:
	s_andn2_b64 vcc, exec, s[6:7]
	s_mov_b64 s[18:19], 0
	s_cbranch_vccnz .LBB814_248
; %bb.240:
	v_mul_lo_u32 v18, v5, s26
	v_mul_lo_u32 v19, v4, s27
	v_mad_u64_u32 v[16:17], s[4:5], v4, s26, 0
	v_add3_u32 v17, v17, v19, v18
	v_mul_lo_u32 v18, v15, s26
	v_mul_lo_u32 v19, v14, s27
	v_mad_u64_u32 v[20:21], s[4:5], v14, s26, 0
	v_add3_u32 v21, v21, v19, v18
	v_lshl_add_u64 v[18:19], v[16:17], 3, s[28:29]
	v_lshl_add_u64 v[16:17], v[20:21], 3, s[28:29]
	global_load_dwordx2 v[20:21], v[18:19], off
	global_load_dwordx2 v[22:23], v[16:17], off
	s_mov_b64 s[18:19], -1
	s_waitcnt vmcnt(0)
	v_cmp_eq_f64_e32 vcc, v[20:21], v[22:23]
	s_and_saveexec_b64 s[4:5], vcc
	s_cbranch_execz .LBB814_247
; %bb.241:
	s_add_u32 s18, s26, -1
	v_lshl_add_u64 v[16:17], v[16:17], 0, 8
	v_lshl_add_u64 v[18:19], v[18:19], 0, 8
	s_addc_u32 s19, s27, -1
	s_mov_b64 s[36:37], 0
	s_mov_b64 s[40:41], 0
                                        ; implicit-def: $sgpr38_sgpr39
	s_branch .LBB814_244
.LBB814_242:                            ;   in Loop: Header=BB814_244 Depth=1
	global_load_dwordx2 v[20:21], v[18:19], off
	global_load_dwordx2 v[22:23], v[16:17], off
	s_add_u32 s40, s40, 1
	s_addc_u32 s41, s41, 0
	s_andn2_b64 s[38:39], s[38:39], exec
	v_lshl_add_u64 v[16:17], v[16:17], 0, 8
	v_lshl_add_u64 v[18:19], v[18:19], 0, 8
	s_waitcnt vmcnt(0)
	v_cmp_neq_f64_e32 vcc, v[20:21], v[22:23]
	s_and_b64 s[42:43], vcc, exec
	s_or_b64 s[38:39], s[38:39], s[42:43]
.LBB814_243:                            ;   in Loop: Header=BB814_244 Depth=1
	s_and_b64 s[42:43], exec, s[38:39]
	s_or_b64 s[36:37], s[42:43], s[36:37]
	v_mov_b64_e32 v[20:21], s[40:41]
	s_andn2_b64 exec, exec, s[36:37]
	s_cbranch_execz .LBB814_246
.LBB814_244:                            ; =>This Inner Loop Header: Depth=1
	s_or_b64 s[38:39], s[38:39], exec
	s_cmp_eq_u64 s[18:19], s[40:41]
	s_cbranch_scc0 .LBB814_242
; %bb.245:                              ;   in Loop: Header=BB814_244 Depth=1
                                        ; implicit-def: $vgpr16_vgpr17
                                        ; implicit-def: $vgpr18_vgpr19
	s_mov_b64 s[40:41], s[26:27]
	s_branch .LBB814_243
.LBB814_246:
	s_or_b64 exec, exec, s[36:37]
	v_cmp_gt_i64_e32 vcc, s[26:27], v[20:21]
	s_orn2_b64 s[18:19], vcc, exec
.LBB814_247:
	s_or_b64 exec, exec, s[4:5]
.LBB814_248:
	s_and_b64 s[4:5], s[18:19], exec
.LBB814_249:
	s_or_b64 exec, exec, s[14:15]
	v_cmp_gt_u32_e32 vcc, s3, v29
	s_and_saveexec_b64 s[14:15], vcc
	s_cbranch_execz .LBB814_260
; %bb.250:
	s_andn2_b64 vcc, exec, s[6:7]
	s_mov_b64 s[18:19], 0
	s_cbranch_vccnz .LBB814_259
; %bb.251:
	v_mul_lo_u32 v18, v3, s26
	v_mul_lo_u32 v19, v2, s27
	v_mad_u64_u32 v[16:17], s[12:13], v2, s26, 0
	v_add3_u32 v17, v17, v19, v18
	v_mul_lo_u32 v18, v5, s26
	v_mul_lo_u32 v19, v4, s27
	v_mad_u64_u32 v[20:21], s[12:13], v4, s26, 0
	v_add3_u32 v21, v21, v19, v18
	v_lshl_add_u64 v[18:19], v[16:17], 3, s[28:29]
	v_lshl_add_u64 v[16:17], v[20:21], 3, s[28:29]
	global_load_dwordx2 v[20:21], v[18:19], off
	global_load_dwordx2 v[22:23], v[16:17], off
	s_mov_b64 s[18:19], -1
	s_waitcnt vmcnt(0)
	v_cmp_eq_f64_e32 vcc, v[20:21], v[22:23]
	s_and_saveexec_b64 s[12:13], vcc
	s_cbranch_execz .LBB814_258
; %bb.252:
	s_add_u32 s18, s26, -1
	v_lshl_add_u64 v[16:17], v[16:17], 0, 8
	v_lshl_add_u64 v[18:19], v[18:19], 0, 8
	s_addc_u32 s19, s27, -1
	s_mov_b64 s[36:37], 0
	s_mov_b64 s[40:41], 0
                                        ; implicit-def: $sgpr38_sgpr39
	s_branch .LBB814_255
.LBB814_253:                            ;   in Loop: Header=BB814_255 Depth=1
	global_load_dwordx2 v[20:21], v[18:19], off
	global_load_dwordx2 v[22:23], v[16:17], off
	s_add_u32 s40, s40, 1
	s_addc_u32 s41, s41, 0
	s_andn2_b64 s[38:39], s[38:39], exec
	v_lshl_add_u64 v[16:17], v[16:17], 0, 8
	v_lshl_add_u64 v[18:19], v[18:19], 0, 8
	s_waitcnt vmcnt(0)
	v_cmp_neq_f64_e32 vcc, v[20:21], v[22:23]
	s_and_b64 s[42:43], vcc, exec
	s_or_b64 s[38:39], s[38:39], s[42:43]
.LBB814_254:                            ;   in Loop: Header=BB814_255 Depth=1
	s_and_b64 s[42:43], exec, s[38:39]
	s_or_b64 s[36:37], s[42:43], s[36:37]
	v_mov_b64_e32 v[20:21], s[40:41]
	s_andn2_b64 exec, exec, s[36:37]
	s_cbranch_execz .LBB814_257
.LBB814_255:                            ; =>This Inner Loop Header: Depth=1
	s_or_b64 s[38:39], s[38:39], exec
	s_cmp_eq_u64 s[18:19], s[40:41]
	s_cbranch_scc0 .LBB814_253
; %bb.256:                              ;   in Loop: Header=BB814_255 Depth=1
                                        ; implicit-def: $vgpr16_vgpr17
                                        ; implicit-def: $vgpr18_vgpr19
	s_mov_b64 s[40:41], s[26:27]
	s_branch .LBB814_254
.LBB814_257:
	s_or_b64 exec, exec, s[36:37]
	v_cmp_gt_i64_e32 vcc, s[26:27], v[20:21]
	s_orn2_b64 s[18:19], vcc, exec
.LBB814_258:
	s_or_b64 exec, exec, s[12:13]
.LBB814_259:
	s_and_b64 s[12:13], s[18:19], exec
.LBB814_260:
	s_or_b64 exec, exec, s[14:15]
	v_cmp_gt_u32_e32 vcc, s3, v26
	s_mov_b64 s[18:19], 0
	s_mov_b64 s[14:15], 0
	s_and_saveexec_b64 s[36:37], vcc
	s_cbranch_execz .LBB814_271
; %bb.261:
	s_andn2_b64 vcc, exec, s[6:7]
	s_mov_b64 s[38:39], 0
	s_cbranch_vccnz .LBB814_270
; %bb.262:
	v_mul_lo_u32 v18, v9, s26
	v_mul_lo_u32 v19, v8, s27
	v_mad_u64_u32 v[16:17], s[14:15], v8, s26, 0
	v_add3_u32 v17, v17, v19, v18
	v_mul_lo_u32 v18, v3, s26
	v_mul_lo_u32 v19, v2, s27
	v_mad_u64_u32 v[20:21], s[14:15], v2, s26, 0
	v_add3_u32 v21, v21, v19, v18
	v_lshl_add_u64 v[18:19], v[16:17], 3, s[28:29]
	v_lshl_add_u64 v[16:17], v[20:21], 3, s[28:29]
	global_load_dwordx2 v[20:21], v[18:19], off
	global_load_dwordx2 v[22:23], v[16:17], off
	s_mov_b64 s[38:39], -1
	s_waitcnt vmcnt(0)
	v_cmp_eq_f64_e32 vcc, v[20:21], v[22:23]
	s_and_saveexec_b64 s[14:15], vcc
	s_cbranch_execz .LBB814_269
; %bb.263:
	s_add_u32 s38, s26, -1
	v_lshl_add_u64 v[16:17], v[16:17], 0, 8
	v_lshl_add_u64 v[18:19], v[18:19], 0, 8
	s_addc_u32 s39, s27, -1
	s_mov_b64 s[40:41], 0
	s_mov_b64 s[44:45], 0
                                        ; implicit-def: $sgpr42_sgpr43
	s_branch .LBB814_266
.LBB814_264:                            ;   in Loop: Header=BB814_266 Depth=1
	global_load_dwordx2 v[20:21], v[18:19], off
	global_load_dwordx2 v[22:23], v[16:17], off
	s_add_u32 s44, s44, 1
	s_addc_u32 s45, s45, 0
	s_andn2_b64 s[42:43], s[42:43], exec
	v_lshl_add_u64 v[16:17], v[16:17], 0, 8
	v_lshl_add_u64 v[18:19], v[18:19], 0, 8
	s_waitcnt vmcnt(0)
	v_cmp_neq_f64_e32 vcc, v[20:21], v[22:23]
	s_and_b64 s[46:47], vcc, exec
	s_or_b64 s[42:43], s[42:43], s[46:47]
.LBB814_265:                            ;   in Loop: Header=BB814_266 Depth=1
	s_and_b64 s[46:47], exec, s[42:43]
	s_or_b64 s[40:41], s[46:47], s[40:41]
	v_mov_b64_e32 v[20:21], s[44:45]
	s_andn2_b64 exec, exec, s[40:41]
	s_cbranch_execz .LBB814_268
.LBB814_266:                            ; =>This Inner Loop Header: Depth=1
	s_or_b64 s[42:43], s[42:43], exec
	s_cmp_eq_u64 s[38:39], s[44:45]
	s_cbranch_scc0 .LBB814_264
; %bb.267:                              ;   in Loop: Header=BB814_266 Depth=1
                                        ; implicit-def: $vgpr16_vgpr17
                                        ; implicit-def: $vgpr18_vgpr19
	s_mov_b64 s[44:45], s[26:27]
	s_branch .LBB814_265
.LBB814_268:
	s_or_b64 exec, exec, s[40:41]
	v_cmp_gt_i64_e32 vcc, s[26:27], v[20:21]
	s_orn2_b64 s[38:39], vcc, exec
.LBB814_269:
	s_or_b64 exec, exec, s[14:15]
.LBB814_270:
	s_and_b64 s[14:15], s[38:39], exec
.LBB814_271:
	s_or_b64 exec, exec, s[36:37]
	v_cmp_gt_u32_e32 vcc, s3, v28
	s_and_saveexec_b64 s[36:37], vcc
	s_cbranch_execz .LBB814_282
; %bb.272:
	s_andn2_b64 vcc, exec, s[6:7]
	s_mov_b64 s[38:39], 0
	s_cbranch_vccnz .LBB814_281
; %bb.273:
	v_mul_lo_u32 v18, v7, s26
	v_mul_lo_u32 v19, v6, s27
	v_mad_u64_u32 v[16:17], s[18:19], v6, s26, 0
	v_add3_u32 v17, v17, v19, v18
	v_mul_lo_u32 v18, v9, s26
	v_mul_lo_u32 v19, v8, s27
	v_mad_u64_u32 v[20:21], s[18:19], v8, s26, 0
	v_add3_u32 v21, v21, v19, v18
	v_lshl_add_u64 v[18:19], v[16:17], 3, s[28:29]
	v_lshl_add_u64 v[16:17], v[20:21], 3, s[28:29]
	global_load_dwordx2 v[20:21], v[18:19], off
	global_load_dwordx2 v[22:23], v[16:17], off
	s_mov_b64 s[38:39], -1
	s_waitcnt vmcnt(0)
	v_cmp_eq_f64_e32 vcc, v[20:21], v[22:23]
	s_and_saveexec_b64 s[18:19], vcc
	s_cbranch_execz .LBB814_280
; %bb.274:
	s_add_u32 s38, s26, -1
	v_lshl_add_u64 v[16:17], v[16:17], 0, 8
	v_lshl_add_u64 v[18:19], v[18:19], 0, 8
	s_addc_u32 s39, s27, -1
	s_mov_b64 s[40:41], 0
	s_mov_b64 s[44:45], 0
                                        ; implicit-def: $sgpr42_sgpr43
	s_branch .LBB814_277
.LBB814_275:                            ;   in Loop: Header=BB814_277 Depth=1
	global_load_dwordx2 v[20:21], v[18:19], off
	global_load_dwordx2 v[22:23], v[16:17], off
	s_add_u32 s44, s44, 1
	s_addc_u32 s45, s45, 0
	s_andn2_b64 s[42:43], s[42:43], exec
	v_lshl_add_u64 v[16:17], v[16:17], 0, 8
	v_lshl_add_u64 v[18:19], v[18:19], 0, 8
	s_waitcnt vmcnt(0)
	v_cmp_neq_f64_e32 vcc, v[20:21], v[22:23]
	s_and_b64 s[46:47], vcc, exec
	s_or_b64 s[42:43], s[42:43], s[46:47]
.LBB814_276:                            ;   in Loop: Header=BB814_277 Depth=1
	s_and_b64 s[46:47], exec, s[42:43]
	s_or_b64 s[40:41], s[46:47], s[40:41]
	v_mov_b64_e32 v[20:21], s[44:45]
	s_andn2_b64 exec, exec, s[40:41]
	s_cbranch_execz .LBB814_279
.LBB814_277:                            ; =>This Inner Loop Header: Depth=1
	s_or_b64 s[42:43], s[42:43], exec
	s_cmp_eq_u64 s[38:39], s[44:45]
	s_cbranch_scc0 .LBB814_275
; %bb.278:                              ;   in Loop: Header=BB814_277 Depth=1
                                        ; implicit-def: $vgpr16_vgpr17
                                        ; implicit-def: $vgpr18_vgpr19
	s_mov_b64 s[44:45], s[26:27]
	s_branch .LBB814_276
.LBB814_279:
	s_or_b64 exec, exec, s[40:41]
	v_cmp_gt_i64_e32 vcc, s[26:27], v[20:21]
	s_orn2_b64 s[38:39], vcc, exec
.LBB814_280:
	s_or_b64 exec, exec, s[18:19]
.LBB814_281:
	s_and_b64 s[18:19], s[38:39], exec
.LBB814_282:
	s_or_b64 exec, exec, s[36:37]
	v_cmp_gt_u32_e32 vcc, s3, v24
	s_mov_b64 s[36:37], 0
	s_mov_b64 s[38:39], 0
	s_and_saveexec_b64 s[40:41], vcc
	s_cbranch_execz .LBB814_293
; %bb.283:
	s_andn2_b64 vcc, exec, s[6:7]
	s_mov_b64 s[42:43], 0
	s_cbranch_vccnz .LBB814_292
; %bb.284:
	v_mul_lo_u32 v18, v13, s26
	v_mul_lo_u32 v19, v12, s27
	v_mad_u64_u32 v[16:17], s[38:39], v12, s26, 0
	v_add3_u32 v17, v17, v19, v18
	v_mul_lo_u32 v18, v7, s26
	v_mul_lo_u32 v19, v6, s27
	v_mad_u64_u32 v[20:21], s[38:39], v6, s26, 0
	v_add3_u32 v21, v21, v19, v18
	v_lshl_add_u64 v[18:19], v[16:17], 3, s[28:29]
	v_lshl_add_u64 v[16:17], v[20:21], 3, s[28:29]
	global_load_dwordx2 v[20:21], v[18:19], off
	global_load_dwordx2 v[22:23], v[16:17], off
	s_mov_b64 s[42:43], -1
	s_waitcnt vmcnt(0)
	v_cmp_eq_f64_e32 vcc, v[20:21], v[22:23]
	s_and_saveexec_b64 s[38:39], vcc
	s_cbranch_execz .LBB814_291
; %bb.285:
	s_add_u32 s42, s26, -1
	v_lshl_add_u64 v[16:17], v[16:17], 0, 8
	v_lshl_add_u64 v[18:19], v[18:19], 0, 8
	s_addc_u32 s43, s27, -1
	s_mov_b64 s[44:45], 0
	s_mov_b64 s[48:49], 0
                                        ; implicit-def: $sgpr46_sgpr47
	s_branch .LBB814_288
.LBB814_286:                            ;   in Loop: Header=BB814_288 Depth=1
	global_load_dwordx2 v[20:21], v[18:19], off
	global_load_dwordx2 v[22:23], v[16:17], off
	s_add_u32 s48, s48, 1
	s_addc_u32 s49, s49, 0
	s_andn2_b64 s[46:47], s[46:47], exec
	v_lshl_add_u64 v[16:17], v[16:17], 0, 8
	v_lshl_add_u64 v[18:19], v[18:19], 0, 8
	s_waitcnt vmcnt(0)
	v_cmp_neq_f64_e32 vcc, v[20:21], v[22:23]
	s_and_b64 s[50:51], vcc, exec
	s_or_b64 s[46:47], s[46:47], s[50:51]
.LBB814_287:                            ;   in Loop: Header=BB814_288 Depth=1
	s_and_b64 s[50:51], exec, s[46:47]
	s_or_b64 s[44:45], s[50:51], s[44:45]
	v_mov_b64_e32 v[20:21], s[48:49]
	s_andn2_b64 exec, exec, s[44:45]
	s_cbranch_execz .LBB814_290
.LBB814_288:                            ; =>This Inner Loop Header: Depth=1
	s_or_b64 s[46:47], s[46:47], exec
	s_cmp_eq_u64 s[42:43], s[48:49]
	s_cbranch_scc0 .LBB814_286
; %bb.289:                              ;   in Loop: Header=BB814_288 Depth=1
                                        ; implicit-def: $vgpr16_vgpr17
                                        ; implicit-def: $vgpr18_vgpr19
	s_mov_b64 s[48:49], s[26:27]
	s_branch .LBB814_287
.LBB814_290:
	s_or_b64 exec, exec, s[44:45]
	v_cmp_gt_i64_e32 vcc, s[26:27], v[20:21]
	s_orn2_b64 s[42:43], vcc, exec
.LBB814_291:
	s_or_b64 exec, exec, s[38:39]
.LBB814_292:
	s_and_b64 s[38:39], s[42:43], exec
.LBB814_293:
	s_or_b64 exec, exec, s[40:41]
	v_cmp_gt_u32_e32 vcc, s3, v25
	s_and_saveexec_b64 s[40:41], vcc
	s_cbranch_execz .LBB814_304
; %bb.294:
	s_andn2_b64 vcc, exec, s[6:7]
	s_mov_b64 s[42:43], 0
	s_cbranch_vccnz .LBB814_303
; %bb.295:
	v_mul_lo_u32 v18, v11, s26
	v_mul_lo_u32 v19, v10, s27
	v_mad_u64_u32 v[16:17], s[36:37], v10, s26, 0
	v_add3_u32 v17, v17, v19, v18
	v_mul_lo_u32 v18, v13, s26
	v_mul_lo_u32 v19, v12, s27
	v_mad_u64_u32 v[20:21], s[36:37], v12, s26, 0
	v_add3_u32 v21, v21, v19, v18
	v_lshl_add_u64 v[18:19], v[16:17], 3, s[28:29]
	v_lshl_add_u64 v[16:17], v[20:21], 3, s[28:29]
	global_load_dwordx2 v[20:21], v[18:19], off
	global_load_dwordx2 v[22:23], v[16:17], off
	s_mov_b64 s[42:43], -1
	s_waitcnt vmcnt(0)
	v_cmp_eq_f64_e32 vcc, v[20:21], v[22:23]
	s_and_saveexec_b64 s[36:37], vcc
	s_cbranch_execz .LBB814_302
; %bb.296:
	s_add_u32 s42, s26, -1
	v_lshl_add_u64 v[16:17], v[16:17], 0, 8
	v_lshl_add_u64 v[18:19], v[18:19], 0, 8
	s_addc_u32 s43, s27, -1
	s_mov_b64 s[44:45], 0
	s_mov_b64 s[48:49], 0
                                        ; implicit-def: $sgpr46_sgpr47
	s_branch .LBB814_299
.LBB814_297:                            ;   in Loop: Header=BB814_299 Depth=1
	global_load_dwordx2 v[20:21], v[18:19], off
	global_load_dwordx2 v[22:23], v[16:17], off
	s_add_u32 s48, s48, 1
	s_addc_u32 s49, s49, 0
	s_andn2_b64 s[46:47], s[46:47], exec
	v_lshl_add_u64 v[16:17], v[16:17], 0, 8
	v_lshl_add_u64 v[18:19], v[18:19], 0, 8
	s_waitcnt vmcnt(0)
	v_cmp_neq_f64_e32 vcc, v[20:21], v[22:23]
	s_and_b64 s[50:51], vcc, exec
	s_or_b64 s[46:47], s[46:47], s[50:51]
.LBB814_298:                            ;   in Loop: Header=BB814_299 Depth=1
	s_and_b64 s[50:51], exec, s[46:47]
	s_or_b64 s[44:45], s[50:51], s[44:45]
	v_mov_b64_e32 v[20:21], s[48:49]
	s_andn2_b64 exec, exec, s[44:45]
	s_cbranch_execz .LBB814_301
.LBB814_299:                            ; =>This Inner Loop Header: Depth=1
	s_or_b64 s[46:47], s[46:47], exec
	s_cmp_eq_u64 s[42:43], s[48:49]
	s_cbranch_scc0 .LBB814_297
; %bb.300:                              ;   in Loop: Header=BB814_299 Depth=1
                                        ; implicit-def: $vgpr16_vgpr17
                                        ; implicit-def: $vgpr18_vgpr19
	s_mov_b64 s[48:49], s[26:27]
	s_branch .LBB814_298
.LBB814_301:
	s_or_b64 exec, exec, s[44:45]
	v_cmp_gt_i64_e32 vcc, s[26:27], v[20:21]
	s_orn2_b64 s[42:43], vcc, exec
.LBB814_302:
	s_or_b64 exec, exec, s[36:37]
.LBB814_303:
	s_and_b64 s[36:37], s[42:43], exec
.LBB814_304:
	s_or_b64 exec, exec, s[40:41]
	v_cndmask_b32_e64 v17, 0, 1, s[18:19]
	v_cndmask_b32_e64 v16, 0, 1, s[38:39]
	;; [unrolled: 1-line block ×3, first 2 shown]
	v_lshlrev_b16_e32 v17, 8, v17
	v_cndmask_b32_e64 v32, 0, 1, s[14:15]
	v_cndmask_b32_e64 v18, 0, 1, s[36:37]
	v_or_b32_sdwa v16, v16, v17 dst_sel:WORD_1 dst_unused:UNUSED_PAD src0_sel:DWORD src1_sel:DWORD
	v_lshlrev_b16_e32 v17, 8, v33
	v_lshlrev_b16_e32 v18, 8, v18
	v_or_b32_e32 v17, v32, v17
	v_or_b32_e32 v18, 1, v18
	v_and_b32_e32 v17, 0xffff, v17
	v_cndmask_b32_e64 v34, 0, 1, s[4:5]
	v_or_b32_sdwa v16, v18, v16 dst_sel:DWORD dst_unused:UNUSED_PAD src0_sel:WORD_0 src1_sel:DWORD
	v_lshl_or_b32 v17, v34, 16, v17
	v_cmp_ne_u32_e32 vcc, 0, v0
	s_waitcnt lgkmcnt(0)
	s_barrier
	s_waitcnt lgkmcnt(0)
                                        ; implicit-def: $sgpr18_sgpr19
                                        ; implicit-def: $vgpr20
	s_and_saveexec_b64 s[4:5], vcc
	s_cbranch_execz .LBB814_317
; %bb.305:
	v_cmp_gt_u32_e32 vcc, s3, v1
	s_mov_b32 s33, 0x3020104
	s_mov_b64 s[14:15], 0
	s_and_saveexec_b64 s[12:13], vcc
	s_cbranch_execz .LBB814_316
; %bb.306:
	s_andn2_b64 vcc, exec, s[6:7]
	s_cbranch_vccnz .LBB814_315
; %bb.307:
	v_add_u32_e32 v17, -8, v30
	ds_read_b64 v[18:19], v17
	v_mul_lo_u32 v17, v11, s26
	v_mad_u64_u32 v[22:23], s[6:7], v10, s26, 0
	s_mov_b64 s[14:15], -1
	s_waitcnt lgkmcnt(0)
	v_mul_lo_u32 v20, v19, s26
	v_mul_lo_u32 v21, v18, s27
	v_mad_u64_u32 v[18:19], s[6:7], v18, s26, 0
	v_add3_u32 v19, v19, v21, v20
	v_mul_lo_u32 v20, v10, s27
	v_add3_u32 v23, v23, v20, v17
	v_lshl_add_u64 v[20:21], v[18:19], 3, s[28:29]
	v_lshl_add_u64 v[18:19], v[22:23], 3, s[28:29]
	global_load_dwordx2 v[22:23], v[20:21], off
	global_load_dwordx2 v[30:31], v[18:19], off
	s_waitcnt vmcnt(0)
	v_cmp_eq_f64_e32 vcc, v[22:23], v[30:31]
	s_and_saveexec_b64 s[6:7], vcc
	s_cbranch_execz .LBB814_314
; %bb.308:
	s_add_u32 s14, s26, -1
	v_lshl_add_u64 v[18:19], v[18:19], 0, 8
	v_lshl_add_u64 v[20:21], v[20:21], 0, 8
	s_addc_u32 s15, s27, -1
	s_mov_b64 s[18:19], 0
	s_mov_b64 s[36:37], 0
                                        ; implicit-def: $sgpr28_sgpr29
	s_branch .LBB814_311
.LBB814_309:                            ;   in Loop: Header=BB814_311 Depth=1
	global_load_dwordx2 v[22:23], v[20:21], off
	global_load_dwordx2 v[30:31], v[18:19], off
	s_add_u32 s36, s36, 1
	s_addc_u32 s37, s37, 0
	s_andn2_b64 s[28:29], s[28:29], exec
	v_lshl_add_u64 v[18:19], v[18:19], 0, 8
	v_lshl_add_u64 v[20:21], v[20:21], 0, 8
	s_waitcnt vmcnt(0)
	v_cmp_neq_f64_e32 vcc, v[22:23], v[30:31]
	s_and_b64 s[38:39], vcc, exec
	s_or_b64 s[28:29], s[28:29], s[38:39]
.LBB814_310:                            ;   in Loop: Header=BB814_311 Depth=1
	s_and_b64 s[38:39], exec, s[28:29]
	s_or_b64 s[18:19], s[38:39], s[18:19]
	v_mov_b64_e32 v[22:23], s[36:37]
	s_andn2_b64 exec, exec, s[18:19]
	s_cbranch_execz .LBB814_313
.LBB814_311:                            ; =>This Inner Loop Header: Depth=1
	s_or_b64 s[28:29], s[28:29], exec
	s_cmp_eq_u64 s[14:15], s[36:37]
	s_cbranch_scc0 .LBB814_309
; %bb.312:                              ;   in Loop: Header=BB814_311 Depth=1
                                        ; implicit-def: $vgpr18_vgpr19
                                        ; implicit-def: $vgpr20_vgpr21
	s_mov_b64 s[36:37], s[26:27]
	s_branch .LBB814_310
.LBB814_313:
	s_or_b64 exec, exec, s[18:19]
	v_cmp_gt_i64_e32 vcc, s[26:27], v[22:23]
	s_orn2_b64 s[14:15], vcc, exec
.LBB814_314:
	s_or_b64 exec, exec, s[6:7]
.LBB814_315:
	s_and_b64 s[14:15], s[14:15], exec
.LBB814_316:
	s_or_b64 exec, exec, s[12:13]
	v_perm_b32 v20, v16, v16, s33
	s_and_b64 s[18:19], s[14:15], exec
	s_or_b64 s[10:11], s[10:11], exec
                                        ; implicit-def: $vgpr16_vgpr17
.LBB814_317:
	s_or_b64 exec, exec, s[4:5]
.LBB814_318:
	s_and_saveexec_b64 s[4:5], s[10:11]
	s_cbranch_execz .LBB814_320
; %bb.319:
	s_waitcnt lgkmcnt(0)
	v_lshlrev_b16_e32 v17, 8, v33
	v_and_b32_e32 v18, 0xff, v34
	v_or_b32_sdwa v17, v32, v17 dst_sel:DWORD dst_unused:UNUSED_PAD src0_sel:BYTE_0 src1_sel:DWORD
	v_lshlrev_b32_e32 v18, 16, v18
	s_movk_i32 s6, 0xff
	v_or_b32_sdwa v17, v17, v18 dst_sel:DWORD dst_unused:UNUSED_PAD src0_sel:WORD_0 src1_sel:DWORD
	v_lshrrev_b32_e32 v18, 24, v20
	v_lshlrev_b16_e32 v18, 8, v18
	v_and_b32_sdwa v19, v20, s6 dst_sel:DWORD dst_unused:UNUSED_PAD src0_sel:WORD_1 src1_sel:DWORD
	v_or_b32_sdwa v18, v19, v18 dst_sel:WORD_1 dst_unused:UNUSED_PAD src0_sel:DWORD src1_sel:DWORD
	v_mov_b32_e32 v19, 8
	v_cndmask_b32_e64 v16, 0, 1, s[18:19]
	v_lshrrev_b32_sdwa v19, v19, v20 dst_sel:BYTE_1 dst_unused:UNUSED_PAD src0_sel:DWORD src1_sel:DWORD
	s_nop 0
	v_or_b32_e32 v16, v16, v19
	v_or_b32_sdwa v16, v16, v18 dst_sel:DWORD dst_unused:UNUSED_PAD src0_sel:WORD_0 src1_sel:DWORD
.LBB814_320:
	s_or_b64 exec, exec, s[4:5]
	s_andn2_b64 vcc, exec, s[8:9]
	s_cbranch_vccnz .LBB814_322
; %bb.321:
	s_waitcnt lgkmcnt(0)
	v_and_b32_e32 v18, 0xffff0000, v16
	v_cmp_gt_u32_e32 vcc, s3, v1
	s_mov_b32 s4, 0x40c0100
	s_nop 0
	v_cndmask_b32_e32 v1, v18, v16, vcc
	v_and_b32_e32 v1, 0xffff00ff, v1
	v_cmp_gt_u32_e32 vcc, s3, v25
	s_nop 1
	v_cndmask_b32_e32 v1, v1, v16, vcc
	v_lshrrev_b32_e32 v18, 24, v1
	v_perm_b32 v1, v18, v1, s4
	v_cmp_gt_u32_e32 vcc, s3, v24
	v_and_b32_e32 v18, 0xffffff00, v17
	s_nop 0
	v_cndmask_b32_e32 v1, v1, v16, vcc
	v_and_b32_e32 v1, 0xffffff, v1
	v_cmp_gt_u32_e32 vcc, s3, v28
	s_nop 1
	v_cndmask_b32_e32 v1, v1, v16, vcc
	v_cmp_gt_u32_e32 vcc, s3, v26
	s_nop 1
	v_cndmask_b32_e32 v18, v18, v17, vcc
	v_and_b32_e32 v18, 0xffff00ff, v18
	v_cndmask_b32_e32 v1, v1, v16, vcc
	v_cmp_gt_u32_e32 vcc, s3, v29
	s_nop 1
	v_cndmask_b32_e32 v18, v18, v17, vcc
	v_lshrrev_b32_e32 v19, 24, v18
	v_cndmask_b32_e32 v1, v1, v16, vcc
	v_perm_b32 v18, v19, v18, s4
	v_cmp_gt_u32_e32 vcc, s3, v27
	s_mov_b32 s3, 0x3020104
	s_nop 0
	v_cndmask_b32_e32 v1, v1, v16, vcc
	v_cndmask_b32_e32 v16, v18, v17, vcc
	v_mov_b32_e32 v17, 8
	v_lshrrev_b32_sdwa v17, v17, v16 dst_sel:BYTE_1 dst_unused:UNUSED_PAD src0_sel:DWORD src1_sel:DWORD
	s_nop 0
	v_or_b32_sdwa v17, v16, v17 dst_sel:DWORD dst_unused:UNUSED_PAD src0_sel:BYTE_0 src1_sel:DWORD
	v_and_b32_e32 v17, 0xffff, v17
	v_bfe_u32 v16, v16, 16, 8
	v_lshl_or_b32 v17, v16, 16, v17
	v_perm_b32 v16, v1, v1, s3
.LBB814_322:
	s_waitcnt lgkmcnt(0)
	v_and_b32_e32 v1, 0xff, v16
	v_bfe_u32 v29, v16, 8, 8
	v_bfe_u32 v31, v16, 16, 8
	v_alignbit_b32 v18, v17, v16, 24
	v_and_b32_e32 v33, 0xff, v18
	v_and_b32_e32 v35, 0xff, v17
	v_add3_u32 v19, v29, v1, v31
	v_bfe_u32 v36, v17, 8, 8
	v_bfe_u32 v18, v17, 16, 8
	v_add3_u32 v19, v19, v33, v35
	v_add3_u32 v39, v19, v36, v18
	v_mbcnt_lo_u32_b32 v18, -1, 0
	v_mbcnt_hi_u32_b32 v37, -1, v18
	v_and_b32_e32 v18, 15, v37
	v_cmp_eq_u32_e64 s[14:15], 0, v18
	v_cmp_lt_u32_e64 s[12:13], 1, v18
	v_cmp_lt_u32_e64 s[10:11], 3, v18
	;; [unrolled: 1-line block ×3, first 2 shown]
	v_and_b32_e32 v18, 16, v37
	v_cmp_eq_u32_e64 s[6:7], 0, v18
	v_or_b32_e32 v18, 63, v0
	v_cmp_lt_u32_e64 s[18:19], 31, v37
	v_lshrrev_b32_e32 v38, 6, v0
	v_cmp_eq_u32_e64 s[4:5], v18, v0
	s_and_b64 vcc, exec, s[16:17]
	s_barrier
	s_cbranch_vccz .LBB814_349
; %bb.323:
	v_mov_b32_dpp v18, v39 row_shr:1 row_mask:0xf bank_mask:0xf
	v_cndmask_b32_e64 v18, v18, 0, s[14:15]
	v_add_u32_e32 v18, v18, v39
	s_nop 1
	v_mov_b32_dpp v19, v18 row_shr:2 row_mask:0xf bank_mask:0xf
	v_cndmask_b32_e64 v19, 0, v19, s[12:13]
	v_add_u32_e32 v18, v18, v19
	s_nop 1
	;; [unrolled: 4-line block ×4, first 2 shown]
	v_mov_b32_dpp v19, v18 row_bcast:15 row_mask:0xf bank_mask:0xf
	v_cndmask_b32_e64 v19, v19, 0, s[6:7]
	v_add_u32_e32 v18, v18, v19
	s_nop 1
	v_mov_b32_dpp v19, v18 row_bcast:31 row_mask:0xf bank_mask:0xf
	v_cndmask_b32_e64 v19, 0, v19, s[18:19]
	v_add_u32_e32 v18, v18, v19
	s_and_saveexec_b64 s[16:17], s[4:5]
	s_cbranch_execz .LBB814_325
; %bb.324:
	v_lshlrev_b32_e32 v19, 2, v38
	ds_write_b32 v19, v18
.LBB814_325:
	s_or_b64 exec, exec, s[16:17]
	v_cmp_gt_u32_e32 vcc, 8, v0
	s_waitcnt lgkmcnt(0)
	s_barrier
	s_and_saveexec_b64 s[16:17], vcc
	s_cbranch_execz .LBB814_327
; %bb.326:
	v_lshlrev_b32_e32 v19, 2, v0
	ds_read_b32 v20, v19
	v_and_b32_e32 v21, 7, v37
	v_cmp_ne_u32_e32 vcc, 0, v21
	s_waitcnt lgkmcnt(0)
	v_mov_b32_dpp v22, v20 row_shr:1 row_mask:0xf bank_mask:0xf
	v_cndmask_b32_e32 v22, 0, v22, vcc
	v_add_u32_e32 v20, v22, v20
	v_cmp_lt_u32_e32 vcc, 1, v21
	s_nop 0
	v_mov_b32_dpp v22, v20 row_shr:2 row_mask:0xf bank_mask:0xf
	v_cndmask_b32_e32 v22, 0, v22, vcc
	v_add_u32_e32 v20, v20, v22
	v_cmp_lt_u32_e32 vcc, 3, v21
	s_nop 0
	v_mov_b32_dpp v22, v20 row_shr:4 row_mask:0xf bank_mask:0xf
	v_cndmask_b32_e32 v21, 0, v22, vcc
	v_add_u32_e32 v20, v20, v21
	ds_write_b32 v19, v20
.LBB814_327:
	s_or_b64 exec, exec, s[16:17]
	v_cmp_gt_u32_e32 vcc, 64, v0
	v_cmp_lt_u32_e64 s[16:17], 63, v0
	s_waitcnt lgkmcnt(0)
	s_barrier
	s_waitcnt lgkmcnt(0)
                                        ; implicit-def: $vgpr28
	s_and_saveexec_b64 s[26:27], s[16:17]
	s_cbranch_execz .LBB814_329
; %bb.328:
	v_lshl_add_u32 v19, v38, 2, -4
	ds_read_b32 v28, v19
	s_waitcnt lgkmcnt(0)
	v_add_u32_e32 v18, v28, v18
.LBB814_329:
	s_or_b64 exec, exec, s[26:27]
	v_add_u32_e32 v19, -1, v37
	v_and_b32_e32 v20, 64, v37
	v_cmp_lt_i32_e64 s[16:17], v19, v20
	s_nop 1
	v_cndmask_b32_e64 v19, v19, v37, s[16:17]
	v_lshlrev_b32_e32 v19, 2, v19
	ds_bpermute_b32 v30, v19, v18
	v_cmp_eq_u32_e64 s[16:17], 0, v37
	s_and_saveexec_b64 s[26:27], vcc
	s_cbranch_execz .LBB814_348
; %bb.330:
	v_mov_b32_e32 v25, 0
	ds_read_b32 v18, v25 offset:28
	s_and_saveexec_b64 s[28:29], s[16:17]
	s_cbranch_execz .LBB814_332
; %bb.331:
	s_add_i32 s36, s2, 64
	s_mov_b32 s37, 0
	s_lshl_b64 s[36:37], s[36:37], 3
	s_add_u32 s36, s30, s36
	v_mov_b32_e32 v19, 1
	s_addc_u32 s37, s31, s37
	s_waitcnt lgkmcnt(0)
	global_store_dwordx2 v25, v[18:19], s[36:37] sc1
.LBB814_332:
	s_or_b64 exec, exec, s[28:29]
	v_xad_u32 v20, v37, -1, s2
	v_add_u32_e32 v24, 64, v20
	v_lshl_add_u64 v[26:27], v[24:25], 3, s[30:31]
	global_load_dwordx2 v[22:23], v[26:27], off sc1
	s_waitcnt vmcnt(0)
	v_cmp_eq_u16_sdwa s[36:37], v23, v25 src0_sel:BYTE_0 src1_sel:DWORD
	s_and_saveexec_b64 s[28:29], s[36:37]
	s_cbranch_execz .LBB814_336
; %bb.333:
	s_mov_b64 s[36:37], 0
	v_mov_b32_e32 v19, 0
.LBB814_334:                            ; =>This Inner Loop Header: Depth=1
	global_load_dwordx2 v[22:23], v[26:27], off sc1
	s_waitcnt vmcnt(0)
	v_cmp_ne_u16_sdwa s[38:39], v23, v19 src0_sel:BYTE_0 src1_sel:DWORD
	s_or_b64 s[36:37], s[38:39], s[36:37]
	s_andn2_b64 exec, exec, s[36:37]
	s_cbranch_execnz .LBB814_334
; %bb.335:
	s_or_b64 exec, exec, s[36:37]
.LBB814_336:
	s_or_b64 exec, exec, s[28:29]
	v_and_b32_e32 v32, 63, v37
	v_mov_b32_e32 v19, 2
	v_cmp_ne_u32_e32 vcc, 63, v32
	v_cmp_eq_u16_sdwa s[28:29], v23, v19 src0_sel:BYTE_0 src1_sel:DWORD
	v_lshlrev_b64 v[24:25], v37, -1
	v_addc_co_u32_e32 v27, vcc, 0, v37, vcc
	v_and_b32_e32 v21, s29, v25
	v_lshlrev_b32_e32 v34, 2, v27
	v_or_b32_e32 v21, 0x80000000, v21
	ds_bpermute_b32 v27, v34, v22
	v_and_b32_e32 v26, s28, v24
	v_ffbl_b32_e32 v21, v21
	v_add_u32_e32 v21, 32, v21
	v_ffbl_b32_e32 v26, v26
	v_min_u32_e32 v21, v26, v21
	v_cmp_lt_u32_e32 vcc, v32, v21
	v_add_u32_e32 v41, 2, v32
	v_add_u32_e32 v43, 4, v32
	s_waitcnt lgkmcnt(0)
	v_cndmask_b32_e32 v26, 0, v27, vcc
	v_cmp_gt_u32_e32 vcc, 62, v32
	v_add_u32_e32 v22, v26, v22
	v_add_u32_e32 v45, 8, v32
	v_cndmask_b32_e64 v26, 0, 1, vcc
	v_lshlrev_b32_e32 v26, 1, v26
	v_add_lshl_u32 v40, v26, v37, 2
	ds_bpermute_b32 v26, v40, v22
	v_cmp_le_u32_e32 vcc, v41, v21
	v_add_u32_e32 v48, 16, v32
	v_add_u32_e32 v50, 32, v32
	s_waitcnt lgkmcnt(0)
	v_cndmask_b32_e32 v26, 0, v26, vcc
	v_cmp_gt_u32_e32 vcc, 60, v32
	v_add_u32_e32 v22, v22, v26
	s_nop 0
	v_cndmask_b32_e64 v26, 0, 1, vcc
	v_lshlrev_b32_e32 v26, 2, v26
	v_add_lshl_u32 v42, v26, v37, 2
	ds_bpermute_b32 v26, v42, v22
	v_cmp_le_u32_e32 vcc, v43, v21
	s_waitcnt lgkmcnt(0)
	s_nop 0
	v_cndmask_b32_e32 v26, 0, v26, vcc
	v_cmp_gt_u32_e32 vcc, 56, v32
	v_add_u32_e32 v22, v22, v26
	s_nop 0
	v_cndmask_b32_e64 v26, 0, 1, vcc
	v_lshlrev_b32_e32 v26, 3, v26
	v_add_lshl_u32 v44, v26, v37, 2
	ds_bpermute_b32 v26, v44, v22
	v_cmp_le_u32_e32 vcc, v45, v21
	s_waitcnt lgkmcnt(0)
	s_nop 0
	;; [unrolled: 11-line block ×4, first 2 shown]
	v_cndmask_b32_e32 v21, 0, v26, vcc
	v_add_u32_e32 v22, v22, v21
	v_mov_b32_e32 v21, 0
	s_branch .LBB814_338
.LBB814_337:                            ;   in Loop: Header=BB814_338 Depth=1
	s_or_b64 exec, exec, s[28:29]
	v_cmp_eq_u16_sdwa s[28:29], v23, v19 src0_sel:BYTE_0 src1_sel:DWORD
	ds_bpermute_b32 v51, v34, v22
	v_subrev_u32_e32 v20, 64, v20
	v_and_b32_e32 v26, s29, v25
	v_or_b32_e32 v26, 0x80000000, v26
	v_and_b32_e32 v27, s28, v24
	v_ffbl_b32_e32 v26, v26
	v_add_u32_e32 v26, 32, v26
	v_ffbl_b32_e32 v27, v27
	v_min_u32_e32 v26, v27, v26
	v_cmp_lt_u32_e32 vcc, v32, v26
	s_waitcnt lgkmcnt(0)
	s_nop 0
	v_cndmask_b32_e32 v27, 0, v51, vcc
	v_add_u32_e32 v22, v27, v22
	ds_bpermute_b32 v27, v40, v22
	v_cmp_le_u32_e32 vcc, v41, v26
	s_waitcnt lgkmcnt(0)
	s_nop 0
	v_cndmask_b32_e32 v27, 0, v27, vcc
	v_add_u32_e32 v22, v22, v27
	ds_bpermute_b32 v27, v42, v22
	v_cmp_le_u32_e32 vcc, v43, v26
	;; [unrolled: 6-line block ×5, first 2 shown]
	s_waitcnt lgkmcnt(0)
	s_nop 0
	v_cndmask_b32_e32 v26, 0, v27, vcc
	v_add3_u32 v22, v26, v46, v22
.LBB814_338:                            ; =>This Loop Header: Depth=1
                                        ;     Child Loop BB814_341 Depth 2
	v_cmp_ne_u16_sdwa s[28:29], v23, v19 src0_sel:BYTE_0 src1_sel:DWORD
	v_mov_b32_e32 v46, v22
	s_nop 0
	v_cndmask_b32_e64 v23, 0, 1, s[28:29]
	;;#ASMSTART
	;;#ASMEND
	s_nop 0
	v_cmp_ne_u32_e32 vcc, 0, v23
	s_cmp_lg_u64 vcc, exec
	s_cbranch_scc1 .LBB814_343
; %bb.339:                              ;   in Loop: Header=BB814_338 Depth=1
	v_lshl_add_u64 v[26:27], v[20:21], 3, s[30:31]
	global_load_dwordx2 v[22:23], v[26:27], off sc1
	s_waitcnt vmcnt(0)
	v_cmp_eq_u16_sdwa s[36:37], v23, v21 src0_sel:BYTE_0 src1_sel:DWORD
	s_and_saveexec_b64 s[28:29], s[36:37]
	s_cbranch_execz .LBB814_337
; %bb.340:                              ;   in Loop: Header=BB814_338 Depth=1
	s_mov_b64 s[36:37], 0
.LBB814_341:                            ;   Parent Loop BB814_338 Depth=1
                                        ; =>  This Inner Loop Header: Depth=2
	global_load_dwordx2 v[22:23], v[26:27], off sc1
	s_waitcnt vmcnt(0)
	v_cmp_ne_u16_sdwa s[38:39], v23, v21 src0_sel:BYTE_0 src1_sel:DWORD
	s_or_b64 s[36:37], s[38:39], s[36:37]
	s_andn2_b64 exec, exec, s[36:37]
	s_cbranch_execnz .LBB814_341
; %bb.342:                              ;   in Loop: Header=BB814_338 Depth=1
	s_or_b64 exec, exec, s[36:37]
	s_branch .LBB814_337
.LBB814_343:                            ;   in Loop: Header=BB814_338 Depth=1
                                        ; implicit-def: $vgpr22
                                        ; implicit-def: $vgpr23
	s_cbranch_execz .LBB814_338
; %bb.344:
	s_and_saveexec_b64 s[28:29], s[16:17]
	s_cbranch_execz .LBB814_346
; %bb.345:
	s_add_i32 s2, s2, 64
	s_mov_b32 s3, 0
	s_lshl_b64 s[2:3], s[2:3], 3
	s_add_u32 s2, s30, s2
	v_add_u32_e32 v20, v46, v18
	v_mov_b32_e32 v21, 2
	s_addc_u32 s3, s31, s3
	v_mov_b32_e32 v19, 0
	global_store_dwordx2 v19, v[20:21], s[2:3] sc1
	s_movk_i32 s2, 0x7000
	v_add_u32_e64 v19, s2, 0
	ds_write2_b32 v19, v18, v46 offset1:2
.LBB814_346:
	s_or_b64 exec, exec, s[28:29]
	v_cmp_eq_u32_e32 vcc, 0, v0
	s_and_b64 exec, exec, vcc
	s_cbranch_execz .LBB814_348
; %bb.347:
	v_mov_b32_e32 v18, 0
	ds_write_b32 v18, v46 offset:28
.LBB814_348:
	s_or_b64 exec, exec, s[26:27]
	v_mov_b32_e32 v18, 0
	s_waitcnt lgkmcnt(0)
	s_barrier
	ds_read_b32 v18, v18 offset:28
	v_cndmask_b32_e64 v19, v30, v28, s[16:17]
	v_cmp_ne_u32_e32 vcc, 0, v0
	s_movk_i32 s2, 0x7000
	s_waitcnt lgkmcnt(0)
	v_cndmask_b32_e32 v19, 0, v19, vcc
	v_add_u32_e32 v34, v18, v19
	v_add_u32_e32 v32, v34, v1
	v_add_u32_e64 v18, s2, 0
	v_add_u32_e32 v30, v32, v29
	s_barrier
	ds_read2_b32 v[18:19], v18 offset1:2
	v_add_u32_e32 v28, v30, v31
	v_add_u32_e32 v26, v28, v33
	;; [unrolled: 1-line block ×4, first 2 shown]
	s_load_dwordx2 s[2:3], s[0:1], 0x28
	v_lshrrev_b64 v[20:21], 24, v[16:17]
	s_branch .LBB814_359
.LBB814_349:
                                        ; implicit-def: $vgpr22
                                        ; implicit-def: $vgpr24
                                        ; implicit-def: $vgpr26
                                        ; implicit-def: $vgpr28
                                        ; implicit-def: $vgpr30
                                        ; implicit-def: $vgpr32
                                        ; implicit-def: $vgpr34
                                        ; implicit-def: $vgpr19
	s_load_dwordx2 s[2:3], s[0:1], 0x28
	v_lshrrev_b64 v[20:21], 24, v[16:17]
	s_cbranch_execz .LBB814_359
; %bb.350:
	s_waitcnt lgkmcnt(0)
	v_mov_b32_dpp v18, v39 row_shr:1 row_mask:0xf bank_mask:0xf
	v_cndmask_b32_e64 v18, v18, 0, s[14:15]
	v_add_u32_e32 v18, v18, v39
	s_nop 1
	v_mov_b32_dpp v19, v18 row_shr:2 row_mask:0xf bank_mask:0xf
	v_cndmask_b32_e64 v19, 0, v19, s[12:13]
	v_add_u32_e32 v18, v18, v19
	s_nop 1
	;; [unrolled: 4-line block ×4, first 2 shown]
	v_mov_b32_dpp v19, v18 row_bcast:15 row_mask:0xf bank_mask:0xf
	v_cndmask_b32_e64 v19, v19, 0, s[6:7]
	v_add_u32_e32 v18, v18, v19
	s_nop 1
	v_mov_b32_dpp v19, v18 row_bcast:31 row_mask:0xf bank_mask:0xf
	v_cndmask_b32_e64 v19, 0, v19, s[18:19]
	v_add_u32_e32 v18, v18, v19
	s_and_saveexec_b64 s[0:1], s[4:5]
	s_cbranch_execz .LBB814_352
; %bb.351:
	v_lshlrev_b32_e32 v19, 2, v38
	ds_write_b32 v19, v18
.LBB814_352:
	s_or_b64 exec, exec, s[0:1]
	v_cmp_gt_u32_e32 vcc, 8, v0
	s_waitcnt lgkmcnt(0)
	s_barrier
	s_and_saveexec_b64 s[0:1], vcc
	s_cbranch_execz .LBB814_354
; %bb.353:
	v_lshlrev_b32_e32 v19, 2, v0
	ds_read_b32 v21, v19
	v_and_b32_e32 v22, 7, v37
	v_cmp_ne_u32_e32 vcc, 0, v22
	s_waitcnt lgkmcnt(0)
	v_mov_b32_dpp v23, v21 row_shr:1 row_mask:0xf bank_mask:0xf
	v_cndmask_b32_e32 v23, 0, v23, vcc
	v_add_u32_e32 v21, v23, v21
	v_cmp_lt_u32_e32 vcc, 1, v22
	s_nop 0
	v_mov_b32_dpp v23, v21 row_shr:2 row_mask:0xf bank_mask:0xf
	v_cndmask_b32_e32 v23, 0, v23, vcc
	v_add_u32_e32 v21, v21, v23
	v_cmp_lt_u32_e32 vcc, 3, v22
	s_nop 0
	v_mov_b32_dpp v23, v21 row_shr:4 row_mask:0xf bank_mask:0xf
	v_cndmask_b32_e32 v22, 0, v23, vcc
	v_add_u32_e32 v21, v21, v22
	ds_write_b32 v19, v21
.LBB814_354:
	s_or_b64 exec, exec, s[0:1]
	v_cmp_lt_u32_e32 vcc, 63, v0
	v_mov_b32_e32 v19, 0
	v_mov_b32_e32 v21, 0
	s_waitcnt lgkmcnt(0)
	s_barrier
	s_and_saveexec_b64 s[0:1], vcc
	s_cbranch_execz .LBB814_356
; %bb.355:
	v_lshl_add_u32 v21, v38, 2, -4
	ds_read_b32 v21, v21
.LBB814_356:
	s_or_b64 exec, exec, s[0:1]
	v_add_u32_e32 v22, -1, v37
	v_and_b32_e32 v23, 64, v37
	v_cmp_lt_i32_e32 vcc, v22, v23
	s_waitcnt lgkmcnt(0)
	v_add_u32_e32 v18, v21, v18
	v_cndmask_b32_e32 v22, v22, v37, vcc
	v_lshlrev_b32_e32 v22, 2, v22
	ds_bpermute_b32 v22, v22, v18
	ds_read_b32 v18, v19 offset:28
	v_cmp_eq_u32_e32 vcc, 0, v0
	s_and_saveexec_b64 s[0:1], vcc
	s_cbranch_execz .LBB814_358
; %bb.357:
	v_mov_b32_e32 v23, 0
	v_mov_b32_e32 v19, 2
	s_waitcnt lgkmcnt(0)
	global_store_dwordx2 v23, v[18:19], s[30:31] offset:512 sc1
.LBB814_358:
	s_or_b64 exec, exec, s[0:1]
	v_cmp_eq_u32_e64 s[0:1], 0, v37
	v_mov_b32_e32 v19, 0
	s_waitcnt lgkmcnt(0)
	v_cndmask_b32_e64 v21, v22, v21, s[0:1]
	v_cndmask_b32_e64 v34, v21, 0, vcc
	v_add_u32_e32 v32, v34, v1
	v_add_u32_e32 v30, v32, v29
	;; [unrolled: 1-line block ×6, first 2 shown]
	s_barrier
.LBB814_359:
	s_movk_i32 s0, 0x201
	s_waitcnt lgkmcnt(0)
	v_cmp_gt_u32_e32 vcc, s0, v18
	v_lshrrev_b32_e32 v21, 8, v16
	v_lshrrev_b32_e32 v1, 8, v17
	s_mov_b64 s[0:1], -1
	s_cbranch_vccnz .LBB814_363
; %bb.360:
	s_and_b64 vcc, exec, s[0:1]
	s_cbranch_vccnz .LBB814_385
.LBB814_361:
	v_cmp_eq_u32_e32 vcc, 0, v0
	s_and_b64 s[0:1], vcc, s[24:25]
	s_and_saveexec_b64 s[2:3], s[0:1]
	s_cbranch_execnz .LBB814_403
.LBB814_362:
	s_endpgm
.LBB814_363:
	v_add_u32_e32 v23, v19, v18
	v_cmp_lt_u32_e32 vcc, v34, v23
	s_or_b64 s[4:5], s[34:35], vcc
	s_and_saveexec_b64 s[0:1], s[4:5]
	s_cbranch_execz .LBB814_366
; %bb.364:
	v_and_b32_e32 v25, 1, v16
	v_cmp_eq_u32_e32 vcc, 1, v25
	s_and_b64 exec, exec, vcc
	s_cbranch_execz .LBB814_366
; %bb.365:
	s_lshl_b64 s[4:5], s[22:23], 3
	s_add_u32 s4, s2, s4
	s_addc_u32 s5, s3, s5
	v_mov_b32_e32 v35, 0
	v_lshl_add_u64 v[36:37], v[34:35], 3, s[4:5]
	global_store_dwordx2 v[36:37], v[10:11], off
.LBB814_366:
	s_or_b64 exec, exec, s[0:1]
	v_cmp_lt_u32_e32 vcc, v32, v23
	s_or_b64 s[4:5], s[34:35], vcc
	s_and_saveexec_b64 s[0:1], s[4:5]
	s_cbranch_execz .LBB814_369
; %bb.367:
	v_and_b32_e32 v25, 1, v21
	v_cmp_eq_u32_e32 vcc, 1, v25
	s_and_b64 exec, exec, vcc
	s_cbranch_execz .LBB814_369
; %bb.368:
	s_lshl_b64 s[4:5], s[22:23], 3
	s_add_u32 s4, s2, s4
	s_addc_u32 s5, s3, s5
	v_mov_b32_e32 v33, 0
	v_lshl_add_u64 v[36:37], v[32:33], 3, s[4:5]
	global_store_dwordx2 v[36:37], v[12:13], off
.LBB814_369:
	s_or_b64 exec, exec, s[0:1]
	v_cmp_lt_u32_e32 vcc, v30, v23
	s_or_b64 s[4:5], s[34:35], vcc
	s_and_saveexec_b64 s[0:1], s[4:5]
	s_cbranch_execz .LBB814_372
; %bb.370:
	v_mov_b32_e32 v25, 1
	v_and_b32_sdwa v25, v25, v16 dst_sel:DWORD dst_unused:UNUSED_PAD src0_sel:DWORD src1_sel:WORD_1
	v_cmp_eq_u32_e32 vcc, 1, v25
	s_and_b64 exec, exec, vcc
	s_cbranch_execz .LBB814_372
; %bb.371:
	s_lshl_b64 s[4:5], s[22:23], 3
	s_add_u32 s4, s2, s4
	s_addc_u32 s5, s3, s5
	v_mov_b32_e32 v31, 0
	v_lshl_add_u64 v[36:37], v[30:31], 3, s[4:5]
	global_store_dwordx2 v[36:37], v[6:7], off
.LBB814_372:
	s_or_b64 exec, exec, s[0:1]
	v_cmp_lt_u32_e32 vcc, v28, v23
	s_or_b64 s[4:5], s[34:35], vcc
	s_and_saveexec_b64 s[0:1], s[4:5]
	s_cbranch_execz .LBB814_375
; %bb.373:
	v_and_b32_e32 v25, 1, v20
	v_cmp_eq_u32_e32 vcc, 1, v25
	s_and_b64 exec, exec, vcc
	s_cbranch_execz .LBB814_375
; %bb.374:
	s_lshl_b64 s[4:5], s[22:23], 3
	s_add_u32 s4, s2, s4
	s_addc_u32 s5, s3, s5
	v_mov_b32_e32 v29, 0
	v_lshl_add_u64 v[36:37], v[28:29], 3, s[4:5]
	global_store_dwordx2 v[36:37], v[8:9], off
.LBB814_375:
	s_or_b64 exec, exec, s[0:1]
	v_cmp_lt_u32_e32 vcc, v26, v23
	s_or_b64 s[4:5], s[34:35], vcc
	s_and_saveexec_b64 s[0:1], s[4:5]
	s_cbranch_execz .LBB814_378
; %bb.376:
	v_and_b32_e32 v25, 1, v17
	v_cmp_eq_u32_e32 vcc, 1, v25
	s_and_b64 exec, exec, vcc
	s_cbranch_execz .LBB814_378
; %bb.377:
	s_lshl_b64 s[4:5], s[22:23], 3
	s_add_u32 s4, s2, s4
	s_addc_u32 s5, s3, s5
	v_mov_b32_e32 v27, 0
	v_lshl_add_u64 v[36:37], v[26:27], 3, s[4:5]
	global_store_dwordx2 v[36:37], v[2:3], off
.LBB814_378:
	;; [unrolled: 18-line block ×3, first 2 shown]
	s_or_b64 exec, exec, s[0:1]
	v_cmp_lt_u32_e32 vcc, v22, v23
	s_or_b64 s[4:5], s[34:35], vcc
	s_and_saveexec_b64 s[0:1], s[4:5]
	s_cbranch_execz .LBB814_384
; %bb.382:
	v_mov_b32_e32 v23, 1
	v_and_b32_sdwa v23, v23, v17 dst_sel:DWORD dst_unused:UNUSED_PAD src0_sel:DWORD src1_sel:WORD_1
	v_cmp_eq_u32_e32 vcc, 1, v23
	s_and_b64 exec, exec, vcc
	s_cbranch_execz .LBB814_384
; %bb.383:
	s_lshl_b64 s[4:5], s[22:23], 3
	s_add_u32 s4, s2, s4
	s_addc_u32 s5, s3, s5
	v_mov_b32_e32 v23, 0
	v_lshl_add_u64 v[36:37], v[22:23], 3, s[4:5]
	global_store_dwordx2 v[36:37], v[14:15], off
.LBB814_384:
	s_or_b64 exec, exec, s[0:1]
	s_branch .LBB814_361
.LBB814_385:
	v_and_b32_e32 v23, 1, v16
	v_cmp_eq_u32_e32 vcc, 1, v23
	s_and_saveexec_b64 s[0:1], vcc
	s_cbranch_execz .LBB814_387
; %bb.386:
	v_sub_u32_e32 v23, v34, v19
	v_lshlrev_b32_e32 v23, 3, v23
	ds_write_b64 v23, v[10:11]
.LBB814_387:
	s_or_b64 exec, exec, s[0:1]
	v_and_b32_e32 v10, 1, v21
	v_cmp_eq_u32_e32 vcc, 1, v10
	s_and_saveexec_b64 s[0:1], vcc
	s_cbranch_execz .LBB814_389
; %bb.388:
	v_sub_u32_e32 v10, v32, v19
	v_lshlrev_b32_e32 v10, 3, v10
	ds_write_b64 v10, v[12:13]
.LBB814_389:
	s_or_b64 exec, exec, s[0:1]
	v_mov_b32_e32 v10, 1
	v_and_b32_sdwa v10, v10, v16 dst_sel:DWORD dst_unused:UNUSED_PAD src0_sel:DWORD src1_sel:WORD_1
	v_cmp_eq_u32_e32 vcc, 1, v10
	s_and_saveexec_b64 s[0:1], vcc
	s_cbranch_execz .LBB814_391
; %bb.390:
	v_sub_u32_e32 v10, v30, v19
	v_lshlrev_b32_e32 v10, 3, v10
	ds_write_b64 v10, v[6:7]
.LBB814_391:
	s_or_b64 exec, exec, s[0:1]
	v_and_b32_e32 v6, 1, v20
	v_cmp_eq_u32_e32 vcc, 1, v6
	s_and_saveexec_b64 s[0:1], vcc
	s_cbranch_execz .LBB814_393
; %bb.392:
	v_sub_u32_e32 v6, v28, v19
	v_lshlrev_b32_e32 v6, 3, v6
	ds_write_b64 v6, v[8:9]
.LBB814_393:
	s_or_b64 exec, exec, s[0:1]
	v_and_b32_e32 v6, 1, v17
	;; [unrolled: 10-line block ×3, first 2 shown]
	v_cmp_eq_u32_e32 vcc, 1, v1
	s_and_saveexec_b64 s[0:1], vcc
	s_cbranch_execz .LBB814_397
; %bb.396:
	v_sub_u32_e32 v1, v24, v19
	v_lshlrev_b32_e32 v1, 3, v1
	ds_write_b64 v1, v[4:5]
.LBB814_397:
	s_or_b64 exec, exec, s[0:1]
	v_mov_b32_e32 v1, 1
	v_and_b32_sdwa v1, v1, v17 dst_sel:DWORD dst_unused:UNUSED_PAD src0_sel:DWORD src1_sel:WORD_1
	v_cmp_eq_u32_e32 vcc, 1, v1
	s_and_saveexec_b64 s[0:1], vcc
	s_cbranch_execz .LBB814_399
; %bb.398:
	v_sub_u32_e32 v1, v22, v19
	v_lshlrev_b32_e32 v1, 3, v1
	ds_write_b64 v1, v[14:15]
.LBB814_399:
	s_or_b64 exec, exec, s[0:1]
	v_cmp_lt_u32_e32 vcc, v0, v18
	s_waitcnt lgkmcnt(0)
	s_barrier
	s_and_saveexec_b64 s[0:1], vcc
	s_cbranch_execz .LBB814_402
; %bb.400:
	v_mov_b32_e32 v5, 0
	v_mov_b32_e32 v4, v19
	s_lshl_b64 s[4:5], s[22:23], 3
	v_lshlrev_b64 v[6:7], 3, v[4:5]
	v_lshl_add_u64 v[6:7], s[4:5], 0, v[6:7]
	v_lshlrev_b32_e32 v2, 3, v0
	v_mov_b32_e32 v3, v5
	v_lshl_add_u64 v[4:5], s[2:3], 0, v[6:7]
	v_lshl_add_u64 v[4:5], v[4:5], 0, v[2:3]
	s_mov_b64 s[2:3], 0
	s_mov_b64 s[4:5], 0x1000
	v_mov_b32_e32 v1, v0
.LBB814_401:                            ; =>This Inner Loop Header: Depth=1
	ds_read_b64 v[6:7], v2
	v_add_u32_e32 v1, 0x200, v1
	v_cmp_ge_u32_e32 vcc, v1, v18
	v_add_u32_e32 v2, 0x1000, v2
	s_or_b64 s[2:3], vcc, s[2:3]
	s_waitcnt lgkmcnt(0)
	global_store_dwordx2 v[4:5], v[6:7], off
	v_lshl_add_u64 v[4:5], v[4:5], 0, s[4:5]
	s_andn2_b64 exec, exec, s[2:3]
	s_cbranch_execnz .LBB814_401
.LBB814_402:
	s_or_b64 exec, exec, s[0:1]
	v_cmp_eq_u32_e32 vcc, 0, v0
	s_and_b64 s[0:1], vcc, s[24:25]
	s_and_saveexec_b64 s[2:3], s[0:1]
	s_cbranch_execz .LBB814_362
.LBB814_403:
	v_mov_b32_e32 v1, 0
	v_mov_b32_e32 v0, v18
	v_lshl_add_u64 v[2:3], s[22:23], 0, v[0:1]
	v_mov_b32_e32 v0, v19
	v_lshl_add_u64 v[2:3], v[2:3], 0, v[0:1]
	global_store_dwordx2 v1, v[2:3], s[20:21]
	s_endpgm
	.section	.rodata,"a",@progbits
	.p2align	6, 0x0
	.amdhsa_kernel _ZN7rocprim17ROCPRIM_400000_NS6detail17trampoline_kernelINS0_14default_configENS1_25partition_config_selectorILNS1_17partition_subalgoE8ElNS0_10empty_typeEbEEZZNS1_14partition_implILS5_8ELb0ES3_jPlPS6_PKS6_NS0_5tupleIJS9_S6_EEENSD_IJSA_SA_EEENS0_18inequality_wrapperIZN2at6native12_GLOBAL__N_124unique_dim_cuda_templateIdEESt5tupleIJNSH_6TensorESM_SM_EERKSM_lbbbEUlllE0_EEPmJS6_EEE10hipError_tPvRmT3_T4_T5_T6_T7_T9_mT8_P12ihipStream_tbDpT10_ENKUlT_T0_E_clISt17integral_constantIbLb0EES1C_EEDaS17_S18_EUlS17_E_NS1_11comp_targetILNS1_3genE5ELNS1_11target_archE942ELNS1_3gpuE9ELNS1_3repE0EEENS1_30default_config_static_selectorELNS0_4arch9wavefront6targetE1EEEvT1_
		.amdhsa_group_segment_fixed_size 28684
		.amdhsa_private_segment_fixed_size 0
		.amdhsa_kernarg_size 120
		.amdhsa_user_sgpr_count 2
		.amdhsa_user_sgpr_dispatch_ptr 0
		.amdhsa_user_sgpr_queue_ptr 0
		.amdhsa_user_sgpr_kernarg_segment_ptr 1
		.amdhsa_user_sgpr_dispatch_id 0
		.amdhsa_user_sgpr_kernarg_preload_length 0
		.amdhsa_user_sgpr_kernarg_preload_offset 0
		.amdhsa_user_sgpr_private_segment_size 0
		.amdhsa_uses_dynamic_stack 0
		.amdhsa_enable_private_segment 0
		.amdhsa_system_sgpr_workgroup_id_x 1
		.amdhsa_system_sgpr_workgroup_id_y 0
		.amdhsa_system_sgpr_workgroup_id_z 0
		.amdhsa_system_sgpr_workgroup_info 0
		.amdhsa_system_vgpr_workitem_id 0
		.amdhsa_next_free_vgpr 52
		.amdhsa_next_free_sgpr 52
		.amdhsa_accum_offset 52
		.amdhsa_reserve_vcc 1
		.amdhsa_float_round_mode_32 0
		.amdhsa_float_round_mode_16_64 0
		.amdhsa_float_denorm_mode_32 3
		.amdhsa_float_denorm_mode_16_64 3
		.amdhsa_dx10_clamp 1
		.amdhsa_ieee_mode 1
		.amdhsa_fp16_overflow 0
		.amdhsa_tg_split 0
		.amdhsa_exception_fp_ieee_invalid_op 0
		.amdhsa_exception_fp_denorm_src 0
		.amdhsa_exception_fp_ieee_div_zero 0
		.amdhsa_exception_fp_ieee_overflow 0
		.amdhsa_exception_fp_ieee_underflow 0
		.amdhsa_exception_fp_ieee_inexact 0
		.amdhsa_exception_int_div_zero 0
	.end_amdhsa_kernel
	.section	.text._ZN7rocprim17ROCPRIM_400000_NS6detail17trampoline_kernelINS0_14default_configENS1_25partition_config_selectorILNS1_17partition_subalgoE8ElNS0_10empty_typeEbEEZZNS1_14partition_implILS5_8ELb0ES3_jPlPS6_PKS6_NS0_5tupleIJS9_S6_EEENSD_IJSA_SA_EEENS0_18inequality_wrapperIZN2at6native12_GLOBAL__N_124unique_dim_cuda_templateIdEESt5tupleIJNSH_6TensorESM_SM_EERKSM_lbbbEUlllE0_EEPmJS6_EEE10hipError_tPvRmT3_T4_T5_T6_T7_T9_mT8_P12ihipStream_tbDpT10_ENKUlT_T0_E_clISt17integral_constantIbLb0EES1C_EEDaS17_S18_EUlS17_E_NS1_11comp_targetILNS1_3genE5ELNS1_11target_archE942ELNS1_3gpuE9ELNS1_3repE0EEENS1_30default_config_static_selectorELNS0_4arch9wavefront6targetE1EEEvT1_,"axG",@progbits,_ZN7rocprim17ROCPRIM_400000_NS6detail17trampoline_kernelINS0_14default_configENS1_25partition_config_selectorILNS1_17partition_subalgoE8ElNS0_10empty_typeEbEEZZNS1_14partition_implILS5_8ELb0ES3_jPlPS6_PKS6_NS0_5tupleIJS9_S6_EEENSD_IJSA_SA_EEENS0_18inequality_wrapperIZN2at6native12_GLOBAL__N_124unique_dim_cuda_templateIdEESt5tupleIJNSH_6TensorESM_SM_EERKSM_lbbbEUlllE0_EEPmJS6_EEE10hipError_tPvRmT3_T4_T5_T6_T7_T9_mT8_P12ihipStream_tbDpT10_ENKUlT_T0_E_clISt17integral_constantIbLb0EES1C_EEDaS17_S18_EUlS17_E_NS1_11comp_targetILNS1_3genE5ELNS1_11target_archE942ELNS1_3gpuE9ELNS1_3repE0EEENS1_30default_config_static_selectorELNS0_4arch9wavefront6targetE1EEEvT1_,comdat
.Lfunc_end814:
	.size	_ZN7rocprim17ROCPRIM_400000_NS6detail17trampoline_kernelINS0_14default_configENS1_25partition_config_selectorILNS1_17partition_subalgoE8ElNS0_10empty_typeEbEEZZNS1_14partition_implILS5_8ELb0ES3_jPlPS6_PKS6_NS0_5tupleIJS9_S6_EEENSD_IJSA_SA_EEENS0_18inequality_wrapperIZN2at6native12_GLOBAL__N_124unique_dim_cuda_templateIdEESt5tupleIJNSH_6TensorESM_SM_EERKSM_lbbbEUlllE0_EEPmJS6_EEE10hipError_tPvRmT3_T4_T5_T6_T7_T9_mT8_P12ihipStream_tbDpT10_ENKUlT_T0_E_clISt17integral_constantIbLb0EES1C_EEDaS17_S18_EUlS17_E_NS1_11comp_targetILNS1_3genE5ELNS1_11target_archE942ELNS1_3gpuE9ELNS1_3repE0EEENS1_30default_config_static_selectorELNS0_4arch9wavefront6targetE1EEEvT1_, .Lfunc_end814-_ZN7rocprim17ROCPRIM_400000_NS6detail17trampoline_kernelINS0_14default_configENS1_25partition_config_selectorILNS1_17partition_subalgoE8ElNS0_10empty_typeEbEEZZNS1_14partition_implILS5_8ELb0ES3_jPlPS6_PKS6_NS0_5tupleIJS9_S6_EEENSD_IJSA_SA_EEENS0_18inequality_wrapperIZN2at6native12_GLOBAL__N_124unique_dim_cuda_templateIdEESt5tupleIJNSH_6TensorESM_SM_EERKSM_lbbbEUlllE0_EEPmJS6_EEE10hipError_tPvRmT3_T4_T5_T6_T7_T9_mT8_P12ihipStream_tbDpT10_ENKUlT_T0_E_clISt17integral_constantIbLb0EES1C_EEDaS17_S18_EUlS17_E_NS1_11comp_targetILNS1_3genE5ELNS1_11target_archE942ELNS1_3gpuE9ELNS1_3repE0EEENS1_30default_config_static_selectorELNS0_4arch9wavefront6targetE1EEEvT1_
                                        ; -- End function
	.section	.AMDGPU.csdata,"",@progbits
; Kernel info:
; codeLenInByte = 12836
; NumSgprs: 58
; NumVgprs: 52
; NumAgprs: 0
; TotalNumVgprs: 52
; ScratchSize: 0
; MemoryBound: 1
; FloatMode: 240
; IeeeMode: 1
; LDSByteSize: 28684 bytes/workgroup (compile time only)
; SGPRBlocks: 7
; VGPRBlocks: 6
; NumSGPRsForWavesPerEU: 58
; NumVGPRsForWavesPerEU: 52
; AccumOffset: 52
; Occupancy: 4
; WaveLimiterHint : 1
; COMPUTE_PGM_RSRC2:SCRATCH_EN: 0
; COMPUTE_PGM_RSRC2:USER_SGPR: 2
; COMPUTE_PGM_RSRC2:TRAP_HANDLER: 0
; COMPUTE_PGM_RSRC2:TGID_X_EN: 1
; COMPUTE_PGM_RSRC2:TGID_Y_EN: 0
; COMPUTE_PGM_RSRC2:TGID_Z_EN: 0
; COMPUTE_PGM_RSRC2:TIDIG_COMP_CNT: 0
; COMPUTE_PGM_RSRC3_GFX90A:ACCUM_OFFSET: 12
; COMPUTE_PGM_RSRC3_GFX90A:TG_SPLIT: 0
	.section	.text._ZN7rocprim17ROCPRIM_400000_NS6detail17trampoline_kernelINS0_14default_configENS1_25partition_config_selectorILNS1_17partition_subalgoE8ElNS0_10empty_typeEbEEZZNS1_14partition_implILS5_8ELb0ES3_jPlPS6_PKS6_NS0_5tupleIJS9_S6_EEENSD_IJSA_SA_EEENS0_18inequality_wrapperIZN2at6native12_GLOBAL__N_124unique_dim_cuda_templateIdEESt5tupleIJNSH_6TensorESM_SM_EERKSM_lbbbEUlllE0_EEPmJS6_EEE10hipError_tPvRmT3_T4_T5_T6_T7_T9_mT8_P12ihipStream_tbDpT10_ENKUlT_T0_E_clISt17integral_constantIbLb0EES1C_EEDaS17_S18_EUlS17_E_NS1_11comp_targetILNS1_3genE4ELNS1_11target_archE910ELNS1_3gpuE8ELNS1_3repE0EEENS1_30default_config_static_selectorELNS0_4arch9wavefront6targetE1EEEvT1_,"axG",@progbits,_ZN7rocprim17ROCPRIM_400000_NS6detail17trampoline_kernelINS0_14default_configENS1_25partition_config_selectorILNS1_17partition_subalgoE8ElNS0_10empty_typeEbEEZZNS1_14partition_implILS5_8ELb0ES3_jPlPS6_PKS6_NS0_5tupleIJS9_S6_EEENSD_IJSA_SA_EEENS0_18inequality_wrapperIZN2at6native12_GLOBAL__N_124unique_dim_cuda_templateIdEESt5tupleIJNSH_6TensorESM_SM_EERKSM_lbbbEUlllE0_EEPmJS6_EEE10hipError_tPvRmT3_T4_T5_T6_T7_T9_mT8_P12ihipStream_tbDpT10_ENKUlT_T0_E_clISt17integral_constantIbLb0EES1C_EEDaS17_S18_EUlS17_E_NS1_11comp_targetILNS1_3genE4ELNS1_11target_archE910ELNS1_3gpuE8ELNS1_3repE0EEENS1_30default_config_static_selectorELNS0_4arch9wavefront6targetE1EEEvT1_,comdat
	.globl	_ZN7rocprim17ROCPRIM_400000_NS6detail17trampoline_kernelINS0_14default_configENS1_25partition_config_selectorILNS1_17partition_subalgoE8ElNS0_10empty_typeEbEEZZNS1_14partition_implILS5_8ELb0ES3_jPlPS6_PKS6_NS0_5tupleIJS9_S6_EEENSD_IJSA_SA_EEENS0_18inequality_wrapperIZN2at6native12_GLOBAL__N_124unique_dim_cuda_templateIdEESt5tupleIJNSH_6TensorESM_SM_EERKSM_lbbbEUlllE0_EEPmJS6_EEE10hipError_tPvRmT3_T4_T5_T6_T7_T9_mT8_P12ihipStream_tbDpT10_ENKUlT_T0_E_clISt17integral_constantIbLb0EES1C_EEDaS17_S18_EUlS17_E_NS1_11comp_targetILNS1_3genE4ELNS1_11target_archE910ELNS1_3gpuE8ELNS1_3repE0EEENS1_30default_config_static_selectorELNS0_4arch9wavefront6targetE1EEEvT1_ ; -- Begin function _ZN7rocprim17ROCPRIM_400000_NS6detail17trampoline_kernelINS0_14default_configENS1_25partition_config_selectorILNS1_17partition_subalgoE8ElNS0_10empty_typeEbEEZZNS1_14partition_implILS5_8ELb0ES3_jPlPS6_PKS6_NS0_5tupleIJS9_S6_EEENSD_IJSA_SA_EEENS0_18inequality_wrapperIZN2at6native12_GLOBAL__N_124unique_dim_cuda_templateIdEESt5tupleIJNSH_6TensorESM_SM_EERKSM_lbbbEUlllE0_EEPmJS6_EEE10hipError_tPvRmT3_T4_T5_T6_T7_T9_mT8_P12ihipStream_tbDpT10_ENKUlT_T0_E_clISt17integral_constantIbLb0EES1C_EEDaS17_S18_EUlS17_E_NS1_11comp_targetILNS1_3genE4ELNS1_11target_archE910ELNS1_3gpuE8ELNS1_3repE0EEENS1_30default_config_static_selectorELNS0_4arch9wavefront6targetE1EEEvT1_
	.p2align	8
	.type	_ZN7rocprim17ROCPRIM_400000_NS6detail17trampoline_kernelINS0_14default_configENS1_25partition_config_selectorILNS1_17partition_subalgoE8ElNS0_10empty_typeEbEEZZNS1_14partition_implILS5_8ELb0ES3_jPlPS6_PKS6_NS0_5tupleIJS9_S6_EEENSD_IJSA_SA_EEENS0_18inequality_wrapperIZN2at6native12_GLOBAL__N_124unique_dim_cuda_templateIdEESt5tupleIJNSH_6TensorESM_SM_EERKSM_lbbbEUlllE0_EEPmJS6_EEE10hipError_tPvRmT3_T4_T5_T6_T7_T9_mT8_P12ihipStream_tbDpT10_ENKUlT_T0_E_clISt17integral_constantIbLb0EES1C_EEDaS17_S18_EUlS17_E_NS1_11comp_targetILNS1_3genE4ELNS1_11target_archE910ELNS1_3gpuE8ELNS1_3repE0EEENS1_30default_config_static_selectorELNS0_4arch9wavefront6targetE1EEEvT1_,@function
_ZN7rocprim17ROCPRIM_400000_NS6detail17trampoline_kernelINS0_14default_configENS1_25partition_config_selectorILNS1_17partition_subalgoE8ElNS0_10empty_typeEbEEZZNS1_14partition_implILS5_8ELb0ES3_jPlPS6_PKS6_NS0_5tupleIJS9_S6_EEENSD_IJSA_SA_EEENS0_18inequality_wrapperIZN2at6native12_GLOBAL__N_124unique_dim_cuda_templateIdEESt5tupleIJNSH_6TensorESM_SM_EERKSM_lbbbEUlllE0_EEPmJS6_EEE10hipError_tPvRmT3_T4_T5_T6_T7_T9_mT8_P12ihipStream_tbDpT10_ENKUlT_T0_E_clISt17integral_constantIbLb0EES1C_EEDaS17_S18_EUlS17_E_NS1_11comp_targetILNS1_3genE4ELNS1_11target_archE910ELNS1_3gpuE8ELNS1_3repE0EEENS1_30default_config_static_selectorELNS0_4arch9wavefront6targetE1EEEvT1_: ; @_ZN7rocprim17ROCPRIM_400000_NS6detail17trampoline_kernelINS0_14default_configENS1_25partition_config_selectorILNS1_17partition_subalgoE8ElNS0_10empty_typeEbEEZZNS1_14partition_implILS5_8ELb0ES3_jPlPS6_PKS6_NS0_5tupleIJS9_S6_EEENSD_IJSA_SA_EEENS0_18inequality_wrapperIZN2at6native12_GLOBAL__N_124unique_dim_cuda_templateIdEESt5tupleIJNSH_6TensorESM_SM_EERKSM_lbbbEUlllE0_EEPmJS6_EEE10hipError_tPvRmT3_T4_T5_T6_T7_T9_mT8_P12ihipStream_tbDpT10_ENKUlT_T0_E_clISt17integral_constantIbLb0EES1C_EEDaS17_S18_EUlS17_E_NS1_11comp_targetILNS1_3genE4ELNS1_11target_archE910ELNS1_3gpuE8ELNS1_3repE0EEENS1_30default_config_static_selectorELNS0_4arch9wavefront6targetE1EEEvT1_
; %bb.0:
	.section	.rodata,"a",@progbits
	.p2align	6, 0x0
	.amdhsa_kernel _ZN7rocprim17ROCPRIM_400000_NS6detail17trampoline_kernelINS0_14default_configENS1_25partition_config_selectorILNS1_17partition_subalgoE8ElNS0_10empty_typeEbEEZZNS1_14partition_implILS5_8ELb0ES3_jPlPS6_PKS6_NS0_5tupleIJS9_S6_EEENSD_IJSA_SA_EEENS0_18inequality_wrapperIZN2at6native12_GLOBAL__N_124unique_dim_cuda_templateIdEESt5tupleIJNSH_6TensorESM_SM_EERKSM_lbbbEUlllE0_EEPmJS6_EEE10hipError_tPvRmT3_T4_T5_T6_T7_T9_mT8_P12ihipStream_tbDpT10_ENKUlT_T0_E_clISt17integral_constantIbLb0EES1C_EEDaS17_S18_EUlS17_E_NS1_11comp_targetILNS1_3genE4ELNS1_11target_archE910ELNS1_3gpuE8ELNS1_3repE0EEENS1_30default_config_static_selectorELNS0_4arch9wavefront6targetE1EEEvT1_
		.amdhsa_group_segment_fixed_size 0
		.amdhsa_private_segment_fixed_size 0
		.amdhsa_kernarg_size 120
		.amdhsa_user_sgpr_count 2
		.amdhsa_user_sgpr_dispatch_ptr 0
		.amdhsa_user_sgpr_queue_ptr 0
		.amdhsa_user_sgpr_kernarg_segment_ptr 1
		.amdhsa_user_sgpr_dispatch_id 0
		.amdhsa_user_sgpr_kernarg_preload_length 0
		.amdhsa_user_sgpr_kernarg_preload_offset 0
		.amdhsa_user_sgpr_private_segment_size 0
		.amdhsa_uses_dynamic_stack 0
		.amdhsa_enable_private_segment 0
		.amdhsa_system_sgpr_workgroup_id_x 1
		.amdhsa_system_sgpr_workgroup_id_y 0
		.amdhsa_system_sgpr_workgroup_id_z 0
		.amdhsa_system_sgpr_workgroup_info 0
		.amdhsa_system_vgpr_workitem_id 0
		.amdhsa_next_free_vgpr 1
		.amdhsa_next_free_sgpr 0
		.amdhsa_accum_offset 4
		.amdhsa_reserve_vcc 0
		.amdhsa_float_round_mode_32 0
		.amdhsa_float_round_mode_16_64 0
		.amdhsa_float_denorm_mode_32 3
		.amdhsa_float_denorm_mode_16_64 3
		.amdhsa_dx10_clamp 1
		.amdhsa_ieee_mode 1
		.amdhsa_fp16_overflow 0
		.amdhsa_tg_split 0
		.amdhsa_exception_fp_ieee_invalid_op 0
		.amdhsa_exception_fp_denorm_src 0
		.amdhsa_exception_fp_ieee_div_zero 0
		.amdhsa_exception_fp_ieee_overflow 0
		.amdhsa_exception_fp_ieee_underflow 0
		.amdhsa_exception_fp_ieee_inexact 0
		.amdhsa_exception_int_div_zero 0
	.end_amdhsa_kernel
	.section	.text._ZN7rocprim17ROCPRIM_400000_NS6detail17trampoline_kernelINS0_14default_configENS1_25partition_config_selectorILNS1_17partition_subalgoE8ElNS0_10empty_typeEbEEZZNS1_14partition_implILS5_8ELb0ES3_jPlPS6_PKS6_NS0_5tupleIJS9_S6_EEENSD_IJSA_SA_EEENS0_18inequality_wrapperIZN2at6native12_GLOBAL__N_124unique_dim_cuda_templateIdEESt5tupleIJNSH_6TensorESM_SM_EERKSM_lbbbEUlllE0_EEPmJS6_EEE10hipError_tPvRmT3_T4_T5_T6_T7_T9_mT8_P12ihipStream_tbDpT10_ENKUlT_T0_E_clISt17integral_constantIbLb0EES1C_EEDaS17_S18_EUlS17_E_NS1_11comp_targetILNS1_3genE4ELNS1_11target_archE910ELNS1_3gpuE8ELNS1_3repE0EEENS1_30default_config_static_selectorELNS0_4arch9wavefront6targetE1EEEvT1_,"axG",@progbits,_ZN7rocprim17ROCPRIM_400000_NS6detail17trampoline_kernelINS0_14default_configENS1_25partition_config_selectorILNS1_17partition_subalgoE8ElNS0_10empty_typeEbEEZZNS1_14partition_implILS5_8ELb0ES3_jPlPS6_PKS6_NS0_5tupleIJS9_S6_EEENSD_IJSA_SA_EEENS0_18inequality_wrapperIZN2at6native12_GLOBAL__N_124unique_dim_cuda_templateIdEESt5tupleIJNSH_6TensorESM_SM_EERKSM_lbbbEUlllE0_EEPmJS6_EEE10hipError_tPvRmT3_T4_T5_T6_T7_T9_mT8_P12ihipStream_tbDpT10_ENKUlT_T0_E_clISt17integral_constantIbLb0EES1C_EEDaS17_S18_EUlS17_E_NS1_11comp_targetILNS1_3genE4ELNS1_11target_archE910ELNS1_3gpuE8ELNS1_3repE0EEENS1_30default_config_static_selectorELNS0_4arch9wavefront6targetE1EEEvT1_,comdat
.Lfunc_end815:
	.size	_ZN7rocprim17ROCPRIM_400000_NS6detail17trampoline_kernelINS0_14default_configENS1_25partition_config_selectorILNS1_17partition_subalgoE8ElNS0_10empty_typeEbEEZZNS1_14partition_implILS5_8ELb0ES3_jPlPS6_PKS6_NS0_5tupleIJS9_S6_EEENSD_IJSA_SA_EEENS0_18inequality_wrapperIZN2at6native12_GLOBAL__N_124unique_dim_cuda_templateIdEESt5tupleIJNSH_6TensorESM_SM_EERKSM_lbbbEUlllE0_EEPmJS6_EEE10hipError_tPvRmT3_T4_T5_T6_T7_T9_mT8_P12ihipStream_tbDpT10_ENKUlT_T0_E_clISt17integral_constantIbLb0EES1C_EEDaS17_S18_EUlS17_E_NS1_11comp_targetILNS1_3genE4ELNS1_11target_archE910ELNS1_3gpuE8ELNS1_3repE0EEENS1_30default_config_static_selectorELNS0_4arch9wavefront6targetE1EEEvT1_, .Lfunc_end815-_ZN7rocprim17ROCPRIM_400000_NS6detail17trampoline_kernelINS0_14default_configENS1_25partition_config_selectorILNS1_17partition_subalgoE8ElNS0_10empty_typeEbEEZZNS1_14partition_implILS5_8ELb0ES3_jPlPS6_PKS6_NS0_5tupleIJS9_S6_EEENSD_IJSA_SA_EEENS0_18inequality_wrapperIZN2at6native12_GLOBAL__N_124unique_dim_cuda_templateIdEESt5tupleIJNSH_6TensorESM_SM_EERKSM_lbbbEUlllE0_EEPmJS6_EEE10hipError_tPvRmT3_T4_T5_T6_T7_T9_mT8_P12ihipStream_tbDpT10_ENKUlT_T0_E_clISt17integral_constantIbLb0EES1C_EEDaS17_S18_EUlS17_E_NS1_11comp_targetILNS1_3genE4ELNS1_11target_archE910ELNS1_3gpuE8ELNS1_3repE0EEENS1_30default_config_static_selectorELNS0_4arch9wavefront6targetE1EEEvT1_
                                        ; -- End function
	.section	.AMDGPU.csdata,"",@progbits
; Kernel info:
; codeLenInByte = 0
; NumSgprs: 6
; NumVgprs: 0
; NumAgprs: 0
; TotalNumVgprs: 0
; ScratchSize: 0
; MemoryBound: 0
; FloatMode: 240
; IeeeMode: 1
; LDSByteSize: 0 bytes/workgroup (compile time only)
; SGPRBlocks: 0
; VGPRBlocks: 0
; NumSGPRsForWavesPerEU: 6
; NumVGPRsForWavesPerEU: 1
; AccumOffset: 4
; Occupancy: 8
; WaveLimiterHint : 0
; COMPUTE_PGM_RSRC2:SCRATCH_EN: 0
; COMPUTE_PGM_RSRC2:USER_SGPR: 2
; COMPUTE_PGM_RSRC2:TRAP_HANDLER: 0
; COMPUTE_PGM_RSRC2:TGID_X_EN: 1
; COMPUTE_PGM_RSRC2:TGID_Y_EN: 0
; COMPUTE_PGM_RSRC2:TGID_Z_EN: 0
; COMPUTE_PGM_RSRC2:TIDIG_COMP_CNT: 0
; COMPUTE_PGM_RSRC3_GFX90A:ACCUM_OFFSET: 0
; COMPUTE_PGM_RSRC3_GFX90A:TG_SPLIT: 0
	.section	.text._ZN7rocprim17ROCPRIM_400000_NS6detail17trampoline_kernelINS0_14default_configENS1_25partition_config_selectorILNS1_17partition_subalgoE8ElNS0_10empty_typeEbEEZZNS1_14partition_implILS5_8ELb0ES3_jPlPS6_PKS6_NS0_5tupleIJS9_S6_EEENSD_IJSA_SA_EEENS0_18inequality_wrapperIZN2at6native12_GLOBAL__N_124unique_dim_cuda_templateIdEESt5tupleIJNSH_6TensorESM_SM_EERKSM_lbbbEUlllE0_EEPmJS6_EEE10hipError_tPvRmT3_T4_T5_T6_T7_T9_mT8_P12ihipStream_tbDpT10_ENKUlT_T0_E_clISt17integral_constantIbLb0EES1C_EEDaS17_S18_EUlS17_E_NS1_11comp_targetILNS1_3genE3ELNS1_11target_archE908ELNS1_3gpuE7ELNS1_3repE0EEENS1_30default_config_static_selectorELNS0_4arch9wavefront6targetE1EEEvT1_,"axG",@progbits,_ZN7rocprim17ROCPRIM_400000_NS6detail17trampoline_kernelINS0_14default_configENS1_25partition_config_selectorILNS1_17partition_subalgoE8ElNS0_10empty_typeEbEEZZNS1_14partition_implILS5_8ELb0ES3_jPlPS6_PKS6_NS0_5tupleIJS9_S6_EEENSD_IJSA_SA_EEENS0_18inequality_wrapperIZN2at6native12_GLOBAL__N_124unique_dim_cuda_templateIdEESt5tupleIJNSH_6TensorESM_SM_EERKSM_lbbbEUlllE0_EEPmJS6_EEE10hipError_tPvRmT3_T4_T5_T6_T7_T9_mT8_P12ihipStream_tbDpT10_ENKUlT_T0_E_clISt17integral_constantIbLb0EES1C_EEDaS17_S18_EUlS17_E_NS1_11comp_targetILNS1_3genE3ELNS1_11target_archE908ELNS1_3gpuE7ELNS1_3repE0EEENS1_30default_config_static_selectorELNS0_4arch9wavefront6targetE1EEEvT1_,comdat
	.globl	_ZN7rocprim17ROCPRIM_400000_NS6detail17trampoline_kernelINS0_14default_configENS1_25partition_config_selectorILNS1_17partition_subalgoE8ElNS0_10empty_typeEbEEZZNS1_14partition_implILS5_8ELb0ES3_jPlPS6_PKS6_NS0_5tupleIJS9_S6_EEENSD_IJSA_SA_EEENS0_18inequality_wrapperIZN2at6native12_GLOBAL__N_124unique_dim_cuda_templateIdEESt5tupleIJNSH_6TensorESM_SM_EERKSM_lbbbEUlllE0_EEPmJS6_EEE10hipError_tPvRmT3_T4_T5_T6_T7_T9_mT8_P12ihipStream_tbDpT10_ENKUlT_T0_E_clISt17integral_constantIbLb0EES1C_EEDaS17_S18_EUlS17_E_NS1_11comp_targetILNS1_3genE3ELNS1_11target_archE908ELNS1_3gpuE7ELNS1_3repE0EEENS1_30default_config_static_selectorELNS0_4arch9wavefront6targetE1EEEvT1_ ; -- Begin function _ZN7rocprim17ROCPRIM_400000_NS6detail17trampoline_kernelINS0_14default_configENS1_25partition_config_selectorILNS1_17partition_subalgoE8ElNS0_10empty_typeEbEEZZNS1_14partition_implILS5_8ELb0ES3_jPlPS6_PKS6_NS0_5tupleIJS9_S6_EEENSD_IJSA_SA_EEENS0_18inequality_wrapperIZN2at6native12_GLOBAL__N_124unique_dim_cuda_templateIdEESt5tupleIJNSH_6TensorESM_SM_EERKSM_lbbbEUlllE0_EEPmJS6_EEE10hipError_tPvRmT3_T4_T5_T6_T7_T9_mT8_P12ihipStream_tbDpT10_ENKUlT_T0_E_clISt17integral_constantIbLb0EES1C_EEDaS17_S18_EUlS17_E_NS1_11comp_targetILNS1_3genE3ELNS1_11target_archE908ELNS1_3gpuE7ELNS1_3repE0EEENS1_30default_config_static_selectorELNS0_4arch9wavefront6targetE1EEEvT1_
	.p2align	8
	.type	_ZN7rocprim17ROCPRIM_400000_NS6detail17trampoline_kernelINS0_14default_configENS1_25partition_config_selectorILNS1_17partition_subalgoE8ElNS0_10empty_typeEbEEZZNS1_14partition_implILS5_8ELb0ES3_jPlPS6_PKS6_NS0_5tupleIJS9_S6_EEENSD_IJSA_SA_EEENS0_18inequality_wrapperIZN2at6native12_GLOBAL__N_124unique_dim_cuda_templateIdEESt5tupleIJNSH_6TensorESM_SM_EERKSM_lbbbEUlllE0_EEPmJS6_EEE10hipError_tPvRmT3_T4_T5_T6_T7_T9_mT8_P12ihipStream_tbDpT10_ENKUlT_T0_E_clISt17integral_constantIbLb0EES1C_EEDaS17_S18_EUlS17_E_NS1_11comp_targetILNS1_3genE3ELNS1_11target_archE908ELNS1_3gpuE7ELNS1_3repE0EEENS1_30default_config_static_selectorELNS0_4arch9wavefront6targetE1EEEvT1_,@function
_ZN7rocprim17ROCPRIM_400000_NS6detail17trampoline_kernelINS0_14default_configENS1_25partition_config_selectorILNS1_17partition_subalgoE8ElNS0_10empty_typeEbEEZZNS1_14partition_implILS5_8ELb0ES3_jPlPS6_PKS6_NS0_5tupleIJS9_S6_EEENSD_IJSA_SA_EEENS0_18inequality_wrapperIZN2at6native12_GLOBAL__N_124unique_dim_cuda_templateIdEESt5tupleIJNSH_6TensorESM_SM_EERKSM_lbbbEUlllE0_EEPmJS6_EEE10hipError_tPvRmT3_T4_T5_T6_T7_T9_mT8_P12ihipStream_tbDpT10_ENKUlT_T0_E_clISt17integral_constantIbLb0EES1C_EEDaS17_S18_EUlS17_E_NS1_11comp_targetILNS1_3genE3ELNS1_11target_archE908ELNS1_3gpuE7ELNS1_3repE0EEENS1_30default_config_static_selectorELNS0_4arch9wavefront6targetE1EEEvT1_: ; @_ZN7rocprim17ROCPRIM_400000_NS6detail17trampoline_kernelINS0_14default_configENS1_25partition_config_selectorILNS1_17partition_subalgoE8ElNS0_10empty_typeEbEEZZNS1_14partition_implILS5_8ELb0ES3_jPlPS6_PKS6_NS0_5tupleIJS9_S6_EEENSD_IJSA_SA_EEENS0_18inequality_wrapperIZN2at6native12_GLOBAL__N_124unique_dim_cuda_templateIdEESt5tupleIJNSH_6TensorESM_SM_EERKSM_lbbbEUlllE0_EEPmJS6_EEE10hipError_tPvRmT3_T4_T5_T6_T7_T9_mT8_P12ihipStream_tbDpT10_ENKUlT_T0_E_clISt17integral_constantIbLb0EES1C_EEDaS17_S18_EUlS17_E_NS1_11comp_targetILNS1_3genE3ELNS1_11target_archE908ELNS1_3gpuE7ELNS1_3repE0EEENS1_30default_config_static_selectorELNS0_4arch9wavefront6targetE1EEEvT1_
; %bb.0:
	.section	.rodata,"a",@progbits
	.p2align	6, 0x0
	.amdhsa_kernel _ZN7rocprim17ROCPRIM_400000_NS6detail17trampoline_kernelINS0_14default_configENS1_25partition_config_selectorILNS1_17partition_subalgoE8ElNS0_10empty_typeEbEEZZNS1_14partition_implILS5_8ELb0ES3_jPlPS6_PKS6_NS0_5tupleIJS9_S6_EEENSD_IJSA_SA_EEENS0_18inequality_wrapperIZN2at6native12_GLOBAL__N_124unique_dim_cuda_templateIdEESt5tupleIJNSH_6TensorESM_SM_EERKSM_lbbbEUlllE0_EEPmJS6_EEE10hipError_tPvRmT3_T4_T5_T6_T7_T9_mT8_P12ihipStream_tbDpT10_ENKUlT_T0_E_clISt17integral_constantIbLb0EES1C_EEDaS17_S18_EUlS17_E_NS1_11comp_targetILNS1_3genE3ELNS1_11target_archE908ELNS1_3gpuE7ELNS1_3repE0EEENS1_30default_config_static_selectorELNS0_4arch9wavefront6targetE1EEEvT1_
		.amdhsa_group_segment_fixed_size 0
		.amdhsa_private_segment_fixed_size 0
		.amdhsa_kernarg_size 120
		.amdhsa_user_sgpr_count 2
		.amdhsa_user_sgpr_dispatch_ptr 0
		.amdhsa_user_sgpr_queue_ptr 0
		.amdhsa_user_sgpr_kernarg_segment_ptr 1
		.amdhsa_user_sgpr_dispatch_id 0
		.amdhsa_user_sgpr_kernarg_preload_length 0
		.amdhsa_user_sgpr_kernarg_preload_offset 0
		.amdhsa_user_sgpr_private_segment_size 0
		.amdhsa_uses_dynamic_stack 0
		.amdhsa_enable_private_segment 0
		.amdhsa_system_sgpr_workgroup_id_x 1
		.amdhsa_system_sgpr_workgroup_id_y 0
		.amdhsa_system_sgpr_workgroup_id_z 0
		.amdhsa_system_sgpr_workgroup_info 0
		.amdhsa_system_vgpr_workitem_id 0
		.amdhsa_next_free_vgpr 1
		.amdhsa_next_free_sgpr 0
		.amdhsa_accum_offset 4
		.amdhsa_reserve_vcc 0
		.amdhsa_float_round_mode_32 0
		.amdhsa_float_round_mode_16_64 0
		.amdhsa_float_denorm_mode_32 3
		.amdhsa_float_denorm_mode_16_64 3
		.amdhsa_dx10_clamp 1
		.amdhsa_ieee_mode 1
		.amdhsa_fp16_overflow 0
		.amdhsa_tg_split 0
		.amdhsa_exception_fp_ieee_invalid_op 0
		.amdhsa_exception_fp_denorm_src 0
		.amdhsa_exception_fp_ieee_div_zero 0
		.amdhsa_exception_fp_ieee_overflow 0
		.amdhsa_exception_fp_ieee_underflow 0
		.amdhsa_exception_fp_ieee_inexact 0
		.amdhsa_exception_int_div_zero 0
	.end_amdhsa_kernel
	.section	.text._ZN7rocprim17ROCPRIM_400000_NS6detail17trampoline_kernelINS0_14default_configENS1_25partition_config_selectorILNS1_17partition_subalgoE8ElNS0_10empty_typeEbEEZZNS1_14partition_implILS5_8ELb0ES3_jPlPS6_PKS6_NS0_5tupleIJS9_S6_EEENSD_IJSA_SA_EEENS0_18inequality_wrapperIZN2at6native12_GLOBAL__N_124unique_dim_cuda_templateIdEESt5tupleIJNSH_6TensorESM_SM_EERKSM_lbbbEUlllE0_EEPmJS6_EEE10hipError_tPvRmT3_T4_T5_T6_T7_T9_mT8_P12ihipStream_tbDpT10_ENKUlT_T0_E_clISt17integral_constantIbLb0EES1C_EEDaS17_S18_EUlS17_E_NS1_11comp_targetILNS1_3genE3ELNS1_11target_archE908ELNS1_3gpuE7ELNS1_3repE0EEENS1_30default_config_static_selectorELNS0_4arch9wavefront6targetE1EEEvT1_,"axG",@progbits,_ZN7rocprim17ROCPRIM_400000_NS6detail17trampoline_kernelINS0_14default_configENS1_25partition_config_selectorILNS1_17partition_subalgoE8ElNS0_10empty_typeEbEEZZNS1_14partition_implILS5_8ELb0ES3_jPlPS6_PKS6_NS0_5tupleIJS9_S6_EEENSD_IJSA_SA_EEENS0_18inequality_wrapperIZN2at6native12_GLOBAL__N_124unique_dim_cuda_templateIdEESt5tupleIJNSH_6TensorESM_SM_EERKSM_lbbbEUlllE0_EEPmJS6_EEE10hipError_tPvRmT3_T4_T5_T6_T7_T9_mT8_P12ihipStream_tbDpT10_ENKUlT_T0_E_clISt17integral_constantIbLb0EES1C_EEDaS17_S18_EUlS17_E_NS1_11comp_targetILNS1_3genE3ELNS1_11target_archE908ELNS1_3gpuE7ELNS1_3repE0EEENS1_30default_config_static_selectorELNS0_4arch9wavefront6targetE1EEEvT1_,comdat
.Lfunc_end816:
	.size	_ZN7rocprim17ROCPRIM_400000_NS6detail17trampoline_kernelINS0_14default_configENS1_25partition_config_selectorILNS1_17partition_subalgoE8ElNS0_10empty_typeEbEEZZNS1_14partition_implILS5_8ELb0ES3_jPlPS6_PKS6_NS0_5tupleIJS9_S6_EEENSD_IJSA_SA_EEENS0_18inequality_wrapperIZN2at6native12_GLOBAL__N_124unique_dim_cuda_templateIdEESt5tupleIJNSH_6TensorESM_SM_EERKSM_lbbbEUlllE0_EEPmJS6_EEE10hipError_tPvRmT3_T4_T5_T6_T7_T9_mT8_P12ihipStream_tbDpT10_ENKUlT_T0_E_clISt17integral_constantIbLb0EES1C_EEDaS17_S18_EUlS17_E_NS1_11comp_targetILNS1_3genE3ELNS1_11target_archE908ELNS1_3gpuE7ELNS1_3repE0EEENS1_30default_config_static_selectorELNS0_4arch9wavefront6targetE1EEEvT1_, .Lfunc_end816-_ZN7rocprim17ROCPRIM_400000_NS6detail17trampoline_kernelINS0_14default_configENS1_25partition_config_selectorILNS1_17partition_subalgoE8ElNS0_10empty_typeEbEEZZNS1_14partition_implILS5_8ELb0ES3_jPlPS6_PKS6_NS0_5tupleIJS9_S6_EEENSD_IJSA_SA_EEENS0_18inequality_wrapperIZN2at6native12_GLOBAL__N_124unique_dim_cuda_templateIdEESt5tupleIJNSH_6TensorESM_SM_EERKSM_lbbbEUlllE0_EEPmJS6_EEE10hipError_tPvRmT3_T4_T5_T6_T7_T9_mT8_P12ihipStream_tbDpT10_ENKUlT_T0_E_clISt17integral_constantIbLb0EES1C_EEDaS17_S18_EUlS17_E_NS1_11comp_targetILNS1_3genE3ELNS1_11target_archE908ELNS1_3gpuE7ELNS1_3repE0EEENS1_30default_config_static_selectorELNS0_4arch9wavefront6targetE1EEEvT1_
                                        ; -- End function
	.section	.AMDGPU.csdata,"",@progbits
; Kernel info:
; codeLenInByte = 0
; NumSgprs: 6
; NumVgprs: 0
; NumAgprs: 0
; TotalNumVgprs: 0
; ScratchSize: 0
; MemoryBound: 0
; FloatMode: 240
; IeeeMode: 1
; LDSByteSize: 0 bytes/workgroup (compile time only)
; SGPRBlocks: 0
; VGPRBlocks: 0
; NumSGPRsForWavesPerEU: 6
; NumVGPRsForWavesPerEU: 1
; AccumOffset: 4
; Occupancy: 8
; WaveLimiterHint : 0
; COMPUTE_PGM_RSRC2:SCRATCH_EN: 0
; COMPUTE_PGM_RSRC2:USER_SGPR: 2
; COMPUTE_PGM_RSRC2:TRAP_HANDLER: 0
; COMPUTE_PGM_RSRC2:TGID_X_EN: 1
; COMPUTE_PGM_RSRC2:TGID_Y_EN: 0
; COMPUTE_PGM_RSRC2:TGID_Z_EN: 0
; COMPUTE_PGM_RSRC2:TIDIG_COMP_CNT: 0
; COMPUTE_PGM_RSRC3_GFX90A:ACCUM_OFFSET: 0
; COMPUTE_PGM_RSRC3_GFX90A:TG_SPLIT: 0
	.section	.text._ZN7rocprim17ROCPRIM_400000_NS6detail17trampoline_kernelINS0_14default_configENS1_25partition_config_selectorILNS1_17partition_subalgoE8ElNS0_10empty_typeEbEEZZNS1_14partition_implILS5_8ELb0ES3_jPlPS6_PKS6_NS0_5tupleIJS9_S6_EEENSD_IJSA_SA_EEENS0_18inequality_wrapperIZN2at6native12_GLOBAL__N_124unique_dim_cuda_templateIdEESt5tupleIJNSH_6TensorESM_SM_EERKSM_lbbbEUlllE0_EEPmJS6_EEE10hipError_tPvRmT3_T4_T5_T6_T7_T9_mT8_P12ihipStream_tbDpT10_ENKUlT_T0_E_clISt17integral_constantIbLb0EES1C_EEDaS17_S18_EUlS17_E_NS1_11comp_targetILNS1_3genE2ELNS1_11target_archE906ELNS1_3gpuE6ELNS1_3repE0EEENS1_30default_config_static_selectorELNS0_4arch9wavefront6targetE1EEEvT1_,"axG",@progbits,_ZN7rocprim17ROCPRIM_400000_NS6detail17trampoline_kernelINS0_14default_configENS1_25partition_config_selectorILNS1_17partition_subalgoE8ElNS0_10empty_typeEbEEZZNS1_14partition_implILS5_8ELb0ES3_jPlPS6_PKS6_NS0_5tupleIJS9_S6_EEENSD_IJSA_SA_EEENS0_18inequality_wrapperIZN2at6native12_GLOBAL__N_124unique_dim_cuda_templateIdEESt5tupleIJNSH_6TensorESM_SM_EERKSM_lbbbEUlllE0_EEPmJS6_EEE10hipError_tPvRmT3_T4_T5_T6_T7_T9_mT8_P12ihipStream_tbDpT10_ENKUlT_T0_E_clISt17integral_constantIbLb0EES1C_EEDaS17_S18_EUlS17_E_NS1_11comp_targetILNS1_3genE2ELNS1_11target_archE906ELNS1_3gpuE6ELNS1_3repE0EEENS1_30default_config_static_selectorELNS0_4arch9wavefront6targetE1EEEvT1_,comdat
	.globl	_ZN7rocprim17ROCPRIM_400000_NS6detail17trampoline_kernelINS0_14default_configENS1_25partition_config_selectorILNS1_17partition_subalgoE8ElNS0_10empty_typeEbEEZZNS1_14partition_implILS5_8ELb0ES3_jPlPS6_PKS6_NS0_5tupleIJS9_S6_EEENSD_IJSA_SA_EEENS0_18inequality_wrapperIZN2at6native12_GLOBAL__N_124unique_dim_cuda_templateIdEESt5tupleIJNSH_6TensorESM_SM_EERKSM_lbbbEUlllE0_EEPmJS6_EEE10hipError_tPvRmT3_T4_T5_T6_T7_T9_mT8_P12ihipStream_tbDpT10_ENKUlT_T0_E_clISt17integral_constantIbLb0EES1C_EEDaS17_S18_EUlS17_E_NS1_11comp_targetILNS1_3genE2ELNS1_11target_archE906ELNS1_3gpuE6ELNS1_3repE0EEENS1_30default_config_static_selectorELNS0_4arch9wavefront6targetE1EEEvT1_ ; -- Begin function _ZN7rocprim17ROCPRIM_400000_NS6detail17trampoline_kernelINS0_14default_configENS1_25partition_config_selectorILNS1_17partition_subalgoE8ElNS0_10empty_typeEbEEZZNS1_14partition_implILS5_8ELb0ES3_jPlPS6_PKS6_NS0_5tupleIJS9_S6_EEENSD_IJSA_SA_EEENS0_18inequality_wrapperIZN2at6native12_GLOBAL__N_124unique_dim_cuda_templateIdEESt5tupleIJNSH_6TensorESM_SM_EERKSM_lbbbEUlllE0_EEPmJS6_EEE10hipError_tPvRmT3_T4_T5_T6_T7_T9_mT8_P12ihipStream_tbDpT10_ENKUlT_T0_E_clISt17integral_constantIbLb0EES1C_EEDaS17_S18_EUlS17_E_NS1_11comp_targetILNS1_3genE2ELNS1_11target_archE906ELNS1_3gpuE6ELNS1_3repE0EEENS1_30default_config_static_selectorELNS0_4arch9wavefront6targetE1EEEvT1_
	.p2align	8
	.type	_ZN7rocprim17ROCPRIM_400000_NS6detail17trampoline_kernelINS0_14default_configENS1_25partition_config_selectorILNS1_17partition_subalgoE8ElNS0_10empty_typeEbEEZZNS1_14partition_implILS5_8ELb0ES3_jPlPS6_PKS6_NS0_5tupleIJS9_S6_EEENSD_IJSA_SA_EEENS0_18inequality_wrapperIZN2at6native12_GLOBAL__N_124unique_dim_cuda_templateIdEESt5tupleIJNSH_6TensorESM_SM_EERKSM_lbbbEUlllE0_EEPmJS6_EEE10hipError_tPvRmT3_T4_T5_T6_T7_T9_mT8_P12ihipStream_tbDpT10_ENKUlT_T0_E_clISt17integral_constantIbLb0EES1C_EEDaS17_S18_EUlS17_E_NS1_11comp_targetILNS1_3genE2ELNS1_11target_archE906ELNS1_3gpuE6ELNS1_3repE0EEENS1_30default_config_static_selectorELNS0_4arch9wavefront6targetE1EEEvT1_,@function
_ZN7rocprim17ROCPRIM_400000_NS6detail17trampoline_kernelINS0_14default_configENS1_25partition_config_selectorILNS1_17partition_subalgoE8ElNS0_10empty_typeEbEEZZNS1_14partition_implILS5_8ELb0ES3_jPlPS6_PKS6_NS0_5tupleIJS9_S6_EEENSD_IJSA_SA_EEENS0_18inequality_wrapperIZN2at6native12_GLOBAL__N_124unique_dim_cuda_templateIdEESt5tupleIJNSH_6TensorESM_SM_EERKSM_lbbbEUlllE0_EEPmJS6_EEE10hipError_tPvRmT3_T4_T5_T6_T7_T9_mT8_P12ihipStream_tbDpT10_ENKUlT_T0_E_clISt17integral_constantIbLb0EES1C_EEDaS17_S18_EUlS17_E_NS1_11comp_targetILNS1_3genE2ELNS1_11target_archE906ELNS1_3gpuE6ELNS1_3repE0EEENS1_30default_config_static_selectorELNS0_4arch9wavefront6targetE1EEEvT1_: ; @_ZN7rocprim17ROCPRIM_400000_NS6detail17trampoline_kernelINS0_14default_configENS1_25partition_config_selectorILNS1_17partition_subalgoE8ElNS0_10empty_typeEbEEZZNS1_14partition_implILS5_8ELb0ES3_jPlPS6_PKS6_NS0_5tupleIJS9_S6_EEENSD_IJSA_SA_EEENS0_18inequality_wrapperIZN2at6native12_GLOBAL__N_124unique_dim_cuda_templateIdEESt5tupleIJNSH_6TensorESM_SM_EERKSM_lbbbEUlllE0_EEPmJS6_EEE10hipError_tPvRmT3_T4_T5_T6_T7_T9_mT8_P12ihipStream_tbDpT10_ENKUlT_T0_E_clISt17integral_constantIbLb0EES1C_EEDaS17_S18_EUlS17_E_NS1_11comp_targetILNS1_3genE2ELNS1_11target_archE906ELNS1_3gpuE6ELNS1_3repE0EEENS1_30default_config_static_selectorELNS0_4arch9wavefront6targetE1EEEvT1_
; %bb.0:
	.section	.rodata,"a",@progbits
	.p2align	6, 0x0
	.amdhsa_kernel _ZN7rocprim17ROCPRIM_400000_NS6detail17trampoline_kernelINS0_14default_configENS1_25partition_config_selectorILNS1_17partition_subalgoE8ElNS0_10empty_typeEbEEZZNS1_14partition_implILS5_8ELb0ES3_jPlPS6_PKS6_NS0_5tupleIJS9_S6_EEENSD_IJSA_SA_EEENS0_18inequality_wrapperIZN2at6native12_GLOBAL__N_124unique_dim_cuda_templateIdEESt5tupleIJNSH_6TensorESM_SM_EERKSM_lbbbEUlllE0_EEPmJS6_EEE10hipError_tPvRmT3_T4_T5_T6_T7_T9_mT8_P12ihipStream_tbDpT10_ENKUlT_T0_E_clISt17integral_constantIbLb0EES1C_EEDaS17_S18_EUlS17_E_NS1_11comp_targetILNS1_3genE2ELNS1_11target_archE906ELNS1_3gpuE6ELNS1_3repE0EEENS1_30default_config_static_selectorELNS0_4arch9wavefront6targetE1EEEvT1_
		.amdhsa_group_segment_fixed_size 0
		.amdhsa_private_segment_fixed_size 0
		.amdhsa_kernarg_size 120
		.amdhsa_user_sgpr_count 2
		.amdhsa_user_sgpr_dispatch_ptr 0
		.amdhsa_user_sgpr_queue_ptr 0
		.amdhsa_user_sgpr_kernarg_segment_ptr 1
		.amdhsa_user_sgpr_dispatch_id 0
		.amdhsa_user_sgpr_kernarg_preload_length 0
		.amdhsa_user_sgpr_kernarg_preload_offset 0
		.amdhsa_user_sgpr_private_segment_size 0
		.amdhsa_uses_dynamic_stack 0
		.amdhsa_enable_private_segment 0
		.amdhsa_system_sgpr_workgroup_id_x 1
		.amdhsa_system_sgpr_workgroup_id_y 0
		.amdhsa_system_sgpr_workgroup_id_z 0
		.amdhsa_system_sgpr_workgroup_info 0
		.amdhsa_system_vgpr_workitem_id 0
		.amdhsa_next_free_vgpr 1
		.amdhsa_next_free_sgpr 0
		.amdhsa_accum_offset 4
		.amdhsa_reserve_vcc 0
		.amdhsa_float_round_mode_32 0
		.amdhsa_float_round_mode_16_64 0
		.amdhsa_float_denorm_mode_32 3
		.amdhsa_float_denorm_mode_16_64 3
		.amdhsa_dx10_clamp 1
		.amdhsa_ieee_mode 1
		.amdhsa_fp16_overflow 0
		.amdhsa_tg_split 0
		.amdhsa_exception_fp_ieee_invalid_op 0
		.amdhsa_exception_fp_denorm_src 0
		.amdhsa_exception_fp_ieee_div_zero 0
		.amdhsa_exception_fp_ieee_overflow 0
		.amdhsa_exception_fp_ieee_underflow 0
		.amdhsa_exception_fp_ieee_inexact 0
		.amdhsa_exception_int_div_zero 0
	.end_amdhsa_kernel
	.section	.text._ZN7rocprim17ROCPRIM_400000_NS6detail17trampoline_kernelINS0_14default_configENS1_25partition_config_selectorILNS1_17partition_subalgoE8ElNS0_10empty_typeEbEEZZNS1_14partition_implILS5_8ELb0ES3_jPlPS6_PKS6_NS0_5tupleIJS9_S6_EEENSD_IJSA_SA_EEENS0_18inequality_wrapperIZN2at6native12_GLOBAL__N_124unique_dim_cuda_templateIdEESt5tupleIJNSH_6TensorESM_SM_EERKSM_lbbbEUlllE0_EEPmJS6_EEE10hipError_tPvRmT3_T4_T5_T6_T7_T9_mT8_P12ihipStream_tbDpT10_ENKUlT_T0_E_clISt17integral_constantIbLb0EES1C_EEDaS17_S18_EUlS17_E_NS1_11comp_targetILNS1_3genE2ELNS1_11target_archE906ELNS1_3gpuE6ELNS1_3repE0EEENS1_30default_config_static_selectorELNS0_4arch9wavefront6targetE1EEEvT1_,"axG",@progbits,_ZN7rocprim17ROCPRIM_400000_NS6detail17trampoline_kernelINS0_14default_configENS1_25partition_config_selectorILNS1_17partition_subalgoE8ElNS0_10empty_typeEbEEZZNS1_14partition_implILS5_8ELb0ES3_jPlPS6_PKS6_NS0_5tupleIJS9_S6_EEENSD_IJSA_SA_EEENS0_18inequality_wrapperIZN2at6native12_GLOBAL__N_124unique_dim_cuda_templateIdEESt5tupleIJNSH_6TensorESM_SM_EERKSM_lbbbEUlllE0_EEPmJS6_EEE10hipError_tPvRmT3_T4_T5_T6_T7_T9_mT8_P12ihipStream_tbDpT10_ENKUlT_T0_E_clISt17integral_constantIbLb0EES1C_EEDaS17_S18_EUlS17_E_NS1_11comp_targetILNS1_3genE2ELNS1_11target_archE906ELNS1_3gpuE6ELNS1_3repE0EEENS1_30default_config_static_selectorELNS0_4arch9wavefront6targetE1EEEvT1_,comdat
.Lfunc_end817:
	.size	_ZN7rocprim17ROCPRIM_400000_NS6detail17trampoline_kernelINS0_14default_configENS1_25partition_config_selectorILNS1_17partition_subalgoE8ElNS0_10empty_typeEbEEZZNS1_14partition_implILS5_8ELb0ES3_jPlPS6_PKS6_NS0_5tupleIJS9_S6_EEENSD_IJSA_SA_EEENS0_18inequality_wrapperIZN2at6native12_GLOBAL__N_124unique_dim_cuda_templateIdEESt5tupleIJNSH_6TensorESM_SM_EERKSM_lbbbEUlllE0_EEPmJS6_EEE10hipError_tPvRmT3_T4_T5_T6_T7_T9_mT8_P12ihipStream_tbDpT10_ENKUlT_T0_E_clISt17integral_constantIbLb0EES1C_EEDaS17_S18_EUlS17_E_NS1_11comp_targetILNS1_3genE2ELNS1_11target_archE906ELNS1_3gpuE6ELNS1_3repE0EEENS1_30default_config_static_selectorELNS0_4arch9wavefront6targetE1EEEvT1_, .Lfunc_end817-_ZN7rocprim17ROCPRIM_400000_NS6detail17trampoline_kernelINS0_14default_configENS1_25partition_config_selectorILNS1_17partition_subalgoE8ElNS0_10empty_typeEbEEZZNS1_14partition_implILS5_8ELb0ES3_jPlPS6_PKS6_NS0_5tupleIJS9_S6_EEENSD_IJSA_SA_EEENS0_18inequality_wrapperIZN2at6native12_GLOBAL__N_124unique_dim_cuda_templateIdEESt5tupleIJNSH_6TensorESM_SM_EERKSM_lbbbEUlllE0_EEPmJS6_EEE10hipError_tPvRmT3_T4_T5_T6_T7_T9_mT8_P12ihipStream_tbDpT10_ENKUlT_T0_E_clISt17integral_constantIbLb0EES1C_EEDaS17_S18_EUlS17_E_NS1_11comp_targetILNS1_3genE2ELNS1_11target_archE906ELNS1_3gpuE6ELNS1_3repE0EEENS1_30default_config_static_selectorELNS0_4arch9wavefront6targetE1EEEvT1_
                                        ; -- End function
	.section	.AMDGPU.csdata,"",@progbits
; Kernel info:
; codeLenInByte = 0
; NumSgprs: 6
; NumVgprs: 0
; NumAgprs: 0
; TotalNumVgprs: 0
; ScratchSize: 0
; MemoryBound: 0
; FloatMode: 240
; IeeeMode: 1
; LDSByteSize: 0 bytes/workgroup (compile time only)
; SGPRBlocks: 0
; VGPRBlocks: 0
; NumSGPRsForWavesPerEU: 6
; NumVGPRsForWavesPerEU: 1
; AccumOffset: 4
; Occupancy: 8
; WaveLimiterHint : 0
; COMPUTE_PGM_RSRC2:SCRATCH_EN: 0
; COMPUTE_PGM_RSRC2:USER_SGPR: 2
; COMPUTE_PGM_RSRC2:TRAP_HANDLER: 0
; COMPUTE_PGM_RSRC2:TGID_X_EN: 1
; COMPUTE_PGM_RSRC2:TGID_Y_EN: 0
; COMPUTE_PGM_RSRC2:TGID_Z_EN: 0
; COMPUTE_PGM_RSRC2:TIDIG_COMP_CNT: 0
; COMPUTE_PGM_RSRC3_GFX90A:ACCUM_OFFSET: 0
; COMPUTE_PGM_RSRC3_GFX90A:TG_SPLIT: 0
	.section	.text._ZN7rocprim17ROCPRIM_400000_NS6detail17trampoline_kernelINS0_14default_configENS1_25partition_config_selectorILNS1_17partition_subalgoE8ElNS0_10empty_typeEbEEZZNS1_14partition_implILS5_8ELb0ES3_jPlPS6_PKS6_NS0_5tupleIJS9_S6_EEENSD_IJSA_SA_EEENS0_18inequality_wrapperIZN2at6native12_GLOBAL__N_124unique_dim_cuda_templateIdEESt5tupleIJNSH_6TensorESM_SM_EERKSM_lbbbEUlllE0_EEPmJS6_EEE10hipError_tPvRmT3_T4_T5_T6_T7_T9_mT8_P12ihipStream_tbDpT10_ENKUlT_T0_E_clISt17integral_constantIbLb0EES1C_EEDaS17_S18_EUlS17_E_NS1_11comp_targetILNS1_3genE10ELNS1_11target_archE1200ELNS1_3gpuE4ELNS1_3repE0EEENS1_30default_config_static_selectorELNS0_4arch9wavefront6targetE1EEEvT1_,"axG",@progbits,_ZN7rocprim17ROCPRIM_400000_NS6detail17trampoline_kernelINS0_14default_configENS1_25partition_config_selectorILNS1_17partition_subalgoE8ElNS0_10empty_typeEbEEZZNS1_14partition_implILS5_8ELb0ES3_jPlPS6_PKS6_NS0_5tupleIJS9_S6_EEENSD_IJSA_SA_EEENS0_18inequality_wrapperIZN2at6native12_GLOBAL__N_124unique_dim_cuda_templateIdEESt5tupleIJNSH_6TensorESM_SM_EERKSM_lbbbEUlllE0_EEPmJS6_EEE10hipError_tPvRmT3_T4_T5_T6_T7_T9_mT8_P12ihipStream_tbDpT10_ENKUlT_T0_E_clISt17integral_constantIbLb0EES1C_EEDaS17_S18_EUlS17_E_NS1_11comp_targetILNS1_3genE10ELNS1_11target_archE1200ELNS1_3gpuE4ELNS1_3repE0EEENS1_30default_config_static_selectorELNS0_4arch9wavefront6targetE1EEEvT1_,comdat
	.globl	_ZN7rocprim17ROCPRIM_400000_NS6detail17trampoline_kernelINS0_14default_configENS1_25partition_config_selectorILNS1_17partition_subalgoE8ElNS0_10empty_typeEbEEZZNS1_14partition_implILS5_8ELb0ES3_jPlPS6_PKS6_NS0_5tupleIJS9_S6_EEENSD_IJSA_SA_EEENS0_18inequality_wrapperIZN2at6native12_GLOBAL__N_124unique_dim_cuda_templateIdEESt5tupleIJNSH_6TensorESM_SM_EERKSM_lbbbEUlllE0_EEPmJS6_EEE10hipError_tPvRmT3_T4_T5_T6_T7_T9_mT8_P12ihipStream_tbDpT10_ENKUlT_T0_E_clISt17integral_constantIbLb0EES1C_EEDaS17_S18_EUlS17_E_NS1_11comp_targetILNS1_3genE10ELNS1_11target_archE1200ELNS1_3gpuE4ELNS1_3repE0EEENS1_30default_config_static_selectorELNS0_4arch9wavefront6targetE1EEEvT1_ ; -- Begin function _ZN7rocprim17ROCPRIM_400000_NS6detail17trampoline_kernelINS0_14default_configENS1_25partition_config_selectorILNS1_17partition_subalgoE8ElNS0_10empty_typeEbEEZZNS1_14partition_implILS5_8ELb0ES3_jPlPS6_PKS6_NS0_5tupleIJS9_S6_EEENSD_IJSA_SA_EEENS0_18inequality_wrapperIZN2at6native12_GLOBAL__N_124unique_dim_cuda_templateIdEESt5tupleIJNSH_6TensorESM_SM_EERKSM_lbbbEUlllE0_EEPmJS6_EEE10hipError_tPvRmT3_T4_T5_T6_T7_T9_mT8_P12ihipStream_tbDpT10_ENKUlT_T0_E_clISt17integral_constantIbLb0EES1C_EEDaS17_S18_EUlS17_E_NS1_11comp_targetILNS1_3genE10ELNS1_11target_archE1200ELNS1_3gpuE4ELNS1_3repE0EEENS1_30default_config_static_selectorELNS0_4arch9wavefront6targetE1EEEvT1_
	.p2align	8
	.type	_ZN7rocprim17ROCPRIM_400000_NS6detail17trampoline_kernelINS0_14default_configENS1_25partition_config_selectorILNS1_17partition_subalgoE8ElNS0_10empty_typeEbEEZZNS1_14partition_implILS5_8ELb0ES3_jPlPS6_PKS6_NS0_5tupleIJS9_S6_EEENSD_IJSA_SA_EEENS0_18inequality_wrapperIZN2at6native12_GLOBAL__N_124unique_dim_cuda_templateIdEESt5tupleIJNSH_6TensorESM_SM_EERKSM_lbbbEUlllE0_EEPmJS6_EEE10hipError_tPvRmT3_T4_T5_T6_T7_T9_mT8_P12ihipStream_tbDpT10_ENKUlT_T0_E_clISt17integral_constantIbLb0EES1C_EEDaS17_S18_EUlS17_E_NS1_11comp_targetILNS1_3genE10ELNS1_11target_archE1200ELNS1_3gpuE4ELNS1_3repE0EEENS1_30default_config_static_selectorELNS0_4arch9wavefront6targetE1EEEvT1_,@function
_ZN7rocprim17ROCPRIM_400000_NS6detail17trampoline_kernelINS0_14default_configENS1_25partition_config_selectorILNS1_17partition_subalgoE8ElNS0_10empty_typeEbEEZZNS1_14partition_implILS5_8ELb0ES3_jPlPS6_PKS6_NS0_5tupleIJS9_S6_EEENSD_IJSA_SA_EEENS0_18inequality_wrapperIZN2at6native12_GLOBAL__N_124unique_dim_cuda_templateIdEESt5tupleIJNSH_6TensorESM_SM_EERKSM_lbbbEUlllE0_EEPmJS6_EEE10hipError_tPvRmT3_T4_T5_T6_T7_T9_mT8_P12ihipStream_tbDpT10_ENKUlT_T0_E_clISt17integral_constantIbLb0EES1C_EEDaS17_S18_EUlS17_E_NS1_11comp_targetILNS1_3genE10ELNS1_11target_archE1200ELNS1_3gpuE4ELNS1_3repE0EEENS1_30default_config_static_selectorELNS0_4arch9wavefront6targetE1EEEvT1_: ; @_ZN7rocprim17ROCPRIM_400000_NS6detail17trampoline_kernelINS0_14default_configENS1_25partition_config_selectorILNS1_17partition_subalgoE8ElNS0_10empty_typeEbEEZZNS1_14partition_implILS5_8ELb0ES3_jPlPS6_PKS6_NS0_5tupleIJS9_S6_EEENSD_IJSA_SA_EEENS0_18inequality_wrapperIZN2at6native12_GLOBAL__N_124unique_dim_cuda_templateIdEESt5tupleIJNSH_6TensorESM_SM_EERKSM_lbbbEUlllE0_EEPmJS6_EEE10hipError_tPvRmT3_T4_T5_T6_T7_T9_mT8_P12ihipStream_tbDpT10_ENKUlT_T0_E_clISt17integral_constantIbLb0EES1C_EEDaS17_S18_EUlS17_E_NS1_11comp_targetILNS1_3genE10ELNS1_11target_archE1200ELNS1_3gpuE4ELNS1_3repE0EEENS1_30default_config_static_selectorELNS0_4arch9wavefront6targetE1EEEvT1_
; %bb.0:
	.section	.rodata,"a",@progbits
	.p2align	6, 0x0
	.amdhsa_kernel _ZN7rocprim17ROCPRIM_400000_NS6detail17trampoline_kernelINS0_14default_configENS1_25partition_config_selectorILNS1_17partition_subalgoE8ElNS0_10empty_typeEbEEZZNS1_14partition_implILS5_8ELb0ES3_jPlPS6_PKS6_NS0_5tupleIJS9_S6_EEENSD_IJSA_SA_EEENS0_18inequality_wrapperIZN2at6native12_GLOBAL__N_124unique_dim_cuda_templateIdEESt5tupleIJNSH_6TensorESM_SM_EERKSM_lbbbEUlllE0_EEPmJS6_EEE10hipError_tPvRmT3_T4_T5_T6_T7_T9_mT8_P12ihipStream_tbDpT10_ENKUlT_T0_E_clISt17integral_constantIbLb0EES1C_EEDaS17_S18_EUlS17_E_NS1_11comp_targetILNS1_3genE10ELNS1_11target_archE1200ELNS1_3gpuE4ELNS1_3repE0EEENS1_30default_config_static_selectorELNS0_4arch9wavefront6targetE1EEEvT1_
		.amdhsa_group_segment_fixed_size 0
		.amdhsa_private_segment_fixed_size 0
		.amdhsa_kernarg_size 120
		.amdhsa_user_sgpr_count 2
		.amdhsa_user_sgpr_dispatch_ptr 0
		.amdhsa_user_sgpr_queue_ptr 0
		.amdhsa_user_sgpr_kernarg_segment_ptr 1
		.amdhsa_user_sgpr_dispatch_id 0
		.amdhsa_user_sgpr_kernarg_preload_length 0
		.amdhsa_user_sgpr_kernarg_preload_offset 0
		.amdhsa_user_sgpr_private_segment_size 0
		.amdhsa_uses_dynamic_stack 0
		.amdhsa_enable_private_segment 0
		.amdhsa_system_sgpr_workgroup_id_x 1
		.amdhsa_system_sgpr_workgroup_id_y 0
		.amdhsa_system_sgpr_workgroup_id_z 0
		.amdhsa_system_sgpr_workgroup_info 0
		.amdhsa_system_vgpr_workitem_id 0
		.amdhsa_next_free_vgpr 1
		.amdhsa_next_free_sgpr 0
		.amdhsa_accum_offset 4
		.amdhsa_reserve_vcc 0
		.amdhsa_float_round_mode_32 0
		.amdhsa_float_round_mode_16_64 0
		.amdhsa_float_denorm_mode_32 3
		.amdhsa_float_denorm_mode_16_64 3
		.amdhsa_dx10_clamp 1
		.amdhsa_ieee_mode 1
		.amdhsa_fp16_overflow 0
		.amdhsa_tg_split 0
		.amdhsa_exception_fp_ieee_invalid_op 0
		.amdhsa_exception_fp_denorm_src 0
		.amdhsa_exception_fp_ieee_div_zero 0
		.amdhsa_exception_fp_ieee_overflow 0
		.amdhsa_exception_fp_ieee_underflow 0
		.amdhsa_exception_fp_ieee_inexact 0
		.amdhsa_exception_int_div_zero 0
	.end_amdhsa_kernel
	.section	.text._ZN7rocprim17ROCPRIM_400000_NS6detail17trampoline_kernelINS0_14default_configENS1_25partition_config_selectorILNS1_17partition_subalgoE8ElNS0_10empty_typeEbEEZZNS1_14partition_implILS5_8ELb0ES3_jPlPS6_PKS6_NS0_5tupleIJS9_S6_EEENSD_IJSA_SA_EEENS0_18inequality_wrapperIZN2at6native12_GLOBAL__N_124unique_dim_cuda_templateIdEESt5tupleIJNSH_6TensorESM_SM_EERKSM_lbbbEUlllE0_EEPmJS6_EEE10hipError_tPvRmT3_T4_T5_T6_T7_T9_mT8_P12ihipStream_tbDpT10_ENKUlT_T0_E_clISt17integral_constantIbLb0EES1C_EEDaS17_S18_EUlS17_E_NS1_11comp_targetILNS1_3genE10ELNS1_11target_archE1200ELNS1_3gpuE4ELNS1_3repE0EEENS1_30default_config_static_selectorELNS0_4arch9wavefront6targetE1EEEvT1_,"axG",@progbits,_ZN7rocprim17ROCPRIM_400000_NS6detail17trampoline_kernelINS0_14default_configENS1_25partition_config_selectorILNS1_17partition_subalgoE8ElNS0_10empty_typeEbEEZZNS1_14partition_implILS5_8ELb0ES3_jPlPS6_PKS6_NS0_5tupleIJS9_S6_EEENSD_IJSA_SA_EEENS0_18inequality_wrapperIZN2at6native12_GLOBAL__N_124unique_dim_cuda_templateIdEESt5tupleIJNSH_6TensorESM_SM_EERKSM_lbbbEUlllE0_EEPmJS6_EEE10hipError_tPvRmT3_T4_T5_T6_T7_T9_mT8_P12ihipStream_tbDpT10_ENKUlT_T0_E_clISt17integral_constantIbLb0EES1C_EEDaS17_S18_EUlS17_E_NS1_11comp_targetILNS1_3genE10ELNS1_11target_archE1200ELNS1_3gpuE4ELNS1_3repE0EEENS1_30default_config_static_selectorELNS0_4arch9wavefront6targetE1EEEvT1_,comdat
.Lfunc_end818:
	.size	_ZN7rocprim17ROCPRIM_400000_NS6detail17trampoline_kernelINS0_14default_configENS1_25partition_config_selectorILNS1_17partition_subalgoE8ElNS0_10empty_typeEbEEZZNS1_14partition_implILS5_8ELb0ES3_jPlPS6_PKS6_NS0_5tupleIJS9_S6_EEENSD_IJSA_SA_EEENS0_18inequality_wrapperIZN2at6native12_GLOBAL__N_124unique_dim_cuda_templateIdEESt5tupleIJNSH_6TensorESM_SM_EERKSM_lbbbEUlllE0_EEPmJS6_EEE10hipError_tPvRmT3_T4_T5_T6_T7_T9_mT8_P12ihipStream_tbDpT10_ENKUlT_T0_E_clISt17integral_constantIbLb0EES1C_EEDaS17_S18_EUlS17_E_NS1_11comp_targetILNS1_3genE10ELNS1_11target_archE1200ELNS1_3gpuE4ELNS1_3repE0EEENS1_30default_config_static_selectorELNS0_4arch9wavefront6targetE1EEEvT1_, .Lfunc_end818-_ZN7rocprim17ROCPRIM_400000_NS6detail17trampoline_kernelINS0_14default_configENS1_25partition_config_selectorILNS1_17partition_subalgoE8ElNS0_10empty_typeEbEEZZNS1_14partition_implILS5_8ELb0ES3_jPlPS6_PKS6_NS0_5tupleIJS9_S6_EEENSD_IJSA_SA_EEENS0_18inequality_wrapperIZN2at6native12_GLOBAL__N_124unique_dim_cuda_templateIdEESt5tupleIJNSH_6TensorESM_SM_EERKSM_lbbbEUlllE0_EEPmJS6_EEE10hipError_tPvRmT3_T4_T5_T6_T7_T9_mT8_P12ihipStream_tbDpT10_ENKUlT_T0_E_clISt17integral_constantIbLb0EES1C_EEDaS17_S18_EUlS17_E_NS1_11comp_targetILNS1_3genE10ELNS1_11target_archE1200ELNS1_3gpuE4ELNS1_3repE0EEENS1_30default_config_static_selectorELNS0_4arch9wavefront6targetE1EEEvT1_
                                        ; -- End function
	.section	.AMDGPU.csdata,"",@progbits
; Kernel info:
; codeLenInByte = 0
; NumSgprs: 6
; NumVgprs: 0
; NumAgprs: 0
; TotalNumVgprs: 0
; ScratchSize: 0
; MemoryBound: 0
; FloatMode: 240
; IeeeMode: 1
; LDSByteSize: 0 bytes/workgroup (compile time only)
; SGPRBlocks: 0
; VGPRBlocks: 0
; NumSGPRsForWavesPerEU: 6
; NumVGPRsForWavesPerEU: 1
; AccumOffset: 4
; Occupancy: 8
; WaveLimiterHint : 0
; COMPUTE_PGM_RSRC2:SCRATCH_EN: 0
; COMPUTE_PGM_RSRC2:USER_SGPR: 2
; COMPUTE_PGM_RSRC2:TRAP_HANDLER: 0
; COMPUTE_PGM_RSRC2:TGID_X_EN: 1
; COMPUTE_PGM_RSRC2:TGID_Y_EN: 0
; COMPUTE_PGM_RSRC2:TGID_Z_EN: 0
; COMPUTE_PGM_RSRC2:TIDIG_COMP_CNT: 0
; COMPUTE_PGM_RSRC3_GFX90A:ACCUM_OFFSET: 0
; COMPUTE_PGM_RSRC3_GFX90A:TG_SPLIT: 0
	.section	.text._ZN7rocprim17ROCPRIM_400000_NS6detail17trampoline_kernelINS0_14default_configENS1_25partition_config_selectorILNS1_17partition_subalgoE8ElNS0_10empty_typeEbEEZZNS1_14partition_implILS5_8ELb0ES3_jPlPS6_PKS6_NS0_5tupleIJS9_S6_EEENSD_IJSA_SA_EEENS0_18inequality_wrapperIZN2at6native12_GLOBAL__N_124unique_dim_cuda_templateIdEESt5tupleIJNSH_6TensorESM_SM_EERKSM_lbbbEUlllE0_EEPmJS6_EEE10hipError_tPvRmT3_T4_T5_T6_T7_T9_mT8_P12ihipStream_tbDpT10_ENKUlT_T0_E_clISt17integral_constantIbLb0EES1C_EEDaS17_S18_EUlS17_E_NS1_11comp_targetILNS1_3genE9ELNS1_11target_archE1100ELNS1_3gpuE3ELNS1_3repE0EEENS1_30default_config_static_selectorELNS0_4arch9wavefront6targetE1EEEvT1_,"axG",@progbits,_ZN7rocprim17ROCPRIM_400000_NS6detail17trampoline_kernelINS0_14default_configENS1_25partition_config_selectorILNS1_17partition_subalgoE8ElNS0_10empty_typeEbEEZZNS1_14partition_implILS5_8ELb0ES3_jPlPS6_PKS6_NS0_5tupleIJS9_S6_EEENSD_IJSA_SA_EEENS0_18inequality_wrapperIZN2at6native12_GLOBAL__N_124unique_dim_cuda_templateIdEESt5tupleIJNSH_6TensorESM_SM_EERKSM_lbbbEUlllE0_EEPmJS6_EEE10hipError_tPvRmT3_T4_T5_T6_T7_T9_mT8_P12ihipStream_tbDpT10_ENKUlT_T0_E_clISt17integral_constantIbLb0EES1C_EEDaS17_S18_EUlS17_E_NS1_11comp_targetILNS1_3genE9ELNS1_11target_archE1100ELNS1_3gpuE3ELNS1_3repE0EEENS1_30default_config_static_selectorELNS0_4arch9wavefront6targetE1EEEvT1_,comdat
	.globl	_ZN7rocprim17ROCPRIM_400000_NS6detail17trampoline_kernelINS0_14default_configENS1_25partition_config_selectorILNS1_17partition_subalgoE8ElNS0_10empty_typeEbEEZZNS1_14partition_implILS5_8ELb0ES3_jPlPS6_PKS6_NS0_5tupleIJS9_S6_EEENSD_IJSA_SA_EEENS0_18inequality_wrapperIZN2at6native12_GLOBAL__N_124unique_dim_cuda_templateIdEESt5tupleIJNSH_6TensorESM_SM_EERKSM_lbbbEUlllE0_EEPmJS6_EEE10hipError_tPvRmT3_T4_T5_T6_T7_T9_mT8_P12ihipStream_tbDpT10_ENKUlT_T0_E_clISt17integral_constantIbLb0EES1C_EEDaS17_S18_EUlS17_E_NS1_11comp_targetILNS1_3genE9ELNS1_11target_archE1100ELNS1_3gpuE3ELNS1_3repE0EEENS1_30default_config_static_selectorELNS0_4arch9wavefront6targetE1EEEvT1_ ; -- Begin function _ZN7rocprim17ROCPRIM_400000_NS6detail17trampoline_kernelINS0_14default_configENS1_25partition_config_selectorILNS1_17partition_subalgoE8ElNS0_10empty_typeEbEEZZNS1_14partition_implILS5_8ELb0ES3_jPlPS6_PKS6_NS0_5tupleIJS9_S6_EEENSD_IJSA_SA_EEENS0_18inequality_wrapperIZN2at6native12_GLOBAL__N_124unique_dim_cuda_templateIdEESt5tupleIJNSH_6TensorESM_SM_EERKSM_lbbbEUlllE0_EEPmJS6_EEE10hipError_tPvRmT3_T4_T5_T6_T7_T9_mT8_P12ihipStream_tbDpT10_ENKUlT_T0_E_clISt17integral_constantIbLb0EES1C_EEDaS17_S18_EUlS17_E_NS1_11comp_targetILNS1_3genE9ELNS1_11target_archE1100ELNS1_3gpuE3ELNS1_3repE0EEENS1_30default_config_static_selectorELNS0_4arch9wavefront6targetE1EEEvT1_
	.p2align	8
	.type	_ZN7rocprim17ROCPRIM_400000_NS6detail17trampoline_kernelINS0_14default_configENS1_25partition_config_selectorILNS1_17partition_subalgoE8ElNS0_10empty_typeEbEEZZNS1_14partition_implILS5_8ELb0ES3_jPlPS6_PKS6_NS0_5tupleIJS9_S6_EEENSD_IJSA_SA_EEENS0_18inequality_wrapperIZN2at6native12_GLOBAL__N_124unique_dim_cuda_templateIdEESt5tupleIJNSH_6TensorESM_SM_EERKSM_lbbbEUlllE0_EEPmJS6_EEE10hipError_tPvRmT3_T4_T5_T6_T7_T9_mT8_P12ihipStream_tbDpT10_ENKUlT_T0_E_clISt17integral_constantIbLb0EES1C_EEDaS17_S18_EUlS17_E_NS1_11comp_targetILNS1_3genE9ELNS1_11target_archE1100ELNS1_3gpuE3ELNS1_3repE0EEENS1_30default_config_static_selectorELNS0_4arch9wavefront6targetE1EEEvT1_,@function
_ZN7rocprim17ROCPRIM_400000_NS6detail17trampoline_kernelINS0_14default_configENS1_25partition_config_selectorILNS1_17partition_subalgoE8ElNS0_10empty_typeEbEEZZNS1_14partition_implILS5_8ELb0ES3_jPlPS6_PKS6_NS0_5tupleIJS9_S6_EEENSD_IJSA_SA_EEENS0_18inequality_wrapperIZN2at6native12_GLOBAL__N_124unique_dim_cuda_templateIdEESt5tupleIJNSH_6TensorESM_SM_EERKSM_lbbbEUlllE0_EEPmJS6_EEE10hipError_tPvRmT3_T4_T5_T6_T7_T9_mT8_P12ihipStream_tbDpT10_ENKUlT_T0_E_clISt17integral_constantIbLb0EES1C_EEDaS17_S18_EUlS17_E_NS1_11comp_targetILNS1_3genE9ELNS1_11target_archE1100ELNS1_3gpuE3ELNS1_3repE0EEENS1_30default_config_static_selectorELNS0_4arch9wavefront6targetE1EEEvT1_: ; @_ZN7rocprim17ROCPRIM_400000_NS6detail17trampoline_kernelINS0_14default_configENS1_25partition_config_selectorILNS1_17partition_subalgoE8ElNS0_10empty_typeEbEEZZNS1_14partition_implILS5_8ELb0ES3_jPlPS6_PKS6_NS0_5tupleIJS9_S6_EEENSD_IJSA_SA_EEENS0_18inequality_wrapperIZN2at6native12_GLOBAL__N_124unique_dim_cuda_templateIdEESt5tupleIJNSH_6TensorESM_SM_EERKSM_lbbbEUlllE0_EEPmJS6_EEE10hipError_tPvRmT3_T4_T5_T6_T7_T9_mT8_P12ihipStream_tbDpT10_ENKUlT_T0_E_clISt17integral_constantIbLb0EES1C_EEDaS17_S18_EUlS17_E_NS1_11comp_targetILNS1_3genE9ELNS1_11target_archE1100ELNS1_3gpuE3ELNS1_3repE0EEENS1_30default_config_static_selectorELNS0_4arch9wavefront6targetE1EEEvT1_
; %bb.0:
	.section	.rodata,"a",@progbits
	.p2align	6, 0x0
	.amdhsa_kernel _ZN7rocprim17ROCPRIM_400000_NS6detail17trampoline_kernelINS0_14default_configENS1_25partition_config_selectorILNS1_17partition_subalgoE8ElNS0_10empty_typeEbEEZZNS1_14partition_implILS5_8ELb0ES3_jPlPS6_PKS6_NS0_5tupleIJS9_S6_EEENSD_IJSA_SA_EEENS0_18inequality_wrapperIZN2at6native12_GLOBAL__N_124unique_dim_cuda_templateIdEESt5tupleIJNSH_6TensorESM_SM_EERKSM_lbbbEUlllE0_EEPmJS6_EEE10hipError_tPvRmT3_T4_T5_T6_T7_T9_mT8_P12ihipStream_tbDpT10_ENKUlT_T0_E_clISt17integral_constantIbLb0EES1C_EEDaS17_S18_EUlS17_E_NS1_11comp_targetILNS1_3genE9ELNS1_11target_archE1100ELNS1_3gpuE3ELNS1_3repE0EEENS1_30default_config_static_selectorELNS0_4arch9wavefront6targetE1EEEvT1_
		.amdhsa_group_segment_fixed_size 0
		.amdhsa_private_segment_fixed_size 0
		.amdhsa_kernarg_size 120
		.amdhsa_user_sgpr_count 2
		.amdhsa_user_sgpr_dispatch_ptr 0
		.amdhsa_user_sgpr_queue_ptr 0
		.amdhsa_user_sgpr_kernarg_segment_ptr 1
		.amdhsa_user_sgpr_dispatch_id 0
		.amdhsa_user_sgpr_kernarg_preload_length 0
		.amdhsa_user_sgpr_kernarg_preload_offset 0
		.amdhsa_user_sgpr_private_segment_size 0
		.amdhsa_uses_dynamic_stack 0
		.amdhsa_enable_private_segment 0
		.amdhsa_system_sgpr_workgroup_id_x 1
		.amdhsa_system_sgpr_workgroup_id_y 0
		.amdhsa_system_sgpr_workgroup_id_z 0
		.amdhsa_system_sgpr_workgroup_info 0
		.amdhsa_system_vgpr_workitem_id 0
		.amdhsa_next_free_vgpr 1
		.amdhsa_next_free_sgpr 0
		.amdhsa_accum_offset 4
		.amdhsa_reserve_vcc 0
		.amdhsa_float_round_mode_32 0
		.amdhsa_float_round_mode_16_64 0
		.amdhsa_float_denorm_mode_32 3
		.amdhsa_float_denorm_mode_16_64 3
		.amdhsa_dx10_clamp 1
		.amdhsa_ieee_mode 1
		.amdhsa_fp16_overflow 0
		.amdhsa_tg_split 0
		.amdhsa_exception_fp_ieee_invalid_op 0
		.amdhsa_exception_fp_denorm_src 0
		.amdhsa_exception_fp_ieee_div_zero 0
		.amdhsa_exception_fp_ieee_overflow 0
		.amdhsa_exception_fp_ieee_underflow 0
		.amdhsa_exception_fp_ieee_inexact 0
		.amdhsa_exception_int_div_zero 0
	.end_amdhsa_kernel
	.section	.text._ZN7rocprim17ROCPRIM_400000_NS6detail17trampoline_kernelINS0_14default_configENS1_25partition_config_selectorILNS1_17partition_subalgoE8ElNS0_10empty_typeEbEEZZNS1_14partition_implILS5_8ELb0ES3_jPlPS6_PKS6_NS0_5tupleIJS9_S6_EEENSD_IJSA_SA_EEENS0_18inequality_wrapperIZN2at6native12_GLOBAL__N_124unique_dim_cuda_templateIdEESt5tupleIJNSH_6TensorESM_SM_EERKSM_lbbbEUlllE0_EEPmJS6_EEE10hipError_tPvRmT3_T4_T5_T6_T7_T9_mT8_P12ihipStream_tbDpT10_ENKUlT_T0_E_clISt17integral_constantIbLb0EES1C_EEDaS17_S18_EUlS17_E_NS1_11comp_targetILNS1_3genE9ELNS1_11target_archE1100ELNS1_3gpuE3ELNS1_3repE0EEENS1_30default_config_static_selectorELNS0_4arch9wavefront6targetE1EEEvT1_,"axG",@progbits,_ZN7rocprim17ROCPRIM_400000_NS6detail17trampoline_kernelINS0_14default_configENS1_25partition_config_selectorILNS1_17partition_subalgoE8ElNS0_10empty_typeEbEEZZNS1_14partition_implILS5_8ELb0ES3_jPlPS6_PKS6_NS0_5tupleIJS9_S6_EEENSD_IJSA_SA_EEENS0_18inequality_wrapperIZN2at6native12_GLOBAL__N_124unique_dim_cuda_templateIdEESt5tupleIJNSH_6TensorESM_SM_EERKSM_lbbbEUlllE0_EEPmJS6_EEE10hipError_tPvRmT3_T4_T5_T6_T7_T9_mT8_P12ihipStream_tbDpT10_ENKUlT_T0_E_clISt17integral_constantIbLb0EES1C_EEDaS17_S18_EUlS17_E_NS1_11comp_targetILNS1_3genE9ELNS1_11target_archE1100ELNS1_3gpuE3ELNS1_3repE0EEENS1_30default_config_static_selectorELNS0_4arch9wavefront6targetE1EEEvT1_,comdat
.Lfunc_end819:
	.size	_ZN7rocprim17ROCPRIM_400000_NS6detail17trampoline_kernelINS0_14default_configENS1_25partition_config_selectorILNS1_17partition_subalgoE8ElNS0_10empty_typeEbEEZZNS1_14partition_implILS5_8ELb0ES3_jPlPS6_PKS6_NS0_5tupleIJS9_S6_EEENSD_IJSA_SA_EEENS0_18inequality_wrapperIZN2at6native12_GLOBAL__N_124unique_dim_cuda_templateIdEESt5tupleIJNSH_6TensorESM_SM_EERKSM_lbbbEUlllE0_EEPmJS6_EEE10hipError_tPvRmT3_T4_T5_T6_T7_T9_mT8_P12ihipStream_tbDpT10_ENKUlT_T0_E_clISt17integral_constantIbLb0EES1C_EEDaS17_S18_EUlS17_E_NS1_11comp_targetILNS1_3genE9ELNS1_11target_archE1100ELNS1_3gpuE3ELNS1_3repE0EEENS1_30default_config_static_selectorELNS0_4arch9wavefront6targetE1EEEvT1_, .Lfunc_end819-_ZN7rocprim17ROCPRIM_400000_NS6detail17trampoline_kernelINS0_14default_configENS1_25partition_config_selectorILNS1_17partition_subalgoE8ElNS0_10empty_typeEbEEZZNS1_14partition_implILS5_8ELb0ES3_jPlPS6_PKS6_NS0_5tupleIJS9_S6_EEENSD_IJSA_SA_EEENS0_18inequality_wrapperIZN2at6native12_GLOBAL__N_124unique_dim_cuda_templateIdEESt5tupleIJNSH_6TensorESM_SM_EERKSM_lbbbEUlllE0_EEPmJS6_EEE10hipError_tPvRmT3_T4_T5_T6_T7_T9_mT8_P12ihipStream_tbDpT10_ENKUlT_T0_E_clISt17integral_constantIbLb0EES1C_EEDaS17_S18_EUlS17_E_NS1_11comp_targetILNS1_3genE9ELNS1_11target_archE1100ELNS1_3gpuE3ELNS1_3repE0EEENS1_30default_config_static_selectorELNS0_4arch9wavefront6targetE1EEEvT1_
                                        ; -- End function
	.section	.AMDGPU.csdata,"",@progbits
; Kernel info:
; codeLenInByte = 0
; NumSgprs: 6
; NumVgprs: 0
; NumAgprs: 0
; TotalNumVgprs: 0
; ScratchSize: 0
; MemoryBound: 0
; FloatMode: 240
; IeeeMode: 1
; LDSByteSize: 0 bytes/workgroup (compile time only)
; SGPRBlocks: 0
; VGPRBlocks: 0
; NumSGPRsForWavesPerEU: 6
; NumVGPRsForWavesPerEU: 1
; AccumOffset: 4
; Occupancy: 8
; WaveLimiterHint : 0
; COMPUTE_PGM_RSRC2:SCRATCH_EN: 0
; COMPUTE_PGM_RSRC2:USER_SGPR: 2
; COMPUTE_PGM_RSRC2:TRAP_HANDLER: 0
; COMPUTE_PGM_RSRC2:TGID_X_EN: 1
; COMPUTE_PGM_RSRC2:TGID_Y_EN: 0
; COMPUTE_PGM_RSRC2:TGID_Z_EN: 0
; COMPUTE_PGM_RSRC2:TIDIG_COMP_CNT: 0
; COMPUTE_PGM_RSRC3_GFX90A:ACCUM_OFFSET: 0
; COMPUTE_PGM_RSRC3_GFX90A:TG_SPLIT: 0
	.section	.text._ZN7rocprim17ROCPRIM_400000_NS6detail17trampoline_kernelINS0_14default_configENS1_25partition_config_selectorILNS1_17partition_subalgoE8ElNS0_10empty_typeEbEEZZNS1_14partition_implILS5_8ELb0ES3_jPlPS6_PKS6_NS0_5tupleIJS9_S6_EEENSD_IJSA_SA_EEENS0_18inequality_wrapperIZN2at6native12_GLOBAL__N_124unique_dim_cuda_templateIdEESt5tupleIJNSH_6TensorESM_SM_EERKSM_lbbbEUlllE0_EEPmJS6_EEE10hipError_tPvRmT3_T4_T5_T6_T7_T9_mT8_P12ihipStream_tbDpT10_ENKUlT_T0_E_clISt17integral_constantIbLb0EES1C_EEDaS17_S18_EUlS17_E_NS1_11comp_targetILNS1_3genE8ELNS1_11target_archE1030ELNS1_3gpuE2ELNS1_3repE0EEENS1_30default_config_static_selectorELNS0_4arch9wavefront6targetE1EEEvT1_,"axG",@progbits,_ZN7rocprim17ROCPRIM_400000_NS6detail17trampoline_kernelINS0_14default_configENS1_25partition_config_selectorILNS1_17partition_subalgoE8ElNS0_10empty_typeEbEEZZNS1_14partition_implILS5_8ELb0ES3_jPlPS6_PKS6_NS0_5tupleIJS9_S6_EEENSD_IJSA_SA_EEENS0_18inequality_wrapperIZN2at6native12_GLOBAL__N_124unique_dim_cuda_templateIdEESt5tupleIJNSH_6TensorESM_SM_EERKSM_lbbbEUlllE0_EEPmJS6_EEE10hipError_tPvRmT3_T4_T5_T6_T7_T9_mT8_P12ihipStream_tbDpT10_ENKUlT_T0_E_clISt17integral_constantIbLb0EES1C_EEDaS17_S18_EUlS17_E_NS1_11comp_targetILNS1_3genE8ELNS1_11target_archE1030ELNS1_3gpuE2ELNS1_3repE0EEENS1_30default_config_static_selectorELNS0_4arch9wavefront6targetE1EEEvT1_,comdat
	.globl	_ZN7rocprim17ROCPRIM_400000_NS6detail17trampoline_kernelINS0_14default_configENS1_25partition_config_selectorILNS1_17partition_subalgoE8ElNS0_10empty_typeEbEEZZNS1_14partition_implILS5_8ELb0ES3_jPlPS6_PKS6_NS0_5tupleIJS9_S6_EEENSD_IJSA_SA_EEENS0_18inequality_wrapperIZN2at6native12_GLOBAL__N_124unique_dim_cuda_templateIdEESt5tupleIJNSH_6TensorESM_SM_EERKSM_lbbbEUlllE0_EEPmJS6_EEE10hipError_tPvRmT3_T4_T5_T6_T7_T9_mT8_P12ihipStream_tbDpT10_ENKUlT_T0_E_clISt17integral_constantIbLb0EES1C_EEDaS17_S18_EUlS17_E_NS1_11comp_targetILNS1_3genE8ELNS1_11target_archE1030ELNS1_3gpuE2ELNS1_3repE0EEENS1_30default_config_static_selectorELNS0_4arch9wavefront6targetE1EEEvT1_ ; -- Begin function _ZN7rocprim17ROCPRIM_400000_NS6detail17trampoline_kernelINS0_14default_configENS1_25partition_config_selectorILNS1_17partition_subalgoE8ElNS0_10empty_typeEbEEZZNS1_14partition_implILS5_8ELb0ES3_jPlPS6_PKS6_NS0_5tupleIJS9_S6_EEENSD_IJSA_SA_EEENS0_18inequality_wrapperIZN2at6native12_GLOBAL__N_124unique_dim_cuda_templateIdEESt5tupleIJNSH_6TensorESM_SM_EERKSM_lbbbEUlllE0_EEPmJS6_EEE10hipError_tPvRmT3_T4_T5_T6_T7_T9_mT8_P12ihipStream_tbDpT10_ENKUlT_T0_E_clISt17integral_constantIbLb0EES1C_EEDaS17_S18_EUlS17_E_NS1_11comp_targetILNS1_3genE8ELNS1_11target_archE1030ELNS1_3gpuE2ELNS1_3repE0EEENS1_30default_config_static_selectorELNS0_4arch9wavefront6targetE1EEEvT1_
	.p2align	8
	.type	_ZN7rocprim17ROCPRIM_400000_NS6detail17trampoline_kernelINS0_14default_configENS1_25partition_config_selectorILNS1_17partition_subalgoE8ElNS0_10empty_typeEbEEZZNS1_14partition_implILS5_8ELb0ES3_jPlPS6_PKS6_NS0_5tupleIJS9_S6_EEENSD_IJSA_SA_EEENS0_18inequality_wrapperIZN2at6native12_GLOBAL__N_124unique_dim_cuda_templateIdEESt5tupleIJNSH_6TensorESM_SM_EERKSM_lbbbEUlllE0_EEPmJS6_EEE10hipError_tPvRmT3_T4_T5_T6_T7_T9_mT8_P12ihipStream_tbDpT10_ENKUlT_T0_E_clISt17integral_constantIbLb0EES1C_EEDaS17_S18_EUlS17_E_NS1_11comp_targetILNS1_3genE8ELNS1_11target_archE1030ELNS1_3gpuE2ELNS1_3repE0EEENS1_30default_config_static_selectorELNS0_4arch9wavefront6targetE1EEEvT1_,@function
_ZN7rocprim17ROCPRIM_400000_NS6detail17trampoline_kernelINS0_14default_configENS1_25partition_config_selectorILNS1_17partition_subalgoE8ElNS0_10empty_typeEbEEZZNS1_14partition_implILS5_8ELb0ES3_jPlPS6_PKS6_NS0_5tupleIJS9_S6_EEENSD_IJSA_SA_EEENS0_18inequality_wrapperIZN2at6native12_GLOBAL__N_124unique_dim_cuda_templateIdEESt5tupleIJNSH_6TensorESM_SM_EERKSM_lbbbEUlllE0_EEPmJS6_EEE10hipError_tPvRmT3_T4_T5_T6_T7_T9_mT8_P12ihipStream_tbDpT10_ENKUlT_T0_E_clISt17integral_constantIbLb0EES1C_EEDaS17_S18_EUlS17_E_NS1_11comp_targetILNS1_3genE8ELNS1_11target_archE1030ELNS1_3gpuE2ELNS1_3repE0EEENS1_30default_config_static_selectorELNS0_4arch9wavefront6targetE1EEEvT1_: ; @_ZN7rocprim17ROCPRIM_400000_NS6detail17trampoline_kernelINS0_14default_configENS1_25partition_config_selectorILNS1_17partition_subalgoE8ElNS0_10empty_typeEbEEZZNS1_14partition_implILS5_8ELb0ES3_jPlPS6_PKS6_NS0_5tupleIJS9_S6_EEENSD_IJSA_SA_EEENS0_18inequality_wrapperIZN2at6native12_GLOBAL__N_124unique_dim_cuda_templateIdEESt5tupleIJNSH_6TensorESM_SM_EERKSM_lbbbEUlllE0_EEPmJS6_EEE10hipError_tPvRmT3_T4_T5_T6_T7_T9_mT8_P12ihipStream_tbDpT10_ENKUlT_T0_E_clISt17integral_constantIbLb0EES1C_EEDaS17_S18_EUlS17_E_NS1_11comp_targetILNS1_3genE8ELNS1_11target_archE1030ELNS1_3gpuE2ELNS1_3repE0EEENS1_30default_config_static_selectorELNS0_4arch9wavefront6targetE1EEEvT1_
; %bb.0:
	.section	.rodata,"a",@progbits
	.p2align	6, 0x0
	.amdhsa_kernel _ZN7rocprim17ROCPRIM_400000_NS6detail17trampoline_kernelINS0_14default_configENS1_25partition_config_selectorILNS1_17partition_subalgoE8ElNS0_10empty_typeEbEEZZNS1_14partition_implILS5_8ELb0ES3_jPlPS6_PKS6_NS0_5tupleIJS9_S6_EEENSD_IJSA_SA_EEENS0_18inequality_wrapperIZN2at6native12_GLOBAL__N_124unique_dim_cuda_templateIdEESt5tupleIJNSH_6TensorESM_SM_EERKSM_lbbbEUlllE0_EEPmJS6_EEE10hipError_tPvRmT3_T4_T5_T6_T7_T9_mT8_P12ihipStream_tbDpT10_ENKUlT_T0_E_clISt17integral_constantIbLb0EES1C_EEDaS17_S18_EUlS17_E_NS1_11comp_targetILNS1_3genE8ELNS1_11target_archE1030ELNS1_3gpuE2ELNS1_3repE0EEENS1_30default_config_static_selectorELNS0_4arch9wavefront6targetE1EEEvT1_
		.amdhsa_group_segment_fixed_size 0
		.amdhsa_private_segment_fixed_size 0
		.amdhsa_kernarg_size 120
		.amdhsa_user_sgpr_count 2
		.amdhsa_user_sgpr_dispatch_ptr 0
		.amdhsa_user_sgpr_queue_ptr 0
		.amdhsa_user_sgpr_kernarg_segment_ptr 1
		.amdhsa_user_sgpr_dispatch_id 0
		.amdhsa_user_sgpr_kernarg_preload_length 0
		.amdhsa_user_sgpr_kernarg_preload_offset 0
		.amdhsa_user_sgpr_private_segment_size 0
		.amdhsa_uses_dynamic_stack 0
		.amdhsa_enable_private_segment 0
		.amdhsa_system_sgpr_workgroup_id_x 1
		.amdhsa_system_sgpr_workgroup_id_y 0
		.amdhsa_system_sgpr_workgroup_id_z 0
		.amdhsa_system_sgpr_workgroup_info 0
		.amdhsa_system_vgpr_workitem_id 0
		.amdhsa_next_free_vgpr 1
		.amdhsa_next_free_sgpr 0
		.amdhsa_accum_offset 4
		.amdhsa_reserve_vcc 0
		.amdhsa_float_round_mode_32 0
		.amdhsa_float_round_mode_16_64 0
		.amdhsa_float_denorm_mode_32 3
		.amdhsa_float_denorm_mode_16_64 3
		.amdhsa_dx10_clamp 1
		.amdhsa_ieee_mode 1
		.amdhsa_fp16_overflow 0
		.amdhsa_tg_split 0
		.amdhsa_exception_fp_ieee_invalid_op 0
		.amdhsa_exception_fp_denorm_src 0
		.amdhsa_exception_fp_ieee_div_zero 0
		.amdhsa_exception_fp_ieee_overflow 0
		.amdhsa_exception_fp_ieee_underflow 0
		.amdhsa_exception_fp_ieee_inexact 0
		.amdhsa_exception_int_div_zero 0
	.end_amdhsa_kernel
	.section	.text._ZN7rocprim17ROCPRIM_400000_NS6detail17trampoline_kernelINS0_14default_configENS1_25partition_config_selectorILNS1_17partition_subalgoE8ElNS0_10empty_typeEbEEZZNS1_14partition_implILS5_8ELb0ES3_jPlPS6_PKS6_NS0_5tupleIJS9_S6_EEENSD_IJSA_SA_EEENS0_18inequality_wrapperIZN2at6native12_GLOBAL__N_124unique_dim_cuda_templateIdEESt5tupleIJNSH_6TensorESM_SM_EERKSM_lbbbEUlllE0_EEPmJS6_EEE10hipError_tPvRmT3_T4_T5_T6_T7_T9_mT8_P12ihipStream_tbDpT10_ENKUlT_T0_E_clISt17integral_constantIbLb0EES1C_EEDaS17_S18_EUlS17_E_NS1_11comp_targetILNS1_3genE8ELNS1_11target_archE1030ELNS1_3gpuE2ELNS1_3repE0EEENS1_30default_config_static_selectorELNS0_4arch9wavefront6targetE1EEEvT1_,"axG",@progbits,_ZN7rocprim17ROCPRIM_400000_NS6detail17trampoline_kernelINS0_14default_configENS1_25partition_config_selectorILNS1_17partition_subalgoE8ElNS0_10empty_typeEbEEZZNS1_14partition_implILS5_8ELb0ES3_jPlPS6_PKS6_NS0_5tupleIJS9_S6_EEENSD_IJSA_SA_EEENS0_18inequality_wrapperIZN2at6native12_GLOBAL__N_124unique_dim_cuda_templateIdEESt5tupleIJNSH_6TensorESM_SM_EERKSM_lbbbEUlllE0_EEPmJS6_EEE10hipError_tPvRmT3_T4_T5_T6_T7_T9_mT8_P12ihipStream_tbDpT10_ENKUlT_T0_E_clISt17integral_constantIbLb0EES1C_EEDaS17_S18_EUlS17_E_NS1_11comp_targetILNS1_3genE8ELNS1_11target_archE1030ELNS1_3gpuE2ELNS1_3repE0EEENS1_30default_config_static_selectorELNS0_4arch9wavefront6targetE1EEEvT1_,comdat
.Lfunc_end820:
	.size	_ZN7rocprim17ROCPRIM_400000_NS6detail17trampoline_kernelINS0_14default_configENS1_25partition_config_selectorILNS1_17partition_subalgoE8ElNS0_10empty_typeEbEEZZNS1_14partition_implILS5_8ELb0ES3_jPlPS6_PKS6_NS0_5tupleIJS9_S6_EEENSD_IJSA_SA_EEENS0_18inequality_wrapperIZN2at6native12_GLOBAL__N_124unique_dim_cuda_templateIdEESt5tupleIJNSH_6TensorESM_SM_EERKSM_lbbbEUlllE0_EEPmJS6_EEE10hipError_tPvRmT3_T4_T5_T6_T7_T9_mT8_P12ihipStream_tbDpT10_ENKUlT_T0_E_clISt17integral_constantIbLb0EES1C_EEDaS17_S18_EUlS17_E_NS1_11comp_targetILNS1_3genE8ELNS1_11target_archE1030ELNS1_3gpuE2ELNS1_3repE0EEENS1_30default_config_static_selectorELNS0_4arch9wavefront6targetE1EEEvT1_, .Lfunc_end820-_ZN7rocprim17ROCPRIM_400000_NS6detail17trampoline_kernelINS0_14default_configENS1_25partition_config_selectorILNS1_17partition_subalgoE8ElNS0_10empty_typeEbEEZZNS1_14partition_implILS5_8ELb0ES3_jPlPS6_PKS6_NS0_5tupleIJS9_S6_EEENSD_IJSA_SA_EEENS0_18inequality_wrapperIZN2at6native12_GLOBAL__N_124unique_dim_cuda_templateIdEESt5tupleIJNSH_6TensorESM_SM_EERKSM_lbbbEUlllE0_EEPmJS6_EEE10hipError_tPvRmT3_T4_T5_T6_T7_T9_mT8_P12ihipStream_tbDpT10_ENKUlT_T0_E_clISt17integral_constantIbLb0EES1C_EEDaS17_S18_EUlS17_E_NS1_11comp_targetILNS1_3genE8ELNS1_11target_archE1030ELNS1_3gpuE2ELNS1_3repE0EEENS1_30default_config_static_selectorELNS0_4arch9wavefront6targetE1EEEvT1_
                                        ; -- End function
	.section	.AMDGPU.csdata,"",@progbits
; Kernel info:
; codeLenInByte = 0
; NumSgprs: 6
; NumVgprs: 0
; NumAgprs: 0
; TotalNumVgprs: 0
; ScratchSize: 0
; MemoryBound: 0
; FloatMode: 240
; IeeeMode: 1
; LDSByteSize: 0 bytes/workgroup (compile time only)
; SGPRBlocks: 0
; VGPRBlocks: 0
; NumSGPRsForWavesPerEU: 6
; NumVGPRsForWavesPerEU: 1
; AccumOffset: 4
; Occupancy: 8
; WaveLimiterHint : 0
; COMPUTE_PGM_RSRC2:SCRATCH_EN: 0
; COMPUTE_PGM_RSRC2:USER_SGPR: 2
; COMPUTE_PGM_RSRC2:TRAP_HANDLER: 0
; COMPUTE_PGM_RSRC2:TGID_X_EN: 1
; COMPUTE_PGM_RSRC2:TGID_Y_EN: 0
; COMPUTE_PGM_RSRC2:TGID_Z_EN: 0
; COMPUTE_PGM_RSRC2:TIDIG_COMP_CNT: 0
; COMPUTE_PGM_RSRC3_GFX90A:ACCUM_OFFSET: 0
; COMPUTE_PGM_RSRC3_GFX90A:TG_SPLIT: 0
	.section	.text._ZN7rocprim17ROCPRIM_400000_NS6detail17trampoline_kernelINS0_14default_configENS1_25partition_config_selectorILNS1_17partition_subalgoE8ElNS0_10empty_typeEbEEZZNS1_14partition_implILS5_8ELb0ES3_jPlPS6_PKS6_NS0_5tupleIJS9_S6_EEENSD_IJSA_SA_EEENS0_18inequality_wrapperIZN2at6native12_GLOBAL__N_124unique_dim_cuda_templateIdEESt5tupleIJNSH_6TensorESM_SM_EERKSM_lbbbEUlllE0_EEPmJS6_EEE10hipError_tPvRmT3_T4_T5_T6_T7_T9_mT8_P12ihipStream_tbDpT10_ENKUlT_T0_E_clISt17integral_constantIbLb1EES1C_EEDaS17_S18_EUlS17_E_NS1_11comp_targetILNS1_3genE0ELNS1_11target_archE4294967295ELNS1_3gpuE0ELNS1_3repE0EEENS1_30default_config_static_selectorELNS0_4arch9wavefront6targetE1EEEvT1_,"axG",@progbits,_ZN7rocprim17ROCPRIM_400000_NS6detail17trampoline_kernelINS0_14default_configENS1_25partition_config_selectorILNS1_17partition_subalgoE8ElNS0_10empty_typeEbEEZZNS1_14partition_implILS5_8ELb0ES3_jPlPS6_PKS6_NS0_5tupleIJS9_S6_EEENSD_IJSA_SA_EEENS0_18inequality_wrapperIZN2at6native12_GLOBAL__N_124unique_dim_cuda_templateIdEESt5tupleIJNSH_6TensorESM_SM_EERKSM_lbbbEUlllE0_EEPmJS6_EEE10hipError_tPvRmT3_T4_T5_T6_T7_T9_mT8_P12ihipStream_tbDpT10_ENKUlT_T0_E_clISt17integral_constantIbLb1EES1C_EEDaS17_S18_EUlS17_E_NS1_11comp_targetILNS1_3genE0ELNS1_11target_archE4294967295ELNS1_3gpuE0ELNS1_3repE0EEENS1_30default_config_static_selectorELNS0_4arch9wavefront6targetE1EEEvT1_,comdat
	.globl	_ZN7rocprim17ROCPRIM_400000_NS6detail17trampoline_kernelINS0_14default_configENS1_25partition_config_selectorILNS1_17partition_subalgoE8ElNS0_10empty_typeEbEEZZNS1_14partition_implILS5_8ELb0ES3_jPlPS6_PKS6_NS0_5tupleIJS9_S6_EEENSD_IJSA_SA_EEENS0_18inequality_wrapperIZN2at6native12_GLOBAL__N_124unique_dim_cuda_templateIdEESt5tupleIJNSH_6TensorESM_SM_EERKSM_lbbbEUlllE0_EEPmJS6_EEE10hipError_tPvRmT3_T4_T5_T6_T7_T9_mT8_P12ihipStream_tbDpT10_ENKUlT_T0_E_clISt17integral_constantIbLb1EES1C_EEDaS17_S18_EUlS17_E_NS1_11comp_targetILNS1_3genE0ELNS1_11target_archE4294967295ELNS1_3gpuE0ELNS1_3repE0EEENS1_30default_config_static_selectorELNS0_4arch9wavefront6targetE1EEEvT1_ ; -- Begin function _ZN7rocprim17ROCPRIM_400000_NS6detail17trampoline_kernelINS0_14default_configENS1_25partition_config_selectorILNS1_17partition_subalgoE8ElNS0_10empty_typeEbEEZZNS1_14partition_implILS5_8ELb0ES3_jPlPS6_PKS6_NS0_5tupleIJS9_S6_EEENSD_IJSA_SA_EEENS0_18inequality_wrapperIZN2at6native12_GLOBAL__N_124unique_dim_cuda_templateIdEESt5tupleIJNSH_6TensorESM_SM_EERKSM_lbbbEUlllE0_EEPmJS6_EEE10hipError_tPvRmT3_T4_T5_T6_T7_T9_mT8_P12ihipStream_tbDpT10_ENKUlT_T0_E_clISt17integral_constantIbLb1EES1C_EEDaS17_S18_EUlS17_E_NS1_11comp_targetILNS1_3genE0ELNS1_11target_archE4294967295ELNS1_3gpuE0ELNS1_3repE0EEENS1_30default_config_static_selectorELNS0_4arch9wavefront6targetE1EEEvT1_
	.p2align	8
	.type	_ZN7rocprim17ROCPRIM_400000_NS6detail17trampoline_kernelINS0_14default_configENS1_25partition_config_selectorILNS1_17partition_subalgoE8ElNS0_10empty_typeEbEEZZNS1_14partition_implILS5_8ELb0ES3_jPlPS6_PKS6_NS0_5tupleIJS9_S6_EEENSD_IJSA_SA_EEENS0_18inequality_wrapperIZN2at6native12_GLOBAL__N_124unique_dim_cuda_templateIdEESt5tupleIJNSH_6TensorESM_SM_EERKSM_lbbbEUlllE0_EEPmJS6_EEE10hipError_tPvRmT3_T4_T5_T6_T7_T9_mT8_P12ihipStream_tbDpT10_ENKUlT_T0_E_clISt17integral_constantIbLb1EES1C_EEDaS17_S18_EUlS17_E_NS1_11comp_targetILNS1_3genE0ELNS1_11target_archE4294967295ELNS1_3gpuE0ELNS1_3repE0EEENS1_30default_config_static_selectorELNS0_4arch9wavefront6targetE1EEEvT1_,@function
_ZN7rocprim17ROCPRIM_400000_NS6detail17trampoline_kernelINS0_14default_configENS1_25partition_config_selectorILNS1_17partition_subalgoE8ElNS0_10empty_typeEbEEZZNS1_14partition_implILS5_8ELb0ES3_jPlPS6_PKS6_NS0_5tupleIJS9_S6_EEENSD_IJSA_SA_EEENS0_18inequality_wrapperIZN2at6native12_GLOBAL__N_124unique_dim_cuda_templateIdEESt5tupleIJNSH_6TensorESM_SM_EERKSM_lbbbEUlllE0_EEPmJS6_EEE10hipError_tPvRmT3_T4_T5_T6_T7_T9_mT8_P12ihipStream_tbDpT10_ENKUlT_T0_E_clISt17integral_constantIbLb1EES1C_EEDaS17_S18_EUlS17_E_NS1_11comp_targetILNS1_3genE0ELNS1_11target_archE4294967295ELNS1_3gpuE0ELNS1_3repE0EEENS1_30default_config_static_selectorELNS0_4arch9wavefront6targetE1EEEvT1_: ; @_ZN7rocprim17ROCPRIM_400000_NS6detail17trampoline_kernelINS0_14default_configENS1_25partition_config_selectorILNS1_17partition_subalgoE8ElNS0_10empty_typeEbEEZZNS1_14partition_implILS5_8ELb0ES3_jPlPS6_PKS6_NS0_5tupleIJS9_S6_EEENSD_IJSA_SA_EEENS0_18inequality_wrapperIZN2at6native12_GLOBAL__N_124unique_dim_cuda_templateIdEESt5tupleIJNSH_6TensorESM_SM_EERKSM_lbbbEUlllE0_EEPmJS6_EEE10hipError_tPvRmT3_T4_T5_T6_T7_T9_mT8_P12ihipStream_tbDpT10_ENKUlT_T0_E_clISt17integral_constantIbLb1EES1C_EEDaS17_S18_EUlS17_E_NS1_11comp_targetILNS1_3genE0ELNS1_11target_archE4294967295ELNS1_3gpuE0ELNS1_3repE0EEENS1_30default_config_static_selectorELNS0_4arch9wavefront6targetE1EEEvT1_
; %bb.0:
	.section	.rodata,"a",@progbits
	.p2align	6, 0x0
	.amdhsa_kernel _ZN7rocprim17ROCPRIM_400000_NS6detail17trampoline_kernelINS0_14default_configENS1_25partition_config_selectorILNS1_17partition_subalgoE8ElNS0_10empty_typeEbEEZZNS1_14partition_implILS5_8ELb0ES3_jPlPS6_PKS6_NS0_5tupleIJS9_S6_EEENSD_IJSA_SA_EEENS0_18inequality_wrapperIZN2at6native12_GLOBAL__N_124unique_dim_cuda_templateIdEESt5tupleIJNSH_6TensorESM_SM_EERKSM_lbbbEUlllE0_EEPmJS6_EEE10hipError_tPvRmT3_T4_T5_T6_T7_T9_mT8_P12ihipStream_tbDpT10_ENKUlT_T0_E_clISt17integral_constantIbLb1EES1C_EEDaS17_S18_EUlS17_E_NS1_11comp_targetILNS1_3genE0ELNS1_11target_archE4294967295ELNS1_3gpuE0ELNS1_3repE0EEENS1_30default_config_static_selectorELNS0_4arch9wavefront6targetE1EEEvT1_
		.amdhsa_group_segment_fixed_size 0
		.amdhsa_private_segment_fixed_size 0
		.amdhsa_kernarg_size 136
		.amdhsa_user_sgpr_count 2
		.amdhsa_user_sgpr_dispatch_ptr 0
		.amdhsa_user_sgpr_queue_ptr 0
		.amdhsa_user_sgpr_kernarg_segment_ptr 1
		.amdhsa_user_sgpr_dispatch_id 0
		.amdhsa_user_sgpr_kernarg_preload_length 0
		.amdhsa_user_sgpr_kernarg_preload_offset 0
		.amdhsa_user_sgpr_private_segment_size 0
		.amdhsa_uses_dynamic_stack 0
		.amdhsa_enable_private_segment 0
		.amdhsa_system_sgpr_workgroup_id_x 1
		.amdhsa_system_sgpr_workgroup_id_y 0
		.amdhsa_system_sgpr_workgroup_id_z 0
		.amdhsa_system_sgpr_workgroup_info 0
		.amdhsa_system_vgpr_workitem_id 0
		.amdhsa_next_free_vgpr 1
		.amdhsa_next_free_sgpr 0
		.amdhsa_accum_offset 4
		.amdhsa_reserve_vcc 0
		.amdhsa_float_round_mode_32 0
		.amdhsa_float_round_mode_16_64 0
		.amdhsa_float_denorm_mode_32 3
		.amdhsa_float_denorm_mode_16_64 3
		.amdhsa_dx10_clamp 1
		.amdhsa_ieee_mode 1
		.amdhsa_fp16_overflow 0
		.amdhsa_tg_split 0
		.amdhsa_exception_fp_ieee_invalid_op 0
		.amdhsa_exception_fp_denorm_src 0
		.amdhsa_exception_fp_ieee_div_zero 0
		.amdhsa_exception_fp_ieee_overflow 0
		.amdhsa_exception_fp_ieee_underflow 0
		.amdhsa_exception_fp_ieee_inexact 0
		.amdhsa_exception_int_div_zero 0
	.end_amdhsa_kernel
	.section	.text._ZN7rocprim17ROCPRIM_400000_NS6detail17trampoline_kernelINS0_14default_configENS1_25partition_config_selectorILNS1_17partition_subalgoE8ElNS0_10empty_typeEbEEZZNS1_14partition_implILS5_8ELb0ES3_jPlPS6_PKS6_NS0_5tupleIJS9_S6_EEENSD_IJSA_SA_EEENS0_18inequality_wrapperIZN2at6native12_GLOBAL__N_124unique_dim_cuda_templateIdEESt5tupleIJNSH_6TensorESM_SM_EERKSM_lbbbEUlllE0_EEPmJS6_EEE10hipError_tPvRmT3_T4_T5_T6_T7_T9_mT8_P12ihipStream_tbDpT10_ENKUlT_T0_E_clISt17integral_constantIbLb1EES1C_EEDaS17_S18_EUlS17_E_NS1_11comp_targetILNS1_3genE0ELNS1_11target_archE4294967295ELNS1_3gpuE0ELNS1_3repE0EEENS1_30default_config_static_selectorELNS0_4arch9wavefront6targetE1EEEvT1_,"axG",@progbits,_ZN7rocprim17ROCPRIM_400000_NS6detail17trampoline_kernelINS0_14default_configENS1_25partition_config_selectorILNS1_17partition_subalgoE8ElNS0_10empty_typeEbEEZZNS1_14partition_implILS5_8ELb0ES3_jPlPS6_PKS6_NS0_5tupleIJS9_S6_EEENSD_IJSA_SA_EEENS0_18inequality_wrapperIZN2at6native12_GLOBAL__N_124unique_dim_cuda_templateIdEESt5tupleIJNSH_6TensorESM_SM_EERKSM_lbbbEUlllE0_EEPmJS6_EEE10hipError_tPvRmT3_T4_T5_T6_T7_T9_mT8_P12ihipStream_tbDpT10_ENKUlT_T0_E_clISt17integral_constantIbLb1EES1C_EEDaS17_S18_EUlS17_E_NS1_11comp_targetILNS1_3genE0ELNS1_11target_archE4294967295ELNS1_3gpuE0ELNS1_3repE0EEENS1_30default_config_static_selectorELNS0_4arch9wavefront6targetE1EEEvT1_,comdat
.Lfunc_end821:
	.size	_ZN7rocprim17ROCPRIM_400000_NS6detail17trampoline_kernelINS0_14default_configENS1_25partition_config_selectorILNS1_17partition_subalgoE8ElNS0_10empty_typeEbEEZZNS1_14partition_implILS5_8ELb0ES3_jPlPS6_PKS6_NS0_5tupleIJS9_S6_EEENSD_IJSA_SA_EEENS0_18inequality_wrapperIZN2at6native12_GLOBAL__N_124unique_dim_cuda_templateIdEESt5tupleIJNSH_6TensorESM_SM_EERKSM_lbbbEUlllE0_EEPmJS6_EEE10hipError_tPvRmT3_T4_T5_T6_T7_T9_mT8_P12ihipStream_tbDpT10_ENKUlT_T0_E_clISt17integral_constantIbLb1EES1C_EEDaS17_S18_EUlS17_E_NS1_11comp_targetILNS1_3genE0ELNS1_11target_archE4294967295ELNS1_3gpuE0ELNS1_3repE0EEENS1_30default_config_static_selectorELNS0_4arch9wavefront6targetE1EEEvT1_, .Lfunc_end821-_ZN7rocprim17ROCPRIM_400000_NS6detail17trampoline_kernelINS0_14default_configENS1_25partition_config_selectorILNS1_17partition_subalgoE8ElNS0_10empty_typeEbEEZZNS1_14partition_implILS5_8ELb0ES3_jPlPS6_PKS6_NS0_5tupleIJS9_S6_EEENSD_IJSA_SA_EEENS0_18inequality_wrapperIZN2at6native12_GLOBAL__N_124unique_dim_cuda_templateIdEESt5tupleIJNSH_6TensorESM_SM_EERKSM_lbbbEUlllE0_EEPmJS6_EEE10hipError_tPvRmT3_T4_T5_T6_T7_T9_mT8_P12ihipStream_tbDpT10_ENKUlT_T0_E_clISt17integral_constantIbLb1EES1C_EEDaS17_S18_EUlS17_E_NS1_11comp_targetILNS1_3genE0ELNS1_11target_archE4294967295ELNS1_3gpuE0ELNS1_3repE0EEENS1_30default_config_static_selectorELNS0_4arch9wavefront6targetE1EEEvT1_
                                        ; -- End function
	.section	.AMDGPU.csdata,"",@progbits
; Kernel info:
; codeLenInByte = 0
; NumSgprs: 6
; NumVgprs: 0
; NumAgprs: 0
; TotalNumVgprs: 0
; ScratchSize: 0
; MemoryBound: 0
; FloatMode: 240
; IeeeMode: 1
; LDSByteSize: 0 bytes/workgroup (compile time only)
; SGPRBlocks: 0
; VGPRBlocks: 0
; NumSGPRsForWavesPerEU: 6
; NumVGPRsForWavesPerEU: 1
; AccumOffset: 4
; Occupancy: 8
; WaveLimiterHint : 0
; COMPUTE_PGM_RSRC2:SCRATCH_EN: 0
; COMPUTE_PGM_RSRC2:USER_SGPR: 2
; COMPUTE_PGM_RSRC2:TRAP_HANDLER: 0
; COMPUTE_PGM_RSRC2:TGID_X_EN: 1
; COMPUTE_PGM_RSRC2:TGID_Y_EN: 0
; COMPUTE_PGM_RSRC2:TGID_Z_EN: 0
; COMPUTE_PGM_RSRC2:TIDIG_COMP_CNT: 0
; COMPUTE_PGM_RSRC3_GFX90A:ACCUM_OFFSET: 0
; COMPUTE_PGM_RSRC3_GFX90A:TG_SPLIT: 0
	.section	.text._ZN7rocprim17ROCPRIM_400000_NS6detail17trampoline_kernelINS0_14default_configENS1_25partition_config_selectorILNS1_17partition_subalgoE8ElNS0_10empty_typeEbEEZZNS1_14partition_implILS5_8ELb0ES3_jPlPS6_PKS6_NS0_5tupleIJS9_S6_EEENSD_IJSA_SA_EEENS0_18inequality_wrapperIZN2at6native12_GLOBAL__N_124unique_dim_cuda_templateIdEESt5tupleIJNSH_6TensorESM_SM_EERKSM_lbbbEUlllE0_EEPmJS6_EEE10hipError_tPvRmT3_T4_T5_T6_T7_T9_mT8_P12ihipStream_tbDpT10_ENKUlT_T0_E_clISt17integral_constantIbLb1EES1C_EEDaS17_S18_EUlS17_E_NS1_11comp_targetILNS1_3genE5ELNS1_11target_archE942ELNS1_3gpuE9ELNS1_3repE0EEENS1_30default_config_static_selectorELNS0_4arch9wavefront6targetE1EEEvT1_,"axG",@progbits,_ZN7rocprim17ROCPRIM_400000_NS6detail17trampoline_kernelINS0_14default_configENS1_25partition_config_selectorILNS1_17partition_subalgoE8ElNS0_10empty_typeEbEEZZNS1_14partition_implILS5_8ELb0ES3_jPlPS6_PKS6_NS0_5tupleIJS9_S6_EEENSD_IJSA_SA_EEENS0_18inequality_wrapperIZN2at6native12_GLOBAL__N_124unique_dim_cuda_templateIdEESt5tupleIJNSH_6TensorESM_SM_EERKSM_lbbbEUlllE0_EEPmJS6_EEE10hipError_tPvRmT3_T4_T5_T6_T7_T9_mT8_P12ihipStream_tbDpT10_ENKUlT_T0_E_clISt17integral_constantIbLb1EES1C_EEDaS17_S18_EUlS17_E_NS1_11comp_targetILNS1_3genE5ELNS1_11target_archE942ELNS1_3gpuE9ELNS1_3repE0EEENS1_30default_config_static_selectorELNS0_4arch9wavefront6targetE1EEEvT1_,comdat
	.globl	_ZN7rocprim17ROCPRIM_400000_NS6detail17trampoline_kernelINS0_14default_configENS1_25partition_config_selectorILNS1_17partition_subalgoE8ElNS0_10empty_typeEbEEZZNS1_14partition_implILS5_8ELb0ES3_jPlPS6_PKS6_NS0_5tupleIJS9_S6_EEENSD_IJSA_SA_EEENS0_18inequality_wrapperIZN2at6native12_GLOBAL__N_124unique_dim_cuda_templateIdEESt5tupleIJNSH_6TensorESM_SM_EERKSM_lbbbEUlllE0_EEPmJS6_EEE10hipError_tPvRmT3_T4_T5_T6_T7_T9_mT8_P12ihipStream_tbDpT10_ENKUlT_T0_E_clISt17integral_constantIbLb1EES1C_EEDaS17_S18_EUlS17_E_NS1_11comp_targetILNS1_3genE5ELNS1_11target_archE942ELNS1_3gpuE9ELNS1_3repE0EEENS1_30default_config_static_selectorELNS0_4arch9wavefront6targetE1EEEvT1_ ; -- Begin function _ZN7rocprim17ROCPRIM_400000_NS6detail17trampoline_kernelINS0_14default_configENS1_25partition_config_selectorILNS1_17partition_subalgoE8ElNS0_10empty_typeEbEEZZNS1_14partition_implILS5_8ELb0ES3_jPlPS6_PKS6_NS0_5tupleIJS9_S6_EEENSD_IJSA_SA_EEENS0_18inequality_wrapperIZN2at6native12_GLOBAL__N_124unique_dim_cuda_templateIdEESt5tupleIJNSH_6TensorESM_SM_EERKSM_lbbbEUlllE0_EEPmJS6_EEE10hipError_tPvRmT3_T4_T5_T6_T7_T9_mT8_P12ihipStream_tbDpT10_ENKUlT_T0_E_clISt17integral_constantIbLb1EES1C_EEDaS17_S18_EUlS17_E_NS1_11comp_targetILNS1_3genE5ELNS1_11target_archE942ELNS1_3gpuE9ELNS1_3repE0EEENS1_30default_config_static_selectorELNS0_4arch9wavefront6targetE1EEEvT1_
	.p2align	8
	.type	_ZN7rocprim17ROCPRIM_400000_NS6detail17trampoline_kernelINS0_14default_configENS1_25partition_config_selectorILNS1_17partition_subalgoE8ElNS0_10empty_typeEbEEZZNS1_14partition_implILS5_8ELb0ES3_jPlPS6_PKS6_NS0_5tupleIJS9_S6_EEENSD_IJSA_SA_EEENS0_18inequality_wrapperIZN2at6native12_GLOBAL__N_124unique_dim_cuda_templateIdEESt5tupleIJNSH_6TensorESM_SM_EERKSM_lbbbEUlllE0_EEPmJS6_EEE10hipError_tPvRmT3_T4_T5_T6_T7_T9_mT8_P12ihipStream_tbDpT10_ENKUlT_T0_E_clISt17integral_constantIbLb1EES1C_EEDaS17_S18_EUlS17_E_NS1_11comp_targetILNS1_3genE5ELNS1_11target_archE942ELNS1_3gpuE9ELNS1_3repE0EEENS1_30default_config_static_selectorELNS0_4arch9wavefront6targetE1EEEvT1_,@function
_ZN7rocprim17ROCPRIM_400000_NS6detail17trampoline_kernelINS0_14default_configENS1_25partition_config_selectorILNS1_17partition_subalgoE8ElNS0_10empty_typeEbEEZZNS1_14partition_implILS5_8ELb0ES3_jPlPS6_PKS6_NS0_5tupleIJS9_S6_EEENSD_IJSA_SA_EEENS0_18inequality_wrapperIZN2at6native12_GLOBAL__N_124unique_dim_cuda_templateIdEESt5tupleIJNSH_6TensorESM_SM_EERKSM_lbbbEUlllE0_EEPmJS6_EEE10hipError_tPvRmT3_T4_T5_T6_T7_T9_mT8_P12ihipStream_tbDpT10_ENKUlT_T0_E_clISt17integral_constantIbLb1EES1C_EEDaS17_S18_EUlS17_E_NS1_11comp_targetILNS1_3genE5ELNS1_11target_archE942ELNS1_3gpuE9ELNS1_3repE0EEENS1_30default_config_static_selectorELNS0_4arch9wavefront6targetE1EEEvT1_: ; @_ZN7rocprim17ROCPRIM_400000_NS6detail17trampoline_kernelINS0_14default_configENS1_25partition_config_selectorILNS1_17partition_subalgoE8ElNS0_10empty_typeEbEEZZNS1_14partition_implILS5_8ELb0ES3_jPlPS6_PKS6_NS0_5tupleIJS9_S6_EEENSD_IJSA_SA_EEENS0_18inequality_wrapperIZN2at6native12_GLOBAL__N_124unique_dim_cuda_templateIdEESt5tupleIJNSH_6TensorESM_SM_EERKSM_lbbbEUlllE0_EEPmJS6_EEE10hipError_tPvRmT3_T4_T5_T6_T7_T9_mT8_P12ihipStream_tbDpT10_ENKUlT_T0_E_clISt17integral_constantIbLb1EES1C_EEDaS17_S18_EUlS17_E_NS1_11comp_targetILNS1_3genE5ELNS1_11target_archE942ELNS1_3gpuE9ELNS1_3repE0EEENS1_30default_config_static_selectorELNS0_4arch9wavefront6targetE1EEEvT1_
; %bb.0:
	s_load_dwordx2 s[34:35], s[0:1], 0x28
	s_load_dwordx8 s[20:27], s[0:1], 0x40
	s_load_dwordx4 s[28:31], s[0:1], 0x60
	v_cmp_ne_u32_e64 s[2:3], 0, v0
	v_cmp_eq_u32_e64 s[18:19], 0, v0
	s_and_saveexec_b64 s[4:5], s[18:19]
	s_cbranch_execz .LBB822_4
; %bb.1:
	s_mov_b64 s[8:9], exec
	v_mbcnt_lo_u32_b32 v1, s8, 0
	v_mbcnt_hi_u32_b32 v1, s9, v1
	v_cmp_eq_u32_e32 vcc, 0, v1
                                        ; implicit-def: $vgpr2
	s_and_saveexec_b64 s[6:7], vcc
	s_cbranch_execz .LBB822_3
; %bb.2:
	s_load_dwordx2 s[10:11], s[0:1], 0x78
	s_bcnt1_i32_b64 s8, s[8:9]
	v_mov_b32_e32 v2, 0
	v_mov_b32_e32 v3, s8
	s_waitcnt lgkmcnt(0)
	global_atomic_add v2, v2, v3, s[10:11] sc0
.LBB822_3:
	s_or_b64 exec, exec, s[6:7]
	s_waitcnt vmcnt(0)
	v_readfirstlane_b32 s6, v2
	v_mov_b32_e32 v2, 0
	s_nop 0
	v_add_u32_e32 v1, s6, v1
	ds_write_b32 v2, v1
.LBB822_4:
	s_or_b64 exec, exec, s[4:5]
	v_mov_b32_e32 v3, 0
	s_load_dwordx4 s[4:7], s[0:1], 0x8
	s_load_dword s10, s[0:1], 0x70
	s_waitcnt lgkmcnt(0)
	s_barrier
	ds_read_b32 v1, v3
	s_waitcnt lgkmcnt(0)
	s_barrier
	global_load_dwordx2 v[4:5], v3, s[22:23]
	s_lshl_b64 s[0:1], s[6:7], 3
	s_mul_i32 s12, s10, 0xe00
	s_add_u32 s0, s4, s0
	s_addc_u32 s1, s5, s1
	s_add_i32 s4, s12, s6
	s_add_i32 s10, s10, -1
	s_sub_i32 s52, s24, s4
	s_add_u32 s4, s6, s12
	s_movk_i32 s11, 0xe00
	s_addc_u32 s5, s7, 0
	v_readfirstlane_b32 s33, v1
	v_mov_b32_e32 v6, s24
	v_mov_b32_e32 v7, s25
	v_mul_lo_u32 v2, v1, s11
	s_cmp_eq_u32 s33, s10
	v_cmp_ge_u64_e32 vcc, s[4:5], v[6:7]
	v_lshlrev_b64 v[6:7], 3, v[2:3]
	s_cselect_b64 s[24:25], -1, 0
	v_lshl_add_u64 v[18:19], s[0:1], 0, v[6:7]
	s_and_b64 s[0:1], vcc, s[24:25]
	s_xor_b64 s[36:37], s[0:1], -1
	s_mov_b64 s[8:9], -1
	s_and_b64 vcc, exec, s[36:37]
	s_waitcnt vmcnt(0)
	v_readfirstlane_b32 s22, v4
	v_readfirstlane_b32 s23, v5
	s_cbranch_vccz .LBB822_6
; %bb.5:
	v_lshlrev_b32_e32 v2, 3, v0
	v_lshl_add_u64 v[4:5], v[18:19], 0, v[2:3]
	v_add_co_u32_e32 v8, vcc, 0x1000, v4
	v_readfirstlane_b32 s4, v18
	s_nop 0
	v_addc_co_u32_e32 v9, vcc, 0, v5, vcc
	v_add_co_u32_e32 v10, vcc, 0x2000, v4
	v_readfirstlane_b32 s5, v19
	s_nop 0
	v_addc_co_u32_e32 v11, vcc, 0, v5, vcc
	v_add_co_u32_e32 v12, vcc, 0x3000, v4
	s_mov_b64 s[8:9], 0
	s_nop 0
	v_addc_co_u32_e32 v13, vcc, 0, v5, vcc
	v_add_co_u32_e32 v14, vcc, 0x4000, v4
	global_load_dwordx2 v[6:7], v2, s[4:5]
	s_nop 0
	v_addc_co_u32_e32 v15, vcc, 0, v5, vcc
	global_load_dwordx2 v[16:17], v[8:9], off
	global_load_dwordx2 v[20:21], v[10:11], off
	;; [unrolled: 1-line block ×4, first 2 shown]
	v_add_co_u32_e32 v8, vcc, 0x5000, v4
	s_nop 1
	v_addc_co_u32_e32 v9, vcc, 0, v5, vcc
	v_add_co_u32_e32 v4, vcc, 0x6000, v4
	global_load_dwordx2 v[8:9], v[8:9], off
	s_nop 0
	v_addc_co_u32_e32 v5, vcc, 0, v5, vcc
	global_load_dwordx2 v[4:5], v[4:5], off
	s_waitcnt vmcnt(5)
	ds_write2st64_b64 v2, v[6:7], v[16:17] offset1:8
	s_waitcnt vmcnt(3)
	ds_write2st64_b64 v2, v[20:21], v[22:23] offset0:16 offset1:24
	s_waitcnt vmcnt(1)
	ds_write2st64_b64 v2, v[24:25], v[8:9] offset0:32 offset1:40
	s_waitcnt vmcnt(0)
	ds_write_b64 v2, v[4:5] offset:24576
	s_waitcnt lgkmcnt(0)
	s_barrier
.LBB822_6:
	s_andn2_b64 vcc, exec, s[8:9]
	s_addk_i32 s52, 0xe00
	s_cbranch_vccnz .LBB822_22
; %bb.7:
	v_cmp_gt_u32_e32 vcc, s52, v0
                                        ; implicit-def: $vgpr2_vgpr3_vgpr4_vgpr5_vgpr6_vgpr7_vgpr8_vgpr9_vgpr10_vgpr11_vgpr12_vgpr13_vgpr14_vgpr15_vgpr16_vgpr17
	s_and_saveexec_b64 s[4:5], vcc
	s_cbranch_execz .LBB822_9
; %bb.8:
	v_lshlrev_b32_e32 v1, 3, v0
	v_readfirstlane_b32 s8, v18
	v_readfirstlane_b32 s9, v19
	s_nop 4
	global_load_dwordx2 v[2:3], v1, s[8:9]
.LBB822_9:
	s_or_b64 exec, exec, s[4:5]
	v_or_b32_e32 v1, 0x200, v0
	v_cmp_gt_u32_e32 vcc, s52, v1
	s_and_saveexec_b64 s[4:5], vcc
	s_cbranch_execz .LBB822_11
; %bb.10:
	v_lshlrev_b32_e32 v1, 3, v1
	v_readfirstlane_b32 s8, v18
	v_readfirstlane_b32 s9, v19
	s_nop 4
	global_load_dwordx2 v[4:5], v1, s[8:9]
.LBB822_11:
	s_or_b64 exec, exec, s[4:5]
	v_or_b32_e32 v1, 0x400, v0
	v_cmp_gt_u32_e32 vcc, s52, v1
	;; [unrolled: 12-line block ×6, first 2 shown]
	s_and_saveexec_b64 s[4:5], vcc
	s_cbranch_execz .LBB822_21
; %bb.20:
	v_lshlrev_b32_e32 v1, 3, v1
	v_readfirstlane_b32 s8, v18
	v_readfirstlane_b32 s9, v19
	s_nop 4
	global_load_dwordx2 v[14:15], v1, s[8:9]
.LBB822_21:
	s_or_b64 exec, exec, s[4:5]
	v_lshlrev_b32_e32 v1, 3, v0
	s_waitcnt vmcnt(0)
	ds_write2st64_b64 v1, v[2:3], v[4:5] offset1:8
	ds_write2st64_b64 v1, v[6:7], v[8:9] offset0:16 offset1:24
	ds_write2st64_b64 v1, v[10:11], v[12:13] offset0:32 offset1:40
	ds_write_b64 v1, v[14:15] offset:24576
	s_waitcnt lgkmcnt(0)
	s_barrier
.LBB822_22:
	v_mul_u32_u24_e32 v1, 7, v0
	v_lshlrev_b32_e32 v32, 3, v1
	ds_read2_b64 v[10:13], v32 offset1:1
	ds_read2_b64 v[6:9], v32 offset0:2 offset1:3
	ds_read2_b64 v[2:5], v32 offset0:4 offset1:5
	ds_read_b64 v[14:15], v32 offset:48
	s_cmp_lg_u32 s33, 0
	s_cselect_b64 s[16:17], -1, 0
	s_cmp_lg_u64 s[6:7], 0
	s_cselect_b64 s[4:5], -1, 0
	s_or_b64 s[4:5], s[4:5], s[16:17]
	v_mad_u32_u24 v27, v0, 7, 1
	v_mad_u32_u24 v26, v0, 7, 2
	;; [unrolled: 1-line block ×6, first 2 shown]
	s_mov_b64 s[8:9], 0
	s_and_b64 vcc, exec, s[4:5]
	v_cmp_gt_i64_e64 s[4:5], s[26:27], 0
	s_waitcnt lgkmcnt(0)
	s_barrier
	s_cbranch_vccz .LBB822_31
; %bb.23:
	global_load_dwordx2 v[16:17], v[18:19], off offset:-8
	v_cndmask_b32_e64 v18, 0, 1, s[4:5]
	v_lshlrev_b32_e32 v33, 3, v0
	s_mov_b64 s[6:7], 0
	s_and_b64 vcc, exec, s[36:37]
	v_cmp_ne_u32_e64 s[4:5], 1, v18
	ds_write_b64 v33, v[14:15]
	s_cbranch_vccz .LBB822_33
; %bb.24:
	v_mul_lo_u32 v20, v5, s26
	v_mul_lo_u32 v21, v4, s27
	v_mad_u64_u32 v[18:19], s[8:9], v4, s26, 0
	v_add3_u32 v19, v19, v21, v20
	s_and_b64 vcc, exec, s[4:5]
	v_lshl_add_u64 v[18:19], v[18:19], 3, s[28:29]
	s_cbranch_vccnz .LBB822_36
; %bb.25:
	v_mul_lo_u32 v22, v15, s26
	v_mul_lo_u32 v23, v14, s27
	v_mad_u64_u32 v[20:21], s[6:7], v14, s26, 0
	v_add3_u32 v21, v21, v23, v22
	v_lshl_add_u64 v[20:21], v[20:21], 3, s[28:29]
	global_load_dwordx2 v[22:23], v[18:19], off
	global_load_dwordx2 v[24:25], v[20:21], off
	s_mov_b64 s[6:7], -1
	s_waitcnt vmcnt(0)
	v_cmp_eq_f64_e32 vcc, v[22:23], v[24:25]
	s_and_saveexec_b64 s[8:9], vcc
	s_cbranch_execz .LBB822_35
; %bb.26:
	s_add_u32 s6, s26, -1
	v_lshl_add_u64 v[20:21], v[20:21], 0, 8
	v_lshl_add_u64 v[22:23], v[18:19], 0, 8
	s_addc_u32 s7, s27, -1
	s_mov_b64 s[10:11], 0
	s_mov_b64 s[14:15], 0
                                        ; implicit-def: $sgpr12_sgpr13
	s_branch .LBB822_29
.LBB822_27:                             ;   in Loop: Header=BB822_29 Depth=1
	global_load_dwordx2 v[24:25], v[22:23], off
	global_load_dwordx2 v[34:35], v[20:21], off
	s_add_u32 s14, s14, 1
	s_addc_u32 s15, s15, 0
	s_andn2_b64 s[12:13], s[12:13], exec
	v_lshl_add_u64 v[20:21], v[20:21], 0, 8
	v_lshl_add_u64 v[22:23], v[22:23], 0, 8
	s_waitcnt vmcnt(0)
	v_cmp_neq_f64_e32 vcc, v[24:25], v[34:35]
	s_and_b64 s[38:39], vcc, exec
	s_or_b64 s[12:13], s[12:13], s[38:39]
.LBB822_28:                             ;   in Loop: Header=BB822_29 Depth=1
	s_and_b64 s[38:39], exec, s[12:13]
	s_or_b64 s[10:11], s[38:39], s[10:11]
	v_mov_b64_e32 v[24:25], s[14:15]
	s_andn2_b64 exec, exec, s[10:11]
	s_cbranch_execz .LBB822_34
.LBB822_29:                             ; =>This Inner Loop Header: Depth=1
	s_or_b64 s[12:13], s[12:13], exec
	s_cmp_eq_u64 s[6:7], s[14:15]
	s_cbranch_scc0 .LBB822_27
; %bb.30:                               ;   in Loop: Header=BB822_29 Depth=1
                                        ; implicit-def: $vgpr20_vgpr21
                                        ; implicit-def: $vgpr22_vgpr23
	s_mov_b64 s[14:15], s[26:27]
	s_branch .LBB822_28
.LBB822_31:
                                        ; implicit-def: $sgpr12_sgpr13
                                        ; implicit-def: $vgpr35
                                        ; implicit-def: $vgpr34
                                        ; implicit-def: $vgpr25
                                        ; implicit-def: $vgpr20
	s_branch .LBB822_174
.LBB822_32:
                                        ; implicit-def: $vgpr16_vgpr17
	s_branch .LBB822_322
.LBB822_33:
                                        ; implicit-def: $sgpr12_sgpr13
                                        ; implicit-def: $vgpr35
                                        ; implicit-def: $vgpr34
                                        ; implicit-def: $vgpr25
                                        ; implicit-def: $vgpr20
	s_cbranch_execnz .LBB822_93
	s_branch .LBB822_173
.LBB822_34:
	s_or_b64 exec, exec, s[10:11]
	v_cmp_gt_i64_e32 vcc, s[26:27], v[24:25]
	s_orn2_b64 s[6:7], vcc, exec
.LBB822_35:
	s_or_b64 exec, exec, s[8:9]
.LBB822_36:
	v_mul_lo_u32 v22, v3, s26
	v_mul_lo_u32 v23, v2, s27
	v_mad_u64_u32 v[20:21], s[8:9], v2, s26, 0
	v_add3_u32 v21, v21, v23, v22
	s_mov_b64 s[8:9], 0
	s_and_b64 vcc, exec, s[4:5]
	v_lshl_add_u64 v[20:21], v[20:21], 3, s[28:29]
	s_mov_b64 s[10:11], 0
	s_cbranch_vccnz .LBB822_45
; %bb.37:
	global_load_dwordx2 v[22:23], v[20:21], off
	global_load_dwordx2 v[24:25], v[18:19], off
	s_mov_b64 s[10:11], -1
	s_waitcnt vmcnt(0)
	v_cmp_eq_f64_e32 vcc, v[22:23], v[24:25]
	s_and_saveexec_b64 s[12:13], vcc
	s_cbranch_execz .LBB822_44
; %bb.38:
	s_add_u32 s10, s26, -1
	v_lshl_add_u64 v[18:19], v[18:19], 0, 8
	v_lshl_add_u64 v[22:23], v[20:21], 0, 8
	s_addc_u32 s11, s27, -1
	s_mov_b64 s[14:15], 0
	s_mov_b64 s[40:41], 0
                                        ; implicit-def: $sgpr38_sgpr39
	s_branch .LBB822_41
.LBB822_39:                             ;   in Loop: Header=BB822_41 Depth=1
	global_load_dwordx2 v[24:25], v[22:23], off
	global_load_dwordx2 v[34:35], v[18:19], off
	s_add_u32 s40, s40, 1
	s_addc_u32 s41, s41, 0
	s_andn2_b64 s[38:39], s[38:39], exec
	v_lshl_add_u64 v[18:19], v[18:19], 0, 8
	v_lshl_add_u64 v[22:23], v[22:23], 0, 8
	s_waitcnt vmcnt(0)
	v_cmp_neq_f64_e32 vcc, v[24:25], v[34:35]
	s_and_b64 s[42:43], vcc, exec
	s_or_b64 s[38:39], s[38:39], s[42:43]
.LBB822_40:                             ;   in Loop: Header=BB822_41 Depth=1
	s_and_b64 s[42:43], exec, s[38:39]
	s_or_b64 s[14:15], s[42:43], s[14:15]
	v_mov_b64_e32 v[24:25], s[40:41]
	s_andn2_b64 exec, exec, s[14:15]
	s_cbranch_execz .LBB822_43
.LBB822_41:                             ; =>This Inner Loop Header: Depth=1
	s_or_b64 s[38:39], s[38:39], exec
	s_cmp_eq_u64 s[10:11], s[40:41]
	s_cbranch_scc0 .LBB822_39
; %bb.42:                               ;   in Loop: Header=BB822_41 Depth=1
                                        ; implicit-def: $vgpr18_vgpr19
                                        ; implicit-def: $vgpr22_vgpr23
	s_mov_b64 s[40:41], s[26:27]
	s_branch .LBB822_40
.LBB822_43:
	s_or_b64 exec, exec, s[14:15]
	v_cmp_gt_i64_e32 vcc, s[26:27], v[24:25]
	s_orn2_b64 s[10:11], vcc, exec
.LBB822_44:
	s_or_b64 exec, exec, s[12:13]
.LBB822_45:
	v_mul_lo_u32 v22, v9, s26
	v_mul_lo_u32 v23, v8, s27
	v_mad_u64_u32 v[18:19], s[12:13], v8, s26, 0
	v_add3_u32 v19, v19, v23, v22
	s_and_b64 vcc, exec, s[4:5]
	v_lshl_add_u64 v[18:19], v[18:19], 3, s[28:29]
	s_cbranch_vccnz .LBB822_54
; %bb.46:
	global_load_dwordx2 v[22:23], v[18:19], off
	global_load_dwordx2 v[24:25], v[20:21], off
	s_mov_b64 s[8:9], -1
	s_waitcnt vmcnt(0)
	v_cmp_eq_f64_e32 vcc, v[22:23], v[24:25]
	s_and_saveexec_b64 s[12:13], vcc
	s_cbranch_execz .LBB822_53
; %bb.47:
	s_add_u32 s8, s26, -1
	v_lshl_add_u64 v[20:21], v[20:21], 0, 8
	v_lshl_add_u64 v[22:23], v[18:19], 0, 8
	s_addc_u32 s9, s27, -1
	s_mov_b64 s[14:15], 0
	s_mov_b64 s[40:41], 0
                                        ; implicit-def: $sgpr38_sgpr39
	s_branch .LBB822_50
.LBB822_48:                             ;   in Loop: Header=BB822_50 Depth=1
	global_load_dwordx2 v[24:25], v[22:23], off
	global_load_dwordx2 v[34:35], v[20:21], off
	s_add_u32 s40, s40, 1
	s_addc_u32 s41, s41, 0
	s_andn2_b64 s[38:39], s[38:39], exec
	v_lshl_add_u64 v[20:21], v[20:21], 0, 8
	v_lshl_add_u64 v[22:23], v[22:23], 0, 8
	s_waitcnt vmcnt(0)
	v_cmp_neq_f64_e32 vcc, v[24:25], v[34:35]
	s_and_b64 s[42:43], vcc, exec
	s_or_b64 s[38:39], s[38:39], s[42:43]
.LBB822_49:                             ;   in Loop: Header=BB822_50 Depth=1
	s_and_b64 s[42:43], exec, s[38:39]
	s_or_b64 s[14:15], s[42:43], s[14:15]
	v_mov_b64_e32 v[24:25], s[40:41]
	s_andn2_b64 exec, exec, s[14:15]
	s_cbranch_execz .LBB822_52
.LBB822_50:                             ; =>This Inner Loop Header: Depth=1
	s_or_b64 s[38:39], s[38:39], exec
	s_cmp_eq_u64 s[8:9], s[40:41]
	s_cbranch_scc0 .LBB822_48
; %bb.51:                               ;   in Loop: Header=BB822_50 Depth=1
                                        ; implicit-def: $vgpr20_vgpr21
                                        ; implicit-def: $vgpr22_vgpr23
	s_mov_b64 s[40:41], s[26:27]
	s_branch .LBB822_49
.LBB822_52:
	s_or_b64 exec, exec, s[14:15]
	v_cmp_gt_i64_e32 vcc, s[26:27], v[24:25]
	s_orn2_b64 s[8:9], vcc, exec
.LBB822_53:
	s_or_b64 exec, exec, s[12:13]
.LBB822_54:
	v_mul_lo_u32 v22, v7, s26
	v_mul_lo_u32 v23, v6, s27
	v_mad_u64_u32 v[20:21], s[12:13], v6, s26, 0
	v_add3_u32 v21, v21, v23, v22
	s_mov_b64 s[12:13], 0
	s_and_b64 vcc, exec, s[4:5]
	v_lshl_add_u64 v[22:23], v[20:21], 3, s[28:29]
	s_mov_b64 s[14:15], 0
	s_cbranch_vccnz .LBB822_63
; %bb.55:
	global_load_dwordx2 v[20:21], v[22:23], off
	global_load_dwordx2 v[24:25], v[18:19], off
	s_mov_b64 s[14:15], -1
	s_waitcnt vmcnt(0)
	v_cmp_eq_f64_e32 vcc, v[20:21], v[24:25]
	s_and_saveexec_b64 s[38:39], vcc
	s_cbranch_execz .LBB822_62
; %bb.56:
	s_add_u32 s14, s26, -1
	v_lshl_add_u64 v[18:19], v[18:19], 0, 8
	v_lshl_add_u64 v[20:21], v[22:23], 0, 8
	s_addc_u32 s15, s27, -1
	s_mov_b64 s[40:41], 0
	s_mov_b64 s[44:45], 0
                                        ; implicit-def: $sgpr42_sgpr43
	s_branch .LBB822_59
.LBB822_57:                             ;   in Loop: Header=BB822_59 Depth=1
	global_load_dwordx2 v[24:25], v[20:21], off
	global_load_dwordx2 v[34:35], v[18:19], off
	s_add_u32 s44, s44, 1
	s_addc_u32 s45, s45, 0
	s_andn2_b64 s[42:43], s[42:43], exec
	v_lshl_add_u64 v[18:19], v[18:19], 0, 8
	v_lshl_add_u64 v[20:21], v[20:21], 0, 8
	s_waitcnt vmcnt(0)
	v_cmp_neq_f64_e32 vcc, v[24:25], v[34:35]
	s_and_b64 s[46:47], vcc, exec
	s_or_b64 s[42:43], s[42:43], s[46:47]
.LBB822_58:                             ;   in Loop: Header=BB822_59 Depth=1
	s_and_b64 s[46:47], exec, s[42:43]
	s_or_b64 s[40:41], s[46:47], s[40:41]
	v_mov_b64_e32 v[24:25], s[44:45]
	s_andn2_b64 exec, exec, s[40:41]
	s_cbranch_execz .LBB822_61
.LBB822_59:                             ; =>This Inner Loop Header: Depth=1
	s_or_b64 s[42:43], s[42:43], exec
	s_cmp_eq_u64 s[14:15], s[44:45]
	s_cbranch_scc0 .LBB822_57
; %bb.60:                               ;   in Loop: Header=BB822_59 Depth=1
                                        ; implicit-def: $vgpr18_vgpr19
                                        ; implicit-def: $vgpr20_vgpr21
	s_mov_b64 s[44:45], s[26:27]
	s_branch .LBB822_58
.LBB822_61:
	s_or_b64 exec, exec, s[40:41]
	v_cmp_gt_i64_e32 vcc, s[26:27], v[24:25]
	s_orn2_b64 s[14:15], vcc, exec
.LBB822_62:
	s_or_b64 exec, exec, s[38:39]
.LBB822_63:
	v_mul_lo_u32 v20, v13, s26
	v_mul_lo_u32 v21, v12, s27
	v_mad_u64_u32 v[18:19], s[38:39], v12, s26, 0
	v_add3_u32 v19, v19, v21, v20
	s_and_b64 vcc, exec, s[4:5]
	v_lshl_add_u64 v[20:21], v[18:19], 3, s[28:29]
	s_cbranch_vccnz .LBB822_72
; %bb.64:
	global_load_dwordx2 v[18:19], v[20:21], off
	global_load_dwordx2 v[24:25], v[22:23], off
	s_mov_b64 s[12:13], -1
	s_waitcnt vmcnt(0)
	v_cmp_eq_f64_e32 vcc, v[18:19], v[24:25]
	s_and_saveexec_b64 s[38:39], vcc
	s_cbranch_execz .LBB822_71
; %bb.65:
	s_add_u32 s12, s26, -1
	v_lshl_add_u64 v[18:19], v[22:23], 0, 8
	v_lshl_add_u64 v[22:23], v[20:21], 0, 8
	s_addc_u32 s13, s27, -1
	s_mov_b64 s[40:41], 0
	s_mov_b64 s[44:45], 0
                                        ; implicit-def: $sgpr42_sgpr43
	s_branch .LBB822_68
.LBB822_66:                             ;   in Loop: Header=BB822_68 Depth=1
	global_load_dwordx2 v[24:25], v[22:23], off
	global_load_dwordx2 v[34:35], v[18:19], off
	s_add_u32 s44, s44, 1
	s_addc_u32 s45, s45, 0
	s_andn2_b64 s[42:43], s[42:43], exec
	v_lshl_add_u64 v[18:19], v[18:19], 0, 8
	v_lshl_add_u64 v[22:23], v[22:23], 0, 8
	s_waitcnt vmcnt(0)
	v_cmp_neq_f64_e32 vcc, v[24:25], v[34:35]
	s_and_b64 s[46:47], vcc, exec
	s_or_b64 s[42:43], s[42:43], s[46:47]
.LBB822_67:                             ;   in Loop: Header=BB822_68 Depth=1
	s_and_b64 s[46:47], exec, s[42:43]
	s_or_b64 s[40:41], s[46:47], s[40:41]
	v_mov_b64_e32 v[24:25], s[44:45]
	s_andn2_b64 exec, exec, s[40:41]
	s_cbranch_execz .LBB822_70
.LBB822_68:                             ; =>This Inner Loop Header: Depth=1
	s_or_b64 s[42:43], s[42:43], exec
	s_cmp_eq_u64 s[12:13], s[44:45]
	s_cbranch_scc0 .LBB822_66
; %bb.69:                               ;   in Loop: Header=BB822_68 Depth=1
                                        ; implicit-def: $vgpr18_vgpr19
                                        ; implicit-def: $vgpr22_vgpr23
	s_mov_b64 s[44:45], s[26:27]
	s_branch .LBB822_67
.LBB822_70:
	s_or_b64 exec, exec, s[40:41]
	v_cmp_gt_i64_e32 vcc, s[26:27], v[24:25]
	s_orn2_b64 s[12:13], vcc, exec
.LBB822_71:
	s_or_b64 exec, exec, s[38:39]
.LBB822_72:
	v_mul_lo_u32 v22, v11, s26
	v_mul_lo_u32 v23, v10, s27
	v_mad_u64_u32 v[18:19], s[38:39], v10, s26, 0
	v_add3_u32 v19, v19, v23, v22
	s_mov_b64 s[40:41], 0
	s_and_b64 vcc, exec, s[4:5]
	v_lshl_add_u64 v[18:19], v[18:19], 3, s[28:29]
	s_cbranch_vccnz .LBB822_81
; %bb.73:
	global_load_dwordx2 v[22:23], v[18:19], off
	global_load_dwordx2 v[24:25], v[20:21], off
	s_mov_b64 s[40:41], -1
	s_waitcnt vmcnt(0)
	v_cmp_eq_f64_e32 vcc, v[22:23], v[24:25]
	s_and_saveexec_b64 s[38:39], vcc
	s_cbranch_execz .LBB822_80
; %bb.74:
	s_add_u32 s40, s26, -1
	v_lshl_add_u64 v[20:21], v[20:21], 0, 8
	v_lshl_add_u64 v[22:23], v[18:19], 0, 8
	s_addc_u32 s41, s27, -1
	s_mov_b64 s[42:43], 0
	s_mov_b64 s[46:47], 0
                                        ; implicit-def: $sgpr44_sgpr45
	s_branch .LBB822_77
.LBB822_75:                             ;   in Loop: Header=BB822_77 Depth=1
	global_load_dwordx2 v[24:25], v[22:23], off
	global_load_dwordx2 v[34:35], v[20:21], off
	s_add_u32 s46, s46, 1
	s_addc_u32 s47, s47, 0
	s_andn2_b64 s[44:45], s[44:45], exec
	v_lshl_add_u64 v[20:21], v[20:21], 0, 8
	v_lshl_add_u64 v[22:23], v[22:23], 0, 8
	s_waitcnt vmcnt(0)
	v_cmp_neq_f64_e32 vcc, v[24:25], v[34:35]
	s_and_b64 s[48:49], vcc, exec
	s_or_b64 s[44:45], s[44:45], s[48:49]
.LBB822_76:                             ;   in Loop: Header=BB822_77 Depth=1
	s_and_b64 s[48:49], exec, s[44:45]
	s_or_b64 s[42:43], s[48:49], s[42:43]
	v_mov_b64_e32 v[24:25], s[46:47]
	s_andn2_b64 exec, exec, s[42:43]
	s_cbranch_execz .LBB822_79
.LBB822_77:                             ; =>This Inner Loop Header: Depth=1
	s_or_b64 s[44:45], s[44:45], exec
	s_cmp_eq_u64 s[40:41], s[46:47]
	s_cbranch_scc0 .LBB822_75
; %bb.78:                               ;   in Loop: Header=BB822_77 Depth=1
                                        ; implicit-def: $vgpr20_vgpr21
                                        ; implicit-def: $vgpr22_vgpr23
	s_mov_b64 s[46:47], s[26:27]
	s_branch .LBB822_76
.LBB822_79:
	s_or_b64 exec, exec, s[42:43]
	v_cmp_gt_i64_e32 vcc, s[26:27], v[24:25]
	s_orn2_b64 s[40:41], vcc, exec
.LBB822_80:
	s_or_b64 exec, exec, s[38:39]
.LBB822_81:
	s_waitcnt vmcnt(0)
	v_mov_b64_e32 v[20:21], v[16:17]
	s_waitcnt lgkmcnt(0)
	s_barrier
	s_and_saveexec_b64 s[38:39], s[2:3]
	s_cbranch_execz .LBB822_83
; %bb.82:
	v_add_u32_e32 v20, -8, v33
	ds_read_b64 v[20:21], v20
.LBB822_83:
	s_or_b64 exec, exec, s[38:39]
	v_cndmask_b32_e64 v23, 0, 1, s[14:15]
	v_cndmask_b32_e64 v22, 0, 1, s[12:13]
	;; [unrolled: 1-line block ×3, first 2 shown]
	v_lshlrev_b16_e32 v23, 8, v23
	v_lshlrev_b16_e32 v24, 8, v24
	v_or_b32_sdwa v36, v22, v23 dst_sel:WORD_1 dst_unused:UNUSED_PAD src0_sel:DWORD src1_sel:DWORD
	s_mov_b64 s[14:15], 0
	s_and_b64 vcc, exec, s[4:5]
	s_mov_b64 s[12:13], 0
	s_cbranch_vccnz .LBB822_92
; %bb.84:
	s_waitcnt lgkmcnt(0)
	v_mul_lo_u32 v22, v21, s26
	v_mul_lo_u32 v23, v20, s27
	v_mad_u64_u32 v[20:21], s[12:13], v20, s26, 0
	v_add3_u32 v21, v21, v23, v22
	v_lshl_add_u64 v[20:21], v[20:21], 3, s[28:29]
	global_load_dwordx2 v[22:23], v[20:21], off
	global_load_dwordx2 v[34:35], v[18:19], off
	s_mov_b64 s[12:13], -1
	s_waitcnt vmcnt(0)
	v_cmp_eq_f64_e32 vcc, v[22:23], v[34:35]
	s_and_saveexec_b64 s[38:39], vcc
	s_cbranch_execz .LBB822_91
; %bb.85:
	s_add_u32 s12, s26, -1
	v_lshl_add_u64 v[18:19], v[18:19], 0, 8
	v_lshl_add_u64 v[20:21], v[20:21], 0, 8
	s_addc_u32 s13, s27, -1
	s_mov_b64 s[40:41], 0
	s_mov_b64 s[44:45], 0
                                        ; implicit-def: $sgpr42_sgpr43
	s_branch .LBB822_88
.LBB822_86:                             ;   in Loop: Header=BB822_88 Depth=1
	global_load_dwordx2 v[22:23], v[20:21], off
	global_load_dwordx2 v[34:35], v[18:19], off
	s_add_u32 s44, s44, 1
	s_addc_u32 s45, s45, 0
	s_andn2_b64 s[42:43], s[42:43], exec
	v_lshl_add_u64 v[18:19], v[18:19], 0, 8
	v_lshl_add_u64 v[20:21], v[20:21], 0, 8
	s_waitcnt vmcnt(0)
	v_cmp_neq_f64_e32 vcc, v[22:23], v[34:35]
	s_and_b64 s[46:47], vcc, exec
	s_or_b64 s[42:43], s[42:43], s[46:47]
.LBB822_87:                             ;   in Loop: Header=BB822_88 Depth=1
	s_and_b64 s[46:47], exec, s[42:43]
	s_or_b64 s[40:41], s[46:47], s[40:41]
	v_mov_b64_e32 v[22:23], s[44:45]
	s_andn2_b64 exec, exec, s[40:41]
	s_cbranch_execz .LBB822_90
.LBB822_88:                             ; =>This Inner Loop Header: Depth=1
	s_or_b64 s[42:43], s[42:43], exec
	s_cmp_eq_u64 s[12:13], s[44:45]
	s_cbranch_scc0 .LBB822_86
; %bb.89:                               ;   in Loop: Header=BB822_88 Depth=1
                                        ; implicit-def: $vgpr18_vgpr19
                                        ; implicit-def: $vgpr20_vgpr21
	s_mov_b64 s[44:45], s[26:27]
	s_branch .LBB822_87
.LBB822_90:
	s_or_b64 exec, exec, s[40:41]
	v_cmp_gt_i64_e32 vcc, s[26:27], v[22:23]
	s_orn2_b64 s[12:13], vcc, exec
.LBB822_91:
	s_or_b64 exec, exec, s[38:39]
.LBB822_92:
	v_cndmask_b32_e64 v25, 0, 1, s[8:9]
	v_cndmask_b32_e64 v34, 0, 1, s[10:11]
	;; [unrolled: 1-line block ×3, first 2 shown]
	s_waitcnt lgkmcnt(0)
	v_or_b32_e32 v20, v24, v36
	s_and_b64 vcc, exec, s[14:15]
	s_cbranch_vccz .LBB822_173
.LBB822_93:
	v_cmp_gt_u32_e32 vcc, s52, v29
	s_mov_b64 s[8:9], 0
	s_mov_b64 s[6:7], 0
	s_and_saveexec_b64 s[10:11], vcc
	s_cbranch_execz .LBB822_104
; %bb.94:
	s_and_b64 vcc, exec, s[4:5]
	s_mov_b64 s[12:13], 0
	s_cbranch_vccnz .LBB822_103
; %bb.95:
	v_mul_lo_u32 v20, v5, s26
	v_mul_lo_u32 v21, v4, s27
	v_mad_u64_u32 v[18:19], s[6:7], v4, s26, 0
	v_add3_u32 v19, v19, v21, v20
	v_mul_lo_u32 v20, v15, s26
	v_mul_lo_u32 v21, v14, s27
	v_mad_u64_u32 v[22:23], s[6:7], v14, s26, 0
	v_add3_u32 v23, v23, v21, v20
	v_lshl_add_u64 v[20:21], v[18:19], 3, s[28:29]
	v_lshl_add_u64 v[18:19], v[22:23], 3, s[28:29]
	global_load_dwordx2 v[22:23], v[20:21], off
	global_load_dwordx2 v[24:25], v[18:19], off
	s_mov_b64 s[12:13], -1
	s_waitcnt vmcnt(0)
	v_cmp_eq_f64_e32 vcc, v[22:23], v[24:25]
	s_and_saveexec_b64 s[6:7], vcc
	s_cbranch_execz .LBB822_102
; %bb.96:
	s_add_u32 s12, s26, -1
	v_lshl_add_u64 v[18:19], v[18:19], 0, 8
	v_lshl_add_u64 v[20:21], v[20:21], 0, 8
	s_addc_u32 s13, s27, -1
	s_mov_b64 s[14:15], 0
	s_mov_b64 s[40:41], 0
                                        ; implicit-def: $sgpr38_sgpr39
	s_branch .LBB822_99
.LBB822_97:                             ;   in Loop: Header=BB822_99 Depth=1
	global_load_dwordx2 v[22:23], v[20:21], off
	global_load_dwordx2 v[24:25], v[18:19], off
	s_add_u32 s40, s40, 1
	s_addc_u32 s41, s41, 0
	s_andn2_b64 s[38:39], s[38:39], exec
	v_lshl_add_u64 v[18:19], v[18:19], 0, 8
	v_lshl_add_u64 v[20:21], v[20:21], 0, 8
	s_waitcnt vmcnt(0)
	v_cmp_neq_f64_e32 vcc, v[22:23], v[24:25]
	s_and_b64 s[42:43], vcc, exec
	s_or_b64 s[38:39], s[38:39], s[42:43]
.LBB822_98:                             ;   in Loop: Header=BB822_99 Depth=1
	s_and_b64 s[42:43], exec, s[38:39]
	s_or_b64 s[14:15], s[42:43], s[14:15]
	v_mov_b64_e32 v[22:23], s[40:41]
	s_andn2_b64 exec, exec, s[14:15]
	s_cbranch_execz .LBB822_101
.LBB822_99:                             ; =>This Inner Loop Header: Depth=1
	s_or_b64 s[38:39], s[38:39], exec
	s_cmp_eq_u64 s[12:13], s[40:41]
	s_cbranch_scc0 .LBB822_97
; %bb.100:                              ;   in Loop: Header=BB822_99 Depth=1
                                        ; implicit-def: $vgpr18_vgpr19
                                        ; implicit-def: $vgpr20_vgpr21
	s_mov_b64 s[40:41], s[26:27]
	s_branch .LBB822_98
.LBB822_101:
	s_or_b64 exec, exec, s[14:15]
	v_cmp_gt_i64_e32 vcc, s[26:27], v[22:23]
	s_orn2_b64 s[12:13], vcc, exec
.LBB822_102:
	s_or_b64 exec, exec, s[6:7]
.LBB822_103:
	s_and_b64 s[6:7], s[12:13], exec
.LBB822_104:
	s_or_b64 exec, exec, s[10:11]
	v_cmp_gt_u32_e32 vcc, s52, v31
	s_and_saveexec_b64 s[10:11], vcc
	s_cbranch_execz .LBB822_115
; %bb.105:
	s_and_b64 vcc, exec, s[4:5]
	s_mov_b64 s[12:13], 0
	s_cbranch_vccnz .LBB822_114
; %bb.106:
	v_mul_lo_u32 v20, v3, s26
	v_mul_lo_u32 v21, v2, s27
	v_mad_u64_u32 v[18:19], s[8:9], v2, s26, 0
	v_add3_u32 v19, v19, v21, v20
	v_mul_lo_u32 v20, v5, s26
	v_mul_lo_u32 v21, v4, s27
	v_mad_u64_u32 v[22:23], s[8:9], v4, s26, 0
	v_add3_u32 v23, v23, v21, v20
	v_lshl_add_u64 v[20:21], v[18:19], 3, s[28:29]
	v_lshl_add_u64 v[18:19], v[22:23], 3, s[28:29]
	global_load_dwordx2 v[22:23], v[20:21], off
	global_load_dwordx2 v[24:25], v[18:19], off
	s_mov_b64 s[12:13], -1
	s_waitcnt vmcnt(0)
	v_cmp_eq_f64_e32 vcc, v[22:23], v[24:25]
	s_and_saveexec_b64 s[8:9], vcc
	s_cbranch_execz .LBB822_113
; %bb.107:
	s_add_u32 s12, s26, -1
	v_lshl_add_u64 v[18:19], v[18:19], 0, 8
	v_lshl_add_u64 v[20:21], v[20:21], 0, 8
	s_addc_u32 s13, s27, -1
	s_mov_b64 s[14:15], 0
	s_mov_b64 s[40:41], 0
                                        ; implicit-def: $sgpr38_sgpr39
	s_branch .LBB822_110
.LBB822_108:                            ;   in Loop: Header=BB822_110 Depth=1
	global_load_dwordx2 v[22:23], v[20:21], off
	global_load_dwordx2 v[24:25], v[18:19], off
	s_add_u32 s40, s40, 1
	s_addc_u32 s41, s41, 0
	s_andn2_b64 s[38:39], s[38:39], exec
	v_lshl_add_u64 v[18:19], v[18:19], 0, 8
	v_lshl_add_u64 v[20:21], v[20:21], 0, 8
	s_waitcnt vmcnt(0)
	v_cmp_neq_f64_e32 vcc, v[22:23], v[24:25]
	s_and_b64 s[42:43], vcc, exec
	s_or_b64 s[38:39], s[38:39], s[42:43]
.LBB822_109:                            ;   in Loop: Header=BB822_110 Depth=1
	s_and_b64 s[42:43], exec, s[38:39]
	s_or_b64 s[14:15], s[42:43], s[14:15]
	v_mov_b64_e32 v[22:23], s[40:41]
	s_andn2_b64 exec, exec, s[14:15]
	s_cbranch_execz .LBB822_112
.LBB822_110:                            ; =>This Inner Loop Header: Depth=1
	s_or_b64 s[38:39], s[38:39], exec
	s_cmp_eq_u64 s[12:13], s[40:41]
	s_cbranch_scc0 .LBB822_108
; %bb.111:                              ;   in Loop: Header=BB822_110 Depth=1
                                        ; implicit-def: $vgpr18_vgpr19
                                        ; implicit-def: $vgpr20_vgpr21
	s_mov_b64 s[40:41], s[26:27]
	s_branch .LBB822_109
.LBB822_112:
	s_or_b64 exec, exec, s[14:15]
	v_cmp_gt_i64_e32 vcc, s[26:27], v[22:23]
	s_orn2_b64 s[12:13], vcc, exec
.LBB822_113:
	s_or_b64 exec, exec, s[8:9]
.LBB822_114:
	s_and_b64 s[8:9], s[12:13], exec
.LBB822_115:
	s_or_b64 exec, exec, s[10:11]
	v_cmp_gt_u32_e32 vcc, s52, v28
	s_mov_b64 s[12:13], 0
	s_mov_b64 s[10:11], 0
	s_and_saveexec_b64 s[14:15], vcc
	s_cbranch_execz .LBB822_126
; %bb.116:
	s_and_b64 vcc, exec, s[4:5]
	s_mov_b64 s[38:39], 0
	s_cbranch_vccnz .LBB822_125
; %bb.117:
	v_mul_lo_u32 v20, v9, s26
	v_mul_lo_u32 v21, v8, s27
	v_mad_u64_u32 v[18:19], s[10:11], v8, s26, 0
	v_add3_u32 v19, v19, v21, v20
	v_mul_lo_u32 v20, v3, s26
	v_mul_lo_u32 v21, v2, s27
	v_mad_u64_u32 v[22:23], s[10:11], v2, s26, 0
	v_add3_u32 v23, v23, v21, v20
	v_lshl_add_u64 v[20:21], v[18:19], 3, s[28:29]
	v_lshl_add_u64 v[18:19], v[22:23], 3, s[28:29]
	global_load_dwordx2 v[22:23], v[20:21], off
	global_load_dwordx2 v[24:25], v[18:19], off
	s_mov_b64 s[38:39], -1
	s_waitcnt vmcnt(0)
	v_cmp_eq_f64_e32 vcc, v[22:23], v[24:25]
	s_and_saveexec_b64 s[10:11], vcc
	s_cbranch_execz .LBB822_124
; %bb.118:
	s_add_u32 s38, s26, -1
	v_lshl_add_u64 v[18:19], v[18:19], 0, 8
	v_lshl_add_u64 v[20:21], v[20:21], 0, 8
	s_addc_u32 s39, s27, -1
	s_mov_b64 s[40:41], 0
	s_mov_b64 s[44:45], 0
                                        ; implicit-def: $sgpr42_sgpr43
	s_branch .LBB822_121
.LBB822_119:                            ;   in Loop: Header=BB822_121 Depth=1
	global_load_dwordx2 v[22:23], v[20:21], off
	global_load_dwordx2 v[24:25], v[18:19], off
	s_add_u32 s44, s44, 1
	s_addc_u32 s45, s45, 0
	s_andn2_b64 s[42:43], s[42:43], exec
	v_lshl_add_u64 v[18:19], v[18:19], 0, 8
	v_lshl_add_u64 v[20:21], v[20:21], 0, 8
	s_waitcnt vmcnt(0)
	v_cmp_neq_f64_e32 vcc, v[22:23], v[24:25]
	s_and_b64 s[46:47], vcc, exec
	s_or_b64 s[42:43], s[42:43], s[46:47]
.LBB822_120:                            ;   in Loop: Header=BB822_121 Depth=1
	s_and_b64 s[46:47], exec, s[42:43]
	s_or_b64 s[40:41], s[46:47], s[40:41]
	v_mov_b64_e32 v[22:23], s[44:45]
	s_andn2_b64 exec, exec, s[40:41]
	s_cbranch_execz .LBB822_123
.LBB822_121:                            ; =>This Inner Loop Header: Depth=1
	s_or_b64 s[42:43], s[42:43], exec
	s_cmp_eq_u64 s[38:39], s[44:45]
	s_cbranch_scc0 .LBB822_119
; %bb.122:                              ;   in Loop: Header=BB822_121 Depth=1
                                        ; implicit-def: $vgpr18_vgpr19
                                        ; implicit-def: $vgpr20_vgpr21
	s_mov_b64 s[44:45], s[26:27]
	s_branch .LBB822_120
.LBB822_123:
	s_or_b64 exec, exec, s[40:41]
	v_cmp_gt_i64_e32 vcc, s[26:27], v[22:23]
	s_orn2_b64 s[38:39], vcc, exec
.LBB822_124:
	s_or_b64 exec, exec, s[10:11]
.LBB822_125:
	s_and_b64 s[10:11], s[38:39], exec
.LBB822_126:
	s_or_b64 exec, exec, s[14:15]
	v_cmp_gt_u32_e32 vcc, s52, v30
	s_and_saveexec_b64 s[14:15], vcc
	s_cbranch_execz .LBB822_137
; %bb.127:
	s_and_b64 vcc, exec, s[4:5]
	s_mov_b64 s[38:39], 0
	s_cbranch_vccnz .LBB822_136
; %bb.128:
	v_mul_lo_u32 v20, v7, s26
	v_mul_lo_u32 v21, v6, s27
	v_mad_u64_u32 v[18:19], s[12:13], v6, s26, 0
	v_add3_u32 v19, v19, v21, v20
	v_mul_lo_u32 v20, v9, s26
	v_mul_lo_u32 v21, v8, s27
	v_mad_u64_u32 v[22:23], s[12:13], v8, s26, 0
	v_add3_u32 v23, v23, v21, v20
	v_lshl_add_u64 v[20:21], v[18:19], 3, s[28:29]
	v_lshl_add_u64 v[18:19], v[22:23], 3, s[28:29]
	global_load_dwordx2 v[22:23], v[20:21], off
	global_load_dwordx2 v[24:25], v[18:19], off
	s_mov_b64 s[38:39], -1
	s_waitcnt vmcnt(0)
	v_cmp_eq_f64_e32 vcc, v[22:23], v[24:25]
	s_and_saveexec_b64 s[12:13], vcc
	s_cbranch_execz .LBB822_135
; %bb.129:
	s_add_u32 s38, s26, -1
	v_lshl_add_u64 v[18:19], v[18:19], 0, 8
	v_lshl_add_u64 v[20:21], v[20:21], 0, 8
	s_addc_u32 s39, s27, -1
	s_mov_b64 s[40:41], 0
	s_mov_b64 s[44:45], 0
                                        ; implicit-def: $sgpr42_sgpr43
	s_branch .LBB822_132
.LBB822_130:                            ;   in Loop: Header=BB822_132 Depth=1
	global_load_dwordx2 v[22:23], v[20:21], off
	global_load_dwordx2 v[24:25], v[18:19], off
	s_add_u32 s44, s44, 1
	s_addc_u32 s45, s45, 0
	s_andn2_b64 s[42:43], s[42:43], exec
	v_lshl_add_u64 v[18:19], v[18:19], 0, 8
	v_lshl_add_u64 v[20:21], v[20:21], 0, 8
	s_waitcnt vmcnt(0)
	v_cmp_neq_f64_e32 vcc, v[22:23], v[24:25]
	s_and_b64 s[46:47], vcc, exec
	s_or_b64 s[42:43], s[42:43], s[46:47]
.LBB822_131:                            ;   in Loop: Header=BB822_132 Depth=1
	s_and_b64 s[46:47], exec, s[42:43]
	s_or_b64 s[40:41], s[46:47], s[40:41]
	v_mov_b64_e32 v[22:23], s[44:45]
	s_andn2_b64 exec, exec, s[40:41]
	s_cbranch_execz .LBB822_134
.LBB822_132:                            ; =>This Inner Loop Header: Depth=1
	s_or_b64 s[42:43], s[42:43], exec
	s_cmp_eq_u64 s[38:39], s[44:45]
	s_cbranch_scc0 .LBB822_130
; %bb.133:                              ;   in Loop: Header=BB822_132 Depth=1
                                        ; implicit-def: $vgpr18_vgpr19
                                        ; implicit-def: $vgpr20_vgpr21
	s_mov_b64 s[44:45], s[26:27]
	s_branch .LBB822_131
.LBB822_134:
	s_or_b64 exec, exec, s[40:41]
	v_cmp_gt_i64_e32 vcc, s[26:27], v[22:23]
	s_orn2_b64 s[38:39], vcc, exec
.LBB822_135:
	s_or_b64 exec, exec, s[12:13]
.LBB822_136:
	s_and_b64 s[12:13], s[38:39], exec
.LBB822_137:
	s_or_b64 exec, exec, s[14:15]
	v_cmp_gt_u32_e32 vcc, s52, v26
	s_mov_b64 s[14:15], 0
	s_mov_b64 s[38:39], 0
	s_and_saveexec_b64 s[40:41], vcc
	s_cbranch_execz .LBB822_148
; %bb.138:
	s_and_b64 vcc, exec, s[4:5]
	s_mov_b64 s[42:43], 0
	s_cbranch_vccnz .LBB822_147
; %bb.139:
	v_mul_lo_u32 v20, v13, s26
	v_mul_lo_u32 v21, v12, s27
	v_mad_u64_u32 v[18:19], s[38:39], v12, s26, 0
	v_add3_u32 v19, v19, v21, v20
	v_mul_lo_u32 v20, v7, s26
	v_mul_lo_u32 v21, v6, s27
	v_mad_u64_u32 v[22:23], s[38:39], v6, s26, 0
	v_add3_u32 v23, v23, v21, v20
	v_lshl_add_u64 v[20:21], v[18:19], 3, s[28:29]
	v_lshl_add_u64 v[18:19], v[22:23], 3, s[28:29]
	global_load_dwordx2 v[22:23], v[20:21], off
	global_load_dwordx2 v[24:25], v[18:19], off
	s_mov_b64 s[42:43], -1
	s_waitcnt vmcnt(0)
	v_cmp_eq_f64_e32 vcc, v[22:23], v[24:25]
	s_and_saveexec_b64 s[38:39], vcc
	s_cbranch_execz .LBB822_146
; %bb.140:
	s_add_u32 s42, s26, -1
	v_lshl_add_u64 v[18:19], v[18:19], 0, 8
	v_lshl_add_u64 v[20:21], v[20:21], 0, 8
	s_addc_u32 s43, s27, -1
	s_mov_b64 s[44:45], 0
	s_mov_b64 s[48:49], 0
                                        ; implicit-def: $sgpr46_sgpr47
	s_branch .LBB822_143
.LBB822_141:                            ;   in Loop: Header=BB822_143 Depth=1
	global_load_dwordx2 v[22:23], v[20:21], off
	global_load_dwordx2 v[24:25], v[18:19], off
	s_add_u32 s48, s48, 1
	s_addc_u32 s49, s49, 0
	s_andn2_b64 s[46:47], s[46:47], exec
	v_lshl_add_u64 v[18:19], v[18:19], 0, 8
	v_lshl_add_u64 v[20:21], v[20:21], 0, 8
	s_waitcnt vmcnt(0)
	v_cmp_neq_f64_e32 vcc, v[22:23], v[24:25]
	s_and_b64 s[50:51], vcc, exec
	s_or_b64 s[46:47], s[46:47], s[50:51]
.LBB822_142:                            ;   in Loop: Header=BB822_143 Depth=1
	s_and_b64 s[50:51], exec, s[46:47]
	s_or_b64 s[44:45], s[50:51], s[44:45]
	v_mov_b64_e32 v[22:23], s[48:49]
	s_andn2_b64 exec, exec, s[44:45]
	s_cbranch_execz .LBB822_145
.LBB822_143:                            ; =>This Inner Loop Header: Depth=1
	s_or_b64 s[46:47], s[46:47], exec
	s_cmp_eq_u64 s[42:43], s[48:49]
	s_cbranch_scc0 .LBB822_141
; %bb.144:                              ;   in Loop: Header=BB822_143 Depth=1
                                        ; implicit-def: $vgpr18_vgpr19
                                        ; implicit-def: $vgpr20_vgpr21
	s_mov_b64 s[48:49], s[26:27]
	s_branch .LBB822_142
.LBB822_145:
	s_or_b64 exec, exec, s[44:45]
	v_cmp_gt_i64_e32 vcc, s[26:27], v[22:23]
	s_orn2_b64 s[42:43], vcc, exec
.LBB822_146:
	s_or_b64 exec, exec, s[38:39]
.LBB822_147:
	s_and_b64 s[38:39], s[42:43], exec
.LBB822_148:
	s_or_b64 exec, exec, s[40:41]
	v_cmp_gt_u32_e32 vcc, s52, v27
	s_and_saveexec_b64 s[40:41], vcc
	s_cbranch_execz .LBB822_159
; %bb.149:
	s_and_b64 vcc, exec, s[4:5]
	s_mov_b64 s[42:43], 0
	s_cbranch_vccnz .LBB822_158
; %bb.150:
	v_mul_lo_u32 v20, v11, s26
	v_mul_lo_u32 v21, v10, s27
	v_mad_u64_u32 v[18:19], s[14:15], v10, s26, 0
	v_add3_u32 v19, v19, v21, v20
	v_mul_lo_u32 v20, v13, s26
	v_mul_lo_u32 v21, v12, s27
	v_mad_u64_u32 v[22:23], s[14:15], v12, s26, 0
	v_add3_u32 v23, v23, v21, v20
	v_lshl_add_u64 v[20:21], v[18:19], 3, s[28:29]
	v_lshl_add_u64 v[18:19], v[22:23], 3, s[28:29]
	global_load_dwordx2 v[22:23], v[20:21], off
	global_load_dwordx2 v[24:25], v[18:19], off
	s_mov_b64 s[42:43], -1
	s_waitcnt vmcnt(0)
	v_cmp_eq_f64_e32 vcc, v[22:23], v[24:25]
	s_and_saveexec_b64 s[14:15], vcc
	s_cbranch_execz .LBB822_157
; %bb.151:
	s_add_u32 s42, s26, -1
	v_lshl_add_u64 v[18:19], v[18:19], 0, 8
	v_lshl_add_u64 v[20:21], v[20:21], 0, 8
	s_addc_u32 s43, s27, -1
	s_mov_b64 s[44:45], 0
	s_mov_b64 s[48:49], 0
                                        ; implicit-def: $sgpr46_sgpr47
	s_branch .LBB822_154
.LBB822_152:                            ;   in Loop: Header=BB822_154 Depth=1
	global_load_dwordx2 v[22:23], v[20:21], off
	global_load_dwordx2 v[24:25], v[18:19], off
	s_add_u32 s48, s48, 1
	s_addc_u32 s49, s49, 0
	s_andn2_b64 s[46:47], s[46:47], exec
	v_lshl_add_u64 v[18:19], v[18:19], 0, 8
	v_lshl_add_u64 v[20:21], v[20:21], 0, 8
	s_waitcnt vmcnt(0)
	v_cmp_neq_f64_e32 vcc, v[22:23], v[24:25]
	s_and_b64 s[50:51], vcc, exec
	s_or_b64 s[46:47], s[46:47], s[50:51]
.LBB822_153:                            ;   in Loop: Header=BB822_154 Depth=1
	s_and_b64 s[50:51], exec, s[46:47]
	s_or_b64 s[44:45], s[50:51], s[44:45]
	v_mov_b64_e32 v[22:23], s[48:49]
	s_andn2_b64 exec, exec, s[44:45]
	s_cbranch_execz .LBB822_156
.LBB822_154:                            ; =>This Inner Loop Header: Depth=1
	s_or_b64 s[46:47], s[46:47], exec
	s_cmp_eq_u64 s[42:43], s[48:49]
	s_cbranch_scc0 .LBB822_152
; %bb.155:                              ;   in Loop: Header=BB822_154 Depth=1
                                        ; implicit-def: $vgpr18_vgpr19
                                        ; implicit-def: $vgpr20_vgpr21
	s_mov_b64 s[48:49], s[26:27]
	s_branch .LBB822_153
.LBB822_156:
	s_or_b64 exec, exec, s[44:45]
	v_cmp_gt_i64_e32 vcc, s[26:27], v[22:23]
	s_orn2_b64 s[42:43], vcc, exec
.LBB822_157:
	s_or_b64 exec, exec, s[14:15]
.LBB822_158:
	s_and_b64 s[14:15], s[42:43], exec
.LBB822_159:
	s_or_b64 exec, exec, s[40:41]
	s_waitcnt lgkmcnt(0)
	s_barrier
	s_and_saveexec_b64 s[40:41], s[2:3]
	s_cbranch_execz .LBB822_161
; %bb.160:
	s_waitcnt vmcnt(0)
	v_add_u32_e32 v16, -8, v33
	ds_read_b64 v[16:17], v16
.LBB822_161:
	s_or_b64 exec, exec, s[40:41]
	v_cndmask_b32_e64 v19, 0, 1, s[12:13]
	v_cndmask_b32_e64 v18, 0, 1, s[38:39]
	;; [unrolled: 1-line block ×3, first 2 shown]
	v_lshlrev_b16_e32 v19, 8, v19
	v_cmp_gt_u32_e32 vcc, s52, v1
	v_lshlrev_b16_e32 v22, 8, v20
	v_or_b32_sdwa v23, v18, v19 dst_sel:WORD_1 dst_unused:UNUSED_PAD src0_sel:DWORD src1_sel:DWORD
	s_mov_b64 s[12:13], 0
	s_and_saveexec_b64 s[14:15], vcc
	s_cbranch_execz .LBB822_172
; %bb.162:
	s_and_b64 vcc, exec, s[4:5]
	s_cbranch_vccnz .LBB822_171
; %bb.163:
	s_waitcnt vmcnt(0) lgkmcnt(0)
	v_mul_lo_u32 v18, v17, s26
	v_mul_lo_u32 v19, v16, s27
	v_mad_u64_u32 v[16:17], s[4:5], v16, s26, 0
	v_add3_u32 v17, v17, v19, v18
	v_mul_lo_u32 v18, v11, s26
	v_mul_lo_u32 v19, v10, s27
	v_mad_u64_u32 v[20:21], s[4:5], v10, s26, 0
	v_add3_u32 v21, v21, v19, v18
	v_lshl_add_u64 v[18:19], v[16:17], 3, s[28:29]
	v_lshl_add_u64 v[16:17], v[20:21], 3, s[28:29]
	global_load_dwordx2 v[20:21], v[18:19], off
	global_load_dwordx2 v[24:25], v[16:17], off
	s_mov_b64 s[12:13], -1
	s_waitcnt vmcnt(0)
	v_cmp_eq_f64_e32 vcc, v[20:21], v[24:25]
	s_and_saveexec_b64 s[4:5], vcc
	s_cbranch_execz .LBB822_170
; %bb.164:
	s_add_u32 s12, s26, -1
	v_lshl_add_u64 v[16:17], v[16:17], 0, 8
	v_lshl_add_u64 v[18:19], v[18:19], 0, 8
	s_addc_u32 s13, s27, -1
	s_mov_b64 s[38:39], 0
	s_mov_b64 s[42:43], 0
                                        ; implicit-def: $sgpr40_sgpr41
	s_branch .LBB822_167
.LBB822_165:                            ;   in Loop: Header=BB822_167 Depth=1
	global_load_dwordx2 v[20:21], v[18:19], off
	global_load_dwordx2 v[24:25], v[16:17], off
	s_add_u32 s42, s42, 1
	s_addc_u32 s43, s43, 0
	s_andn2_b64 s[40:41], s[40:41], exec
	v_lshl_add_u64 v[16:17], v[16:17], 0, 8
	v_lshl_add_u64 v[18:19], v[18:19], 0, 8
	s_waitcnt vmcnt(0)
	v_cmp_neq_f64_e32 vcc, v[20:21], v[24:25]
	s_and_b64 s[44:45], vcc, exec
	s_or_b64 s[40:41], s[40:41], s[44:45]
.LBB822_166:                            ;   in Loop: Header=BB822_167 Depth=1
	s_and_b64 s[44:45], exec, s[40:41]
	s_or_b64 s[38:39], s[44:45], s[38:39]
	v_mov_b64_e32 v[20:21], s[42:43]
	s_andn2_b64 exec, exec, s[38:39]
	s_cbranch_execz .LBB822_169
.LBB822_167:                            ; =>This Inner Loop Header: Depth=1
	s_or_b64 s[40:41], s[40:41], exec
	s_cmp_eq_u64 s[12:13], s[42:43]
	s_cbranch_scc0 .LBB822_165
; %bb.168:                              ;   in Loop: Header=BB822_167 Depth=1
                                        ; implicit-def: $vgpr16_vgpr17
                                        ; implicit-def: $vgpr18_vgpr19
	s_mov_b64 s[42:43], s[26:27]
	s_branch .LBB822_166
.LBB822_169:
	s_or_b64 exec, exec, s[38:39]
	v_cmp_gt_i64_e32 vcc, s[26:27], v[20:21]
	s_orn2_b64 s[12:13], vcc, exec
.LBB822_170:
	s_or_b64 exec, exec, s[4:5]
.LBB822_171:
	s_and_b64 s[12:13], s[12:13], exec
.LBB822_172:
	s_or_b64 exec, exec, s[14:15]
	v_cndmask_b32_e64 v25, 0, 1, s[10:11]
	v_cndmask_b32_e64 v34, 0, 1, s[8:9]
	;; [unrolled: 1-line block ×3, first 2 shown]
	v_or_b32_e32 v20, v22, v23
.LBB822_173:
	s_mov_b64 s[8:9], -1
	s_cbranch_execnz .LBB822_32
.LBB822_174:
	s_movk_i32 s4, 0xffd0
	v_mad_i32_i24 v24, v0, s4, v32
	s_mov_b64 s[10:11], 0
	v_cmp_gt_i64_e64 s[6:7], s[26:27], 0
	s_and_b64 vcc, exec, s[36:37]
	ds_write_b64 v24, v[14:15]
	s_cbranch_vccz .LBB822_182
; %bb.175:
	v_mul_lo_u32 v18, v5, s26
	v_mul_lo_u32 v19, v4, s27
	s_waitcnt vmcnt(0) lgkmcnt(1)
	v_mad_u64_u32 v[16:17], s[4:5], v4, s26, 0
	v_add3_u32 v17, v17, v19, v18
	v_cndmask_b32_e64 v18, 0, 1, s[6:7]
	v_cmp_ne_u32_e64 s[4:5], 1, v18
	s_andn2_b64 vcc, exec, s[6:7]
	v_lshl_add_u64 v[16:17], v[16:17], 3, s[28:29]
	s_cbranch_vccnz .LBB822_185
; %bb.176:
	v_mul_lo_u32 v20, v15, s26
	v_mul_lo_u32 v21, v14, s27
	v_mad_u64_u32 v[18:19], s[10:11], v14, s26, 0
	v_add3_u32 v19, v19, v21, v20
	v_lshl_add_u64 v[18:19], v[18:19], 3, s[28:29]
	global_load_dwordx2 v[20:21], v[16:17], off
	global_load_dwordx2 v[22:23], v[18:19], off
	s_mov_b64 s[10:11], -1
	s_waitcnt vmcnt(0)
	v_cmp_eq_f64_e32 vcc, v[20:21], v[22:23]
	s_and_saveexec_b64 s[12:13], vcc
	s_cbranch_execz .LBB822_184
; %bb.177:
	s_add_u32 s10, s26, -1
	v_lshl_add_u64 v[18:19], v[18:19], 0, 8
	v_lshl_add_u64 v[20:21], v[16:17], 0, 8
	s_addc_u32 s11, s27, -1
	s_mov_b64 s[14:15], 0
	s_mov_b64 s[40:41], 0
                                        ; implicit-def: $sgpr38_sgpr39
	s_branch .LBB822_180
.LBB822_178:                            ;   in Loop: Header=BB822_180 Depth=1
	global_load_dwordx2 v[22:23], v[20:21], off
	global_load_dwordx2 v[32:33], v[18:19], off
	s_add_u32 s40, s40, 1
	s_addc_u32 s41, s41, 0
	s_andn2_b64 s[38:39], s[38:39], exec
	v_lshl_add_u64 v[18:19], v[18:19], 0, 8
	v_lshl_add_u64 v[20:21], v[20:21], 0, 8
	s_waitcnt vmcnt(0)
	v_cmp_neq_f64_e32 vcc, v[22:23], v[32:33]
	s_and_b64 s[42:43], vcc, exec
	s_or_b64 s[38:39], s[38:39], s[42:43]
.LBB822_179:                            ;   in Loop: Header=BB822_180 Depth=1
	s_and_b64 s[42:43], exec, s[38:39]
	s_or_b64 s[14:15], s[42:43], s[14:15]
	v_mov_b64_e32 v[22:23], s[40:41]
	s_andn2_b64 exec, exec, s[14:15]
	s_cbranch_execz .LBB822_183
.LBB822_180:                            ; =>This Inner Loop Header: Depth=1
	s_or_b64 s[38:39], s[38:39], exec
	s_cmp_eq_u64 s[10:11], s[40:41]
	s_cbranch_scc0 .LBB822_178
; %bb.181:                              ;   in Loop: Header=BB822_180 Depth=1
                                        ; implicit-def: $vgpr18_vgpr19
                                        ; implicit-def: $vgpr20_vgpr21
	s_mov_b64 s[40:41], s[26:27]
	s_branch .LBB822_179
.LBB822_182:
                                        ; implicit-def: $sgpr12_sgpr13
                                        ; implicit-def: $vgpr35
                                        ; implicit-def: $vgpr34
                                        ; implicit-def: $vgpr25
                                        ; implicit-def: $vgpr20
                                        ; implicit-def: $vgpr16_vgpr17
	s_cbranch_execnz .LBB822_242
	s_branch .LBB822_322
.LBB822_183:
	s_or_b64 exec, exec, s[14:15]
	v_cmp_gt_i64_e32 vcc, s[26:27], v[22:23]
	s_orn2_b64 s[10:11], vcc, exec
.LBB822_184:
	s_or_b64 exec, exec, s[12:13]
.LBB822_185:
	v_mul_lo_u32 v20, v3, s26
	v_mul_lo_u32 v21, v2, s27
	v_mad_u64_u32 v[18:19], s[12:13], v2, s26, 0
	v_add3_u32 v19, v19, v21, v20
	s_mov_b64 s[12:13], 0
	s_and_b64 vcc, exec, s[4:5]
	v_lshl_add_u64 v[18:19], v[18:19], 3, s[28:29]
	s_mov_b64 s[14:15], 0
	s_cbranch_vccnz .LBB822_194
; %bb.186:
	global_load_dwordx2 v[20:21], v[18:19], off
	global_load_dwordx2 v[22:23], v[16:17], off
	s_mov_b64 s[14:15], -1
	s_waitcnt vmcnt(0)
	v_cmp_eq_f64_e32 vcc, v[20:21], v[22:23]
	s_and_saveexec_b64 s[38:39], vcc
	s_cbranch_execz .LBB822_193
; %bb.187:
	s_add_u32 s14, s26, -1
	v_lshl_add_u64 v[16:17], v[16:17], 0, 8
	v_lshl_add_u64 v[20:21], v[18:19], 0, 8
	s_addc_u32 s15, s27, -1
	s_mov_b64 s[40:41], 0
	s_mov_b64 s[44:45], 0
                                        ; implicit-def: $sgpr42_sgpr43
	s_branch .LBB822_190
.LBB822_188:                            ;   in Loop: Header=BB822_190 Depth=1
	global_load_dwordx2 v[22:23], v[20:21], off
	global_load_dwordx2 v[32:33], v[16:17], off
	s_add_u32 s44, s44, 1
	s_addc_u32 s45, s45, 0
	s_andn2_b64 s[42:43], s[42:43], exec
	v_lshl_add_u64 v[16:17], v[16:17], 0, 8
	v_lshl_add_u64 v[20:21], v[20:21], 0, 8
	s_waitcnt vmcnt(0)
	v_cmp_neq_f64_e32 vcc, v[22:23], v[32:33]
	s_and_b64 s[46:47], vcc, exec
	s_or_b64 s[42:43], s[42:43], s[46:47]
.LBB822_189:                            ;   in Loop: Header=BB822_190 Depth=1
	s_and_b64 s[46:47], exec, s[42:43]
	s_or_b64 s[40:41], s[46:47], s[40:41]
	v_mov_b64_e32 v[22:23], s[44:45]
	s_andn2_b64 exec, exec, s[40:41]
	s_cbranch_execz .LBB822_192
.LBB822_190:                            ; =>This Inner Loop Header: Depth=1
	s_or_b64 s[42:43], s[42:43], exec
	s_cmp_eq_u64 s[14:15], s[44:45]
	s_cbranch_scc0 .LBB822_188
; %bb.191:                              ;   in Loop: Header=BB822_190 Depth=1
                                        ; implicit-def: $vgpr16_vgpr17
                                        ; implicit-def: $vgpr20_vgpr21
	s_mov_b64 s[44:45], s[26:27]
	s_branch .LBB822_189
.LBB822_192:
	s_or_b64 exec, exec, s[40:41]
	v_cmp_gt_i64_e32 vcc, s[26:27], v[22:23]
	s_orn2_b64 s[14:15], vcc, exec
.LBB822_193:
	s_or_b64 exec, exec, s[38:39]
.LBB822_194:
	v_mul_lo_u32 v20, v9, s26
	v_mul_lo_u32 v21, v8, s27
	v_mad_u64_u32 v[16:17], s[38:39], v8, s26, 0
	v_add3_u32 v17, v17, v21, v20
	s_and_b64 vcc, exec, s[4:5]
	v_lshl_add_u64 v[16:17], v[16:17], 3, s[28:29]
	s_cbranch_vccnz .LBB822_203
; %bb.195:
	global_load_dwordx2 v[20:21], v[16:17], off
	global_load_dwordx2 v[22:23], v[18:19], off
	s_mov_b64 s[12:13], -1
	s_waitcnt vmcnt(0)
	v_cmp_eq_f64_e32 vcc, v[20:21], v[22:23]
	s_and_saveexec_b64 s[38:39], vcc
	s_cbranch_execz .LBB822_202
; %bb.196:
	s_add_u32 s12, s26, -1
	v_lshl_add_u64 v[18:19], v[18:19], 0, 8
	v_lshl_add_u64 v[20:21], v[16:17], 0, 8
	s_addc_u32 s13, s27, -1
	s_mov_b64 s[40:41], 0
	s_mov_b64 s[44:45], 0
                                        ; implicit-def: $sgpr42_sgpr43
	s_branch .LBB822_199
.LBB822_197:                            ;   in Loop: Header=BB822_199 Depth=1
	global_load_dwordx2 v[22:23], v[20:21], off
	global_load_dwordx2 v[32:33], v[18:19], off
	s_add_u32 s44, s44, 1
	s_addc_u32 s45, s45, 0
	s_andn2_b64 s[42:43], s[42:43], exec
	v_lshl_add_u64 v[18:19], v[18:19], 0, 8
	v_lshl_add_u64 v[20:21], v[20:21], 0, 8
	s_waitcnt vmcnt(0)
	v_cmp_neq_f64_e32 vcc, v[22:23], v[32:33]
	s_and_b64 s[46:47], vcc, exec
	s_or_b64 s[42:43], s[42:43], s[46:47]
.LBB822_198:                            ;   in Loop: Header=BB822_199 Depth=1
	s_and_b64 s[46:47], exec, s[42:43]
	s_or_b64 s[40:41], s[46:47], s[40:41]
	v_mov_b64_e32 v[22:23], s[44:45]
	s_andn2_b64 exec, exec, s[40:41]
	s_cbranch_execz .LBB822_201
.LBB822_199:                            ; =>This Inner Loop Header: Depth=1
	s_or_b64 s[42:43], s[42:43], exec
	s_cmp_eq_u64 s[12:13], s[44:45]
	s_cbranch_scc0 .LBB822_197
; %bb.200:                              ;   in Loop: Header=BB822_199 Depth=1
                                        ; implicit-def: $vgpr18_vgpr19
                                        ; implicit-def: $vgpr20_vgpr21
	s_mov_b64 s[44:45], s[26:27]
	s_branch .LBB822_198
.LBB822_201:
	s_or_b64 exec, exec, s[40:41]
	v_cmp_gt_i64_e32 vcc, s[26:27], v[22:23]
	s_orn2_b64 s[12:13], vcc, exec
.LBB822_202:
	s_or_b64 exec, exec, s[38:39]
.LBB822_203:
	v_mul_lo_u32 v20, v7, s26
	v_mul_lo_u32 v21, v6, s27
	v_mad_u64_u32 v[18:19], s[38:39], v6, s26, 0
	v_add3_u32 v19, v19, v21, v20
	s_mov_b64 s[38:39], 0
	s_and_b64 vcc, exec, s[4:5]
	v_lshl_add_u64 v[18:19], v[18:19], 3, s[28:29]
	s_mov_b64 s[40:41], 0
	s_cbranch_vccnz .LBB822_212
; %bb.204:
	global_load_dwordx2 v[20:21], v[18:19], off
	global_load_dwordx2 v[22:23], v[16:17], off
	s_mov_b64 s[40:41], -1
	s_waitcnt vmcnt(0)
	v_cmp_eq_f64_e32 vcc, v[20:21], v[22:23]
	s_and_saveexec_b64 s[42:43], vcc
	s_cbranch_execz .LBB822_211
; %bb.205:
	s_add_u32 s40, s26, -1
	v_lshl_add_u64 v[16:17], v[16:17], 0, 8
	v_lshl_add_u64 v[20:21], v[18:19], 0, 8
	s_addc_u32 s41, s27, -1
	s_mov_b64 s[44:45], 0
	s_mov_b64 s[48:49], 0
                                        ; implicit-def: $sgpr46_sgpr47
	s_branch .LBB822_208
.LBB822_206:                            ;   in Loop: Header=BB822_208 Depth=1
	global_load_dwordx2 v[22:23], v[20:21], off
	global_load_dwordx2 v[32:33], v[16:17], off
	s_add_u32 s48, s48, 1
	s_addc_u32 s49, s49, 0
	s_andn2_b64 s[46:47], s[46:47], exec
	v_lshl_add_u64 v[16:17], v[16:17], 0, 8
	v_lshl_add_u64 v[20:21], v[20:21], 0, 8
	s_waitcnt vmcnt(0)
	v_cmp_neq_f64_e32 vcc, v[22:23], v[32:33]
	s_and_b64 s[50:51], vcc, exec
	s_or_b64 s[46:47], s[46:47], s[50:51]
.LBB822_207:                            ;   in Loop: Header=BB822_208 Depth=1
	s_and_b64 s[50:51], exec, s[46:47]
	s_or_b64 s[44:45], s[50:51], s[44:45]
	v_mov_b64_e32 v[22:23], s[48:49]
	s_andn2_b64 exec, exec, s[44:45]
	s_cbranch_execz .LBB822_210
.LBB822_208:                            ; =>This Inner Loop Header: Depth=1
	s_or_b64 s[46:47], s[46:47], exec
	s_cmp_eq_u64 s[40:41], s[48:49]
	s_cbranch_scc0 .LBB822_206
; %bb.209:                              ;   in Loop: Header=BB822_208 Depth=1
                                        ; implicit-def: $vgpr16_vgpr17
                                        ; implicit-def: $vgpr20_vgpr21
	s_mov_b64 s[48:49], s[26:27]
	s_branch .LBB822_207
.LBB822_210:
	s_or_b64 exec, exec, s[44:45]
	v_cmp_gt_i64_e32 vcc, s[26:27], v[22:23]
	s_orn2_b64 s[40:41], vcc, exec
.LBB822_211:
	s_or_b64 exec, exec, s[42:43]
.LBB822_212:
	v_mul_lo_u32 v20, v13, s26
	v_mul_lo_u32 v21, v12, s27
	v_mad_u64_u32 v[16:17], s[42:43], v12, s26, 0
	v_add3_u32 v17, v17, v21, v20
	s_and_b64 vcc, exec, s[4:5]
	v_lshl_add_u64 v[16:17], v[16:17], 3, s[28:29]
	s_cbranch_vccnz .LBB822_221
; %bb.213:
	global_load_dwordx2 v[20:21], v[16:17], off
	global_load_dwordx2 v[22:23], v[18:19], off
	s_mov_b64 s[38:39], -1
	s_waitcnt vmcnt(0)
	v_cmp_eq_f64_e32 vcc, v[20:21], v[22:23]
	s_and_saveexec_b64 s[42:43], vcc
	s_cbranch_execz .LBB822_220
; %bb.214:
	s_add_u32 s38, s26, -1
	v_lshl_add_u64 v[18:19], v[18:19], 0, 8
	v_lshl_add_u64 v[20:21], v[16:17], 0, 8
	s_addc_u32 s39, s27, -1
	s_mov_b64 s[44:45], 0
	s_mov_b64 s[48:49], 0
                                        ; implicit-def: $sgpr46_sgpr47
	s_branch .LBB822_217
.LBB822_215:                            ;   in Loop: Header=BB822_217 Depth=1
	global_load_dwordx2 v[22:23], v[20:21], off
	global_load_dwordx2 v[32:33], v[18:19], off
	s_add_u32 s48, s48, 1
	s_addc_u32 s49, s49, 0
	s_andn2_b64 s[46:47], s[46:47], exec
	v_lshl_add_u64 v[18:19], v[18:19], 0, 8
	v_lshl_add_u64 v[20:21], v[20:21], 0, 8
	s_waitcnt vmcnt(0)
	v_cmp_neq_f64_e32 vcc, v[22:23], v[32:33]
	s_and_b64 s[50:51], vcc, exec
	s_or_b64 s[46:47], s[46:47], s[50:51]
.LBB822_216:                            ;   in Loop: Header=BB822_217 Depth=1
	s_and_b64 s[50:51], exec, s[46:47]
	s_or_b64 s[44:45], s[50:51], s[44:45]
	v_mov_b64_e32 v[22:23], s[48:49]
	s_andn2_b64 exec, exec, s[44:45]
	s_cbranch_execz .LBB822_219
.LBB822_217:                            ; =>This Inner Loop Header: Depth=1
	s_or_b64 s[46:47], s[46:47], exec
	s_cmp_eq_u64 s[38:39], s[48:49]
	s_cbranch_scc0 .LBB822_215
; %bb.218:                              ;   in Loop: Header=BB822_217 Depth=1
                                        ; implicit-def: $vgpr18_vgpr19
                                        ; implicit-def: $vgpr20_vgpr21
	s_mov_b64 s[48:49], s[26:27]
	s_branch .LBB822_216
.LBB822_219:
	s_or_b64 exec, exec, s[44:45]
	v_cmp_gt_i64_e32 vcc, s[26:27], v[22:23]
	s_orn2_b64 s[38:39], vcc, exec
.LBB822_220:
	s_or_b64 exec, exec, s[42:43]
.LBB822_221:
	v_mul_lo_u32 v20, v11, s26
	v_mul_lo_u32 v21, v10, s27
	v_mad_u64_u32 v[18:19], s[42:43], v10, s26, 0
	v_add3_u32 v19, v19, v21, v20
	s_and_b64 vcc, exec, s[4:5]
	s_mov_b64 s[44:45], 0
	s_cbranch_vccnz .LBB822_230
; %bb.222:
	v_lshl_add_u64 v[20:21], v[18:19], 3, s[28:29]
	global_load_dwordx2 v[22:23], v[20:21], off
	global_load_dwordx2 v[32:33], v[16:17], off
	s_mov_b64 s[44:45], -1
	s_waitcnt vmcnt(0)
	v_cmp_eq_f64_e32 vcc, v[22:23], v[32:33]
	s_and_saveexec_b64 s[42:43], vcc
	s_cbranch_execz .LBB822_229
; %bb.223:
	s_add_u32 s44, s26, -1
	v_lshl_add_u64 v[16:17], v[16:17], 0, 8
	v_lshl_add_u64 v[20:21], v[20:21], 0, 8
	s_addc_u32 s45, s27, -1
	s_mov_b64 s[46:47], 0
	s_mov_b64 s[50:51], 0
                                        ; implicit-def: $sgpr48_sgpr49
	s_branch .LBB822_226
.LBB822_224:                            ;   in Loop: Header=BB822_226 Depth=1
	global_load_dwordx2 v[22:23], v[20:21], off
	global_load_dwordx2 v[32:33], v[16:17], off
	s_add_u32 s50, s50, 1
	s_addc_u32 s51, s51, 0
	s_andn2_b64 s[48:49], s[48:49], exec
	v_lshl_add_u64 v[16:17], v[16:17], 0, 8
	v_lshl_add_u64 v[20:21], v[20:21], 0, 8
	s_waitcnt vmcnt(0)
	v_cmp_neq_f64_e32 vcc, v[22:23], v[32:33]
	s_and_b64 s[54:55], vcc, exec
	s_or_b64 s[48:49], s[48:49], s[54:55]
.LBB822_225:                            ;   in Loop: Header=BB822_226 Depth=1
	s_and_b64 s[54:55], exec, s[48:49]
	s_or_b64 s[46:47], s[54:55], s[46:47]
	v_mov_b64_e32 v[22:23], s[50:51]
	s_andn2_b64 exec, exec, s[46:47]
	s_cbranch_execz .LBB822_228
.LBB822_226:                            ; =>This Inner Loop Header: Depth=1
	s_or_b64 s[48:49], s[48:49], exec
	s_cmp_eq_u64 s[44:45], s[50:51]
	s_cbranch_scc0 .LBB822_224
; %bb.227:                              ;   in Loop: Header=BB822_226 Depth=1
                                        ; implicit-def: $vgpr16_vgpr17
                                        ; implicit-def: $vgpr20_vgpr21
	s_mov_b64 s[50:51], s[26:27]
	s_branch .LBB822_225
.LBB822_228:
	s_or_b64 exec, exec, s[46:47]
	v_cmp_gt_i64_e32 vcc, s[26:27], v[22:23]
	s_orn2_b64 s[44:45], vcc, exec
.LBB822_229:
	s_or_b64 exec, exec, s[42:43]
.LBB822_230:
	v_cndmask_b32_e64 v17, 0, 1, s[40:41]
	v_cndmask_b32_e64 v16, 0, 1, s[38:39]
	;; [unrolled: 1-line block ×3, first 2 shown]
	v_lshlrev_b16_e32 v17, 8, v17
	v_cndmask_b32_e64 v25, 0, 1, s[12:13]
	v_cndmask_b32_e64 v20, 0, 1, s[44:45]
	v_or_b32_sdwa v16, v16, v17 dst_sel:WORD_1 dst_unused:UNUSED_PAD src0_sel:DWORD src1_sel:DWORD
	v_lshlrev_b16_e32 v17, 8, v34
	v_lshlrev_b16_e32 v20, 8, v20
	v_or_b32_e32 v17, v25, v17
	v_or_b32_e32 v20, 1, v20
	v_and_b32_e32 v17, 0xffff, v17
	v_cndmask_b32_e64 v35, 0, 1, s[10:11]
	v_or_b32_sdwa v16, v20, v16 dst_sel:DWORD dst_unused:UNUSED_PAD src0_sel:WORD_0 src1_sel:DWORD
	v_lshl_or_b32 v17, v35, 16, v17
	s_waitcnt lgkmcnt(0)
	s_barrier
	s_waitcnt lgkmcnt(0)
                                        ; implicit-def: $sgpr12_sgpr13
                                        ; implicit-def: $vgpr20
	s_and_saveexec_b64 s[10:11], s[2:3]
	s_xor_b64 s[10:11], exec, s[10:11]
	s_cbranch_execz .LBB822_241
; %bb.231:
	s_mov_b32 s42, 0x3020104
	s_and_b64 vcc, exec, s[4:5]
	s_mov_b64 s[12:13], 0
	s_cbranch_vccnz .LBB822_240
; %bb.232:
	v_add_u32_e32 v17, -8, v24
	ds_read_b64 v[20:21], v17
	v_lshl_add_u64 v[18:19], v[18:19], 3, s[28:29]
	s_mov_b64 s[12:13], -1
	s_waitcnt lgkmcnt(0)
	v_mul_lo_u32 v17, v21, s26
	v_mul_lo_u32 v22, v20, s27
	v_mad_u64_u32 v[20:21], s[4:5], v20, s26, 0
	v_add3_u32 v21, v21, v22, v17
	v_lshl_add_u64 v[20:21], v[20:21], 3, s[28:29]
	global_load_dwordx2 v[22:23], v[20:21], off
	global_load_dwordx2 v[32:33], v[18:19], off
	s_waitcnt vmcnt(0)
	v_cmp_eq_f64_e32 vcc, v[22:23], v[32:33]
	s_and_saveexec_b64 s[4:5], vcc
	s_cbranch_execz .LBB822_239
; %bb.233:
	s_add_u32 s12, s26, -1
	v_lshl_add_u64 v[18:19], v[18:19], 0, 8
	v_lshl_add_u64 v[20:21], v[20:21], 0, 8
	s_addc_u32 s13, s27, -1
	s_mov_b64 s[14:15], 0
	s_mov_b64 s[40:41], 0
                                        ; implicit-def: $sgpr38_sgpr39
	s_branch .LBB822_236
.LBB822_234:                            ;   in Loop: Header=BB822_236 Depth=1
	global_load_dwordx2 v[22:23], v[20:21], off
	global_load_dwordx2 v[32:33], v[18:19], off
	s_add_u32 s40, s40, 1
	s_addc_u32 s41, s41, 0
	s_andn2_b64 s[38:39], s[38:39], exec
	v_lshl_add_u64 v[18:19], v[18:19], 0, 8
	v_lshl_add_u64 v[20:21], v[20:21], 0, 8
	s_waitcnt vmcnt(0)
	v_cmp_neq_f64_e32 vcc, v[22:23], v[32:33]
	s_and_b64 s[44:45], vcc, exec
	s_or_b64 s[38:39], s[38:39], s[44:45]
.LBB822_235:                            ;   in Loop: Header=BB822_236 Depth=1
	s_and_b64 s[44:45], exec, s[38:39]
	s_or_b64 s[14:15], s[44:45], s[14:15]
	v_mov_b64_e32 v[22:23], s[40:41]
	s_andn2_b64 exec, exec, s[14:15]
	s_cbranch_execz .LBB822_238
.LBB822_236:                            ; =>This Inner Loop Header: Depth=1
	s_or_b64 s[38:39], s[38:39], exec
	s_cmp_eq_u64 s[12:13], s[40:41]
	s_cbranch_scc0 .LBB822_234
; %bb.237:                              ;   in Loop: Header=BB822_236 Depth=1
                                        ; implicit-def: $vgpr18_vgpr19
                                        ; implicit-def: $vgpr20_vgpr21
	s_mov_b64 s[40:41], s[26:27]
	s_branch .LBB822_235
.LBB822_238:
	s_or_b64 exec, exec, s[14:15]
	v_cmp_gt_i64_e32 vcc, s[26:27], v[22:23]
	s_orn2_b64 s[12:13], vcc, exec
.LBB822_239:
	s_or_b64 exec, exec, s[4:5]
.LBB822_240:
	v_perm_b32 v20, v16, v16, s42
	s_and_b64 s[12:13], s[12:13], exec
	s_or_b64 s[8:9], s[8:9], exec
                                        ; implicit-def: $vgpr16_vgpr17
.LBB822_241:
	s_or_b64 exec, exec, s[10:11]
	s_branch .LBB822_322
.LBB822_242:
	v_cmp_gt_u32_e32 vcc, s52, v29
	s_mov_b64 s[10:11], 0
	s_mov_b64 s[4:5], 0
	s_and_saveexec_b64 s[12:13], vcc
	s_cbranch_execz .LBB822_253
; %bb.243:
	s_andn2_b64 vcc, exec, s[6:7]
	s_mov_b64 s[14:15], 0
	s_cbranch_vccnz .LBB822_252
; %bb.244:
	v_mul_lo_u32 v18, v5, s26
	v_mul_lo_u32 v19, v4, s27
	s_waitcnt vmcnt(0) lgkmcnt(1)
	v_mad_u64_u32 v[16:17], s[4:5], v4, s26, 0
	v_add3_u32 v17, v17, v19, v18
	v_mul_lo_u32 v18, v15, s26
	v_mul_lo_u32 v19, v14, s27
	v_mad_u64_u32 v[20:21], s[4:5], v14, s26, 0
	v_add3_u32 v21, v21, v19, v18
	v_lshl_add_u64 v[18:19], v[16:17], 3, s[28:29]
	v_lshl_add_u64 v[16:17], v[20:21], 3, s[28:29]
	global_load_dwordx2 v[20:21], v[18:19], off
	global_load_dwordx2 v[22:23], v[16:17], off
	s_mov_b64 s[14:15], -1
	s_waitcnt vmcnt(0)
	v_cmp_eq_f64_e32 vcc, v[20:21], v[22:23]
	s_and_saveexec_b64 s[4:5], vcc
	s_cbranch_execz .LBB822_251
; %bb.245:
	s_add_u32 s14, s26, -1
	v_lshl_add_u64 v[16:17], v[16:17], 0, 8
	v_lshl_add_u64 v[18:19], v[18:19], 0, 8
	s_addc_u32 s15, s27, -1
	s_mov_b64 s[38:39], 0
	s_mov_b64 s[42:43], 0
                                        ; implicit-def: $sgpr40_sgpr41
	s_branch .LBB822_248
.LBB822_246:                            ;   in Loop: Header=BB822_248 Depth=1
	global_load_dwordx2 v[20:21], v[18:19], off
	global_load_dwordx2 v[22:23], v[16:17], off
	s_add_u32 s42, s42, 1
	s_addc_u32 s43, s43, 0
	s_andn2_b64 s[40:41], s[40:41], exec
	v_lshl_add_u64 v[16:17], v[16:17], 0, 8
	v_lshl_add_u64 v[18:19], v[18:19], 0, 8
	s_waitcnt vmcnt(0)
	v_cmp_neq_f64_e32 vcc, v[20:21], v[22:23]
	s_and_b64 s[44:45], vcc, exec
	s_or_b64 s[40:41], s[40:41], s[44:45]
.LBB822_247:                            ;   in Loop: Header=BB822_248 Depth=1
	s_and_b64 s[44:45], exec, s[40:41]
	s_or_b64 s[38:39], s[44:45], s[38:39]
	v_mov_b64_e32 v[20:21], s[42:43]
	s_andn2_b64 exec, exec, s[38:39]
	s_cbranch_execz .LBB822_250
.LBB822_248:                            ; =>This Inner Loop Header: Depth=1
	s_or_b64 s[40:41], s[40:41], exec
	s_cmp_eq_u64 s[14:15], s[42:43]
	s_cbranch_scc0 .LBB822_246
; %bb.249:                              ;   in Loop: Header=BB822_248 Depth=1
                                        ; implicit-def: $vgpr16_vgpr17
                                        ; implicit-def: $vgpr18_vgpr19
	s_mov_b64 s[42:43], s[26:27]
	s_branch .LBB822_247
.LBB822_250:
	s_or_b64 exec, exec, s[38:39]
	v_cmp_gt_i64_e32 vcc, s[26:27], v[20:21]
	s_orn2_b64 s[14:15], vcc, exec
.LBB822_251:
	s_or_b64 exec, exec, s[4:5]
.LBB822_252:
	s_and_b64 s[4:5], s[14:15], exec
.LBB822_253:
	s_or_b64 exec, exec, s[12:13]
	v_cmp_gt_u32_e32 vcc, s52, v31
	s_and_saveexec_b64 s[12:13], vcc
	s_cbranch_execz .LBB822_264
; %bb.254:
	s_andn2_b64 vcc, exec, s[6:7]
	s_mov_b64 s[14:15], 0
	s_cbranch_vccnz .LBB822_263
; %bb.255:
	v_mul_lo_u32 v18, v3, s26
	v_mul_lo_u32 v19, v2, s27
	s_waitcnt vmcnt(0) lgkmcnt(1)
	v_mad_u64_u32 v[16:17], s[10:11], v2, s26, 0
	v_add3_u32 v17, v17, v19, v18
	v_mul_lo_u32 v18, v5, s26
	v_mul_lo_u32 v19, v4, s27
	v_mad_u64_u32 v[20:21], s[10:11], v4, s26, 0
	v_add3_u32 v21, v21, v19, v18
	v_lshl_add_u64 v[18:19], v[16:17], 3, s[28:29]
	v_lshl_add_u64 v[16:17], v[20:21], 3, s[28:29]
	global_load_dwordx2 v[20:21], v[18:19], off
	global_load_dwordx2 v[22:23], v[16:17], off
	s_mov_b64 s[14:15], -1
	s_waitcnt vmcnt(0)
	v_cmp_eq_f64_e32 vcc, v[20:21], v[22:23]
	s_and_saveexec_b64 s[10:11], vcc
	s_cbranch_execz .LBB822_262
; %bb.256:
	s_add_u32 s14, s26, -1
	v_lshl_add_u64 v[16:17], v[16:17], 0, 8
	v_lshl_add_u64 v[18:19], v[18:19], 0, 8
	s_addc_u32 s15, s27, -1
	s_mov_b64 s[38:39], 0
	s_mov_b64 s[42:43], 0
                                        ; implicit-def: $sgpr40_sgpr41
	s_branch .LBB822_259
.LBB822_257:                            ;   in Loop: Header=BB822_259 Depth=1
	global_load_dwordx2 v[20:21], v[18:19], off
	global_load_dwordx2 v[22:23], v[16:17], off
	s_add_u32 s42, s42, 1
	s_addc_u32 s43, s43, 0
	s_andn2_b64 s[40:41], s[40:41], exec
	v_lshl_add_u64 v[16:17], v[16:17], 0, 8
	v_lshl_add_u64 v[18:19], v[18:19], 0, 8
	s_waitcnt vmcnt(0)
	v_cmp_neq_f64_e32 vcc, v[20:21], v[22:23]
	s_and_b64 s[44:45], vcc, exec
	s_or_b64 s[40:41], s[40:41], s[44:45]
.LBB822_258:                            ;   in Loop: Header=BB822_259 Depth=1
	s_and_b64 s[44:45], exec, s[40:41]
	s_or_b64 s[38:39], s[44:45], s[38:39]
	v_mov_b64_e32 v[20:21], s[42:43]
	s_andn2_b64 exec, exec, s[38:39]
	s_cbranch_execz .LBB822_261
.LBB822_259:                            ; =>This Inner Loop Header: Depth=1
	s_or_b64 s[40:41], s[40:41], exec
	s_cmp_eq_u64 s[14:15], s[42:43]
	s_cbranch_scc0 .LBB822_257
; %bb.260:                              ;   in Loop: Header=BB822_259 Depth=1
                                        ; implicit-def: $vgpr16_vgpr17
                                        ; implicit-def: $vgpr18_vgpr19
	s_mov_b64 s[42:43], s[26:27]
	s_branch .LBB822_258
.LBB822_261:
	s_or_b64 exec, exec, s[38:39]
	v_cmp_gt_i64_e32 vcc, s[26:27], v[20:21]
	s_orn2_b64 s[14:15], vcc, exec
.LBB822_262:
	s_or_b64 exec, exec, s[10:11]
.LBB822_263:
	s_and_b64 s[10:11], s[14:15], exec
.LBB822_264:
	s_or_b64 exec, exec, s[12:13]
	v_cmp_gt_u32_e32 vcc, s52, v28
	s_mov_b64 s[14:15], 0
	s_mov_b64 s[12:13], 0
	s_and_saveexec_b64 s[38:39], vcc
	s_cbranch_execz .LBB822_275
; %bb.265:
	s_andn2_b64 vcc, exec, s[6:7]
	s_mov_b64 s[40:41], 0
	s_cbranch_vccnz .LBB822_274
; %bb.266:
	v_mul_lo_u32 v18, v9, s26
	v_mul_lo_u32 v19, v8, s27
	s_waitcnt vmcnt(0) lgkmcnt(1)
	v_mad_u64_u32 v[16:17], s[12:13], v8, s26, 0
	v_add3_u32 v17, v17, v19, v18
	v_mul_lo_u32 v18, v3, s26
	v_mul_lo_u32 v19, v2, s27
	v_mad_u64_u32 v[20:21], s[12:13], v2, s26, 0
	v_add3_u32 v21, v21, v19, v18
	v_lshl_add_u64 v[18:19], v[16:17], 3, s[28:29]
	v_lshl_add_u64 v[16:17], v[20:21], 3, s[28:29]
	global_load_dwordx2 v[20:21], v[18:19], off
	global_load_dwordx2 v[22:23], v[16:17], off
	s_mov_b64 s[40:41], -1
	s_waitcnt vmcnt(0)
	v_cmp_eq_f64_e32 vcc, v[20:21], v[22:23]
	s_and_saveexec_b64 s[12:13], vcc
	s_cbranch_execz .LBB822_273
; %bb.267:
	s_add_u32 s40, s26, -1
	v_lshl_add_u64 v[16:17], v[16:17], 0, 8
	v_lshl_add_u64 v[18:19], v[18:19], 0, 8
	s_addc_u32 s41, s27, -1
	s_mov_b64 s[42:43], 0
	s_mov_b64 s[46:47], 0
                                        ; implicit-def: $sgpr44_sgpr45
	s_branch .LBB822_270
.LBB822_268:                            ;   in Loop: Header=BB822_270 Depth=1
	global_load_dwordx2 v[20:21], v[18:19], off
	global_load_dwordx2 v[22:23], v[16:17], off
	s_add_u32 s46, s46, 1
	s_addc_u32 s47, s47, 0
	s_andn2_b64 s[44:45], s[44:45], exec
	v_lshl_add_u64 v[16:17], v[16:17], 0, 8
	v_lshl_add_u64 v[18:19], v[18:19], 0, 8
	s_waitcnt vmcnt(0)
	v_cmp_neq_f64_e32 vcc, v[20:21], v[22:23]
	s_and_b64 s[48:49], vcc, exec
	s_or_b64 s[44:45], s[44:45], s[48:49]
.LBB822_269:                            ;   in Loop: Header=BB822_270 Depth=1
	s_and_b64 s[48:49], exec, s[44:45]
	s_or_b64 s[42:43], s[48:49], s[42:43]
	v_mov_b64_e32 v[20:21], s[46:47]
	s_andn2_b64 exec, exec, s[42:43]
	s_cbranch_execz .LBB822_272
.LBB822_270:                            ; =>This Inner Loop Header: Depth=1
	s_or_b64 s[44:45], s[44:45], exec
	s_cmp_eq_u64 s[40:41], s[46:47]
	s_cbranch_scc0 .LBB822_268
; %bb.271:                              ;   in Loop: Header=BB822_270 Depth=1
                                        ; implicit-def: $vgpr16_vgpr17
                                        ; implicit-def: $vgpr18_vgpr19
	s_mov_b64 s[46:47], s[26:27]
	s_branch .LBB822_269
.LBB822_272:
	s_or_b64 exec, exec, s[42:43]
	v_cmp_gt_i64_e32 vcc, s[26:27], v[20:21]
	s_orn2_b64 s[40:41], vcc, exec
.LBB822_273:
	s_or_b64 exec, exec, s[12:13]
.LBB822_274:
	s_and_b64 s[12:13], s[40:41], exec
.LBB822_275:
	s_or_b64 exec, exec, s[38:39]
	v_cmp_gt_u32_e32 vcc, s52, v30
	s_and_saveexec_b64 s[38:39], vcc
	s_cbranch_execz .LBB822_286
; %bb.276:
	s_andn2_b64 vcc, exec, s[6:7]
	s_mov_b64 s[40:41], 0
	s_cbranch_vccnz .LBB822_285
; %bb.277:
	v_mul_lo_u32 v18, v7, s26
	v_mul_lo_u32 v19, v6, s27
	s_waitcnt vmcnt(0) lgkmcnt(1)
	v_mad_u64_u32 v[16:17], s[14:15], v6, s26, 0
	v_add3_u32 v17, v17, v19, v18
	v_mul_lo_u32 v18, v9, s26
	v_mul_lo_u32 v19, v8, s27
	v_mad_u64_u32 v[20:21], s[14:15], v8, s26, 0
	v_add3_u32 v21, v21, v19, v18
	v_lshl_add_u64 v[18:19], v[16:17], 3, s[28:29]
	v_lshl_add_u64 v[16:17], v[20:21], 3, s[28:29]
	global_load_dwordx2 v[20:21], v[18:19], off
	global_load_dwordx2 v[22:23], v[16:17], off
	s_mov_b64 s[40:41], -1
	s_waitcnt vmcnt(0)
	v_cmp_eq_f64_e32 vcc, v[20:21], v[22:23]
	s_and_saveexec_b64 s[14:15], vcc
	s_cbranch_execz .LBB822_284
; %bb.278:
	s_add_u32 s40, s26, -1
	v_lshl_add_u64 v[16:17], v[16:17], 0, 8
	v_lshl_add_u64 v[18:19], v[18:19], 0, 8
	s_addc_u32 s41, s27, -1
	s_mov_b64 s[42:43], 0
	s_mov_b64 s[46:47], 0
                                        ; implicit-def: $sgpr44_sgpr45
	s_branch .LBB822_281
.LBB822_279:                            ;   in Loop: Header=BB822_281 Depth=1
	global_load_dwordx2 v[20:21], v[18:19], off
	global_load_dwordx2 v[22:23], v[16:17], off
	s_add_u32 s46, s46, 1
	s_addc_u32 s47, s47, 0
	s_andn2_b64 s[44:45], s[44:45], exec
	v_lshl_add_u64 v[16:17], v[16:17], 0, 8
	v_lshl_add_u64 v[18:19], v[18:19], 0, 8
	s_waitcnt vmcnt(0)
	v_cmp_neq_f64_e32 vcc, v[20:21], v[22:23]
	s_and_b64 s[48:49], vcc, exec
	s_or_b64 s[44:45], s[44:45], s[48:49]
.LBB822_280:                            ;   in Loop: Header=BB822_281 Depth=1
	s_and_b64 s[48:49], exec, s[44:45]
	s_or_b64 s[42:43], s[48:49], s[42:43]
	v_mov_b64_e32 v[20:21], s[46:47]
	s_andn2_b64 exec, exec, s[42:43]
	s_cbranch_execz .LBB822_283
.LBB822_281:                            ; =>This Inner Loop Header: Depth=1
	s_or_b64 s[44:45], s[44:45], exec
	s_cmp_eq_u64 s[40:41], s[46:47]
	s_cbranch_scc0 .LBB822_279
; %bb.282:                              ;   in Loop: Header=BB822_281 Depth=1
                                        ; implicit-def: $vgpr16_vgpr17
                                        ; implicit-def: $vgpr18_vgpr19
	s_mov_b64 s[46:47], s[26:27]
	s_branch .LBB822_280
.LBB822_283:
	s_or_b64 exec, exec, s[42:43]
	v_cmp_gt_i64_e32 vcc, s[26:27], v[20:21]
	s_orn2_b64 s[40:41], vcc, exec
.LBB822_284:
	s_or_b64 exec, exec, s[14:15]
.LBB822_285:
	s_and_b64 s[14:15], s[40:41], exec
.LBB822_286:
	s_or_b64 exec, exec, s[38:39]
	v_cmp_gt_u32_e32 vcc, s52, v26
	s_mov_b64 s[38:39], 0
	s_mov_b64 s[40:41], 0
	s_and_saveexec_b64 s[42:43], vcc
	s_cbranch_execz .LBB822_297
; %bb.287:
	s_andn2_b64 vcc, exec, s[6:7]
	s_mov_b64 s[44:45], 0
	s_cbranch_vccnz .LBB822_296
; %bb.288:
	v_mul_lo_u32 v18, v13, s26
	v_mul_lo_u32 v19, v12, s27
	s_waitcnt vmcnt(0) lgkmcnt(1)
	v_mad_u64_u32 v[16:17], s[40:41], v12, s26, 0
	v_add3_u32 v17, v17, v19, v18
	v_mul_lo_u32 v18, v7, s26
	v_mul_lo_u32 v19, v6, s27
	v_mad_u64_u32 v[20:21], s[40:41], v6, s26, 0
	v_add3_u32 v21, v21, v19, v18
	v_lshl_add_u64 v[18:19], v[16:17], 3, s[28:29]
	v_lshl_add_u64 v[16:17], v[20:21], 3, s[28:29]
	global_load_dwordx2 v[20:21], v[18:19], off
	global_load_dwordx2 v[22:23], v[16:17], off
	s_mov_b64 s[44:45], -1
	s_waitcnt vmcnt(0)
	v_cmp_eq_f64_e32 vcc, v[20:21], v[22:23]
	s_and_saveexec_b64 s[40:41], vcc
	s_cbranch_execz .LBB822_295
; %bb.289:
	s_add_u32 s44, s26, -1
	v_lshl_add_u64 v[16:17], v[16:17], 0, 8
	v_lshl_add_u64 v[18:19], v[18:19], 0, 8
	s_addc_u32 s45, s27, -1
	s_mov_b64 s[46:47], 0
	s_mov_b64 s[50:51], 0
                                        ; implicit-def: $sgpr48_sgpr49
	s_branch .LBB822_292
.LBB822_290:                            ;   in Loop: Header=BB822_292 Depth=1
	global_load_dwordx2 v[20:21], v[18:19], off
	global_load_dwordx2 v[22:23], v[16:17], off
	s_add_u32 s50, s50, 1
	s_addc_u32 s51, s51, 0
	s_andn2_b64 s[48:49], s[48:49], exec
	v_lshl_add_u64 v[16:17], v[16:17], 0, 8
	v_lshl_add_u64 v[18:19], v[18:19], 0, 8
	s_waitcnt vmcnt(0)
	v_cmp_neq_f64_e32 vcc, v[20:21], v[22:23]
	s_and_b64 s[54:55], vcc, exec
	s_or_b64 s[48:49], s[48:49], s[54:55]
.LBB822_291:                            ;   in Loop: Header=BB822_292 Depth=1
	s_and_b64 s[54:55], exec, s[48:49]
	s_or_b64 s[46:47], s[54:55], s[46:47]
	v_mov_b64_e32 v[20:21], s[50:51]
	s_andn2_b64 exec, exec, s[46:47]
	s_cbranch_execz .LBB822_294
.LBB822_292:                            ; =>This Inner Loop Header: Depth=1
	s_or_b64 s[48:49], s[48:49], exec
	s_cmp_eq_u64 s[44:45], s[50:51]
	s_cbranch_scc0 .LBB822_290
; %bb.293:                              ;   in Loop: Header=BB822_292 Depth=1
                                        ; implicit-def: $vgpr16_vgpr17
                                        ; implicit-def: $vgpr18_vgpr19
	s_mov_b64 s[50:51], s[26:27]
	s_branch .LBB822_291
.LBB822_294:
	s_or_b64 exec, exec, s[46:47]
	v_cmp_gt_i64_e32 vcc, s[26:27], v[20:21]
	s_orn2_b64 s[44:45], vcc, exec
.LBB822_295:
	s_or_b64 exec, exec, s[40:41]
.LBB822_296:
	s_and_b64 s[40:41], s[44:45], exec
.LBB822_297:
	s_or_b64 exec, exec, s[42:43]
	v_cmp_gt_u32_e32 vcc, s52, v27
	s_and_saveexec_b64 s[42:43], vcc
	s_cbranch_execz .LBB822_308
; %bb.298:
	s_andn2_b64 vcc, exec, s[6:7]
	s_mov_b64 s[44:45], 0
	s_cbranch_vccnz .LBB822_307
; %bb.299:
	v_mul_lo_u32 v18, v11, s26
	v_mul_lo_u32 v19, v10, s27
	s_waitcnt vmcnt(0) lgkmcnt(1)
	v_mad_u64_u32 v[16:17], s[38:39], v10, s26, 0
	v_add3_u32 v17, v17, v19, v18
	v_mul_lo_u32 v18, v13, s26
	v_mul_lo_u32 v19, v12, s27
	v_mad_u64_u32 v[20:21], s[38:39], v12, s26, 0
	v_add3_u32 v21, v21, v19, v18
	v_lshl_add_u64 v[18:19], v[16:17], 3, s[28:29]
	v_lshl_add_u64 v[16:17], v[20:21], 3, s[28:29]
	global_load_dwordx2 v[20:21], v[18:19], off
	global_load_dwordx2 v[22:23], v[16:17], off
	s_mov_b64 s[44:45], -1
	s_waitcnt vmcnt(0)
	v_cmp_eq_f64_e32 vcc, v[20:21], v[22:23]
	s_and_saveexec_b64 s[38:39], vcc
	s_cbranch_execz .LBB822_306
; %bb.300:
	s_add_u32 s44, s26, -1
	v_lshl_add_u64 v[16:17], v[16:17], 0, 8
	v_lshl_add_u64 v[18:19], v[18:19], 0, 8
	s_addc_u32 s45, s27, -1
	s_mov_b64 s[46:47], 0
	s_mov_b64 s[50:51], 0
                                        ; implicit-def: $sgpr48_sgpr49
	s_branch .LBB822_303
.LBB822_301:                            ;   in Loop: Header=BB822_303 Depth=1
	global_load_dwordx2 v[20:21], v[18:19], off
	global_load_dwordx2 v[22:23], v[16:17], off
	s_add_u32 s50, s50, 1
	s_addc_u32 s51, s51, 0
	s_andn2_b64 s[48:49], s[48:49], exec
	v_lshl_add_u64 v[16:17], v[16:17], 0, 8
	v_lshl_add_u64 v[18:19], v[18:19], 0, 8
	s_waitcnt vmcnt(0)
	v_cmp_neq_f64_e32 vcc, v[20:21], v[22:23]
	s_and_b64 s[54:55], vcc, exec
	s_or_b64 s[48:49], s[48:49], s[54:55]
.LBB822_302:                            ;   in Loop: Header=BB822_303 Depth=1
	s_and_b64 s[54:55], exec, s[48:49]
	s_or_b64 s[46:47], s[54:55], s[46:47]
	v_mov_b64_e32 v[20:21], s[50:51]
	s_andn2_b64 exec, exec, s[46:47]
	s_cbranch_execz .LBB822_305
.LBB822_303:                            ; =>This Inner Loop Header: Depth=1
	s_or_b64 s[48:49], s[48:49], exec
	s_cmp_eq_u64 s[44:45], s[50:51]
	s_cbranch_scc0 .LBB822_301
; %bb.304:                              ;   in Loop: Header=BB822_303 Depth=1
                                        ; implicit-def: $vgpr16_vgpr17
                                        ; implicit-def: $vgpr18_vgpr19
	s_mov_b64 s[50:51], s[26:27]
	s_branch .LBB822_302
.LBB822_305:
	s_or_b64 exec, exec, s[46:47]
	v_cmp_gt_i64_e32 vcc, s[26:27], v[20:21]
	s_orn2_b64 s[44:45], vcc, exec
.LBB822_306:
	s_or_b64 exec, exec, s[38:39]
.LBB822_307:
	s_and_b64 s[38:39], s[44:45], exec
.LBB822_308:
	s_or_b64 exec, exec, s[42:43]
	s_waitcnt vmcnt(0) lgkmcnt(1)
	v_cndmask_b32_e64 v17, 0, 1, s[14:15]
	v_cndmask_b32_e64 v16, 0, 1, s[40:41]
	;; [unrolled: 1-line block ×3, first 2 shown]
	v_lshlrev_b16_e32 v17, 8, v17
	v_cndmask_b32_e64 v25, 0, 1, s[12:13]
	v_cndmask_b32_e64 v18, 0, 1, s[38:39]
	v_or_b32_sdwa v16, v16, v17 dst_sel:WORD_1 dst_unused:UNUSED_PAD src0_sel:DWORD src1_sel:DWORD
	v_lshlrev_b16_e32 v17, 8, v34
	v_lshlrev_b16_e32 v18, 8, v18
	v_or_b32_e32 v17, v25, v17
	v_or_b32_e32 v18, 1, v18
	v_and_b32_e32 v17, 0xffff, v17
	v_cndmask_b32_e64 v35, 0, 1, s[4:5]
	v_or_b32_sdwa v16, v18, v16 dst_sel:DWORD dst_unused:UNUSED_PAD src0_sel:WORD_0 src1_sel:DWORD
	v_lshl_or_b32 v17, v35, 16, v17
	s_waitcnt lgkmcnt(0)
	s_barrier
	s_waitcnt lgkmcnt(0)
                                        ; implicit-def: $sgpr12_sgpr13
                                        ; implicit-def: $vgpr20
	s_and_saveexec_b64 s[4:5], s[2:3]
	s_cbranch_execz .LBB822_321
; %bb.309:
	v_cmp_gt_u32_e32 vcc, s52, v1
	s_mov_b32 s38, 0x3020104
	s_mov_b64 s[10:11], 0
	s_and_saveexec_b64 s[2:3], vcc
	s_cbranch_execz .LBB822_320
; %bb.310:
	s_andn2_b64 vcc, exec, s[6:7]
	s_cbranch_vccnz .LBB822_319
; %bb.311:
	v_add_u32_e32 v17, -8, v24
	ds_read_b64 v[18:19], v17
	v_mul_lo_u32 v17, v11, s26
	v_mad_u64_u32 v[22:23], s[6:7], v10, s26, 0
	s_mov_b64 s[10:11], -1
	s_waitcnt lgkmcnt(0)
	v_mul_lo_u32 v20, v19, s26
	v_mul_lo_u32 v21, v18, s27
	v_mad_u64_u32 v[18:19], s[6:7], v18, s26, 0
	v_add3_u32 v19, v19, v21, v20
	v_mul_lo_u32 v20, v10, s27
	v_add3_u32 v23, v23, v20, v17
	v_lshl_add_u64 v[20:21], v[18:19], 3, s[28:29]
	v_lshl_add_u64 v[18:19], v[22:23], 3, s[28:29]
	global_load_dwordx2 v[22:23], v[20:21], off
	global_load_dwordx2 v[32:33], v[18:19], off
	s_waitcnt vmcnt(0)
	v_cmp_eq_f64_e32 vcc, v[22:23], v[32:33]
	s_and_saveexec_b64 s[6:7], vcc
	s_cbranch_execz .LBB822_318
; %bb.312:
	s_add_u32 s10, s26, -1
	v_lshl_add_u64 v[18:19], v[18:19], 0, 8
	v_lshl_add_u64 v[20:21], v[20:21], 0, 8
	s_addc_u32 s11, s27, -1
	s_mov_b64 s[12:13], 0
	s_mov_b64 s[28:29], 0
                                        ; implicit-def: $sgpr14_sgpr15
	s_branch .LBB822_315
.LBB822_313:                            ;   in Loop: Header=BB822_315 Depth=1
	global_load_dwordx2 v[22:23], v[20:21], off
	global_load_dwordx2 v[32:33], v[18:19], off
	s_add_u32 s28, s28, 1
	s_addc_u32 s29, s29, 0
	s_andn2_b64 s[14:15], s[14:15], exec
	v_lshl_add_u64 v[18:19], v[18:19], 0, 8
	v_lshl_add_u64 v[20:21], v[20:21], 0, 8
	s_waitcnt vmcnt(0)
	v_cmp_neq_f64_e32 vcc, v[22:23], v[32:33]
	s_and_b64 s[40:41], vcc, exec
	s_or_b64 s[14:15], s[14:15], s[40:41]
.LBB822_314:                            ;   in Loop: Header=BB822_315 Depth=1
	s_and_b64 s[40:41], exec, s[14:15]
	s_or_b64 s[12:13], s[40:41], s[12:13]
	v_mov_b64_e32 v[22:23], s[28:29]
	s_andn2_b64 exec, exec, s[12:13]
	s_cbranch_execz .LBB822_317
.LBB822_315:                            ; =>This Inner Loop Header: Depth=1
	s_or_b64 s[14:15], s[14:15], exec
	s_cmp_eq_u64 s[10:11], s[28:29]
	s_cbranch_scc0 .LBB822_313
; %bb.316:                              ;   in Loop: Header=BB822_315 Depth=1
                                        ; implicit-def: $vgpr18_vgpr19
                                        ; implicit-def: $vgpr20_vgpr21
	s_mov_b64 s[28:29], s[26:27]
	s_branch .LBB822_314
.LBB822_317:
	s_or_b64 exec, exec, s[12:13]
	v_cmp_gt_i64_e32 vcc, s[26:27], v[22:23]
	s_orn2_b64 s[10:11], vcc, exec
.LBB822_318:
	s_or_b64 exec, exec, s[6:7]
.LBB822_319:
	s_and_b64 s[10:11], s[10:11], exec
.LBB822_320:
	s_or_b64 exec, exec, s[2:3]
	v_perm_b32 v20, v16, v16, s38
	s_and_b64 s[12:13], s[10:11], exec
	s_or_b64 s[8:9], s[8:9], exec
                                        ; implicit-def: $vgpr16_vgpr17
.LBB822_321:
	s_or_b64 exec, exec, s[4:5]
.LBB822_322:
	s_and_saveexec_b64 s[2:3], s[8:9]
	s_cbranch_execz .LBB822_324
; %bb.323:
	s_waitcnt vmcnt(0) lgkmcnt(0)
	v_lshlrev_b16_e32 v17, 8, v34
	v_and_b32_e32 v18, 0xff, v35
	v_or_b32_sdwa v17, v25, v17 dst_sel:DWORD dst_unused:UNUSED_PAD src0_sel:BYTE_0 src1_sel:DWORD
	v_lshlrev_b32_e32 v18, 16, v18
	s_movk_i32 s4, 0xff
	v_or_b32_sdwa v17, v17, v18 dst_sel:DWORD dst_unused:UNUSED_PAD src0_sel:WORD_0 src1_sel:DWORD
	v_lshrrev_b32_e32 v18, 24, v20
	v_lshlrev_b16_e32 v18, 8, v18
	v_and_b32_sdwa v19, v20, s4 dst_sel:DWORD dst_unused:UNUSED_PAD src0_sel:WORD_1 src1_sel:DWORD
	v_or_b32_sdwa v18, v19, v18 dst_sel:WORD_1 dst_unused:UNUSED_PAD src0_sel:DWORD src1_sel:DWORD
	v_mov_b32_e32 v19, 8
	v_cndmask_b32_e64 v16, 0, 1, s[12:13]
	v_lshrrev_b32_sdwa v19, v19, v20 dst_sel:BYTE_1 dst_unused:UNUSED_PAD src0_sel:DWORD src1_sel:DWORD
	s_nop 0
	v_or_b32_e32 v16, v16, v19
	v_or_b32_sdwa v16, v16, v18 dst_sel:DWORD dst_unused:UNUSED_PAD src0_sel:WORD_0 src1_sel:DWORD
.LBB822_324:
	s_or_b64 exec, exec, s[2:3]
	s_andn2_b64 vcc, exec, s[0:1]
	s_cbranch_vccnz .LBB822_326
; %bb.325:
	s_waitcnt vmcnt(0) lgkmcnt(0)
	v_and_b32_e32 v18, 0xffff0000, v16
	v_cmp_gt_u32_e32 vcc, s52, v1
	s_mov_b32 s0, 0x40c0100
	s_nop 0
	v_cndmask_b32_e32 v1, v18, v16, vcc
	v_and_b32_e32 v1, 0xffff00ff, v1
	v_cmp_gt_u32_e32 vcc, s52, v27
	s_nop 1
	v_cndmask_b32_e32 v1, v1, v16, vcc
	v_lshrrev_b32_e32 v18, 24, v1
	v_perm_b32 v1, v18, v1, s0
	v_cmp_gt_u32_e32 vcc, s52, v26
	v_and_b32_e32 v18, 0xffffff00, v17
	s_nop 0
	v_cndmask_b32_e32 v1, v1, v16, vcc
	v_and_b32_e32 v1, 0xffffff, v1
	v_cmp_gt_u32_e32 vcc, s52, v30
	s_nop 1
	v_cndmask_b32_e32 v1, v1, v16, vcc
	v_cmp_gt_u32_e32 vcc, s52, v28
	s_nop 1
	v_cndmask_b32_e32 v18, v18, v17, vcc
	v_and_b32_e32 v18, 0xffff00ff, v18
	v_cndmask_b32_e32 v1, v1, v16, vcc
	v_cmp_gt_u32_e32 vcc, s52, v31
	s_nop 1
	v_cndmask_b32_e32 v18, v18, v17, vcc
	v_lshrrev_b32_e32 v19, 24, v18
	v_cndmask_b32_e32 v1, v1, v16, vcc
	v_perm_b32 v18, v19, v18, s0
	v_cmp_gt_u32_e32 vcc, s52, v29
	s_mov_b32 s0, 0x3020104
	s_nop 0
	v_cndmask_b32_e32 v1, v1, v16, vcc
	v_cndmask_b32_e32 v16, v18, v17, vcc
	v_mov_b32_e32 v17, 8
	v_lshrrev_b32_sdwa v17, v17, v16 dst_sel:BYTE_1 dst_unused:UNUSED_PAD src0_sel:DWORD src1_sel:DWORD
	s_nop 0
	v_or_b32_sdwa v17, v16, v17 dst_sel:DWORD dst_unused:UNUSED_PAD src0_sel:BYTE_0 src1_sel:DWORD
	v_and_b32_e32 v17, 0xffff, v17
	v_bfe_u32 v16, v16, 16, 8
	v_lshl_or_b32 v17, v16, 16, v17
	v_perm_b32 v16, v1, v1, s0
.LBB822_326:
	s_waitcnt vmcnt(0) lgkmcnt(0)
	v_and_b32_e32 v1, 0xff, v16
	v_bfe_u32 v29, v16, 8, 8
	v_bfe_u32 v31, v16, 16, 8
	v_alignbit_b32 v18, v17, v16, 24
	v_and_b32_e32 v33, 0xff, v18
	v_and_b32_e32 v35, 0xff, v17
	v_add3_u32 v19, v29, v1, v31
	v_bfe_u32 v36, v17, 8, 8
	v_bfe_u32 v18, v17, 16, 8
	v_add3_u32 v19, v19, v33, v35
	v_add3_u32 v39, v19, v36, v18
	v_mbcnt_lo_u32_b32 v18, -1, 0
	v_mbcnt_hi_u32_b32 v37, -1, v18
	v_and_b32_e32 v18, 15, v37
	v_cmp_eq_u32_e64 s[14:15], 0, v18
	v_cmp_lt_u32_e64 s[12:13], 1, v18
	v_cmp_lt_u32_e64 s[10:11], 3, v18
	;; [unrolled: 1-line block ×3, first 2 shown]
	v_and_b32_e32 v18, 16, v37
	v_cmp_eq_u32_e64 s[6:7], 0, v18
	v_or_b32_e32 v18, 63, v0
	v_cmp_lt_u32_e64 s[2:3], 31, v37
	v_lshrrev_b32_e32 v38, 6, v0
	v_cmp_eq_u32_e64 s[4:5], v18, v0
	s_and_b64 vcc, exec, s[16:17]
	s_barrier
	s_cbranch_vccz .LBB822_357
; %bb.327:
	v_mov_b32_dpp v18, v39 row_shr:1 row_mask:0xf bank_mask:0xf
	v_cndmask_b32_e64 v18, v18, 0, s[14:15]
	v_add_u32_e32 v18, v18, v39
	s_nop 1
	v_mov_b32_dpp v19, v18 row_shr:2 row_mask:0xf bank_mask:0xf
	v_cndmask_b32_e64 v19, 0, v19, s[12:13]
	v_add_u32_e32 v18, v18, v19
	s_nop 1
	;; [unrolled: 4-line block ×4, first 2 shown]
	v_mov_b32_dpp v19, v18 row_bcast:15 row_mask:0xf bank_mask:0xf
	v_cndmask_b32_e64 v19, v19, 0, s[6:7]
	v_add_u32_e32 v18, v18, v19
	s_nop 1
	v_mov_b32_dpp v19, v18 row_bcast:31 row_mask:0xf bank_mask:0xf
	v_cndmask_b32_e64 v19, 0, v19, s[2:3]
	v_add_u32_e32 v18, v18, v19
	s_and_saveexec_b64 s[0:1], s[4:5]
	s_cbranch_execz .LBB822_329
; %bb.328:
	v_lshlrev_b32_e32 v19, 2, v38
	ds_write_b32 v19, v18
.LBB822_329:
	s_or_b64 exec, exec, s[0:1]
	v_cmp_gt_u32_e32 vcc, 8, v0
	s_waitcnt lgkmcnt(0)
	s_barrier
	s_and_saveexec_b64 s[0:1], vcc
	s_cbranch_execz .LBB822_331
; %bb.330:
	v_lshlrev_b32_e32 v19, 2, v0
	ds_read_b32 v20, v19
	v_and_b32_e32 v21, 7, v37
	v_cmp_ne_u32_e32 vcc, 0, v21
	s_waitcnt lgkmcnt(0)
	v_mov_b32_dpp v22, v20 row_shr:1 row_mask:0xf bank_mask:0xf
	v_cndmask_b32_e32 v22, 0, v22, vcc
	v_add_u32_e32 v20, v22, v20
	v_cmp_lt_u32_e32 vcc, 1, v21
	s_nop 0
	v_mov_b32_dpp v22, v20 row_shr:2 row_mask:0xf bank_mask:0xf
	v_cndmask_b32_e32 v22, 0, v22, vcc
	v_add_u32_e32 v20, v20, v22
	v_cmp_lt_u32_e32 vcc, 3, v21
	s_nop 0
	v_mov_b32_dpp v22, v20 row_shr:4 row_mask:0xf bank_mask:0xf
	v_cndmask_b32_e32 v21, 0, v22, vcc
	v_add_u32_e32 v20, v20, v21
	ds_write_b32 v19, v20
.LBB822_331:
	s_or_b64 exec, exec, s[0:1]
	v_cmp_gt_u32_e32 vcc, 64, v0
	v_cmp_lt_u32_e64 s[0:1], 63, v0
	s_waitcnt lgkmcnt(0)
	s_barrier
	s_waitcnt lgkmcnt(0)
                                        ; implicit-def: $vgpr28
	s_and_saveexec_b64 s[16:17], s[0:1]
	s_cbranch_execz .LBB822_333
; %bb.332:
	v_lshl_add_u32 v19, v38, 2, -4
	ds_read_b32 v28, v19
	s_waitcnt lgkmcnt(0)
	v_add_u32_e32 v18, v28, v18
.LBB822_333:
	s_or_b64 exec, exec, s[16:17]
	v_add_u32_e32 v19, -1, v37
	v_and_b32_e32 v20, 64, v37
	v_cmp_lt_i32_e64 s[0:1], v19, v20
	v_cmp_eq_u32_e64 s[16:17], 0, v37
	s_nop 0
	v_cndmask_b32_e64 v19, v19, v37, s[0:1]
	v_lshlrev_b32_e32 v19, 2, v19
	ds_bpermute_b32 v30, v19, v18
	s_and_saveexec_b64 s[0:1], vcc
	s_cbranch_execz .LBB822_356
; %bb.334:
	v_mov_b32_e32 v27, 0
	ds_read_b32 v18, v27 offset:28
	s_and_saveexec_b64 s[26:27], s[16:17]
	s_cbranch_execz .LBB822_336
; %bb.335:
	s_add_i32 s28, s33, 64
	s_mov_b32 s29, 0
	s_lshl_b64 s[28:29], s[28:29], 3
	s_add_u32 s28, s30, s28
	v_mov_b32_e32 v19, 1
	s_addc_u32 s29, s31, s29
	s_waitcnt lgkmcnt(0)
	global_store_dwordx2 v27, v[18:19], s[28:29] sc1
.LBB822_336:
	s_or_b64 exec, exec, s[26:27]
	v_xad_u32 v20, v37, -1, s33
	v_add_u32_e32 v26, 64, v20
	v_lshl_add_u64 v[22:23], v[26:27], 3, s[30:31]
	global_load_dwordx2 v[24:25], v[22:23], off sc1
	s_waitcnt vmcnt(0)
	v_cmp_eq_u16_sdwa s[28:29], v25, v27 src0_sel:BYTE_0 src1_sel:DWORD
	s_and_saveexec_b64 s[26:27], s[28:29]
	s_cbranch_execz .LBB822_342
; %bb.337:
	s_mov_b32 s38, 1
	s_mov_b64 s[28:29], 0
	v_mov_b32_e32 v19, 0
.LBB822_338:                            ; =>This Loop Header: Depth=1
                                        ;     Child Loop BB822_339 Depth 2
	s_max_u32 s39, s38, 1
.LBB822_339:                            ;   Parent Loop BB822_338 Depth=1
                                        ; =>  This Inner Loop Header: Depth=2
	s_add_i32 s39, s39, -1
	s_cmp_eq_u32 s39, 0
	s_sleep 1
	s_cbranch_scc0 .LBB822_339
; %bb.340:                              ;   in Loop: Header=BB822_338 Depth=1
	global_load_dwordx2 v[24:25], v[22:23], off sc1
	s_cmp_lt_u32 s38, 32
	s_cselect_b64 s[40:41], -1, 0
	s_cmp_lg_u64 s[40:41], 0
	s_addc_u32 s38, s38, 0
	s_waitcnt vmcnt(0)
	v_cmp_ne_u16_sdwa s[40:41], v25, v19 src0_sel:BYTE_0 src1_sel:DWORD
	s_or_b64 s[28:29], s[40:41], s[28:29]
	s_andn2_b64 exec, exec, s[28:29]
	s_cbranch_execnz .LBB822_338
; %bb.341:
	s_or_b64 exec, exec, s[28:29]
.LBB822_342:
	s_or_b64 exec, exec, s[26:27]
	v_and_b32_e32 v32, 63, v37
	v_mov_b32_e32 v19, 2
	v_cmp_ne_u32_e32 vcc, 63, v32
	v_cmp_eq_u16_sdwa s[26:27], v25, v19 src0_sel:BYTE_0 src1_sel:DWORD
	v_lshlrev_b64 v[22:23], v37, -1
	v_addc_co_u32_e32 v27, vcc, 0, v37, vcc
	v_and_b32_e32 v21, s27, v23
	v_lshlrev_b32_e32 v34, 2, v27
	v_or_b32_e32 v21, 0x80000000, v21
	ds_bpermute_b32 v27, v34, v24
	v_and_b32_e32 v26, s26, v22
	v_ffbl_b32_e32 v21, v21
	v_add_u32_e32 v21, 32, v21
	v_ffbl_b32_e32 v26, v26
	v_min_u32_e32 v21, v26, v21
	v_cmp_lt_u32_e32 vcc, v32, v21
	v_add_u32_e32 v41, 2, v32
	v_add_u32_e32 v43, 4, v32
	s_waitcnt lgkmcnt(0)
	v_cndmask_b32_e32 v26, 0, v27, vcc
	v_cmp_gt_u32_e32 vcc, 62, v32
	v_add_u32_e32 v24, v26, v24
	v_add_u32_e32 v45, 8, v32
	v_cndmask_b32_e64 v26, 0, 1, vcc
	v_lshlrev_b32_e32 v26, 1, v26
	v_add_lshl_u32 v40, v26, v37, 2
	ds_bpermute_b32 v26, v40, v24
	v_cmp_le_u32_e32 vcc, v41, v21
	v_add_u32_e32 v48, 16, v32
	v_add_u32_e32 v50, 32, v32
	s_waitcnt lgkmcnt(0)
	v_cndmask_b32_e32 v26, 0, v26, vcc
	v_cmp_gt_u32_e32 vcc, 60, v32
	v_add_u32_e32 v24, v24, v26
	s_nop 0
	v_cndmask_b32_e64 v26, 0, 1, vcc
	v_lshlrev_b32_e32 v26, 2, v26
	v_add_lshl_u32 v42, v26, v37, 2
	ds_bpermute_b32 v26, v42, v24
	v_cmp_le_u32_e32 vcc, v43, v21
	s_waitcnt lgkmcnt(0)
	s_nop 0
	v_cndmask_b32_e32 v26, 0, v26, vcc
	v_cmp_gt_u32_e32 vcc, 56, v32
	v_add_u32_e32 v24, v24, v26
	s_nop 0
	v_cndmask_b32_e64 v26, 0, 1, vcc
	v_lshlrev_b32_e32 v26, 3, v26
	v_add_lshl_u32 v44, v26, v37, 2
	ds_bpermute_b32 v26, v44, v24
	v_cmp_le_u32_e32 vcc, v45, v21
	s_waitcnt lgkmcnt(0)
	s_nop 0
	v_cndmask_b32_e32 v26, 0, v26, vcc
	v_cmp_gt_u32_e32 vcc, 48, v32
	v_add_u32_e32 v24, v24, v26
	s_nop 0
	v_cndmask_b32_e64 v26, 0, 1, vcc
	v_lshlrev_b32_e32 v26, 4, v26
	v_add_lshl_u32 v47, v26, v37, 2
	ds_bpermute_b32 v26, v47, v24
	v_cmp_le_u32_e32 vcc, v48, v21
	s_waitcnt lgkmcnt(0)
	s_nop 0
	v_cndmask_b32_e32 v26, 0, v26, vcc
	v_cmp_gt_u32_e32 vcc, 32, v32
	v_add_u32_e32 v24, v24, v26
	s_nop 0
	v_cndmask_b32_e64 v26, 0, 1, vcc
	v_lshlrev_b32_e32 v26, 5, v26
	v_add_lshl_u32 v49, v26, v37, 2
	ds_bpermute_b32 v26, v49, v24
	v_cmp_le_u32_e32 vcc, v50, v21
	s_waitcnt lgkmcnt(0)
	s_nop 0
	v_cndmask_b32_e32 v21, 0, v26, vcc
	v_add_u32_e32 v24, v24, v21
	v_mov_b32_e32 v21, 0
	s_branch .LBB822_344
.LBB822_343:                            ;   in Loop: Header=BB822_344 Depth=1
	s_or_b64 exec, exec, s[26:27]
	v_cmp_eq_u16_sdwa s[26:27], v25, v19 src0_sel:BYTE_0 src1_sel:DWORD
	ds_bpermute_b32 v51, v34, v24
	v_subrev_u32_e32 v20, 64, v20
	v_and_b32_e32 v26, s27, v23
	v_or_b32_e32 v26, 0x80000000, v26
	v_and_b32_e32 v27, s26, v22
	v_ffbl_b32_e32 v26, v26
	v_add_u32_e32 v26, 32, v26
	v_ffbl_b32_e32 v27, v27
	v_min_u32_e32 v26, v27, v26
	v_cmp_lt_u32_e32 vcc, v32, v26
	s_waitcnt lgkmcnt(0)
	s_nop 0
	v_cndmask_b32_e32 v27, 0, v51, vcc
	v_add_u32_e32 v24, v27, v24
	ds_bpermute_b32 v27, v40, v24
	v_cmp_le_u32_e32 vcc, v41, v26
	s_waitcnt lgkmcnt(0)
	s_nop 0
	v_cndmask_b32_e32 v27, 0, v27, vcc
	v_add_u32_e32 v24, v24, v27
	ds_bpermute_b32 v27, v42, v24
	v_cmp_le_u32_e32 vcc, v43, v26
	;; [unrolled: 6-line block ×5, first 2 shown]
	s_waitcnt lgkmcnt(0)
	s_nop 0
	v_cndmask_b32_e32 v26, 0, v27, vcc
	v_add3_u32 v24, v26, v46, v24
.LBB822_344:                            ; =>This Loop Header: Depth=1
                                        ;     Child Loop BB822_347 Depth 2
                                        ;       Child Loop BB822_348 Depth 3
	v_cmp_ne_u16_sdwa s[26:27], v25, v19 src0_sel:BYTE_0 src1_sel:DWORD
	v_mov_b32_e32 v46, v24
	s_nop 0
	v_cndmask_b32_e64 v25, 0, 1, s[26:27]
	;;#ASMSTART
	;;#ASMEND
	s_nop 0
	v_cmp_ne_u32_e32 vcc, 0, v25
	s_cmp_lg_u64 vcc, exec
	s_cbranch_scc1 .LBB822_351
; %bb.345:                              ;   in Loop: Header=BB822_344 Depth=1
	v_lshl_add_u64 v[26:27], v[20:21], 3, s[30:31]
	global_load_dwordx2 v[24:25], v[26:27], off sc1
	s_waitcnt vmcnt(0)
	v_cmp_eq_u16_sdwa s[28:29], v25, v21 src0_sel:BYTE_0 src1_sel:DWORD
	s_and_saveexec_b64 s[26:27], s[28:29]
	s_cbranch_execz .LBB822_343
; %bb.346:                              ;   in Loop: Header=BB822_344 Depth=1
	s_mov_b32 s38, 1
	s_mov_b64 s[28:29], 0
.LBB822_347:                            ;   Parent Loop BB822_344 Depth=1
                                        ; =>  This Loop Header: Depth=2
                                        ;       Child Loop BB822_348 Depth 3
	s_max_u32 s39, s38, 1
.LBB822_348:                            ;   Parent Loop BB822_344 Depth=1
                                        ;     Parent Loop BB822_347 Depth=2
                                        ; =>    This Inner Loop Header: Depth=3
	s_add_i32 s39, s39, -1
	s_cmp_eq_u32 s39, 0
	s_sleep 1
	s_cbranch_scc0 .LBB822_348
; %bb.349:                              ;   in Loop: Header=BB822_347 Depth=2
	global_load_dwordx2 v[24:25], v[26:27], off sc1
	s_cmp_lt_u32 s38, 32
	s_cselect_b64 s[40:41], -1, 0
	s_cmp_lg_u64 s[40:41], 0
	s_addc_u32 s38, s38, 0
	s_waitcnt vmcnt(0)
	v_cmp_ne_u16_sdwa s[40:41], v25, v21 src0_sel:BYTE_0 src1_sel:DWORD
	s_or_b64 s[28:29], s[40:41], s[28:29]
	s_andn2_b64 exec, exec, s[28:29]
	s_cbranch_execnz .LBB822_347
; %bb.350:                              ;   in Loop: Header=BB822_344 Depth=1
	s_or_b64 exec, exec, s[28:29]
	s_branch .LBB822_343
.LBB822_351:                            ;   in Loop: Header=BB822_344 Depth=1
                                        ; implicit-def: $vgpr24
                                        ; implicit-def: $vgpr25
	s_cbranch_execz .LBB822_344
; %bb.352:
	s_and_saveexec_b64 s[26:27], s[16:17]
	s_cbranch_execz .LBB822_354
; %bb.353:
	s_add_i32 s28, s33, 64
	s_mov_b32 s29, 0
	s_lshl_b64 s[28:29], s[28:29], 3
	s_add_u32 s28, s30, s28
	v_add_u32_e32 v20, v46, v18
	v_mov_b32_e32 v21, 2
	s_addc_u32 s29, s31, s29
	v_mov_b32_e32 v19, 0
	global_store_dwordx2 v19, v[20:21], s[28:29] sc1
	s_movk_i32 s28, 0x7000
	v_add_u32_e64 v19, s28, 0
	ds_write2_b32 v19, v18, v46 offset1:2
.LBB822_354:
	s_or_b64 exec, exec, s[26:27]
	s_and_b64 exec, exec, s[18:19]
	s_cbranch_execz .LBB822_356
; %bb.355:
	v_mov_b32_e32 v18, 0
	ds_write_b32 v18, v46 offset:28
.LBB822_356:
	s_or_b64 exec, exec, s[0:1]
	v_mov_b32_e32 v18, 0
	s_waitcnt lgkmcnt(0)
	s_barrier
	ds_read_b32 v18, v18 offset:28
	v_cndmask_b32_e64 v19, v30, v28, s[16:17]
	v_cndmask_b32_e64 v19, v19, 0, s[18:19]
	s_movk_i32 s0, 0x7000
	s_waitcnt lgkmcnt(0)
	v_add_u32_e32 v34, v18, v19
	v_add_u32_e32 v32, v34, v1
	v_add_u32_e64 v18, s0, 0
	v_add_u32_e32 v30, v32, v29
	s_barrier
	ds_read2_b32 v[18:19], v18 offset1:2
	v_add_u32_e32 v28, v30, v31
	v_add_u32_e32 v26, v28, v33
	;; [unrolled: 1-line block ×4, first 2 shown]
	v_lshrrev_b64 v[20:21], 24, v[16:17]
	s_branch .LBB822_367
.LBB822_357:
                                        ; implicit-def: $vgpr22
                                        ; implicit-def: $vgpr24
                                        ; implicit-def: $vgpr26
                                        ; implicit-def: $vgpr28
                                        ; implicit-def: $vgpr30
                                        ; implicit-def: $vgpr32
                                        ; implicit-def: $vgpr34
                                        ; implicit-def: $vgpr19
	v_lshrrev_b64 v[20:21], 24, v[16:17]
	s_cbranch_execz .LBB822_367
; %bb.358:
	s_waitcnt lgkmcnt(0)
	v_mov_b32_dpp v18, v39 row_shr:1 row_mask:0xf bank_mask:0xf
	v_cndmask_b32_e64 v18, v18, 0, s[14:15]
	v_add_u32_e32 v18, v18, v39
	s_nop 1
	v_mov_b32_dpp v19, v18 row_shr:2 row_mask:0xf bank_mask:0xf
	v_cndmask_b32_e64 v19, 0, v19, s[12:13]
	v_add_u32_e32 v18, v18, v19
	s_nop 1
	;; [unrolled: 4-line block ×4, first 2 shown]
	v_mov_b32_dpp v19, v18 row_bcast:15 row_mask:0xf bank_mask:0xf
	v_cndmask_b32_e64 v19, v19, 0, s[6:7]
	v_add_u32_e32 v18, v18, v19
	s_nop 1
	v_mov_b32_dpp v19, v18 row_bcast:31 row_mask:0xf bank_mask:0xf
	v_cndmask_b32_e64 v19, 0, v19, s[2:3]
	v_add_u32_e32 v18, v18, v19
	s_and_saveexec_b64 s[0:1], s[4:5]
	s_cbranch_execz .LBB822_360
; %bb.359:
	v_lshlrev_b32_e32 v19, 2, v38
	ds_write_b32 v19, v18
.LBB822_360:
	s_or_b64 exec, exec, s[0:1]
	v_cmp_gt_u32_e32 vcc, 8, v0
	s_waitcnt lgkmcnt(0)
	s_barrier
	s_and_saveexec_b64 s[0:1], vcc
	s_cbranch_execz .LBB822_362
; %bb.361:
	v_lshlrev_b32_e32 v19, 2, v0
	ds_read_b32 v21, v19
	v_and_b32_e32 v22, 7, v37
	v_cmp_ne_u32_e32 vcc, 0, v22
	s_waitcnt lgkmcnt(0)
	v_mov_b32_dpp v23, v21 row_shr:1 row_mask:0xf bank_mask:0xf
	v_cndmask_b32_e32 v23, 0, v23, vcc
	v_add_u32_e32 v21, v23, v21
	v_cmp_lt_u32_e32 vcc, 1, v22
	s_nop 0
	v_mov_b32_dpp v23, v21 row_shr:2 row_mask:0xf bank_mask:0xf
	v_cndmask_b32_e32 v23, 0, v23, vcc
	v_add_u32_e32 v21, v21, v23
	v_cmp_lt_u32_e32 vcc, 3, v22
	s_nop 0
	v_mov_b32_dpp v23, v21 row_shr:4 row_mask:0xf bank_mask:0xf
	v_cndmask_b32_e32 v22, 0, v23, vcc
	v_add_u32_e32 v21, v21, v22
	ds_write_b32 v19, v21
.LBB822_362:
	s_or_b64 exec, exec, s[0:1]
	v_cmp_lt_u32_e32 vcc, 63, v0
	v_mov_b32_e32 v19, 0
	v_mov_b32_e32 v21, 0
	s_waitcnt lgkmcnt(0)
	s_barrier
	s_and_saveexec_b64 s[0:1], vcc
	s_cbranch_execz .LBB822_364
; %bb.363:
	v_lshl_add_u32 v21, v38, 2, -4
	ds_read_b32 v21, v21
.LBB822_364:
	s_or_b64 exec, exec, s[0:1]
	v_add_u32_e32 v22, -1, v37
	v_and_b32_e32 v23, 64, v37
	v_cmp_lt_i32_e32 vcc, v22, v23
	s_waitcnt lgkmcnt(0)
	v_add_u32_e32 v18, v21, v18
	v_cndmask_b32_e32 v22, v22, v37, vcc
	v_lshlrev_b32_e32 v22, 2, v22
	ds_bpermute_b32 v22, v22, v18
	ds_read_b32 v18, v19 offset:28
	s_and_saveexec_b64 s[0:1], s[18:19]
	s_cbranch_execz .LBB822_366
; %bb.365:
	v_mov_b32_e32 v23, 0
	v_mov_b32_e32 v19, 2
	s_waitcnt lgkmcnt(0)
	global_store_dwordx2 v23, v[18:19], s[30:31] offset:512 sc1
.LBB822_366:
	s_or_b64 exec, exec, s[0:1]
	v_cmp_eq_u32_e32 vcc, 0, v37
	v_mov_b32_e32 v19, 0
	s_waitcnt lgkmcnt(0)
	v_cndmask_b32_e32 v21, v22, v21, vcc
	v_cndmask_b32_e64 v34, v21, 0, s[18:19]
	v_add_u32_e32 v32, v34, v1
	v_add_u32_e32 v30, v32, v29
	;; [unrolled: 1-line block ×6, first 2 shown]
	s_barrier
.LBB822_367:
	s_movk_i32 s0, 0x201
	s_waitcnt lgkmcnt(0)
	v_cmp_gt_u32_e32 vcc, s0, v18
	v_lshrrev_b32_e32 v21, 8, v16
	v_lshrrev_b32_e32 v1, 8, v17
	s_mov_b64 s[0:1], -1
	s_cbranch_vccnz .LBB822_371
; %bb.368:
	s_and_b64 vcc, exec, s[0:1]
	s_cbranch_vccnz .LBB822_393
.LBB822_369:
	s_and_b64 s[0:1], s[18:19], s[24:25]
	s_and_saveexec_b64 s[2:3], s[0:1]
	s_cbranch_execnz .LBB822_411
.LBB822_370:
	s_endpgm
.LBB822_371:
	v_add_u32_e32 v23, v19, v18
	v_cmp_lt_u32_e32 vcc, v34, v23
	s_or_b64 s[2:3], s[36:37], vcc
	s_and_saveexec_b64 s[0:1], s[2:3]
	s_cbranch_execz .LBB822_374
; %bb.372:
	v_and_b32_e32 v25, 1, v16
	v_cmp_eq_u32_e32 vcc, 1, v25
	s_and_b64 exec, exec, vcc
	s_cbranch_execz .LBB822_374
; %bb.373:
	s_lshl_b64 s[2:3], s[22:23], 3
	s_add_u32 s2, s34, s2
	s_addc_u32 s3, s35, s3
	v_mov_b32_e32 v35, 0
	v_lshl_add_u64 v[36:37], v[34:35], 3, s[2:3]
	global_store_dwordx2 v[36:37], v[10:11], off
.LBB822_374:
	s_or_b64 exec, exec, s[0:1]
	v_cmp_lt_u32_e32 vcc, v32, v23
	s_or_b64 s[2:3], s[36:37], vcc
	s_and_saveexec_b64 s[0:1], s[2:3]
	s_cbranch_execz .LBB822_377
; %bb.375:
	v_and_b32_e32 v25, 1, v21
	v_cmp_eq_u32_e32 vcc, 1, v25
	s_and_b64 exec, exec, vcc
	s_cbranch_execz .LBB822_377
; %bb.376:
	s_lshl_b64 s[2:3], s[22:23], 3
	s_add_u32 s2, s34, s2
	s_addc_u32 s3, s35, s3
	v_mov_b32_e32 v33, 0
	v_lshl_add_u64 v[36:37], v[32:33], 3, s[2:3]
	global_store_dwordx2 v[36:37], v[12:13], off
.LBB822_377:
	s_or_b64 exec, exec, s[0:1]
	v_cmp_lt_u32_e32 vcc, v30, v23
	s_or_b64 s[2:3], s[36:37], vcc
	s_and_saveexec_b64 s[0:1], s[2:3]
	s_cbranch_execz .LBB822_380
; %bb.378:
	v_mov_b32_e32 v25, 1
	v_and_b32_sdwa v25, v25, v16 dst_sel:DWORD dst_unused:UNUSED_PAD src0_sel:DWORD src1_sel:WORD_1
	v_cmp_eq_u32_e32 vcc, 1, v25
	s_and_b64 exec, exec, vcc
	s_cbranch_execz .LBB822_380
; %bb.379:
	s_lshl_b64 s[2:3], s[22:23], 3
	s_add_u32 s2, s34, s2
	s_addc_u32 s3, s35, s3
	v_mov_b32_e32 v31, 0
	v_lshl_add_u64 v[36:37], v[30:31], 3, s[2:3]
	global_store_dwordx2 v[36:37], v[6:7], off
.LBB822_380:
	s_or_b64 exec, exec, s[0:1]
	v_cmp_lt_u32_e32 vcc, v28, v23
	s_or_b64 s[2:3], s[36:37], vcc
	s_and_saveexec_b64 s[0:1], s[2:3]
	s_cbranch_execz .LBB822_383
; %bb.381:
	v_and_b32_e32 v25, 1, v20
	v_cmp_eq_u32_e32 vcc, 1, v25
	s_and_b64 exec, exec, vcc
	s_cbranch_execz .LBB822_383
; %bb.382:
	s_lshl_b64 s[2:3], s[22:23], 3
	s_add_u32 s2, s34, s2
	s_addc_u32 s3, s35, s3
	v_mov_b32_e32 v29, 0
	v_lshl_add_u64 v[36:37], v[28:29], 3, s[2:3]
	global_store_dwordx2 v[36:37], v[8:9], off
.LBB822_383:
	s_or_b64 exec, exec, s[0:1]
	v_cmp_lt_u32_e32 vcc, v26, v23
	s_or_b64 s[2:3], s[36:37], vcc
	s_and_saveexec_b64 s[0:1], s[2:3]
	s_cbranch_execz .LBB822_386
; %bb.384:
	v_and_b32_e32 v25, 1, v17
	v_cmp_eq_u32_e32 vcc, 1, v25
	s_and_b64 exec, exec, vcc
	s_cbranch_execz .LBB822_386
; %bb.385:
	s_lshl_b64 s[2:3], s[22:23], 3
	s_add_u32 s2, s34, s2
	s_addc_u32 s3, s35, s3
	v_mov_b32_e32 v27, 0
	v_lshl_add_u64 v[36:37], v[26:27], 3, s[2:3]
	global_store_dwordx2 v[36:37], v[2:3], off
.LBB822_386:
	;; [unrolled: 18-line block ×3, first 2 shown]
	s_or_b64 exec, exec, s[0:1]
	v_cmp_lt_u32_e32 vcc, v22, v23
	s_or_b64 s[2:3], s[36:37], vcc
	s_and_saveexec_b64 s[0:1], s[2:3]
	s_cbranch_execz .LBB822_392
; %bb.390:
	v_mov_b32_e32 v23, 1
	v_and_b32_sdwa v23, v23, v17 dst_sel:DWORD dst_unused:UNUSED_PAD src0_sel:DWORD src1_sel:WORD_1
	v_cmp_eq_u32_e32 vcc, 1, v23
	s_and_b64 exec, exec, vcc
	s_cbranch_execz .LBB822_392
; %bb.391:
	s_lshl_b64 s[2:3], s[22:23], 3
	s_add_u32 s2, s34, s2
	s_addc_u32 s3, s35, s3
	v_mov_b32_e32 v23, 0
	v_lshl_add_u64 v[36:37], v[22:23], 3, s[2:3]
	global_store_dwordx2 v[36:37], v[14:15], off
.LBB822_392:
	s_or_b64 exec, exec, s[0:1]
	s_branch .LBB822_369
.LBB822_393:
	v_and_b32_e32 v23, 1, v16
	v_cmp_eq_u32_e32 vcc, 1, v23
	s_and_saveexec_b64 s[0:1], vcc
	s_cbranch_execz .LBB822_395
; %bb.394:
	v_sub_u32_e32 v23, v34, v19
	v_lshlrev_b32_e32 v23, 3, v23
	ds_write_b64 v23, v[10:11]
.LBB822_395:
	s_or_b64 exec, exec, s[0:1]
	v_and_b32_e32 v10, 1, v21
	v_cmp_eq_u32_e32 vcc, 1, v10
	s_and_saveexec_b64 s[0:1], vcc
	s_cbranch_execz .LBB822_397
; %bb.396:
	v_sub_u32_e32 v10, v32, v19
	v_lshlrev_b32_e32 v10, 3, v10
	ds_write_b64 v10, v[12:13]
.LBB822_397:
	s_or_b64 exec, exec, s[0:1]
	v_mov_b32_e32 v10, 1
	v_and_b32_sdwa v10, v10, v16 dst_sel:DWORD dst_unused:UNUSED_PAD src0_sel:DWORD src1_sel:WORD_1
	v_cmp_eq_u32_e32 vcc, 1, v10
	s_and_saveexec_b64 s[0:1], vcc
	s_cbranch_execz .LBB822_399
; %bb.398:
	v_sub_u32_e32 v10, v30, v19
	v_lshlrev_b32_e32 v10, 3, v10
	ds_write_b64 v10, v[6:7]
.LBB822_399:
	s_or_b64 exec, exec, s[0:1]
	v_and_b32_e32 v6, 1, v20
	v_cmp_eq_u32_e32 vcc, 1, v6
	s_and_saveexec_b64 s[0:1], vcc
	s_cbranch_execz .LBB822_401
; %bb.400:
	v_sub_u32_e32 v6, v28, v19
	v_lshlrev_b32_e32 v6, 3, v6
	ds_write_b64 v6, v[8:9]
.LBB822_401:
	s_or_b64 exec, exec, s[0:1]
	v_and_b32_e32 v6, 1, v17
	v_cmp_eq_u32_e32 vcc, 1, v6
	s_and_saveexec_b64 s[0:1], vcc
	s_cbranch_execz .LBB822_403
; %bb.402:
	v_sub_u32_e32 v6, v26, v19
	v_lshlrev_b32_e32 v6, 3, v6
	ds_write_b64 v6, v[2:3]
.LBB822_403:
	s_or_b64 exec, exec, s[0:1]
	v_and_b32_e32 v1, 1, v1
	v_cmp_eq_u32_e32 vcc, 1, v1
	s_and_saveexec_b64 s[0:1], vcc
	s_cbranch_execz .LBB822_405
; %bb.404:
	v_sub_u32_e32 v1, v24, v19
	v_lshlrev_b32_e32 v1, 3, v1
	ds_write_b64 v1, v[4:5]
.LBB822_405:
	s_or_b64 exec, exec, s[0:1]
	v_mov_b32_e32 v1, 1
	v_and_b32_sdwa v1, v1, v17 dst_sel:DWORD dst_unused:UNUSED_PAD src0_sel:DWORD src1_sel:WORD_1
	v_cmp_eq_u32_e32 vcc, 1, v1
	s_and_saveexec_b64 s[0:1], vcc
	s_cbranch_execz .LBB822_407
; %bb.406:
	v_sub_u32_e32 v1, v22, v19
	v_lshlrev_b32_e32 v1, 3, v1
	ds_write_b64 v1, v[14:15]
.LBB822_407:
	s_or_b64 exec, exec, s[0:1]
	v_cmp_lt_u32_e32 vcc, v0, v18
	s_waitcnt lgkmcnt(0)
	s_barrier
	s_and_saveexec_b64 s[0:1], vcc
	s_cbranch_execz .LBB822_410
; %bb.408:
	v_mov_b32_e32 v5, 0
	v_mov_b32_e32 v4, v19
	s_lshl_b64 s[2:3], s[22:23], 3
	v_lshlrev_b64 v[6:7], 3, v[4:5]
	v_lshl_add_u64 v[6:7], s[2:3], 0, v[6:7]
	v_lshlrev_b32_e32 v2, 3, v0
	v_mov_b32_e32 v3, v5
	v_lshl_add_u64 v[4:5], s[34:35], 0, v[6:7]
	v_lshl_add_u64 v[4:5], v[4:5], 0, v[2:3]
	s_mov_b64 s[2:3], 0
	s_mov_b64 s[4:5], 0x1000
.LBB822_409:                            ; =>This Inner Loop Header: Depth=1
	ds_read_b64 v[6:7], v2
	v_add_u32_e32 v0, 0x200, v0
	v_cmp_ge_u32_e32 vcc, v0, v18
	v_add_u32_e32 v2, 0x1000, v2
	s_or_b64 s[2:3], vcc, s[2:3]
	s_waitcnt lgkmcnt(0)
	global_store_dwordx2 v[4:5], v[6:7], off
	v_lshl_add_u64 v[4:5], v[4:5], 0, s[4:5]
	s_andn2_b64 exec, exec, s[2:3]
	s_cbranch_execnz .LBB822_409
.LBB822_410:
	s_or_b64 exec, exec, s[0:1]
	s_and_b64 s[0:1], s[18:19], s[24:25]
	s_and_saveexec_b64 s[2:3], s[0:1]
	s_cbranch_execz .LBB822_370
.LBB822_411:
	v_mov_b32_e32 v1, 0
	v_mov_b32_e32 v0, v18
	v_lshl_add_u64 v[2:3], s[22:23], 0, v[0:1]
	v_mov_b32_e32 v0, v19
	v_lshl_add_u64 v[2:3], v[2:3], 0, v[0:1]
	global_store_dwordx2 v1, v[2:3], s[20:21]
	s_endpgm
	.section	.rodata,"a",@progbits
	.p2align	6, 0x0
	.amdhsa_kernel _ZN7rocprim17ROCPRIM_400000_NS6detail17trampoline_kernelINS0_14default_configENS1_25partition_config_selectorILNS1_17partition_subalgoE8ElNS0_10empty_typeEbEEZZNS1_14partition_implILS5_8ELb0ES3_jPlPS6_PKS6_NS0_5tupleIJS9_S6_EEENSD_IJSA_SA_EEENS0_18inequality_wrapperIZN2at6native12_GLOBAL__N_124unique_dim_cuda_templateIdEESt5tupleIJNSH_6TensorESM_SM_EERKSM_lbbbEUlllE0_EEPmJS6_EEE10hipError_tPvRmT3_T4_T5_T6_T7_T9_mT8_P12ihipStream_tbDpT10_ENKUlT_T0_E_clISt17integral_constantIbLb1EES1C_EEDaS17_S18_EUlS17_E_NS1_11comp_targetILNS1_3genE5ELNS1_11target_archE942ELNS1_3gpuE9ELNS1_3repE0EEENS1_30default_config_static_selectorELNS0_4arch9wavefront6targetE1EEEvT1_
		.amdhsa_group_segment_fixed_size 28684
		.amdhsa_private_segment_fixed_size 0
		.amdhsa_kernarg_size 136
		.amdhsa_user_sgpr_count 2
		.amdhsa_user_sgpr_dispatch_ptr 0
		.amdhsa_user_sgpr_queue_ptr 0
		.amdhsa_user_sgpr_kernarg_segment_ptr 1
		.amdhsa_user_sgpr_dispatch_id 0
		.amdhsa_user_sgpr_kernarg_preload_length 0
		.amdhsa_user_sgpr_kernarg_preload_offset 0
		.amdhsa_user_sgpr_private_segment_size 0
		.amdhsa_uses_dynamic_stack 0
		.amdhsa_enable_private_segment 0
		.amdhsa_system_sgpr_workgroup_id_x 1
		.amdhsa_system_sgpr_workgroup_id_y 0
		.amdhsa_system_sgpr_workgroup_id_z 0
		.amdhsa_system_sgpr_workgroup_info 0
		.amdhsa_system_vgpr_workitem_id 0
		.amdhsa_next_free_vgpr 52
		.amdhsa_next_free_sgpr 56
		.amdhsa_accum_offset 52
		.amdhsa_reserve_vcc 1
		.amdhsa_float_round_mode_32 0
		.amdhsa_float_round_mode_16_64 0
		.amdhsa_float_denorm_mode_32 3
		.amdhsa_float_denorm_mode_16_64 3
		.amdhsa_dx10_clamp 1
		.amdhsa_ieee_mode 1
		.amdhsa_fp16_overflow 0
		.amdhsa_tg_split 0
		.amdhsa_exception_fp_ieee_invalid_op 0
		.amdhsa_exception_fp_denorm_src 0
		.amdhsa_exception_fp_ieee_div_zero 0
		.amdhsa_exception_fp_ieee_overflow 0
		.amdhsa_exception_fp_ieee_underflow 0
		.amdhsa_exception_fp_ieee_inexact 0
		.amdhsa_exception_int_div_zero 0
	.end_amdhsa_kernel
	.section	.text._ZN7rocprim17ROCPRIM_400000_NS6detail17trampoline_kernelINS0_14default_configENS1_25partition_config_selectorILNS1_17partition_subalgoE8ElNS0_10empty_typeEbEEZZNS1_14partition_implILS5_8ELb0ES3_jPlPS6_PKS6_NS0_5tupleIJS9_S6_EEENSD_IJSA_SA_EEENS0_18inequality_wrapperIZN2at6native12_GLOBAL__N_124unique_dim_cuda_templateIdEESt5tupleIJNSH_6TensorESM_SM_EERKSM_lbbbEUlllE0_EEPmJS6_EEE10hipError_tPvRmT3_T4_T5_T6_T7_T9_mT8_P12ihipStream_tbDpT10_ENKUlT_T0_E_clISt17integral_constantIbLb1EES1C_EEDaS17_S18_EUlS17_E_NS1_11comp_targetILNS1_3genE5ELNS1_11target_archE942ELNS1_3gpuE9ELNS1_3repE0EEENS1_30default_config_static_selectorELNS0_4arch9wavefront6targetE1EEEvT1_,"axG",@progbits,_ZN7rocprim17ROCPRIM_400000_NS6detail17trampoline_kernelINS0_14default_configENS1_25partition_config_selectorILNS1_17partition_subalgoE8ElNS0_10empty_typeEbEEZZNS1_14partition_implILS5_8ELb0ES3_jPlPS6_PKS6_NS0_5tupleIJS9_S6_EEENSD_IJSA_SA_EEENS0_18inequality_wrapperIZN2at6native12_GLOBAL__N_124unique_dim_cuda_templateIdEESt5tupleIJNSH_6TensorESM_SM_EERKSM_lbbbEUlllE0_EEPmJS6_EEE10hipError_tPvRmT3_T4_T5_T6_T7_T9_mT8_P12ihipStream_tbDpT10_ENKUlT_T0_E_clISt17integral_constantIbLb1EES1C_EEDaS17_S18_EUlS17_E_NS1_11comp_targetILNS1_3genE5ELNS1_11target_archE942ELNS1_3gpuE9ELNS1_3repE0EEENS1_30default_config_static_selectorELNS0_4arch9wavefront6targetE1EEEvT1_,comdat
.Lfunc_end822:
	.size	_ZN7rocprim17ROCPRIM_400000_NS6detail17trampoline_kernelINS0_14default_configENS1_25partition_config_selectorILNS1_17partition_subalgoE8ElNS0_10empty_typeEbEEZZNS1_14partition_implILS5_8ELb0ES3_jPlPS6_PKS6_NS0_5tupleIJS9_S6_EEENSD_IJSA_SA_EEENS0_18inequality_wrapperIZN2at6native12_GLOBAL__N_124unique_dim_cuda_templateIdEESt5tupleIJNSH_6TensorESM_SM_EERKSM_lbbbEUlllE0_EEPmJS6_EEE10hipError_tPvRmT3_T4_T5_T6_T7_T9_mT8_P12ihipStream_tbDpT10_ENKUlT_T0_E_clISt17integral_constantIbLb1EES1C_EEDaS17_S18_EUlS17_E_NS1_11comp_targetILNS1_3genE5ELNS1_11target_archE942ELNS1_3gpuE9ELNS1_3repE0EEENS1_30default_config_static_selectorELNS0_4arch9wavefront6targetE1EEEvT1_, .Lfunc_end822-_ZN7rocprim17ROCPRIM_400000_NS6detail17trampoline_kernelINS0_14default_configENS1_25partition_config_selectorILNS1_17partition_subalgoE8ElNS0_10empty_typeEbEEZZNS1_14partition_implILS5_8ELb0ES3_jPlPS6_PKS6_NS0_5tupleIJS9_S6_EEENSD_IJSA_SA_EEENS0_18inequality_wrapperIZN2at6native12_GLOBAL__N_124unique_dim_cuda_templateIdEESt5tupleIJNSH_6TensorESM_SM_EERKSM_lbbbEUlllE0_EEPmJS6_EEE10hipError_tPvRmT3_T4_T5_T6_T7_T9_mT8_P12ihipStream_tbDpT10_ENKUlT_T0_E_clISt17integral_constantIbLb1EES1C_EEDaS17_S18_EUlS17_E_NS1_11comp_targetILNS1_3genE5ELNS1_11target_archE942ELNS1_3gpuE9ELNS1_3repE0EEENS1_30default_config_static_selectorELNS0_4arch9wavefront6targetE1EEEvT1_
                                        ; -- End function
	.section	.AMDGPU.csdata,"",@progbits
; Kernel info:
; codeLenInByte = 13124
; NumSgprs: 62
; NumVgprs: 52
; NumAgprs: 0
; TotalNumVgprs: 52
; ScratchSize: 0
; MemoryBound: 1
; FloatMode: 240
; IeeeMode: 1
; LDSByteSize: 28684 bytes/workgroup (compile time only)
; SGPRBlocks: 7
; VGPRBlocks: 6
; NumSGPRsForWavesPerEU: 62
; NumVGPRsForWavesPerEU: 52
; AccumOffset: 52
; Occupancy: 4
; WaveLimiterHint : 1
; COMPUTE_PGM_RSRC2:SCRATCH_EN: 0
; COMPUTE_PGM_RSRC2:USER_SGPR: 2
; COMPUTE_PGM_RSRC2:TRAP_HANDLER: 0
; COMPUTE_PGM_RSRC2:TGID_X_EN: 1
; COMPUTE_PGM_RSRC2:TGID_Y_EN: 0
; COMPUTE_PGM_RSRC2:TGID_Z_EN: 0
; COMPUTE_PGM_RSRC2:TIDIG_COMP_CNT: 0
; COMPUTE_PGM_RSRC3_GFX90A:ACCUM_OFFSET: 12
; COMPUTE_PGM_RSRC3_GFX90A:TG_SPLIT: 0
	.section	.text._ZN7rocprim17ROCPRIM_400000_NS6detail17trampoline_kernelINS0_14default_configENS1_25partition_config_selectorILNS1_17partition_subalgoE8ElNS0_10empty_typeEbEEZZNS1_14partition_implILS5_8ELb0ES3_jPlPS6_PKS6_NS0_5tupleIJS9_S6_EEENSD_IJSA_SA_EEENS0_18inequality_wrapperIZN2at6native12_GLOBAL__N_124unique_dim_cuda_templateIdEESt5tupleIJNSH_6TensorESM_SM_EERKSM_lbbbEUlllE0_EEPmJS6_EEE10hipError_tPvRmT3_T4_T5_T6_T7_T9_mT8_P12ihipStream_tbDpT10_ENKUlT_T0_E_clISt17integral_constantIbLb1EES1C_EEDaS17_S18_EUlS17_E_NS1_11comp_targetILNS1_3genE4ELNS1_11target_archE910ELNS1_3gpuE8ELNS1_3repE0EEENS1_30default_config_static_selectorELNS0_4arch9wavefront6targetE1EEEvT1_,"axG",@progbits,_ZN7rocprim17ROCPRIM_400000_NS6detail17trampoline_kernelINS0_14default_configENS1_25partition_config_selectorILNS1_17partition_subalgoE8ElNS0_10empty_typeEbEEZZNS1_14partition_implILS5_8ELb0ES3_jPlPS6_PKS6_NS0_5tupleIJS9_S6_EEENSD_IJSA_SA_EEENS0_18inequality_wrapperIZN2at6native12_GLOBAL__N_124unique_dim_cuda_templateIdEESt5tupleIJNSH_6TensorESM_SM_EERKSM_lbbbEUlllE0_EEPmJS6_EEE10hipError_tPvRmT3_T4_T5_T6_T7_T9_mT8_P12ihipStream_tbDpT10_ENKUlT_T0_E_clISt17integral_constantIbLb1EES1C_EEDaS17_S18_EUlS17_E_NS1_11comp_targetILNS1_3genE4ELNS1_11target_archE910ELNS1_3gpuE8ELNS1_3repE0EEENS1_30default_config_static_selectorELNS0_4arch9wavefront6targetE1EEEvT1_,comdat
	.globl	_ZN7rocprim17ROCPRIM_400000_NS6detail17trampoline_kernelINS0_14default_configENS1_25partition_config_selectorILNS1_17partition_subalgoE8ElNS0_10empty_typeEbEEZZNS1_14partition_implILS5_8ELb0ES3_jPlPS6_PKS6_NS0_5tupleIJS9_S6_EEENSD_IJSA_SA_EEENS0_18inequality_wrapperIZN2at6native12_GLOBAL__N_124unique_dim_cuda_templateIdEESt5tupleIJNSH_6TensorESM_SM_EERKSM_lbbbEUlllE0_EEPmJS6_EEE10hipError_tPvRmT3_T4_T5_T6_T7_T9_mT8_P12ihipStream_tbDpT10_ENKUlT_T0_E_clISt17integral_constantIbLb1EES1C_EEDaS17_S18_EUlS17_E_NS1_11comp_targetILNS1_3genE4ELNS1_11target_archE910ELNS1_3gpuE8ELNS1_3repE0EEENS1_30default_config_static_selectorELNS0_4arch9wavefront6targetE1EEEvT1_ ; -- Begin function _ZN7rocprim17ROCPRIM_400000_NS6detail17trampoline_kernelINS0_14default_configENS1_25partition_config_selectorILNS1_17partition_subalgoE8ElNS0_10empty_typeEbEEZZNS1_14partition_implILS5_8ELb0ES3_jPlPS6_PKS6_NS0_5tupleIJS9_S6_EEENSD_IJSA_SA_EEENS0_18inequality_wrapperIZN2at6native12_GLOBAL__N_124unique_dim_cuda_templateIdEESt5tupleIJNSH_6TensorESM_SM_EERKSM_lbbbEUlllE0_EEPmJS6_EEE10hipError_tPvRmT3_T4_T5_T6_T7_T9_mT8_P12ihipStream_tbDpT10_ENKUlT_T0_E_clISt17integral_constantIbLb1EES1C_EEDaS17_S18_EUlS17_E_NS1_11comp_targetILNS1_3genE4ELNS1_11target_archE910ELNS1_3gpuE8ELNS1_3repE0EEENS1_30default_config_static_selectorELNS0_4arch9wavefront6targetE1EEEvT1_
	.p2align	8
	.type	_ZN7rocprim17ROCPRIM_400000_NS6detail17trampoline_kernelINS0_14default_configENS1_25partition_config_selectorILNS1_17partition_subalgoE8ElNS0_10empty_typeEbEEZZNS1_14partition_implILS5_8ELb0ES3_jPlPS6_PKS6_NS0_5tupleIJS9_S6_EEENSD_IJSA_SA_EEENS0_18inequality_wrapperIZN2at6native12_GLOBAL__N_124unique_dim_cuda_templateIdEESt5tupleIJNSH_6TensorESM_SM_EERKSM_lbbbEUlllE0_EEPmJS6_EEE10hipError_tPvRmT3_T4_T5_T6_T7_T9_mT8_P12ihipStream_tbDpT10_ENKUlT_T0_E_clISt17integral_constantIbLb1EES1C_EEDaS17_S18_EUlS17_E_NS1_11comp_targetILNS1_3genE4ELNS1_11target_archE910ELNS1_3gpuE8ELNS1_3repE0EEENS1_30default_config_static_selectorELNS0_4arch9wavefront6targetE1EEEvT1_,@function
_ZN7rocprim17ROCPRIM_400000_NS6detail17trampoline_kernelINS0_14default_configENS1_25partition_config_selectorILNS1_17partition_subalgoE8ElNS0_10empty_typeEbEEZZNS1_14partition_implILS5_8ELb0ES3_jPlPS6_PKS6_NS0_5tupleIJS9_S6_EEENSD_IJSA_SA_EEENS0_18inequality_wrapperIZN2at6native12_GLOBAL__N_124unique_dim_cuda_templateIdEESt5tupleIJNSH_6TensorESM_SM_EERKSM_lbbbEUlllE0_EEPmJS6_EEE10hipError_tPvRmT3_T4_T5_T6_T7_T9_mT8_P12ihipStream_tbDpT10_ENKUlT_T0_E_clISt17integral_constantIbLb1EES1C_EEDaS17_S18_EUlS17_E_NS1_11comp_targetILNS1_3genE4ELNS1_11target_archE910ELNS1_3gpuE8ELNS1_3repE0EEENS1_30default_config_static_selectorELNS0_4arch9wavefront6targetE1EEEvT1_: ; @_ZN7rocprim17ROCPRIM_400000_NS6detail17trampoline_kernelINS0_14default_configENS1_25partition_config_selectorILNS1_17partition_subalgoE8ElNS0_10empty_typeEbEEZZNS1_14partition_implILS5_8ELb0ES3_jPlPS6_PKS6_NS0_5tupleIJS9_S6_EEENSD_IJSA_SA_EEENS0_18inequality_wrapperIZN2at6native12_GLOBAL__N_124unique_dim_cuda_templateIdEESt5tupleIJNSH_6TensorESM_SM_EERKSM_lbbbEUlllE0_EEPmJS6_EEE10hipError_tPvRmT3_T4_T5_T6_T7_T9_mT8_P12ihipStream_tbDpT10_ENKUlT_T0_E_clISt17integral_constantIbLb1EES1C_EEDaS17_S18_EUlS17_E_NS1_11comp_targetILNS1_3genE4ELNS1_11target_archE910ELNS1_3gpuE8ELNS1_3repE0EEENS1_30default_config_static_selectorELNS0_4arch9wavefront6targetE1EEEvT1_
; %bb.0:
	.section	.rodata,"a",@progbits
	.p2align	6, 0x0
	.amdhsa_kernel _ZN7rocprim17ROCPRIM_400000_NS6detail17trampoline_kernelINS0_14default_configENS1_25partition_config_selectorILNS1_17partition_subalgoE8ElNS0_10empty_typeEbEEZZNS1_14partition_implILS5_8ELb0ES3_jPlPS6_PKS6_NS0_5tupleIJS9_S6_EEENSD_IJSA_SA_EEENS0_18inequality_wrapperIZN2at6native12_GLOBAL__N_124unique_dim_cuda_templateIdEESt5tupleIJNSH_6TensorESM_SM_EERKSM_lbbbEUlllE0_EEPmJS6_EEE10hipError_tPvRmT3_T4_T5_T6_T7_T9_mT8_P12ihipStream_tbDpT10_ENKUlT_T0_E_clISt17integral_constantIbLb1EES1C_EEDaS17_S18_EUlS17_E_NS1_11comp_targetILNS1_3genE4ELNS1_11target_archE910ELNS1_3gpuE8ELNS1_3repE0EEENS1_30default_config_static_selectorELNS0_4arch9wavefront6targetE1EEEvT1_
		.amdhsa_group_segment_fixed_size 0
		.amdhsa_private_segment_fixed_size 0
		.amdhsa_kernarg_size 136
		.amdhsa_user_sgpr_count 2
		.amdhsa_user_sgpr_dispatch_ptr 0
		.amdhsa_user_sgpr_queue_ptr 0
		.amdhsa_user_sgpr_kernarg_segment_ptr 1
		.amdhsa_user_sgpr_dispatch_id 0
		.amdhsa_user_sgpr_kernarg_preload_length 0
		.amdhsa_user_sgpr_kernarg_preload_offset 0
		.amdhsa_user_sgpr_private_segment_size 0
		.amdhsa_uses_dynamic_stack 0
		.amdhsa_enable_private_segment 0
		.amdhsa_system_sgpr_workgroup_id_x 1
		.amdhsa_system_sgpr_workgroup_id_y 0
		.amdhsa_system_sgpr_workgroup_id_z 0
		.amdhsa_system_sgpr_workgroup_info 0
		.amdhsa_system_vgpr_workitem_id 0
		.amdhsa_next_free_vgpr 1
		.amdhsa_next_free_sgpr 0
		.amdhsa_accum_offset 4
		.amdhsa_reserve_vcc 0
		.amdhsa_float_round_mode_32 0
		.amdhsa_float_round_mode_16_64 0
		.amdhsa_float_denorm_mode_32 3
		.amdhsa_float_denorm_mode_16_64 3
		.amdhsa_dx10_clamp 1
		.amdhsa_ieee_mode 1
		.amdhsa_fp16_overflow 0
		.amdhsa_tg_split 0
		.amdhsa_exception_fp_ieee_invalid_op 0
		.amdhsa_exception_fp_denorm_src 0
		.amdhsa_exception_fp_ieee_div_zero 0
		.amdhsa_exception_fp_ieee_overflow 0
		.amdhsa_exception_fp_ieee_underflow 0
		.amdhsa_exception_fp_ieee_inexact 0
		.amdhsa_exception_int_div_zero 0
	.end_amdhsa_kernel
	.section	.text._ZN7rocprim17ROCPRIM_400000_NS6detail17trampoline_kernelINS0_14default_configENS1_25partition_config_selectorILNS1_17partition_subalgoE8ElNS0_10empty_typeEbEEZZNS1_14partition_implILS5_8ELb0ES3_jPlPS6_PKS6_NS0_5tupleIJS9_S6_EEENSD_IJSA_SA_EEENS0_18inequality_wrapperIZN2at6native12_GLOBAL__N_124unique_dim_cuda_templateIdEESt5tupleIJNSH_6TensorESM_SM_EERKSM_lbbbEUlllE0_EEPmJS6_EEE10hipError_tPvRmT3_T4_T5_T6_T7_T9_mT8_P12ihipStream_tbDpT10_ENKUlT_T0_E_clISt17integral_constantIbLb1EES1C_EEDaS17_S18_EUlS17_E_NS1_11comp_targetILNS1_3genE4ELNS1_11target_archE910ELNS1_3gpuE8ELNS1_3repE0EEENS1_30default_config_static_selectorELNS0_4arch9wavefront6targetE1EEEvT1_,"axG",@progbits,_ZN7rocprim17ROCPRIM_400000_NS6detail17trampoline_kernelINS0_14default_configENS1_25partition_config_selectorILNS1_17partition_subalgoE8ElNS0_10empty_typeEbEEZZNS1_14partition_implILS5_8ELb0ES3_jPlPS6_PKS6_NS0_5tupleIJS9_S6_EEENSD_IJSA_SA_EEENS0_18inequality_wrapperIZN2at6native12_GLOBAL__N_124unique_dim_cuda_templateIdEESt5tupleIJNSH_6TensorESM_SM_EERKSM_lbbbEUlllE0_EEPmJS6_EEE10hipError_tPvRmT3_T4_T5_T6_T7_T9_mT8_P12ihipStream_tbDpT10_ENKUlT_T0_E_clISt17integral_constantIbLb1EES1C_EEDaS17_S18_EUlS17_E_NS1_11comp_targetILNS1_3genE4ELNS1_11target_archE910ELNS1_3gpuE8ELNS1_3repE0EEENS1_30default_config_static_selectorELNS0_4arch9wavefront6targetE1EEEvT1_,comdat
.Lfunc_end823:
	.size	_ZN7rocprim17ROCPRIM_400000_NS6detail17trampoline_kernelINS0_14default_configENS1_25partition_config_selectorILNS1_17partition_subalgoE8ElNS0_10empty_typeEbEEZZNS1_14partition_implILS5_8ELb0ES3_jPlPS6_PKS6_NS0_5tupleIJS9_S6_EEENSD_IJSA_SA_EEENS0_18inequality_wrapperIZN2at6native12_GLOBAL__N_124unique_dim_cuda_templateIdEESt5tupleIJNSH_6TensorESM_SM_EERKSM_lbbbEUlllE0_EEPmJS6_EEE10hipError_tPvRmT3_T4_T5_T6_T7_T9_mT8_P12ihipStream_tbDpT10_ENKUlT_T0_E_clISt17integral_constantIbLb1EES1C_EEDaS17_S18_EUlS17_E_NS1_11comp_targetILNS1_3genE4ELNS1_11target_archE910ELNS1_3gpuE8ELNS1_3repE0EEENS1_30default_config_static_selectorELNS0_4arch9wavefront6targetE1EEEvT1_, .Lfunc_end823-_ZN7rocprim17ROCPRIM_400000_NS6detail17trampoline_kernelINS0_14default_configENS1_25partition_config_selectorILNS1_17partition_subalgoE8ElNS0_10empty_typeEbEEZZNS1_14partition_implILS5_8ELb0ES3_jPlPS6_PKS6_NS0_5tupleIJS9_S6_EEENSD_IJSA_SA_EEENS0_18inequality_wrapperIZN2at6native12_GLOBAL__N_124unique_dim_cuda_templateIdEESt5tupleIJNSH_6TensorESM_SM_EERKSM_lbbbEUlllE0_EEPmJS6_EEE10hipError_tPvRmT3_T4_T5_T6_T7_T9_mT8_P12ihipStream_tbDpT10_ENKUlT_T0_E_clISt17integral_constantIbLb1EES1C_EEDaS17_S18_EUlS17_E_NS1_11comp_targetILNS1_3genE4ELNS1_11target_archE910ELNS1_3gpuE8ELNS1_3repE0EEENS1_30default_config_static_selectorELNS0_4arch9wavefront6targetE1EEEvT1_
                                        ; -- End function
	.section	.AMDGPU.csdata,"",@progbits
; Kernel info:
; codeLenInByte = 0
; NumSgprs: 6
; NumVgprs: 0
; NumAgprs: 0
; TotalNumVgprs: 0
; ScratchSize: 0
; MemoryBound: 0
; FloatMode: 240
; IeeeMode: 1
; LDSByteSize: 0 bytes/workgroup (compile time only)
; SGPRBlocks: 0
; VGPRBlocks: 0
; NumSGPRsForWavesPerEU: 6
; NumVGPRsForWavesPerEU: 1
; AccumOffset: 4
; Occupancy: 8
; WaveLimiterHint : 0
; COMPUTE_PGM_RSRC2:SCRATCH_EN: 0
; COMPUTE_PGM_RSRC2:USER_SGPR: 2
; COMPUTE_PGM_RSRC2:TRAP_HANDLER: 0
; COMPUTE_PGM_RSRC2:TGID_X_EN: 1
; COMPUTE_PGM_RSRC2:TGID_Y_EN: 0
; COMPUTE_PGM_RSRC2:TGID_Z_EN: 0
; COMPUTE_PGM_RSRC2:TIDIG_COMP_CNT: 0
; COMPUTE_PGM_RSRC3_GFX90A:ACCUM_OFFSET: 0
; COMPUTE_PGM_RSRC3_GFX90A:TG_SPLIT: 0
	.section	.text._ZN7rocprim17ROCPRIM_400000_NS6detail17trampoline_kernelINS0_14default_configENS1_25partition_config_selectorILNS1_17partition_subalgoE8ElNS0_10empty_typeEbEEZZNS1_14partition_implILS5_8ELb0ES3_jPlPS6_PKS6_NS0_5tupleIJS9_S6_EEENSD_IJSA_SA_EEENS0_18inequality_wrapperIZN2at6native12_GLOBAL__N_124unique_dim_cuda_templateIdEESt5tupleIJNSH_6TensorESM_SM_EERKSM_lbbbEUlllE0_EEPmJS6_EEE10hipError_tPvRmT3_T4_T5_T6_T7_T9_mT8_P12ihipStream_tbDpT10_ENKUlT_T0_E_clISt17integral_constantIbLb1EES1C_EEDaS17_S18_EUlS17_E_NS1_11comp_targetILNS1_3genE3ELNS1_11target_archE908ELNS1_3gpuE7ELNS1_3repE0EEENS1_30default_config_static_selectorELNS0_4arch9wavefront6targetE1EEEvT1_,"axG",@progbits,_ZN7rocprim17ROCPRIM_400000_NS6detail17trampoline_kernelINS0_14default_configENS1_25partition_config_selectorILNS1_17partition_subalgoE8ElNS0_10empty_typeEbEEZZNS1_14partition_implILS5_8ELb0ES3_jPlPS6_PKS6_NS0_5tupleIJS9_S6_EEENSD_IJSA_SA_EEENS0_18inequality_wrapperIZN2at6native12_GLOBAL__N_124unique_dim_cuda_templateIdEESt5tupleIJNSH_6TensorESM_SM_EERKSM_lbbbEUlllE0_EEPmJS6_EEE10hipError_tPvRmT3_T4_T5_T6_T7_T9_mT8_P12ihipStream_tbDpT10_ENKUlT_T0_E_clISt17integral_constantIbLb1EES1C_EEDaS17_S18_EUlS17_E_NS1_11comp_targetILNS1_3genE3ELNS1_11target_archE908ELNS1_3gpuE7ELNS1_3repE0EEENS1_30default_config_static_selectorELNS0_4arch9wavefront6targetE1EEEvT1_,comdat
	.globl	_ZN7rocprim17ROCPRIM_400000_NS6detail17trampoline_kernelINS0_14default_configENS1_25partition_config_selectorILNS1_17partition_subalgoE8ElNS0_10empty_typeEbEEZZNS1_14partition_implILS5_8ELb0ES3_jPlPS6_PKS6_NS0_5tupleIJS9_S6_EEENSD_IJSA_SA_EEENS0_18inequality_wrapperIZN2at6native12_GLOBAL__N_124unique_dim_cuda_templateIdEESt5tupleIJNSH_6TensorESM_SM_EERKSM_lbbbEUlllE0_EEPmJS6_EEE10hipError_tPvRmT3_T4_T5_T6_T7_T9_mT8_P12ihipStream_tbDpT10_ENKUlT_T0_E_clISt17integral_constantIbLb1EES1C_EEDaS17_S18_EUlS17_E_NS1_11comp_targetILNS1_3genE3ELNS1_11target_archE908ELNS1_3gpuE7ELNS1_3repE0EEENS1_30default_config_static_selectorELNS0_4arch9wavefront6targetE1EEEvT1_ ; -- Begin function _ZN7rocprim17ROCPRIM_400000_NS6detail17trampoline_kernelINS0_14default_configENS1_25partition_config_selectorILNS1_17partition_subalgoE8ElNS0_10empty_typeEbEEZZNS1_14partition_implILS5_8ELb0ES3_jPlPS6_PKS6_NS0_5tupleIJS9_S6_EEENSD_IJSA_SA_EEENS0_18inequality_wrapperIZN2at6native12_GLOBAL__N_124unique_dim_cuda_templateIdEESt5tupleIJNSH_6TensorESM_SM_EERKSM_lbbbEUlllE0_EEPmJS6_EEE10hipError_tPvRmT3_T4_T5_T6_T7_T9_mT8_P12ihipStream_tbDpT10_ENKUlT_T0_E_clISt17integral_constantIbLb1EES1C_EEDaS17_S18_EUlS17_E_NS1_11comp_targetILNS1_3genE3ELNS1_11target_archE908ELNS1_3gpuE7ELNS1_3repE0EEENS1_30default_config_static_selectorELNS0_4arch9wavefront6targetE1EEEvT1_
	.p2align	8
	.type	_ZN7rocprim17ROCPRIM_400000_NS6detail17trampoline_kernelINS0_14default_configENS1_25partition_config_selectorILNS1_17partition_subalgoE8ElNS0_10empty_typeEbEEZZNS1_14partition_implILS5_8ELb0ES3_jPlPS6_PKS6_NS0_5tupleIJS9_S6_EEENSD_IJSA_SA_EEENS0_18inequality_wrapperIZN2at6native12_GLOBAL__N_124unique_dim_cuda_templateIdEESt5tupleIJNSH_6TensorESM_SM_EERKSM_lbbbEUlllE0_EEPmJS6_EEE10hipError_tPvRmT3_T4_T5_T6_T7_T9_mT8_P12ihipStream_tbDpT10_ENKUlT_T0_E_clISt17integral_constantIbLb1EES1C_EEDaS17_S18_EUlS17_E_NS1_11comp_targetILNS1_3genE3ELNS1_11target_archE908ELNS1_3gpuE7ELNS1_3repE0EEENS1_30default_config_static_selectorELNS0_4arch9wavefront6targetE1EEEvT1_,@function
_ZN7rocprim17ROCPRIM_400000_NS6detail17trampoline_kernelINS0_14default_configENS1_25partition_config_selectorILNS1_17partition_subalgoE8ElNS0_10empty_typeEbEEZZNS1_14partition_implILS5_8ELb0ES3_jPlPS6_PKS6_NS0_5tupleIJS9_S6_EEENSD_IJSA_SA_EEENS0_18inequality_wrapperIZN2at6native12_GLOBAL__N_124unique_dim_cuda_templateIdEESt5tupleIJNSH_6TensorESM_SM_EERKSM_lbbbEUlllE0_EEPmJS6_EEE10hipError_tPvRmT3_T4_T5_T6_T7_T9_mT8_P12ihipStream_tbDpT10_ENKUlT_T0_E_clISt17integral_constantIbLb1EES1C_EEDaS17_S18_EUlS17_E_NS1_11comp_targetILNS1_3genE3ELNS1_11target_archE908ELNS1_3gpuE7ELNS1_3repE0EEENS1_30default_config_static_selectorELNS0_4arch9wavefront6targetE1EEEvT1_: ; @_ZN7rocprim17ROCPRIM_400000_NS6detail17trampoline_kernelINS0_14default_configENS1_25partition_config_selectorILNS1_17partition_subalgoE8ElNS0_10empty_typeEbEEZZNS1_14partition_implILS5_8ELb0ES3_jPlPS6_PKS6_NS0_5tupleIJS9_S6_EEENSD_IJSA_SA_EEENS0_18inequality_wrapperIZN2at6native12_GLOBAL__N_124unique_dim_cuda_templateIdEESt5tupleIJNSH_6TensorESM_SM_EERKSM_lbbbEUlllE0_EEPmJS6_EEE10hipError_tPvRmT3_T4_T5_T6_T7_T9_mT8_P12ihipStream_tbDpT10_ENKUlT_T0_E_clISt17integral_constantIbLb1EES1C_EEDaS17_S18_EUlS17_E_NS1_11comp_targetILNS1_3genE3ELNS1_11target_archE908ELNS1_3gpuE7ELNS1_3repE0EEENS1_30default_config_static_selectorELNS0_4arch9wavefront6targetE1EEEvT1_
; %bb.0:
	.section	.rodata,"a",@progbits
	.p2align	6, 0x0
	.amdhsa_kernel _ZN7rocprim17ROCPRIM_400000_NS6detail17trampoline_kernelINS0_14default_configENS1_25partition_config_selectorILNS1_17partition_subalgoE8ElNS0_10empty_typeEbEEZZNS1_14partition_implILS5_8ELb0ES3_jPlPS6_PKS6_NS0_5tupleIJS9_S6_EEENSD_IJSA_SA_EEENS0_18inequality_wrapperIZN2at6native12_GLOBAL__N_124unique_dim_cuda_templateIdEESt5tupleIJNSH_6TensorESM_SM_EERKSM_lbbbEUlllE0_EEPmJS6_EEE10hipError_tPvRmT3_T4_T5_T6_T7_T9_mT8_P12ihipStream_tbDpT10_ENKUlT_T0_E_clISt17integral_constantIbLb1EES1C_EEDaS17_S18_EUlS17_E_NS1_11comp_targetILNS1_3genE3ELNS1_11target_archE908ELNS1_3gpuE7ELNS1_3repE0EEENS1_30default_config_static_selectorELNS0_4arch9wavefront6targetE1EEEvT1_
		.amdhsa_group_segment_fixed_size 0
		.amdhsa_private_segment_fixed_size 0
		.amdhsa_kernarg_size 136
		.amdhsa_user_sgpr_count 2
		.amdhsa_user_sgpr_dispatch_ptr 0
		.amdhsa_user_sgpr_queue_ptr 0
		.amdhsa_user_sgpr_kernarg_segment_ptr 1
		.amdhsa_user_sgpr_dispatch_id 0
		.amdhsa_user_sgpr_kernarg_preload_length 0
		.amdhsa_user_sgpr_kernarg_preload_offset 0
		.amdhsa_user_sgpr_private_segment_size 0
		.amdhsa_uses_dynamic_stack 0
		.amdhsa_enable_private_segment 0
		.amdhsa_system_sgpr_workgroup_id_x 1
		.amdhsa_system_sgpr_workgroup_id_y 0
		.amdhsa_system_sgpr_workgroup_id_z 0
		.amdhsa_system_sgpr_workgroup_info 0
		.amdhsa_system_vgpr_workitem_id 0
		.amdhsa_next_free_vgpr 1
		.amdhsa_next_free_sgpr 0
		.amdhsa_accum_offset 4
		.amdhsa_reserve_vcc 0
		.amdhsa_float_round_mode_32 0
		.amdhsa_float_round_mode_16_64 0
		.amdhsa_float_denorm_mode_32 3
		.amdhsa_float_denorm_mode_16_64 3
		.amdhsa_dx10_clamp 1
		.amdhsa_ieee_mode 1
		.amdhsa_fp16_overflow 0
		.amdhsa_tg_split 0
		.amdhsa_exception_fp_ieee_invalid_op 0
		.amdhsa_exception_fp_denorm_src 0
		.amdhsa_exception_fp_ieee_div_zero 0
		.amdhsa_exception_fp_ieee_overflow 0
		.amdhsa_exception_fp_ieee_underflow 0
		.amdhsa_exception_fp_ieee_inexact 0
		.amdhsa_exception_int_div_zero 0
	.end_amdhsa_kernel
	.section	.text._ZN7rocprim17ROCPRIM_400000_NS6detail17trampoline_kernelINS0_14default_configENS1_25partition_config_selectorILNS1_17partition_subalgoE8ElNS0_10empty_typeEbEEZZNS1_14partition_implILS5_8ELb0ES3_jPlPS6_PKS6_NS0_5tupleIJS9_S6_EEENSD_IJSA_SA_EEENS0_18inequality_wrapperIZN2at6native12_GLOBAL__N_124unique_dim_cuda_templateIdEESt5tupleIJNSH_6TensorESM_SM_EERKSM_lbbbEUlllE0_EEPmJS6_EEE10hipError_tPvRmT3_T4_T5_T6_T7_T9_mT8_P12ihipStream_tbDpT10_ENKUlT_T0_E_clISt17integral_constantIbLb1EES1C_EEDaS17_S18_EUlS17_E_NS1_11comp_targetILNS1_3genE3ELNS1_11target_archE908ELNS1_3gpuE7ELNS1_3repE0EEENS1_30default_config_static_selectorELNS0_4arch9wavefront6targetE1EEEvT1_,"axG",@progbits,_ZN7rocprim17ROCPRIM_400000_NS6detail17trampoline_kernelINS0_14default_configENS1_25partition_config_selectorILNS1_17partition_subalgoE8ElNS0_10empty_typeEbEEZZNS1_14partition_implILS5_8ELb0ES3_jPlPS6_PKS6_NS0_5tupleIJS9_S6_EEENSD_IJSA_SA_EEENS0_18inequality_wrapperIZN2at6native12_GLOBAL__N_124unique_dim_cuda_templateIdEESt5tupleIJNSH_6TensorESM_SM_EERKSM_lbbbEUlllE0_EEPmJS6_EEE10hipError_tPvRmT3_T4_T5_T6_T7_T9_mT8_P12ihipStream_tbDpT10_ENKUlT_T0_E_clISt17integral_constantIbLb1EES1C_EEDaS17_S18_EUlS17_E_NS1_11comp_targetILNS1_3genE3ELNS1_11target_archE908ELNS1_3gpuE7ELNS1_3repE0EEENS1_30default_config_static_selectorELNS0_4arch9wavefront6targetE1EEEvT1_,comdat
.Lfunc_end824:
	.size	_ZN7rocprim17ROCPRIM_400000_NS6detail17trampoline_kernelINS0_14default_configENS1_25partition_config_selectorILNS1_17partition_subalgoE8ElNS0_10empty_typeEbEEZZNS1_14partition_implILS5_8ELb0ES3_jPlPS6_PKS6_NS0_5tupleIJS9_S6_EEENSD_IJSA_SA_EEENS0_18inequality_wrapperIZN2at6native12_GLOBAL__N_124unique_dim_cuda_templateIdEESt5tupleIJNSH_6TensorESM_SM_EERKSM_lbbbEUlllE0_EEPmJS6_EEE10hipError_tPvRmT3_T4_T5_T6_T7_T9_mT8_P12ihipStream_tbDpT10_ENKUlT_T0_E_clISt17integral_constantIbLb1EES1C_EEDaS17_S18_EUlS17_E_NS1_11comp_targetILNS1_3genE3ELNS1_11target_archE908ELNS1_3gpuE7ELNS1_3repE0EEENS1_30default_config_static_selectorELNS0_4arch9wavefront6targetE1EEEvT1_, .Lfunc_end824-_ZN7rocprim17ROCPRIM_400000_NS6detail17trampoline_kernelINS0_14default_configENS1_25partition_config_selectorILNS1_17partition_subalgoE8ElNS0_10empty_typeEbEEZZNS1_14partition_implILS5_8ELb0ES3_jPlPS6_PKS6_NS0_5tupleIJS9_S6_EEENSD_IJSA_SA_EEENS0_18inequality_wrapperIZN2at6native12_GLOBAL__N_124unique_dim_cuda_templateIdEESt5tupleIJNSH_6TensorESM_SM_EERKSM_lbbbEUlllE0_EEPmJS6_EEE10hipError_tPvRmT3_T4_T5_T6_T7_T9_mT8_P12ihipStream_tbDpT10_ENKUlT_T0_E_clISt17integral_constantIbLb1EES1C_EEDaS17_S18_EUlS17_E_NS1_11comp_targetILNS1_3genE3ELNS1_11target_archE908ELNS1_3gpuE7ELNS1_3repE0EEENS1_30default_config_static_selectorELNS0_4arch9wavefront6targetE1EEEvT1_
                                        ; -- End function
	.section	.AMDGPU.csdata,"",@progbits
; Kernel info:
; codeLenInByte = 0
; NumSgprs: 6
; NumVgprs: 0
; NumAgprs: 0
; TotalNumVgprs: 0
; ScratchSize: 0
; MemoryBound: 0
; FloatMode: 240
; IeeeMode: 1
; LDSByteSize: 0 bytes/workgroup (compile time only)
; SGPRBlocks: 0
; VGPRBlocks: 0
; NumSGPRsForWavesPerEU: 6
; NumVGPRsForWavesPerEU: 1
; AccumOffset: 4
; Occupancy: 8
; WaveLimiterHint : 0
; COMPUTE_PGM_RSRC2:SCRATCH_EN: 0
; COMPUTE_PGM_RSRC2:USER_SGPR: 2
; COMPUTE_PGM_RSRC2:TRAP_HANDLER: 0
; COMPUTE_PGM_RSRC2:TGID_X_EN: 1
; COMPUTE_PGM_RSRC2:TGID_Y_EN: 0
; COMPUTE_PGM_RSRC2:TGID_Z_EN: 0
; COMPUTE_PGM_RSRC2:TIDIG_COMP_CNT: 0
; COMPUTE_PGM_RSRC3_GFX90A:ACCUM_OFFSET: 0
; COMPUTE_PGM_RSRC3_GFX90A:TG_SPLIT: 0
	.section	.text._ZN7rocprim17ROCPRIM_400000_NS6detail17trampoline_kernelINS0_14default_configENS1_25partition_config_selectorILNS1_17partition_subalgoE8ElNS0_10empty_typeEbEEZZNS1_14partition_implILS5_8ELb0ES3_jPlPS6_PKS6_NS0_5tupleIJS9_S6_EEENSD_IJSA_SA_EEENS0_18inequality_wrapperIZN2at6native12_GLOBAL__N_124unique_dim_cuda_templateIdEESt5tupleIJNSH_6TensorESM_SM_EERKSM_lbbbEUlllE0_EEPmJS6_EEE10hipError_tPvRmT3_T4_T5_T6_T7_T9_mT8_P12ihipStream_tbDpT10_ENKUlT_T0_E_clISt17integral_constantIbLb1EES1C_EEDaS17_S18_EUlS17_E_NS1_11comp_targetILNS1_3genE2ELNS1_11target_archE906ELNS1_3gpuE6ELNS1_3repE0EEENS1_30default_config_static_selectorELNS0_4arch9wavefront6targetE1EEEvT1_,"axG",@progbits,_ZN7rocprim17ROCPRIM_400000_NS6detail17trampoline_kernelINS0_14default_configENS1_25partition_config_selectorILNS1_17partition_subalgoE8ElNS0_10empty_typeEbEEZZNS1_14partition_implILS5_8ELb0ES3_jPlPS6_PKS6_NS0_5tupleIJS9_S6_EEENSD_IJSA_SA_EEENS0_18inequality_wrapperIZN2at6native12_GLOBAL__N_124unique_dim_cuda_templateIdEESt5tupleIJNSH_6TensorESM_SM_EERKSM_lbbbEUlllE0_EEPmJS6_EEE10hipError_tPvRmT3_T4_T5_T6_T7_T9_mT8_P12ihipStream_tbDpT10_ENKUlT_T0_E_clISt17integral_constantIbLb1EES1C_EEDaS17_S18_EUlS17_E_NS1_11comp_targetILNS1_3genE2ELNS1_11target_archE906ELNS1_3gpuE6ELNS1_3repE0EEENS1_30default_config_static_selectorELNS0_4arch9wavefront6targetE1EEEvT1_,comdat
	.globl	_ZN7rocprim17ROCPRIM_400000_NS6detail17trampoline_kernelINS0_14default_configENS1_25partition_config_selectorILNS1_17partition_subalgoE8ElNS0_10empty_typeEbEEZZNS1_14partition_implILS5_8ELb0ES3_jPlPS6_PKS6_NS0_5tupleIJS9_S6_EEENSD_IJSA_SA_EEENS0_18inequality_wrapperIZN2at6native12_GLOBAL__N_124unique_dim_cuda_templateIdEESt5tupleIJNSH_6TensorESM_SM_EERKSM_lbbbEUlllE0_EEPmJS6_EEE10hipError_tPvRmT3_T4_T5_T6_T7_T9_mT8_P12ihipStream_tbDpT10_ENKUlT_T0_E_clISt17integral_constantIbLb1EES1C_EEDaS17_S18_EUlS17_E_NS1_11comp_targetILNS1_3genE2ELNS1_11target_archE906ELNS1_3gpuE6ELNS1_3repE0EEENS1_30default_config_static_selectorELNS0_4arch9wavefront6targetE1EEEvT1_ ; -- Begin function _ZN7rocprim17ROCPRIM_400000_NS6detail17trampoline_kernelINS0_14default_configENS1_25partition_config_selectorILNS1_17partition_subalgoE8ElNS0_10empty_typeEbEEZZNS1_14partition_implILS5_8ELb0ES3_jPlPS6_PKS6_NS0_5tupleIJS9_S6_EEENSD_IJSA_SA_EEENS0_18inequality_wrapperIZN2at6native12_GLOBAL__N_124unique_dim_cuda_templateIdEESt5tupleIJNSH_6TensorESM_SM_EERKSM_lbbbEUlllE0_EEPmJS6_EEE10hipError_tPvRmT3_T4_T5_T6_T7_T9_mT8_P12ihipStream_tbDpT10_ENKUlT_T0_E_clISt17integral_constantIbLb1EES1C_EEDaS17_S18_EUlS17_E_NS1_11comp_targetILNS1_3genE2ELNS1_11target_archE906ELNS1_3gpuE6ELNS1_3repE0EEENS1_30default_config_static_selectorELNS0_4arch9wavefront6targetE1EEEvT1_
	.p2align	8
	.type	_ZN7rocprim17ROCPRIM_400000_NS6detail17trampoline_kernelINS0_14default_configENS1_25partition_config_selectorILNS1_17partition_subalgoE8ElNS0_10empty_typeEbEEZZNS1_14partition_implILS5_8ELb0ES3_jPlPS6_PKS6_NS0_5tupleIJS9_S6_EEENSD_IJSA_SA_EEENS0_18inequality_wrapperIZN2at6native12_GLOBAL__N_124unique_dim_cuda_templateIdEESt5tupleIJNSH_6TensorESM_SM_EERKSM_lbbbEUlllE0_EEPmJS6_EEE10hipError_tPvRmT3_T4_T5_T6_T7_T9_mT8_P12ihipStream_tbDpT10_ENKUlT_T0_E_clISt17integral_constantIbLb1EES1C_EEDaS17_S18_EUlS17_E_NS1_11comp_targetILNS1_3genE2ELNS1_11target_archE906ELNS1_3gpuE6ELNS1_3repE0EEENS1_30default_config_static_selectorELNS0_4arch9wavefront6targetE1EEEvT1_,@function
_ZN7rocprim17ROCPRIM_400000_NS6detail17trampoline_kernelINS0_14default_configENS1_25partition_config_selectorILNS1_17partition_subalgoE8ElNS0_10empty_typeEbEEZZNS1_14partition_implILS5_8ELb0ES3_jPlPS6_PKS6_NS0_5tupleIJS9_S6_EEENSD_IJSA_SA_EEENS0_18inequality_wrapperIZN2at6native12_GLOBAL__N_124unique_dim_cuda_templateIdEESt5tupleIJNSH_6TensorESM_SM_EERKSM_lbbbEUlllE0_EEPmJS6_EEE10hipError_tPvRmT3_T4_T5_T6_T7_T9_mT8_P12ihipStream_tbDpT10_ENKUlT_T0_E_clISt17integral_constantIbLb1EES1C_EEDaS17_S18_EUlS17_E_NS1_11comp_targetILNS1_3genE2ELNS1_11target_archE906ELNS1_3gpuE6ELNS1_3repE0EEENS1_30default_config_static_selectorELNS0_4arch9wavefront6targetE1EEEvT1_: ; @_ZN7rocprim17ROCPRIM_400000_NS6detail17trampoline_kernelINS0_14default_configENS1_25partition_config_selectorILNS1_17partition_subalgoE8ElNS0_10empty_typeEbEEZZNS1_14partition_implILS5_8ELb0ES3_jPlPS6_PKS6_NS0_5tupleIJS9_S6_EEENSD_IJSA_SA_EEENS0_18inequality_wrapperIZN2at6native12_GLOBAL__N_124unique_dim_cuda_templateIdEESt5tupleIJNSH_6TensorESM_SM_EERKSM_lbbbEUlllE0_EEPmJS6_EEE10hipError_tPvRmT3_T4_T5_T6_T7_T9_mT8_P12ihipStream_tbDpT10_ENKUlT_T0_E_clISt17integral_constantIbLb1EES1C_EEDaS17_S18_EUlS17_E_NS1_11comp_targetILNS1_3genE2ELNS1_11target_archE906ELNS1_3gpuE6ELNS1_3repE0EEENS1_30default_config_static_selectorELNS0_4arch9wavefront6targetE1EEEvT1_
; %bb.0:
	.section	.rodata,"a",@progbits
	.p2align	6, 0x0
	.amdhsa_kernel _ZN7rocprim17ROCPRIM_400000_NS6detail17trampoline_kernelINS0_14default_configENS1_25partition_config_selectorILNS1_17partition_subalgoE8ElNS0_10empty_typeEbEEZZNS1_14partition_implILS5_8ELb0ES3_jPlPS6_PKS6_NS0_5tupleIJS9_S6_EEENSD_IJSA_SA_EEENS0_18inequality_wrapperIZN2at6native12_GLOBAL__N_124unique_dim_cuda_templateIdEESt5tupleIJNSH_6TensorESM_SM_EERKSM_lbbbEUlllE0_EEPmJS6_EEE10hipError_tPvRmT3_T4_T5_T6_T7_T9_mT8_P12ihipStream_tbDpT10_ENKUlT_T0_E_clISt17integral_constantIbLb1EES1C_EEDaS17_S18_EUlS17_E_NS1_11comp_targetILNS1_3genE2ELNS1_11target_archE906ELNS1_3gpuE6ELNS1_3repE0EEENS1_30default_config_static_selectorELNS0_4arch9wavefront6targetE1EEEvT1_
		.amdhsa_group_segment_fixed_size 0
		.amdhsa_private_segment_fixed_size 0
		.amdhsa_kernarg_size 136
		.amdhsa_user_sgpr_count 2
		.amdhsa_user_sgpr_dispatch_ptr 0
		.amdhsa_user_sgpr_queue_ptr 0
		.amdhsa_user_sgpr_kernarg_segment_ptr 1
		.amdhsa_user_sgpr_dispatch_id 0
		.amdhsa_user_sgpr_kernarg_preload_length 0
		.amdhsa_user_sgpr_kernarg_preload_offset 0
		.amdhsa_user_sgpr_private_segment_size 0
		.amdhsa_uses_dynamic_stack 0
		.amdhsa_enable_private_segment 0
		.amdhsa_system_sgpr_workgroup_id_x 1
		.amdhsa_system_sgpr_workgroup_id_y 0
		.amdhsa_system_sgpr_workgroup_id_z 0
		.amdhsa_system_sgpr_workgroup_info 0
		.amdhsa_system_vgpr_workitem_id 0
		.amdhsa_next_free_vgpr 1
		.amdhsa_next_free_sgpr 0
		.amdhsa_accum_offset 4
		.amdhsa_reserve_vcc 0
		.amdhsa_float_round_mode_32 0
		.amdhsa_float_round_mode_16_64 0
		.amdhsa_float_denorm_mode_32 3
		.amdhsa_float_denorm_mode_16_64 3
		.amdhsa_dx10_clamp 1
		.amdhsa_ieee_mode 1
		.amdhsa_fp16_overflow 0
		.amdhsa_tg_split 0
		.amdhsa_exception_fp_ieee_invalid_op 0
		.amdhsa_exception_fp_denorm_src 0
		.amdhsa_exception_fp_ieee_div_zero 0
		.amdhsa_exception_fp_ieee_overflow 0
		.amdhsa_exception_fp_ieee_underflow 0
		.amdhsa_exception_fp_ieee_inexact 0
		.amdhsa_exception_int_div_zero 0
	.end_amdhsa_kernel
	.section	.text._ZN7rocprim17ROCPRIM_400000_NS6detail17trampoline_kernelINS0_14default_configENS1_25partition_config_selectorILNS1_17partition_subalgoE8ElNS0_10empty_typeEbEEZZNS1_14partition_implILS5_8ELb0ES3_jPlPS6_PKS6_NS0_5tupleIJS9_S6_EEENSD_IJSA_SA_EEENS0_18inequality_wrapperIZN2at6native12_GLOBAL__N_124unique_dim_cuda_templateIdEESt5tupleIJNSH_6TensorESM_SM_EERKSM_lbbbEUlllE0_EEPmJS6_EEE10hipError_tPvRmT3_T4_T5_T6_T7_T9_mT8_P12ihipStream_tbDpT10_ENKUlT_T0_E_clISt17integral_constantIbLb1EES1C_EEDaS17_S18_EUlS17_E_NS1_11comp_targetILNS1_3genE2ELNS1_11target_archE906ELNS1_3gpuE6ELNS1_3repE0EEENS1_30default_config_static_selectorELNS0_4arch9wavefront6targetE1EEEvT1_,"axG",@progbits,_ZN7rocprim17ROCPRIM_400000_NS6detail17trampoline_kernelINS0_14default_configENS1_25partition_config_selectorILNS1_17partition_subalgoE8ElNS0_10empty_typeEbEEZZNS1_14partition_implILS5_8ELb0ES3_jPlPS6_PKS6_NS0_5tupleIJS9_S6_EEENSD_IJSA_SA_EEENS0_18inequality_wrapperIZN2at6native12_GLOBAL__N_124unique_dim_cuda_templateIdEESt5tupleIJNSH_6TensorESM_SM_EERKSM_lbbbEUlllE0_EEPmJS6_EEE10hipError_tPvRmT3_T4_T5_T6_T7_T9_mT8_P12ihipStream_tbDpT10_ENKUlT_T0_E_clISt17integral_constantIbLb1EES1C_EEDaS17_S18_EUlS17_E_NS1_11comp_targetILNS1_3genE2ELNS1_11target_archE906ELNS1_3gpuE6ELNS1_3repE0EEENS1_30default_config_static_selectorELNS0_4arch9wavefront6targetE1EEEvT1_,comdat
.Lfunc_end825:
	.size	_ZN7rocprim17ROCPRIM_400000_NS6detail17trampoline_kernelINS0_14default_configENS1_25partition_config_selectorILNS1_17partition_subalgoE8ElNS0_10empty_typeEbEEZZNS1_14partition_implILS5_8ELb0ES3_jPlPS6_PKS6_NS0_5tupleIJS9_S6_EEENSD_IJSA_SA_EEENS0_18inequality_wrapperIZN2at6native12_GLOBAL__N_124unique_dim_cuda_templateIdEESt5tupleIJNSH_6TensorESM_SM_EERKSM_lbbbEUlllE0_EEPmJS6_EEE10hipError_tPvRmT3_T4_T5_T6_T7_T9_mT8_P12ihipStream_tbDpT10_ENKUlT_T0_E_clISt17integral_constantIbLb1EES1C_EEDaS17_S18_EUlS17_E_NS1_11comp_targetILNS1_3genE2ELNS1_11target_archE906ELNS1_3gpuE6ELNS1_3repE0EEENS1_30default_config_static_selectorELNS0_4arch9wavefront6targetE1EEEvT1_, .Lfunc_end825-_ZN7rocprim17ROCPRIM_400000_NS6detail17trampoline_kernelINS0_14default_configENS1_25partition_config_selectorILNS1_17partition_subalgoE8ElNS0_10empty_typeEbEEZZNS1_14partition_implILS5_8ELb0ES3_jPlPS6_PKS6_NS0_5tupleIJS9_S6_EEENSD_IJSA_SA_EEENS0_18inequality_wrapperIZN2at6native12_GLOBAL__N_124unique_dim_cuda_templateIdEESt5tupleIJNSH_6TensorESM_SM_EERKSM_lbbbEUlllE0_EEPmJS6_EEE10hipError_tPvRmT3_T4_T5_T6_T7_T9_mT8_P12ihipStream_tbDpT10_ENKUlT_T0_E_clISt17integral_constantIbLb1EES1C_EEDaS17_S18_EUlS17_E_NS1_11comp_targetILNS1_3genE2ELNS1_11target_archE906ELNS1_3gpuE6ELNS1_3repE0EEENS1_30default_config_static_selectorELNS0_4arch9wavefront6targetE1EEEvT1_
                                        ; -- End function
	.section	.AMDGPU.csdata,"",@progbits
; Kernel info:
; codeLenInByte = 0
; NumSgprs: 6
; NumVgprs: 0
; NumAgprs: 0
; TotalNumVgprs: 0
; ScratchSize: 0
; MemoryBound: 0
; FloatMode: 240
; IeeeMode: 1
; LDSByteSize: 0 bytes/workgroup (compile time only)
; SGPRBlocks: 0
; VGPRBlocks: 0
; NumSGPRsForWavesPerEU: 6
; NumVGPRsForWavesPerEU: 1
; AccumOffset: 4
; Occupancy: 8
; WaveLimiterHint : 0
; COMPUTE_PGM_RSRC2:SCRATCH_EN: 0
; COMPUTE_PGM_RSRC2:USER_SGPR: 2
; COMPUTE_PGM_RSRC2:TRAP_HANDLER: 0
; COMPUTE_PGM_RSRC2:TGID_X_EN: 1
; COMPUTE_PGM_RSRC2:TGID_Y_EN: 0
; COMPUTE_PGM_RSRC2:TGID_Z_EN: 0
; COMPUTE_PGM_RSRC2:TIDIG_COMP_CNT: 0
; COMPUTE_PGM_RSRC3_GFX90A:ACCUM_OFFSET: 0
; COMPUTE_PGM_RSRC3_GFX90A:TG_SPLIT: 0
	.section	.text._ZN7rocprim17ROCPRIM_400000_NS6detail17trampoline_kernelINS0_14default_configENS1_25partition_config_selectorILNS1_17partition_subalgoE8ElNS0_10empty_typeEbEEZZNS1_14partition_implILS5_8ELb0ES3_jPlPS6_PKS6_NS0_5tupleIJS9_S6_EEENSD_IJSA_SA_EEENS0_18inequality_wrapperIZN2at6native12_GLOBAL__N_124unique_dim_cuda_templateIdEESt5tupleIJNSH_6TensorESM_SM_EERKSM_lbbbEUlllE0_EEPmJS6_EEE10hipError_tPvRmT3_T4_T5_T6_T7_T9_mT8_P12ihipStream_tbDpT10_ENKUlT_T0_E_clISt17integral_constantIbLb1EES1C_EEDaS17_S18_EUlS17_E_NS1_11comp_targetILNS1_3genE10ELNS1_11target_archE1200ELNS1_3gpuE4ELNS1_3repE0EEENS1_30default_config_static_selectorELNS0_4arch9wavefront6targetE1EEEvT1_,"axG",@progbits,_ZN7rocprim17ROCPRIM_400000_NS6detail17trampoline_kernelINS0_14default_configENS1_25partition_config_selectorILNS1_17partition_subalgoE8ElNS0_10empty_typeEbEEZZNS1_14partition_implILS5_8ELb0ES3_jPlPS6_PKS6_NS0_5tupleIJS9_S6_EEENSD_IJSA_SA_EEENS0_18inequality_wrapperIZN2at6native12_GLOBAL__N_124unique_dim_cuda_templateIdEESt5tupleIJNSH_6TensorESM_SM_EERKSM_lbbbEUlllE0_EEPmJS6_EEE10hipError_tPvRmT3_T4_T5_T6_T7_T9_mT8_P12ihipStream_tbDpT10_ENKUlT_T0_E_clISt17integral_constantIbLb1EES1C_EEDaS17_S18_EUlS17_E_NS1_11comp_targetILNS1_3genE10ELNS1_11target_archE1200ELNS1_3gpuE4ELNS1_3repE0EEENS1_30default_config_static_selectorELNS0_4arch9wavefront6targetE1EEEvT1_,comdat
	.globl	_ZN7rocprim17ROCPRIM_400000_NS6detail17trampoline_kernelINS0_14default_configENS1_25partition_config_selectorILNS1_17partition_subalgoE8ElNS0_10empty_typeEbEEZZNS1_14partition_implILS5_8ELb0ES3_jPlPS6_PKS6_NS0_5tupleIJS9_S6_EEENSD_IJSA_SA_EEENS0_18inequality_wrapperIZN2at6native12_GLOBAL__N_124unique_dim_cuda_templateIdEESt5tupleIJNSH_6TensorESM_SM_EERKSM_lbbbEUlllE0_EEPmJS6_EEE10hipError_tPvRmT3_T4_T5_T6_T7_T9_mT8_P12ihipStream_tbDpT10_ENKUlT_T0_E_clISt17integral_constantIbLb1EES1C_EEDaS17_S18_EUlS17_E_NS1_11comp_targetILNS1_3genE10ELNS1_11target_archE1200ELNS1_3gpuE4ELNS1_3repE0EEENS1_30default_config_static_selectorELNS0_4arch9wavefront6targetE1EEEvT1_ ; -- Begin function _ZN7rocprim17ROCPRIM_400000_NS6detail17trampoline_kernelINS0_14default_configENS1_25partition_config_selectorILNS1_17partition_subalgoE8ElNS0_10empty_typeEbEEZZNS1_14partition_implILS5_8ELb0ES3_jPlPS6_PKS6_NS0_5tupleIJS9_S6_EEENSD_IJSA_SA_EEENS0_18inequality_wrapperIZN2at6native12_GLOBAL__N_124unique_dim_cuda_templateIdEESt5tupleIJNSH_6TensorESM_SM_EERKSM_lbbbEUlllE0_EEPmJS6_EEE10hipError_tPvRmT3_T4_T5_T6_T7_T9_mT8_P12ihipStream_tbDpT10_ENKUlT_T0_E_clISt17integral_constantIbLb1EES1C_EEDaS17_S18_EUlS17_E_NS1_11comp_targetILNS1_3genE10ELNS1_11target_archE1200ELNS1_3gpuE4ELNS1_3repE0EEENS1_30default_config_static_selectorELNS0_4arch9wavefront6targetE1EEEvT1_
	.p2align	8
	.type	_ZN7rocprim17ROCPRIM_400000_NS6detail17trampoline_kernelINS0_14default_configENS1_25partition_config_selectorILNS1_17partition_subalgoE8ElNS0_10empty_typeEbEEZZNS1_14partition_implILS5_8ELb0ES3_jPlPS6_PKS6_NS0_5tupleIJS9_S6_EEENSD_IJSA_SA_EEENS0_18inequality_wrapperIZN2at6native12_GLOBAL__N_124unique_dim_cuda_templateIdEESt5tupleIJNSH_6TensorESM_SM_EERKSM_lbbbEUlllE0_EEPmJS6_EEE10hipError_tPvRmT3_T4_T5_T6_T7_T9_mT8_P12ihipStream_tbDpT10_ENKUlT_T0_E_clISt17integral_constantIbLb1EES1C_EEDaS17_S18_EUlS17_E_NS1_11comp_targetILNS1_3genE10ELNS1_11target_archE1200ELNS1_3gpuE4ELNS1_3repE0EEENS1_30default_config_static_selectorELNS0_4arch9wavefront6targetE1EEEvT1_,@function
_ZN7rocprim17ROCPRIM_400000_NS6detail17trampoline_kernelINS0_14default_configENS1_25partition_config_selectorILNS1_17partition_subalgoE8ElNS0_10empty_typeEbEEZZNS1_14partition_implILS5_8ELb0ES3_jPlPS6_PKS6_NS0_5tupleIJS9_S6_EEENSD_IJSA_SA_EEENS0_18inequality_wrapperIZN2at6native12_GLOBAL__N_124unique_dim_cuda_templateIdEESt5tupleIJNSH_6TensorESM_SM_EERKSM_lbbbEUlllE0_EEPmJS6_EEE10hipError_tPvRmT3_T4_T5_T6_T7_T9_mT8_P12ihipStream_tbDpT10_ENKUlT_T0_E_clISt17integral_constantIbLb1EES1C_EEDaS17_S18_EUlS17_E_NS1_11comp_targetILNS1_3genE10ELNS1_11target_archE1200ELNS1_3gpuE4ELNS1_3repE0EEENS1_30default_config_static_selectorELNS0_4arch9wavefront6targetE1EEEvT1_: ; @_ZN7rocprim17ROCPRIM_400000_NS6detail17trampoline_kernelINS0_14default_configENS1_25partition_config_selectorILNS1_17partition_subalgoE8ElNS0_10empty_typeEbEEZZNS1_14partition_implILS5_8ELb0ES3_jPlPS6_PKS6_NS0_5tupleIJS9_S6_EEENSD_IJSA_SA_EEENS0_18inequality_wrapperIZN2at6native12_GLOBAL__N_124unique_dim_cuda_templateIdEESt5tupleIJNSH_6TensorESM_SM_EERKSM_lbbbEUlllE0_EEPmJS6_EEE10hipError_tPvRmT3_T4_T5_T6_T7_T9_mT8_P12ihipStream_tbDpT10_ENKUlT_T0_E_clISt17integral_constantIbLb1EES1C_EEDaS17_S18_EUlS17_E_NS1_11comp_targetILNS1_3genE10ELNS1_11target_archE1200ELNS1_3gpuE4ELNS1_3repE0EEENS1_30default_config_static_selectorELNS0_4arch9wavefront6targetE1EEEvT1_
; %bb.0:
	.section	.rodata,"a",@progbits
	.p2align	6, 0x0
	.amdhsa_kernel _ZN7rocprim17ROCPRIM_400000_NS6detail17trampoline_kernelINS0_14default_configENS1_25partition_config_selectorILNS1_17partition_subalgoE8ElNS0_10empty_typeEbEEZZNS1_14partition_implILS5_8ELb0ES3_jPlPS6_PKS6_NS0_5tupleIJS9_S6_EEENSD_IJSA_SA_EEENS0_18inequality_wrapperIZN2at6native12_GLOBAL__N_124unique_dim_cuda_templateIdEESt5tupleIJNSH_6TensorESM_SM_EERKSM_lbbbEUlllE0_EEPmJS6_EEE10hipError_tPvRmT3_T4_T5_T6_T7_T9_mT8_P12ihipStream_tbDpT10_ENKUlT_T0_E_clISt17integral_constantIbLb1EES1C_EEDaS17_S18_EUlS17_E_NS1_11comp_targetILNS1_3genE10ELNS1_11target_archE1200ELNS1_3gpuE4ELNS1_3repE0EEENS1_30default_config_static_selectorELNS0_4arch9wavefront6targetE1EEEvT1_
		.amdhsa_group_segment_fixed_size 0
		.amdhsa_private_segment_fixed_size 0
		.amdhsa_kernarg_size 136
		.amdhsa_user_sgpr_count 2
		.amdhsa_user_sgpr_dispatch_ptr 0
		.amdhsa_user_sgpr_queue_ptr 0
		.amdhsa_user_sgpr_kernarg_segment_ptr 1
		.amdhsa_user_sgpr_dispatch_id 0
		.amdhsa_user_sgpr_kernarg_preload_length 0
		.amdhsa_user_sgpr_kernarg_preload_offset 0
		.amdhsa_user_sgpr_private_segment_size 0
		.amdhsa_uses_dynamic_stack 0
		.amdhsa_enable_private_segment 0
		.amdhsa_system_sgpr_workgroup_id_x 1
		.amdhsa_system_sgpr_workgroup_id_y 0
		.amdhsa_system_sgpr_workgroup_id_z 0
		.amdhsa_system_sgpr_workgroup_info 0
		.amdhsa_system_vgpr_workitem_id 0
		.amdhsa_next_free_vgpr 1
		.amdhsa_next_free_sgpr 0
		.amdhsa_accum_offset 4
		.amdhsa_reserve_vcc 0
		.amdhsa_float_round_mode_32 0
		.amdhsa_float_round_mode_16_64 0
		.amdhsa_float_denorm_mode_32 3
		.amdhsa_float_denorm_mode_16_64 3
		.amdhsa_dx10_clamp 1
		.amdhsa_ieee_mode 1
		.amdhsa_fp16_overflow 0
		.amdhsa_tg_split 0
		.amdhsa_exception_fp_ieee_invalid_op 0
		.amdhsa_exception_fp_denorm_src 0
		.amdhsa_exception_fp_ieee_div_zero 0
		.amdhsa_exception_fp_ieee_overflow 0
		.amdhsa_exception_fp_ieee_underflow 0
		.amdhsa_exception_fp_ieee_inexact 0
		.amdhsa_exception_int_div_zero 0
	.end_amdhsa_kernel
	.section	.text._ZN7rocprim17ROCPRIM_400000_NS6detail17trampoline_kernelINS0_14default_configENS1_25partition_config_selectorILNS1_17partition_subalgoE8ElNS0_10empty_typeEbEEZZNS1_14partition_implILS5_8ELb0ES3_jPlPS6_PKS6_NS0_5tupleIJS9_S6_EEENSD_IJSA_SA_EEENS0_18inequality_wrapperIZN2at6native12_GLOBAL__N_124unique_dim_cuda_templateIdEESt5tupleIJNSH_6TensorESM_SM_EERKSM_lbbbEUlllE0_EEPmJS6_EEE10hipError_tPvRmT3_T4_T5_T6_T7_T9_mT8_P12ihipStream_tbDpT10_ENKUlT_T0_E_clISt17integral_constantIbLb1EES1C_EEDaS17_S18_EUlS17_E_NS1_11comp_targetILNS1_3genE10ELNS1_11target_archE1200ELNS1_3gpuE4ELNS1_3repE0EEENS1_30default_config_static_selectorELNS0_4arch9wavefront6targetE1EEEvT1_,"axG",@progbits,_ZN7rocprim17ROCPRIM_400000_NS6detail17trampoline_kernelINS0_14default_configENS1_25partition_config_selectorILNS1_17partition_subalgoE8ElNS0_10empty_typeEbEEZZNS1_14partition_implILS5_8ELb0ES3_jPlPS6_PKS6_NS0_5tupleIJS9_S6_EEENSD_IJSA_SA_EEENS0_18inequality_wrapperIZN2at6native12_GLOBAL__N_124unique_dim_cuda_templateIdEESt5tupleIJNSH_6TensorESM_SM_EERKSM_lbbbEUlllE0_EEPmJS6_EEE10hipError_tPvRmT3_T4_T5_T6_T7_T9_mT8_P12ihipStream_tbDpT10_ENKUlT_T0_E_clISt17integral_constantIbLb1EES1C_EEDaS17_S18_EUlS17_E_NS1_11comp_targetILNS1_3genE10ELNS1_11target_archE1200ELNS1_3gpuE4ELNS1_3repE0EEENS1_30default_config_static_selectorELNS0_4arch9wavefront6targetE1EEEvT1_,comdat
.Lfunc_end826:
	.size	_ZN7rocprim17ROCPRIM_400000_NS6detail17trampoline_kernelINS0_14default_configENS1_25partition_config_selectorILNS1_17partition_subalgoE8ElNS0_10empty_typeEbEEZZNS1_14partition_implILS5_8ELb0ES3_jPlPS6_PKS6_NS0_5tupleIJS9_S6_EEENSD_IJSA_SA_EEENS0_18inequality_wrapperIZN2at6native12_GLOBAL__N_124unique_dim_cuda_templateIdEESt5tupleIJNSH_6TensorESM_SM_EERKSM_lbbbEUlllE0_EEPmJS6_EEE10hipError_tPvRmT3_T4_T5_T6_T7_T9_mT8_P12ihipStream_tbDpT10_ENKUlT_T0_E_clISt17integral_constantIbLb1EES1C_EEDaS17_S18_EUlS17_E_NS1_11comp_targetILNS1_3genE10ELNS1_11target_archE1200ELNS1_3gpuE4ELNS1_3repE0EEENS1_30default_config_static_selectorELNS0_4arch9wavefront6targetE1EEEvT1_, .Lfunc_end826-_ZN7rocprim17ROCPRIM_400000_NS6detail17trampoline_kernelINS0_14default_configENS1_25partition_config_selectorILNS1_17partition_subalgoE8ElNS0_10empty_typeEbEEZZNS1_14partition_implILS5_8ELb0ES3_jPlPS6_PKS6_NS0_5tupleIJS9_S6_EEENSD_IJSA_SA_EEENS0_18inequality_wrapperIZN2at6native12_GLOBAL__N_124unique_dim_cuda_templateIdEESt5tupleIJNSH_6TensorESM_SM_EERKSM_lbbbEUlllE0_EEPmJS6_EEE10hipError_tPvRmT3_T4_T5_T6_T7_T9_mT8_P12ihipStream_tbDpT10_ENKUlT_T0_E_clISt17integral_constantIbLb1EES1C_EEDaS17_S18_EUlS17_E_NS1_11comp_targetILNS1_3genE10ELNS1_11target_archE1200ELNS1_3gpuE4ELNS1_3repE0EEENS1_30default_config_static_selectorELNS0_4arch9wavefront6targetE1EEEvT1_
                                        ; -- End function
	.section	.AMDGPU.csdata,"",@progbits
; Kernel info:
; codeLenInByte = 0
; NumSgprs: 6
; NumVgprs: 0
; NumAgprs: 0
; TotalNumVgprs: 0
; ScratchSize: 0
; MemoryBound: 0
; FloatMode: 240
; IeeeMode: 1
; LDSByteSize: 0 bytes/workgroup (compile time only)
; SGPRBlocks: 0
; VGPRBlocks: 0
; NumSGPRsForWavesPerEU: 6
; NumVGPRsForWavesPerEU: 1
; AccumOffset: 4
; Occupancy: 8
; WaveLimiterHint : 0
; COMPUTE_PGM_RSRC2:SCRATCH_EN: 0
; COMPUTE_PGM_RSRC2:USER_SGPR: 2
; COMPUTE_PGM_RSRC2:TRAP_HANDLER: 0
; COMPUTE_PGM_RSRC2:TGID_X_EN: 1
; COMPUTE_PGM_RSRC2:TGID_Y_EN: 0
; COMPUTE_PGM_RSRC2:TGID_Z_EN: 0
; COMPUTE_PGM_RSRC2:TIDIG_COMP_CNT: 0
; COMPUTE_PGM_RSRC3_GFX90A:ACCUM_OFFSET: 0
; COMPUTE_PGM_RSRC3_GFX90A:TG_SPLIT: 0
	.section	.text._ZN7rocprim17ROCPRIM_400000_NS6detail17trampoline_kernelINS0_14default_configENS1_25partition_config_selectorILNS1_17partition_subalgoE8ElNS0_10empty_typeEbEEZZNS1_14partition_implILS5_8ELb0ES3_jPlPS6_PKS6_NS0_5tupleIJS9_S6_EEENSD_IJSA_SA_EEENS0_18inequality_wrapperIZN2at6native12_GLOBAL__N_124unique_dim_cuda_templateIdEESt5tupleIJNSH_6TensorESM_SM_EERKSM_lbbbEUlllE0_EEPmJS6_EEE10hipError_tPvRmT3_T4_T5_T6_T7_T9_mT8_P12ihipStream_tbDpT10_ENKUlT_T0_E_clISt17integral_constantIbLb1EES1C_EEDaS17_S18_EUlS17_E_NS1_11comp_targetILNS1_3genE9ELNS1_11target_archE1100ELNS1_3gpuE3ELNS1_3repE0EEENS1_30default_config_static_selectorELNS0_4arch9wavefront6targetE1EEEvT1_,"axG",@progbits,_ZN7rocprim17ROCPRIM_400000_NS6detail17trampoline_kernelINS0_14default_configENS1_25partition_config_selectorILNS1_17partition_subalgoE8ElNS0_10empty_typeEbEEZZNS1_14partition_implILS5_8ELb0ES3_jPlPS6_PKS6_NS0_5tupleIJS9_S6_EEENSD_IJSA_SA_EEENS0_18inequality_wrapperIZN2at6native12_GLOBAL__N_124unique_dim_cuda_templateIdEESt5tupleIJNSH_6TensorESM_SM_EERKSM_lbbbEUlllE0_EEPmJS6_EEE10hipError_tPvRmT3_T4_T5_T6_T7_T9_mT8_P12ihipStream_tbDpT10_ENKUlT_T0_E_clISt17integral_constantIbLb1EES1C_EEDaS17_S18_EUlS17_E_NS1_11comp_targetILNS1_3genE9ELNS1_11target_archE1100ELNS1_3gpuE3ELNS1_3repE0EEENS1_30default_config_static_selectorELNS0_4arch9wavefront6targetE1EEEvT1_,comdat
	.globl	_ZN7rocprim17ROCPRIM_400000_NS6detail17trampoline_kernelINS0_14default_configENS1_25partition_config_selectorILNS1_17partition_subalgoE8ElNS0_10empty_typeEbEEZZNS1_14partition_implILS5_8ELb0ES3_jPlPS6_PKS6_NS0_5tupleIJS9_S6_EEENSD_IJSA_SA_EEENS0_18inequality_wrapperIZN2at6native12_GLOBAL__N_124unique_dim_cuda_templateIdEESt5tupleIJNSH_6TensorESM_SM_EERKSM_lbbbEUlllE0_EEPmJS6_EEE10hipError_tPvRmT3_T4_T5_T6_T7_T9_mT8_P12ihipStream_tbDpT10_ENKUlT_T0_E_clISt17integral_constantIbLb1EES1C_EEDaS17_S18_EUlS17_E_NS1_11comp_targetILNS1_3genE9ELNS1_11target_archE1100ELNS1_3gpuE3ELNS1_3repE0EEENS1_30default_config_static_selectorELNS0_4arch9wavefront6targetE1EEEvT1_ ; -- Begin function _ZN7rocprim17ROCPRIM_400000_NS6detail17trampoline_kernelINS0_14default_configENS1_25partition_config_selectorILNS1_17partition_subalgoE8ElNS0_10empty_typeEbEEZZNS1_14partition_implILS5_8ELb0ES3_jPlPS6_PKS6_NS0_5tupleIJS9_S6_EEENSD_IJSA_SA_EEENS0_18inequality_wrapperIZN2at6native12_GLOBAL__N_124unique_dim_cuda_templateIdEESt5tupleIJNSH_6TensorESM_SM_EERKSM_lbbbEUlllE0_EEPmJS6_EEE10hipError_tPvRmT3_T4_T5_T6_T7_T9_mT8_P12ihipStream_tbDpT10_ENKUlT_T0_E_clISt17integral_constantIbLb1EES1C_EEDaS17_S18_EUlS17_E_NS1_11comp_targetILNS1_3genE9ELNS1_11target_archE1100ELNS1_3gpuE3ELNS1_3repE0EEENS1_30default_config_static_selectorELNS0_4arch9wavefront6targetE1EEEvT1_
	.p2align	8
	.type	_ZN7rocprim17ROCPRIM_400000_NS6detail17trampoline_kernelINS0_14default_configENS1_25partition_config_selectorILNS1_17partition_subalgoE8ElNS0_10empty_typeEbEEZZNS1_14partition_implILS5_8ELb0ES3_jPlPS6_PKS6_NS0_5tupleIJS9_S6_EEENSD_IJSA_SA_EEENS0_18inequality_wrapperIZN2at6native12_GLOBAL__N_124unique_dim_cuda_templateIdEESt5tupleIJNSH_6TensorESM_SM_EERKSM_lbbbEUlllE0_EEPmJS6_EEE10hipError_tPvRmT3_T4_T5_T6_T7_T9_mT8_P12ihipStream_tbDpT10_ENKUlT_T0_E_clISt17integral_constantIbLb1EES1C_EEDaS17_S18_EUlS17_E_NS1_11comp_targetILNS1_3genE9ELNS1_11target_archE1100ELNS1_3gpuE3ELNS1_3repE0EEENS1_30default_config_static_selectorELNS0_4arch9wavefront6targetE1EEEvT1_,@function
_ZN7rocprim17ROCPRIM_400000_NS6detail17trampoline_kernelINS0_14default_configENS1_25partition_config_selectorILNS1_17partition_subalgoE8ElNS0_10empty_typeEbEEZZNS1_14partition_implILS5_8ELb0ES3_jPlPS6_PKS6_NS0_5tupleIJS9_S6_EEENSD_IJSA_SA_EEENS0_18inequality_wrapperIZN2at6native12_GLOBAL__N_124unique_dim_cuda_templateIdEESt5tupleIJNSH_6TensorESM_SM_EERKSM_lbbbEUlllE0_EEPmJS6_EEE10hipError_tPvRmT3_T4_T5_T6_T7_T9_mT8_P12ihipStream_tbDpT10_ENKUlT_T0_E_clISt17integral_constantIbLb1EES1C_EEDaS17_S18_EUlS17_E_NS1_11comp_targetILNS1_3genE9ELNS1_11target_archE1100ELNS1_3gpuE3ELNS1_3repE0EEENS1_30default_config_static_selectorELNS0_4arch9wavefront6targetE1EEEvT1_: ; @_ZN7rocprim17ROCPRIM_400000_NS6detail17trampoline_kernelINS0_14default_configENS1_25partition_config_selectorILNS1_17partition_subalgoE8ElNS0_10empty_typeEbEEZZNS1_14partition_implILS5_8ELb0ES3_jPlPS6_PKS6_NS0_5tupleIJS9_S6_EEENSD_IJSA_SA_EEENS0_18inequality_wrapperIZN2at6native12_GLOBAL__N_124unique_dim_cuda_templateIdEESt5tupleIJNSH_6TensorESM_SM_EERKSM_lbbbEUlllE0_EEPmJS6_EEE10hipError_tPvRmT3_T4_T5_T6_T7_T9_mT8_P12ihipStream_tbDpT10_ENKUlT_T0_E_clISt17integral_constantIbLb1EES1C_EEDaS17_S18_EUlS17_E_NS1_11comp_targetILNS1_3genE9ELNS1_11target_archE1100ELNS1_3gpuE3ELNS1_3repE0EEENS1_30default_config_static_selectorELNS0_4arch9wavefront6targetE1EEEvT1_
; %bb.0:
	.section	.rodata,"a",@progbits
	.p2align	6, 0x0
	.amdhsa_kernel _ZN7rocprim17ROCPRIM_400000_NS6detail17trampoline_kernelINS0_14default_configENS1_25partition_config_selectorILNS1_17partition_subalgoE8ElNS0_10empty_typeEbEEZZNS1_14partition_implILS5_8ELb0ES3_jPlPS6_PKS6_NS0_5tupleIJS9_S6_EEENSD_IJSA_SA_EEENS0_18inequality_wrapperIZN2at6native12_GLOBAL__N_124unique_dim_cuda_templateIdEESt5tupleIJNSH_6TensorESM_SM_EERKSM_lbbbEUlllE0_EEPmJS6_EEE10hipError_tPvRmT3_T4_T5_T6_T7_T9_mT8_P12ihipStream_tbDpT10_ENKUlT_T0_E_clISt17integral_constantIbLb1EES1C_EEDaS17_S18_EUlS17_E_NS1_11comp_targetILNS1_3genE9ELNS1_11target_archE1100ELNS1_3gpuE3ELNS1_3repE0EEENS1_30default_config_static_selectorELNS0_4arch9wavefront6targetE1EEEvT1_
		.amdhsa_group_segment_fixed_size 0
		.amdhsa_private_segment_fixed_size 0
		.amdhsa_kernarg_size 136
		.amdhsa_user_sgpr_count 2
		.amdhsa_user_sgpr_dispatch_ptr 0
		.amdhsa_user_sgpr_queue_ptr 0
		.amdhsa_user_sgpr_kernarg_segment_ptr 1
		.amdhsa_user_sgpr_dispatch_id 0
		.amdhsa_user_sgpr_kernarg_preload_length 0
		.amdhsa_user_sgpr_kernarg_preload_offset 0
		.amdhsa_user_sgpr_private_segment_size 0
		.amdhsa_uses_dynamic_stack 0
		.amdhsa_enable_private_segment 0
		.amdhsa_system_sgpr_workgroup_id_x 1
		.amdhsa_system_sgpr_workgroup_id_y 0
		.amdhsa_system_sgpr_workgroup_id_z 0
		.amdhsa_system_sgpr_workgroup_info 0
		.amdhsa_system_vgpr_workitem_id 0
		.amdhsa_next_free_vgpr 1
		.amdhsa_next_free_sgpr 0
		.amdhsa_accum_offset 4
		.amdhsa_reserve_vcc 0
		.amdhsa_float_round_mode_32 0
		.amdhsa_float_round_mode_16_64 0
		.amdhsa_float_denorm_mode_32 3
		.amdhsa_float_denorm_mode_16_64 3
		.amdhsa_dx10_clamp 1
		.amdhsa_ieee_mode 1
		.amdhsa_fp16_overflow 0
		.amdhsa_tg_split 0
		.amdhsa_exception_fp_ieee_invalid_op 0
		.amdhsa_exception_fp_denorm_src 0
		.amdhsa_exception_fp_ieee_div_zero 0
		.amdhsa_exception_fp_ieee_overflow 0
		.amdhsa_exception_fp_ieee_underflow 0
		.amdhsa_exception_fp_ieee_inexact 0
		.amdhsa_exception_int_div_zero 0
	.end_amdhsa_kernel
	.section	.text._ZN7rocprim17ROCPRIM_400000_NS6detail17trampoline_kernelINS0_14default_configENS1_25partition_config_selectorILNS1_17partition_subalgoE8ElNS0_10empty_typeEbEEZZNS1_14partition_implILS5_8ELb0ES3_jPlPS6_PKS6_NS0_5tupleIJS9_S6_EEENSD_IJSA_SA_EEENS0_18inequality_wrapperIZN2at6native12_GLOBAL__N_124unique_dim_cuda_templateIdEESt5tupleIJNSH_6TensorESM_SM_EERKSM_lbbbEUlllE0_EEPmJS6_EEE10hipError_tPvRmT3_T4_T5_T6_T7_T9_mT8_P12ihipStream_tbDpT10_ENKUlT_T0_E_clISt17integral_constantIbLb1EES1C_EEDaS17_S18_EUlS17_E_NS1_11comp_targetILNS1_3genE9ELNS1_11target_archE1100ELNS1_3gpuE3ELNS1_3repE0EEENS1_30default_config_static_selectorELNS0_4arch9wavefront6targetE1EEEvT1_,"axG",@progbits,_ZN7rocprim17ROCPRIM_400000_NS6detail17trampoline_kernelINS0_14default_configENS1_25partition_config_selectorILNS1_17partition_subalgoE8ElNS0_10empty_typeEbEEZZNS1_14partition_implILS5_8ELb0ES3_jPlPS6_PKS6_NS0_5tupleIJS9_S6_EEENSD_IJSA_SA_EEENS0_18inequality_wrapperIZN2at6native12_GLOBAL__N_124unique_dim_cuda_templateIdEESt5tupleIJNSH_6TensorESM_SM_EERKSM_lbbbEUlllE0_EEPmJS6_EEE10hipError_tPvRmT3_T4_T5_T6_T7_T9_mT8_P12ihipStream_tbDpT10_ENKUlT_T0_E_clISt17integral_constantIbLb1EES1C_EEDaS17_S18_EUlS17_E_NS1_11comp_targetILNS1_3genE9ELNS1_11target_archE1100ELNS1_3gpuE3ELNS1_3repE0EEENS1_30default_config_static_selectorELNS0_4arch9wavefront6targetE1EEEvT1_,comdat
.Lfunc_end827:
	.size	_ZN7rocprim17ROCPRIM_400000_NS6detail17trampoline_kernelINS0_14default_configENS1_25partition_config_selectorILNS1_17partition_subalgoE8ElNS0_10empty_typeEbEEZZNS1_14partition_implILS5_8ELb0ES3_jPlPS6_PKS6_NS0_5tupleIJS9_S6_EEENSD_IJSA_SA_EEENS0_18inequality_wrapperIZN2at6native12_GLOBAL__N_124unique_dim_cuda_templateIdEESt5tupleIJNSH_6TensorESM_SM_EERKSM_lbbbEUlllE0_EEPmJS6_EEE10hipError_tPvRmT3_T4_T5_T6_T7_T9_mT8_P12ihipStream_tbDpT10_ENKUlT_T0_E_clISt17integral_constantIbLb1EES1C_EEDaS17_S18_EUlS17_E_NS1_11comp_targetILNS1_3genE9ELNS1_11target_archE1100ELNS1_3gpuE3ELNS1_3repE0EEENS1_30default_config_static_selectorELNS0_4arch9wavefront6targetE1EEEvT1_, .Lfunc_end827-_ZN7rocprim17ROCPRIM_400000_NS6detail17trampoline_kernelINS0_14default_configENS1_25partition_config_selectorILNS1_17partition_subalgoE8ElNS0_10empty_typeEbEEZZNS1_14partition_implILS5_8ELb0ES3_jPlPS6_PKS6_NS0_5tupleIJS9_S6_EEENSD_IJSA_SA_EEENS0_18inequality_wrapperIZN2at6native12_GLOBAL__N_124unique_dim_cuda_templateIdEESt5tupleIJNSH_6TensorESM_SM_EERKSM_lbbbEUlllE0_EEPmJS6_EEE10hipError_tPvRmT3_T4_T5_T6_T7_T9_mT8_P12ihipStream_tbDpT10_ENKUlT_T0_E_clISt17integral_constantIbLb1EES1C_EEDaS17_S18_EUlS17_E_NS1_11comp_targetILNS1_3genE9ELNS1_11target_archE1100ELNS1_3gpuE3ELNS1_3repE0EEENS1_30default_config_static_selectorELNS0_4arch9wavefront6targetE1EEEvT1_
                                        ; -- End function
	.section	.AMDGPU.csdata,"",@progbits
; Kernel info:
; codeLenInByte = 0
; NumSgprs: 6
; NumVgprs: 0
; NumAgprs: 0
; TotalNumVgprs: 0
; ScratchSize: 0
; MemoryBound: 0
; FloatMode: 240
; IeeeMode: 1
; LDSByteSize: 0 bytes/workgroup (compile time only)
; SGPRBlocks: 0
; VGPRBlocks: 0
; NumSGPRsForWavesPerEU: 6
; NumVGPRsForWavesPerEU: 1
; AccumOffset: 4
; Occupancy: 8
; WaveLimiterHint : 0
; COMPUTE_PGM_RSRC2:SCRATCH_EN: 0
; COMPUTE_PGM_RSRC2:USER_SGPR: 2
; COMPUTE_PGM_RSRC2:TRAP_HANDLER: 0
; COMPUTE_PGM_RSRC2:TGID_X_EN: 1
; COMPUTE_PGM_RSRC2:TGID_Y_EN: 0
; COMPUTE_PGM_RSRC2:TGID_Z_EN: 0
; COMPUTE_PGM_RSRC2:TIDIG_COMP_CNT: 0
; COMPUTE_PGM_RSRC3_GFX90A:ACCUM_OFFSET: 0
; COMPUTE_PGM_RSRC3_GFX90A:TG_SPLIT: 0
	.section	.text._ZN7rocprim17ROCPRIM_400000_NS6detail17trampoline_kernelINS0_14default_configENS1_25partition_config_selectorILNS1_17partition_subalgoE8ElNS0_10empty_typeEbEEZZNS1_14partition_implILS5_8ELb0ES3_jPlPS6_PKS6_NS0_5tupleIJS9_S6_EEENSD_IJSA_SA_EEENS0_18inequality_wrapperIZN2at6native12_GLOBAL__N_124unique_dim_cuda_templateIdEESt5tupleIJNSH_6TensorESM_SM_EERKSM_lbbbEUlllE0_EEPmJS6_EEE10hipError_tPvRmT3_T4_T5_T6_T7_T9_mT8_P12ihipStream_tbDpT10_ENKUlT_T0_E_clISt17integral_constantIbLb1EES1C_EEDaS17_S18_EUlS17_E_NS1_11comp_targetILNS1_3genE8ELNS1_11target_archE1030ELNS1_3gpuE2ELNS1_3repE0EEENS1_30default_config_static_selectorELNS0_4arch9wavefront6targetE1EEEvT1_,"axG",@progbits,_ZN7rocprim17ROCPRIM_400000_NS6detail17trampoline_kernelINS0_14default_configENS1_25partition_config_selectorILNS1_17partition_subalgoE8ElNS0_10empty_typeEbEEZZNS1_14partition_implILS5_8ELb0ES3_jPlPS6_PKS6_NS0_5tupleIJS9_S6_EEENSD_IJSA_SA_EEENS0_18inequality_wrapperIZN2at6native12_GLOBAL__N_124unique_dim_cuda_templateIdEESt5tupleIJNSH_6TensorESM_SM_EERKSM_lbbbEUlllE0_EEPmJS6_EEE10hipError_tPvRmT3_T4_T5_T6_T7_T9_mT8_P12ihipStream_tbDpT10_ENKUlT_T0_E_clISt17integral_constantIbLb1EES1C_EEDaS17_S18_EUlS17_E_NS1_11comp_targetILNS1_3genE8ELNS1_11target_archE1030ELNS1_3gpuE2ELNS1_3repE0EEENS1_30default_config_static_selectorELNS0_4arch9wavefront6targetE1EEEvT1_,comdat
	.globl	_ZN7rocprim17ROCPRIM_400000_NS6detail17trampoline_kernelINS0_14default_configENS1_25partition_config_selectorILNS1_17partition_subalgoE8ElNS0_10empty_typeEbEEZZNS1_14partition_implILS5_8ELb0ES3_jPlPS6_PKS6_NS0_5tupleIJS9_S6_EEENSD_IJSA_SA_EEENS0_18inequality_wrapperIZN2at6native12_GLOBAL__N_124unique_dim_cuda_templateIdEESt5tupleIJNSH_6TensorESM_SM_EERKSM_lbbbEUlllE0_EEPmJS6_EEE10hipError_tPvRmT3_T4_T5_T6_T7_T9_mT8_P12ihipStream_tbDpT10_ENKUlT_T0_E_clISt17integral_constantIbLb1EES1C_EEDaS17_S18_EUlS17_E_NS1_11comp_targetILNS1_3genE8ELNS1_11target_archE1030ELNS1_3gpuE2ELNS1_3repE0EEENS1_30default_config_static_selectorELNS0_4arch9wavefront6targetE1EEEvT1_ ; -- Begin function _ZN7rocprim17ROCPRIM_400000_NS6detail17trampoline_kernelINS0_14default_configENS1_25partition_config_selectorILNS1_17partition_subalgoE8ElNS0_10empty_typeEbEEZZNS1_14partition_implILS5_8ELb0ES3_jPlPS6_PKS6_NS0_5tupleIJS9_S6_EEENSD_IJSA_SA_EEENS0_18inequality_wrapperIZN2at6native12_GLOBAL__N_124unique_dim_cuda_templateIdEESt5tupleIJNSH_6TensorESM_SM_EERKSM_lbbbEUlllE0_EEPmJS6_EEE10hipError_tPvRmT3_T4_T5_T6_T7_T9_mT8_P12ihipStream_tbDpT10_ENKUlT_T0_E_clISt17integral_constantIbLb1EES1C_EEDaS17_S18_EUlS17_E_NS1_11comp_targetILNS1_3genE8ELNS1_11target_archE1030ELNS1_3gpuE2ELNS1_3repE0EEENS1_30default_config_static_selectorELNS0_4arch9wavefront6targetE1EEEvT1_
	.p2align	8
	.type	_ZN7rocprim17ROCPRIM_400000_NS6detail17trampoline_kernelINS0_14default_configENS1_25partition_config_selectorILNS1_17partition_subalgoE8ElNS0_10empty_typeEbEEZZNS1_14partition_implILS5_8ELb0ES3_jPlPS6_PKS6_NS0_5tupleIJS9_S6_EEENSD_IJSA_SA_EEENS0_18inequality_wrapperIZN2at6native12_GLOBAL__N_124unique_dim_cuda_templateIdEESt5tupleIJNSH_6TensorESM_SM_EERKSM_lbbbEUlllE0_EEPmJS6_EEE10hipError_tPvRmT3_T4_T5_T6_T7_T9_mT8_P12ihipStream_tbDpT10_ENKUlT_T0_E_clISt17integral_constantIbLb1EES1C_EEDaS17_S18_EUlS17_E_NS1_11comp_targetILNS1_3genE8ELNS1_11target_archE1030ELNS1_3gpuE2ELNS1_3repE0EEENS1_30default_config_static_selectorELNS0_4arch9wavefront6targetE1EEEvT1_,@function
_ZN7rocprim17ROCPRIM_400000_NS6detail17trampoline_kernelINS0_14default_configENS1_25partition_config_selectorILNS1_17partition_subalgoE8ElNS0_10empty_typeEbEEZZNS1_14partition_implILS5_8ELb0ES3_jPlPS6_PKS6_NS0_5tupleIJS9_S6_EEENSD_IJSA_SA_EEENS0_18inequality_wrapperIZN2at6native12_GLOBAL__N_124unique_dim_cuda_templateIdEESt5tupleIJNSH_6TensorESM_SM_EERKSM_lbbbEUlllE0_EEPmJS6_EEE10hipError_tPvRmT3_T4_T5_T6_T7_T9_mT8_P12ihipStream_tbDpT10_ENKUlT_T0_E_clISt17integral_constantIbLb1EES1C_EEDaS17_S18_EUlS17_E_NS1_11comp_targetILNS1_3genE8ELNS1_11target_archE1030ELNS1_3gpuE2ELNS1_3repE0EEENS1_30default_config_static_selectorELNS0_4arch9wavefront6targetE1EEEvT1_: ; @_ZN7rocprim17ROCPRIM_400000_NS6detail17trampoline_kernelINS0_14default_configENS1_25partition_config_selectorILNS1_17partition_subalgoE8ElNS0_10empty_typeEbEEZZNS1_14partition_implILS5_8ELb0ES3_jPlPS6_PKS6_NS0_5tupleIJS9_S6_EEENSD_IJSA_SA_EEENS0_18inequality_wrapperIZN2at6native12_GLOBAL__N_124unique_dim_cuda_templateIdEESt5tupleIJNSH_6TensorESM_SM_EERKSM_lbbbEUlllE0_EEPmJS6_EEE10hipError_tPvRmT3_T4_T5_T6_T7_T9_mT8_P12ihipStream_tbDpT10_ENKUlT_T0_E_clISt17integral_constantIbLb1EES1C_EEDaS17_S18_EUlS17_E_NS1_11comp_targetILNS1_3genE8ELNS1_11target_archE1030ELNS1_3gpuE2ELNS1_3repE0EEENS1_30default_config_static_selectorELNS0_4arch9wavefront6targetE1EEEvT1_
; %bb.0:
	.section	.rodata,"a",@progbits
	.p2align	6, 0x0
	.amdhsa_kernel _ZN7rocprim17ROCPRIM_400000_NS6detail17trampoline_kernelINS0_14default_configENS1_25partition_config_selectorILNS1_17partition_subalgoE8ElNS0_10empty_typeEbEEZZNS1_14partition_implILS5_8ELb0ES3_jPlPS6_PKS6_NS0_5tupleIJS9_S6_EEENSD_IJSA_SA_EEENS0_18inequality_wrapperIZN2at6native12_GLOBAL__N_124unique_dim_cuda_templateIdEESt5tupleIJNSH_6TensorESM_SM_EERKSM_lbbbEUlllE0_EEPmJS6_EEE10hipError_tPvRmT3_T4_T5_T6_T7_T9_mT8_P12ihipStream_tbDpT10_ENKUlT_T0_E_clISt17integral_constantIbLb1EES1C_EEDaS17_S18_EUlS17_E_NS1_11comp_targetILNS1_3genE8ELNS1_11target_archE1030ELNS1_3gpuE2ELNS1_3repE0EEENS1_30default_config_static_selectorELNS0_4arch9wavefront6targetE1EEEvT1_
		.amdhsa_group_segment_fixed_size 0
		.amdhsa_private_segment_fixed_size 0
		.amdhsa_kernarg_size 136
		.amdhsa_user_sgpr_count 2
		.amdhsa_user_sgpr_dispatch_ptr 0
		.amdhsa_user_sgpr_queue_ptr 0
		.amdhsa_user_sgpr_kernarg_segment_ptr 1
		.amdhsa_user_sgpr_dispatch_id 0
		.amdhsa_user_sgpr_kernarg_preload_length 0
		.amdhsa_user_sgpr_kernarg_preload_offset 0
		.amdhsa_user_sgpr_private_segment_size 0
		.amdhsa_uses_dynamic_stack 0
		.amdhsa_enable_private_segment 0
		.amdhsa_system_sgpr_workgroup_id_x 1
		.amdhsa_system_sgpr_workgroup_id_y 0
		.amdhsa_system_sgpr_workgroup_id_z 0
		.amdhsa_system_sgpr_workgroup_info 0
		.amdhsa_system_vgpr_workitem_id 0
		.amdhsa_next_free_vgpr 1
		.amdhsa_next_free_sgpr 0
		.amdhsa_accum_offset 4
		.amdhsa_reserve_vcc 0
		.amdhsa_float_round_mode_32 0
		.amdhsa_float_round_mode_16_64 0
		.amdhsa_float_denorm_mode_32 3
		.amdhsa_float_denorm_mode_16_64 3
		.amdhsa_dx10_clamp 1
		.amdhsa_ieee_mode 1
		.amdhsa_fp16_overflow 0
		.amdhsa_tg_split 0
		.amdhsa_exception_fp_ieee_invalid_op 0
		.amdhsa_exception_fp_denorm_src 0
		.amdhsa_exception_fp_ieee_div_zero 0
		.amdhsa_exception_fp_ieee_overflow 0
		.amdhsa_exception_fp_ieee_underflow 0
		.amdhsa_exception_fp_ieee_inexact 0
		.amdhsa_exception_int_div_zero 0
	.end_amdhsa_kernel
	.section	.text._ZN7rocprim17ROCPRIM_400000_NS6detail17trampoline_kernelINS0_14default_configENS1_25partition_config_selectorILNS1_17partition_subalgoE8ElNS0_10empty_typeEbEEZZNS1_14partition_implILS5_8ELb0ES3_jPlPS6_PKS6_NS0_5tupleIJS9_S6_EEENSD_IJSA_SA_EEENS0_18inequality_wrapperIZN2at6native12_GLOBAL__N_124unique_dim_cuda_templateIdEESt5tupleIJNSH_6TensorESM_SM_EERKSM_lbbbEUlllE0_EEPmJS6_EEE10hipError_tPvRmT3_T4_T5_T6_T7_T9_mT8_P12ihipStream_tbDpT10_ENKUlT_T0_E_clISt17integral_constantIbLb1EES1C_EEDaS17_S18_EUlS17_E_NS1_11comp_targetILNS1_3genE8ELNS1_11target_archE1030ELNS1_3gpuE2ELNS1_3repE0EEENS1_30default_config_static_selectorELNS0_4arch9wavefront6targetE1EEEvT1_,"axG",@progbits,_ZN7rocprim17ROCPRIM_400000_NS6detail17trampoline_kernelINS0_14default_configENS1_25partition_config_selectorILNS1_17partition_subalgoE8ElNS0_10empty_typeEbEEZZNS1_14partition_implILS5_8ELb0ES3_jPlPS6_PKS6_NS0_5tupleIJS9_S6_EEENSD_IJSA_SA_EEENS0_18inequality_wrapperIZN2at6native12_GLOBAL__N_124unique_dim_cuda_templateIdEESt5tupleIJNSH_6TensorESM_SM_EERKSM_lbbbEUlllE0_EEPmJS6_EEE10hipError_tPvRmT3_T4_T5_T6_T7_T9_mT8_P12ihipStream_tbDpT10_ENKUlT_T0_E_clISt17integral_constantIbLb1EES1C_EEDaS17_S18_EUlS17_E_NS1_11comp_targetILNS1_3genE8ELNS1_11target_archE1030ELNS1_3gpuE2ELNS1_3repE0EEENS1_30default_config_static_selectorELNS0_4arch9wavefront6targetE1EEEvT1_,comdat
.Lfunc_end828:
	.size	_ZN7rocprim17ROCPRIM_400000_NS6detail17trampoline_kernelINS0_14default_configENS1_25partition_config_selectorILNS1_17partition_subalgoE8ElNS0_10empty_typeEbEEZZNS1_14partition_implILS5_8ELb0ES3_jPlPS6_PKS6_NS0_5tupleIJS9_S6_EEENSD_IJSA_SA_EEENS0_18inequality_wrapperIZN2at6native12_GLOBAL__N_124unique_dim_cuda_templateIdEESt5tupleIJNSH_6TensorESM_SM_EERKSM_lbbbEUlllE0_EEPmJS6_EEE10hipError_tPvRmT3_T4_T5_T6_T7_T9_mT8_P12ihipStream_tbDpT10_ENKUlT_T0_E_clISt17integral_constantIbLb1EES1C_EEDaS17_S18_EUlS17_E_NS1_11comp_targetILNS1_3genE8ELNS1_11target_archE1030ELNS1_3gpuE2ELNS1_3repE0EEENS1_30default_config_static_selectorELNS0_4arch9wavefront6targetE1EEEvT1_, .Lfunc_end828-_ZN7rocprim17ROCPRIM_400000_NS6detail17trampoline_kernelINS0_14default_configENS1_25partition_config_selectorILNS1_17partition_subalgoE8ElNS0_10empty_typeEbEEZZNS1_14partition_implILS5_8ELb0ES3_jPlPS6_PKS6_NS0_5tupleIJS9_S6_EEENSD_IJSA_SA_EEENS0_18inequality_wrapperIZN2at6native12_GLOBAL__N_124unique_dim_cuda_templateIdEESt5tupleIJNSH_6TensorESM_SM_EERKSM_lbbbEUlllE0_EEPmJS6_EEE10hipError_tPvRmT3_T4_T5_T6_T7_T9_mT8_P12ihipStream_tbDpT10_ENKUlT_T0_E_clISt17integral_constantIbLb1EES1C_EEDaS17_S18_EUlS17_E_NS1_11comp_targetILNS1_3genE8ELNS1_11target_archE1030ELNS1_3gpuE2ELNS1_3repE0EEENS1_30default_config_static_selectorELNS0_4arch9wavefront6targetE1EEEvT1_
                                        ; -- End function
	.section	.AMDGPU.csdata,"",@progbits
; Kernel info:
; codeLenInByte = 0
; NumSgprs: 6
; NumVgprs: 0
; NumAgprs: 0
; TotalNumVgprs: 0
; ScratchSize: 0
; MemoryBound: 0
; FloatMode: 240
; IeeeMode: 1
; LDSByteSize: 0 bytes/workgroup (compile time only)
; SGPRBlocks: 0
; VGPRBlocks: 0
; NumSGPRsForWavesPerEU: 6
; NumVGPRsForWavesPerEU: 1
; AccumOffset: 4
; Occupancy: 8
; WaveLimiterHint : 0
; COMPUTE_PGM_RSRC2:SCRATCH_EN: 0
; COMPUTE_PGM_RSRC2:USER_SGPR: 2
; COMPUTE_PGM_RSRC2:TRAP_HANDLER: 0
; COMPUTE_PGM_RSRC2:TGID_X_EN: 1
; COMPUTE_PGM_RSRC2:TGID_Y_EN: 0
; COMPUTE_PGM_RSRC2:TGID_Z_EN: 0
; COMPUTE_PGM_RSRC2:TIDIG_COMP_CNT: 0
; COMPUTE_PGM_RSRC3_GFX90A:ACCUM_OFFSET: 0
; COMPUTE_PGM_RSRC3_GFX90A:TG_SPLIT: 0
	.section	.text._ZN7rocprim17ROCPRIM_400000_NS6detail17trampoline_kernelINS0_14default_configENS1_25partition_config_selectorILNS1_17partition_subalgoE8ElNS0_10empty_typeEbEEZZNS1_14partition_implILS5_8ELb0ES3_jPlPS6_PKS6_NS0_5tupleIJS9_S6_EEENSD_IJSA_SA_EEENS0_18inequality_wrapperIZN2at6native12_GLOBAL__N_124unique_dim_cuda_templateIdEESt5tupleIJNSH_6TensorESM_SM_EERKSM_lbbbEUlllE0_EEPmJS6_EEE10hipError_tPvRmT3_T4_T5_T6_T7_T9_mT8_P12ihipStream_tbDpT10_ENKUlT_T0_E_clISt17integral_constantIbLb1EES1B_IbLb0EEEEDaS17_S18_EUlS17_E_NS1_11comp_targetILNS1_3genE0ELNS1_11target_archE4294967295ELNS1_3gpuE0ELNS1_3repE0EEENS1_30default_config_static_selectorELNS0_4arch9wavefront6targetE1EEEvT1_,"axG",@progbits,_ZN7rocprim17ROCPRIM_400000_NS6detail17trampoline_kernelINS0_14default_configENS1_25partition_config_selectorILNS1_17partition_subalgoE8ElNS0_10empty_typeEbEEZZNS1_14partition_implILS5_8ELb0ES3_jPlPS6_PKS6_NS0_5tupleIJS9_S6_EEENSD_IJSA_SA_EEENS0_18inequality_wrapperIZN2at6native12_GLOBAL__N_124unique_dim_cuda_templateIdEESt5tupleIJNSH_6TensorESM_SM_EERKSM_lbbbEUlllE0_EEPmJS6_EEE10hipError_tPvRmT3_T4_T5_T6_T7_T9_mT8_P12ihipStream_tbDpT10_ENKUlT_T0_E_clISt17integral_constantIbLb1EES1B_IbLb0EEEEDaS17_S18_EUlS17_E_NS1_11comp_targetILNS1_3genE0ELNS1_11target_archE4294967295ELNS1_3gpuE0ELNS1_3repE0EEENS1_30default_config_static_selectorELNS0_4arch9wavefront6targetE1EEEvT1_,comdat
	.globl	_ZN7rocprim17ROCPRIM_400000_NS6detail17trampoline_kernelINS0_14default_configENS1_25partition_config_selectorILNS1_17partition_subalgoE8ElNS0_10empty_typeEbEEZZNS1_14partition_implILS5_8ELb0ES3_jPlPS6_PKS6_NS0_5tupleIJS9_S6_EEENSD_IJSA_SA_EEENS0_18inequality_wrapperIZN2at6native12_GLOBAL__N_124unique_dim_cuda_templateIdEESt5tupleIJNSH_6TensorESM_SM_EERKSM_lbbbEUlllE0_EEPmJS6_EEE10hipError_tPvRmT3_T4_T5_T6_T7_T9_mT8_P12ihipStream_tbDpT10_ENKUlT_T0_E_clISt17integral_constantIbLb1EES1B_IbLb0EEEEDaS17_S18_EUlS17_E_NS1_11comp_targetILNS1_3genE0ELNS1_11target_archE4294967295ELNS1_3gpuE0ELNS1_3repE0EEENS1_30default_config_static_selectorELNS0_4arch9wavefront6targetE1EEEvT1_ ; -- Begin function _ZN7rocprim17ROCPRIM_400000_NS6detail17trampoline_kernelINS0_14default_configENS1_25partition_config_selectorILNS1_17partition_subalgoE8ElNS0_10empty_typeEbEEZZNS1_14partition_implILS5_8ELb0ES3_jPlPS6_PKS6_NS0_5tupleIJS9_S6_EEENSD_IJSA_SA_EEENS0_18inequality_wrapperIZN2at6native12_GLOBAL__N_124unique_dim_cuda_templateIdEESt5tupleIJNSH_6TensorESM_SM_EERKSM_lbbbEUlllE0_EEPmJS6_EEE10hipError_tPvRmT3_T4_T5_T6_T7_T9_mT8_P12ihipStream_tbDpT10_ENKUlT_T0_E_clISt17integral_constantIbLb1EES1B_IbLb0EEEEDaS17_S18_EUlS17_E_NS1_11comp_targetILNS1_3genE0ELNS1_11target_archE4294967295ELNS1_3gpuE0ELNS1_3repE0EEENS1_30default_config_static_selectorELNS0_4arch9wavefront6targetE1EEEvT1_
	.p2align	8
	.type	_ZN7rocprim17ROCPRIM_400000_NS6detail17trampoline_kernelINS0_14default_configENS1_25partition_config_selectorILNS1_17partition_subalgoE8ElNS0_10empty_typeEbEEZZNS1_14partition_implILS5_8ELb0ES3_jPlPS6_PKS6_NS0_5tupleIJS9_S6_EEENSD_IJSA_SA_EEENS0_18inequality_wrapperIZN2at6native12_GLOBAL__N_124unique_dim_cuda_templateIdEESt5tupleIJNSH_6TensorESM_SM_EERKSM_lbbbEUlllE0_EEPmJS6_EEE10hipError_tPvRmT3_T4_T5_T6_T7_T9_mT8_P12ihipStream_tbDpT10_ENKUlT_T0_E_clISt17integral_constantIbLb1EES1B_IbLb0EEEEDaS17_S18_EUlS17_E_NS1_11comp_targetILNS1_3genE0ELNS1_11target_archE4294967295ELNS1_3gpuE0ELNS1_3repE0EEENS1_30default_config_static_selectorELNS0_4arch9wavefront6targetE1EEEvT1_,@function
_ZN7rocprim17ROCPRIM_400000_NS6detail17trampoline_kernelINS0_14default_configENS1_25partition_config_selectorILNS1_17partition_subalgoE8ElNS0_10empty_typeEbEEZZNS1_14partition_implILS5_8ELb0ES3_jPlPS6_PKS6_NS0_5tupleIJS9_S6_EEENSD_IJSA_SA_EEENS0_18inequality_wrapperIZN2at6native12_GLOBAL__N_124unique_dim_cuda_templateIdEESt5tupleIJNSH_6TensorESM_SM_EERKSM_lbbbEUlllE0_EEPmJS6_EEE10hipError_tPvRmT3_T4_T5_T6_T7_T9_mT8_P12ihipStream_tbDpT10_ENKUlT_T0_E_clISt17integral_constantIbLb1EES1B_IbLb0EEEEDaS17_S18_EUlS17_E_NS1_11comp_targetILNS1_3genE0ELNS1_11target_archE4294967295ELNS1_3gpuE0ELNS1_3repE0EEENS1_30default_config_static_selectorELNS0_4arch9wavefront6targetE1EEEvT1_: ; @_ZN7rocprim17ROCPRIM_400000_NS6detail17trampoline_kernelINS0_14default_configENS1_25partition_config_selectorILNS1_17partition_subalgoE8ElNS0_10empty_typeEbEEZZNS1_14partition_implILS5_8ELb0ES3_jPlPS6_PKS6_NS0_5tupleIJS9_S6_EEENSD_IJSA_SA_EEENS0_18inequality_wrapperIZN2at6native12_GLOBAL__N_124unique_dim_cuda_templateIdEESt5tupleIJNSH_6TensorESM_SM_EERKSM_lbbbEUlllE0_EEPmJS6_EEE10hipError_tPvRmT3_T4_T5_T6_T7_T9_mT8_P12ihipStream_tbDpT10_ENKUlT_T0_E_clISt17integral_constantIbLb1EES1B_IbLb0EEEEDaS17_S18_EUlS17_E_NS1_11comp_targetILNS1_3genE0ELNS1_11target_archE4294967295ELNS1_3gpuE0ELNS1_3repE0EEENS1_30default_config_static_selectorELNS0_4arch9wavefront6targetE1EEEvT1_
; %bb.0:
	.section	.rodata,"a",@progbits
	.p2align	6, 0x0
	.amdhsa_kernel _ZN7rocprim17ROCPRIM_400000_NS6detail17trampoline_kernelINS0_14default_configENS1_25partition_config_selectorILNS1_17partition_subalgoE8ElNS0_10empty_typeEbEEZZNS1_14partition_implILS5_8ELb0ES3_jPlPS6_PKS6_NS0_5tupleIJS9_S6_EEENSD_IJSA_SA_EEENS0_18inequality_wrapperIZN2at6native12_GLOBAL__N_124unique_dim_cuda_templateIdEESt5tupleIJNSH_6TensorESM_SM_EERKSM_lbbbEUlllE0_EEPmJS6_EEE10hipError_tPvRmT3_T4_T5_T6_T7_T9_mT8_P12ihipStream_tbDpT10_ENKUlT_T0_E_clISt17integral_constantIbLb1EES1B_IbLb0EEEEDaS17_S18_EUlS17_E_NS1_11comp_targetILNS1_3genE0ELNS1_11target_archE4294967295ELNS1_3gpuE0ELNS1_3repE0EEENS1_30default_config_static_selectorELNS0_4arch9wavefront6targetE1EEEvT1_
		.amdhsa_group_segment_fixed_size 0
		.amdhsa_private_segment_fixed_size 0
		.amdhsa_kernarg_size 120
		.amdhsa_user_sgpr_count 2
		.amdhsa_user_sgpr_dispatch_ptr 0
		.amdhsa_user_sgpr_queue_ptr 0
		.amdhsa_user_sgpr_kernarg_segment_ptr 1
		.amdhsa_user_sgpr_dispatch_id 0
		.amdhsa_user_sgpr_kernarg_preload_length 0
		.amdhsa_user_sgpr_kernarg_preload_offset 0
		.amdhsa_user_sgpr_private_segment_size 0
		.amdhsa_uses_dynamic_stack 0
		.amdhsa_enable_private_segment 0
		.amdhsa_system_sgpr_workgroup_id_x 1
		.amdhsa_system_sgpr_workgroup_id_y 0
		.amdhsa_system_sgpr_workgroup_id_z 0
		.amdhsa_system_sgpr_workgroup_info 0
		.amdhsa_system_vgpr_workitem_id 0
		.amdhsa_next_free_vgpr 1
		.amdhsa_next_free_sgpr 0
		.amdhsa_accum_offset 4
		.amdhsa_reserve_vcc 0
		.amdhsa_float_round_mode_32 0
		.amdhsa_float_round_mode_16_64 0
		.amdhsa_float_denorm_mode_32 3
		.amdhsa_float_denorm_mode_16_64 3
		.amdhsa_dx10_clamp 1
		.amdhsa_ieee_mode 1
		.amdhsa_fp16_overflow 0
		.amdhsa_tg_split 0
		.amdhsa_exception_fp_ieee_invalid_op 0
		.amdhsa_exception_fp_denorm_src 0
		.amdhsa_exception_fp_ieee_div_zero 0
		.amdhsa_exception_fp_ieee_overflow 0
		.amdhsa_exception_fp_ieee_underflow 0
		.amdhsa_exception_fp_ieee_inexact 0
		.amdhsa_exception_int_div_zero 0
	.end_amdhsa_kernel
	.section	.text._ZN7rocprim17ROCPRIM_400000_NS6detail17trampoline_kernelINS0_14default_configENS1_25partition_config_selectorILNS1_17partition_subalgoE8ElNS0_10empty_typeEbEEZZNS1_14partition_implILS5_8ELb0ES3_jPlPS6_PKS6_NS0_5tupleIJS9_S6_EEENSD_IJSA_SA_EEENS0_18inequality_wrapperIZN2at6native12_GLOBAL__N_124unique_dim_cuda_templateIdEESt5tupleIJNSH_6TensorESM_SM_EERKSM_lbbbEUlllE0_EEPmJS6_EEE10hipError_tPvRmT3_T4_T5_T6_T7_T9_mT8_P12ihipStream_tbDpT10_ENKUlT_T0_E_clISt17integral_constantIbLb1EES1B_IbLb0EEEEDaS17_S18_EUlS17_E_NS1_11comp_targetILNS1_3genE0ELNS1_11target_archE4294967295ELNS1_3gpuE0ELNS1_3repE0EEENS1_30default_config_static_selectorELNS0_4arch9wavefront6targetE1EEEvT1_,"axG",@progbits,_ZN7rocprim17ROCPRIM_400000_NS6detail17trampoline_kernelINS0_14default_configENS1_25partition_config_selectorILNS1_17partition_subalgoE8ElNS0_10empty_typeEbEEZZNS1_14partition_implILS5_8ELb0ES3_jPlPS6_PKS6_NS0_5tupleIJS9_S6_EEENSD_IJSA_SA_EEENS0_18inequality_wrapperIZN2at6native12_GLOBAL__N_124unique_dim_cuda_templateIdEESt5tupleIJNSH_6TensorESM_SM_EERKSM_lbbbEUlllE0_EEPmJS6_EEE10hipError_tPvRmT3_T4_T5_T6_T7_T9_mT8_P12ihipStream_tbDpT10_ENKUlT_T0_E_clISt17integral_constantIbLb1EES1B_IbLb0EEEEDaS17_S18_EUlS17_E_NS1_11comp_targetILNS1_3genE0ELNS1_11target_archE4294967295ELNS1_3gpuE0ELNS1_3repE0EEENS1_30default_config_static_selectorELNS0_4arch9wavefront6targetE1EEEvT1_,comdat
.Lfunc_end829:
	.size	_ZN7rocprim17ROCPRIM_400000_NS6detail17trampoline_kernelINS0_14default_configENS1_25partition_config_selectorILNS1_17partition_subalgoE8ElNS0_10empty_typeEbEEZZNS1_14partition_implILS5_8ELb0ES3_jPlPS6_PKS6_NS0_5tupleIJS9_S6_EEENSD_IJSA_SA_EEENS0_18inequality_wrapperIZN2at6native12_GLOBAL__N_124unique_dim_cuda_templateIdEESt5tupleIJNSH_6TensorESM_SM_EERKSM_lbbbEUlllE0_EEPmJS6_EEE10hipError_tPvRmT3_T4_T5_T6_T7_T9_mT8_P12ihipStream_tbDpT10_ENKUlT_T0_E_clISt17integral_constantIbLb1EES1B_IbLb0EEEEDaS17_S18_EUlS17_E_NS1_11comp_targetILNS1_3genE0ELNS1_11target_archE4294967295ELNS1_3gpuE0ELNS1_3repE0EEENS1_30default_config_static_selectorELNS0_4arch9wavefront6targetE1EEEvT1_, .Lfunc_end829-_ZN7rocprim17ROCPRIM_400000_NS6detail17trampoline_kernelINS0_14default_configENS1_25partition_config_selectorILNS1_17partition_subalgoE8ElNS0_10empty_typeEbEEZZNS1_14partition_implILS5_8ELb0ES3_jPlPS6_PKS6_NS0_5tupleIJS9_S6_EEENSD_IJSA_SA_EEENS0_18inequality_wrapperIZN2at6native12_GLOBAL__N_124unique_dim_cuda_templateIdEESt5tupleIJNSH_6TensorESM_SM_EERKSM_lbbbEUlllE0_EEPmJS6_EEE10hipError_tPvRmT3_T4_T5_T6_T7_T9_mT8_P12ihipStream_tbDpT10_ENKUlT_T0_E_clISt17integral_constantIbLb1EES1B_IbLb0EEEEDaS17_S18_EUlS17_E_NS1_11comp_targetILNS1_3genE0ELNS1_11target_archE4294967295ELNS1_3gpuE0ELNS1_3repE0EEENS1_30default_config_static_selectorELNS0_4arch9wavefront6targetE1EEEvT1_
                                        ; -- End function
	.section	.AMDGPU.csdata,"",@progbits
; Kernel info:
; codeLenInByte = 0
; NumSgprs: 6
; NumVgprs: 0
; NumAgprs: 0
; TotalNumVgprs: 0
; ScratchSize: 0
; MemoryBound: 0
; FloatMode: 240
; IeeeMode: 1
; LDSByteSize: 0 bytes/workgroup (compile time only)
; SGPRBlocks: 0
; VGPRBlocks: 0
; NumSGPRsForWavesPerEU: 6
; NumVGPRsForWavesPerEU: 1
; AccumOffset: 4
; Occupancy: 8
; WaveLimiterHint : 0
; COMPUTE_PGM_RSRC2:SCRATCH_EN: 0
; COMPUTE_PGM_RSRC2:USER_SGPR: 2
; COMPUTE_PGM_RSRC2:TRAP_HANDLER: 0
; COMPUTE_PGM_RSRC2:TGID_X_EN: 1
; COMPUTE_PGM_RSRC2:TGID_Y_EN: 0
; COMPUTE_PGM_RSRC2:TGID_Z_EN: 0
; COMPUTE_PGM_RSRC2:TIDIG_COMP_CNT: 0
; COMPUTE_PGM_RSRC3_GFX90A:ACCUM_OFFSET: 0
; COMPUTE_PGM_RSRC3_GFX90A:TG_SPLIT: 0
	.section	.text._ZN7rocprim17ROCPRIM_400000_NS6detail17trampoline_kernelINS0_14default_configENS1_25partition_config_selectorILNS1_17partition_subalgoE8ElNS0_10empty_typeEbEEZZNS1_14partition_implILS5_8ELb0ES3_jPlPS6_PKS6_NS0_5tupleIJS9_S6_EEENSD_IJSA_SA_EEENS0_18inequality_wrapperIZN2at6native12_GLOBAL__N_124unique_dim_cuda_templateIdEESt5tupleIJNSH_6TensorESM_SM_EERKSM_lbbbEUlllE0_EEPmJS6_EEE10hipError_tPvRmT3_T4_T5_T6_T7_T9_mT8_P12ihipStream_tbDpT10_ENKUlT_T0_E_clISt17integral_constantIbLb1EES1B_IbLb0EEEEDaS17_S18_EUlS17_E_NS1_11comp_targetILNS1_3genE5ELNS1_11target_archE942ELNS1_3gpuE9ELNS1_3repE0EEENS1_30default_config_static_selectorELNS0_4arch9wavefront6targetE1EEEvT1_,"axG",@progbits,_ZN7rocprim17ROCPRIM_400000_NS6detail17trampoline_kernelINS0_14default_configENS1_25partition_config_selectorILNS1_17partition_subalgoE8ElNS0_10empty_typeEbEEZZNS1_14partition_implILS5_8ELb0ES3_jPlPS6_PKS6_NS0_5tupleIJS9_S6_EEENSD_IJSA_SA_EEENS0_18inequality_wrapperIZN2at6native12_GLOBAL__N_124unique_dim_cuda_templateIdEESt5tupleIJNSH_6TensorESM_SM_EERKSM_lbbbEUlllE0_EEPmJS6_EEE10hipError_tPvRmT3_T4_T5_T6_T7_T9_mT8_P12ihipStream_tbDpT10_ENKUlT_T0_E_clISt17integral_constantIbLb1EES1B_IbLb0EEEEDaS17_S18_EUlS17_E_NS1_11comp_targetILNS1_3genE5ELNS1_11target_archE942ELNS1_3gpuE9ELNS1_3repE0EEENS1_30default_config_static_selectorELNS0_4arch9wavefront6targetE1EEEvT1_,comdat
	.globl	_ZN7rocprim17ROCPRIM_400000_NS6detail17trampoline_kernelINS0_14default_configENS1_25partition_config_selectorILNS1_17partition_subalgoE8ElNS0_10empty_typeEbEEZZNS1_14partition_implILS5_8ELb0ES3_jPlPS6_PKS6_NS0_5tupleIJS9_S6_EEENSD_IJSA_SA_EEENS0_18inequality_wrapperIZN2at6native12_GLOBAL__N_124unique_dim_cuda_templateIdEESt5tupleIJNSH_6TensorESM_SM_EERKSM_lbbbEUlllE0_EEPmJS6_EEE10hipError_tPvRmT3_T4_T5_T6_T7_T9_mT8_P12ihipStream_tbDpT10_ENKUlT_T0_E_clISt17integral_constantIbLb1EES1B_IbLb0EEEEDaS17_S18_EUlS17_E_NS1_11comp_targetILNS1_3genE5ELNS1_11target_archE942ELNS1_3gpuE9ELNS1_3repE0EEENS1_30default_config_static_selectorELNS0_4arch9wavefront6targetE1EEEvT1_ ; -- Begin function _ZN7rocprim17ROCPRIM_400000_NS6detail17trampoline_kernelINS0_14default_configENS1_25partition_config_selectorILNS1_17partition_subalgoE8ElNS0_10empty_typeEbEEZZNS1_14partition_implILS5_8ELb0ES3_jPlPS6_PKS6_NS0_5tupleIJS9_S6_EEENSD_IJSA_SA_EEENS0_18inequality_wrapperIZN2at6native12_GLOBAL__N_124unique_dim_cuda_templateIdEESt5tupleIJNSH_6TensorESM_SM_EERKSM_lbbbEUlllE0_EEPmJS6_EEE10hipError_tPvRmT3_T4_T5_T6_T7_T9_mT8_P12ihipStream_tbDpT10_ENKUlT_T0_E_clISt17integral_constantIbLb1EES1B_IbLb0EEEEDaS17_S18_EUlS17_E_NS1_11comp_targetILNS1_3genE5ELNS1_11target_archE942ELNS1_3gpuE9ELNS1_3repE0EEENS1_30default_config_static_selectorELNS0_4arch9wavefront6targetE1EEEvT1_
	.p2align	8
	.type	_ZN7rocprim17ROCPRIM_400000_NS6detail17trampoline_kernelINS0_14default_configENS1_25partition_config_selectorILNS1_17partition_subalgoE8ElNS0_10empty_typeEbEEZZNS1_14partition_implILS5_8ELb0ES3_jPlPS6_PKS6_NS0_5tupleIJS9_S6_EEENSD_IJSA_SA_EEENS0_18inequality_wrapperIZN2at6native12_GLOBAL__N_124unique_dim_cuda_templateIdEESt5tupleIJNSH_6TensorESM_SM_EERKSM_lbbbEUlllE0_EEPmJS6_EEE10hipError_tPvRmT3_T4_T5_T6_T7_T9_mT8_P12ihipStream_tbDpT10_ENKUlT_T0_E_clISt17integral_constantIbLb1EES1B_IbLb0EEEEDaS17_S18_EUlS17_E_NS1_11comp_targetILNS1_3genE5ELNS1_11target_archE942ELNS1_3gpuE9ELNS1_3repE0EEENS1_30default_config_static_selectorELNS0_4arch9wavefront6targetE1EEEvT1_,@function
_ZN7rocprim17ROCPRIM_400000_NS6detail17trampoline_kernelINS0_14default_configENS1_25partition_config_selectorILNS1_17partition_subalgoE8ElNS0_10empty_typeEbEEZZNS1_14partition_implILS5_8ELb0ES3_jPlPS6_PKS6_NS0_5tupleIJS9_S6_EEENSD_IJSA_SA_EEENS0_18inequality_wrapperIZN2at6native12_GLOBAL__N_124unique_dim_cuda_templateIdEESt5tupleIJNSH_6TensorESM_SM_EERKSM_lbbbEUlllE0_EEPmJS6_EEE10hipError_tPvRmT3_T4_T5_T6_T7_T9_mT8_P12ihipStream_tbDpT10_ENKUlT_T0_E_clISt17integral_constantIbLb1EES1B_IbLb0EEEEDaS17_S18_EUlS17_E_NS1_11comp_targetILNS1_3genE5ELNS1_11target_archE942ELNS1_3gpuE9ELNS1_3repE0EEENS1_30default_config_static_selectorELNS0_4arch9wavefront6targetE1EEEvT1_: ; @_ZN7rocprim17ROCPRIM_400000_NS6detail17trampoline_kernelINS0_14default_configENS1_25partition_config_selectorILNS1_17partition_subalgoE8ElNS0_10empty_typeEbEEZZNS1_14partition_implILS5_8ELb0ES3_jPlPS6_PKS6_NS0_5tupleIJS9_S6_EEENSD_IJSA_SA_EEENS0_18inequality_wrapperIZN2at6native12_GLOBAL__N_124unique_dim_cuda_templateIdEESt5tupleIJNSH_6TensorESM_SM_EERKSM_lbbbEUlllE0_EEPmJS6_EEE10hipError_tPvRmT3_T4_T5_T6_T7_T9_mT8_P12ihipStream_tbDpT10_ENKUlT_T0_E_clISt17integral_constantIbLb1EES1B_IbLb0EEEEDaS17_S18_EUlS17_E_NS1_11comp_targetILNS1_3genE5ELNS1_11target_archE942ELNS1_3gpuE9ELNS1_3repE0EEENS1_30default_config_static_selectorELNS0_4arch9wavefront6targetE1EEEvT1_
; %bb.0:
	s_load_dwordx8 s[20:27], s[0:1], 0x40
	s_load_dwordx4 s[4:7], s[0:1], 0x8
	s_load_dwordx4 s[28:31], s[0:1], 0x60
	s_load_dword s3, s[0:1], 0x70
	s_waitcnt lgkmcnt(0)
	v_mov_b32_e32 v2, s24
	s_lshl_b64 s[8:9], s[6:7], 3
	s_add_u32 s12, s4, s8
	s_mul_i32 s8, s3, 0xe00
	s_addc_u32 s13, s5, s9
	s_add_i32 s10, s3, -1
	s_add_i32 s3, s8, s6
	s_sub_i32 s3, s24, s3
	s_add_u32 s8, s6, s8
	s_addc_u32 s9, s7, 0
	v_mov_b32_e32 v3, s25
	s_cmp_eq_u32 s2, s10
	s_load_dwordx2 s[22:23], s[22:23], 0x0
	v_cmp_ge_u64_e32 vcc, s[8:9], v[2:3]
	s_cselect_b64 s[24:25], -1, 0
	s_mul_i32 s4, s2, 0xe00
	s_mov_b32 s5, 0
	s_and_b64 s[8:9], s[24:25], vcc
	s_xor_b64 s[34:35], s[8:9], -1
	s_lshl_b64 s[4:5], s[4:5], 3
	s_add_u32 s4, s12, s4
	s_mov_b64 s[10:11], -1
	s_addc_u32 s5, s13, s5
	s_and_b64 vcc, exec, s[34:35]
	s_cbranch_vccz .LBB830_2
; %bb.1:
	v_lshlrev_b32_e32 v2, 3, v0
	v_mov_b32_e32 v3, 0
	v_lshl_add_u64 v[4:5], s[4:5], 0, v[2:3]
	v_add_co_u32_e32 v8, vcc, 0x1000, v4
	global_load_dwordx2 v[6:7], v2, s[4:5]
	s_nop 0
	v_addc_co_u32_e32 v9, vcc, 0, v5, vcc
	v_add_co_u32_e32 v10, vcc, 0x2000, v4
	s_mov_b64 s[10:11], 0
	s_nop 0
	v_addc_co_u32_e32 v11, vcc, 0, v5, vcc
	v_add_co_u32_e32 v12, vcc, 0x3000, v4
	s_nop 1
	v_addc_co_u32_e32 v13, vcc, 0, v5, vcc
	v_add_co_u32_e32 v14, vcc, 0x4000, v4
	s_nop 1
	v_addc_co_u32_e32 v15, vcc, 0, v5, vcc
	global_load_dwordx2 v[16:17], v[8:9], off
	global_load_dwordx2 v[18:19], v[10:11], off
	;; [unrolled: 1-line block ×4, first 2 shown]
	v_add_co_u32_e32 v8, vcc, 0x5000, v4
	s_nop 1
	v_addc_co_u32_e32 v9, vcc, 0, v5, vcc
	v_add_co_u32_e32 v4, vcc, 0x6000, v4
	global_load_dwordx2 v[8:9], v[8:9], off
	s_nop 0
	v_addc_co_u32_e32 v5, vcc, 0, v5, vcc
	global_load_dwordx2 v[4:5], v[4:5], off
	s_waitcnt vmcnt(5)
	ds_write2st64_b64 v2, v[6:7], v[16:17] offset1:8
	s_waitcnt vmcnt(3)
	ds_write2st64_b64 v2, v[18:19], v[20:21] offset0:16 offset1:24
	s_waitcnt vmcnt(1)
	ds_write2st64_b64 v2, v[22:23], v[8:9] offset0:32 offset1:40
	s_waitcnt vmcnt(0)
	ds_write_b64 v2, v[4:5] offset:24576
	s_waitcnt lgkmcnt(0)
	s_barrier
.LBB830_2:
	s_andn2_b64 vcc, exec, s[10:11]
	s_addk_i32 s3, 0xe00
	s_cbranch_vccnz .LBB830_18
; %bb.3:
	v_cmp_gt_u32_e32 vcc, s3, v0
                                        ; implicit-def: $vgpr2_vgpr3_vgpr4_vgpr5_vgpr6_vgpr7_vgpr8_vgpr9_vgpr10_vgpr11_vgpr12_vgpr13_vgpr14_vgpr15_vgpr16_vgpr17
	s_and_saveexec_b64 s[10:11], vcc
	s_cbranch_execz .LBB830_5
; %bb.4:
	v_lshlrev_b32_e32 v1, 3, v0
	global_load_dwordx2 v[2:3], v1, s[4:5]
.LBB830_5:
	s_or_b64 exec, exec, s[10:11]
	v_or_b32_e32 v1, 0x200, v0
	v_cmp_gt_u32_e32 vcc, s3, v1
	s_and_saveexec_b64 s[10:11], vcc
	s_cbranch_execz .LBB830_7
; %bb.6:
	v_lshlrev_b32_e32 v1, 3, v1
	global_load_dwordx2 v[4:5], v1, s[4:5]
.LBB830_7:
	s_or_b64 exec, exec, s[10:11]
	v_or_b32_e32 v1, 0x400, v0
	v_cmp_gt_u32_e32 vcc, s3, v1
	;; [unrolled: 9-line block ×6, first 2 shown]
	s_and_saveexec_b64 s[10:11], vcc
	s_cbranch_execz .LBB830_17
; %bb.16:
	v_lshlrev_b32_e32 v1, 3, v1
	global_load_dwordx2 v[14:15], v1, s[4:5]
.LBB830_17:
	s_or_b64 exec, exec, s[10:11]
	v_lshlrev_b32_e32 v1, 3, v0
	s_waitcnt vmcnt(0)
	ds_write2st64_b64 v1, v[2:3], v[4:5] offset1:8
	ds_write2st64_b64 v1, v[6:7], v[8:9] offset0:16 offset1:24
	ds_write2st64_b64 v1, v[10:11], v[12:13] offset0:32 offset1:40
	ds_write_b64 v1, v[14:15] offset:24576
	s_waitcnt lgkmcnt(0)
	s_barrier
.LBB830_18:
	v_mul_u32_u24_e32 v1, 7, v0
	v_lshlrev_b32_e32 v30, 3, v1
	s_waitcnt lgkmcnt(0)
	ds_read2_b64 v[10:13], v30 offset1:1
	ds_read2_b64 v[6:9], v30 offset0:2 offset1:3
	ds_read2_b64 v[2:5], v30 offset0:4 offset1:5
	ds_read_b64 v[14:15], v30 offset:48
	s_cmp_lg_u32 s2, 0
	s_cselect_b64 s[16:17], -1, 0
	s_cmp_lg_u64 s[6:7], 0
	s_cselect_b64 s[6:7], -1, 0
	s_or_b64 s[6:7], s[16:17], s[6:7]
	v_mad_u32_u24 v25, v0, 7, 1
	v_mad_u32_u24 v24, v0, 7, 2
	;; [unrolled: 1-line block ×6, first 2 shown]
	s_mov_b64 s[10:11], 0
	s_and_b64 vcc, exec, s[6:7]
	v_cmp_gt_i64_e64 s[12:13], s[26:27], 0
	s_waitcnt lgkmcnt(0)
	s_barrier
	s_cbranch_vccz .LBB830_27
; %bb.19:
	s_add_u32 s4, s4, -8
	s_addc_u32 s5, s5, -1
	s_load_dwordx2 s[6:7], s[4:5], 0x0
	v_cndmask_b32_e64 v16, 0, 1, s[12:13]
	v_lshlrev_b32_e32 v31, 3, v0
	s_and_b64 vcc, exec, s[34:35]
	v_cmp_ne_u32_e64 s[4:5], 1, v16
	ds_write_b64 v31, v[14:15]
	s_cbranch_vccz .LBB830_29
; %bb.20:
	v_mul_lo_u32 v18, v5, s26
	v_mul_lo_u32 v19, v4, s27
	v_mad_u64_u32 v[16:17], s[12:13], v4, s26, 0
	v_add3_u32 v17, v17, v19, v18
	s_and_b64 vcc, exec, s[4:5]
	v_lshl_add_u64 v[16:17], v[16:17], 3, s[28:29]
	s_cbranch_vccnz .LBB830_32
; %bb.21:
	v_mul_lo_u32 v20, v15, s26
	v_mul_lo_u32 v21, v14, s27
	v_mad_u64_u32 v[18:19], s[10:11], v14, s26, 0
	v_add3_u32 v19, v19, v21, v20
	v_lshl_add_u64 v[18:19], v[18:19], 3, s[28:29]
	global_load_dwordx2 v[20:21], v[16:17], off
	global_load_dwordx2 v[22:23], v[18:19], off
	s_mov_b64 s[10:11], -1
	s_waitcnt vmcnt(0)
	v_cmp_eq_f64_e32 vcc, v[20:21], v[22:23]
	s_and_saveexec_b64 s[12:13], vcc
	s_cbranch_execz .LBB830_31
; %bb.22:
	s_add_u32 s10, s26, -1
	v_lshl_add_u64 v[18:19], v[18:19], 0, 8
	v_lshl_add_u64 v[20:21], v[16:17], 0, 8
	s_addc_u32 s11, s27, -1
	s_mov_b64 s[14:15], 0
	s_mov_b64 s[36:37], 0
                                        ; implicit-def: $sgpr18_sgpr19
	s_branch .LBB830_25
.LBB830_23:                             ;   in Loop: Header=BB830_25 Depth=1
	global_load_dwordx2 v[22:23], v[20:21], off
	global_load_dwordx2 v[32:33], v[18:19], off
	s_add_u32 s36, s36, 1
	s_addc_u32 s37, s37, 0
	s_andn2_b64 s[18:19], s[18:19], exec
	v_lshl_add_u64 v[18:19], v[18:19], 0, 8
	v_lshl_add_u64 v[20:21], v[20:21], 0, 8
	s_waitcnt vmcnt(0)
	v_cmp_neq_f64_e32 vcc, v[22:23], v[32:33]
	s_and_b64 s[38:39], vcc, exec
	s_or_b64 s[18:19], s[18:19], s[38:39]
.LBB830_24:                             ;   in Loop: Header=BB830_25 Depth=1
	s_and_b64 s[38:39], exec, s[18:19]
	s_or_b64 s[14:15], s[38:39], s[14:15]
	v_mov_b64_e32 v[22:23], s[36:37]
	s_andn2_b64 exec, exec, s[14:15]
	s_cbranch_execz .LBB830_30
.LBB830_25:                             ; =>This Inner Loop Header: Depth=1
	s_or_b64 s[18:19], s[18:19], exec
	s_cmp_eq_u64 s[10:11], s[36:37]
	s_cbranch_scc0 .LBB830_23
; %bb.26:                               ;   in Loop: Header=BB830_25 Depth=1
                                        ; implicit-def: $vgpr18_vgpr19
                                        ; implicit-def: $vgpr20_vgpr21
	s_mov_b64 s[36:37], s[26:27]
	s_branch .LBB830_24
.LBB830_27:
                                        ; implicit-def: $sgpr18_sgpr19
                                        ; implicit-def: $vgpr34
                                        ; implicit-def: $vgpr33
                                        ; implicit-def: $vgpr32
                                        ; implicit-def: $vgpr20
	s_branch .LBB830_170
.LBB830_28:
                                        ; implicit-def: $vgpr16_vgpr17
	s_branch .LBB830_318
.LBB830_29:
                                        ; implicit-def: $sgpr18_sgpr19
                                        ; implicit-def: $vgpr34
                                        ; implicit-def: $vgpr33
                                        ; implicit-def: $vgpr32
                                        ; implicit-def: $vgpr20
	s_cbranch_execnz .LBB830_89
	s_branch .LBB830_169
.LBB830_30:
	s_or_b64 exec, exec, s[14:15]
	v_cmp_gt_i64_e32 vcc, s[26:27], v[22:23]
	s_orn2_b64 s[10:11], vcc, exec
.LBB830_31:
	s_or_b64 exec, exec, s[12:13]
.LBB830_32:
	v_mul_lo_u32 v20, v3, s26
	v_mul_lo_u32 v21, v2, s27
	v_mad_u64_u32 v[18:19], s[12:13], v2, s26, 0
	v_add3_u32 v19, v19, v21, v20
	s_mov_b64 s[12:13], 0
	s_and_b64 vcc, exec, s[4:5]
	v_lshl_add_u64 v[18:19], v[18:19], 3, s[28:29]
	s_mov_b64 s[14:15], 0
	s_cbranch_vccnz .LBB830_41
; %bb.33:
	global_load_dwordx2 v[20:21], v[18:19], off
	global_load_dwordx2 v[22:23], v[16:17], off
	s_mov_b64 s[14:15], -1
	s_waitcnt vmcnt(0)
	v_cmp_eq_f64_e32 vcc, v[20:21], v[22:23]
	s_and_saveexec_b64 s[18:19], vcc
	s_cbranch_execz .LBB830_40
; %bb.34:
	s_add_u32 s14, s26, -1
	v_lshl_add_u64 v[16:17], v[16:17], 0, 8
	v_lshl_add_u64 v[20:21], v[18:19], 0, 8
	s_addc_u32 s15, s27, -1
	s_mov_b64 s[36:37], 0
	s_mov_b64 s[40:41], 0
                                        ; implicit-def: $sgpr38_sgpr39
	s_branch .LBB830_37
.LBB830_35:                             ;   in Loop: Header=BB830_37 Depth=1
	global_load_dwordx2 v[22:23], v[20:21], off
	global_load_dwordx2 v[32:33], v[16:17], off
	s_add_u32 s40, s40, 1
	s_addc_u32 s41, s41, 0
	s_andn2_b64 s[38:39], s[38:39], exec
	v_lshl_add_u64 v[16:17], v[16:17], 0, 8
	v_lshl_add_u64 v[20:21], v[20:21], 0, 8
	s_waitcnt vmcnt(0)
	v_cmp_neq_f64_e32 vcc, v[22:23], v[32:33]
	s_and_b64 s[42:43], vcc, exec
	s_or_b64 s[38:39], s[38:39], s[42:43]
.LBB830_36:                             ;   in Loop: Header=BB830_37 Depth=1
	s_and_b64 s[42:43], exec, s[38:39]
	s_or_b64 s[36:37], s[42:43], s[36:37]
	v_mov_b64_e32 v[22:23], s[40:41]
	s_andn2_b64 exec, exec, s[36:37]
	s_cbranch_execz .LBB830_39
.LBB830_37:                             ; =>This Inner Loop Header: Depth=1
	s_or_b64 s[38:39], s[38:39], exec
	s_cmp_eq_u64 s[14:15], s[40:41]
	s_cbranch_scc0 .LBB830_35
; %bb.38:                               ;   in Loop: Header=BB830_37 Depth=1
                                        ; implicit-def: $vgpr16_vgpr17
                                        ; implicit-def: $vgpr20_vgpr21
	s_mov_b64 s[40:41], s[26:27]
	s_branch .LBB830_36
.LBB830_39:
	s_or_b64 exec, exec, s[36:37]
	v_cmp_gt_i64_e32 vcc, s[26:27], v[22:23]
	s_orn2_b64 s[14:15], vcc, exec
.LBB830_40:
	s_or_b64 exec, exec, s[18:19]
.LBB830_41:
	v_mul_lo_u32 v20, v9, s26
	v_mul_lo_u32 v21, v8, s27
	v_mad_u64_u32 v[16:17], s[18:19], v8, s26, 0
	v_add3_u32 v17, v17, v21, v20
	s_and_b64 vcc, exec, s[4:5]
	v_lshl_add_u64 v[16:17], v[16:17], 3, s[28:29]
	s_cbranch_vccnz .LBB830_50
; %bb.42:
	global_load_dwordx2 v[20:21], v[16:17], off
	global_load_dwordx2 v[22:23], v[18:19], off
	s_mov_b64 s[12:13], -1
	s_waitcnt vmcnt(0)
	v_cmp_eq_f64_e32 vcc, v[20:21], v[22:23]
	s_and_saveexec_b64 s[18:19], vcc
	s_cbranch_execz .LBB830_49
; %bb.43:
	s_add_u32 s12, s26, -1
	v_lshl_add_u64 v[18:19], v[18:19], 0, 8
	v_lshl_add_u64 v[20:21], v[16:17], 0, 8
	s_addc_u32 s13, s27, -1
	s_mov_b64 s[36:37], 0
	s_mov_b64 s[40:41], 0
                                        ; implicit-def: $sgpr38_sgpr39
	s_branch .LBB830_46
.LBB830_44:                             ;   in Loop: Header=BB830_46 Depth=1
	global_load_dwordx2 v[22:23], v[20:21], off
	global_load_dwordx2 v[32:33], v[18:19], off
	s_add_u32 s40, s40, 1
	s_addc_u32 s41, s41, 0
	s_andn2_b64 s[38:39], s[38:39], exec
	v_lshl_add_u64 v[18:19], v[18:19], 0, 8
	v_lshl_add_u64 v[20:21], v[20:21], 0, 8
	s_waitcnt vmcnt(0)
	v_cmp_neq_f64_e32 vcc, v[22:23], v[32:33]
	s_and_b64 s[42:43], vcc, exec
	s_or_b64 s[38:39], s[38:39], s[42:43]
.LBB830_45:                             ;   in Loop: Header=BB830_46 Depth=1
	s_and_b64 s[42:43], exec, s[38:39]
	s_or_b64 s[36:37], s[42:43], s[36:37]
	v_mov_b64_e32 v[22:23], s[40:41]
	s_andn2_b64 exec, exec, s[36:37]
	s_cbranch_execz .LBB830_48
.LBB830_46:                             ; =>This Inner Loop Header: Depth=1
	s_or_b64 s[38:39], s[38:39], exec
	s_cmp_eq_u64 s[12:13], s[40:41]
	s_cbranch_scc0 .LBB830_44
; %bb.47:                               ;   in Loop: Header=BB830_46 Depth=1
                                        ; implicit-def: $vgpr18_vgpr19
                                        ; implicit-def: $vgpr20_vgpr21
	s_mov_b64 s[40:41], s[26:27]
	s_branch .LBB830_45
.LBB830_48:
	s_or_b64 exec, exec, s[36:37]
	v_cmp_gt_i64_e32 vcc, s[26:27], v[22:23]
	s_orn2_b64 s[12:13], vcc, exec
.LBB830_49:
	s_or_b64 exec, exec, s[18:19]
.LBB830_50:
	v_mul_lo_u32 v20, v7, s26
	v_mul_lo_u32 v21, v6, s27
	v_mad_u64_u32 v[18:19], s[18:19], v6, s26, 0
	v_add3_u32 v19, v19, v21, v20
	s_mov_b64 s[18:19], 0
	s_and_b64 vcc, exec, s[4:5]
	v_lshl_add_u64 v[20:21], v[18:19], 3, s[28:29]
	s_mov_b64 s[36:37], 0
	s_cbranch_vccnz .LBB830_59
; %bb.51:
	global_load_dwordx2 v[18:19], v[20:21], off
	global_load_dwordx2 v[22:23], v[16:17], off
	s_mov_b64 s[36:37], -1
	s_waitcnt vmcnt(0)
	v_cmp_eq_f64_e32 vcc, v[18:19], v[22:23]
	s_and_saveexec_b64 s[38:39], vcc
	s_cbranch_execz .LBB830_58
; %bb.52:
	s_add_u32 s36, s26, -1
	v_lshl_add_u64 v[16:17], v[16:17], 0, 8
	v_lshl_add_u64 v[18:19], v[20:21], 0, 8
	s_addc_u32 s37, s27, -1
	s_mov_b64 s[40:41], 0
	s_mov_b64 s[44:45], 0
                                        ; implicit-def: $sgpr42_sgpr43
	s_branch .LBB830_55
.LBB830_53:                             ;   in Loop: Header=BB830_55 Depth=1
	global_load_dwordx2 v[22:23], v[18:19], off
	global_load_dwordx2 v[32:33], v[16:17], off
	s_add_u32 s44, s44, 1
	s_addc_u32 s45, s45, 0
	s_andn2_b64 s[42:43], s[42:43], exec
	v_lshl_add_u64 v[16:17], v[16:17], 0, 8
	v_lshl_add_u64 v[18:19], v[18:19], 0, 8
	s_waitcnt vmcnt(0)
	v_cmp_neq_f64_e32 vcc, v[22:23], v[32:33]
	s_and_b64 s[46:47], vcc, exec
	s_or_b64 s[42:43], s[42:43], s[46:47]
.LBB830_54:                             ;   in Loop: Header=BB830_55 Depth=1
	s_and_b64 s[46:47], exec, s[42:43]
	s_or_b64 s[40:41], s[46:47], s[40:41]
	v_mov_b64_e32 v[22:23], s[44:45]
	s_andn2_b64 exec, exec, s[40:41]
	s_cbranch_execz .LBB830_57
.LBB830_55:                             ; =>This Inner Loop Header: Depth=1
	s_or_b64 s[42:43], s[42:43], exec
	s_cmp_eq_u64 s[36:37], s[44:45]
	s_cbranch_scc0 .LBB830_53
; %bb.56:                               ;   in Loop: Header=BB830_55 Depth=1
                                        ; implicit-def: $vgpr16_vgpr17
                                        ; implicit-def: $vgpr18_vgpr19
	s_mov_b64 s[44:45], s[26:27]
	s_branch .LBB830_54
.LBB830_57:
	s_or_b64 exec, exec, s[40:41]
	v_cmp_gt_i64_e32 vcc, s[26:27], v[22:23]
	s_orn2_b64 s[36:37], vcc, exec
.LBB830_58:
	s_or_b64 exec, exec, s[38:39]
.LBB830_59:
	v_mul_lo_u32 v18, v13, s26
	v_mul_lo_u32 v19, v12, s27
	v_mad_u64_u32 v[16:17], s[38:39], v12, s26, 0
	v_add3_u32 v17, v17, v19, v18
	s_and_b64 vcc, exec, s[4:5]
	v_lshl_add_u64 v[18:19], v[16:17], 3, s[28:29]
	s_cbranch_vccnz .LBB830_68
; %bb.60:
	global_load_dwordx2 v[16:17], v[18:19], off
	global_load_dwordx2 v[22:23], v[20:21], off
	s_mov_b64 s[18:19], -1
	s_waitcnt vmcnt(0)
	v_cmp_eq_f64_e32 vcc, v[16:17], v[22:23]
	s_and_saveexec_b64 s[38:39], vcc
	s_cbranch_execz .LBB830_67
; %bb.61:
	s_add_u32 s18, s26, -1
	v_lshl_add_u64 v[16:17], v[20:21], 0, 8
	v_lshl_add_u64 v[20:21], v[18:19], 0, 8
	s_addc_u32 s19, s27, -1
	s_mov_b64 s[40:41], 0
	s_mov_b64 s[44:45], 0
                                        ; implicit-def: $sgpr42_sgpr43
	s_branch .LBB830_64
.LBB830_62:                             ;   in Loop: Header=BB830_64 Depth=1
	global_load_dwordx2 v[22:23], v[20:21], off
	global_load_dwordx2 v[32:33], v[16:17], off
	s_add_u32 s44, s44, 1
	s_addc_u32 s45, s45, 0
	s_andn2_b64 s[42:43], s[42:43], exec
	v_lshl_add_u64 v[16:17], v[16:17], 0, 8
	v_lshl_add_u64 v[20:21], v[20:21], 0, 8
	s_waitcnt vmcnt(0)
	v_cmp_neq_f64_e32 vcc, v[22:23], v[32:33]
	s_and_b64 s[46:47], vcc, exec
	s_or_b64 s[42:43], s[42:43], s[46:47]
.LBB830_63:                             ;   in Loop: Header=BB830_64 Depth=1
	s_and_b64 s[46:47], exec, s[42:43]
	s_or_b64 s[40:41], s[46:47], s[40:41]
	v_mov_b64_e32 v[22:23], s[44:45]
	s_andn2_b64 exec, exec, s[40:41]
	s_cbranch_execz .LBB830_66
.LBB830_64:                             ; =>This Inner Loop Header: Depth=1
	s_or_b64 s[42:43], s[42:43], exec
	s_cmp_eq_u64 s[18:19], s[44:45]
	s_cbranch_scc0 .LBB830_62
; %bb.65:                               ;   in Loop: Header=BB830_64 Depth=1
                                        ; implicit-def: $vgpr16_vgpr17
                                        ; implicit-def: $vgpr20_vgpr21
	s_mov_b64 s[44:45], s[26:27]
	s_branch .LBB830_63
.LBB830_66:
	s_or_b64 exec, exec, s[40:41]
	v_cmp_gt_i64_e32 vcc, s[26:27], v[22:23]
	s_orn2_b64 s[18:19], vcc, exec
.LBB830_67:
	s_or_b64 exec, exec, s[38:39]
.LBB830_68:
	v_mul_lo_u32 v20, v11, s26
	v_mul_lo_u32 v21, v10, s27
	v_mad_u64_u32 v[16:17], s[38:39], v10, s26, 0
	v_add3_u32 v17, v17, v21, v20
	s_mov_b64 s[40:41], 0
	s_and_b64 vcc, exec, s[4:5]
	v_lshl_add_u64 v[16:17], v[16:17], 3, s[28:29]
	s_cbranch_vccnz .LBB830_77
; %bb.69:
	global_load_dwordx2 v[20:21], v[16:17], off
	global_load_dwordx2 v[22:23], v[18:19], off
	s_mov_b64 s[40:41], -1
	s_waitcnt vmcnt(0)
	v_cmp_eq_f64_e32 vcc, v[20:21], v[22:23]
	s_and_saveexec_b64 s[38:39], vcc
	s_cbranch_execz .LBB830_76
; %bb.70:
	s_add_u32 s40, s26, -1
	v_lshl_add_u64 v[18:19], v[18:19], 0, 8
	v_lshl_add_u64 v[20:21], v[16:17], 0, 8
	s_addc_u32 s41, s27, -1
	s_mov_b64 s[42:43], 0
	s_mov_b64 s[46:47], 0
                                        ; implicit-def: $sgpr44_sgpr45
	s_branch .LBB830_73
.LBB830_71:                             ;   in Loop: Header=BB830_73 Depth=1
	global_load_dwordx2 v[22:23], v[20:21], off
	global_load_dwordx2 v[32:33], v[18:19], off
	s_add_u32 s46, s46, 1
	s_addc_u32 s47, s47, 0
	s_andn2_b64 s[44:45], s[44:45], exec
	v_lshl_add_u64 v[18:19], v[18:19], 0, 8
	v_lshl_add_u64 v[20:21], v[20:21], 0, 8
	s_waitcnt vmcnt(0)
	v_cmp_neq_f64_e32 vcc, v[22:23], v[32:33]
	s_and_b64 s[48:49], vcc, exec
	s_or_b64 s[44:45], s[44:45], s[48:49]
.LBB830_72:                             ;   in Loop: Header=BB830_73 Depth=1
	s_and_b64 s[48:49], exec, s[44:45]
	s_or_b64 s[42:43], s[48:49], s[42:43]
	v_mov_b64_e32 v[22:23], s[46:47]
	s_andn2_b64 exec, exec, s[42:43]
	s_cbranch_execz .LBB830_75
.LBB830_73:                             ; =>This Inner Loop Header: Depth=1
	s_or_b64 s[44:45], s[44:45], exec
	s_cmp_eq_u64 s[40:41], s[46:47]
	s_cbranch_scc0 .LBB830_71
; %bb.74:                               ;   in Loop: Header=BB830_73 Depth=1
                                        ; implicit-def: $vgpr18_vgpr19
                                        ; implicit-def: $vgpr20_vgpr21
	s_mov_b64 s[46:47], s[26:27]
	s_branch .LBB830_72
.LBB830_75:
	s_or_b64 exec, exec, s[42:43]
	v_cmp_gt_i64_e32 vcc, s[26:27], v[22:23]
	s_orn2_b64 s[40:41], vcc, exec
.LBB830_76:
	s_or_b64 exec, exec, s[38:39]
.LBB830_77:
	v_cmp_ne_u32_e32 vcc, 0, v0
	s_waitcnt lgkmcnt(0)
	v_mov_b64_e32 v[18:19], s[6:7]
	s_barrier
	s_and_saveexec_b64 s[38:39], vcc
	s_cbranch_execz .LBB830_79
; %bb.78:
	v_add_u32_e32 v18, -8, v31
	ds_read_b64 v[18:19], v18
.LBB830_79:
	s_or_b64 exec, exec, s[38:39]
	v_cndmask_b32_e64 v21, 0, 1, s[36:37]
	v_cndmask_b32_e64 v20, 0, 1, s[18:19]
	;; [unrolled: 1-line block ×3, first 2 shown]
	v_lshlrev_b16_e32 v21, 8, v21
	v_lshlrev_b16_e32 v22, 8, v22
	v_or_b32_sdwa v23, v20, v21 dst_sel:WORD_1 dst_unused:UNUSED_PAD src0_sel:DWORD src1_sel:DWORD
	s_mov_b64 s[36:37], 0
	s_and_b64 vcc, exec, s[4:5]
	s_mov_b64 s[18:19], 0
	s_cbranch_vccnz .LBB830_88
; %bb.80:
	s_waitcnt lgkmcnt(0)
	v_mul_lo_u32 v20, v19, s26
	v_mul_lo_u32 v21, v18, s27
	v_mad_u64_u32 v[18:19], s[18:19], v18, s26, 0
	v_add3_u32 v19, v19, v21, v20
	v_lshl_add_u64 v[18:19], v[18:19], 3, s[28:29]
	global_load_dwordx2 v[20:21], v[18:19], off
	global_load_dwordx2 v[32:33], v[16:17], off
	s_mov_b64 s[18:19], -1
	s_waitcnt vmcnt(0)
	v_cmp_eq_f64_e32 vcc, v[20:21], v[32:33]
	s_and_saveexec_b64 s[38:39], vcc
	s_cbranch_execz .LBB830_87
; %bb.81:
	s_add_u32 s18, s26, -1
	v_lshl_add_u64 v[16:17], v[16:17], 0, 8
	v_lshl_add_u64 v[18:19], v[18:19], 0, 8
	s_addc_u32 s19, s27, -1
	s_mov_b64 s[40:41], 0
	s_mov_b64 s[44:45], 0
                                        ; implicit-def: $sgpr42_sgpr43
	s_branch .LBB830_84
.LBB830_82:                             ;   in Loop: Header=BB830_84 Depth=1
	global_load_dwordx2 v[20:21], v[18:19], off
	global_load_dwordx2 v[32:33], v[16:17], off
	s_add_u32 s44, s44, 1
	s_addc_u32 s45, s45, 0
	s_andn2_b64 s[42:43], s[42:43], exec
	v_lshl_add_u64 v[16:17], v[16:17], 0, 8
	v_lshl_add_u64 v[18:19], v[18:19], 0, 8
	s_waitcnt vmcnt(0)
	v_cmp_neq_f64_e32 vcc, v[20:21], v[32:33]
	s_and_b64 s[46:47], vcc, exec
	s_or_b64 s[42:43], s[42:43], s[46:47]
.LBB830_83:                             ;   in Loop: Header=BB830_84 Depth=1
	s_and_b64 s[46:47], exec, s[42:43]
	s_or_b64 s[40:41], s[46:47], s[40:41]
	v_mov_b64_e32 v[20:21], s[44:45]
	s_andn2_b64 exec, exec, s[40:41]
	s_cbranch_execz .LBB830_86
.LBB830_84:                             ; =>This Inner Loop Header: Depth=1
	s_or_b64 s[42:43], s[42:43], exec
	s_cmp_eq_u64 s[18:19], s[44:45]
	s_cbranch_scc0 .LBB830_82
; %bb.85:                               ;   in Loop: Header=BB830_84 Depth=1
                                        ; implicit-def: $vgpr16_vgpr17
                                        ; implicit-def: $vgpr18_vgpr19
	s_mov_b64 s[44:45], s[26:27]
	s_branch .LBB830_83
.LBB830_86:
	s_or_b64 exec, exec, s[40:41]
	v_cmp_gt_i64_e32 vcc, s[26:27], v[20:21]
	s_orn2_b64 s[18:19], vcc, exec
.LBB830_87:
	s_or_b64 exec, exec, s[38:39]
.LBB830_88:
	v_cndmask_b32_e64 v32, 0, 1, s[12:13]
	v_cndmask_b32_e64 v33, 0, 1, s[14:15]
	;; [unrolled: 1-line block ×3, first 2 shown]
	v_or_b32_e32 v20, v22, v23
	s_and_b64 vcc, exec, s[36:37]
	s_cbranch_vccz .LBB830_169
.LBB830_89:
	v_cmp_gt_u32_e32 vcc, s3, v27
	s_mov_b64 s[12:13], 0
	s_mov_b64 s[10:11], 0
	s_and_saveexec_b64 s[14:15], vcc
	s_cbranch_execz .LBB830_100
; %bb.90:
	s_and_b64 vcc, exec, s[4:5]
	s_mov_b64 s[18:19], 0
	s_cbranch_vccnz .LBB830_99
; %bb.91:
	s_waitcnt lgkmcnt(0)
	v_mul_lo_u32 v18, v5, s26
	v_mul_lo_u32 v19, v4, s27
	v_mad_u64_u32 v[16:17], s[10:11], v4, s26, 0
	v_add3_u32 v17, v17, v19, v18
	v_mul_lo_u32 v18, v15, s26
	v_mul_lo_u32 v19, v14, s27
	v_mad_u64_u32 v[20:21], s[10:11], v14, s26, 0
	v_add3_u32 v21, v21, v19, v18
	v_lshl_add_u64 v[18:19], v[16:17], 3, s[28:29]
	v_lshl_add_u64 v[16:17], v[20:21], 3, s[28:29]
	global_load_dwordx2 v[20:21], v[18:19], off
	global_load_dwordx2 v[22:23], v[16:17], off
	s_mov_b64 s[18:19], -1
	s_waitcnt vmcnt(0)
	v_cmp_eq_f64_e32 vcc, v[20:21], v[22:23]
	s_and_saveexec_b64 s[10:11], vcc
	s_cbranch_execz .LBB830_98
; %bb.92:
	s_add_u32 s18, s26, -1
	v_lshl_add_u64 v[16:17], v[16:17], 0, 8
	v_lshl_add_u64 v[18:19], v[18:19], 0, 8
	s_addc_u32 s19, s27, -1
	s_mov_b64 s[36:37], 0
	s_mov_b64 s[40:41], 0
                                        ; implicit-def: $sgpr38_sgpr39
	s_branch .LBB830_95
.LBB830_93:                             ;   in Loop: Header=BB830_95 Depth=1
	global_load_dwordx2 v[20:21], v[18:19], off
	global_load_dwordx2 v[22:23], v[16:17], off
	s_add_u32 s40, s40, 1
	s_addc_u32 s41, s41, 0
	s_andn2_b64 s[38:39], s[38:39], exec
	v_lshl_add_u64 v[16:17], v[16:17], 0, 8
	v_lshl_add_u64 v[18:19], v[18:19], 0, 8
	s_waitcnt vmcnt(0)
	v_cmp_neq_f64_e32 vcc, v[20:21], v[22:23]
	s_and_b64 s[42:43], vcc, exec
	s_or_b64 s[38:39], s[38:39], s[42:43]
.LBB830_94:                             ;   in Loop: Header=BB830_95 Depth=1
	s_and_b64 s[42:43], exec, s[38:39]
	s_or_b64 s[36:37], s[42:43], s[36:37]
	v_mov_b64_e32 v[20:21], s[40:41]
	s_andn2_b64 exec, exec, s[36:37]
	s_cbranch_execz .LBB830_97
.LBB830_95:                             ; =>This Inner Loop Header: Depth=1
	s_or_b64 s[38:39], s[38:39], exec
	s_cmp_eq_u64 s[18:19], s[40:41]
	s_cbranch_scc0 .LBB830_93
; %bb.96:                               ;   in Loop: Header=BB830_95 Depth=1
                                        ; implicit-def: $vgpr16_vgpr17
                                        ; implicit-def: $vgpr18_vgpr19
	s_mov_b64 s[40:41], s[26:27]
	s_branch .LBB830_94
.LBB830_97:
	s_or_b64 exec, exec, s[36:37]
	v_cmp_gt_i64_e32 vcc, s[26:27], v[20:21]
	s_orn2_b64 s[18:19], vcc, exec
.LBB830_98:
	s_or_b64 exec, exec, s[10:11]
.LBB830_99:
	s_and_b64 s[10:11], s[18:19], exec
.LBB830_100:
	s_or_b64 exec, exec, s[14:15]
	v_cmp_gt_u32_e32 vcc, s3, v29
	s_and_saveexec_b64 s[14:15], vcc
	s_cbranch_execz .LBB830_111
; %bb.101:
	s_and_b64 vcc, exec, s[4:5]
	s_mov_b64 s[18:19], 0
	s_cbranch_vccnz .LBB830_110
; %bb.102:
	s_waitcnt lgkmcnt(0)
	v_mul_lo_u32 v18, v3, s26
	v_mul_lo_u32 v19, v2, s27
	v_mad_u64_u32 v[16:17], s[12:13], v2, s26, 0
	v_add3_u32 v17, v17, v19, v18
	v_mul_lo_u32 v18, v5, s26
	v_mul_lo_u32 v19, v4, s27
	v_mad_u64_u32 v[20:21], s[12:13], v4, s26, 0
	v_add3_u32 v21, v21, v19, v18
	v_lshl_add_u64 v[18:19], v[16:17], 3, s[28:29]
	v_lshl_add_u64 v[16:17], v[20:21], 3, s[28:29]
	global_load_dwordx2 v[20:21], v[18:19], off
	global_load_dwordx2 v[22:23], v[16:17], off
	s_mov_b64 s[18:19], -1
	s_waitcnt vmcnt(0)
	v_cmp_eq_f64_e32 vcc, v[20:21], v[22:23]
	s_and_saveexec_b64 s[12:13], vcc
	s_cbranch_execz .LBB830_109
; %bb.103:
	s_add_u32 s18, s26, -1
	v_lshl_add_u64 v[16:17], v[16:17], 0, 8
	v_lshl_add_u64 v[18:19], v[18:19], 0, 8
	s_addc_u32 s19, s27, -1
	s_mov_b64 s[36:37], 0
	s_mov_b64 s[40:41], 0
                                        ; implicit-def: $sgpr38_sgpr39
	s_branch .LBB830_106
.LBB830_104:                            ;   in Loop: Header=BB830_106 Depth=1
	global_load_dwordx2 v[20:21], v[18:19], off
	global_load_dwordx2 v[22:23], v[16:17], off
	s_add_u32 s40, s40, 1
	s_addc_u32 s41, s41, 0
	s_andn2_b64 s[38:39], s[38:39], exec
	v_lshl_add_u64 v[16:17], v[16:17], 0, 8
	v_lshl_add_u64 v[18:19], v[18:19], 0, 8
	s_waitcnt vmcnt(0)
	v_cmp_neq_f64_e32 vcc, v[20:21], v[22:23]
	s_and_b64 s[42:43], vcc, exec
	s_or_b64 s[38:39], s[38:39], s[42:43]
.LBB830_105:                            ;   in Loop: Header=BB830_106 Depth=1
	s_and_b64 s[42:43], exec, s[38:39]
	s_or_b64 s[36:37], s[42:43], s[36:37]
	v_mov_b64_e32 v[20:21], s[40:41]
	s_andn2_b64 exec, exec, s[36:37]
	s_cbranch_execz .LBB830_108
.LBB830_106:                            ; =>This Inner Loop Header: Depth=1
	s_or_b64 s[38:39], s[38:39], exec
	s_cmp_eq_u64 s[18:19], s[40:41]
	s_cbranch_scc0 .LBB830_104
; %bb.107:                              ;   in Loop: Header=BB830_106 Depth=1
                                        ; implicit-def: $vgpr16_vgpr17
                                        ; implicit-def: $vgpr18_vgpr19
	s_mov_b64 s[40:41], s[26:27]
	s_branch .LBB830_105
.LBB830_108:
	s_or_b64 exec, exec, s[36:37]
	v_cmp_gt_i64_e32 vcc, s[26:27], v[20:21]
	s_orn2_b64 s[18:19], vcc, exec
.LBB830_109:
	s_or_b64 exec, exec, s[12:13]
.LBB830_110:
	s_and_b64 s[12:13], s[18:19], exec
.LBB830_111:
	s_or_b64 exec, exec, s[14:15]
	v_cmp_gt_u32_e32 vcc, s3, v26
	s_mov_b64 s[18:19], 0
	s_mov_b64 s[14:15], 0
	s_and_saveexec_b64 s[36:37], vcc
	s_cbranch_execz .LBB830_122
; %bb.112:
	s_and_b64 vcc, exec, s[4:5]
	s_mov_b64 s[38:39], 0
	s_cbranch_vccnz .LBB830_121
; %bb.113:
	s_waitcnt lgkmcnt(0)
	v_mul_lo_u32 v18, v9, s26
	v_mul_lo_u32 v19, v8, s27
	v_mad_u64_u32 v[16:17], s[14:15], v8, s26, 0
	v_add3_u32 v17, v17, v19, v18
	v_mul_lo_u32 v18, v3, s26
	v_mul_lo_u32 v19, v2, s27
	v_mad_u64_u32 v[20:21], s[14:15], v2, s26, 0
	v_add3_u32 v21, v21, v19, v18
	v_lshl_add_u64 v[18:19], v[16:17], 3, s[28:29]
	v_lshl_add_u64 v[16:17], v[20:21], 3, s[28:29]
	global_load_dwordx2 v[20:21], v[18:19], off
	global_load_dwordx2 v[22:23], v[16:17], off
	s_mov_b64 s[38:39], -1
	s_waitcnt vmcnt(0)
	v_cmp_eq_f64_e32 vcc, v[20:21], v[22:23]
	s_and_saveexec_b64 s[14:15], vcc
	s_cbranch_execz .LBB830_120
; %bb.114:
	s_add_u32 s38, s26, -1
	v_lshl_add_u64 v[16:17], v[16:17], 0, 8
	v_lshl_add_u64 v[18:19], v[18:19], 0, 8
	s_addc_u32 s39, s27, -1
	s_mov_b64 s[40:41], 0
	s_mov_b64 s[44:45], 0
                                        ; implicit-def: $sgpr42_sgpr43
	s_branch .LBB830_117
.LBB830_115:                            ;   in Loop: Header=BB830_117 Depth=1
	global_load_dwordx2 v[20:21], v[18:19], off
	global_load_dwordx2 v[22:23], v[16:17], off
	s_add_u32 s44, s44, 1
	s_addc_u32 s45, s45, 0
	s_andn2_b64 s[42:43], s[42:43], exec
	v_lshl_add_u64 v[16:17], v[16:17], 0, 8
	v_lshl_add_u64 v[18:19], v[18:19], 0, 8
	s_waitcnt vmcnt(0)
	v_cmp_neq_f64_e32 vcc, v[20:21], v[22:23]
	s_and_b64 s[46:47], vcc, exec
	s_or_b64 s[42:43], s[42:43], s[46:47]
.LBB830_116:                            ;   in Loop: Header=BB830_117 Depth=1
	s_and_b64 s[46:47], exec, s[42:43]
	s_or_b64 s[40:41], s[46:47], s[40:41]
	v_mov_b64_e32 v[20:21], s[44:45]
	s_andn2_b64 exec, exec, s[40:41]
	s_cbranch_execz .LBB830_119
.LBB830_117:                            ; =>This Inner Loop Header: Depth=1
	s_or_b64 s[42:43], s[42:43], exec
	s_cmp_eq_u64 s[38:39], s[44:45]
	s_cbranch_scc0 .LBB830_115
; %bb.118:                              ;   in Loop: Header=BB830_117 Depth=1
                                        ; implicit-def: $vgpr16_vgpr17
                                        ; implicit-def: $vgpr18_vgpr19
	s_mov_b64 s[44:45], s[26:27]
	s_branch .LBB830_116
.LBB830_119:
	s_or_b64 exec, exec, s[40:41]
	v_cmp_gt_i64_e32 vcc, s[26:27], v[20:21]
	s_orn2_b64 s[38:39], vcc, exec
.LBB830_120:
	s_or_b64 exec, exec, s[14:15]
.LBB830_121:
	s_and_b64 s[14:15], s[38:39], exec
.LBB830_122:
	s_or_b64 exec, exec, s[36:37]
	v_cmp_gt_u32_e32 vcc, s3, v28
	s_and_saveexec_b64 s[36:37], vcc
	s_cbranch_execz .LBB830_133
; %bb.123:
	s_and_b64 vcc, exec, s[4:5]
	s_mov_b64 s[38:39], 0
	s_cbranch_vccnz .LBB830_132
; %bb.124:
	s_waitcnt lgkmcnt(0)
	v_mul_lo_u32 v18, v7, s26
	v_mul_lo_u32 v19, v6, s27
	v_mad_u64_u32 v[16:17], s[18:19], v6, s26, 0
	v_add3_u32 v17, v17, v19, v18
	v_mul_lo_u32 v18, v9, s26
	v_mul_lo_u32 v19, v8, s27
	v_mad_u64_u32 v[20:21], s[18:19], v8, s26, 0
	v_add3_u32 v21, v21, v19, v18
	v_lshl_add_u64 v[18:19], v[16:17], 3, s[28:29]
	v_lshl_add_u64 v[16:17], v[20:21], 3, s[28:29]
	global_load_dwordx2 v[20:21], v[18:19], off
	global_load_dwordx2 v[22:23], v[16:17], off
	s_mov_b64 s[38:39], -1
	s_waitcnt vmcnt(0)
	v_cmp_eq_f64_e32 vcc, v[20:21], v[22:23]
	s_and_saveexec_b64 s[18:19], vcc
	s_cbranch_execz .LBB830_131
; %bb.125:
	s_add_u32 s38, s26, -1
	v_lshl_add_u64 v[16:17], v[16:17], 0, 8
	v_lshl_add_u64 v[18:19], v[18:19], 0, 8
	s_addc_u32 s39, s27, -1
	s_mov_b64 s[40:41], 0
	s_mov_b64 s[44:45], 0
                                        ; implicit-def: $sgpr42_sgpr43
	s_branch .LBB830_128
.LBB830_126:                            ;   in Loop: Header=BB830_128 Depth=1
	global_load_dwordx2 v[20:21], v[18:19], off
	global_load_dwordx2 v[22:23], v[16:17], off
	s_add_u32 s44, s44, 1
	s_addc_u32 s45, s45, 0
	s_andn2_b64 s[42:43], s[42:43], exec
	v_lshl_add_u64 v[16:17], v[16:17], 0, 8
	v_lshl_add_u64 v[18:19], v[18:19], 0, 8
	s_waitcnt vmcnt(0)
	v_cmp_neq_f64_e32 vcc, v[20:21], v[22:23]
	s_and_b64 s[46:47], vcc, exec
	s_or_b64 s[42:43], s[42:43], s[46:47]
.LBB830_127:                            ;   in Loop: Header=BB830_128 Depth=1
	s_and_b64 s[46:47], exec, s[42:43]
	s_or_b64 s[40:41], s[46:47], s[40:41]
	v_mov_b64_e32 v[20:21], s[44:45]
	s_andn2_b64 exec, exec, s[40:41]
	s_cbranch_execz .LBB830_130
.LBB830_128:                            ; =>This Inner Loop Header: Depth=1
	s_or_b64 s[42:43], s[42:43], exec
	s_cmp_eq_u64 s[38:39], s[44:45]
	s_cbranch_scc0 .LBB830_126
; %bb.129:                              ;   in Loop: Header=BB830_128 Depth=1
                                        ; implicit-def: $vgpr16_vgpr17
                                        ; implicit-def: $vgpr18_vgpr19
	s_mov_b64 s[44:45], s[26:27]
	s_branch .LBB830_127
.LBB830_130:
	s_or_b64 exec, exec, s[40:41]
	v_cmp_gt_i64_e32 vcc, s[26:27], v[20:21]
	s_orn2_b64 s[38:39], vcc, exec
.LBB830_131:
	s_or_b64 exec, exec, s[18:19]
.LBB830_132:
	s_and_b64 s[18:19], s[38:39], exec
.LBB830_133:
	s_or_b64 exec, exec, s[36:37]
	v_cmp_gt_u32_e32 vcc, s3, v24
	s_mov_b64 s[36:37], 0
	s_mov_b64 s[38:39], 0
	s_and_saveexec_b64 s[40:41], vcc
	s_cbranch_execz .LBB830_144
; %bb.134:
	s_and_b64 vcc, exec, s[4:5]
	s_mov_b64 s[42:43], 0
	s_cbranch_vccnz .LBB830_143
; %bb.135:
	s_waitcnt lgkmcnt(0)
	v_mul_lo_u32 v18, v13, s26
	v_mul_lo_u32 v19, v12, s27
	v_mad_u64_u32 v[16:17], s[38:39], v12, s26, 0
	v_add3_u32 v17, v17, v19, v18
	v_mul_lo_u32 v18, v7, s26
	v_mul_lo_u32 v19, v6, s27
	v_mad_u64_u32 v[20:21], s[38:39], v6, s26, 0
	v_add3_u32 v21, v21, v19, v18
	v_lshl_add_u64 v[18:19], v[16:17], 3, s[28:29]
	v_lshl_add_u64 v[16:17], v[20:21], 3, s[28:29]
	global_load_dwordx2 v[20:21], v[18:19], off
	global_load_dwordx2 v[22:23], v[16:17], off
	s_mov_b64 s[42:43], -1
	s_waitcnt vmcnt(0)
	v_cmp_eq_f64_e32 vcc, v[20:21], v[22:23]
	s_and_saveexec_b64 s[38:39], vcc
	s_cbranch_execz .LBB830_142
; %bb.136:
	s_add_u32 s42, s26, -1
	v_lshl_add_u64 v[16:17], v[16:17], 0, 8
	v_lshl_add_u64 v[18:19], v[18:19], 0, 8
	s_addc_u32 s43, s27, -1
	s_mov_b64 s[44:45], 0
	s_mov_b64 s[48:49], 0
                                        ; implicit-def: $sgpr46_sgpr47
	s_branch .LBB830_139
.LBB830_137:                            ;   in Loop: Header=BB830_139 Depth=1
	global_load_dwordx2 v[20:21], v[18:19], off
	global_load_dwordx2 v[22:23], v[16:17], off
	s_add_u32 s48, s48, 1
	s_addc_u32 s49, s49, 0
	s_andn2_b64 s[46:47], s[46:47], exec
	v_lshl_add_u64 v[16:17], v[16:17], 0, 8
	v_lshl_add_u64 v[18:19], v[18:19], 0, 8
	s_waitcnt vmcnt(0)
	v_cmp_neq_f64_e32 vcc, v[20:21], v[22:23]
	s_and_b64 s[50:51], vcc, exec
	s_or_b64 s[46:47], s[46:47], s[50:51]
.LBB830_138:                            ;   in Loop: Header=BB830_139 Depth=1
	s_and_b64 s[50:51], exec, s[46:47]
	s_or_b64 s[44:45], s[50:51], s[44:45]
	v_mov_b64_e32 v[20:21], s[48:49]
	s_andn2_b64 exec, exec, s[44:45]
	s_cbranch_execz .LBB830_141
.LBB830_139:                            ; =>This Inner Loop Header: Depth=1
	s_or_b64 s[46:47], s[46:47], exec
	s_cmp_eq_u64 s[42:43], s[48:49]
	s_cbranch_scc0 .LBB830_137
; %bb.140:                              ;   in Loop: Header=BB830_139 Depth=1
                                        ; implicit-def: $vgpr16_vgpr17
                                        ; implicit-def: $vgpr18_vgpr19
	s_mov_b64 s[48:49], s[26:27]
	s_branch .LBB830_138
.LBB830_141:
	s_or_b64 exec, exec, s[44:45]
	v_cmp_gt_i64_e32 vcc, s[26:27], v[20:21]
	s_orn2_b64 s[42:43], vcc, exec
.LBB830_142:
	s_or_b64 exec, exec, s[38:39]
.LBB830_143:
	s_and_b64 s[38:39], s[42:43], exec
.LBB830_144:
	s_or_b64 exec, exec, s[40:41]
	v_cmp_gt_u32_e32 vcc, s3, v25
	s_and_saveexec_b64 s[40:41], vcc
	s_cbranch_execz .LBB830_155
; %bb.145:
	s_and_b64 vcc, exec, s[4:5]
	s_mov_b64 s[42:43], 0
	s_cbranch_vccnz .LBB830_154
; %bb.146:
	s_waitcnt lgkmcnt(0)
	v_mul_lo_u32 v18, v11, s26
	v_mul_lo_u32 v19, v10, s27
	v_mad_u64_u32 v[16:17], s[36:37], v10, s26, 0
	v_add3_u32 v17, v17, v19, v18
	v_mul_lo_u32 v18, v13, s26
	v_mul_lo_u32 v19, v12, s27
	v_mad_u64_u32 v[20:21], s[36:37], v12, s26, 0
	v_add3_u32 v21, v21, v19, v18
	v_lshl_add_u64 v[18:19], v[16:17], 3, s[28:29]
	v_lshl_add_u64 v[16:17], v[20:21], 3, s[28:29]
	global_load_dwordx2 v[20:21], v[18:19], off
	global_load_dwordx2 v[22:23], v[16:17], off
	s_mov_b64 s[42:43], -1
	s_waitcnt vmcnt(0)
	v_cmp_eq_f64_e32 vcc, v[20:21], v[22:23]
	s_and_saveexec_b64 s[36:37], vcc
	s_cbranch_execz .LBB830_153
; %bb.147:
	s_add_u32 s42, s26, -1
	v_lshl_add_u64 v[16:17], v[16:17], 0, 8
	v_lshl_add_u64 v[18:19], v[18:19], 0, 8
	s_addc_u32 s43, s27, -1
	s_mov_b64 s[44:45], 0
	s_mov_b64 s[48:49], 0
                                        ; implicit-def: $sgpr46_sgpr47
	s_branch .LBB830_150
.LBB830_148:                            ;   in Loop: Header=BB830_150 Depth=1
	global_load_dwordx2 v[20:21], v[18:19], off
	global_load_dwordx2 v[22:23], v[16:17], off
	s_add_u32 s48, s48, 1
	s_addc_u32 s49, s49, 0
	s_andn2_b64 s[46:47], s[46:47], exec
	v_lshl_add_u64 v[16:17], v[16:17], 0, 8
	v_lshl_add_u64 v[18:19], v[18:19], 0, 8
	s_waitcnt vmcnt(0)
	v_cmp_neq_f64_e32 vcc, v[20:21], v[22:23]
	s_and_b64 s[50:51], vcc, exec
	s_or_b64 s[46:47], s[46:47], s[50:51]
.LBB830_149:                            ;   in Loop: Header=BB830_150 Depth=1
	s_and_b64 s[50:51], exec, s[46:47]
	s_or_b64 s[44:45], s[50:51], s[44:45]
	v_mov_b64_e32 v[20:21], s[48:49]
	s_andn2_b64 exec, exec, s[44:45]
	s_cbranch_execz .LBB830_152
.LBB830_150:                            ; =>This Inner Loop Header: Depth=1
	s_or_b64 s[46:47], s[46:47], exec
	s_cmp_eq_u64 s[42:43], s[48:49]
	s_cbranch_scc0 .LBB830_148
; %bb.151:                              ;   in Loop: Header=BB830_150 Depth=1
                                        ; implicit-def: $vgpr16_vgpr17
                                        ; implicit-def: $vgpr18_vgpr19
	s_mov_b64 s[48:49], s[26:27]
	s_branch .LBB830_149
.LBB830_152:
	s_or_b64 exec, exec, s[44:45]
	v_cmp_gt_i64_e32 vcc, s[26:27], v[20:21]
	s_orn2_b64 s[42:43], vcc, exec
.LBB830_153:
	s_or_b64 exec, exec, s[36:37]
.LBB830_154:
	s_and_b64 s[36:37], s[42:43], exec
.LBB830_155:
	s_or_b64 exec, exec, s[40:41]
	v_cmp_ne_u32_e32 vcc, 0, v0
	s_waitcnt lgkmcnt(0)
	v_mov_b64_e32 v[16:17], s[6:7]
	s_barrier
	s_and_saveexec_b64 s[6:7], vcc
	s_cbranch_execz .LBB830_157
; %bb.156:
	v_add_u32_e32 v16, -8, v31
	ds_read_b64 v[16:17], v16
.LBB830_157:
	s_or_b64 exec, exec, s[6:7]
	v_cndmask_b32_e64 v19, 0, 1, s[18:19]
	v_cndmask_b32_e64 v18, 0, 1, s[38:39]
	;; [unrolled: 1-line block ×3, first 2 shown]
	v_lshlrev_b16_e32 v19, 8, v19
	v_cmp_gt_u32_e32 vcc, s3, v1
	v_lshlrev_b16_e32 v22, 8, v20
	v_or_b32_sdwa v23, v18, v19 dst_sel:WORD_1 dst_unused:UNUSED_PAD src0_sel:DWORD src1_sel:DWORD
	s_mov_b64 s[18:19], 0
	s_and_saveexec_b64 s[6:7], vcc
	s_cbranch_execz .LBB830_168
; %bb.158:
	s_and_b64 vcc, exec, s[4:5]
	s_cbranch_vccnz .LBB830_167
; %bb.159:
	s_waitcnt lgkmcnt(0)
	v_mul_lo_u32 v18, v17, s26
	v_mul_lo_u32 v19, v16, s27
	v_mad_u64_u32 v[16:17], s[4:5], v16, s26, 0
	v_add3_u32 v17, v17, v19, v18
	v_mul_lo_u32 v18, v11, s26
	v_mul_lo_u32 v19, v10, s27
	v_mad_u64_u32 v[20:21], s[4:5], v10, s26, 0
	v_add3_u32 v21, v21, v19, v18
	v_lshl_add_u64 v[18:19], v[16:17], 3, s[28:29]
	v_lshl_add_u64 v[16:17], v[20:21], 3, s[28:29]
	global_load_dwordx2 v[20:21], v[18:19], off
	global_load_dwordx2 v[32:33], v[16:17], off
	s_mov_b64 s[18:19], -1
	s_waitcnt vmcnt(0)
	v_cmp_eq_f64_e32 vcc, v[20:21], v[32:33]
	s_and_saveexec_b64 s[4:5], vcc
	s_cbranch_execz .LBB830_166
; %bb.160:
	s_add_u32 s18, s26, -1
	v_lshl_add_u64 v[16:17], v[16:17], 0, 8
	v_lshl_add_u64 v[18:19], v[18:19], 0, 8
	s_addc_u32 s19, s27, -1
	s_mov_b64 s[36:37], 0
	s_mov_b64 s[40:41], 0
                                        ; implicit-def: $sgpr38_sgpr39
	s_branch .LBB830_163
.LBB830_161:                            ;   in Loop: Header=BB830_163 Depth=1
	global_load_dwordx2 v[20:21], v[18:19], off
	global_load_dwordx2 v[32:33], v[16:17], off
	s_add_u32 s40, s40, 1
	s_addc_u32 s41, s41, 0
	s_andn2_b64 s[38:39], s[38:39], exec
	v_lshl_add_u64 v[16:17], v[16:17], 0, 8
	v_lshl_add_u64 v[18:19], v[18:19], 0, 8
	s_waitcnt vmcnt(0)
	v_cmp_neq_f64_e32 vcc, v[20:21], v[32:33]
	s_and_b64 s[42:43], vcc, exec
	s_or_b64 s[38:39], s[38:39], s[42:43]
.LBB830_162:                            ;   in Loop: Header=BB830_163 Depth=1
	s_and_b64 s[42:43], exec, s[38:39]
	s_or_b64 s[36:37], s[42:43], s[36:37]
	v_mov_b64_e32 v[20:21], s[40:41]
	s_andn2_b64 exec, exec, s[36:37]
	s_cbranch_execz .LBB830_165
.LBB830_163:                            ; =>This Inner Loop Header: Depth=1
	s_or_b64 s[38:39], s[38:39], exec
	s_cmp_eq_u64 s[18:19], s[40:41]
	s_cbranch_scc0 .LBB830_161
; %bb.164:                              ;   in Loop: Header=BB830_163 Depth=1
                                        ; implicit-def: $vgpr16_vgpr17
                                        ; implicit-def: $vgpr18_vgpr19
	s_mov_b64 s[40:41], s[26:27]
	s_branch .LBB830_162
.LBB830_165:
	s_or_b64 exec, exec, s[36:37]
	v_cmp_gt_i64_e32 vcc, s[26:27], v[20:21]
	s_orn2_b64 s[18:19], vcc, exec
.LBB830_166:
	s_or_b64 exec, exec, s[4:5]
.LBB830_167:
	s_and_b64 s[18:19], s[18:19], exec
.LBB830_168:
	s_or_b64 exec, exec, s[6:7]
	v_cndmask_b32_e64 v32, 0, 1, s[14:15]
	v_cndmask_b32_e64 v33, 0, 1, s[12:13]
	;; [unrolled: 1-line block ×3, first 2 shown]
	v_or_b32_e32 v20, v22, v23
.LBB830_169:
	s_mov_b64 s[10:11], -1
	s_cbranch_execnz .LBB830_28
.LBB830_170:
	s_movk_i32 s4, 0xffd0
	v_mad_i32_i24 v30, v0, s4, v30
	s_mov_b64 s[12:13], 0
	s_waitcnt lgkmcnt(0)
	v_cmp_gt_i64_e64 s[6:7], s[26:27], 0
	s_and_b64 vcc, exec, s[34:35]
	ds_write_b64 v30, v[14:15]
	s_cbranch_vccz .LBB830_178
; %bb.171:
	v_mul_lo_u32 v18, v5, s26
	v_mul_lo_u32 v19, v4, s27
	v_mad_u64_u32 v[16:17], s[4:5], v4, s26, 0
	v_add3_u32 v17, v17, v19, v18
	v_cndmask_b32_e64 v18, 0, 1, s[6:7]
	v_cmp_ne_u32_e64 s[4:5], 1, v18
	s_andn2_b64 vcc, exec, s[6:7]
	v_lshl_add_u64 v[16:17], v[16:17], 3, s[28:29]
	s_cbranch_vccnz .LBB830_181
; %bb.172:
	v_mul_lo_u32 v20, v15, s26
	v_mul_lo_u32 v21, v14, s27
	v_mad_u64_u32 v[18:19], s[12:13], v14, s26, 0
	v_add3_u32 v19, v19, v21, v20
	v_lshl_add_u64 v[18:19], v[18:19], 3, s[28:29]
	global_load_dwordx2 v[20:21], v[16:17], off
	global_load_dwordx2 v[22:23], v[18:19], off
	s_mov_b64 s[12:13], -1
	s_waitcnt vmcnt(0)
	v_cmp_eq_f64_e32 vcc, v[20:21], v[22:23]
	s_and_saveexec_b64 s[14:15], vcc
	s_cbranch_execz .LBB830_180
; %bb.173:
	s_add_u32 s12, s26, -1
	v_lshl_add_u64 v[18:19], v[18:19], 0, 8
	v_lshl_add_u64 v[20:21], v[16:17], 0, 8
	s_addc_u32 s13, s27, -1
	s_mov_b64 s[18:19], 0
	s_mov_b64 s[38:39], 0
                                        ; implicit-def: $sgpr36_sgpr37
	s_branch .LBB830_176
.LBB830_174:                            ;   in Loop: Header=BB830_176 Depth=1
	global_load_dwordx2 v[22:23], v[20:21], off
	global_load_dwordx2 v[32:33], v[18:19], off
	s_add_u32 s38, s38, 1
	s_addc_u32 s39, s39, 0
	s_andn2_b64 s[36:37], s[36:37], exec
	v_lshl_add_u64 v[18:19], v[18:19], 0, 8
	v_lshl_add_u64 v[20:21], v[20:21], 0, 8
	s_waitcnt vmcnt(0)
	v_cmp_neq_f64_e32 vcc, v[22:23], v[32:33]
	s_and_b64 s[40:41], vcc, exec
	s_or_b64 s[36:37], s[36:37], s[40:41]
.LBB830_175:                            ;   in Loop: Header=BB830_176 Depth=1
	s_and_b64 s[40:41], exec, s[36:37]
	s_or_b64 s[18:19], s[40:41], s[18:19]
	v_mov_b64_e32 v[22:23], s[38:39]
	s_andn2_b64 exec, exec, s[18:19]
	s_cbranch_execz .LBB830_179
.LBB830_176:                            ; =>This Inner Loop Header: Depth=1
	s_or_b64 s[36:37], s[36:37], exec
	s_cmp_eq_u64 s[12:13], s[38:39]
	s_cbranch_scc0 .LBB830_174
; %bb.177:                              ;   in Loop: Header=BB830_176 Depth=1
                                        ; implicit-def: $vgpr18_vgpr19
                                        ; implicit-def: $vgpr20_vgpr21
	s_mov_b64 s[38:39], s[26:27]
	s_branch .LBB830_175
.LBB830_178:
                                        ; implicit-def: $sgpr18_sgpr19
                                        ; implicit-def: $vgpr34
                                        ; implicit-def: $vgpr33
                                        ; implicit-def: $vgpr32
                                        ; implicit-def: $vgpr20
                                        ; implicit-def: $vgpr16_vgpr17
	s_cbranch_execnz .LBB830_238
	s_branch .LBB830_318
.LBB830_179:
	s_or_b64 exec, exec, s[18:19]
	v_cmp_gt_i64_e32 vcc, s[26:27], v[22:23]
	s_orn2_b64 s[12:13], vcc, exec
.LBB830_180:
	s_or_b64 exec, exec, s[14:15]
.LBB830_181:
	v_mul_lo_u32 v20, v3, s26
	v_mul_lo_u32 v21, v2, s27
	v_mad_u64_u32 v[18:19], s[14:15], v2, s26, 0
	v_add3_u32 v19, v19, v21, v20
	s_mov_b64 s[14:15], 0
	s_and_b64 vcc, exec, s[4:5]
	v_lshl_add_u64 v[18:19], v[18:19], 3, s[28:29]
	s_mov_b64 s[18:19], 0
	s_cbranch_vccnz .LBB830_190
; %bb.182:
	global_load_dwordx2 v[20:21], v[18:19], off
	global_load_dwordx2 v[22:23], v[16:17], off
	s_mov_b64 s[18:19], -1
	s_waitcnt vmcnt(0)
	v_cmp_eq_f64_e32 vcc, v[20:21], v[22:23]
	s_and_saveexec_b64 s[36:37], vcc
	s_cbranch_execz .LBB830_189
; %bb.183:
	s_add_u32 s18, s26, -1
	v_lshl_add_u64 v[16:17], v[16:17], 0, 8
	v_lshl_add_u64 v[20:21], v[18:19], 0, 8
	s_addc_u32 s19, s27, -1
	s_mov_b64 s[38:39], 0
	s_mov_b64 s[42:43], 0
                                        ; implicit-def: $sgpr40_sgpr41
	s_branch .LBB830_186
.LBB830_184:                            ;   in Loop: Header=BB830_186 Depth=1
	global_load_dwordx2 v[22:23], v[20:21], off
	global_load_dwordx2 v[32:33], v[16:17], off
	s_add_u32 s42, s42, 1
	s_addc_u32 s43, s43, 0
	s_andn2_b64 s[40:41], s[40:41], exec
	v_lshl_add_u64 v[16:17], v[16:17], 0, 8
	v_lshl_add_u64 v[20:21], v[20:21], 0, 8
	s_waitcnt vmcnt(0)
	v_cmp_neq_f64_e32 vcc, v[22:23], v[32:33]
	s_and_b64 s[44:45], vcc, exec
	s_or_b64 s[40:41], s[40:41], s[44:45]
.LBB830_185:                            ;   in Loop: Header=BB830_186 Depth=1
	s_and_b64 s[44:45], exec, s[40:41]
	s_or_b64 s[38:39], s[44:45], s[38:39]
	v_mov_b64_e32 v[22:23], s[42:43]
	s_andn2_b64 exec, exec, s[38:39]
	s_cbranch_execz .LBB830_188
.LBB830_186:                            ; =>This Inner Loop Header: Depth=1
	s_or_b64 s[40:41], s[40:41], exec
	s_cmp_eq_u64 s[18:19], s[42:43]
	s_cbranch_scc0 .LBB830_184
; %bb.187:                              ;   in Loop: Header=BB830_186 Depth=1
                                        ; implicit-def: $vgpr16_vgpr17
                                        ; implicit-def: $vgpr20_vgpr21
	s_mov_b64 s[42:43], s[26:27]
	s_branch .LBB830_185
.LBB830_188:
	s_or_b64 exec, exec, s[38:39]
	v_cmp_gt_i64_e32 vcc, s[26:27], v[22:23]
	s_orn2_b64 s[18:19], vcc, exec
.LBB830_189:
	s_or_b64 exec, exec, s[36:37]
.LBB830_190:
	v_mul_lo_u32 v20, v9, s26
	v_mul_lo_u32 v21, v8, s27
	v_mad_u64_u32 v[16:17], s[36:37], v8, s26, 0
	v_add3_u32 v17, v17, v21, v20
	s_and_b64 vcc, exec, s[4:5]
	v_lshl_add_u64 v[16:17], v[16:17], 3, s[28:29]
	s_cbranch_vccnz .LBB830_199
; %bb.191:
	global_load_dwordx2 v[20:21], v[16:17], off
	global_load_dwordx2 v[22:23], v[18:19], off
	s_mov_b64 s[14:15], -1
	s_waitcnt vmcnt(0)
	v_cmp_eq_f64_e32 vcc, v[20:21], v[22:23]
	s_and_saveexec_b64 s[36:37], vcc
	s_cbranch_execz .LBB830_198
; %bb.192:
	s_add_u32 s14, s26, -1
	v_lshl_add_u64 v[18:19], v[18:19], 0, 8
	v_lshl_add_u64 v[20:21], v[16:17], 0, 8
	s_addc_u32 s15, s27, -1
	s_mov_b64 s[38:39], 0
	s_mov_b64 s[42:43], 0
                                        ; implicit-def: $sgpr40_sgpr41
	s_branch .LBB830_195
.LBB830_193:                            ;   in Loop: Header=BB830_195 Depth=1
	global_load_dwordx2 v[22:23], v[20:21], off
	global_load_dwordx2 v[32:33], v[18:19], off
	s_add_u32 s42, s42, 1
	s_addc_u32 s43, s43, 0
	s_andn2_b64 s[40:41], s[40:41], exec
	v_lshl_add_u64 v[18:19], v[18:19], 0, 8
	v_lshl_add_u64 v[20:21], v[20:21], 0, 8
	s_waitcnt vmcnt(0)
	v_cmp_neq_f64_e32 vcc, v[22:23], v[32:33]
	s_and_b64 s[44:45], vcc, exec
	s_or_b64 s[40:41], s[40:41], s[44:45]
.LBB830_194:                            ;   in Loop: Header=BB830_195 Depth=1
	s_and_b64 s[44:45], exec, s[40:41]
	s_or_b64 s[38:39], s[44:45], s[38:39]
	v_mov_b64_e32 v[22:23], s[42:43]
	s_andn2_b64 exec, exec, s[38:39]
	s_cbranch_execz .LBB830_197
.LBB830_195:                            ; =>This Inner Loop Header: Depth=1
	s_or_b64 s[40:41], s[40:41], exec
	s_cmp_eq_u64 s[14:15], s[42:43]
	s_cbranch_scc0 .LBB830_193
; %bb.196:                              ;   in Loop: Header=BB830_195 Depth=1
                                        ; implicit-def: $vgpr18_vgpr19
                                        ; implicit-def: $vgpr20_vgpr21
	s_mov_b64 s[42:43], s[26:27]
	s_branch .LBB830_194
.LBB830_197:
	s_or_b64 exec, exec, s[38:39]
	v_cmp_gt_i64_e32 vcc, s[26:27], v[22:23]
	s_orn2_b64 s[14:15], vcc, exec
.LBB830_198:
	s_or_b64 exec, exec, s[36:37]
.LBB830_199:
	v_mul_lo_u32 v20, v7, s26
	v_mul_lo_u32 v21, v6, s27
	v_mad_u64_u32 v[18:19], s[36:37], v6, s26, 0
	v_add3_u32 v19, v19, v21, v20
	s_mov_b64 s[36:37], 0
	s_and_b64 vcc, exec, s[4:5]
	v_lshl_add_u64 v[18:19], v[18:19], 3, s[28:29]
	s_mov_b64 s[38:39], 0
	s_cbranch_vccnz .LBB830_208
; %bb.200:
	global_load_dwordx2 v[20:21], v[18:19], off
	global_load_dwordx2 v[22:23], v[16:17], off
	s_mov_b64 s[38:39], -1
	s_waitcnt vmcnt(0)
	v_cmp_eq_f64_e32 vcc, v[20:21], v[22:23]
	s_and_saveexec_b64 s[40:41], vcc
	s_cbranch_execz .LBB830_207
; %bb.201:
	s_add_u32 s38, s26, -1
	v_lshl_add_u64 v[16:17], v[16:17], 0, 8
	v_lshl_add_u64 v[20:21], v[18:19], 0, 8
	s_addc_u32 s39, s27, -1
	s_mov_b64 s[42:43], 0
	s_mov_b64 s[46:47], 0
                                        ; implicit-def: $sgpr44_sgpr45
	s_branch .LBB830_204
.LBB830_202:                            ;   in Loop: Header=BB830_204 Depth=1
	global_load_dwordx2 v[22:23], v[20:21], off
	global_load_dwordx2 v[32:33], v[16:17], off
	s_add_u32 s46, s46, 1
	s_addc_u32 s47, s47, 0
	s_andn2_b64 s[44:45], s[44:45], exec
	v_lshl_add_u64 v[16:17], v[16:17], 0, 8
	v_lshl_add_u64 v[20:21], v[20:21], 0, 8
	s_waitcnt vmcnt(0)
	v_cmp_neq_f64_e32 vcc, v[22:23], v[32:33]
	s_and_b64 s[48:49], vcc, exec
	s_or_b64 s[44:45], s[44:45], s[48:49]
.LBB830_203:                            ;   in Loop: Header=BB830_204 Depth=1
	s_and_b64 s[48:49], exec, s[44:45]
	s_or_b64 s[42:43], s[48:49], s[42:43]
	v_mov_b64_e32 v[22:23], s[46:47]
	s_andn2_b64 exec, exec, s[42:43]
	s_cbranch_execz .LBB830_206
.LBB830_204:                            ; =>This Inner Loop Header: Depth=1
	s_or_b64 s[44:45], s[44:45], exec
	s_cmp_eq_u64 s[38:39], s[46:47]
	s_cbranch_scc0 .LBB830_202
; %bb.205:                              ;   in Loop: Header=BB830_204 Depth=1
                                        ; implicit-def: $vgpr16_vgpr17
                                        ; implicit-def: $vgpr20_vgpr21
	s_mov_b64 s[46:47], s[26:27]
	s_branch .LBB830_203
.LBB830_206:
	s_or_b64 exec, exec, s[42:43]
	v_cmp_gt_i64_e32 vcc, s[26:27], v[22:23]
	s_orn2_b64 s[38:39], vcc, exec
.LBB830_207:
	s_or_b64 exec, exec, s[40:41]
.LBB830_208:
	v_mul_lo_u32 v20, v13, s26
	v_mul_lo_u32 v21, v12, s27
	v_mad_u64_u32 v[16:17], s[40:41], v12, s26, 0
	v_add3_u32 v17, v17, v21, v20
	s_and_b64 vcc, exec, s[4:5]
	v_lshl_add_u64 v[16:17], v[16:17], 3, s[28:29]
	s_cbranch_vccnz .LBB830_217
; %bb.209:
	global_load_dwordx2 v[20:21], v[16:17], off
	global_load_dwordx2 v[22:23], v[18:19], off
	s_mov_b64 s[36:37], -1
	s_waitcnt vmcnt(0)
	v_cmp_eq_f64_e32 vcc, v[20:21], v[22:23]
	s_and_saveexec_b64 s[40:41], vcc
	s_cbranch_execz .LBB830_216
; %bb.210:
	s_add_u32 s36, s26, -1
	v_lshl_add_u64 v[18:19], v[18:19], 0, 8
	v_lshl_add_u64 v[20:21], v[16:17], 0, 8
	s_addc_u32 s37, s27, -1
	s_mov_b64 s[42:43], 0
	s_mov_b64 s[46:47], 0
                                        ; implicit-def: $sgpr44_sgpr45
	s_branch .LBB830_213
.LBB830_211:                            ;   in Loop: Header=BB830_213 Depth=1
	global_load_dwordx2 v[22:23], v[20:21], off
	global_load_dwordx2 v[32:33], v[18:19], off
	s_add_u32 s46, s46, 1
	s_addc_u32 s47, s47, 0
	s_andn2_b64 s[44:45], s[44:45], exec
	v_lshl_add_u64 v[18:19], v[18:19], 0, 8
	v_lshl_add_u64 v[20:21], v[20:21], 0, 8
	s_waitcnt vmcnt(0)
	v_cmp_neq_f64_e32 vcc, v[22:23], v[32:33]
	s_and_b64 s[48:49], vcc, exec
	s_or_b64 s[44:45], s[44:45], s[48:49]
.LBB830_212:                            ;   in Loop: Header=BB830_213 Depth=1
	s_and_b64 s[48:49], exec, s[44:45]
	s_or_b64 s[42:43], s[48:49], s[42:43]
	v_mov_b64_e32 v[22:23], s[46:47]
	s_andn2_b64 exec, exec, s[42:43]
	s_cbranch_execz .LBB830_215
.LBB830_213:                            ; =>This Inner Loop Header: Depth=1
	s_or_b64 s[44:45], s[44:45], exec
	s_cmp_eq_u64 s[36:37], s[46:47]
	s_cbranch_scc0 .LBB830_211
; %bb.214:                              ;   in Loop: Header=BB830_213 Depth=1
                                        ; implicit-def: $vgpr18_vgpr19
                                        ; implicit-def: $vgpr20_vgpr21
	s_mov_b64 s[46:47], s[26:27]
	s_branch .LBB830_212
.LBB830_215:
	s_or_b64 exec, exec, s[42:43]
	v_cmp_gt_i64_e32 vcc, s[26:27], v[22:23]
	s_orn2_b64 s[36:37], vcc, exec
.LBB830_216:
	s_or_b64 exec, exec, s[40:41]
.LBB830_217:
	v_mul_lo_u32 v20, v11, s26
	v_mul_lo_u32 v21, v10, s27
	v_mad_u64_u32 v[18:19], s[40:41], v10, s26, 0
	v_add3_u32 v19, v19, v21, v20
	s_and_b64 vcc, exec, s[4:5]
	s_mov_b64 s[42:43], 0
	s_cbranch_vccnz .LBB830_226
; %bb.218:
	v_lshl_add_u64 v[20:21], v[18:19], 3, s[28:29]
	global_load_dwordx2 v[22:23], v[20:21], off
	global_load_dwordx2 v[32:33], v[16:17], off
	s_mov_b64 s[42:43], -1
	s_waitcnt vmcnt(0)
	v_cmp_eq_f64_e32 vcc, v[22:23], v[32:33]
	s_and_saveexec_b64 s[40:41], vcc
	s_cbranch_execz .LBB830_225
; %bb.219:
	s_add_u32 s42, s26, -1
	v_lshl_add_u64 v[16:17], v[16:17], 0, 8
	v_lshl_add_u64 v[20:21], v[20:21], 0, 8
	s_addc_u32 s43, s27, -1
	s_mov_b64 s[44:45], 0
	s_mov_b64 s[48:49], 0
                                        ; implicit-def: $sgpr46_sgpr47
	s_branch .LBB830_222
.LBB830_220:                            ;   in Loop: Header=BB830_222 Depth=1
	global_load_dwordx2 v[22:23], v[20:21], off
	global_load_dwordx2 v[32:33], v[16:17], off
	s_add_u32 s48, s48, 1
	s_addc_u32 s49, s49, 0
	s_andn2_b64 s[46:47], s[46:47], exec
	v_lshl_add_u64 v[16:17], v[16:17], 0, 8
	v_lshl_add_u64 v[20:21], v[20:21], 0, 8
	s_waitcnt vmcnt(0)
	v_cmp_neq_f64_e32 vcc, v[22:23], v[32:33]
	s_and_b64 s[50:51], vcc, exec
	s_or_b64 s[46:47], s[46:47], s[50:51]
.LBB830_221:                            ;   in Loop: Header=BB830_222 Depth=1
	s_and_b64 s[50:51], exec, s[46:47]
	s_or_b64 s[44:45], s[50:51], s[44:45]
	v_mov_b64_e32 v[22:23], s[48:49]
	s_andn2_b64 exec, exec, s[44:45]
	s_cbranch_execz .LBB830_224
.LBB830_222:                            ; =>This Inner Loop Header: Depth=1
	s_or_b64 s[46:47], s[46:47], exec
	s_cmp_eq_u64 s[42:43], s[48:49]
	s_cbranch_scc0 .LBB830_220
; %bb.223:                              ;   in Loop: Header=BB830_222 Depth=1
                                        ; implicit-def: $vgpr16_vgpr17
                                        ; implicit-def: $vgpr20_vgpr21
	s_mov_b64 s[48:49], s[26:27]
	s_branch .LBB830_221
.LBB830_224:
	s_or_b64 exec, exec, s[44:45]
	v_cmp_gt_i64_e32 vcc, s[26:27], v[22:23]
	s_orn2_b64 s[42:43], vcc, exec
.LBB830_225:
	s_or_b64 exec, exec, s[40:41]
.LBB830_226:
	v_cndmask_b32_e64 v17, 0, 1, s[38:39]
	v_cndmask_b32_e64 v16, 0, 1, s[36:37]
	v_cndmask_b32_e64 v33, 0, 1, s[18:19]
	v_lshlrev_b16_e32 v17, 8, v17
	v_cndmask_b32_e64 v32, 0, 1, s[14:15]
	v_cndmask_b32_e64 v20, 0, 1, s[42:43]
	v_or_b32_sdwa v16, v16, v17 dst_sel:WORD_1 dst_unused:UNUSED_PAD src0_sel:DWORD src1_sel:DWORD
	v_lshlrev_b16_e32 v17, 8, v33
	v_lshlrev_b16_e32 v20, 8, v20
	v_or_b32_e32 v17, v32, v17
	v_or_b32_e32 v20, 1, v20
	v_and_b32_e32 v17, 0xffff, v17
	v_cndmask_b32_e64 v34, 0, 1, s[12:13]
	v_or_b32_sdwa v16, v20, v16 dst_sel:DWORD dst_unused:UNUSED_PAD src0_sel:WORD_0 src1_sel:DWORD
	v_lshl_or_b32 v17, v34, 16, v17
	v_cmp_ne_u32_e32 vcc, 0, v0
	s_waitcnt lgkmcnt(0)
	s_barrier
	s_waitcnt lgkmcnt(0)
                                        ; implicit-def: $sgpr18_sgpr19
                                        ; implicit-def: $vgpr20
	s_and_saveexec_b64 s[12:13], vcc
	s_xor_b64 s[12:13], exec, s[12:13]
	s_cbranch_execz .LBB830_237
; %bb.227:
	s_mov_b32 s33, 0x3020104
	s_and_b64 vcc, exec, s[4:5]
	s_mov_b64 s[14:15], 0
	s_cbranch_vccnz .LBB830_236
; %bb.228:
	v_add_u32_e32 v17, -8, v30
	ds_read_b64 v[20:21], v17
	v_lshl_add_u64 v[18:19], v[18:19], 3, s[28:29]
	s_mov_b64 s[14:15], -1
	s_waitcnt lgkmcnt(0)
	v_mul_lo_u32 v17, v21, s26
	v_mul_lo_u32 v22, v20, s27
	v_mad_u64_u32 v[20:21], s[4:5], v20, s26, 0
	v_add3_u32 v21, v21, v22, v17
	v_lshl_add_u64 v[20:21], v[20:21], 3, s[28:29]
	global_load_dwordx2 v[22:23], v[20:21], off
	global_load_dwordx2 v[36:37], v[18:19], off
	s_waitcnt vmcnt(0)
	v_cmp_eq_f64_e32 vcc, v[22:23], v[36:37]
	s_and_saveexec_b64 s[4:5], vcc
	s_cbranch_execz .LBB830_235
; %bb.229:
	s_add_u32 s14, s26, -1
	v_lshl_add_u64 v[18:19], v[18:19], 0, 8
	v_lshl_add_u64 v[20:21], v[20:21], 0, 8
	s_addc_u32 s15, s27, -1
	s_mov_b64 s[18:19], 0
	s_mov_b64 s[38:39], 0
                                        ; implicit-def: $sgpr36_sgpr37
	s_branch .LBB830_232
.LBB830_230:                            ;   in Loop: Header=BB830_232 Depth=1
	global_load_dwordx2 v[22:23], v[20:21], off
	global_load_dwordx2 v[36:37], v[18:19], off
	s_add_u32 s38, s38, 1
	s_addc_u32 s39, s39, 0
	s_andn2_b64 s[36:37], s[36:37], exec
	v_lshl_add_u64 v[18:19], v[18:19], 0, 8
	v_lshl_add_u64 v[20:21], v[20:21], 0, 8
	s_waitcnt vmcnt(0)
	v_cmp_neq_f64_e32 vcc, v[22:23], v[36:37]
	s_and_b64 s[40:41], vcc, exec
	s_or_b64 s[36:37], s[36:37], s[40:41]
.LBB830_231:                            ;   in Loop: Header=BB830_232 Depth=1
	s_and_b64 s[40:41], exec, s[36:37]
	s_or_b64 s[18:19], s[40:41], s[18:19]
	v_mov_b64_e32 v[22:23], s[38:39]
	s_andn2_b64 exec, exec, s[18:19]
	s_cbranch_execz .LBB830_234
.LBB830_232:                            ; =>This Inner Loop Header: Depth=1
	s_or_b64 s[36:37], s[36:37], exec
	s_cmp_eq_u64 s[14:15], s[38:39]
	s_cbranch_scc0 .LBB830_230
; %bb.233:                              ;   in Loop: Header=BB830_232 Depth=1
                                        ; implicit-def: $vgpr18_vgpr19
                                        ; implicit-def: $vgpr20_vgpr21
	s_mov_b64 s[38:39], s[26:27]
	s_branch .LBB830_231
.LBB830_234:
	s_or_b64 exec, exec, s[18:19]
	v_cmp_gt_i64_e32 vcc, s[26:27], v[22:23]
	s_orn2_b64 s[14:15], vcc, exec
.LBB830_235:
	s_or_b64 exec, exec, s[4:5]
.LBB830_236:
	v_perm_b32 v20, v16, v16, s33
	s_and_b64 s[18:19], s[14:15], exec
	s_or_b64 s[10:11], s[10:11], exec
                                        ; implicit-def: $vgpr16_vgpr17
.LBB830_237:
	s_or_b64 exec, exec, s[12:13]
	s_branch .LBB830_318
.LBB830_238:
	v_cmp_gt_u32_e32 vcc, s3, v27
	s_mov_b64 s[12:13], 0
	s_mov_b64 s[4:5], 0
	s_and_saveexec_b64 s[14:15], vcc
	s_cbranch_execz .LBB830_249
; %bb.239:
	s_andn2_b64 vcc, exec, s[6:7]
	s_mov_b64 s[18:19], 0
	s_cbranch_vccnz .LBB830_248
; %bb.240:
	v_mul_lo_u32 v18, v5, s26
	v_mul_lo_u32 v19, v4, s27
	v_mad_u64_u32 v[16:17], s[4:5], v4, s26, 0
	v_add3_u32 v17, v17, v19, v18
	v_mul_lo_u32 v18, v15, s26
	v_mul_lo_u32 v19, v14, s27
	v_mad_u64_u32 v[20:21], s[4:5], v14, s26, 0
	v_add3_u32 v21, v21, v19, v18
	v_lshl_add_u64 v[18:19], v[16:17], 3, s[28:29]
	v_lshl_add_u64 v[16:17], v[20:21], 3, s[28:29]
	global_load_dwordx2 v[20:21], v[18:19], off
	global_load_dwordx2 v[22:23], v[16:17], off
	s_mov_b64 s[18:19], -1
	s_waitcnt vmcnt(0)
	v_cmp_eq_f64_e32 vcc, v[20:21], v[22:23]
	s_and_saveexec_b64 s[4:5], vcc
	s_cbranch_execz .LBB830_247
; %bb.241:
	s_add_u32 s18, s26, -1
	v_lshl_add_u64 v[16:17], v[16:17], 0, 8
	v_lshl_add_u64 v[18:19], v[18:19], 0, 8
	s_addc_u32 s19, s27, -1
	s_mov_b64 s[36:37], 0
	s_mov_b64 s[40:41], 0
                                        ; implicit-def: $sgpr38_sgpr39
	s_branch .LBB830_244
.LBB830_242:                            ;   in Loop: Header=BB830_244 Depth=1
	global_load_dwordx2 v[20:21], v[18:19], off
	global_load_dwordx2 v[22:23], v[16:17], off
	s_add_u32 s40, s40, 1
	s_addc_u32 s41, s41, 0
	s_andn2_b64 s[38:39], s[38:39], exec
	v_lshl_add_u64 v[16:17], v[16:17], 0, 8
	v_lshl_add_u64 v[18:19], v[18:19], 0, 8
	s_waitcnt vmcnt(0)
	v_cmp_neq_f64_e32 vcc, v[20:21], v[22:23]
	s_and_b64 s[42:43], vcc, exec
	s_or_b64 s[38:39], s[38:39], s[42:43]
.LBB830_243:                            ;   in Loop: Header=BB830_244 Depth=1
	s_and_b64 s[42:43], exec, s[38:39]
	s_or_b64 s[36:37], s[42:43], s[36:37]
	v_mov_b64_e32 v[20:21], s[40:41]
	s_andn2_b64 exec, exec, s[36:37]
	s_cbranch_execz .LBB830_246
.LBB830_244:                            ; =>This Inner Loop Header: Depth=1
	s_or_b64 s[38:39], s[38:39], exec
	s_cmp_eq_u64 s[18:19], s[40:41]
	s_cbranch_scc0 .LBB830_242
; %bb.245:                              ;   in Loop: Header=BB830_244 Depth=1
                                        ; implicit-def: $vgpr16_vgpr17
                                        ; implicit-def: $vgpr18_vgpr19
	s_mov_b64 s[40:41], s[26:27]
	s_branch .LBB830_243
.LBB830_246:
	s_or_b64 exec, exec, s[36:37]
	v_cmp_gt_i64_e32 vcc, s[26:27], v[20:21]
	s_orn2_b64 s[18:19], vcc, exec
.LBB830_247:
	s_or_b64 exec, exec, s[4:5]
.LBB830_248:
	s_and_b64 s[4:5], s[18:19], exec
.LBB830_249:
	s_or_b64 exec, exec, s[14:15]
	v_cmp_gt_u32_e32 vcc, s3, v29
	s_and_saveexec_b64 s[14:15], vcc
	s_cbranch_execz .LBB830_260
; %bb.250:
	s_andn2_b64 vcc, exec, s[6:7]
	s_mov_b64 s[18:19], 0
	s_cbranch_vccnz .LBB830_259
; %bb.251:
	v_mul_lo_u32 v18, v3, s26
	v_mul_lo_u32 v19, v2, s27
	v_mad_u64_u32 v[16:17], s[12:13], v2, s26, 0
	v_add3_u32 v17, v17, v19, v18
	v_mul_lo_u32 v18, v5, s26
	v_mul_lo_u32 v19, v4, s27
	v_mad_u64_u32 v[20:21], s[12:13], v4, s26, 0
	v_add3_u32 v21, v21, v19, v18
	v_lshl_add_u64 v[18:19], v[16:17], 3, s[28:29]
	v_lshl_add_u64 v[16:17], v[20:21], 3, s[28:29]
	global_load_dwordx2 v[20:21], v[18:19], off
	global_load_dwordx2 v[22:23], v[16:17], off
	s_mov_b64 s[18:19], -1
	s_waitcnt vmcnt(0)
	v_cmp_eq_f64_e32 vcc, v[20:21], v[22:23]
	s_and_saveexec_b64 s[12:13], vcc
	s_cbranch_execz .LBB830_258
; %bb.252:
	s_add_u32 s18, s26, -1
	v_lshl_add_u64 v[16:17], v[16:17], 0, 8
	v_lshl_add_u64 v[18:19], v[18:19], 0, 8
	s_addc_u32 s19, s27, -1
	s_mov_b64 s[36:37], 0
	s_mov_b64 s[40:41], 0
                                        ; implicit-def: $sgpr38_sgpr39
	s_branch .LBB830_255
.LBB830_253:                            ;   in Loop: Header=BB830_255 Depth=1
	global_load_dwordx2 v[20:21], v[18:19], off
	global_load_dwordx2 v[22:23], v[16:17], off
	s_add_u32 s40, s40, 1
	s_addc_u32 s41, s41, 0
	s_andn2_b64 s[38:39], s[38:39], exec
	v_lshl_add_u64 v[16:17], v[16:17], 0, 8
	v_lshl_add_u64 v[18:19], v[18:19], 0, 8
	s_waitcnt vmcnt(0)
	v_cmp_neq_f64_e32 vcc, v[20:21], v[22:23]
	s_and_b64 s[42:43], vcc, exec
	s_or_b64 s[38:39], s[38:39], s[42:43]
.LBB830_254:                            ;   in Loop: Header=BB830_255 Depth=1
	s_and_b64 s[42:43], exec, s[38:39]
	s_or_b64 s[36:37], s[42:43], s[36:37]
	v_mov_b64_e32 v[20:21], s[40:41]
	s_andn2_b64 exec, exec, s[36:37]
	s_cbranch_execz .LBB830_257
.LBB830_255:                            ; =>This Inner Loop Header: Depth=1
	s_or_b64 s[38:39], s[38:39], exec
	s_cmp_eq_u64 s[18:19], s[40:41]
	s_cbranch_scc0 .LBB830_253
; %bb.256:                              ;   in Loop: Header=BB830_255 Depth=1
                                        ; implicit-def: $vgpr16_vgpr17
                                        ; implicit-def: $vgpr18_vgpr19
	s_mov_b64 s[40:41], s[26:27]
	s_branch .LBB830_254
.LBB830_257:
	s_or_b64 exec, exec, s[36:37]
	v_cmp_gt_i64_e32 vcc, s[26:27], v[20:21]
	s_orn2_b64 s[18:19], vcc, exec
.LBB830_258:
	s_or_b64 exec, exec, s[12:13]
.LBB830_259:
	s_and_b64 s[12:13], s[18:19], exec
.LBB830_260:
	s_or_b64 exec, exec, s[14:15]
	v_cmp_gt_u32_e32 vcc, s3, v26
	s_mov_b64 s[18:19], 0
	s_mov_b64 s[14:15], 0
	s_and_saveexec_b64 s[36:37], vcc
	s_cbranch_execz .LBB830_271
; %bb.261:
	s_andn2_b64 vcc, exec, s[6:7]
	s_mov_b64 s[38:39], 0
	s_cbranch_vccnz .LBB830_270
; %bb.262:
	v_mul_lo_u32 v18, v9, s26
	v_mul_lo_u32 v19, v8, s27
	v_mad_u64_u32 v[16:17], s[14:15], v8, s26, 0
	v_add3_u32 v17, v17, v19, v18
	v_mul_lo_u32 v18, v3, s26
	v_mul_lo_u32 v19, v2, s27
	v_mad_u64_u32 v[20:21], s[14:15], v2, s26, 0
	v_add3_u32 v21, v21, v19, v18
	v_lshl_add_u64 v[18:19], v[16:17], 3, s[28:29]
	v_lshl_add_u64 v[16:17], v[20:21], 3, s[28:29]
	global_load_dwordx2 v[20:21], v[18:19], off
	global_load_dwordx2 v[22:23], v[16:17], off
	s_mov_b64 s[38:39], -1
	s_waitcnt vmcnt(0)
	v_cmp_eq_f64_e32 vcc, v[20:21], v[22:23]
	s_and_saveexec_b64 s[14:15], vcc
	s_cbranch_execz .LBB830_269
; %bb.263:
	s_add_u32 s38, s26, -1
	v_lshl_add_u64 v[16:17], v[16:17], 0, 8
	v_lshl_add_u64 v[18:19], v[18:19], 0, 8
	s_addc_u32 s39, s27, -1
	s_mov_b64 s[40:41], 0
	s_mov_b64 s[44:45], 0
                                        ; implicit-def: $sgpr42_sgpr43
	s_branch .LBB830_266
.LBB830_264:                            ;   in Loop: Header=BB830_266 Depth=1
	global_load_dwordx2 v[20:21], v[18:19], off
	global_load_dwordx2 v[22:23], v[16:17], off
	s_add_u32 s44, s44, 1
	s_addc_u32 s45, s45, 0
	s_andn2_b64 s[42:43], s[42:43], exec
	v_lshl_add_u64 v[16:17], v[16:17], 0, 8
	v_lshl_add_u64 v[18:19], v[18:19], 0, 8
	s_waitcnt vmcnt(0)
	v_cmp_neq_f64_e32 vcc, v[20:21], v[22:23]
	s_and_b64 s[46:47], vcc, exec
	s_or_b64 s[42:43], s[42:43], s[46:47]
.LBB830_265:                            ;   in Loop: Header=BB830_266 Depth=1
	s_and_b64 s[46:47], exec, s[42:43]
	s_or_b64 s[40:41], s[46:47], s[40:41]
	v_mov_b64_e32 v[20:21], s[44:45]
	s_andn2_b64 exec, exec, s[40:41]
	s_cbranch_execz .LBB830_268
.LBB830_266:                            ; =>This Inner Loop Header: Depth=1
	s_or_b64 s[42:43], s[42:43], exec
	s_cmp_eq_u64 s[38:39], s[44:45]
	s_cbranch_scc0 .LBB830_264
; %bb.267:                              ;   in Loop: Header=BB830_266 Depth=1
                                        ; implicit-def: $vgpr16_vgpr17
                                        ; implicit-def: $vgpr18_vgpr19
	s_mov_b64 s[44:45], s[26:27]
	s_branch .LBB830_265
.LBB830_268:
	s_or_b64 exec, exec, s[40:41]
	v_cmp_gt_i64_e32 vcc, s[26:27], v[20:21]
	s_orn2_b64 s[38:39], vcc, exec
.LBB830_269:
	s_or_b64 exec, exec, s[14:15]
.LBB830_270:
	s_and_b64 s[14:15], s[38:39], exec
.LBB830_271:
	s_or_b64 exec, exec, s[36:37]
	v_cmp_gt_u32_e32 vcc, s3, v28
	s_and_saveexec_b64 s[36:37], vcc
	s_cbranch_execz .LBB830_282
; %bb.272:
	s_andn2_b64 vcc, exec, s[6:7]
	s_mov_b64 s[38:39], 0
	s_cbranch_vccnz .LBB830_281
; %bb.273:
	v_mul_lo_u32 v18, v7, s26
	v_mul_lo_u32 v19, v6, s27
	v_mad_u64_u32 v[16:17], s[18:19], v6, s26, 0
	v_add3_u32 v17, v17, v19, v18
	v_mul_lo_u32 v18, v9, s26
	v_mul_lo_u32 v19, v8, s27
	v_mad_u64_u32 v[20:21], s[18:19], v8, s26, 0
	v_add3_u32 v21, v21, v19, v18
	v_lshl_add_u64 v[18:19], v[16:17], 3, s[28:29]
	v_lshl_add_u64 v[16:17], v[20:21], 3, s[28:29]
	global_load_dwordx2 v[20:21], v[18:19], off
	global_load_dwordx2 v[22:23], v[16:17], off
	s_mov_b64 s[38:39], -1
	s_waitcnt vmcnt(0)
	v_cmp_eq_f64_e32 vcc, v[20:21], v[22:23]
	s_and_saveexec_b64 s[18:19], vcc
	s_cbranch_execz .LBB830_280
; %bb.274:
	s_add_u32 s38, s26, -1
	v_lshl_add_u64 v[16:17], v[16:17], 0, 8
	v_lshl_add_u64 v[18:19], v[18:19], 0, 8
	s_addc_u32 s39, s27, -1
	s_mov_b64 s[40:41], 0
	s_mov_b64 s[44:45], 0
                                        ; implicit-def: $sgpr42_sgpr43
	s_branch .LBB830_277
.LBB830_275:                            ;   in Loop: Header=BB830_277 Depth=1
	global_load_dwordx2 v[20:21], v[18:19], off
	global_load_dwordx2 v[22:23], v[16:17], off
	s_add_u32 s44, s44, 1
	s_addc_u32 s45, s45, 0
	s_andn2_b64 s[42:43], s[42:43], exec
	v_lshl_add_u64 v[16:17], v[16:17], 0, 8
	v_lshl_add_u64 v[18:19], v[18:19], 0, 8
	s_waitcnt vmcnt(0)
	v_cmp_neq_f64_e32 vcc, v[20:21], v[22:23]
	s_and_b64 s[46:47], vcc, exec
	s_or_b64 s[42:43], s[42:43], s[46:47]
.LBB830_276:                            ;   in Loop: Header=BB830_277 Depth=1
	s_and_b64 s[46:47], exec, s[42:43]
	s_or_b64 s[40:41], s[46:47], s[40:41]
	v_mov_b64_e32 v[20:21], s[44:45]
	s_andn2_b64 exec, exec, s[40:41]
	s_cbranch_execz .LBB830_279
.LBB830_277:                            ; =>This Inner Loop Header: Depth=1
	s_or_b64 s[42:43], s[42:43], exec
	s_cmp_eq_u64 s[38:39], s[44:45]
	s_cbranch_scc0 .LBB830_275
; %bb.278:                              ;   in Loop: Header=BB830_277 Depth=1
                                        ; implicit-def: $vgpr16_vgpr17
                                        ; implicit-def: $vgpr18_vgpr19
	s_mov_b64 s[44:45], s[26:27]
	s_branch .LBB830_276
.LBB830_279:
	s_or_b64 exec, exec, s[40:41]
	v_cmp_gt_i64_e32 vcc, s[26:27], v[20:21]
	s_orn2_b64 s[38:39], vcc, exec
.LBB830_280:
	s_or_b64 exec, exec, s[18:19]
.LBB830_281:
	s_and_b64 s[18:19], s[38:39], exec
.LBB830_282:
	s_or_b64 exec, exec, s[36:37]
	v_cmp_gt_u32_e32 vcc, s3, v24
	s_mov_b64 s[36:37], 0
	s_mov_b64 s[38:39], 0
	s_and_saveexec_b64 s[40:41], vcc
	s_cbranch_execz .LBB830_293
; %bb.283:
	s_andn2_b64 vcc, exec, s[6:7]
	s_mov_b64 s[42:43], 0
	s_cbranch_vccnz .LBB830_292
; %bb.284:
	v_mul_lo_u32 v18, v13, s26
	v_mul_lo_u32 v19, v12, s27
	v_mad_u64_u32 v[16:17], s[38:39], v12, s26, 0
	v_add3_u32 v17, v17, v19, v18
	v_mul_lo_u32 v18, v7, s26
	v_mul_lo_u32 v19, v6, s27
	v_mad_u64_u32 v[20:21], s[38:39], v6, s26, 0
	v_add3_u32 v21, v21, v19, v18
	v_lshl_add_u64 v[18:19], v[16:17], 3, s[28:29]
	v_lshl_add_u64 v[16:17], v[20:21], 3, s[28:29]
	global_load_dwordx2 v[20:21], v[18:19], off
	global_load_dwordx2 v[22:23], v[16:17], off
	s_mov_b64 s[42:43], -1
	s_waitcnt vmcnt(0)
	v_cmp_eq_f64_e32 vcc, v[20:21], v[22:23]
	s_and_saveexec_b64 s[38:39], vcc
	s_cbranch_execz .LBB830_291
; %bb.285:
	s_add_u32 s42, s26, -1
	v_lshl_add_u64 v[16:17], v[16:17], 0, 8
	v_lshl_add_u64 v[18:19], v[18:19], 0, 8
	s_addc_u32 s43, s27, -1
	s_mov_b64 s[44:45], 0
	s_mov_b64 s[48:49], 0
                                        ; implicit-def: $sgpr46_sgpr47
	s_branch .LBB830_288
.LBB830_286:                            ;   in Loop: Header=BB830_288 Depth=1
	global_load_dwordx2 v[20:21], v[18:19], off
	global_load_dwordx2 v[22:23], v[16:17], off
	s_add_u32 s48, s48, 1
	s_addc_u32 s49, s49, 0
	s_andn2_b64 s[46:47], s[46:47], exec
	v_lshl_add_u64 v[16:17], v[16:17], 0, 8
	v_lshl_add_u64 v[18:19], v[18:19], 0, 8
	s_waitcnt vmcnt(0)
	v_cmp_neq_f64_e32 vcc, v[20:21], v[22:23]
	s_and_b64 s[50:51], vcc, exec
	s_or_b64 s[46:47], s[46:47], s[50:51]
.LBB830_287:                            ;   in Loop: Header=BB830_288 Depth=1
	s_and_b64 s[50:51], exec, s[46:47]
	s_or_b64 s[44:45], s[50:51], s[44:45]
	v_mov_b64_e32 v[20:21], s[48:49]
	s_andn2_b64 exec, exec, s[44:45]
	s_cbranch_execz .LBB830_290
.LBB830_288:                            ; =>This Inner Loop Header: Depth=1
	s_or_b64 s[46:47], s[46:47], exec
	s_cmp_eq_u64 s[42:43], s[48:49]
	s_cbranch_scc0 .LBB830_286
; %bb.289:                              ;   in Loop: Header=BB830_288 Depth=1
                                        ; implicit-def: $vgpr16_vgpr17
                                        ; implicit-def: $vgpr18_vgpr19
	s_mov_b64 s[48:49], s[26:27]
	s_branch .LBB830_287
.LBB830_290:
	s_or_b64 exec, exec, s[44:45]
	v_cmp_gt_i64_e32 vcc, s[26:27], v[20:21]
	s_orn2_b64 s[42:43], vcc, exec
.LBB830_291:
	s_or_b64 exec, exec, s[38:39]
.LBB830_292:
	s_and_b64 s[38:39], s[42:43], exec
.LBB830_293:
	s_or_b64 exec, exec, s[40:41]
	v_cmp_gt_u32_e32 vcc, s3, v25
	s_and_saveexec_b64 s[40:41], vcc
	s_cbranch_execz .LBB830_304
; %bb.294:
	s_andn2_b64 vcc, exec, s[6:7]
	s_mov_b64 s[42:43], 0
	s_cbranch_vccnz .LBB830_303
; %bb.295:
	v_mul_lo_u32 v18, v11, s26
	v_mul_lo_u32 v19, v10, s27
	v_mad_u64_u32 v[16:17], s[36:37], v10, s26, 0
	v_add3_u32 v17, v17, v19, v18
	v_mul_lo_u32 v18, v13, s26
	v_mul_lo_u32 v19, v12, s27
	v_mad_u64_u32 v[20:21], s[36:37], v12, s26, 0
	v_add3_u32 v21, v21, v19, v18
	v_lshl_add_u64 v[18:19], v[16:17], 3, s[28:29]
	v_lshl_add_u64 v[16:17], v[20:21], 3, s[28:29]
	global_load_dwordx2 v[20:21], v[18:19], off
	global_load_dwordx2 v[22:23], v[16:17], off
	s_mov_b64 s[42:43], -1
	s_waitcnt vmcnt(0)
	v_cmp_eq_f64_e32 vcc, v[20:21], v[22:23]
	s_and_saveexec_b64 s[36:37], vcc
	s_cbranch_execz .LBB830_302
; %bb.296:
	s_add_u32 s42, s26, -1
	v_lshl_add_u64 v[16:17], v[16:17], 0, 8
	v_lshl_add_u64 v[18:19], v[18:19], 0, 8
	s_addc_u32 s43, s27, -1
	s_mov_b64 s[44:45], 0
	s_mov_b64 s[48:49], 0
                                        ; implicit-def: $sgpr46_sgpr47
	s_branch .LBB830_299
.LBB830_297:                            ;   in Loop: Header=BB830_299 Depth=1
	global_load_dwordx2 v[20:21], v[18:19], off
	global_load_dwordx2 v[22:23], v[16:17], off
	s_add_u32 s48, s48, 1
	s_addc_u32 s49, s49, 0
	s_andn2_b64 s[46:47], s[46:47], exec
	v_lshl_add_u64 v[16:17], v[16:17], 0, 8
	v_lshl_add_u64 v[18:19], v[18:19], 0, 8
	s_waitcnt vmcnt(0)
	v_cmp_neq_f64_e32 vcc, v[20:21], v[22:23]
	s_and_b64 s[50:51], vcc, exec
	s_or_b64 s[46:47], s[46:47], s[50:51]
.LBB830_298:                            ;   in Loop: Header=BB830_299 Depth=1
	s_and_b64 s[50:51], exec, s[46:47]
	s_or_b64 s[44:45], s[50:51], s[44:45]
	v_mov_b64_e32 v[20:21], s[48:49]
	s_andn2_b64 exec, exec, s[44:45]
	s_cbranch_execz .LBB830_301
.LBB830_299:                            ; =>This Inner Loop Header: Depth=1
	s_or_b64 s[46:47], s[46:47], exec
	s_cmp_eq_u64 s[42:43], s[48:49]
	s_cbranch_scc0 .LBB830_297
; %bb.300:                              ;   in Loop: Header=BB830_299 Depth=1
                                        ; implicit-def: $vgpr16_vgpr17
                                        ; implicit-def: $vgpr18_vgpr19
	s_mov_b64 s[48:49], s[26:27]
	s_branch .LBB830_298
.LBB830_301:
	s_or_b64 exec, exec, s[44:45]
	v_cmp_gt_i64_e32 vcc, s[26:27], v[20:21]
	s_orn2_b64 s[42:43], vcc, exec
.LBB830_302:
	s_or_b64 exec, exec, s[36:37]
.LBB830_303:
	s_and_b64 s[36:37], s[42:43], exec
.LBB830_304:
	s_or_b64 exec, exec, s[40:41]
	v_cndmask_b32_e64 v17, 0, 1, s[18:19]
	v_cndmask_b32_e64 v16, 0, 1, s[38:39]
	;; [unrolled: 1-line block ×3, first 2 shown]
	v_lshlrev_b16_e32 v17, 8, v17
	v_cndmask_b32_e64 v32, 0, 1, s[14:15]
	v_cndmask_b32_e64 v18, 0, 1, s[36:37]
	v_or_b32_sdwa v16, v16, v17 dst_sel:WORD_1 dst_unused:UNUSED_PAD src0_sel:DWORD src1_sel:DWORD
	v_lshlrev_b16_e32 v17, 8, v33
	v_lshlrev_b16_e32 v18, 8, v18
	v_or_b32_e32 v17, v32, v17
	v_or_b32_e32 v18, 1, v18
	v_and_b32_e32 v17, 0xffff, v17
	v_cndmask_b32_e64 v34, 0, 1, s[4:5]
	v_or_b32_sdwa v16, v18, v16 dst_sel:DWORD dst_unused:UNUSED_PAD src0_sel:WORD_0 src1_sel:DWORD
	v_lshl_or_b32 v17, v34, 16, v17
	v_cmp_ne_u32_e32 vcc, 0, v0
	s_waitcnt lgkmcnt(0)
	s_barrier
	s_waitcnt lgkmcnt(0)
                                        ; implicit-def: $sgpr18_sgpr19
                                        ; implicit-def: $vgpr20
	s_and_saveexec_b64 s[4:5], vcc
	s_cbranch_execz .LBB830_317
; %bb.305:
	v_cmp_gt_u32_e32 vcc, s3, v1
	s_mov_b32 s33, 0x3020104
	s_mov_b64 s[14:15], 0
	s_and_saveexec_b64 s[12:13], vcc
	s_cbranch_execz .LBB830_316
; %bb.306:
	s_andn2_b64 vcc, exec, s[6:7]
	s_cbranch_vccnz .LBB830_315
; %bb.307:
	v_add_u32_e32 v17, -8, v30
	ds_read_b64 v[18:19], v17
	v_mul_lo_u32 v17, v11, s26
	v_mad_u64_u32 v[22:23], s[6:7], v10, s26, 0
	s_mov_b64 s[14:15], -1
	s_waitcnt lgkmcnt(0)
	v_mul_lo_u32 v20, v19, s26
	v_mul_lo_u32 v21, v18, s27
	v_mad_u64_u32 v[18:19], s[6:7], v18, s26, 0
	v_add3_u32 v19, v19, v21, v20
	v_mul_lo_u32 v20, v10, s27
	v_add3_u32 v23, v23, v20, v17
	v_lshl_add_u64 v[20:21], v[18:19], 3, s[28:29]
	v_lshl_add_u64 v[18:19], v[22:23], 3, s[28:29]
	global_load_dwordx2 v[22:23], v[20:21], off
	global_load_dwordx2 v[30:31], v[18:19], off
	s_waitcnt vmcnt(0)
	v_cmp_eq_f64_e32 vcc, v[22:23], v[30:31]
	s_and_saveexec_b64 s[6:7], vcc
	s_cbranch_execz .LBB830_314
; %bb.308:
	s_add_u32 s14, s26, -1
	v_lshl_add_u64 v[18:19], v[18:19], 0, 8
	v_lshl_add_u64 v[20:21], v[20:21], 0, 8
	s_addc_u32 s15, s27, -1
	s_mov_b64 s[18:19], 0
	s_mov_b64 s[36:37], 0
                                        ; implicit-def: $sgpr28_sgpr29
	s_branch .LBB830_311
.LBB830_309:                            ;   in Loop: Header=BB830_311 Depth=1
	global_load_dwordx2 v[22:23], v[20:21], off
	global_load_dwordx2 v[30:31], v[18:19], off
	s_add_u32 s36, s36, 1
	s_addc_u32 s37, s37, 0
	s_andn2_b64 s[28:29], s[28:29], exec
	v_lshl_add_u64 v[18:19], v[18:19], 0, 8
	v_lshl_add_u64 v[20:21], v[20:21], 0, 8
	s_waitcnt vmcnt(0)
	v_cmp_neq_f64_e32 vcc, v[22:23], v[30:31]
	s_and_b64 s[38:39], vcc, exec
	s_or_b64 s[28:29], s[28:29], s[38:39]
.LBB830_310:                            ;   in Loop: Header=BB830_311 Depth=1
	s_and_b64 s[38:39], exec, s[28:29]
	s_or_b64 s[18:19], s[38:39], s[18:19]
	v_mov_b64_e32 v[22:23], s[36:37]
	s_andn2_b64 exec, exec, s[18:19]
	s_cbranch_execz .LBB830_313
.LBB830_311:                            ; =>This Inner Loop Header: Depth=1
	s_or_b64 s[28:29], s[28:29], exec
	s_cmp_eq_u64 s[14:15], s[36:37]
	s_cbranch_scc0 .LBB830_309
; %bb.312:                              ;   in Loop: Header=BB830_311 Depth=1
                                        ; implicit-def: $vgpr18_vgpr19
                                        ; implicit-def: $vgpr20_vgpr21
	s_mov_b64 s[36:37], s[26:27]
	s_branch .LBB830_310
.LBB830_313:
	s_or_b64 exec, exec, s[18:19]
	v_cmp_gt_i64_e32 vcc, s[26:27], v[22:23]
	s_orn2_b64 s[14:15], vcc, exec
.LBB830_314:
	s_or_b64 exec, exec, s[6:7]
.LBB830_315:
	s_and_b64 s[14:15], s[14:15], exec
.LBB830_316:
	s_or_b64 exec, exec, s[12:13]
	v_perm_b32 v20, v16, v16, s33
	s_and_b64 s[18:19], s[14:15], exec
	s_or_b64 s[10:11], s[10:11], exec
                                        ; implicit-def: $vgpr16_vgpr17
.LBB830_317:
	s_or_b64 exec, exec, s[4:5]
.LBB830_318:
	s_and_saveexec_b64 s[4:5], s[10:11]
	s_cbranch_execz .LBB830_320
; %bb.319:
	s_waitcnt lgkmcnt(0)
	v_lshlrev_b16_e32 v17, 8, v33
	v_and_b32_e32 v18, 0xff, v34
	v_or_b32_sdwa v17, v32, v17 dst_sel:DWORD dst_unused:UNUSED_PAD src0_sel:BYTE_0 src1_sel:DWORD
	v_lshlrev_b32_e32 v18, 16, v18
	s_movk_i32 s6, 0xff
	v_or_b32_sdwa v17, v17, v18 dst_sel:DWORD dst_unused:UNUSED_PAD src0_sel:WORD_0 src1_sel:DWORD
	v_lshrrev_b32_e32 v18, 24, v20
	v_lshlrev_b16_e32 v18, 8, v18
	v_and_b32_sdwa v19, v20, s6 dst_sel:DWORD dst_unused:UNUSED_PAD src0_sel:WORD_1 src1_sel:DWORD
	v_or_b32_sdwa v18, v19, v18 dst_sel:WORD_1 dst_unused:UNUSED_PAD src0_sel:DWORD src1_sel:DWORD
	v_mov_b32_e32 v19, 8
	v_cndmask_b32_e64 v16, 0, 1, s[18:19]
	v_lshrrev_b32_sdwa v19, v19, v20 dst_sel:BYTE_1 dst_unused:UNUSED_PAD src0_sel:DWORD src1_sel:DWORD
	s_nop 0
	v_or_b32_e32 v16, v16, v19
	v_or_b32_sdwa v16, v16, v18 dst_sel:DWORD dst_unused:UNUSED_PAD src0_sel:WORD_0 src1_sel:DWORD
.LBB830_320:
	s_or_b64 exec, exec, s[4:5]
	s_andn2_b64 vcc, exec, s[8:9]
	s_cbranch_vccnz .LBB830_322
; %bb.321:
	s_waitcnt lgkmcnt(0)
	v_and_b32_e32 v18, 0xffff0000, v16
	v_cmp_gt_u32_e32 vcc, s3, v1
	s_mov_b32 s4, 0x40c0100
	s_nop 0
	v_cndmask_b32_e32 v1, v18, v16, vcc
	v_and_b32_e32 v1, 0xffff00ff, v1
	v_cmp_gt_u32_e32 vcc, s3, v25
	s_nop 1
	v_cndmask_b32_e32 v1, v1, v16, vcc
	v_lshrrev_b32_e32 v18, 24, v1
	v_perm_b32 v1, v18, v1, s4
	v_cmp_gt_u32_e32 vcc, s3, v24
	v_and_b32_e32 v18, 0xffffff00, v17
	s_nop 0
	v_cndmask_b32_e32 v1, v1, v16, vcc
	v_and_b32_e32 v1, 0xffffff, v1
	v_cmp_gt_u32_e32 vcc, s3, v28
	s_nop 1
	v_cndmask_b32_e32 v1, v1, v16, vcc
	v_cmp_gt_u32_e32 vcc, s3, v26
	s_nop 1
	v_cndmask_b32_e32 v18, v18, v17, vcc
	v_and_b32_e32 v18, 0xffff00ff, v18
	v_cndmask_b32_e32 v1, v1, v16, vcc
	v_cmp_gt_u32_e32 vcc, s3, v29
	s_nop 1
	v_cndmask_b32_e32 v18, v18, v17, vcc
	v_lshrrev_b32_e32 v19, 24, v18
	v_cndmask_b32_e32 v1, v1, v16, vcc
	v_perm_b32 v18, v19, v18, s4
	v_cmp_gt_u32_e32 vcc, s3, v27
	s_mov_b32 s3, 0x3020104
	s_nop 0
	v_cndmask_b32_e32 v1, v1, v16, vcc
	v_cndmask_b32_e32 v16, v18, v17, vcc
	v_mov_b32_e32 v17, 8
	v_lshrrev_b32_sdwa v17, v17, v16 dst_sel:BYTE_1 dst_unused:UNUSED_PAD src0_sel:DWORD src1_sel:DWORD
	s_nop 0
	v_or_b32_sdwa v17, v16, v17 dst_sel:DWORD dst_unused:UNUSED_PAD src0_sel:BYTE_0 src1_sel:DWORD
	v_and_b32_e32 v17, 0xffff, v17
	v_bfe_u32 v16, v16, 16, 8
	v_lshl_or_b32 v17, v16, 16, v17
	v_perm_b32 v16, v1, v1, s3
.LBB830_322:
	s_waitcnt lgkmcnt(0)
	v_and_b32_e32 v1, 0xff, v16
	v_bfe_u32 v29, v16, 8, 8
	v_bfe_u32 v31, v16, 16, 8
	v_alignbit_b32 v18, v17, v16, 24
	v_and_b32_e32 v33, 0xff, v18
	v_and_b32_e32 v35, 0xff, v17
	v_add3_u32 v19, v29, v1, v31
	v_bfe_u32 v36, v17, 8, 8
	v_bfe_u32 v18, v17, 16, 8
	v_add3_u32 v19, v19, v33, v35
	v_add3_u32 v39, v19, v36, v18
	v_mbcnt_lo_u32_b32 v18, -1, 0
	v_mbcnt_hi_u32_b32 v37, -1, v18
	v_and_b32_e32 v18, 15, v37
	v_cmp_eq_u32_e64 s[14:15], 0, v18
	v_cmp_lt_u32_e64 s[12:13], 1, v18
	v_cmp_lt_u32_e64 s[10:11], 3, v18
	;; [unrolled: 1-line block ×3, first 2 shown]
	v_and_b32_e32 v18, 16, v37
	v_cmp_eq_u32_e64 s[6:7], 0, v18
	v_or_b32_e32 v18, 63, v0
	v_cmp_lt_u32_e64 s[18:19], 31, v37
	v_lshrrev_b32_e32 v38, 6, v0
	v_cmp_eq_u32_e64 s[4:5], v18, v0
	s_and_b64 vcc, exec, s[16:17]
	s_barrier
	s_cbranch_vccz .LBB830_353
; %bb.323:
	v_mov_b32_dpp v18, v39 row_shr:1 row_mask:0xf bank_mask:0xf
	v_cndmask_b32_e64 v18, v18, 0, s[14:15]
	v_add_u32_e32 v18, v18, v39
	s_nop 1
	v_mov_b32_dpp v19, v18 row_shr:2 row_mask:0xf bank_mask:0xf
	v_cndmask_b32_e64 v19, 0, v19, s[12:13]
	v_add_u32_e32 v18, v18, v19
	s_nop 1
	;; [unrolled: 4-line block ×4, first 2 shown]
	v_mov_b32_dpp v19, v18 row_bcast:15 row_mask:0xf bank_mask:0xf
	v_cndmask_b32_e64 v19, v19, 0, s[6:7]
	v_add_u32_e32 v18, v18, v19
	s_nop 1
	v_mov_b32_dpp v19, v18 row_bcast:31 row_mask:0xf bank_mask:0xf
	v_cndmask_b32_e64 v19, 0, v19, s[18:19]
	v_add_u32_e32 v18, v18, v19
	s_and_saveexec_b64 s[16:17], s[4:5]
	s_cbranch_execz .LBB830_325
; %bb.324:
	v_lshlrev_b32_e32 v19, 2, v38
	ds_write_b32 v19, v18
.LBB830_325:
	s_or_b64 exec, exec, s[16:17]
	v_cmp_gt_u32_e32 vcc, 8, v0
	s_waitcnt lgkmcnt(0)
	s_barrier
	s_and_saveexec_b64 s[16:17], vcc
	s_cbranch_execz .LBB830_327
; %bb.326:
	v_lshlrev_b32_e32 v19, 2, v0
	ds_read_b32 v20, v19
	v_and_b32_e32 v21, 7, v37
	v_cmp_ne_u32_e32 vcc, 0, v21
	s_waitcnt lgkmcnt(0)
	v_mov_b32_dpp v22, v20 row_shr:1 row_mask:0xf bank_mask:0xf
	v_cndmask_b32_e32 v22, 0, v22, vcc
	v_add_u32_e32 v20, v22, v20
	v_cmp_lt_u32_e32 vcc, 1, v21
	s_nop 0
	v_mov_b32_dpp v22, v20 row_shr:2 row_mask:0xf bank_mask:0xf
	v_cndmask_b32_e32 v22, 0, v22, vcc
	v_add_u32_e32 v20, v20, v22
	v_cmp_lt_u32_e32 vcc, 3, v21
	s_nop 0
	v_mov_b32_dpp v22, v20 row_shr:4 row_mask:0xf bank_mask:0xf
	v_cndmask_b32_e32 v21, 0, v22, vcc
	v_add_u32_e32 v20, v20, v21
	ds_write_b32 v19, v20
.LBB830_327:
	s_or_b64 exec, exec, s[16:17]
	v_cmp_gt_u32_e32 vcc, 64, v0
	v_cmp_lt_u32_e64 s[16:17], 63, v0
	s_waitcnt lgkmcnt(0)
	s_barrier
	s_waitcnt lgkmcnt(0)
                                        ; implicit-def: $vgpr28
	s_and_saveexec_b64 s[26:27], s[16:17]
	s_cbranch_execz .LBB830_329
; %bb.328:
	v_lshl_add_u32 v19, v38, 2, -4
	ds_read_b32 v28, v19
	s_waitcnt lgkmcnt(0)
	v_add_u32_e32 v18, v28, v18
.LBB830_329:
	s_or_b64 exec, exec, s[26:27]
	v_add_u32_e32 v19, -1, v37
	v_and_b32_e32 v20, 64, v37
	v_cmp_lt_i32_e64 s[16:17], v19, v20
	s_nop 1
	v_cndmask_b32_e64 v19, v19, v37, s[16:17]
	v_lshlrev_b32_e32 v19, 2, v19
	ds_bpermute_b32 v30, v19, v18
	v_cmp_eq_u32_e64 s[16:17], 0, v37
	s_and_saveexec_b64 s[26:27], vcc
	s_cbranch_execz .LBB830_352
; %bb.330:
	v_mov_b32_e32 v27, 0
	ds_read_b32 v18, v27 offset:28
	s_and_saveexec_b64 s[28:29], s[16:17]
	s_cbranch_execz .LBB830_332
; %bb.331:
	s_add_i32 s36, s2, 64
	s_mov_b32 s37, 0
	s_lshl_b64 s[36:37], s[36:37], 3
	s_add_u32 s36, s30, s36
	v_mov_b32_e32 v19, 1
	s_addc_u32 s37, s31, s37
	s_waitcnt lgkmcnt(0)
	global_store_dwordx2 v27, v[18:19], s[36:37] sc1
.LBB830_332:
	s_or_b64 exec, exec, s[28:29]
	v_xad_u32 v20, v37, -1, s2
	v_add_u32_e32 v26, 64, v20
	v_lshl_add_u64 v[22:23], v[26:27], 3, s[30:31]
	global_load_dwordx2 v[24:25], v[22:23], off sc1
	s_waitcnt vmcnt(0)
	v_cmp_eq_u16_sdwa s[36:37], v25, v27 src0_sel:BYTE_0 src1_sel:DWORD
	s_and_saveexec_b64 s[28:29], s[36:37]
	s_cbranch_execz .LBB830_338
; %bb.333:
	s_mov_b32 s3, 1
	s_mov_b64 s[36:37], 0
	v_mov_b32_e32 v19, 0
.LBB830_334:                            ; =>This Loop Header: Depth=1
                                        ;     Child Loop BB830_335 Depth 2
	s_max_u32 s33, s3, 1
.LBB830_335:                            ;   Parent Loop BB830_334 Depth=1
                                        ; =>  This Inner Loop Header: Depth=2
	s_add_i32 s33, s33, -1
	s_cmp_eq_u32 s33, 0
	s_sleep 1
	s_cbranch_scc0 .LBB830_335
; %bb.336:                              ;   in Loop: Header=BB830_334 Depth=1
	global_load_dwordx2 v[24:25], v[22:23], off sc1
	s_cmp_lt_u32 s3, 32
	s_cselect_b64 s[38:39], -1, 0
	s_cmp_lg_u64 s[38:39], 0
	s_addc_u32 s3, s3, 0
	s_waitcnt vmcnt(0)
	v_cmp_ne_u16_sdwa s[38:39], v25, v19 src0_sel:BYTE_0 src1_sel:DWORD
	s_or_b64 s[36:37], s[38:39], s[36:37]
	s_andn2_b64 exec, exec, s[36:37]
	s_cbranch_execnz .LBB830_334
; %bb.337:
	s_or_b64 exec, exec, s[36:37]
.LBB830_338:
	s_or_b64 exec, exec, s[28:29]
	v_and_b32_e32 v32, 63, v37
	v_mov_b32_e32 v19, 2
	v_cmp_ne_u32_e32 vcc, 63, v32
	v_cmp_eq_u16_sdwa s[28:29], v25, v19 src0_sel:BYTE_0 src1_sel:DWORD
	v_lshlrev_b64 v[22:23], v37, -1
	v_addc_co_u32_e32 v27, vcc, 0, v37, vcc
	v_and_b32_e32 v21, s29, v23
	v_lshlrev_b32_e32 v34, 2, v27
	v_or_b32_e32 v21, 0x80000000, v21
	ds_bpermute_b32 v27, v34, v24
	v_and_b32_e32 v26, s28, v22
	v_ffbl_b32_e32 v21, v21
	v_add_u32_e32 v21, 32, v21
	v_ffbl_b32_e32 v26, v26
	v_min_u32_e32 v21, v26, v21
	v_cmp_lt_u32_e32 vcc, v32, v21
	v_add_u32_e32 v41, 2, v32
	v_add_u32_e32 v43, 4, v32
	s_waitcnt lgkmcnt(0)
	v_cndmask_b32_e32 v26, 0, v27, vcc
	v_cmp_gt_u32_e32 vcc, 62, v32
	v_add_u32_e32 v24, v26, v24
	v_add_u32_e32 v45, 8, v32
	v_cndmask_b32_e64 v26, 0, 1, vcc
	v_lshlrev_b32_e32 v26, 1, v26
	v_add_lshl_u32 v40, v26, v37, 2
	ds_bpermute_b32 v26, v40, v24
	v_cmp_le_u32_e32 vcc, v41, v21
	v_add_u32_e32 v48, 16, v32
	v_add_u32_e32 v50, 32, v32
	s_waitcnt lgkmcnt(0)
	v_cndmask_b32_e32 v26, 0, v26, vcc
	v_cmp_gt_u32_e32 vcc, 60, v32
	v_add_u32_e32 v24, v24, v26
	s_nop 0
	v_cndmask_b32_e64 v26, 0, 1, vcc
	v_lshlrev_b32_e32 v26, 2, v26
	v_add_lshl_u32 v42, v26, v37, 2
	ds_bpermute_b32 v26, v42, v24
	v_cmp_le_u32_e32 vcc, v43, v21
	s_waitcnt lgkmcnt(0)
	s_nop 0
	v_cndmask_b32_e32 v26, 0, v26, vcc
	v_cmp_gt_u32_e32 vcc, 56, v32
	v_add_u32_e32 v24, v24, v26
	s_nop 0
	v_cndmask_b32_e64 v26, 0, 1, vcc
	v_lshlrev_b32_e32 v26, 3, v26
	v_add_lshl_u32 v44, v26, v37, 2
	ds_bpermute_b32 v26, v44, v24
	v_cmp_le_u32_e32 vcc, v45, v21
	s_waitcnt lgkmcnt(0)
	s_nop 0
	;; [unrolled: 11-line block ×4, first 2 shown]
	v_cndmask_b32_e32 v21, 0, v26, vcc
	v_add_u32_e32 v24, v24, v21
	v_mov_b32_e32 v21, 0
	s_branch .LBB830_340
.LBB830_339:                            ;   in Loop: Header=BB830_340 Depth=1
	s_or_b64 exec, exec, s[28:29]
	v_cmp_eq_u16_sdwa s[28:29], v25, v19 src0_sel:BYTE_0 src1_sel:DWORD
	ds_bpermute_b32 v51, v34, v24
	v_subrev_u32_e32 v20, 64, v20
	v_and_b32_e32 v26, s29, v23
	v_or_b32_e32 v26, 0x80000000, v26
	v_and_b32_e32 v27, s28, v22
	v_ffbl_b32_e32 v26, v26
	v_add_u32_e32 v26, 32, v26
	v_ffbl_b32_e32 v27, v27
	v_min_u32_e32 v26, v27, v26
	v_cmp_lt_u32_e32 vcc, v32, v26
	s_waitcnt lgkmcnt(0)
	s_nop 0
	v_cndmask_b32_e32 v27, 0, v51, vcc
	v_add_u32_e32 v24, v27, v24
	ds_bpermute_b32 v27, v40, v24
	v_cmp_le_u32_e32 vcc, v41, v26
	s_waitcnt lgkmcnt(0)
	s_nop 0
	v_cndmask_b32_e32 v27, 0, v27, vcc
	v_add_u32_e32 v24, v24, v27
	ds_bpermute_b32 v27, v42, v24
	v_cmp_le_u32_e32 vcc, v43, v26
	;; [unrolled: 6-line block ×5, first 2 shown]
	s_waitcnt lgkmcnt(0)
	s_nop 0
	v_cndmask_b32_e32 v26, 0, v27, vcc
	v_add3_u32 v24, v26, v46, v24
.LBB830_340:                            ; =>This Loop Header: Depth=1
                                        ;     Child Loop BB830_343 Depth 2
                                        ;       Child Loop BB830_344 Depth 3
	v_cmp_ne_u16_sdwa s[28:29], v25, v19 src0_sel:BYTE_0 src1_sel:DWORD
	v_mov_b32_e32 v46, v24
	s_nop 0
	v_cndmask_b32_e64 v25, 0, 1, s[28:29]
	;;#ASMSTART
	;;#ASMEND
	s_nop 0
	v_cmp_ne_u32_e32 vcc, 0, v25
	s_cmp_lg_u64 vcc, exec
	s_cbranch_scc1 .LBB830_347
; %bb.341:                              ;   in Loop: Header=BB830_340 Depth=1
	v_lshl_add_u64 v[26:27], v[20:21], 3, s[30:31]
	global_load_dwordx2 v[24:25], v[26:27], off sc1
	s_waitcnt vmcnt(0)
	v_cmp_eq_u16_sdwa s[36:37], v25, v21 src0_sel:BYTE_0 src1_sel:DWORD
	s_and_saveexec_b64 s[28:29], s[36:37]
	s_cbranch_execz .LBB830_339
; %bb.342:                              ;   in Loop: Header=BB830_340 Depth=1
	s_mov_b32 s3, 1
	s_mov_b64 s[36:37], 0
.LBB830_343:                            ;   Parent Loop BB830_340 Depth=1
                                        ; =>  This Loop Header: Depth=2
                                        ;       Child Loop BB830_344 Depth 3
	s_max_u32 s33, s3, 1
.LBB830_344:                            ;   Parent Loop BB830_340 Depth=1
                                        ;     Parent Loop BB830_343 Depth=2
                                        ; =>    This Inner Loop Header: Depth=3
	s_add_i32 s33, s33, -1
	s_cmp_eq_u32 s33, 0
	s_sleep 1
	s_cbranch_scc0 .LBB830_344
; %bb.345:                              ;   in Loop: Header=BB830_343 Depth=2
	global_load_dwordx2 v[24:25], v[26:27], off sc1
	s_cmp_lt_u32 s3, 32
	s_cselect_b64 s[38:39], -1, 0
	s_cmp_lg_u64 s[38:39], 0
	s_addc_u32 s3, s3, 0
	s_waitcnt vmcnt(0)
	v_cmp_ne_u16_sdwa s[38:39], v25, v21 src0_sel:BYTE_0 src1_sel:DWORD
	s_or_b64 s[36:37], s[38:39], s[36:37]
	s_andn2_b64 exec, exec, s[36:37]
	s_cbranch_execnz .LBB830_343
; %bb.346:                              ;   in Loop: Header=BB830_340 Depth=1
	s_or_b64 exec, exec, s[36:37]
	s_branch .LBB830_339
.LBB830_347:                            ;   in Loop: Header=BB830_340 Depth=1
                                        ; implicit-def: $vgpr24
                                        ; implicit-def: $vgpr25
	s_cbranch_execz .LBB830_340
; %bb.348:
	s_and_saveexec_b64 s[28:29], s[16:17]
	s_cbranch_execz .LBB830_350
; %bb.349:
	s_add_i32 s2, s2, 64
	s_mov_b32 s3, 0
	s_lshl_b64 s[2:3], s[2:3], 3
	s_add_u32 s2, s30, s2
	v_add_u32_e32 v20, v46, v18
	v_mov_b32_e32 v21, 2
	s_addc_u32 s3, s31, s3
	v_mov_b32_e32 v19, 0
	global_store_dwordx2 v19, v[20:21], s[2:3] sc1
	s_movk_i32 s2, 0x7000
	v_add_u32_e64 v19, s2, 0
	ds_write2_b32 v19, v18, v46 offset1:2
.LBB830_350:
	s_or_b64 exec, exec, s[28:29]
	v_cmp_eq_u32_e32 vcc, 0, v0
	s_and_b64 exec, exec, vcc
	s_cbranch_execz .LBB830_352
; %bb.351:
	v_mov_b32_e32 v18, 0
	ds_write_b32 v18, v46 offset:28
.LBB830_352:
	s_or_b64 exec, exec, s[26:27]
	v_mov_b32_e32 v18, 0
	s_waitcnt lgkmcnt(0)
	s_barrier
	ds_read_b32 v18, v18 offset:28
	v_cndmask_b32_e64 v19, v30, v28, s[16:17]
	v_cmp_ne_u32_e32 vcc, 0, v0
	s_movk_i32 s2, 0x7000
	s_waitcnt lgkmcnt(0)
	v_cndmask_b32_e32 v19, 0, v19, vcc
	v_add_u32_e32 v34, v18, v19
	v_add_u32_e32 v32, v34, v1
	v_add_u32_e64 v18, s2, 0
	v_add_u32_e32 v30, v32, v29
	s_barrier
	ds_read2_b32 v[18:19], v18 offset1:2
	v_add_u32_e32 v28, v30, v31
	v_add_u32_e32 v26, v28, v33
	;; [unrolled: 1-line block ×4, first 2 shown]
	s_load_dwordx2 s[2:3], s[0:1], 0x28
	v_lshrrev_b64 v[20:21], 24, v[16:17]
	s_branch .LBB830_363
.LBB830_353:
                                        ; implicit-def: $vgpr22
                                        ; implicit-def: $vgpr24
                                        ; implicit-def: $vgpr26
                                        ; implicit-def: $vgpr28
                                        ; implicit-def: $vgpr30
                                        ; implicit-def: $vgpr32
                                        ; implicit-def: $vgpr34
                                        ; implicit-def: $vgpr19
	s_load_dwordx2 s[2:3], s[0:1], 0x28
	v_lshrrev_b64 v[20:21], 24, v[16:17]
	s_cbranch_execz .LBB830_363
; %bb.354:
	s_waitcnt lgkmcnt(0)
	v_mov_b32_dpp v18, v39 row_shr:1 row_mask:0xf bank_mask:0xf
	v_cndmask_b32_e64 v18, v18, 0, s[14:15]
	v_add_u32_e32 v18, v18, v39
	s_nop 1
	v_mov_b32_dpp v19, v18 row_shr:2 row_mask:0xf bank_mask:0xf
	v_cndmask_b32_e64 v19, 0, v19, s[12:13]
	v_add_u32_e32 v18, v18, v19
	s_nop 1
	v_mov_b32_dpp v19, v18 row_shr:4 row_mask:0xf bank_mask:0xf
	v_cndmask_b32_e64 v19, 0, v19, s[10:11]
	v_add_u32_e32 v18, v18, v19
	s_nop 1
	v_mov_b32_dpp v19, v18 row_shr:8 row_mask:0xf bank_mask:0xf
	v_cndmask_b32_e64 v19, 0, v19, s[8:9]
	v_add_u32_e32 v18, v18, v19
	s_nop 1
	v_mov_b32_dpp v19, v18 row_bcast:15 row_mask:0xf bank_mask:0xf
	v_cndmask_b32_e64 v19, v19, 0, s[6:7]
	v_add_u32_e32 v18, v18, v19
	s_nop 1
	v_mov_b32_dpp v19, v18 row_bcast:31 row_mask:0xf bank_mask:0xf
	v_cndmask_b32_e64 v19, 0, v19, s[18:19]
	v_add_u32_e32 v18, v18, v19
	s_and_saveexec_b64 s[0:1], s[4:5]
	s_cbranch_execz .LBB830_356
; %bb.355:
	v_lshlrev_b32_e32 v19, 2, v38
	ds_write_b32 v19, v18
.LBB830_356:
	s_or_b64 exec, exec, s[0:1]
	v_cmp_gt_u32_e32 vcc, 8, v0
	s_waitcnt lgkmcnt(0)
	s_barrier
	s_and_saveexec_b64 s[0:1], vcc
	s_cbranch_execz .LBB830_358
; %bb.357:
	v_lshlrev_b32_e32 v19, 2, v0
	ds_read_b32 v21, v19
	v_and_b32_e32 v22, 7, v37
	v_cmp_ne_u32_e32 vcc, 0, v22
	s_waitcnt lgkmcnt(0)
	v_mov_b32_dpp v23, v21 row_shr:1 row_mask:0xf bank_mask:0xf
	v_cndmask_b32_e32 v23, 0, v23, vcc
	v_add_u32_e32 v21, v23, v21
	v_cmp_lt_u32_e32 vcc, 1, v22
	s_nop 0
	v_mov_b32_dpp v23, v21 row_shr:2 row_mask:0xf bank_mask:0xf
	v_cndmask_b32_e32 v23, 0, v23, vcc
	v_add_u32_e32 v21, v21, v23
	v_cmp_lt_u32_e32 vcc, 3, v22
	s_nop 0
	v_mov_b32_dpp v23, v21 row_shr:4 row_mask:0xf bank_mask:0xf
	v_cndmask_b32_e32 v22, 0, v23, vcc
	v_add_u32_e32 v21, v21, v22
	ds_write_b32 v19, v21
.LBB830_358:
	s_or_b64 exec, exec, s[0:1]
	v_cmp_lt_u32_e32 vcc, 63, v0
	v_mov_b32_e32 v19, 0
	v_mov_b32_e32 v21, 0
	s_waitcnt lgkmcnt(0)
	s_barrier
	s_and_saveexec_b64 s[0:1], vcc
	s_cbranch_execz .LBB830_360
; %bb.359:
	v_lshl_add_u32 v21, v38, 2, -4
	ds_read_b32 v21, v21
.LBB830_360:
	s_or_b64 exec, exec, s[0:1]
	v_add_u32_e32 v22, -1, v37
	v_and_b32_e32 v23, 64, v37
	v_cmp_lt_i32_e32 vcc, v22, v23
	s_waitcnt lgkmcnt(0)
	v_add_u32_e32 v18, v21, v18
	v_cndmask_b32_e32 v22, v22, v37, vcc
	v_lshlrev_b32_e32 v22, 2, v22
	ds_bpermute_b32 v22, v22, v18
	ds_read_b32 v18, v19 offset:28
	v_cmp_eq_u32_e32 vcc, 0, v0
	s_and_saveexec_b64 s[0:1], vcc
	s_cbranch_execz .LBB830_362
; %bb.361:
	v_mov_b32_e32 v23, 0
	v_mov_b32_e32 v19, 2
	s_waitcnt lgkmcnt(0)
	global_store_dwordx2 v23, v[18:19], s[30:31] offset:512 sc1
.LBB830_362:
	s_or_b64 exec, exec, s[0:1]
	v_cmp_eq_u32_e64 s[0:1], 0, v37
	v_mov_b32_e32 v19, 0
	s_waitcnt lgkmcnt(0)
	v_cndmask_b32_e64 v21, v22, v21, s[0:1]
	v_cndmask_b32_e64 v34, v21, 0, vcc
	v_add_u32_e32 v32, v34, v1
	v_add_u32_e32 v30, v32, v29
	;; [unrolled: 1-line block ×6, first 2 shown]
	s_barrier
.LBB830_363:
	s_movk_i32 s0, 0x201
	s_waitcnt lgkmcnt(0)
	v_cmp_gt_u32_e32 vcc, s0, v18
	v_lshrrev_b32_e32 v21, 8, v16
	v_lshrrev_b32_e32 v1, 8, v17
	s_mov_b64 s[0:1], -1
	s_cbranch_vccnz .LBB830_367
; %bb.364:
	s_and_b64 vcc, exec, s[0:1]
	s_cbranch_vccnz .LBB830_389
.LBB830_365:
	v_cmp_eq_u32_e32 vcc, 0, v0
	s_and_b64 s[0:1], vcc, s[24:25]
	s_and_saveexec_b64 s[2:3], s[0:1]
	s_cbranch_execnz .LBB830_407
.LBB830_366:
	s_endpgm
.LBB830_367:
	v_add_u32_e32 v23, v19, v18
	v_cmp_lt_u32_e32 vcc, v34, v23
	s_or_b64 s[4:5], s[34:35], vcc
	s_and_saveexec_b64 s[0:1], s[4:5]
	s_cbranch_execz .LBB830_370
; %bb.368:
	v_and_b32_e32 v25, 1, v16
	v_cmp_eq_u32_e32 vcc, 1, v25
	s_and_b64 exec, exec, vcc
	s_cbranch_execz .LBB830_370
; %bb.369:
	s_lshl_b64 s[4:5], s[22:23], 3
	s_add_u32 s4, s2, s4
	s_addc_u32 s5, s3, s5
	v_mov_b32_e32 v35, 0
	v_lshl_add_u64 v[36:37], v[34:35], 3, s[4:5]
	global_store_dwordx2 v[36:37], v[10:11], off
.LBB830_370:
	s_or_b64 exec, exec, s[0:1]
	v_cmp_lt_u32_e32 vcc, v32, v23
	s_or_b64 s[4:5], s[34:35], vcc
	s_and_saveexec_b64 s[0:1], s[4:5]
	s_cbranch_execz .LBB830_373
; %bb.371:
	v_and_b32_e32 v25, 1, v21
	v_cmp_eq_u32_e32 vcc, 1, v25
	s_and_b64 exec, exec, vcc
	s_cbranch_execz .LBB830_373
; %bb.372:
	s_lshl_b64 s[4:5], s[22:23], 3
	s_add_u32 s4, s2, s4
	s_addc_u32 s5, s3, s5
	v_mov_b32_e32 v33, 0
	v_lshl_add_u64 v[36:37], v[32:33], 3, s[4:5]
	global_store_dwordx2 v[36:37], v[12:13], off
.LBB830_373:
	s_or_b64 exec, exec, s[0:1]
	v_cmp_lt_u32_e32 vcc, v30, v23
	s_or_b64 s[4:5], s[34:35], vcc
	s_and_saveexec_b64 s[0:1], s[4:5]
	s_cbranch_execz .LBB830_376
; %bb.374:
	v_mov_b32_e32 v25, 1
	v_and_b32_sdwa v25, v25, v16 dst_sel:DWORD dst_unused:UNUSED_PAD src0_sel:DWORD src1_sel:WORD_1
	v_cmp_eq_u32_e32 vcc, 1, v25
	s_and_b64 exec, exec, vcc
	s_cbranch_execz .LBB830_376
; %bb.375:
	s_lshl_b64 s[4:5], s[22:23], 3
	s_add_u32 s4, s2, s4
	s_addc_u32 s5, s3, s5
	v_mov_b32_e32 v31, 0
	v_lshl_add_u64 v[36:37], v[30:31], 3, s[4:5]
	global_store_dwordx2 v[36:37], v[6:7], off
.LBB830_376:
	s_or_b64 exec, exec, s[0:1]
	v_cmp_lt_u32_e32 vcc, v28, v23
	s_or_b64 s[4:5], s[34:35], vcc
	s_and_saveexec_b64 s[0:1], s[4:5]
	s_cbranch_execz .LBB830_379
; %bb.377:
	v_and_b32_e32 v25, 1, v20
	v_cmp_eq_u32_e32 vcc, 1, v25
	s_and_b64 exec, exec, vcc
	s_cbranch_execz .LBB830_379
; %bb.378:
	s_lshl_b64 s[4:5], s[22:23], 3
	s_add_u32 s4, s2, s4
	s_addc_u32 s5, s3, s5
	v_mov_b32_e32 v29, 0
	v_lshl_add_u64 v[36:37], v[28:29], 3, s[4:5]
	global_store_dwordx2 v[36:37], v[8:9], off
.LBB830_379:
	s_or_b64 exec, exec, s[0:1]
	v_cmp_lt_u32_e32 vcc, v26, v23
	s_or_b64 s[4:5], s[34:35], vcc
	s_and_saveexec_b64 s[0:1], s[4:5]
	s_cbranch_execz .LBB830_382
; %bb.380:
	v_and_b32_e32 v25, 1, v17
	v_cmp_eq_u32_e32 vcc, 1, v25
	s_and_b64 exec, exec, vcc
	s_cbranch_execz .LBB830_382
; %bb.381:
	s_lshl_b64 s[4:5], s[22:23], 3
	s_add_u32 s4, s2, s4
	s_addc_u32 s5, s3, s5
	v_mov_b32_e32 v27, 0
	v_lshl_add_u64 v[36:37], v[26:27], 3, s[4:5]
	global_store_dwordx2 v[36:37], v[2:3], off
.LBB830_382:
	;; [unrolled: 18-line block ×3, first 2 shown]
	s_or_b64 exec, exec, s[0:1]
	v_cmp_lt_u32_e32 vcc, v22, v23
	s_or_b64 s[4:5], s[34:35], vcc
	s_and_saveexec_b64 s[0:1], s[4:5]
	s_cbranch_execz .LBB830_388
; %bb.386:
	v_mov_b32_e32 v23, 1
	v_and_b32_sdwa v23, v23, v17 dst_sel:DWORD dst_unused:UNUSED_PAD src0_sel:DWORD src1_sel:WORD_1
	v_cmp_eq_u32_e32 vcc, 1, v23
	s_and_b64 exec, exec, vcc
	s_cbranch_execz .LBB830_388
; %bb.387:
	s_lshl_b64 s[4:5], s[22:23], 3
	s_add_u32 s4, s2, s4
	s_addc_u32 s5, s3, s5
	v_mov_b32_e32 v23, 0
	v_lshl_add_u64 v[36:37], v[22:23], 3, s[4:5]
	global_store_dwordx2 v[36:37], v[14:15], off
.LBB830_388:
	s_or_b64 exec, exec, s[0:1]
	s_branch .LBB830_365
.LBB830_389:
	v_and_b32_e32 v23, 1, v16
	v_cmp_eq_u32_e32 vcc, 1, v23
	s_and_saveexec_b64 s[0:1], vcc
	s_cbranch_execz .LBB830_391
; %bb.390:
	v_sub_u32_e32 v23, v34, v19
	v_lshlrev_b32_e32 v23, 3, v23
	ds_write_b64 v23, v[10:11]
.LBB830_391:
	s_or_b64 exec, exec, s[0:1]
	v_and_b32_e32 v10, 1, v21
	v_cmp_eq_u32_e32 vcc, 1, v10
	s_and_saveexec_b64 s[0:1], vcc
	s_cbranch_execz .LBB830_393
; %bb.392:
	v_sub_u32_e32 v10, v32, v19
	v_lshlrev_b32_e32 v10, 3, v10
	ds_write_b64 v10, v[12:13]
.LBB830_393:
	s_or_b64 exec, exec, s[0:1]
	v_mov_b32_e32 v10, 1
	v_and_b32_sdwa v10, v10, v16 dst_sel:DWORD dst_unused:UNUSED_PAD src0_sel:DWORD src1_sel:WORD_1
	v_cmp_eq_u32_e32 vcc, 1, v10
	s_and_saveexec_b64 s[0:1], vcc
	s_cbranch_execz .LBB830_395
; %bb.394:
	v_sub_u32_e32 v10, v30, v19
	v_lshlrev_b32_e32 v10, 3, v10
	ds_write_b64 v10, v[6:7]
.LBB830_395:
	s_or_b64 exec, exec, s[0:1]
	v_and_b32_e32 v6, 1, v20
	v_cmp_eq_u32_e32 vcc, 1, v6
	s_and_saveexec_b64 s[0:1], vcc
	s_cbranch_execz .LBB830_397
; %bb.396:
	v_sub_u32_e32 v6, v28, v19
	v_lshlrev_b32_e32 v6, 3, v6
	ds_write_b64 v6, v[8:9]
.LBB830_397:
	s_or_b64 exec, exec, s[0:1]
	v_and_b32_e32 v6, 1, v17
	;; [unrolled: 10-line block ×3, first 2 shown]
	v_cmp_eq_u32_e32 vcc, 1, v1
	s_and_saveexec_b64 s[0:1], vcc
	s_cbranch_execz .LBB830_401
; %bb.400:
	v_sub_u32_e32 v1, v24, v19
	v_lshlrev_b32_e32 v1, 3, v1
	ds_write_b64 v1, v[4:5]
.LBB830_401:
	s_or_b64 exec, exec, s[0:1]
	v_mov_b32_e32 v1, 1
	v_and_b32_sdwa v1, v1, v17 dst_sel:DWORD dst_unused:UNUSED_PAD src0_sel:DWORD src1_sel:WORD_1
	v_cmp_eq_u32_e32 vcc, 1, v1
	s_and_saveexec_b64 s[0:1], vcc
	s_cbranch_execz .LBB830_403
; %bb.402:
	v_sub_u32_e32 v1, v22, v19
	v_lshlrev_b32_e32 v1, 3, v1
	ds_write_b64 v1, v[14:15]
.LBB830_403:
	s_or_b64 exec, exec, s[0:1]
	v_cmp_lt_u32_e32 vcc, v0, v18
	s_waitcnt lgkmcnt(0)
	s_barrier
	s_and_saveexec_b64 s[0:1], vcc
	s_cbranch_execz .LBB830_406
; %bb.404:
	v_mov_b32_e32 v5, 0
	v_mov_b32_e32 v4, v19
	s_lshl_b64 s[4:5], s[22:23], 3
	v_lshlrev_b64 v[6:7], 3, v[4:5]
	v_lshl_add_u64 v[6:7], s[4:5], 0, v[6:7]
	v_lshlrev_b32_e32 v2, 3, v0
	v_mov_b32_e32 v3, v5
	v_lshl_add_u64 v[4:5], s[2:3], 0, v[6:7]
	v_lshl_add_u64 v[4:5], v[4:5], 0, v[2:3]
	s_mov_b64 s[2:3], 0
	s_mov_b64 s[4:5], 0x1000
	v_mov_b32_e32 v1, v0
.LBB830_405:                            ; =>This Inner Loop Header: Depth=1
	ds_read_b64 v[6:7], v2
	v_add_u32_e32 v1, 0x200, v1
	v_cmp_ge_u32_e32 vcc, v1, v18
	v_add_u32_e32 v2, 0x1000, v2
	s_or_b64 s[2:3], vcc, s[2:3]
	s_waitcnt lgkmcnt(0)
	global_store_dwordx2 v[4:5], v[6:7], off
	v_lshl_add_u64 v[4:5], v[4:5], 0, s[4:5]
	s_andn2_b64 exec, exec, s[2:3]
	s_cbranch_execnz .LBB830_405
.LBB830_406:
	s_or_b64 exec, exec, s[0:1]
	v_cmp_eq_u32_e32 vcc, 0, v0
	s_and_b64 s[0:1], vcc, s[24:25]
	s_and_saveexec_b64 s[2:3], s[0:1]
	s_cbranch_execz .LBB830_366
.LBB830_407:
	v_mov_b32_e32 v1, 0
	v_mov_b32_e32 v0, v18
	v_lshl_add_u64 v[2:3], s[22:23], 0, v[0:1]
	v_mov_b32_e32 v0, v19
	v_lshl_add_u64 v[2:3], v[2:3], 0, v[0:1]
	global_store_dwordx2 v1, v[2:3], s[20:21]
	s_endpgm
	.section	.rodata,"a",@progbits
	.p2align	6, 0x0
	.amdhsa_kernel _ZN7rocprim17ROCPRIM_400000_NS6detail17trampoline_kernelINS0_14default_configENS1_25partition_config_selectorILNS1_17partition_subalgoE8ElNS0_10empty_typeEbEEZZNS1_14partition_implILS5_8ELb0ES3_jPlPS6_PKS6_NS0_5tupleIJS9_S6_EEENSD_IJSA_SA_EEENS0_18inequality_wrapperIZN2at6native12_GLOBAL__N_124unique_dim_cuda_templateIdEESt5tupleIJNSH_6TensorESM_SM_EERKSM_lbbbEUlllE0_EEPmJS6_EEE10hipError_tPvRmT3_T4_T5_T6_T7_T9_mT8_P12ihipStream_tbDpT10_ENKUlT_T0_E_clISt17integral_constantIbLb1EES1B_IbLb0EEEEDaS17_S18_EUlS17_E_NS1_11comp_targetILNS1_3genE5ELNS1_11target_archE942ELNS1_3gpuE9ELNS1_3repE0EEENS1_30default_config_static_selectorELNS0_4arch9wavefront6targetE1EEEvT1_
		.amdhsa_group_segment_fixed_size 28684
		.amdhsa_private_segment_fixed_size 0
		.amdhsa_kernarg_size 120
		.amdhsa_user_sgpr_count 2
		.amdhsa_user_sgpr_dispatch_ptr 0
		.amdhsa_user_sgpr_queue_ptr 0
		.amdhsa_user_sgpr_kernarg_segment_ptr 1
		.amdhsa_user_sgpr_dispatch_id 0
		.amdhsa_user_sgpr_kernarg_preload_length 0
		.amdhsa_user_sgpr_kernarg_preload_offset 0
		.amdhsa_user_sgpr_private_segment_size 0
		.amdhsa_uses_dynamic_stack 0
		.amdhsa_enable_private_segment 0
		.amdhsa_system_sgpr_workgroup_id_x 1
		.amdhsa_system_sgpr_workgroup_id_y 0
		.amdhsa_system_sgpr_workgroup_id_z 0
		.amdhsa_system_sgpr_workgroup_info 0
		.amdhsa_system_vgpr_workitem_id 0
		.amdhsa_next_free_vgpr 52
		.amdhsa_next_free_sgpr 52
		.amdhsa_accum_offset 52
		.amdhsa_reserve_vcc 1
		.amdhsa_float_round_mode_32 0
		.amdhsa_float_round_mode_16_64 0
		.amdhsa_float_denorm_mode_32 3
		.amdhsa_float_denorm_mode_16_64 3
		.amdhsa_dx10_clamp 1
		.amdhsa_ieee_mode 1
		.amdhsa_fp16_overflow 0
		.amdhsa_tg_split 0
		.amdhsa_exception_fp_ieee_invalid_op 0
		.amdhsa_exception_fp_denorm_src 0
		.amdhsa_exception_fp_ieee_div_zero 0
		.amdhsa_exception_fp_ieee_overflow 0
		.amdhsa_exception_fp_ieee_underflow 0
		.amdhsa_exception_fp_ieee_inexact 0
		.amdhsa_exception_int_div_zero 0
	.end_amdhsa_kernel
	.section	.text._ZN7rocprim17ROCPRIM_400000_NS6detail17trampoline_kernelINS0_14default_configENS1_25partition_config_selectorILNS1_17partition_subalgoE8ElNS0_10empty_typeEbEEZZNS1_14partition_implILS5_8ELb0ES3_jPlPS6_PKS6_NS0_5tupleIJS9_S6_EEENSD_IJSA_SA_EEENS0_18inequality_wrapperIZN2at6native12_GLOBAL__N_124unique_dim_cuda_templateIdEESt5tupleIJNSH_6TensorESM_SM_EERKSM_lbbbEUlllE0_EEPmJS6_EEE10hipError_tPvRmT3_T4_T5_T6_T7_T9_mT8_P12ihipStream_tbDpT10_ENKUlT_T0_E_clISt17integral_constantIbLb1EES1B_IbLb0EEEEDaS17_S18_EUlS17_E_NS1_11comp_targetILNS1_3genE5ELNS1_11target_archE942ELNS1_3gpuE9ELNS1_3repE0EEENS1_30default_config_static_selectorELNS0_4arch9wavefront6targetE1EEEvT1_,"axG",@progbits,_ZN7rocprim17ROCPRIM_400000_NS6detail17trampoline_kernelINS0_14default_configENS1_25partition_config_selectorILNS1_17partition_subalgoE8ElNS0_10empty_typeEbEEZZNS1_14partition_implILS5_8ELb0ES3_jPlPS6_PKS6_NS0_5tupleIJS9_S6_EEENSD_IJSA_SA_EEENS0_18inequality_wrapperIZN2at6native12_GLOBAL__N_124unique_dim_cuda_templateIdEESt5tupleIJNSH_6TensorESM_SM_EERKSM_lbbbEUlllE0_EEPmJS6_EEE10hipError_tPvRmT3_T4_T5_T6_T7_T9_mT8_P12ihipStream_tbDpT10_ENKUlT_T0_E_clISt17integral_constantIbLb1EES1B_IbLb0EEEEDaS17_S18_EUlS17_E_NS1_11comp_targetILNS1_3genE5ELNS1_11target_archE942ELNS1_3gpuE9ELNS1_3repE0EEENS1_30default_config_static_selectorELNS0_4arch9wavefront6targetE1EEEvT1_,comdat
.Lfunc_end830:
	.size	_ZN7rocprim17ROCPRIM_400000_NS6detail17trampoline_kernelINS0_14default_configENS1_25partition_config_selectorILNS1_17partition_subalgoE8ElNS0_10empty_typeEbEEZZNS1_14partition_implILS5_8ELb0ES3_jPlPS6_PKS6_NS0_5tupleIJS9_S6_EEENSD_IJSA_SA_EEENS0_18inequality_wrapperIZN2at6native12_GLOBAL__N_124unique_dim_cuda_templateIdEESt5tupleIJNSH_6TensorESM_SM_EERKSM_lbbbEUlllE0_EEPmJS6_EEE10hipError_tPvRmT3_T4_T5_T6_T7_T9_mT8_P12ihipStream_tbDpT10_ENKUlT_T0_E_clISt17integral_constantIbLb1EES1B_IbLb0EEEEDaS17_S18_EUlS17_E_NS1_11comp_targetILNS1_3genE5ELNS1_11target_archE942ELNS1_3gpuE9ELNS1_3repE0EEENS1_30default_config_static_selectorELNS0_4arch9wavefront6targetE1EEEvT1_, .Lfunc_end830-_ZN7rocprim17ROCPRIM_400000_NS6detail17trampoline_kernelINS0_14default_configENS1_25partition_config_selectorILNS1_17partition_subalgoE8ElNS0_10empty_typeEbEEZZNS1_14partition_implILS5_8ELb0ES3_jPlPS6_PKS6_NS0_5tupleIJS9_S6_EEENSD_IJSA_SA_EEENS0_18inequality_wrapperIZN2at6native12_GLOBAL__N_124unique_dim_cuda_templateIdEESt5tupleIJNSH_6TensorESM_SM_EERKSM_lbbbEUlllE0_EEPmJS6_EEE10hipError_tPvRmT3_T4_T5_T6_T7_T9_mT8_P12ihipStream_tbDpT10_ENKUlT_T0_E_clISt17integral_constantIbLb1EES1B_IbLb0EEEEDaS17_S18_EUlS17_E_NS1_11comp_targetILNS1_3genE5ELNS1_11target_archE942ELNS1_3gpuE9ELNS1_3repE0EEENS1_30default_config_static_selectorELNS0_4arch9wavefront6targetE1EEEvT1_
                                        ; -- End function
	.section	.AMDGPU.csdata,"",@progbits
; Kernel info:
; codeLenInByte = 12916
; NumSgprs: 58
; NumVgprs: 52
; NumAgprs: 0
; TotalNumVgprs: 52
; ScratchSize: 0
; MemoryBound: 1
; FloatMode: 240
; IeeeMode: 1
; LDSByteSize: 28684 bytes/workgroup (compile time only)
; SGPRBlocks: 7
; VGPRBlocks: 6
; NumSGPRsForWavesPerEU: 58
; NumVGPRsForWavesPerEU: 52
; AccumOffset: 52
; Occupancy: 4
; WaveLimiterHint : 1
; COMPUTE_PGM_RSRC2:SCRATCH_EN: 0
; COMPUTE_PGM_RSRC2:USER_SGPR: 2
; COMPUTE_PGM_RSRC2:TRAP_HANDLER: 0
; COMPUTE_PGM_RSRC2:TGID_X_EN: 1
; COMPUTE_PGM_RSRC2:TGID_Y_EN: 0
; COMPUTE_PGM_RSRC2:TGID_Z_EN: 0
; COMPUTE_PGM_RSRC2:TIDIG_COMP_CNT: 0
; COMPUTE_PGM_RSRC3_GFX90A:ACCUM_OFFSET: 12
; COMPUTE_PGM_RSRC3_GFX90A:TG_SPLIT: 0
	.section	.text._ZN7rocprim17ROCPRIM_400000_NS6detail17trampoline_kernelINS0_14default_configENS1_25partition_config_selectorILNS1_17partition_subalgoE8ElNS0_10empty_typeEbEEZZNS1_14partition_implILS5_8ELb0ES3_jPlPS6_PKS6_NS0_5tupleIJS9_S6_EEENSD_IJSA_SA_EEENS0_18inequality_wrapperIZN2at6native12_GLOBAL__N_124unique_dim_cuda_templateIdEESt5tupleIJNSH_6TensorESM_SM_EERKSM_lbbbEUlllE0_EEPmJS6_EEE10hipError_tPvRmT3_T4_T5_T6_T7_T9_mT8_P12ihipStream_tbDpT10_ENKUlT_T0_E_clISt17integral_constantIbLb1EES1B_IbLb0EEEEDaS17_S18_EUlS17_E_NS1_11comp_targetILNS1_3genE4ELNS1_11target_archE910ELNS1_3gpuE8ELNS1_3repE0EEENS1_30default_config_static_selectorELNS0_4arch9wavefront6targetE1EEEvT1_,"axG",@progbits,_ZN7rocprim17ROCPRIM_400000_NS6detail17trampoline_kernelINS0_14default_configENS1_25partition_config_selectorILNS1_17partition_subalgoE8ElNS0_10empty_typeEbEEZZNS1_14partition_implILS5_8ELb0ES3_jPlPS6_PKS6_NS0_5tupleIJS9_S6_EEENSD_IJSA_SA_EEENS0_18inequality_wrapperIZN2at6native12_GLOBAL__N_124unique_dim_cuda_templateIdEESt5tupleIJNSH_6TensorESM_SM_EERKSM_lbbbEUlllE0_EEPmJS6_EEE10hipError_tPvRmT3_T4_T5_T6_T7_T9_mT8_P12ihipStream_tbDpT10_ENKUlT_T0_E_clISt17integral_constantIbLb1EES1B_IbLb0EEEEDaS17_S18_EUlS17_E_NS1_11comp_targetILNS1_3genE4ELNS1_11target_archE910ELNS1_3gpuE8ELNS1_3repE0EEENS1_30default_config_static_selectorELNS0_4arch9wavefront6targetE1EEEvT1_,comdat
	.globl	_ZN7rocprim17ROCPRIM_400000_NS6detail17trampoline_kernelINS0_14default_configENS1_25partition_config_selectorILNS1_17partition_subalgoE8ElNS0_10empty_typeEbEEZZNS1_14partition_implILS5_8ELb0ES3_jPlPS6_PKS6_NS0_5tupleIJS9_S6_EEENSD_IJSA_SA_EEENS0_18inequality_wrapperIZN2at6native12_GLOBAL__N_124unique_dim_cuda_templateIdEESt5tupleIJNSH_6TensorESM_SM_EERKSM_lbbbEUlllE0_EEPmJS6_EEE10hipError_tPvRmT3_T4_T5_T6_T7_T9_mT8_P12ihipStream_tbDpT10_ENKUlT_T0_E_clISt17integral_constantIbLb1EES1B_IbLb0EEEEDaS17_S18_EUlS17_E_NS1_11comp_targetILNS1_3genE4ELNS1_11target_archE910ELNS1_3gpuE8ELNS1_3repE0EEENS1_30default_config_static_selectorELNS0_4arch9wavefront6targetE1EEEvT1_ ; -- Begin function _ZN7rocprim17ROCPRIM_400000_NS6detail17trampoline_kernelINS0_14default_configENS1_25partition_config_selectorILNS1_17partition_subalgoE8ElNS0_10empty_typeEbEEZZNS1_14partition_implILS5_8ELb0ES3_jPlPS6_PKS6_NS0_5tupleIJS9_S6_EEENSD_IJSA_SA_EEENS0_18inequality_wrapperIZN2at6native12_GLOBAL__N_124unique_dim_cuda_templateIdEESt5tupleIJNSH_6TensorESM_SM_EERKSM_lbbbEUlllE0_EEPmJS6_EEE10hipError_tPvRmT3_T4_T5_T6_T7_T9_mT8_P12ihipStream_tbDpT10_ENKUlT_T0_E_clISt17integral_constantIbLb1EES1B_IbLb0EEEEDaS17_S18_EUlS17_E_NS1_11comp_targetILNS1_3genE4ELNS1_11target_archE910ELNS1_3gpuE8ELNS1_3repE0EEENS1_30default_config_static_selectorELNS0_4arch9wavefront6targetE1EEEvT1_
	.p2align	8
	.type	_ZN7rocprim17ROCPRIM_400000_NS6detail17trampoline_kernelINS0_14default_configENS1_25partition_config_selectorILNS1_17partition_subalgoE8ElNS0_10empty_typeEbEEZZNS1_14partition_implILS5_8ELb0ES3_jPlPS6_PKS6_NS0_5tupleIJS9_S6_EEENSD_IJSA_SA_EEENS0_18inequality_wrapperIZN2at6native12_GLOBAL__N_124unique_dim_cuda_templateIdEESt5tupleIJNSH_6TensorESM_SM_EERKSM_lbbbEUlllE0_EEPmJS6_EEE10hipError_tPvRmT3_T4_T5_T6_T7_T9_mT8_P12ihipStream_tbDpT10_ENKUlT_T0_E_clISt17integral_constantIbLb1EES1B_IbLb0EEEEDaS17_S18_EUlS17_E_NS1_11comp_targetILNS1_3genE4ELNS1_11target_archE910ELNS1_3gpuE8ELNS1_3repE0EEENS1_30default_config_static_selectorELNS0_4arch9wavefront6targetE1EEEvT1_,@function
_ZN7rocprim17ROCPRIM_400000_NS6detail17trampoline_kernelINS0_14default_configENS1_25partition_config_selectorILNS1_17partition_subalgoE8ElNS0_10empty_typeEbEEZZNS1_14partition_implILS5_8ELb0ES3_jPlPS6_PKS6_NS0_5tupleIJS9_S6_EEENSD_IJSA_SA_EEENS0_18inequality_wrapperIZN2at6native12_GLOBAL__N_124unique_dim_cuda_templateIdEESt5tupleIJNSH_6TensorESM_SM_EERKSM_lbbbEUlllE0_EEPmJS6_EEE10hipError_tPvRmT3_T4_T5_T6_T7_T9_mT8_P12ihipStream_tbDpT10_ENKUlT_T0_E_clISt17integral_constantIbLb1EES1B_IbLb0EEEEDaS17_S18_EUlS17_E_NS1_11comp_targetILNS1_3genE4ELNS1_11target_archE910ELNS1_3gpuE8ELNS1_3repE0EEENS1_30default_config_static_selectorELNS0_4arch9wavefront6targetE1EEEvT1_: ; @_ZN7rocprim17ROCPRIM_400000_NS6detail17trampoline_kernelINS0_14default_configENS1_25partition_config_selectorILNS1_17partition_subalgoE8ElNS0_10empty_typeEbEEZZNS1_14partition_implILS5_8ELb0ES3_jPlPS6_PKS6_NS0_5tupleIJS9_S6_EEENSD_IJSA_SA_EEENS0_18inequality_wrapperIZN2at6native12_GLOBAL__N_124unique_dim_cuda_templateIdEESt5tupleIJNSH_6TensorESM_SM_EERKSM_lbbbEUlllE0_EEPmJS6_EEE10hipError_tPvRmT3_T4_T5_T6_T7_T9_mT8_P12ihipStream_tbDpT10_ENKUlT_T0_E_clISt17integral_constantIbLb1EES1B_IbLb0EEEEDaS17_S18_EUlS17_E_NS1_11comp_targetILNS1_3genE4ELNS1_11target_archE910ELNS1_3gpuE8ELNS1_3repE0EEENS1_30default_config_static_selectorELNS0_4arch9wavefront6targetE1EEEvT1_
; %bb.0:
	.section	.rodata,"a",@progbits
	.p2align	6, 0x0
	.amdhsa_kernel _ZN7rocprim17ROCPRIM_400000_NS6detail17trampoline_kernelINS0_14default_configENS1_25partition_config_selectorILNS1_17partition_subalgoE8ElNS0_10empty_typeEbEEZZNS1_14partition_implILS5_8ELb0ES3_jPlPS6_PKS6_NS0_5tupleIJS9_S6_EEENSD_IJSA_SA_EEENS0_18inequality_wrapperIZN2at6native12_GLOBAL__N_124unique_dim_cuda_templateIdEESt5tupleIJNSH_6TensorESM_SM_EERKSM_lbbbEUlllE0_EEPmJS6_EEE10hipError_tPvRmT3_T4_T5_T6_T7_T9_mT8_P12ihipStream_tbDpT10_ENKUlT_T0_E_clISt17integral_constantIbLb1EES1B_IbLb0EEEEDaS17_S18_EUlS17_E_NS1_11comp_targetILNS1_3genE4ELNS1_11target_archE910ELNS1_3gpuE8ELNS1_3repE0EEENS1_30default_config_static_selectorELNS0_4arch9wavefront6targetE1EEEvT1_
		.amdhsa_group_segment_fixed_size 0
		.amdhsa_private_segment_fixed_size 0
		.amdhsa_kernarg_size 120
		.amdhsa_user_sgpr_count 2
		.amdhsa_user_sgpr_dispatch_ptr 0
		.amdhsa_user_sgpr_queue_ptr 0
		.amdhsa_user_sgpr_kernarg_segment_ptr 1
		.amdhsa_user_sgpr_dispatch_id 0
		.amdhsa_user_sgpr_kernarg_preload_length 0
		.amdhsa_user_sgpr_kernarg_preload_offset 0
		.amdhsa_user_sgpr_private_segment_size 0
		.amdhsa_uses_dynamic_stack 0
		.amdhsa_enable_private_segment 0
		.amdhsa_system_sgpr_workgroup_id_x 1
		.amdhsa_system_sgpr_workgroup_id_y 0
		.amdhsa_system_sgpr_workgroup_id_z 0
		.amdhsa_system_sgpr_workgroup_info 0
		.amdhsa_system_vgpr_workitem_id 0
		.amdhsa_next_free_vgpr 1
		.amdhsa_next_free_sgpr 0
		.amdhsa_accum_offset 4
		.amdhsa_reserve_vcc 0
		.amdhsa_float_round_mode_32 0
		.amdhsa_float_round_mode_16_64 0
		.amdhsa_float_denorm_mode_32 3
		.amdhsa_float_denorm_mode_16_64 3
		.amdhsa_dx10_clamp 1
		.amdhsa_ieee_mode 1
		.amdhsa_fp16_overflow 0
		.amdhsa_tg_split 0
		.amdhsa_exception_fp_ieee_invalid_op 0
		.amdhsa_exception_fp_denorm_src 0
		.amdhsa_exception_fp_ieee_div_zero 0
		.amdhsa_exception_fp_ieee_overflow 0
		.amdhsa_exception_fp_ieee_underflow 0
		.amdhsa_exception_fp_ieee_inexact 0
		.amdhsa_exception_int_div_zero 0
	.end_amdhsa_kernel
	.section	.text._ZN7rocprim17ROCPRIM_400000_NS6detail17trampoline_kernelINS0_14default_configENS1_25partition_config_selectorILNS1_17partition_subalgoE8ElNS0_10empty_typeEbEEZZNS1_14partition_implILS5_8ELb0ES3_jPlPS6_PKS6_NS0_5tupleIJS9_S6_EEENSD_IJSA_SA_EEENS0_18inequality_wrapperIZN2at6native12_GLOBAL__N_124unique_dim_cuda_templateIdEESt5tupleIJNSH_6TensorESM_SM_EERKSM_lbbbEUlllE0_EEPmJS6_EEE10hipError_tPvRmT3_T4_T5_T6_T7_T9_mT8_P12ihipStream_tbDpT10_ENKUlT_T0_E_clISt17integral_constantIbLb1EES1B_IbLb0EEEEDaS17_S18_EUlS17_E_NS1_11comp_targetILNS1_3genE4ELNS1_11target_archE910ELNS1_3gpuE8ELNS1_3repE0EEENS1_30default_config_static_selectorELNS0_4arch9wavefront6targetE1EEEvT1_,"axG",@progbits,_ZN7rocprim17ROCPRIM_400000_NS6detail17trampoline_kernelINS0_14default_configENS1_25partition_config_selectorILNS1_17partition_subalgoE8ElNS0_10empty_typeEbEEZZNS1_14partition_implILS5_8ELb0ES3_jPlPS6_PKS6_NS0_5tupleIJS9_S6_EEENSD_IJSA_SA_EEENS0_18inequality_wrapperIZN2at6native12_GLOBAL__N_124unique_dim_cuda_templateIdEESt5tupleIJNSH_6TensorESM_SM_EERKSM_lbbbEUlllE0_EEPmJS6_EEE10hipError_tPvRmT3_T4_T5_T6_T7_T9_mT8_P12ihipStream_tbDpT10_ENKUlT_T0_E_clISt17integral_constantIbLb1EES1B_IbLb0EEEEDaS17_S18_EUlS17_E_NS1_11comp_targetILNS1_3genE4ELNS1_11target_archE910ELNS1_3gpuE8ELNS1_3repE0EEENS1_30default_config_static_selectorELNS0_4arch9wavefront6targetE1EEEvT1_,comdat
.Lfunc_end831:
	.size	_ZN7rocprim17ROCPRIM_400000_NS6detail17trampoline_kernelINS0_14default_configENS1_25partition_config_selectorILNS1_17partition_subalgoE8ElNS0_10empty_typeEbEEZZNS1_14partition_implILS5_8ELb0ES3_jPlPS6_PKS6_NS0_5tupleIJS9_S6_EEENSD_IJSA_SA_EEENS0_18inequality_wrapperIZN2at6native12_GLOBAL__N_124unique_dim_cuda_templateIdEESt5tupleIJNSH_6TensorESM_SM_EERKSM_lbbbEUlllE0_EEPmJS6_EEE10hipError_tPvRmT3_T4_T5_T6_T7_T9_mT8_P12ihipStream_tbDpT10_ENKUlT_T0_E_clISt17integral_constantIbLb1EES1B_IbLb0EEEEDaS17_S18_EUlS17_E_NS1_11comp_targetILNS1_3genE4ELNS1_11target_archE910ELNS1_3gpuE8ELNS1_3repE0EEENS1_30default_config_static_selectorELNS0_4arch9wavefront6targetE1EEEvT1_, .Lfunc_end831-_ZN7rocprim17ROCPRIM_400000_NS6detail17trampoline_kernelINS0_14default_configENS1_25partition_config_selectorILNS1_17partition_subalgoE8ElNS0_10empty_typeEbEEZZNS1_14partition_implILS5_8ELb0ES3_jPlPS6_PKS6_NS0_5tupleIJS9_S6_EEENSD_IJSA_SA_EEENS0_18inequality_wrapperIZN2at6native12_GLOBAL__N_124unique_dim_cuda_templateIdEESt5tupleIJNSH_6TensorESM_SM_EERKSM_lbbbEUlllE0_EEPmJS6_EEE10hipError_tPvRmT3_T4_T5_T6_T7_T9_mT8_P12ihipStream_tbDpT10_ENKUlT_T0_E_clISt17integral_constantIbLb1EES1B_IbLb0EEEEDaS17_S18_EUlS17_E_NS1_11comp_targetILNS1_3genE4ELNS1_11target_archE910ELNS1_3gpuE8ELNS1_3repE0EEENS1_30default_config_static_selectorELNS0_4arch9wavefront6targetE1EEEvT1_
                                        ; -- End function
	.section	.AMDGPU.csdata,"",@progbits
; Kernel info:
; codeLenInByte = 0
; NumSgprs: 6
; NumVgprs: 0
; NumAgprs: 0
; TotalNumVgprs: 0
; ScratchSize: 0
; MemoryBound: 0
; FloatMode: 240
; IeeeMode: 1
; LDSByteSize: 0 bytes/workgroup (compile time only)
; SGPRBlocks: 0
; VGPRBlocks: 0
; NumSGPRsForWavesPerEU: 6
; NumVGPRsForWavesPerEU: 1
; AccumOffset: 4
; Occupancy: 8
; WaveLimiterHint : 0
; COMPUTE_PGM_RSRC2:SCRATCH_EN: 0
; COMPUTE_PGM_RSRC2:USER_SGPR: 2
; COMPUTE_PGM_RSRC2:TRAP_HANDLER: 0
; COMPUTE_PGM_RSRC2:TGID_X_EN: 1
; COMPUTE_PGM_RSRC2:TGID_Y_EN: 0
; COMPUTE_PGM_RSRC2:TGID_Z_EN: 0
; COMPUTE_PGM_RSRC2:TIDIG_COMP_CNT: 0
; COMPUTE_PGM_RSRC3_GFX90A:ACCUM_OFFSET: 0
; COMPUTE_PGM_RSRC3_GFX90A:TG_SPLIT: 0
	.section	.text._ZN7rocprim17ROCPRIM_400000_NS6detail17trampoline_kernelINS0_14default_configENS1_25partition_config_selectorILNS1_17partition_subalgoE8ElNS0_10empty_typeEbEEZZNS1_14partition_implILS5_8ELb0ES3_jPlPS6_PKS6_NS0_5tupleIJS9_S6_EEENSD_IJSA_SA_EEENS0_18inequality_wrapperIZN2at6native12_GLOBAL__N_124unique_dim_cuda_templateIdEESt5tupleIJNSH_6TensorESM_SM_EERKSM_lbbbEUlllE0_EEPmJS6_EEE10hipError_tPvRmT3_T4_T5_T6_T7_T9_mT8_P12ihipStream_tbDpT10_ENKUlT_T0_E_clISt17integral_constantIbLb1EES1B_IbLb0EEEEDaS17_S18_EUlS17_E_NS1_11comp_targetILNS1_3genE3ELNS1_11target_archE908ELNS1_3gpuE7ELNS1_3repE0EEENS1_30default_config_static_selectorELNS0_4arch9wavefront6targetE1EEEvT1_,"axG",@progbits,_ZN7rocprim17ROCPRIM_400000_NS6detail17trampoline_kernelINS0_14default_configENS1_25partition_config_selectorILNS1_17partition_subalgoE8ElNS0_10empty_typeEbEEZZNS1_14partition_implILS5_8ELb0ES3_jPlPS6_PKS6_NS0_5tupleIJS9_S6_EEENSD_IJSA_SA_EEENS0_18inequality_wrapperIZN2at6native12_GLOBAL__N_124unique_dim_cuda_templateIdEESt5tupleIJNSH_6TensorESM_SM_EERKSM_lbbbEUlllE0_EEPmJS6_EEE10hipError_tPvRmT3_T4_T5_T6_T7_T9_mT8_P12ihipStream_tbDpT10_ENKUlT_T0_E_clISt17integral_constantIbLb1EES1B_IbLb0EEEEDaS17_S18_EUlS17_E_NS1_11comp_targetILNS1_3genE3ELNS1_11target_archE908ELNS1_3gpuE7ELNS1_3repE0EEENS1_30default_config_static_selectorELNS0_4arch9wavefront6targetE1EEEvT1_,comdat
	.globl	_ZN7rocprim17ROCPRIM_400000_NS6detail17trampoline_kernelINS0_14default_configENS1_25partition_config_selectorILNS1_17partition_subalgoE8ElNS0_10empty_typeEbEEZZNS1_14partition_implILS5_8ELb0ES3_jPlPS6_PKS6_NS0_5tupleIJS9_S6_EEENSD_IJSA_SA_EEENS0_18inequality_wrapperIZN2at6native12_GLOBAL__N_124unique_dim_cuda_templateIdEESt5tupleIJNSH_6TensorESM_SM_EERKSM_lbbbEUlllE0_EEPmJS6_EEE10hipError_tPvRmT3_T4_T5_T6_T7_T9_mT8_P12ihipStream_tbDpT10_ENKUlT_T0_E_clISt17integral_constantIbLb1EES1B_IbLb0EEEEDaS17_S18_EUlS17_E_NS1_11comp_targetILNS1_3genE3ELNS1_11target_archE908ELNS1_3gpuE7ELNS1_3repE0EEENS1_30default_config_static_selectorELNS0_4arch9wavefront6targetE1EEEvT1_ ; -- Begin function _ZN7rocprim17ROCPRIM_400000_NS6detail17trampoline_kernelINS0_14default_configENS1_25partition_config_selectorILNS1_17partition_subalgoE8ElNS0_10empty_typeEbEEZZNS1_14partition_implILS5_8ELb0ES3_jPlPS6_PKS6_NS0_5tupleIJS9_S6_EEENSD_IJSA_SA_EEENS0_18inequality_wrapperIZN2at6native12_GLOBAL__N_124unique_dim_cuda_templateIdEESt5tupleIJNSH_6TensorESM_SM_EERKSM_lbbbEUlllE0_EEPmJS6_EEE10hipError_tPvRmT3_T4_T5_T6_T7_T9_mT8_P12ihipStream_tbDpT10_ENKUlT_T0_E_clISt17integral_constantIbLb1EES1B_IbLb0EEEEDaS17_S18_EUlS17_E_NS1_11comp_targetILNS1_3genE3ELNS1_11target_archE908ELNS1_3gpuE7ELNS1_3repE0EEENS1_30default_config_static_selectorELNS0_4arch9wavefront6targetE1EEEvT1_
	.p2align	8
	.type	_ZN7rocprim17ROCPRIM_400000_NS6detail17trampoline_kernelINS0_14default_configENS1_25partition_config_selectorILNS1_17partition_subalgoE8ElNS0_10empty_typeEbEEZZNS1_14partition_implILS5_8ELb0ES3_jPlPS6_PKS6_NS0_5tupleIJS9_S6_EEENSD_IJSA_SA_EEENS0_18inequality_wrapperIZN2at6native12_GLOBAL__N_124unique_dim_cuda_templateIdEESt5tupleIJNSH_6TensorESM_SM_EERKSM_lbbbEUlllE0_EEPmJS6_EEE10hipError_tPvRmT3_T4_T5_T6_T7_T9_mT8_P12ihipStream_tbDpT10_ENKUlT_T0_E_clISt17integral_constantIbLb1EES1B_IbLb0EEEEDaS17_S18_EUlS17_E_NS1_11comp_targetILNS1_3genE3ELNS1_11target_archE908ELNS1_3gpuE7ELNS1_3repE0EEENS1_30default_config_static_selectorELNS0_4arch9wavefront6targetE1EEEvT1_,@function
_ZN7rocprim17ROCPRIM_400000_NS6detail17trampoline_kernelINS0_14default_configENS1_25partition_config_selectorILNS1_17partition_subalgoE8ElNS0_10empty_typeEbEEZZNS1_14partition_implILS5_8ELb0ES3_jPlPS6_PKS6_NS0_5tupleIJS9_S6_EEENSD_IJSA_SA_EEENS0_18inequality_wrapperIZN2at6native12_GLOBAL__N_124unique_dim_cuda_templateIdEESt5tupleIJNSH_6TensorESM_SM_EERKSM_lbbbEUlllE0_EEPmJS6_EEE10hipError_tPvRmT3_T4_T5_T6_T7_T9_mT8_P12ihipStream_tbDpT10_ENKUlT_T0_E_clISt17integral_constantIbLb1EES1B_IbLb0EEEEDaS17_S18_EUlS17_E_NS1_11comp_targetILNS1_3genE3ELNS1_11target_archE908ELNS1_3gpuE7ELNS1_3repE0EEENS1_30default_config_static_selectorELNS0_4arch9wavefront6targetE1EEEvT1_: ; @_ZN7rocprim17ROCPRIM_400000_NS6detail17trampoline_kernelINS0_14default_configENS1_25partition_config_selectorILNS1_17partition_subalgoE8ElNS0_10empty_typeEbEEZZNS1_14partition_implILS5_8ELb0ES3_jPlPS6_PKS6_NS0_5tupleIJS9_S6_EEENSD_IJSA_SA_EEENS0_18inequality_wrapperIZN2at6native12_GLOBAL__N_124unique_dim_cuda_templateIdEESt5tupleIJNSH_6TensorESM_SM_EERKSM_lbbbEUlllE0_EEPmJS6_EEE10hipError_tPvRmT3_T4_T5_T6_T7_T9_mT8_P12ihipStream_tbDpT10_ENKUlT_T0_E_clISt17integral_constantIbLb1EES1B_IbLb0EEEEDaS17_S18_EUlS17_E_NS1_11comp_targetILNS1_3genE3ELNS1_11target_archE908ELNS1_3gpuE7ELNS1_3repE0EEENS1_30default_config_static_selectorELNS0_4arch9wavefront6targetE1EEEvT1_
; %bb.0:
	.section	.rodata,"a",@progbits
	.p2align	6, 0x0
	.amdhsa_kernel _ZN7rocprim17ROCPRIM_400000_NS6detail17trampoline_kernelINS0_14default_configENS1_25partition_config_selectorILNS1_17partition_subalgoE8ElNS0_10empty_typeEbEEZZNS1_14partition_implILS5_8ELb0ES3_jPlPS6_PKS6_NS0_5tupleIJS9_S6_EEENSD_IJSA_SA_EEENS0_18inequality_wrapperIZN2at6native12_GLOBAL__N_124unique_dim_cuda_templateIdEESt5tupleIJNSH_6TensorESM_SM_EERKSM_lbbbEUlllE0_EEPmJS6_EEE10hipError_tPvRmT3_T4_T5_T6_T7_T9_mT8_P12ihipStream_tbDpT10_ENKUlT_T0_E_clISt17integral_constantIbLb1EES1B_IbLb0EEEEDaS17_S18_EUlS17_E_NS1_11comp_targetILNS1_3genE3ELNS1_11target_archE908ELNS1_3gpuE7ELNS1_3repE0EEENS1_30default_config_static_selectorELNS0_4arch9wavefront6targetE1EEEvT1_
		.amdhsa_group_segment_fixed_size 0
		.amdhsa_private_segment_fixed_size 0
		.amdhsa_kernarg_size 120
		.amdhsa_user_sgpr_count 2
		.amdhsa_user_sgpr_dispatch_ptr 0
		.amdhsa_user_sgpr_queue_ptr 0
		.amdhsa_user_sgpr_kernarg_segment_ptr 1
		.amdhsa_user_sgpr_dispatch_id 0
		.amdhsa_user_sgpr_kernarg_preload_length 0
		.amdhsa_user_sgpr_kernarg_preload_offset 0
		.amdhsa_user_sgpr_private_segment_size 0
		.amdhsa_uses_dynamic_stack 0
		.amdhsa_enable_private_segment 0
		.amdhsa_system_sgpr_workgroup_id_x 1
		.amdhsa_system_sgpr_workgroup_id_y 0
		.amdhsa_system_sgpr_workgroup_id_z 0
		.amdhsa_system_sgpr_workgroup_info 0
		.amdhsa_system_vgpr_workitem_id 0
		.amdhsa_next_free_vgpr 1
		.amdhsa_next_free_sgpr 0
		.amdhsa_accum_offset 4
		.amdhsa_reserve_vcc 0
		.amdhsa_float_round_mode_32 0
		.amdhsa_float_round_mode_16_64 0
		.amdhsa_float_denorm_mode_32 3
		.amdhsa_float_denorm_mode_16_64 3
		.amdhsa_dx10_clamp 1
		.amdhsa_ieee_mode 1
		.amdhsa_fp16_overflow 0
		.amdhsa_tg_split 0
		.amdhsa_exception_fp_ieee_invalid_op 0
		.amdhsa_exception_fp_denorm_src 0
		.amdhsa_exception_fp_ieee_div_zero 0
		.amdhsa_exception_fp_ieee_overflow 0
		.amdhsa_exception_fp_ieee_underflow 0
		.amdhsa_exception_fp_ieee_inexact 0
		.amdhsa_exception_int_div_zero 0
	.end_amdhsa_kernel
	.section	.text._ZN7rocprim17ROCPRIM_400000_NS6detail17trampoline_kernelINS0_14default_configENS1_25partition_config_selectorILNS1_17partition_subalgoE8ElNS0_10empty_typeEbEEZZNS1_14partition_implILS5_8ELb0ES3_jPlPS6_PKS6_NS0_5tupleIJS9_S6_EEENSD_IJSA_SA_EEENS0_18inequality_wrapperIZN2at6native12_GLOBAL__N_124unique_dim_cuda_templateIdEESt5tupleIJNSH_6TensorESM_SM_EERKSM_lbbbEUlllE0_EEPmJS6_EEE10hipError_tPvRmT3_T4_T5_T6_T7_T9_mT8_P12ihipStream_tbDpT10_ENKUlT_T0_E_clISt17integral_constantIbLb1EES1B_IbLb0EEEEDaS17_S18_EUlS17_E_NS1_11comp_targetILNS1_3genE3ELNS1_11target_archE908ELNS1_3gpuE7ELNS1_3repE0EEENS1_30default_config_static_selectorELNS0_4arch9wavefront6targetE1EEEvT1_,"axG",@progbits,_ZN7rocprim17ROCPRIM_400000_NS6detail17trampoline_kernelINS0_14default_configENS1_25partition_config_selectorILNS1_17partition_subalgoE8ElNS0_10empty_typeEbEEZZNS1_14partition_implILS5_8ELb0ES3_jPlPS6_PKS6_NS0_5tupleIJS9_S6_EEENSD_IJSA_SA_EEENS0_18inequality_wrapperIZN2at6native12_GLOBAL__N_124unique_dim_cuda_templateIdEESt5tupleIJNSH_6TensorESM_SM_EERKSM_lbbbEUlllE0_EEPmJS6_EEE10hipError_tPvRmT3_T4_T5_T6_T7_T9_mT8_P12ihipStream_tbDpT10_ENKUlT_T0_E_clISt17integral_constantIbLb1EES1B_IbLb0EEEEDaS17_S18_EUlS17_E_NS1_11comp_targetILNS1_3genE3ELNS1_11target_archE908ELNS1_3gpuE7ELNS1_3repE0EEENS1_30default_config_static_selectorELNS0_4arch9wavefront6targetE1EEEvT1_,comdat
.Lfunc_end832:
	.size	_ZN7rocprim17ROCPRIM_400000_NS6detail17trampoline_kernelINS0_14default_configENS1_25partition_config_selectorILNS1_17partition_subalgoE8ElNS0_10empty_typeEbEEZZNS1_14partition_implILS5_8ELb0ES3_jPlPS6_PKS6_NS0_5tupleIJS9_S6_EEENSD_IJSA_SA_EEENS0_18inequality_wrapperIZN2at6native12_GLOBAL__N_124unique_dim_cuda_templateIdEESt5tupleIJNSH_6TensorESM_SM_EERKSM_lbbbEUlllE0_EEPmJS6_EEE10hipError_tPvRmT3_T4_T5_T6_T7_T9_mT8_P12ihipStream_tbDpT10_ENKUlT_T0_E_clISt17integral_constantIbLb1EES1B_IbLb0EEEEDaS17_S18_EUlS17_E_NS1_11comp_targetILNS1_3genE3ELNS1_11target_archE908ELNS1_3gpuE7ELNS1_3repE0EEENS1_30default_config_static_selectorELNS0_4arch9wavefront6targetE1EEEvT1_, .Lfunc_end832-_ZN7rocprim17ROCPRIM_400000_NS6detail17trampoline_kernelINS0_14default_configENS1_25partition_config_selectorILNS1_17partition_subalgoE8ElNS0_10empty_typeEbEEZZNS1_14partition_implILS5_8ELb0ES3_jPlPS6_PKS6_NS0_5tupleIJS9_S6_EEENSD_IJSA_SA_EEENS0_18inequality_wrapperIZN2at6native12_GLOBAL__N_124unique_dim_cuda_templateIdEESt5tupleIJNSH_6TensorESM_SM_EERKSM_lbbbEUlllE0_EEPmJS6_EEE10hipError_tPvRmT3_T4_T5_T6_T7_T9_mT8_P12ihipStream_tbDpT10_ENKUlT_T0_E_clISt17integral_constantIbLb1EES1B_IbLb0EEEEDaS17_S18_EUlS17_E_NS1_11comp_targetILNS1_3genE3ELNS1_11target_archE908ELNS1_3gpuE7ELNS1_3repE0EEENS1_30default_config_static_selectorELNS0_4arch9wavefront6targetE1EEEvT1_
                                        ; -- End function
	.section	.AMDGPU.csdata,"",@progbits
; Kernel info:
; codeLenInByte = 0
; NumSgprs: 6
; NumVgprs: 0
; NumAgprs: 0
; TotalNumVgprs: 0
; ScratchSize: 0
; MemoryBound: 0
; FloatMode: 240
; IeeeMode: 1
; LDSByteSize: 0 bytes/workgroup (compile time only)
; SGPRBlocks: 0
; VGPRBlocks: 0
; NumSGPRsForWavesPerEU: 6
; NumVGPRsForWavesPerEU: 1
; AccumOffset: 4
; Occupancy: 8
; WaveLimiterHint : 0
; COMPUTE_PGM_RSRC2:SCRATCH_EN: 0
; COMPUTE_PGM_RSRC2:USER_SGPR: 2
; COMPUTE_PGM_RSRC2:TRAP_HANDLER: 0
; COMPUTE_PGM_RSRC2:TGID_X_EN: 1
; COMPUTE_PGM_RSRC2:TGID_Y_EN: 0
; COMPUTE_PGM_RSRC2:TGID_Z_EN: 0
; COMPUTE_PGM_RSRC2:TIDIG_COMP_CNT: 0
; COMPUTE_PGM_RSRC3_GFX90A:ACCUM_OFFSET: 0
; COMPUTE_PGM_RSRC3_GFX90A:TG_SPLIT: 0
	.section	.text._ZN7rocprim17ROCPRIM_400000_NS6detail17trampoline_kernelINS0_14default_configENS1_25partition_config_selectorILNS1_17partition_subalgoE8ElNS0_10empty_typeEbEEZZNS1_14partition_implILS5_8ELb0ES3_jPlPS6_PKS6_NS0_5tupleIJS9_S6_EEENSD_IJSA_SA_EEENS0_18inequality_wrapperIZN2at6native12_GLOBAL__N_124unique_dim_cuda_templateIdEESt5tupleIJNSH_6TensorESM_SM_EERKSM_lbbbEUlllE0_EEPmJS6_EEE10hipError_tPvRmT3_T4_T5_T6_T7_T9_mT8_P12ihipStream_tbDpT10_ENKUlT_T0_E_clISt17integral_constantIbLb1EES1B_IbLb0EEEEDaS17_S18_EUlS17_E_NS1_11comp_targetILNS1_3genE2ELNS1_11target_archE906ELNS1_3gpuE6ELNS1_3repE0EEENS1_30default_config_static_selectorELNS0_4arch9wavefront6targetE1EEEvT1_,"axG",@progbits,_ZN7rocprim17ROCPRIM_400000_NS6detail17trampoline_kernelINS0_14default_configENS1_25partition_config_selectorILNS1_17partition_subalgoE8ElNS0_10empty_typeEbEEZZNS1_14partition_implILS5_8ELb0ES3_jPlPS6_PKS6_NS0_5tupleIJS9_S6_EEENSD_IJSA_SA_EEENS0_18inequality_wrapperIZN2at6native12_GLOBAL__N_124unique_dim_cuda_templateIdEESt5tupleIJNSH_6TensorESM_SM_EERKSM_lbbbEUlllE0_EEPmJS6_EEE10hipError_tPvRmT3_T4_T5_T6_T7_T9_mT8_P12ihipStream_tbDpT10_ENKUlT_T0_E_clISt17integral_constantIbLb1EES1B_IbLb0EEEEDaS17_S18_EUlS17_E_NS1_11comp_targetILNS1_3genE2ELNS1_11target_archE906ELNS1_3gpuE6ELNS1_3repE0EEENS1_30default_config_static_selectorELNS0_4arch9wavefront6targetE1EEEvT1_,comdat
	.globl	_ZN7rocprim17ROCPRIM_400000_NS6detail17trampoline_kernelINS0_14default_configENS1_25partition_config_selectorILNS1_17partition_subalgoE8ElNS0_10empty_typeEbEEZZNS1_14partition_implILS5_8ELb0ES3_jPlPS6_PKS6_NS0_5tupleIJS9_S6_EEENSD_IJSA_SA_EEENS0_18inequality_wrapperIZN2at6native12_GLOBAL__N_124unique_dim_cuda_templateIdEESt5tupleIJNSH_6TensorESM_SM_EERKSM_lbbbEUlllE0_EEPmJS6_EEE10hipError_tPvRmT3_T4_T5_T6_T7_T9_mT8_P12ihipStream_tbDpT10_ENKUlT_T0_E_clISt17integral_constantIbLb1EES1B_IbLb0EEEEDaS17_S18_EUlS17_E_NS1_11comp_targetILNS1_3genE2ELNS1_11target_archE906ELNS1_3gpuE6ELNS1_3repE0EEENS1_30default_config_static_selectorELNS0_4arch9wavefront6targetE1EEEvT1_ ; -- Begin function _ZN7rocprim17ROCPRIM_400000_NS6detail17trampoline_kernelINS0_14default_configENS1_25partition_config_selectorILNS1_17partition_subalgoE8ElNS0_10empty_typeEbEEZZNS1_14partition_implILS5_8ELb0ES3_jPlPS6_PKS6_NS0_5tupleIJS9_S6_EEENSD_IJSA_SA_EEENS0_18inequality_wrapperIZN2at6native12_GLOBAL__N_124unique_dim_cuda_templateIdEESt5tupleIJNSH_6TensorESM_SM_EERKSM_lbbbEUlllE0_EEPmJS6_EEE10hipError_tPvRmT3_T4_T5_T6_T7_T9_mT8_P12ihipStream_tbDpT10_ENKUlT_T0_E_clISt17integral_constantIbLb1EES1B_IbLb0EEEEDaS17_S18_EUlS17_E_NS1_11comp_targetILNS1_3genE2ELNS1_11target_archE906ELNS1_3gpuE6ELNS1_3repE0EEENS1_30default_config_static_selectorELNS0_4arch9wavefront6targetE1EEEvT1_
	.p2align	8
	.type	_ZN7rocprim17ROCPRIM_400000_NS6detail17trampoline_kernelINS0_14default_configENS1_25partition_config_selectorILNS1_17partition_subalgoE8ElNS0_10empty_typeEbEEZZNS1_14partition_implILS5_8ELb0ES3_jPlPS6_PKS6_NS0_5tupleIJS9_S6_EEENSD_IJSA_SA_EEENS0_18inequality_wrapperIZN2at6native12_GLOBAL__N_124unique_dim_cuda_templateIdEESt5tupleIJNSH_6TensorESM_SM_EERKSM_lbbbEUlllE0_EEPmJS6_EEE10hipError_tPvRmT3_T4_T5_T6_T7_T9_mT8_P12ihipStream_tbDpT10_ENKUlT_T0_E_clISt17integral_constantIbLb1EES1B_IbLb0EEEEDaS17_S18_EUlS17_E_NS1_11comp_targetILNS1_3genE2ELNS1_11target_archE906ELNS1_3gpuE6ELNS1_3repE0EEENS1_30default_config_static_selectorELNS0_4arch9wavefront6targetE1EEEvT1_,@function
_ZN7rocprim17ROCPRIM_400000_NS6detail17trampoline_kernelINS0_14default_configENS1_25partition_config_selectorILNS1_17partition_subalgoE8ElNS0_10empty_typeEbEEZZNS1_14partition_implILS5_8ELb0ES3_jPlPS6_PKS6_NS0_5tupleIJS9_S6_EEENSD_IJSA_SA_EEENS0_18inequality_wrapperIZN2at6native12_GLOBAL__N_124unique_dim_cuda_templateIdEESt5tupleIJNSH_6TensorESM_SM_EERKSM_lbbbEUlllE0_EEPmJS6_EEE10hipError_tPvRmT3_T4_T5_T6_T7_T9_mT8_P12ihipStream_tbDpT10_ENKUlT_T0_E_clISt17integral_constantIbLb1EES1B_IbLb0EEEEDaS17_S18_EUlS17_E_NS1_11comp_targetILNS1_3genE2ELNS1_11target_archE906ELNS1_3gpuE6ELNS1_3repE0EEENS1_30default_config_static_selectorELNS0_4arch9wavefront6targetE1EEEvT1_: ; @_ZN7rocprim17ROCPRIM_400000_NS6detail17trampoline_kernelINS0_14default_configENS1_25partition_config_selectorILNS1_17partition_subalgoE8ElNS0_10empty_typeEbEEZZNS1_14partition_implILS5_8ELb0ES3_jPlPS6_PKS6_NS0_5tupleIJS9_S6_EEENSD_IJSA_SA_EEENS0_18inequality_wrapperIZN2at6native12_GLOBAL__N_124unique_dim_cuda_templateIdEESt5tupleIJNSH_6TensorESM_SM_EERKSM_lbbbEUlllE0_EEPmJS6_EEE10hipError_tPvRmT3_T4_T5_T6_T7_T9_mT8_P12ihipStream_tbDpT10_ENKUlT_T0_E_clISt17integral_constantIbLb1EES1B_IbLb0EEEEDaS17_S18_EUlS17_E_NS1_11comp_targetILNS1_3genE2ELNS1_11target_archE906ELNS1_3gpuE6ELNS1_3repE0EEENS1_30default_config_static_selectorELNS0_4arch9wavefront6targetE1EEEvT1_
; %bb.0:
	.section	.rodata,"a",@progbits
	.p2align	6, 0x0
	.amdhsa_kernel _ZN7rocprim17ROCPRIM_400000_NS6detail17trampoline_kernelINS0_14default_configENS1_25partition_config_selectorILNS1_17partition_subalgoE8ElNS0_10empty_typeEbEEZZNS1_14partition_implILS5_8ELb0ES3_jPlPS6_PKS6_NS0_5tupleIJS9_S6_EEENSD_IJSA_SA_EEENS0_18inequality_wrapperIZN2at6native12_GLOBAL__N_124unique_dim_cuda_templateIdEESt5tupleIJNSH_6TensorESM_SM_EERKSM_lbbbEUlllE0_EEPmJS6_EEE10hipError_tPvRmT3_T4_T5_T6_T7_T9_mT8_P12ihipStream_tbDpT10_ENKUlT_T0_E_clISt17integral_constantIbLb1EES1B_IbLb0EEEEDaS17_S18_EUlS17_E_NS1_11comp_targetILNS1_3genE2ELNS1_11target_archE906ELNS1_3gpuE6ELNS1_3repE0EEENS1_30default_config_static_selectorELNS0_4arch9wavefront6targetE1EEEvT1_
		.amdhsa_group_segment_fixed_size 0
		.amdhsa_private_segment_fixed_size 0
		.amdhsa_kernarg_size 120
		.amdhsa_user_sgpr_count 2
		.amdhsa_user_sgpr_dispatch_ptr 0
		.amdhsa_user_sgpr_queue_ptr 0
		.amdhsa_user_sgpr_kernarg_segment_ptr 1
		.amdhsa_user_sgpr_dispatch_id 0
		.amdhsa_user_sgpr_kernarg_preload_length 0
		.amdhsa_user_sgpr_kernarg_preload_offset 0
		.amdhsa_user_sgpr_private_segment_size 0
		.amdhsa_uses_dynamic_stack 0
		.amdhsa_enable_private_segment 0
		.amdhsa_system_sgpr_workgroup_id_x 1
		.amdhsa_system_sgpr_workgroup_id_y 0
		.amdhsa_system_sgpr_workgroup_id_z 0
		.amdhsa_system_sgpr_workgroup_info 0
		.amdhsa_system_vgpr_workitem_id 0
		.amdhsa_next_free_vgpr 1
		.amdhsa_next_free_sgpr 0
		.amdhsa_accum_offset 4
		.amdhsa_reserve_vcc 0
		.amdhsa_float_round_mode_32 0
		.amdhsa_float_round_mode_16_64 0
		.amdhsa_float_denorm_mode_32 3
		.amdhsa_float_denorm_mode_16_64 3
		.amdhsa_dx10_clamp 1
		.amdhsa_ieee_mode 1
		.amdhsa_fp16_overflow 0
		.amdhsa_tg_split 0
		.amdhsa_exception_fp_ieee_invalid_op 0
		.amdhsa_exception_fp_denorm_src 0
		.amdhsa_exception_fp_ieee_div_zero 0
		.amdhsa_exception_fp_ieee_overflow 0
		.amdhsa_exception_fp_ieee_underflow 0
		.amdhsa_exception_fp_ieee_inexact 0
		.amdhsa_exception_int_div_zero 0
	.end_amdhsa_kernel
	.section	.text._ZN7rocprim17ROCPRIM_400000_NS6detail17trampoline_kernelINS0_14default_configENS1_25partition_config_selectorILNS1_17partition_subalgoE8ElNS0_10empty_typeEbEEZZNS1_14partition_implILS5_8ELb0ES3_jPlPS6_PKS6_NS0_5tupleIJS9_S6_EEENSD_IJSA_SA_EEENS0_18inequality_wrapperIZN2at6native12_GLOBAL__N_124unique_dim_cuda_templateIdEESt5tupleIJNSH_6TensorESM_SM_EERKSM_lbbbEUlllE0_EEPmJS6_EEE10hipError_tPvRmT3_T4_T5_T6_T7_T9_mT8_P12ihipStream_tbDpT10_ENKUlT_T0_E_clISt17integral_constantIbLb1EES1B_IbLb0EEEEDaS17_S18_EUlS17_E_NS1_11comp_targetILNS1_3genE2ELNS1_11target_archE906ELNS1_3gpuE6ELNS1_3repE0EEENS1_30default_config_static_selectorELNS0_4arch9wavefront6targetE1EEEvT1_,"axG",@progbits,_ZN7rocprim17ROCPRIM_400000_NS6detail17trampoline_kernelINS0_14default_configENS1_25partition_config_selectorILNS1_17partition_subalgoE8ElNS0_10empty_typeEbEEZZNS1_14partition_implILS5_8ELb0ES3_jPlPS6_PKS6_NS0_5tupleIJS9_S6_EEENSD_IJSA_SA_EEENS0_18inequality_wrapperIZN2at6native12_GLOBAL__N_124unique_dim_cuda_templateIdEESt5tupleIJNSH_6TensorESM_SM_EERKSM_lbbbEUlllE0_EEPmJS6_EEE10hipError_tPvRmT3_T4_T5_T6_T7_T9_mT8_P12ihipStream_tbDpT10_ENKUlT_T0_E_clISt17integral_constantIbLb1EES1B_IbLb0EEEEDaS17_S18_EUlS17_E_NS1_11comp_targetILNS1_3genE2ELNS1_11target_archE906ELNS1_3gpuE6ELNS1_3repE0EEENS1_30default_config_static_selectorELNS0_4arch9wavefront6targetE1EEEvT1_,comdat
.Lfunc_end833:
	.size	_ZN7rocprim17ROCPRIM_400000_NS6detail17trampoline_kernelINS0_14default_configENS1_25partition_config_selectorILNS1_17partition_subalgoE8ElNS0_10empty_typeEbEEZZNS1_14partition_implILS5_8ELb0ES3_jPlPS6_PKS6_NS0_5tupleIJS9_S6_EEENSD_IJSA_SA_EEENS0_18inequality_wrapperIZN2at6native12_GLOBAL__N_124unique_dim_cuda_templateIdEESt5tupleIJNSH_6TensorESM_SM_EERKSM_lbbbEUlllE0_EEPmJS6_EEE10hipError_tPvRmT3_T4_T5_T6_T7_T9_mT8_P12ihipStream_tbDpT10_ENKUlT_T0_E_clISt17integral_constantIbLb1EES1B_IbLb0EEEEDaS17_S18_EUlS17_E_NS1_11comp_targetILNS1_3genE2ELNS1_11target_archE906ELNS1_3gpuE6ELNS1_3repE0EEENS1_30default_config_static_selectorELNS0_4arch9wavefront6targetE1EEEvT1_, .Lfunc_end833-_ZN7rocprim17ROCPRIM_400000_NS6detail17trampoline_kernelINS0_14default_configENS1_25partition_config_selectorILNS1_17partition_subalgoE8ElNS0_10empty_typeEbEEZZNS1_14partition_implILS5_8ELb0ES3_jPlPS6_PKS6_NS0_5tupleIJS9_S6_EEENSD_IJSA_SA_EEENS0_18inequality_wrapperIZN2at6native12_GLOBAL__N_124unique_dim_cuda_templateIdEESt5tupleIJNSH_6TensorESM_SM_EERKSM_lbbbEUlllE0_EEPmJS6_EEE10hipError_tPvRmT3_T4_T5_T6_T7_T9_mT8_P12ihipStream_tbDpT10_ENKUlT_T0_E_clISt17integral_constantIbLb1EES1B_IbLb0EEEEDaS17_S18_EUlS17_E_NS1_11comp_targetILNS1_3genE2ELNS1_11target_archE906ELNS1_3gpuE6ELNS1_3repE0EEENS1_30default_config_static_selectorELNS0_4arch9wavefront6targetE1EEEvT1_
                                        ; -- End function
	.section	.AMDGPU.csdata,"",@progbits
; Kernel info:
; codeLenInByte = 0
; NumSgprs: 6
; NumVgprs: 0
; NumAgprs: 0
; TotalNumVgprs: 0
; ScratchSize: 0
; MemoryBound: 0
; FloatMode: 240
; IeeeMode: 1
; LDSByteSize: 0 bytes/workgroup (compile time only)
; SGPRBlocks: 0
; VGPRBlocks: 0
; NumSGPRsForWavesPerEU: 6
; NumVGPRsForWavesPerEU: 1
; AccumOffset: 4
; Occupancy: 8
; WaveLimiterHint : 0
; COMPUTE_PGM_RSRC2:SCRATCH_EN: 0
; COMPUTE_PGM_RSRC2:USER_SGPR: 2
; COMPUTE_PGM_RSRC2:TRAP_HANDLER: 0
; COMPUTE_PGM_RSRC2:TGID_X_EN: 1
; COMPUTE_PGM_RSRC2:TGID_Y_EN: 0
; COMPUTE_PGM_RSRC2:TGID_Z_EN: 0
; COMPUTE_PGM_RSRC2:TIDIG_COMP_CNT: 0
; COMPUTE_PGM_RSRC3_GFX90A:ACCUM_OFFSET: 0
; COMPUTE_PGM_RSRC3_GFX90A:TG_SPLIT: 0
	.section	.text._ZN7rocprim17ROCPRIM_400000_NS6detail17trampoline_kernelINS0_14default_configENS1_25partition_config_selectorILNS1_17partition_subalgoE8ElNS0_10empty_typeEbEEZZNS1_14partition_implILS5_8ELb0ES3_jPlPS6_PKS6_NS0_5tupleIJS9_S6_EEENSD_IJSA_SA_EEENS0_18inequality_wrapperIZN2at6native12_GLOBAL__N_124unique_dim_cuda_templateIdEESt5tupleIJNSH_6TensorESM_SM_EERKSM_lbbbEUlllE0_EEPmJS6_EEE10hipError_tPvRmT3_T4_T5_T6_T7_T9_mT8_P12ihipStream_tbDpT10_ENKUlT_T0_E_clISt17integral_constantIbLb1EES1B_IbLb0EEEEDaS17_S18_EUlS17_E_NS1_11comp_targetILNS1_3genE10ELNS1_11target_archE1200ELNS1_3gpuE4ELNS1_3repE0EEENS1_30default_config_static_selectorELNS0_4arch9wavefront6targetE1EEEvT1_,"axG",@progbits,_ZN7rocprim17ROCPRIM_400000_NS6detail17trampoline_kernelINS0_14default_configENS1_25partition_config_selectorILNS1_17partition_subalgoE8ElNS0_10empty_typeEbEEZZNS1_14partition_implILS5_8ELb0ES3_jPlPS6_PKS6_NS0_5tupleIJS9_S6_EEENSD_IJSA_SA_EEENS0_18inequality_wrapperIZN2at6native12_GLOBAL__N_124unique_dim_cuda_templateIdEESt5tupleIJNSH_6TensorESM_SM_EERKSM_lbbbEUlllE0_EEPmJS6_EEE10hipError_tPvRmT3_T4_T5_T6_T7_T9_mT8_P12ihipStream_tbDpT10_ENKUlT_T0_E_clISt17integral_constantIbLb1EES1B_IbLb0EEEEDaS17_S18_EUlS17_E_NS1_11comp_targetILNS1_3genE10ELNS1_11target_archE1200ELNS1_3gpuE4ELNS1_3repE0EEENS1_30default_config_static_selectorELNS0_4arch9wavefront6targetE1EEEvT1_,comdat
	.globl	_ZN7rocprim17ROCPRIM_400000_NS6detail17trampoline_kernelINS0_14default_configENS1_25partition_config_selectorILNS1_17partition_subalgoE8ElNS0_10empty_typeEbEEZZNS1_14partition_implILS5_8ELb0ES3_jPlPS6_PKS6_NS0_5tupleIJS9_S6_EEENSD_IJSA_SA_EEENS0_18inequality_wrapperIZN2at6native12_GLOBAL__N_124unique_dim_cuda_templateIdEESt5tupleIJNSH_6TensorESM_SM_EERKSM_lbbbEUlllE0_EEPmJS6_EEE10hipError_tPvRmT3_T4_T5_T6_T7_T9_mT8_P12ihipStream_tbDpT10_ENKUlT_T0_E_clISt17integral_constantIbLb1EES1B_IbLb0EEEEDaS17_S18_EUlS17_E_NS1_11comp_targetILNS1_3genE10ELNS1_11target_archE1200ELNS1_3gpuE4ELNS1_3repE0EEENS1_30default_config_static_selectorELNS0_4arch9wavefront6targetE1EEEvT1_ ; -- Begin function _ZN7rocprim17ROCPRIM_400000_NS6detail17trampoline_kernelINS0_14default_configENS1_25partition_config_selectorILNS1_17partition_subalgoE8ElNS0_10empty_typeEbEEZZNS1_14partition_implILS5_8ELb0ES3_jPlPS6_PKS6_NS0_5tupleIJS9_S6_EEENSD_IJSA_SA_EEENS0_18inequality_wrapperIZN2at6native12_GLOBAL__N_124unique_dim_cuda_templateIdEESt5tupleIJNSH_6TensorESM_SM_EERKSM_lbbbEUlllE0_EEPmJS6_EEE10hipError_tPvRmT3_T4_T5_T6_T7_T9_mT8_P12ihipStream_tbDpT10_ENKUlT_T0_E_clISt17integral_constantIbLb1EES1B_IbLb0EEEEDaS17_S18_EUlS17_E_NS1_11comp_targetILNS1_3genE10ELNS1_11target_archE1200ELNS1_3gpuE4ELNS1_3repE0EEENS1_30default_config_static_selectorELNS0_4arch9wavefront6targetE1EEEvT1_
	.p2align	8
	.type	_ZN7rocprim17ROCPRIM_400000_NS6detail17trampoline_kernelINS0_14default_configENS1_25partition_config_selectorILNS1_17partition_subalgoE8ElNS0_10empty_typeEbEEZZNS1_14partition_implILS5_8ELb0ES3_jPlPS6_PKS6_NS0_5tupleIJS9_S6_EEENSD_IJSA_SA_EEENS0_18inequality_wrapperIZN2at6native12_GLOBAL__N_124unique_dim_cuda_templateIdEESt5tupleIJNSH_6TensorESM_SM_EERKSM_lbbbEUlllE0_EEPmJS6_EEE10hipError_tPvRmT3_T4_T5_T6_T7_T9_mT8_P12ihipStream_tbDpT10_ENKUlT_T0_E_clISt17integral_constantIbLb1EES1B_IbLb0EEEEDaS17_S18_EUlS17_E_NS1_11comp_targetILNS1_3genE10ELNS1_11target_archE1200ELNS1_3gpuE4ELNS1_3repE0EEENS1_30default_config_static_selectorELNS0_4arch9wavefront6targetE1EEEvT1_,@function
_ZN7rocprim17ROCPRIM_400000_NS6detail17trampoline_kernelINS0_14default_configENS1_25partition_config_selectorILNS1_17partition_subalgoE8ElNS0_10empty_typeEbEEZZNS1_14partition_implILS5_8ELb0ES3_jPlPS6_PKS6_NS0_5tupleIJS9_S6_EEENSD_IJSA_SA_EEENS0_18inequality_wrapperIZN2at6native12_GLOBAL__N_124unique_dim_cuda_templateIdEESt5tupleIJNSH_6TensorESM_SM_EERKSM_lbbbEUlllE0_EEPmJS6_EEE10hipError_tPvRmT3_T4_T5_T6_T7_T9_mT8_P12ihipStream_tbDpT10_ENKUlT_T0_E_clISt17integral_constantIbLb1EES1B_IbLb0EEEEDaS17_S18_EUlS17_E_NS1_11comp_targetILNS1_3genE10ELNS1_11target_archE1200ELNS1_3gpuE4ELNS1_3repE0EEENS1_30default_config_static_selectorELNS0_4arch9wavefront6targetE1EEEvT1_: ; @_ZN7rocprim17ROCPRIM_400000_NS6detail17trampoline_kernelINS0_14default_configENS1_25partition_config_selectorILNS1_17partition_subalgoE8ElNS0_10empty_typeEbEEZZNS1_14partition_implILS5_8ELb0ES3_jPlPS6_PKS6_NS0_5tupleIJS9_S6_EEENSD_IJSA_SA_EEENS0_18inequality_wrapperIZN2at6native12_GLOBAL__N_124unique_dim_cuda_templateIdEESt5tupleIJNSH_6TensorESM_SM_EERKSM_lbbbEUlllE0_EEPmJS6_EEE10hipError_tPvRmT3_T4_T5_T6_T7_T9_mT8_P12ihipStream_tbDpT10_ENKUlT_T0_E_clISt17integral_constantIbLb1EES1B_IbLb0EEEEDaS17_S18_EUlS17_E_NS1_11comp_targetILNS1_3genE10ELNS1_11target_archE1200ELNS1_3gpuE4ELNS1_3repE0EEENS1_30default_config_static_selectorELNS0_4arch9wavefront6targetE1EEEvT1_
; %bb.0:
	.section	.rodata,"a",@progbits
	.p2align	6, 0x0
	.amdhsa_kernel _ZN7rocprim17ROCPRIM_400000_NS6detail17trampoline_kernelINS0_14default_configENS1_25partition_config_selectorILNS1_17partition_subalgoE8ElNS0_10empty_typeEbEEZZNS1_14partition_implILS5_8ELb0ES3_jPlPS6_PKS6_NS0_5tupleIJS9_S6_EEENSD_IJSA_SA_EEENS0_18inequality_wrapperIZN2at6native12_GLOBAL__N_124unique_dim_cuda_templateIdEESt5tupleIJNSH_6TensorESM_SM_EERKSM_lbbbEUlllE0_EEPmJS6_EEE10hipError_tPvRmT3_T4_T5_T6_T7_T9_mT8_P12ihipStream_tbDpT10_ENKUlT_T0_E_clISt17integral_constantIbLb1EES1B_IbLb0EEEEDaS17_S18_EUlS17_E_NS1_11comp_targetILNS1_3genE10ELNS1_11target_archE1200ELNS1_3gpuE4ELNS1_3repE0EEENS1_30default_config_static_selectorELNS0_4arch9wavefront6targetE1EEEvT1_
		.amdhsa_group_segment_fixed_size 0
		.amdhsa_private_segment_fixed_size 0
		.amdhsa_kernarg_size 120
		.amdhsa_user_sgpr_count 2
		.amdhsa_user_sgpr_dispatch_ptr 0
		.amdhsa_user_sgpr_queue_ptr 0
		.amdhsa_user_sgpr_kernarg_segment_ptr 1
		.amdhsa_user_sgpr_dispatch_id 0
		.amdhsa_user_sgpr_kernarg_preload_length 0
		.amdhsa_user_sgpr_kernarg_preload_offset 0
		.amdhsa_user_sgpr_private_segment_size 0
		.amdhsa_uses_dynamic_stack 0
		.amdhsa_enable_private_segment 0
		.amdhsa_system_sgpr_workgroup_id_x 1
		.amdhsa_system_sgpr_workgroup_id_y 0
		.amdhsa_system_sgpr_workgroup_id_z 0
		.amdhsa_system_sgpr_workgroup_info 0
		.amdhsa_system_vgpr_workitem_id 0
		.amdhsa_next_free_vgpr 1
		.amdhsa_next_free_sgpr 0
		.amdhsa_accum_offset 4
		.amdhsa_reserve_vcc 0
		.amdhsa_float_round_mode_32 0
		.amdhsa_float_round_mode_16_64 0
		.amdhsa_float_denorm_mode_32 3
		.amdhsa_float_denorm_mode_16_64 3
		.amdhsa_dx10_clamp 1
		.amdhsa_ieee_mode 1
		.amdhsa_fp16_overflow 0
		.amdhsa_tg_split 0
		.amdhsa_exception_fp_ieee_invalid_op 0
		.amdhsa_exception_fp_denorm_src 0
		.amdhsa_exception_fp_ieee_div_zero 0
		.amdhsa_exception_fp_ieee_overflow 0
		.amdhsa_exception_fp_ieee_underflow 0
		.amdhsa_exception_fp_ieee_inexact 0
		.amdhsa_exception_int_div_zero 0
	.end_amdhsa_kernel
	.section	.text._ZN7rocprim17ROCPRIM_400000_NS6detail17trampoline_kernelINS0_14default_configENS1_25partition_config_selectorILNS1_17partition_subalgoE8ElNS0_10empty_typeEbEEZZNS1_14partition_implILS5_8ELb0ES3_jPlPS6_PKS6_NS0_5tupleIJS9_S6_EEENSD_IJSA_SA_EEENS0_18inequality_wrapperIZN2at6native12_GLOBAL__N_124unique_dim_cuda_templateIdEESt5tupleIJNSH_6TensorESM_SM_EERKSM_lbbbEUlllE0_EEPmJS6_EEE10hipError_tPvRmT3_T4_T5_T6_T7_T9_mT8_P12ihipStream_tbDpT10_ENKUlT_T0_E_clISt17integral_constantIbLb1EES1B_IbLb0EEEEDaS17_S18_EUlS17_E_NS1_11comp_targetILNS1_3genE10ELNS1_11target_archE1200ELNS1_3gpuE4ELNS1_3repE0EEENS1_30default_config_static_selectorELNS0_4arch9wavefront6targetE1EEEvT1_,"axG",@progbits,_ZN7rocprim17ROCPRIM_400000_NS6detail17trampoline_kernelINS0_14default_configENS1_25partition_config_selectorILNS1_17partition_subalgoE8ElNS0_10empty_typeEbEEZZNS1_14partition_implILS5_8ELb0ES3_jPlPS6_PKS6_NS0_5tupleIJS9_S6_EEENSD_IJSA_SA_EEENS0_18inequality_wrapperIZN2at6native12_GLOBAL__N_124unique_dim_cuda_templateIdEESt5tupleIJNSH_6TensorESM_SM_EERKSM_lbbbEUlllE0_EEPmJS6_EEE10hipError_tPvRmT3_T4_T5_T6_T7_T9_mT8_P12ihipStream_tbDpT10_ENKUlT_T0_E_clISt17integral_constantIbLb1EES1B_IbLb0EEEEDaS17_S18_EUlS17_E_NS1_11comp_targetILNS1_3genE10ELNS1_11target_archE1200ELNS1_3gpuE4ELNS1_3repE0EEENS1_30default_config_static_selectorELNS0_4arch9wavefront6targetE1EEEvT1_,comdat
.Lfunc_end834:
	.size	_ZN7rocprim17ROCPRIM_400000_NS6detail17trampoline_kernelINS0_14default_configENS1_25partition_config_selectorILNS1_17partition_subalgoE8ElNS0_10empty_typeEbEEZZNS1_14partition_implILS5_8ELb0ES3_jPlPS6_PKS6_NS0_5tupleIJS9_S6_EEENSD_IJSA_SA_EEENS0_18inequality_wrapperIZN2at6native12_GLOBAL__N_124unique_dim_cuda_templateIdEESt5tupleIJNSH_6TensorESM_SM_EERKSM_lbbbEUlllE0_EEPmJS6_EEE10hipError_tPvRmT3_T4_T5_T6_T7_T9_mT8_P12ihipStream_tbDpT10_ENKUlT_T0_E_clISt17integral_constantIbLb1EES1B_IbLb0EEEEDaS17_S18_EUlS17_E_NS1_11comp_targetILNS1_3genE10ELNS1_11target_archE1200ELNS1_3gpuE4ELNS1_3repE0EEENS1_30default_config_static_selectorELNS0_4arch9wavefront6targetE1EEEvT1_, .Lfunc_end834-_ZN7rocprim17ROCPRIM_400000_NS6detail17trampoline_kernelINS0_14default_configENS1_25partition_config_selectorILNS1_17partition_subalgoE8ElNS0_10empty_typeEbEEZZNS1_14partition_implILS5_8ELb0ES3_jPlPS6_PKS6_NS0_5tupleIJS9_S6_EEENSD_IJSA_SA_EEENS0_18inequality_wrapperIZN2at6native12_GLOBAL__N_124unique_dim_cuda_templateIdEESt5tupleIJNSH_6TensorESM_SM_EERKSM_lbbbEUlllE0_EEPmJS6_EEE10hipError_tPvRmT3_T4_T5_T6_T7_T9_mT8_P12ihipStream_tbDpT10_ENKUlT_T0_E_clISt17integral_constantIbLb1EES1B_IbLb0EEEEDaS17_S18_EUlS17_E_NS1_11comp_targetILNS1_3genE10ELNS1_11target_archE1200ELNS1_3gpuE4ELNS1_3repE0EEENS1_30default_config_static_selectorELNS0_4arch9wavefront6targetE1EEEvT1_
                                        ; -- End function
	.section	.AMDGPU.csdata,"",@progbits
; Kernel info:
; codeLenInByte = 0
; NumSgprs: 6
; NumVgprs: 0
; NumAgprs: 0
; TotalNumVgprs: 0
; ScratchSize: 0
; MemoryBound: 0
; FloatMode: 240
; IeeeMode: 1
; LDSByteSize: 0 bytes/workgroup (compile time only)
; SGPRBlocks: 0
; VGPRBlocks: 0
; NumSGPRsForWavesPerEU: 6
; NumVGPRsForWavesPerEU: 1
; AccumOffset: 4
; Occupancy: 8
; WaveLimiterHint : 0
; COMPUTE_PGM_RSRC2:SCRATCH_EN: 0
; COMPUTE_PGM_RSRC2:USER_SGPR: 2
; COMPUTE_PGM_RSRC2:TRAP_HANDLER: 0
; COMPUTE_PGM_RSRC2:TGID_X_EN: 1
; COMPUTE_PGM_RSRC2:TGID_Y_EN: 0
; COMPUTE_PGM_RSRC2:TGID_Z_EN: 0
; COMPUTE_PGM_RSRC2:TIDIG_COMP_CNT: 0
; COMPUTE_PGM_RSRC3_GFX90A:ACCUM_OFFSET: 0
; COMPUTE_PGM_RSRC3_GFX90A:TG_SPLIT: 0
	.section	.text._ZN7rocprim17ROCPRIM_400000_NS6detail17trampoline_kernelINS0_14default_configENS1_25partition_config_selectorILNS1_17partition_subalgoE8ElNS0_10empty_typeEbEEZZNS1_14partition_implILS5_8ELb0ES3_jPlPS6_PKS6_NS0_5tupleIJS9_S6_EEENSD_IJSA_SA_EEENS0_18inequality_wrapperIZN2at6native12_GLOBAL__N_124unique_dim_cuda_templateIdEESt5tupleIJNSH_6TensorESM_SM_EERKSM_lbbbEUlllE0_EEPmJS6_EEE10hipError_tPvRmT3_T4_T5_T6_T7_T9_mT8_P12ihipStream_tbDpT10_ENKUlT_T0_E_clISt17integral_constantIbLb1EES1B_IbLb0EEEEDaS17_S18_EUlS17_E_NS1_11comp_targetILNS1_3genE9ELNS1_11target_archE1100ELNS1_3gpuE3ELNS1_3repE0EEENS1_30default_config_static_selectorELNS0_4arch9wavefront6targetE1EEEvT1_,"axG",@progbits,_ZN7rocprim17ROCPRIM_400000_NS6detail17trampoline_kernelINS0_14default_configENS1_25partition_config_selectorILNS1_17partition_subalgoE8ElNS0_10empty_typeEbEEZZNS1_14partition_implILS5_8ELb0ES3_jPlPS6_PKS6_NS0_5tupleIJS9_S6_EEENSD_IJSA_SA_EEENS0_18inequality_wrapperIZN2at6native12_GLOBAL__N_124unique_dim_cuda_templateIdEESt5tupleIJNSH_6TensorESM_SM_EERKSM_lbbbEUlllE0_EEPmJS6_EEE10hipError_tPvRmT3_T4_T5_T6_T7_T9_mT8_P12ihipStream_tbDpT10_ENKUlT_T0_E_clISt17integral_constantIbLb1EES1B_IbLb0EEEEDaS17_S18_EUlS17_E_NS1_11comp_targetILNS1_3genE9ELNS1_11target_archE1100ELNS1_3gpuE3ELNS1_3repE0EEENS1_30default_config_static_selectorELNS0_4arch9wavefront6targetE1EEEvT1_,comdat
	.globl	_ZN7rocprim17ROCPRIM_400000_NS6detail17trampoline_kernelINS0_14default_configENS1_25partition_config_selectorILNS1_17partition_subalgoE8ElNS0_10empty_typeEbEEZZNS1_14partition_implILS5_8ELb0ES3_jPlPS6_PKS6_NS0_5tupleIJS9_S6_EEENSD_IJSA_SA_EEENS0_18inequality_wrapperIZN2at6native12_GLOBAL__N_124unique_dim_cuda_templateIdEESt5tupleIJNSH_6TensorESM_SM_EERKSM_lbbbEUlllE0_EEPmJS6_EEE10hipError_tPvRmT3_T4_T5_T6_T7_T9_mT8_P12ihipStream_tbDpT10_ENKUlT_T0_E_clISt17integral_constantIbLb1EES1B_IbLb0EEEEDaS17_S18_EUlS17_E_NS1_11comp_targetILNS1_3genE9ELNS1_11target_archE1100ELNS1_3gpuE3ELNS1_3repE0EEENS1_30default_config_static_selectorELNS0_4arch9wavefront6targetE1EEEvT1_ ; -- Begin function _ZN7rocprim17ROCPRIM_400000_NS6detail17trampoline_kernelINS0_14default_configENS1_25partition_config_selectorILNS1_17partition_subalgoE8ElNS0_10empty_typeEbEEZZNS1_14partition_implILS5_8ELb0ES3_jPlPS6_PKS6_NS0_5tupleIJS9_S6_EEENSD_IJSA_SA_EEENS0_18inequality_wrapperIZN2at6native12_GLOBAL__N_124unique_dim_cuda_templateIdEESt5tupleIJNSH_6TensorESM_SM_EERKSM_lbbbEUlllE0_EEPmJS6_EEE10hipError_tPvRmT3_T4_T5_T6_T7_T9_mT8_P12ihipStream_tbDpT10_ENKUlT_T0_E_clISt17integral_constantIbLb1EES1B_IbLb0EEEEDaS17_S18_EUlS17_E_NS1_11comp_targetILNS1_3genE9ELNS1_11target_archE1100ELNS1_3gpuE3ELNS1_3repE0EEENS1_30default_config_static_selectorELNS0_4arch9wavefront6targetE1EEEvT1_
	.p2align	8
	.type	_ZN7rocprim17ROCPRIM_400000_NS6detail17trampoline_kernelINS0_14default_configENS1_25partition_config_selectorILNS1_17partition_subalgoE8ElNS0_10empty_typeEbEEZZNS1_14partition_implILS5_8ELb0ES3_jPlPS6_PKS6_NS0_5tupleIJS9_S6_EEENSD_IJSA_SA_EEENS0_18inequality_wrapperIZN2at6native12_GLOBAL__N_124unique_dim_cuda_templateIdEESt5tupleIJNSH_6TensorESM_SM_EERKSM_lbbbEUlllE0_EEPmJS6_EEE10hipError_tPvRmT3_T4_T5_T6_T7_T9_mT8_P12ihipStream_tbDpT10_ENKUlT_T0_E_clISt17integral_constantIbLb1EES1B_IbLb0EEEEDaS17_S18_EUlS17_E_NS1_11comp_targetILNS1_3genE9ELNS1_11target_archE1100ELNS1_3gpuE3ELNS1_3repE0EEENS1_30default_config_static_selectorELNS0_4arch9wavefront6targetE1EEEvT1_,@function
_ZN7rocprim17ROCPRIM_400000_NS6detail17trampoline_kernelINS0_14default_configENS1_25partition_config_selectorILNS1_17partition_subalgoE8ElNS0_10empty_typeEbEEZZNS1_14partition_implILS5_8ELb0ES3_jPlPS6_PKS6_NS0_5tupleIJS9_S6_EEENSD_IJSA_SA_EEENS0_18inequality_wrapperIZN2at6native12_GLOBAL__N_124unique_dim_cuda_templateIdEESt5tupleIJNSH_6TensorESM_SM_EERKSM_lbbbEUlllE0_EEPmJS6_EEE10hipError_tPvRmT3_T4_T5_T6_T7_T9_mT8_P12ihipStream_tbDpT10_ENKUlT_T0_E_clISt17integral_constantIbLb1EES1B_IbLb0EEEEDaS17_S18_EUlS17_E_NS1_11comp_targetILNS1_3genE9ELNS1_11target_archE1100ELNS1_3gpuE3ELNS1_3repE0EEENS1_30default_config_static_selectorELNS0_4arch9wavefront6targetE1EEEvT1_: ; @_ZN7rocprim17ROCPRIM_400000_NS6detail17trampoline_kernelINS0_14default_configENS1_25partition_config_selectorILNS1_17partition_subalgoE8ElNS0_10empty_typeEbEEZZNS1_14partition_implILS5_8ELb0ES3_jPlPS6_PKS6_NS0_5tupleIJS9_S6_EEENSD_IJSA_SA_EEENS0_18inequality_wrapperIZN2at6native12_GLOBAL__N_124unique_dim_cuda_templateIdEESt5tupleIJNSH_6TensorESM_SM_EERKSM_lbbbEUlllE0_EEPmJS6_EEE10hipError_tPvRmT3_T4_T5_T6_T7_T9_mT8_P12ihipStream_tbDpT10_ENKUlT_T0_E_clISt17integral_constantIbLb1EES1B_IbLb0EEEEDaS17_S18_EUlS17_E_NS1_11comp_targetILNS1_3genE9ELNS1_11target_archE1100ELNS1_3gpuE3ELNS1_3repE0EEENS1_30default_config_static_selectorELNS0_4arch9wavefront6targetE1EEEvT1_
; %bb.0:
	.section	.rodata,"a",@progbits
	.p2align	6, 0x0
	.amdhsa_kernel _ZN7rocprim17ROCPRIM_400000_NS6detail17trampoline_kernelINS0_14default_configENS1_25partition_config_selectorILNS1_17partition_subalgoE8ElNS0_10empty_typeEbEEZZNS1_14partition_implILS5_8ELb0ES3_jPlPS6_PKS6_NS0_5tupleIJS9_S6_EEENSD_IJSA_SA_EEENS0_18inequality_wrapperIZN2at6native12_GLOBAL__N_124unique_dim_cuda_templateIdEESt5tupleIJNSH_6TensorESM_SM_EERKSM_lbbbEUlllE0_EEPmJS6_EEE10hipError_tPvRmT3_T4_T5_T6_T7_T9_mT8_P12ihipStream_tbDpT10_ENKUlT_T0_E_clISt17integral_constantIbLb1EES1B_IbLb0EEEEDaS17_S18_EUlS17_E_NS1_11comp_targetILNS1_3genE9ELNS1_11target_archE1100ELNS1_3gpuE3ELNS1_3repE0EEENS1_30default_config_static_selectorELNS0_4arch9wavefront6targetE1EEEvT1_
		.amdhsa_group_segment_fixed_size 0
		.amdhsa_private_segment_fixed_size 0
		.amdhsa_kernarg_size 120
		.amdhsa_user_sgpr_count 2
		.amdhsa_user_sgpr_dispatch_ptr 0
		.amdhsa_user_sgpr_queue_ptr 0
		.amdhsa_user_sgpr_kernarg_segment_ptr 1
		.amdhsa_user_sgpr_dispatch_id 0
		.amdhsa_user_sgpr_kernarg_preload_length 0
		.amdhsa_user_sgpr_kernarg_preload_offset 0
		.amdhsa_user_sgpr_private_segment_size 0
		.amdhsa_uses_dynamic_stack 0
		.amdhsa_enable_private_segment 0
		.amdhsa_system_sgpr_workgroup_id_x 1
		.amdhsa_system_sgpr_workgroup_id_y 0
		.amdhsa_system_sgpr_workgroup_id_z 0
		.amdhsa_system_sgpr_workgroup_info 0
		.amdhsa_system_vgpr_workitem_id 0
		.amdhsa_next_free_vgpr 1
		.amdhsa_next_free_sgpr 0
		.amdhsa_accum_offset 4
		.amdhsa_reserve_vcc 0
		.amdhsa_float_round_mode_32 0
		.amdhsa_float_round_mode_16_64 0
		.amdhsa_float_denorm_mode_32 3
		.amdhsa_float_denorm_mode_16_64 3
		.amdhsa_dx10_clamp 1
		.amdhsa_ieee_mode 1
		.amdhsa_fp16_overflow 0
		.amdhsa_tg_split 0
		.amdhsa_exception_fp_ieee_invalid_op 0
		.amdhsa_exception_fp_denorm_src 0
		.amdhsa_exception_fp_ieee_div_zero 0
		.amdhsa_exception_fp_ieee_overflow 0
		.amdhsa_exception_fp_ieee_underflow 0
		.amdhsa_exception_fp_ieee_inexact 0
		.amdhsa_exception_int_div_zero 0
	.end_amdhsa_kernel
	.section	.text._ZN7rocprim17ROCPRIM_400000_NS6detail17trampoline_kernelINS0_14default_configENS1_25partition_config_selectorILNS1_17partition_subalgoE8ElNS0_10empty_typeEbEEZZNS1_14partition_implILS5_8ELb0ES3_jPlPS6_PKS6_NS0_5tupleIJS9_S6_EEENSD_IJSA_SA_EEENS0_18inequality_wrapperIZN2at6native12_GLOBAL__N_124unique_dim_cuda_templateIdEESt5tupleIJNSH_6TensorESM_SM_EERKSM_lbbbEUlllE0_EEPmJS6_EEE10hipError_tPvRmT3_T4_T5_T6_T7_T9_mT8_P12ihipStream_tbDpT10_ENKUlT_T0_E_clISt17integral_constantIbLb1EES1B_IbLb0EEEEDaS17_S18_EUlS17_E_NS1_11comp_targetILNS1_3genE9ELNS1_11target_archE1100ELNS1_3gpuE3ELNS1_3repE0EEENS1_30default_config_static_selectorELNS0_4arch9wavefront6targetE1EEEvT1_,"axG",@progbits,_ZN7rocprim17ROCPRIM_400000_NS6detail17trampoline_kernelINS0_14default_configENS1_25partition_config_selectorILNS1_17partition_subalgoE8ElNS0_10empty_typeEbEEZZNS1_14partition_implILS5_8ELb0ES3_jPlPS6_PKS6_NS0_5tupleIJS9_S6_EEENSD_IJSA_SA_EEENS0_18inequality_wrapperIZN2at6native12_GLOBAL__N_124unique_dim_cuda_templateIdEESt5tupleIJNSH_6TensorESM_SM_EERKSM_lbbbEUlllE0_EEPmJS6_EEE10hipError_tPvRmT3_T4_T5_T6_T7_T9_mT8_P12ihipStream_tbDpT10_ENKUlT_T0_E_clISt17integral_constantIbLb1EES1B_IbLb0EEEEDaS17_S18_EUlS17_E_NS1_11comp_targetILNS1_3genE9ELNS1_11target_archE1100ELNS1_3gpuE3ELNS1_3repE0EEENS1_30default_config_static_selectorELNS0_4arch9wavefront6targetE1EEEvT1_,comdat
.Lfunc_end835:
	.size	_ZN7rocprim17ROCPRIM_400000_NS6detail17trampoline_kernelINS0_14default_configENS1_25partition_config_selectorILNS1_17partition_subalgoE8ElNS0_10empty_typeEbEEZZNS1_14partition_implILS5_8ELb0ES3_jPlPS6_PKS6_NS0_5tupleIJS9_S6_EEENSD_IJSA_SA_EEENS0_18inequality_wrapperIZN2at6native12_GLOBAL__N_124unique_dim_cuda_templateIdEESt5tupleIJNSH_6TensorESM_SM_EERKSM_lbbbEUlllE0_EEPmJS6_EEE10hipError_tPvRmT3_T4_T5_T6_T7_T9_mT8_P12ihipStream_tbDpT10_ENKUlT_T0_E_clISt17integral_constantIbLb1EES1B_IbLb0EEEEDaS17_S18_EUlS17_E_NS1_11comp_targetILNS1_3genE9ELNS1_11target_archE1100ELNS1_3gpuE3ELNS1_3repE0EEENS1_30default_config_static_selectorELNS0_4arch9wavefront6targetE1EEEvT1_, .Lfunc_end835-_ZN7rocprim17ROCPRIM_400000_NS6detail17trampoline_kernelINS0_14default_configENS1_25partition_config_selectorILNS1_17partition_subalgoE8ElNS0_10empty_typeEbEEZZNS1_14partition_implILS5_8ELb0ES3_jPlPS6_PKS6_NS0_5tupleIJS9_S6_EEENSD_IJSA_SA_EEENS0_18inequality_wrapperIZN2at6native12_GLOBAL__N_124unique_dim_cuda_templateIdEESt5tupleIJNSH_6TensorESM_SM_EERKSM_lbbbEUlllE0_EEPmJS6_EEE10hipError_tPvRmT3_T4_T5_T6_T7_T9_mT8_P12ihipStream_tbDpT10_ENKUlT_T0_E_clISt17integral_constantIbLb1EES1B_IbLb0EEEEDaS17_S18_EUlS17_E_NS1_11comp_targetILNS1_3genE9ELNS1_11target_archE1100ELNS1_3gpuE3ELNS1_3repE0EEENS1_30default_config_static_selectorELNS0_4arch9wavefront6targetE1EEEvT1_
                                        ; -- End function
	.section	.AMDGPU.csdata,"",@progbits
; Kernel info:
; codeLenInByte = 0
; NumSgprs: 6
; NumVgprs: 0
; NumAgprs: 0
; TotalNumVgprs: 0
; ScratchSize: 0
; MemoryBound: 0
; FloatMode: 240
; IeeeMode: 1
; LDSByteSize: 0 bytes/workgroup (compile time only)
; SGPRBlocks: 0
; VGPRBlocks: 0
; NumSGPRsForWavesPerEU: 6
; NumVGPRsForWavesPerEU: 1
; AccumOffset: 4
; Occupancy: 8
; WaveLimiterHint : 0
; COMPUTE_PGM_RSRC2:SCRATCH_EN: 0
; COMPUTE_PGM_RSRC2:USER_SGPR: 2
; COMPUTE_PGM_RSRC2:TRAP_HANDLER: 0
; COMPUTE_PGM_RSRC2:TGID_X_EN: 1
; COMPUTE_PGM_RSRC2:TGID_Y_EN: 0
; COMPUTE_PGM_RSRC2:TGID_Z_EN: 0
; COMPUTE_PGM_RSRC2:TIDIG_COMP_CNT: 0
; COMPUTE_PGM_RSRC3_GFX90A:ACCUM_OFFSET: 0
; COMPUTE_PGM_RSRC3_GFX90A:TG_SPLIT: 0
	.section	.text._ZN7rocprim17ROCPRIM_400000_NS6detail17trampoline_kernelINS0_14default_configENS1_25partition_config_selectorILNS1_17partition_subalgoE8ElNS0_10empty_typeEbEEZZNS1_14partition_implILS5_8ELb0ES3_jPlPS6_PKS6_NS0_5tupleIJS9_S6_EEENSD_IJSA_SA_EEENS0_18inequality_wrapperIZN2at6native12_GLOBAL__N_124unique_dim_cuda_templateIdEESt5tupleIJNSH_6TensorESM_SM_EERKSM_lbbbEUlllE0_EEPmJS6_EEE10hipError_tPvRmT3_T4_T5_T6_T7_T9_mT8_P12ihipStream_tbDpT10_ENKUlT_T0_E_clISt17integral_constantIbLb1EES1B_IbLb0EEEEDaS17_S18_EUlS17_E_NS1_11comp_targetILNS1_3genE8ELNS1_11target_archE1030ELNS1_3gpuE2ELNS1_3repE0EEENS1_30default_config_static_selectorELNS0_4arch9wavefront6targetE1EEEvT1_,"axG",@progbits,_ZN7rocprim17ROCPRIM_400000_NS6detail17trampoline_kernelINS0_14default_configENS1_25partition_config_selectorILNS1_17partition_subalgoE8ElNS0_10empty_typeEbEEZZNS1_14partition_implILS5_8ELb0ES3_jPlPS6_PKS6_NS0_5tupleIJS9_S6_EEENSD_IJSA_SA_EEENS0_18inequality_wrapperIZN2at6native12_GLOBAL__N_124unique_dim_cuda_templateIdEESt5tupleIJNSH_6TensorESM_SM_EERKSM_lbbbEUlllE0_EEPmJS6_EEE10hipError_tPvRmT3_T4_T5_T6_T7_T9_mT8_P12ihipStream_tbDpT10_ENKUlT_T0_E_clISt17integral_constantIbLb1EES1B_IbLb0EEEEDaS17_S18_EUlS17_E_NS1_11comp_targetILNS1_3genE8ELNS1_11target_archE1030ELNS1_3gpuE2ELNS1_3repE0EEENS1_30default_config_static_selectorELNS0_4arch9wavefront6targetE1EEEvT1_,comdat
	.globl	_ZN7rocprim17ROCPRIM_400000_NS6detail17trampoline_kernelINS0_14default_configENS1_25partition_config_selectorILNS1_17partition_subalgoE8ElNS0_10empty_typeEbEEZZNS1_14partition_implILS5_8ELb0ES3_jPlPS6_PKS6_NS0_5tupleIJS9_S6_EEENSD_IJSA_SA_EEENS0_18inequality_wrapperIZN2at6native12_GLOBAL__N_124unique_dim_cuda_templateIdEESt5tupleIJNSH_6TensorESM_SM_EERKSM_lbbbEUlllE0_EEPmJS6_EEE10hipError_tPvRmT3_T4_T5_T6_T7_T9_mT8_P12ihipStream_tbDpT10_ENKUlT_T0_E_clISt17integral_constantIbLb1EES1B_IbLb0EEEEDaS17_S18_EUlS17_E_NS1_11comp_targetILNS1_3genE8ELNS1_11target_archE1030ELNS1_3gpuE2ELNS1_3repE0EEENS1_30default_config_static_selectorELNS0_4arch9wavefront6targetE1EEEvT1_ ; -- Begin function _ZN7rocprim17ROCPRIM_400000_NS6detail17trampoline_kernelINS0_14default_configENS1_25partition_config_selectorILNS1_17partition_subalgoE8ElNS0_10empty_typeEbEEZZNS1_14partition_implILS5_8ELb0ES3_jPlPS6_PKS6_NS0_5tupleIJS9_S6_EEENSD_IJSA_SA_EEENS0_18inequality_wrapperIZN2at6native12_GLOBAL__N_124unique_dim_cuda_templateIdEESt5tupleIJNSH_6TensorESM_SM_EERKSM_lbbbEUlllE0_EEPmJS6_EEE10hipError_tPvRmT3_T4_T5_T6_T7_T9_mT8_P12ihipStream_tbDpT10_ENKUlT_T0_E_clISt17integral_constantIbLb1EES1B_IbLb0EEEEDaS17_S18_EUlS17_E_NS1_11comp_targetILNS1_3genE8ELNS1_11target_archE1030ELNS1_3gpuE2ELNS1_3repE0EEENS1_30default_config_static_selectorELNS0_4arch9wavefront6targetE1EEEvT1_
	.p2align	8
	.type	_ZN7rocprim17ROCPRIM_400000_NS6detail17trampoline_kernelINS0_14default_configENS1_25partition_config_selectorILNS1_17partition_subalgoE8ElNS0_10empty_typeEbEEZZNS1_14partition_implILS5_8ELb0ES3_jPlPS6_PKS6_NS0_5tupleIJS9_S6_EEENSD_IJSA_SA_EEENS0_18inequality_wrapperIZN2at6native12_GLOBAL__N_124unique_dim_cuda_templateIdEESt5tupleIJNSH_6TensorESM_SM_EERKSM_lbbbEUlllE0_EEPmJS6_EEE10hipError_tPvRmT3_T4_T5_T6_T7_T9_mT8_P12ihipStream_tbDpT10_ENKUlT_T0_E_clISt17integral_constantIbLb1EES1B_IbLb0EEEEDaS17_S18_EUlS17_E_NS1_11comp_targetILNS1_3genE8ELNS1_11target_archE1030ELNS1_3gpuE2ELNS1_3repE0EEENS1_30default_config_static_selectorELNS0_4arch9wavefront6targetE1EEEvT1_,@function
_ZN7rocprim17ROCPRIM_400000_NS6detail17trampoline_kernelINS0_14default_configENS1_25partition_config_selectorILNS1_17partition_subalgoE8ElNS0_10empty_typeEbEEZZNS1_14partition_implILS5_8ELb0ES3_jPlPS6_PKS6_NS0_5tupleIJS9_S6_EEENSD_IJSA_SA_EEENS0_18inequality_wrapperIZN2at6native12_GLOBAL__N_124unique_dim_cuda_templateIdEESt5tupleIJNSH_6TensorESM_SM_EERKSM_lbbbEUlllE0_EEPmJS6_EEE10hipError_tPvRmT3_T4_T5_T6_T7_T9_mT8_P12ihipStream_tbDpT10_ENKUlT_T0_E_clISt17integral_constantIbLb1EES1B_IbLb0EEEEDaS17_S18_EUlS17_E_NS1_11comp_targetILNS1_3genE8ELNS1_11target_archE1030ELNS1_3gpuE2ELNS1_3repE0EEENS1_30default_config_static_selectorELNS0_4arch9wavefront6targetE1EEEvT1_: ; @_ZN7rocprim17ROCPRIM_400000_NS6detail17trampoline_kernelINS0_14default_configENS1_25partition_config_selectorILNS1_17partition_subalgoE8ElNS0_10empty_typeEbEEZZNS1_14partition_implILS5_8ELb0ES3_jPlPS6_PKS6_NS0_5tupleIJS9_S6_EEENSD_IJSA_SA_EEENS0_18inequality_wrapperIZN2at6native12_GLOBAL__N_124unique_dim_cuda_templateIdEESt5tupleIJNSH_6TensorESM_SM_EERKSM_lbbbEUlllE0_EEPmJS6_EEE10hipError_tPvRmT3_T4_T5_T6_T7_T9_mT8_P12ihipStream_tbDpT10_ENKUlT_T0_E_clISt17integral_constantIbLb1EES1B_IbLb0EEEEDaS17_S18_EUlS17_E_NS1_11comp_targetILNS1_3genE8ELNS1_11target_archE1030ELNS1_3gpuE2ELNS1_3repE0EEENS1_30default_config_static_selectorELNS0_4arch9wavefront6targetE1EEEvT1_
; %bb.0:
	.section	.rodata,"a",@progbits
	.p2align	6, 0x0
	.amdhsa_kernel _ZN7rocprim17ROCPRIM_400000_NS6detail17trampoline_kernelINS0_14default_configENS1_25partition_config_selectorILNS1_17partition_subalgoE8ElNS0_10empty_typeEbEEZZNS1_14partition_implILS5_8ELb0ES3_jPlPS6_PKS6_NS0_5tupleIJS9_S6_EEENSD_IJSA_SA_EEENS0_18inequality_wrapperIZN2at6native12_GLOBAL__N_124unique_dim_cuda_templateIdEESt5tupleIJNSH_6TensorESM_SM_EERKSM_lbbbEUlllE0_EEPmJS6_EEE10hipError_tPvRmT3_T4_T5_T6_T7_T9_mT8_P12ihipStream_tbDpT10_ENKUlT_T0_E_clISt17integral_constantIbLb1EES1B_IbLb0EEEEDaS17_S18_EUlS17_E_NS1_11comp_targetILNS1_3genE8ELNS1_11target_archE1030ELNS1_3gpuE2ELNS1_3repE0EEENS1_30default_config_static_selectorELNS0_4arch9wavefront6targetE1EEEvT1_
		.amdhsa_group_segment_fixed_size 0
		.amdhsa_private_segment_fixed_size 0
		.amdhsa_kernarg_size 120
		.amdhsa_user_sgpr_count 2
		.amdhsa_user_sgpr_dispatch_ptr 0
		.amdhsa_user_sgpr_queue_ptr 0
		.amdhsa_user_sgpr_kernarg_segment_ptr 1
		.amdhsa_user_sgpr_dispatch_id 0
		.amdhsa_user_sgpr_kernarg_preload_length 0
		.amdhsa_user_sgpr_kernarg_preload_offset 0
		.amdhsa_user_sgpr_private_segment_size 0
		.amdhsa_uses_dynamic_stack 0
		.amdhsa_enable_private_segment 0
		.amdhsa_system_sgpr_workgroup_id_x 1
		.amdhsa_system_sgpr_workgroup_id_y 0
		.amdhsa_system_sgpr_workgroup_id_z 0
		.amdhsa_system_sgpr_workgroup_info 0
		.amdhsa_system_vgpr_workitem_id 0
		.amdhsa_next_free_vgpr 1
		.amdhsa_next_free_sgpr 0
		.amdhsa_accum_offset 4
		.amdhsa_reserve_vcc 0
		.amdhsa_float_round_mode_32 0
		.amdhsa_float_round_mode_16_64 0
		.amdhsa_float_denorm_mode_32 3
		.amdhsa_float_denorm_mode_16_64 3
		.amdhsa_dx10_clamp 1
		.amdhsa_ieee_mode 1
		.amdhsa_fp16_overflow 0
		.amdhsa_tg_split 0
		.amdhsa_exception_fp_ieee_invalid_op 0
		.amdhsa_exception_fp_denorm_src 0
		.amdhsa_exception_fp_ieee_div_zero 0
		.amdhsa_exception_fp_ieee_overflow 0
		.amdhsa_exception_fp_ieee_underflow 0
		.amdhsa_exception_fp_ieee_inexact 0
		.amdhsa_exception_int_div_zero 0
	.end_amdhsa_kernel
	.section	.text._ZN7rocprim17ROCPRIM_400000_NS6detail17trampoline_kernelINS0_14default_configENS1_25partition_config_selectorILNS1_17partition_subalgoE8ElNS0_10empty_typeEbEEZZNS1_14partition_implILS5_8ELb0ES3_jPlPS6_PKS6_NS0_5tupleIJS9_S6_EEENSD_IJSA_SA_EEENS0_18inequality_wrapperIZN2at6native12_GLOBAL__N_124unique_dim_cuda_templateIdEESt5tupleIJNSH_6TensorESM_SM_EERKSM_lbbbEUlllE0_EEPmJS6_EEE10hipError_tPvRmT3_T4_T5_T6_T7_T9_mT8_P12ihipStream_tbDpT10_ENKUlT_T0_E_clISt17integral_constantIbLb1EES1B_IbLb0EEEEDaS17_S18_EUlS17_E_NS1_11comp_targetILNS1_3genE8ELNS1_11target_archE1030ELNS1_3gpuE2ELNS1_3repE0EEENS1_30default_config_static_selectorELNS0_4arch9wavefront6targetE1EEEvT1_,"axG",@progbits,_ZN7rocprim17ROCPRIM_400000_NS6detail17trampoline_kernelINS0_14default_configENS1_25partition_config_selectorILNS1_17partition_subalgoE8ElNS0_10empty_typeEbEEZZNS1_14partition_implILS5_8ELb0ES3_jPlPS6_PKS6_NS0_5tupleIJS9_S6_EEENSD_IJSA_SA_EEENS0_18inequality_wrapperIZN2at6native12_GLOBAL__N_124unique_dim_cuda_templateIdEESt5tupleIJNSH_6TensorESM_SM_EERKSM_lbbbEUlllE0_EEPmJS6_EEE10hipError_tPvRmT3_T4_T5_T6_T7_T9_mT8_P12ihipStream_tbDpT10_ENKUlT_T0_E_clISt17integral_constantIbLb1EES1B_IbLb0EEEEDaS17_S18_EUlS17_E_NS1_11comp_targetILNS1_3genE8ELNS1_11target_archE1030ELNS1_3gpuE2ELNS1_3repE0EEENS1_30default_config_static_selectorELNS0_4arch9wavefront6targetE1EEEvT1_,comdat
.Lfunc_end836:
	.size	_ZN7rocprim17ROCPRIM_400000_NS6detail17trampoline_kernelINS0_14default_configENS1_25partition_config_selectorILNS1_17partition_subalgoE8ElNS0_10empty_typeEbEEZZNS1_14partition_implILS5_8ELb0ES3_jPlPS6_PKS6_NS0_5tupleIJS9_S6_EEENSD_IJSA_SA_EEENS0_18inequality_wrapperIZN2at6native12_GLOBAL__N_124unique_dim_cuda_templateIdEESt5tupleIJNSH_6TensorESM_SM_EERKSM_lbbbEUlllE0_EEPmJS6_EEE10hipError_tPvRmT3_T4_T5_T6_T7_T9_mT8_P12ihipStream_tbDpT10_ENKUlT_T0_E_clISt17integral_constantIbLb1EES1B_IbLb0EEEEDaS17_S18_EUlS17_E_NS1_11comp_targetILNS1_3genE8ELNS1_11target_archE1030ELNS1_3gpuE2ELNS1_3repE0EEENS1_30default_config_static_selectorELNS0_4arch9wavefront6targetE1EEEvT1_, .Lfunc_end836-_ZN7rocprim17ROCPRIM_400000_NS6detail17trampoline_kernelINS0_14default_configENS1_25partition_config_selectorILNS1_17partition_subalgoE8ElNS0_10empty_typeEbEEZZNS1_14partition_implILS5_8ELb0ES3_jPlPS6_PKS6_NS0_5tupleIJS9_S6_EEENSD_IJSA_SA_EEENS0_18inequality_wrapperIZN2at6native12_GLOBAL__N_124unique_dim_cuda_templateIdEESt5tupleIJNSH_6TensorESM_SM_EERKSM_lbbbEUlllE0_EEPmJS6_EEE10hipError_tPvRmT3_T4_T5_T6_T7_T9_mT8_P12ihipStream_tbDpT10_ENKUlT_T0_E_clISt17integral_constantIbLb1EES1B_IbLb0EEEEDaS17_S18_EUlS17_E_NS1_11comp_targetILNS1_3genE8ELNS1_11target_archE1030ELNS1_3gpuE2ELNS1_3repE0EEENS1_30default_config_static_selectorELNS0_4arch9wavefront6targetE1EEEvT1_
                                        ; -- End function
	.section	.AMDGPU.csdata,"",@progbits
; Kernel info:
; codeLenInByte = 0
; NumSgprs: 6
; NumVgprs: 0
; NumAgprs: 0
; TotalNumVgprs: 0
; ScratchSize: 0
; MemoryBound: 0
; FloatMode: 240
; IeeeMode: 1
; LDSByteSize: 0 bytes/workgroup (compile time only)
; SGPRBlocks: 0
; VGPRBlocks: 0
; NumSGPRsForWavesPerEU: 6
; NumVGPRsForWavesPerEU: 1
; AccumOffset: 4
; Occupancy: 8
; WaveLimiterHint : 0
; COMPUTE_PGM_RSRC2:SCRATCH_EN: 0
; COMPUTE_PGM_RSRC2:USER_SGPR: 2
; COMPUTE_PGM_RSRC2:TRAP_HANDLER: 0
; COMPUTE_PGM_RSRC2:TGID_X_EN: 1
; COMPUTE_PGM_RSRC2:TGID_Y_EN: 0
; COMPUTE_PGM_RSRC2:TGID_Z_EN: 0
; COMPUTE_PGM_RSRC2:TIDIG_COMP_CNT: 0
; COMPUTE_PGM_RSRC3_GFX90A:ACCUM_OFFSET: 0
; COMPUTE_PGM_RSRC3_GFX90A:TG_SPLIT: 0
	.section	.text._ZN7rocprim17ROCPRIM_400000_NS6detail17trampoline_kernelINS0_14default_configENS1_25partition_config_selectorILNS1_17partition_subalgoE8ElNS0_10empty_typeEbEEZZNS1_14partition_implILS5_8ELb0ES3_jPlPS6_PKS6_NS0_5tupleIJS9_S6_EEENSD_IJSA_SA_EEENS0_18inequality_wrapperIZN2at6native12_GLOBAL__N_124unique_dim_cuda_templateIdEESt5tupleIJNSH_6TensorESM_SM_EERKSM_lbbbEUlllE0_EEPmJS6_EEE10hipError_tPvRmT3_T4_T5_T6_T7_T9_mT8_P12ihipStream_tbDpT10_ENKUlT_T0_E_clISt17integral_constantIbLb0EES1B_IbLb1EEEEDaS17_S18_EUlS17_E_NS1_11comp_targetILNS1_3genE0ELNS1_11target_archE4294967295ELNS1_3gpuE0ELNS1_3repE0EEENS1_30default_config_static_selectorELNS0_4arch9wavefront6targetE1EEEvT1_,"axG",@progbits,_ZN7rocprim17ROCPRIM_400000_NS6detail17trampoline_kernelINS0_14default_configENS1_25partition_config_selectorILNS1_17partition_subalgoE8ElNS0_10empty_typeEbEEZZNS1_14partition_implILS5_8ELb0ES3_jPlPS6_PKS6_NS0_5tupleIJS9_S6_EEENSD_IJSA_SA_EEENS0_18inequality_wrapperIZN2at6native12_GLOBAL__N_124unique_dim_cuda_templateIdEESt5tupleIJNSH_6TensorESM_SM_EERKSM_lbbbEUlllE0_EEPmJS6_EEE10hipError_tPvRmT3_T4_T5_T6_T7_T9_mT8_P12ihipStream_tbDpT10_ENKUlT_T0_E_clISt17integral_constantIbLb0EES1B_IbLb1EEEEDaS17_S18_EUlS17_E_NS1_11comp_targetILNS1_3genE0ELNS1_11target_archE4294967295ELNS1_3gpuE0ELNS1_3repE0EEENS1_30default_config_static_selectorELNS0_4arch9wavefront6targetE1EEEvT1_,comdat
	.globl	_ZN7rocprim17ROCPRIM_400000_NS6detail17trampoline_kernelINS0_14default_configENS1_25partition_config_selectorILNS1_17partition_subalgoE8ElNS0_10empty_typeEbEEZZNS1_14partition_implILS5_8ELb0ES3_jPlPS6_PKS6_NS0_5tupleIJS9_S6_EEENSD_IJSA_SA_EEENS0_18inequality_wrapperIZN2at6native12_GLOBAL__N_124unique_dim_cuda_templateIdEESt5tupleIJNSH_6TensorESM_SM_EERKSM_lbbbEUlllE0_EEPmJS6_EEE10hipError_tPvRmT3_T4_T5_T6_T7_T9_mT8_P12ihipStream_tbDpT10_ENKUlT_T0_E_clISt17integral_constantIbLb0EES1B_IbLb1EEEEDaS17_S18_EUlS17_E_NS1_11comp_targetILNS1_3genE0ELNS1_11target_archE4294967295ELNS1_3gpuE0ELNS1_3repE0EEENS1_30default_config_static_selectorELNS0_4arch9wavefront6targetE1EEEvT1_ ; -- Begin function _ZN7rocprim17ROCPRIM_400000_NS6detail17trampoline_kernelINS0_14default_configENS1_25partition_config_selectorILNS1_17partition_subalgoE8ElNS0_10empty_typeEbEEZZNS1_14partition_implILS5_8ELb0ES3_jPlPS6_PKS6_NS0_5tupleIJS9_S6_EEENSD_IJSA_SA_EEENS0_18inequality_wrapperIZN2at6native12_GLOBAL__N_124unique_dim_cuda_templateIdEESt5tupleIJNSH_6TensorESM_SM_EERKSM_lbbbEUlllE0_EEPmJS6_EEE10hipError_tPvRmT3_T4_T5_T6_T7_T9_mT8_P12ihipStream_tbDpT10_ENKUlT_T0_E_clISt17integral_constantIbLb0EES1B_IbLb1EEEEDaS17_S18_EUlS17_E_NS1_11comp_targetILNS1_3genE0ELNS1_11target_archE4294967295ELNS1_3gpuE0ELNS1_3repE0EEENS1_30default_config_static_selectorELNS0_4arch9wavefront6targetE1EEEvT1_
	.p2align	8
	.type	_ZN7rocprim17ROCPRIM_400000_NS6detail17trampoline_kernelINS0_14default_configENS1_25partition_config_selectorILNS1_17partition_subalgoE8ElNS0_10empty_typeEbEEZZNS1_14partition_implILS5_8ELb0ES3_jPlPS6_PKS6_NS0_5tupleIJS9_S6_EEENSD_IJSA_SA_EEENS0_18inequality_wrapperIZN2at6native12_GLOBAL__N_124unique_dim_cuda_templateIdEESt5tupleIJNSH_6TensorESM_SM_EERKSM_lbbbEUlllE0_EEPmJS6_EEE10hipError_tPvRmT3_T4_T5_T6_T7_T9_mT8_P12ihipStream_tbDpT10_ENKUlT_T0_E_clISt17integral_constantIbLb0EES1B_IbLb1EEEEDaS17_S18_EUlS17_E_NS1_11comp_targetILNS1_3genE0ELNS1_11target_archE4294967295ELNS1_3gpuE0ELNS1_3repE0EEENS1_30default_config_static_selectorELNS0_4arch9wavefront6targetE1EEEvT1_,@function
_ZN7rocprim17ROCPRIM_400000_NS6detail17trampoline_kernelINS0_14default_configENS1_25partition_config_selectorILNS1_17partition_subalgoE8ElNS0_10empty_typeEbEEZZNS1_14partition_implILS5_8ELb0ES3_jPlPS6_PKS6_NS0_5tupleIJS9_S6_EEENSD_IJSA_SA_EEENS0_18inequality_wrapperIZN2at6native12_GLOBAL__N_124unique_dim_cuda_templateIdEESt5tupleIJNSH_6TensorESM_SM_EERKSM_lbbbEUlllE0_EEPmJS6_EEE10hipError_tPvRmT3_T4_T5_T6_T7_T9_mT8_P12ihipStream_tbDpT10_ENKUlT_T0_E_clISt17integral_constantIbLb0EES1B_IbLb1EEEEDaS17_S18_EUlS17_E_NS1_11comp_targetILNS1_3genE0ELNS1_11target_archE4294967295ELNS1_3gpuE0ELNS1_3repE0EEENS1_30default_config_static_selectorELNS0_4arch9wavefront6targetE1EEEvT1_: ; @_ZN7rocprim17ROCPRIM_400000_NS6detail17trampoline_kernelINS0_14default_configENS1_25partition_config_selectorILNS1_17partition_subalgoE8ElNS0_10empty_typeEbEEZZNS1_14partition_implILS5_8ELb0ES3_jPlPS6_PKS6_NS0_5tupleIJS9_S6_EEENSD_IJSA_SA_EEENS0_18inequality_wrapperIZN2at6native12_GLOBAL__N_124unique_dim_cuda_templateIdEESt5tupleIJNSH_6TensorESM_SM_EERKSM_lbbbEUlllE0_EEPmJS6_EEE10hipError_tPvRmT3_T4_T5_T6_T7_T9_mT8_P12ihipStream_tbDpT10_ENKUlT_T0_E_clISt17integral_constantIbLb0EES1B_IbLb1EEEEDaS17_S18_EUlS17_E_NS1_11comp_targetILNS1_3genE0ELNS1_11target_archE4294967295ELNS1_3gpuE0ELNS1_3repE0EEENS1_30default_config_static_selectorELNS0_4arch9wavefront6targetE1EEEvT1_
; %bb.0:
	.section	.rodata,"a",@progbits
	.p2align	6, 0x0
	.amdhsa_kernel _ZN7rocprim17ROCPRIM_400000_NS6detail17trampoline_kernelINS0_14default_configENS1_25partition_config_selectorILNS1_17partition_subalgoE8ElNS0_10empty_typeEbEEZZNS1_14partition_implILS5_8ELb0ES3_jPlPS6_PKS6_NS0_5tupleIJS9_S6_EEENSD_IJSA_SA_EEENS0_18inequality_wrapperIZN2at6native12_GLOBAL__N_124unique_dim_cuda_templateIdEESt5tupleIJNSH_6TensorESM_SM_EERKSM_lbbbEUlllE0_EEPmJS6_EEE10hipError_tPvRmT3_T4_T5_T6_T7_T9_mT8_P12ihipStream_tbDpT10_ENKUlT_T0_E_clISt17integral_constantIbLb0EES1B_IbLb1EEEEDaS17_S18_EUlS17_E_NS1_11comp_targetILNS1_3genE0ELNS1_11target_archE4294967295ELNS1_3gpuE0ELNS1_3repE0EEENS1_30default_config_static_selectorELNS0_4arch9wavefront6targetE1EEEvT1_
		.amdhsa_group_segment_fixed_size 0
		.amdhsa_private_segment_fixed_size 0
		.amdhsa_kernarg_size 136
		.amdhsa_user_sgpr_count 2
		.amdhsa_user_sgpr_dispatch_ptr 0
		.amdhsa_user_sgpr_queue_ptr 0
		.amdhsa_user_sgpr_kernarg_segment_ptr 1
		.amdhsa_user_sgpr_dispatch_id 0
		.amdhsa_user_sgpr_kernarg_preload_length 0
		.amdhsa_user_sgpr_kernarg_preload_offset 0
		.amdhsa_user_sgpr_private_segment_size 0
		.amdhsa_uses_dynamic_stack 0
		.amdhsa_enable_private_segment 0
		.amdhsa_system_sgpr_workgroup_id_x 1
		.amdhsa_system_sgpr_workgroup_id_y 0
		.amdhsa_system_sgpr_workgroup_id_z 0
		.amdhsa_system_sgpr_workgroup_info 0
		.amdhsa_system_vgpr_workitem_id 0
		.amdhsa_next_free_vgpr 1
		.amdhsa_next_free_sgpr 0
		.amdhsa_accum_offset 4
		.amdhsa_reserve_vcc 0
		.amdhsa_float_round_mode_32 0
		.amdhsa_float_round_mode_16_64 0
		.amdhsa_float_denorm_mode_32 3
		.amdhsa_float_denorm_mode_16_64 3
		.amdhsa_dx10_clamp 1
		.amdhsa_ieee_mode 1
		.amdhsa_fp16_overflow 0
		.amdhsa_tg_split 0
		.amdhsa_exception_fp_ieee_invalid_op 0
		.amdhsa_exception_fp_denorm_src 0
		.amdhsa_exception_fp_ieee_div_zero 0
		.amdhsa_exception_fp_ieee_overflow 0
		.amdhsa_exception_fp_ieee_underflow 0
		.amdhsa_exception_fp_ieee_inexact 0
		.amdhsa_exception_int_div_zero 0
	.end_amdhsa_kernel
	.section	.text._ZN7rocprim17ROCPRIM_400000_NS6detail17trampoline_kernelINS0_14default_configENS1_25partition_config_selectorILNS1_17partition_subalgoE8ElNS0_10empty_typeEbEEZZNS1_14partition_implILS5_8ELb0ES3_jPlPS6_PKS6_NS0_5tupleIJS9_S6_EEENSD_IJSA_SA_EEENS0_18inequality_wrapperIZN2at6native12_GLOBAL__N_124unique_dim_cuda_templateIdEESt5tupleIJNSH_6TensorESM_SM_EERKSM_lbbbEUlllE0_EEPmJS6_EEE10hipError_tPvRmT3_T4_T5_T6_T7_T9_mT8_P12ihipStream_tbDpT10_ENKUlT_T0_E_clISt17integral_constantIbLb0EES1B_IbLb1EEEEDaS17_S18_EUlS17_E_NS1_11comp_targetILNS1_3genE0ELNS1_11target_archE4294967295ELNS1_3gpuE0ELNS1_3repE0EEENS1_30default_config_static_selectorELNS0_4arch9wavefront6targetE1EEEvT1_,"axG",@progbits,_ZN7rocprim17ROCPRIM_400000_NS6detail17trampoline_kernelINS0_14default_configENS1_25partition_config_selectorILNS1_17partition_subalgoE8ElNS0_10empty_typeEbEEZZNS1_14partition_implILS5_8ELb0ES3_jPlPS6_PKS6_NS0_5tupleIJS9_S6_EEENSD_IJSA_SA_EEENS0_18inequality_wrapperIZN2at6native12_GLOBAL__N_124unique_dim_cuda_templateIdEESt5tupleIJNSH_6TensorESM_SM_EERKSM_lbbbEUlllE0_EEPmJS6_EEE10hipError_tPvRmT3_T4_T5_T6_T7_T9_mT8_P12ihipStream_tbDpT10_ENKUlT_T0_E_clISt17integral_constantIbLb0EES1B_IbLb1EEEEDaS17_S18_EUlS17_E_NS1_11comp_targetILNS1_3genE0ELNS1_11target_archE4294967295ELNS1_3gpuE0ELNS1_3repE0EEENS1_30default_config_static_selectorELNS0_4arch9wavefront6targetE1EEEvT1_,comdat
.Lfunc_end837:
	.size	_ZN7rocprim17ROCPRIM_400000_NS6detail17trampoline_kernelINS0_14default_configENS1_25partition_config_selectorILNS1_17partition_subalgoE8ElNS0_10empty_typeEbEEZZNS1_14partition_implILS5_8ELb0ES3_jPlPS6_PKS6_NS0_5tupleIJS9_S6_EEENSD_IJSA_SA_EEENS0_18inequality_wrapperIZN2at6native12_GLOBAL__N_124unique_dim_cuda_templateIdEESt5tupleIJNSH_6TensorESM_SM_EERKSM_lbbbEUlllE0_EEPmJS6_EEE10hipError_tPvRmT3_T4_T5_T6_T7_T9_mT8_P12ihipStream_tbDpT10_ENKUlT_T0_E_clISt17integral_constantIbLb0EES1B_IbLb1EEEEDaS17_S18_EUlS17_E_NS1_11comp_targetILNS1_3genE0ELNS1_11target_archE4294967295ELNS1_3gpuE0ELNS1_3repE0EEENS1_30default_config_static_selectorELNS0_4arch9wavefront6targetE1EEEvT1_, .Lfunc_end837-_ZN7rocprim17ROCPRIM_400000_NS6detail17trampoline_kernelINS0_14default_configENS1_25partition_config_selectorILNS1_17partition_subalgoE8ElNS0_10empty_typeEbEEZZNS1_14partition_implILS5_8ELb0ES3_jPlPS6_PKS6_NS0_5tupleIJS9_S6_EEENSD_IJSA_SA_EEENS0_18inequality_wrapperIZN2at6native12_GLOBAL__N_124unique_dim_cuda_templateIdEESt5tupleIJNSH_6TensorESM_SM_EERKSM_lbbbEUlllE0_EEPmJS6_EEE10hipError_tPvRmT3_T4_T5_T6_T7_T9_mT8_P12ihipStream_tbDpT10_ENKUlT_T0_E_clISt17integral_constantIbLb0EES1B_IbLb1EEEEDaS17_S18_EUlS17_E_NS1_11comp_targetILNS1_3genE0ELNS1_11target_archE4294967295ELNS1_3gpuE0ELNS1_3repE0EEENS1_30default_config_static_selectorELNS0_4arch9wavefront6targetE1EEEvT1_
                                        ; -- End function
	.section	.AMDGPU.csdata,"",@progbits
; Kernel info:
; codeLenInByte = 0
; NumSgprs: 6
; NumVgprs: 0
; NumAgprs: 0
; TotalNumVgprs: 0
; ScratchSize: 0
; MemoryBound: 0
; FloatMode: 240
; IeeeMode: 1
; LDSByteSize: 0 bytes/workgroup (compile time only)
; SGPRBlocks: 0
; VGPRBlocks: 0
; NumSGPRsForWavesPerEU: 6
; NumVGPRsForWavesPerEU: 1
; AccumOffset: 4
; Occupancy: 8
; WaveLimiterHint : 0
; COMPUTE_PGM_RSRC2:SCRATCH_EN: 0
; COMPUTE_PGM_RSRC2:USER_SGPR: 2
; COMPUTE_PGM_RSRC2:TRAP_HANDLER: 0
; COMPUTE_PGM_RSRC2:TGID_X_EN: 1
; COMPUTE_PGM_RSRC2:TGID_Y_EN: 0
; COMPUTE_PGM_RSRC2:TGID_Z_EN: 0
; COMPUTE_PGM_RSRC2:TIDIG_COMP_CNT: 0
; COMPUTE_PGM_RSRC3_GFX90A:ACCUM_OFFSET: 0
; COMPUTE_PGM_RSRC3_GFX90A:TG_SPLIT: 0
	.section	.text._ZN7rocprim17ROCPRIM_400000_NS6detail17trampoline_kernelINS0_14default_configENS1_25partition_config_selectorILNS1_17partition_subalgoE8ElNS0_10empty_typeEbEEZZNS1_14partition_implILS5_8ELb0ES3_jPlPS6_PKS6_NS0_5tupleIJS9_S6_EEENSD_IJSA_SA_EEENS0_18inequality_wrapperIZN2at6native12_GLOBAL__N_124unique_dim_cuda_templateIdEESt5tupleIJNSH_6TensorESM_SM_EERKSM_lbbbEUlllE0_EEPmJS6_EEE10hipError_tPvRmT3_T4_T5_T6_T7_T9_mT8_P12ihipStream_tbDpT10_ENKUlT_T0_E_clISt17integral_constantIbLb0EES1B_IbLb1EEEEDaS17_S18_EUlS17_E_NS1_11comp_targetILNS1_3genE5ELNS1_11target_archE942ELNS1_3gpuE9ELNS1_3repE0EEENS1_30default_config_static_selectorELNS0_4arch9wavefront6targetE1EEEvT1_,"axG",@progbits,_ZN7rocprim17ROCPRIM_400000_NS6detail17trampoline_kernelINS0_14default_configENS1_25partition_config_selectorILNS1_17partition_subalgoE8ElNS0_10empty_typeEbEEZZNS1_14partition_implILS5_8ELb0ES3_jPlPS6_PKS6_NS0_5tupleIJS9_S6_EEENSD_IJSA_SA_EEENS0_18inequality_wrapperIZN2at6native12_GLOBAL__N_124unique_dim_cuda_templateIdEESt5tupleIJNSH_6TensorESM_SM_EERKSM_lbbbEUlllE0_EEPmJS6_EEE10hipError_tPvRmT3_T4_T5_T6_T7_T9_mT8_P12ihipStream_tbDpT10_ENKUlT_T0_E_clISt17integral_constantIbLb0EES1B_IbLb1EEEEDaS17_S18_EUlS17_E_NS1_11comp_targetILNS1_3genE5ELNS1_11target_archE942ELNS1_3gpuE9ELNS1_3repE0EEENS1_30default_config_static_selectorELNS0_4arch9wavefront6targetE1EEEvT1_,comdat
	.globl	_ZN7rocprim17ROCPRIM_400000_NS6detail17trampoline_kernelINS0_14default_configENS1_25partition_config_selectorILNS1_17partition_subalgoE8ElNS0_10empty_typeEbEEZZNS1_14partition_implILS5_8ELb0ES3_jPlPS6_PKS6_NS0_5tupleIJS9_S6_EEENSD_IJSA_SA_EEENS0_18inequality_wrapperIZN2at6native12_GLOBAL__N_124unique_dim_cuda_templateIdEESt5tupleIJNSH_6TensorESM_SM_EERKSM_lbbbEUlllE0_EEPmJS6_EEE10hipError_tPvRmT3_T4_T5_T6_T7_T9_mT8_P12ihipStream_tbDpT10_ENKUlT_T0_E_clISt17integral_constantIbLb0EES1B_IbLb1EEEEDaS17_S18_EUlS17_E_NS1_11comp_targetILNS1_3genE5ELNS1_11target_archE942ELNS1_3gpuE9ELNS1_3repE0EEENS1_30default_config_static_selectorELNS0_4arch9wavefront6targetE1EEEvT1_ ; -- Begin function _ZN7rocprim17ROCPRIM_400000_NS6detail17trampoline_kernelINS0_14default_configENS1_25partition_config_selectorILNS1_17partition_subalgoE8ElNS0_10empty_typeEbEEZZNS1_14partition_implILS5_8ELb0ES3_jPlPS6_PKS6_NS0_5tupleIJS9_S6_EEENSD_IJSA_SA_EEENS0_18inequality_wrapperIZN2at6native12_GLOBAL__N_124unique_dim_cuda_templateIdEESt5tupleIJNSH_6TensorESM_SM_EERKSM_lbbbEUlllE0_EEPmJS6_EEE10hipError_tPvRmT3_T4_T5_T6_T7_T9_mT8_P12ihipStream_tbDpT10_ENKUlT_T0_E_clISt17integral_constantIbLb0EES1B_IbLb1EEEEDaS17_S18_EUlS17_E_NS1_11comp_targetILNS1_3genE5ELNS1_11target_archE942ELNS1_3gpuE9ELNS1_3repE0EEENS1_30default_config_static_selectorELNS0_4arch9wavefront6targetE1EEEvT1_
	.p2align	8
	.type	_ZN7rocprim17ROCPRIM_400000_NS6detail17trampoline_kernelINS0_14default_configENS1_25partition_config_selectorILNS1_17partition_subalgoE8ElNS0_10empty_typeEbEEZZNS1_14partition_implILS5_8ELb0ES3_jPlPS6_PKS6_NS0_5tupleIJS9_S6_EEENSD_IJSA_SA_EEENS0_18inequality_wrapperIZN2at6native12_GLOBAL__N_124unique_dim_cuda_templateIdEESt5tupleIJNSH_6TensorESM_SM_EERKSM_lbbbEUlllE0_EEPmJS6_EEE10hipError_tPvRmT3_T4_T5_T6_T7_T9_mT8_P12ihipStream_tbDpT10_ENKUlT_T0_E_clISt17integral_constantIbLb0EES1B_IbLb1EEEEDaS17_S18_EUlS17_E_NS1_11comp_targetILNS1_3genE5ELNS1_11target_archE942ELNS1_3gpuE9ELNS1_3repE0EEENS1_30default_config_static_selectorELNS0_4arch9wavefront6targetE1EEEvT1_,@function
_ZN7rocprim17ROCPRIM_400000_NS6detail17trampoline_kernelINS0_14default_configENS1_25partition_config_selectorILNS1_17partition_subalgoE8ElNS0_10empty_typeEbEEZZNS1_14partition_implILS5_8ELb0ES3_jPlPS6_PKS6_NS0_5tupleIJS9_S6_EEENSD_IJSA_SA_EEENS0_18inequality_wrapperIZN2at6native12_GLOBAL__N_124unique_dim_cuda_templateIdEESt5tupleIJNSH_6TensorESM_SM_EERKSM_lbbbEUlllE0_EEPmJS6_EEE10hipError_tPvRmT3_T4_T5_T6_T7_T9_mT8_P12ihipStream_tbDpT10_ENKUlT_T0_E_clISt17integral_constantIbLb0EES1B_IbLb1EEEEDaS17_S18_EUlS17_E_NS1_11comp_targetILNS1_3genE5ELNS1_11target_archE942ELNS1_3gpuE9ELNS1_3repE0EEENS1_30default_config_static_selectorELNS0_4arch9wavefront6targetE1EEEvT1_: ; @_ZN7rocprim17ROCPRIM_400000_NS6detail17trampoline_kernelINS0_14default_configENS1_25partition_config_selectorILNS1_17partition_subalgoE8ElNS0_10empty_typeEbEEZZNS1_14partition_implILS5_8ELb0ES3_jPlPS6_PKS6_NS0_5tupleIJS9_S6_EEENSD_IJSA_SA_EEENS0_18inequality_wrapperIZN2at6native12_GLOBAL__N_124unique_dim_cuda_templateIdEESt5tupleIJNSH_6TensorESM_SM_EERKSM_lbbbEUlllE0_EEPmJS6_EEE10hipError_tPvRmT3_T4_T5_T6_T7_T9_mT8_P12ihipStream_tbDpT10_ENKUlT_T0_E_clISt17integral_constantIbLb0EES1B_IbLb1EEEEDaS17_S18_EUlS17_E_NS1_11comp_targetILNS1_3genE5ELNS1_11target_archE942ELNS1_3gpuE9ELNS1_3repE0EEENS1_30default_config_static_selectorELNS0_4arch9wavefront6targetE1EEEvT1_
; %bb.0:
	s_load_dwordx2 s[34:35], s[0:1], 0x28
	s_load_dwordx8 s[20:27], s[0:1], 0x40
	s_load_dwordx4 s[28:31], s[0:1], 0x60
	v_cmp_ne_u32_e64 s[2:3], 0, v0
	v_cmp_eq_u32_e64 s[18:19], 0, v0
	s_and_saveexec_b64 s[4:5], s[18:19]
	s_cbranch_execz .LBB838_4
; %bb.1:
	s_mov_b64 s[8:9], exec
	v_mbcnt_lo_u32_b32 v1, s8, 0
	v_mbcnt_hi_u32_b32 v1, s9, v1
	v_cmp_eq_u32_e32 vcc, 0, v1
                                        ; implicit-def: $vgpr2
	s_and_saveexec_b64 s[6:7], vcc
	s_cbranch_execz .LBB838_3
; %bb.2:
	s_load_dwordx2 s[10:11], s[0:1], 0x78
	s_bcnt1_i32_b64 s8, s[8:9]
	v_mov_b32_e32 v2, 0
	v_mov_b32_e32 v3, s8
	s_waitcnt lgkmcnt(0)
	global_atomic_add v2, v2, v3, s[10:11] sc0
.LBB838_3:
	s_or_b64 exec, exec, s[6:7]
	s_waitcnt vmcnt(0)
	v_readfirstlane_b32 s6, v2
	v_mov_b32_e32 v2, 0
	s_nop 0
	v_add_u32_e32 v1, s6, v1
	ds_write_b32 v2, v1
.LBB838_4:
	s_or_b64 exec, exec, s[4:5]
	v_mov_b32_e32 v3, 0
	s_load_dwordx4 s[4:7], s[0:1], 0x8
	s_load_dword s10, s[0:1], 0x70
	s_waitcnt lgkmcnt(0)
	s_barrier
	ds_read_b32 v1, v3
	s_waitcnt lgkmcnt(0)
	s_barrier
	global_load_dwordx2 v[4:5], v3, s[22:23]
	s_lshl_b64 s[0:1], s[6:7], 3
	s_mul_i32 s12, s10, 0xe00
	s_add_u32 s0, s4, s0
	s_addc_u32 s1, s5, s1
	s_add_i32 s4, s12, s6
	s_add_i32 s10, s10, -1
	s_sub_i32 s52, s24, s4
	s_add_u32 s4, s6, s12
	s_movk_i32 s11, 0xe00
	s_addc_u32 s5, s7, 0
	v_readfirstlane_b32 s33, v1
	v_mov_b32_e32 v6, s24
	v_mov_b32_e32 v7, s25
	v_mul_lo_u32 v2, v1, s11
	s_cmp_eq_u32 s33, s10
	v_cmp_ge_u64_e32 vcc, s[4:5], v[6:7]
	v_lshlrev_b64 v[6:7], 3, v[2:3]
	s_cselect_b64 s[24:25], -1, 0
	v_lshl_add_u64 v[18:19], s[0:1], 0, v[6:7]
	s_and_b64 s[0:1], vcc, s[24:25]
	s_xor_b64 s[36:37], s[0:1], -1
	s_mov_b64 s[8:9], -1
	s_and_b64 vcc, exec, s[36:37]
	s_waitcnt vmcnt(0)
	v_readfirstlane_b32 s22, v4
	v_readfirstlane_b32 s23, v5
	s_cbranch_vccz .LBB838_6
; %bb.5:
	v_lshlrev_b32_e32 v2, 3, v0
	v_lshl_add_u64 v[4:5], v[18:19], 0, v[2:3]
	v_add_co_u32_e32 v8, vcc, 0x1000, v4
	v_readfirstlane_b32 s4, v18
	s_nop 0
	v_addc_co_u32_e32 v9, vcc, 0, v5, vcc
	v_add_co_u32_e32 v10, vcc, 0x2000, v4
	v_readfirstlane_b32 s5, v19
	s_nop 0
	v_addc_co_u32_e32 v11, vcc, 0, v5, vcc
	v_add_co_u32_e32 v12, vcc, 0x3000, v4
	s_mov_b64 s[8:9], 0
	s_nop 0
	v_addc_co_u32_e32 v13, vcc, 0, v5, vcc
	v_add_co_u32_e32 v14, vcc, 0x4000, v4
	global_load_dwordx2 v[6:7], v2, s[4:5]
	s_nop 0
	v_addc_co_u32_e32 v15, vcc, 0, v5, vcc
	global_load_dwordx2 v[16:17], v[8:9], off
	global_load_dwordx2 v[20:21], v[10:11], off
	;; [unrolled: 1-line block ×4, first 2 shown]
	v_add_co_u32_e32 v8, vcc, 0x5000, v4
	s_nop 1
	v_addc_co_u32_e32 v9, vcc, 0, v5, vcc
	v_add_co_u32_e32 v4, vcc, 0x6000, v4
	global_load_dwordx2 v[8:9], v[8:9], off
	s_nop 0
	v_addc_co_u32_e32 v5, vcc, 0, v5, vcc
	global_load_dwordx2 v[4:5], v[4:5], off
	s_waitcnt vmcnt(5)
	ds_write2st64_b64 v2, v[6:7], v[16:17] offset1:8
	s_waitcnt vmcnt(3)
	ds_write2st64_b64 v2, v[20:21], v[22:23] offset0:16 offset1:24
	s_waitcnt vmcnt(1)
	ds_write2st64_b64 v2, v[24:25], v[8:9] offset0:32 offset1:40
	s_waitcnt vmcnt(0)
	ds_write_b64 v2, v[4:5] offset:24576
	s_waitcnt lgkmcnt(0)
	s_barrier
.LBB838_6:
	s_andn2_b64 vcc, exec, s[8:9]
	s_addk_i32 s52, 0xe00
	s_cbranch_vccnz .LBB838_22
; %bb.7:
	v_cmp_gt_u32_e32 vcc, s52, v0
                                        ; implicit-def: $vgpr2_vgpr3_vgpr4_vgpr5_vgpr6_vgpr7_vgpr8_vgpr9_vgpr10_vgpr11_vgpr12_vgpr13_vgpr14_vgpr15_vgpr16_vgpr17
	s_and_saveexec_b64 s[4:5], vcc
	s_cbranch_execz .LBB838_9
; %bb.8:
	v_lshlrev_b32_e32 v1, 3, v0
	v_readfirstlane_b32 s8, v18
	v_readfirstlane_b32 s9, v19
	s_nop 4
	global_load_dwordx2 v[2:3], v1, s[8:9]
.LBB838_9:
	s_or_b64 exec, exec, s[4:5]
	v_or_b32_e32 v1, 0x200, v0
	v_cmp_gt_u32_e32 vcc, s52, v1
	s_and_saveexec_b64 s[4:5], vcc
	s_cbranch_execz .LBB838_11
; %bb.10:
	v_lshlrev_b32_e32 v1, 3, v1
	v_readfirstlane_b32 s8, v18
	v_readfirstlane_b32 s9, v19
	s_nop 4
	global_load_dwordx2 v[4:5], v1, s[8:9]
.LBB838_11:
	s_or_b64 exec, exec, s[4:5]
	v_or_b32_e32 v1, 0x400, v0
	v_cmp_gt_u32_e32 vcc, s52, v1
	;; [unrolled: 12-line block ×6, first 2 shown]
	s_and_saveexec_b64 s[4:5], vcc
	s_cbranch_execz .LBB838_21
; %bb.20:
	v_lshlrev_b32_e32 v1, 3, v1
	v_readfirstlane_b32 s8, v18
	v_readfirstlane_b32 s9, v19
	s_nop 4
	global_load_dwordx2 v[14:15], v1, s[8:9]
.LBB838_21:
	s_or_b64 exec, exec, s[4:5]
	v_lshlrev_b32_e32 v1, 3, v0
	s_waitcnt vmcnt(0)
	ds_write2st64_b64 v1, v[2:3], v[4:5] offset1:8
	ds_write2st64_b64 v1, v[6:7], v[8:9] offset0:16 offset1:24
	ds_write2st64_b64 v1, v[10:11], v[12:13] offset0:32 offset1:40
	ds_write_b64 v1, v[14:15] offset:24576
	s_waitcnt lgkmcnt(0)
	s_barrier
.LBB838_22:
	v_mul_u32_u24_e32 v1, 7, v0
	v_lshlrev_b32_e32 v32, 3, v1
	ds_read2_b64 v[10:13], v32 offset1:1
	ds_read2_b64 v[6:9], v32 offset0:2 offset1:3
	ds_read2_b64 v[2:5], v32 offset0:4 offset1:5
	ds_read_b64 v[14:15], v32 offset:48
	s_cmp_lg_u32 s33, 0
	s_cselect_b64 s[16:17], -1, 0
	s_cmp_lg_u64 s[6:7], 0
	s_cselect_b64 s[4:5], -1, 0
	s_or_b64 s[4:5], s[4:5], s[16:17]
	v_mad_u32_u24 v27, v0, 7, 1
	v_mad_u32_u24 v26, v0, 7, 2
	;; [unrolled: 1-line block ×6, first 2 shown]
	s_mov_b64 s[8:9], 0
	s_and_b64 vcc, exec, s[4:5]
	v_cmp_gt_i64_e64 s[4:5], s[26:27], 0
	s_waitcnt lgkmcnt(0)
	s_barrier
	s_cbranch_vccz .LBB838_31
; %bb.23:
	global_load_dwordx2 v[16:17], v[18:19], off offset:-8
	v_cndmask_b32_e64 v18, 0, 1, s[4:5]
	v_lshlrev_b32_e32 v33, 3, v0
	s_mov_b64 s[6:7], 0
	s_and_b64 vcc, exec, s[36:37]
	v_cmp_ne_u32_e64 s[4:5], 1, v18
	ds_write_b64 v33, v[14:15]
	s_cbranch_vccz .LBB838_33
; %bb.24:
	v_mul_lo_u32 v20, v5, s26
	v_mul_lo_u32 v21, v4, s27
	v_mad_u64_u32 v[18:19], s[8:9], v4, s26, 0
	v_add3_u32 v19, v19, v21, v20
	s_and_b64 vcc, exec, s[4:5]
	v_lshl_add_u64 v[18:19], v[18:19], 3, s[28:29]
	s_cbranch_vccnz .LBB838_36
; %bb.25:
	v_mul_lo_u32 v22, v15, s26
	v_mul_lo_u32 v23, v14, s27
	v_mad_u64_u32 v[20:21], s[6:7], v14, s26, 0
	v_add3_u32 v21, v21, v23, v22
	v_lshl_add_u64 v[20:21], v[20:21], 3, s[28:29]
	global_load_dwordx2 v[22:23], v[18:19], off
	global_load_dwordx2 v[24:25], v[20:21], off
	s_mov_b64 s[6:7], -1
	s_waitcnt vmcnt(0)
	v_cmp_eq_f64_e32 vcc, v[22:23], v[24:25]
	s_and_saveexec_b64 s[8:9], vcc
	s_cbranch_execz .LBB838_35
; %bb.26:
	s_add_u32 s6, s26, -1
	v_lshl_add_u64 v[20:21], v[20:21], 0, 8
	v_lshl_add_u64 v[22:23], v[18:19], 0, 8
	s_addc_u32 s7, s27, -1
	s_mov_b64 s[10:11], 0
	s_mov_b64 s[14:15], 0
                                        ; implicit-def: $sgpr12_sgpr13
	s_branch .LBB838_29
.LBB838_27:                             ;   in Loop: Header=BB838_29 Depth=1
	global_load_dwordx2 v[24:25], v[22:23], off
	global_load_dwordx2 v[34:35], v[20:21], off
	s_add_u32 s14, s14, 1
	s_addc_u32 s15, s15, 0
	s_andn2_b64 s[12:13], s[12:13], exec
	v_lshl_add_u64 v[20:21], v[20:21], 0, 8
	v_lshl_add_u64 v[22:23], v[22:23], 0, 8
	s_waitcnt vmcnt(0)
	v_cmp_neq_f64_e32 vcc, v[24:25], v[34:35]
	s_and_b64 s[38:39], vcc, exec
	s_or_b64 s[12:13], s[12:13], s[38:39]
.LBB838_28:                             ;   in Loop: Header=BB838_29 Depth=1
	s_and_b64 s[38:39], exec, s[12:13]
	s_or_b64 s[10:11], s[38:39], s[10:11]
	v_mov_b64_e32 v[24:25], s[14:15]
	s_andn2_b64 exec, exec, s[10:11]
	s_cbranch_execz .LBB838_34
.LBB838_29:                             ; =>This Inner Loop Header: Depth=1
	s_or_b64 s[12:13], s[12:13], exec
	s_cmp_eq_u64 s[6:7], s[14:15]
	s_cbranch_scc0 .LBB838_27
; %bb.30:                               ;   in Loop: Header=BB838_29 Depth=1
                                        ; implicit-def: $vgpr20_vgpr21
                                        ; implicit-def: $vgpr22_vgpr23
	s_mov_b64 s[14:15], s[26:27]
	s_branch .LBB838_28
.LBB838_31:
                                        ; implicit-def: $sgpr12_sgpr13
                                        ; implicit-def: $vgpr35
                                        ; implicit-def: $vgpr34
                                        ; implicit-def: $vgpr25
                                        ; implicit-def: $vgpr20
	s_branch .LBB838_174
.LBB838_32:
                                        ; implicit-def: $vgpr16_vgpr17
	s_branch .LBB838_322
.LBB838_33:
                                        ; implicit-def: $sgpr12_sgpr13
                                        ; implicit-def: $vgpr35
                                        ; implicit-def: $vgpr34
                                        ; implicit-def: $vgpr25
                                        ; implicit-def: $vgpr20
	s_cbranch_execnz .LBB838_93
	s_branch .LBB838_173
.LBB838_34:
	s_or_b64 exec, exec, s[10:11]
	v_cmp_gt_i64_e32 vcc, s[26:27], v[24:25]
	s_orn2_b64 s[6:7], vcc, exec
.LBB838_35:
	s_or_b64 exec, exec, s[8:9]
.LBB838_36:
	v_mul_lo_u32 v22, v3, s26
	v_mul_lo_u32 v23, v2, s27
	v_mad_u64_u32 v[20:21], s[8:9], v2, s26, 0
	v_add3_u32 v21, v21, v23, v22
	s_mov_b64 s[8:9], 0
	s_and_b64 vcc, exec, s[4:5]
	v_lshl_add_u64 v[20:21], v[20:21], 3, s[28:29]
	s_mov_b64 s[10:11], 0
	s_cbranch_vccnz .LBB838_45
; %bb.37:
	global_load_dwordx2 v[22:23], v[20:21], off
	global_load_dwordx2 v[24:25], v[18:19], off
	s_mov_b64 s[10:11], -1
	s_waitcnt vmcnt(0)
	v_cmp_eq_f64_e32 vcc, v[22:23], v[24:25]
	s_and_saveexec_b64 s[12:13], vcc
	s_cbranch_execz .LBB838_44
; %bb.38:
	s_add_u32 s10, s26, -1
	v_lshl_add_u64 v[18:19], v[18:19], 0, 8
	v_lshl_add_u64 v[22:23], v[20:21], 0, 8
	s_addc_u32 s11, s27, -1
	s_mov_b64 s[14:15], 0
	s_mov_b64 s[40:41], 0
                                        ; implicit-def: $sgpr38_sgpr39
	s_branch .LBB838_41
.LBB838_39:                             ;   in Loop: Header=BB838_41 Depth=1
	global_load_dwordx2 v[24:25], v[22:23], off
	global_load_dwordx2 v[34:35], v[18:19], off
	s_add_u32 s40, s40, 1
	s_addc_u32 s41, s41, 0
	s_andn2_b64 s[38:39], s[38:39], exec
	v_lshl_add_u64 v[18:19], v[18:19], 0, 8
	v_lshl_add_u64 v[22:23], v[22:23], 0, 8
	s_waitcnt vmcnt(0)
	v_cmp_neq_f64_e32 vcc, v[24:25], v[34:35]
	s_and_b64 s[42:43], vcc, exec
	s_or_b64 s[38:39], s[38:39], s[42:43]
.LBB838_40:                             ;   in Loop: Header=BB838_41 Depth=1
	s_and_b64 s[42:43], exec, s[38:39]
	s_or_b64 s[14:15], s[42:43], s[14:15]
	v_mov_b64_e32 v[24:25], s[40:41]
	s_andn2_b64 exec, exec, s[14:15]
	s_cbranch_execz .LBB838_43
.LBB838_41:                             ; =>This Inner Loop Header: Depth=1
	s_or_b64 s[38:39], s[38:39], exec
	s_cmp_eq_u64 s[10:11], s[40:41]
	s_cbranch_scc0 .LBB838_39
; %bb.42:                               ;   in Loop: Header=BB838_41 Depth=1
                                        ; implicit-def: $vgpr18_vgpr19
                                        ; implicit-def: $vgpr22_vgpr23
	s_mov_b64 s[40:41], s[26:27]
	s_branch .LBB838_40
.LBB838_43:
	s_or_b64 exec, exec, s[14:15]
	v_cmp_gt_i64_e32 vcc, s[26:27], v[24:25]
	s_orn2_b64 s[10:11], vcc, exec
.LBB838_44:
	s_or_b64 exec, exec, s[12:13]
.LBB838_45:
	v_mul_lo_u32 v22, v9, s26
	v_mul_lo_u32 v23, v8, s27
	v_mad_u64_u32 v[18:19], s[12:13], v8, s26, 0
	v_add3_u32 v19, v19, v23, v22
	s_and_b64 vcc, exec, s[4:5]
	v_lshl_add_u64 v[18:19], v[18:19], 3, s[28:29]
	s_cbranch_vccnz .LBB838_54
; %bb.46:
	global_load_dwordx2 v[22:23], v[18:19], off
	global_load_dwordx2 v[24:25], v[20:21], off
	s_mov_b64 s[8:9], -1
	s_waitcnt vmcnt(0)
	v_cmp_eq_f64_e32 vcc, v[22:23], v[24:25]
	s_and_saveexec_b64 s[12:13], vcc
	s_cbranch_execz .LBB838_53
; %bb.47:
	s_add_u32 s8, s26, -1
	v_lshl_add_u64 v[20:21], v[20:21], 0, 8
	v_lshl_add_u64 v[22:23], v[18:19], 0, 8
	s_addc_u32 s9, s27, -1
	s_mov_b64 s[14:15], 0
	s_mov_b64 s[40:41], 0
                                        ; implicit-def: $sgpr38_sgpr39
	s_branch .LBB838_50
.LBB838_48:                             ;   in Loop: Header=BB838_50 Depth=1
	global_load_dwordx2 v[24:25], v[22:23], off
	global_load_dwordx2 v[34:35], v[20:21], off
	s_add_u32 s40, s40, 1
	s_addc_u32 s41, s41, 0
	s_andn2_b64 s[38:39], s[38:39], exec
	v_lshl_add_u64 v[20:21], v[20:21], 0, 8
	v_lshl_add_u64 v[22:23], v[22:23], 0, 8
	s_waitcnt vmcnt(0)
	v_cmp_neq_f64_e32 vcc, v[24:25], v[34:35]
	s_and_b64 s[42:43], vcc, exec
	s_or_b64 s[38:39], s[38:39], s[42:43]
.LBB838_49:                             ;   in Loop: Header=BB838_50 Depth=1
	s_and_b64 s[42:43], exec, s[38:39]
	s_or_b64 s[14:15], s[42:43], s[14:15]
	v_mov_b64_e32 v[24:25], s[40:41]
	s_andn2_b64 exec, exec, s[14:15]
	s_cbranch_execz .LBB838_52
.LBB838_50:                             ; =>This Inner Loop Header: Depth=1
	s_or_b64 s[38:39], s[38:39], exec
	s_cmp_eq_u64 s[8:9], s[40:41]
	s_cbranch_scc0 .LBB838_48
; %bb.51:                               ;   in Loop: Header=BB838_50 Depth=1
                                        ; implicit-def: $vgpr20_vgpr21
                                        ; implicit-def: $vgpr22_vgpr23
	s_mov_b64 s[40:41], s[26:27]
	s_branch .LBB838_49
.LBB838_52:
	s_or_b64 exec, exec, s[14:15]
	v_cmp_gt_i64_e32 vcc, s[26:27], v[24:25]
	s_orn2_b64 s[8:9], vcc, exec
.LBB838_53:
	s_or_b64 exec, exec, s[12:13]
.LBB838_54:
	v_mul_lo_u32 v22, v7, s26
	v_mul_lo_u32 v23, v6, s27
	v_mad_u64_u32 v[20:21], s[12:13], v6, s26, 0
	v_add3_u32 v21, v21, v23, v22
	s_mov_b64 s[12:13], 0
	s_and_b64 vcc, exec, s[4:5]
	v_lshl_add_u64 v[22:23], v[20:21], 3, s[28:29]
	s_mov_b64 s[14:15], 0
	s_cbranch_vccnz .LBB838_63
; %bb.55:
	global_load_dwordx2 v[20:21], v[22:23], off
	global_load_dwordx2 v[24:25], v[18:19], off
	s_mov_b64 s[14:15], -1
	s_waitcnt vmcnt(0)
	v_cmp_eq_f64_e32 vcc, v[20:21], v[24:25]
	s_and_saveexec_b64 s[38:39], vcc
	s_cbranch_execz .LBB838_62
; %bb.56:
	s_add_u32 s14, s26, -1
	v_lshl_add_u64 v[18:19], v[18:19], 0, 8
	v_lshl_add_u64 v[20:21], v[22:23], 0, 8
	s_addc_u32 s15, s27, -1
	s_mov_b64 s[40:41], 0
	s_mov_b64 s[44:45], 0
                                        ; implicit-def: $sgpr42_sgpr43
	s_branch .LBB838_59
.LBB838_57:                             ;   in Loop: Header=BB838_59 Depth=1
	global_load_dwordx2 v[24:25], v[20:21], off
	global_load_dwordx2 v[34:35], v[18:19], off
	s_add_u32 s44, s44, 1
	s_addc_u32 s45, s45, 0
	s_andn2_b64 s[42:43], s[42:43], exec
	v_lshl_add_u64 v[18:19], v[18:19], 0, 8
	v_lshl_add_u64 v[20:21], v[20:21], 0, 8
	s_waitcnt vmcnt(0)
	v_cmp_neq_f64_e32 vcc, v[24:25], v[34:35]
	s_and_b64 s[46:47], vcc, exec
	s_or_b64 s[42:43], s[42:43], s[46:47]
.LBB838_58:                             ;   in Loop: Header=BB838_59 Depth=1
	s_and_b64 s[46:47], exec, s[42:43]
	s_or_b64 s[40:41], s[46:47], s[40:41]
	v_mov_b64_e32 v[24:25], s[44:45]
	s_andn2_b64 exec, exec, s[40:41]
	s_cbranch_execz .LBB838_61
.LBB838_59:                             ; =>This Inner Loop Header: Depth=1
	s_or_b64 s[42:43], s[42:43], exec
	s_cmp_eq_u64 s[14:15], s[44:45]
	s_cbranch_scc0 .LBB838_57
; %bb.60:                               ;   in Loop: Header=BB838_59 Depth=1
                                        ; implicit-def: $vgpr18_vgpr19
                                        ; implicit-def: $vgpr20_vgpr21
	s_mov_b64 s[44:45], s[26:27]
	s_branch .LBB838_58
.LBB838_61:
	s_or_b64 exec, exec, s[40:41]
	v_cmp_gt_i64_e32 vcc, s[26:27], v[24:25]
	s_orn2_b64 s[14:15], vcc, exec
.LBB838_62:
	s_or_b64 exec, exec, s[38:39]
.LBB838_63:
	v_mul_lo_u32 v20, v13, s26
	v_mul_lo_u32 v21, v12, s27
	v_mad_u64_u32 v[18:19], s[38:39], v12, s26, 0
	v_add3_u32 v19, v19, v21, v20
	s_and_b64 vcc, exec, s[4:5]
	v_lshl_add_u64 v[20:21], v[18:19], 3, s[28:29]
	s_cbranch_vccnz .LBB838_72
; %bb.64:
	global_load_dwordx2 v[18:19], v[20:21], off
	global_load_dwordx2 v[24:25], v[22:23], off
	s_mov_b64 s[12:13], -1
	s_waitcnt vmcnt(0)
	v_cmp_eq_f64_e32 vcc, v[18:19], v[24:25]
	s_and_saveexec_b64 s[38:39], vcc
	s_cbranch_execz .LBB838_71
; %bb.65:
	s_add_u32 s12, s26, -1
	v_lshl_add_u64 v[18:19], v[22:23], 0, 8
	v_lshl_add_u64 v[22:23], v[20:21], 0, 8
	s_addc_u32 s13, s27, -1
	s_mov_b64 s[40:41], 0
	s_mov_b64 s[44:45], 0
                                        ; implicit-def: $sgpr42_sgpr43
	s_branch .LBB838_68
.LBB838_66:                             ;   in Loop: Header=BB838_68 Depth=1
	global_load_dwordx2 v[24:25], v[22:23], off
	global_load_dwordx2 v[34:35], v[18:19], off
	s_add_u32 s44, s44, 1
	s_addc_u32 s45, s45, 0
	s_andn2_b64 s[42:43], s[42:43], exec
	v_lshl_add_u64 v[18:19], v[18:19], 0, 8
	v_lshl_add_u64 v[22:23], v[22:23], 0, 8
	s_waitcnt vmcnt(0)
	v_cmp_neq_f64_e32 vcc, v[24:25], v[34:35]
	s_and_b64 s[46:47], vcc, exec
	s_or_b64 s[42:43], s[42:43], s[46:47]
.LBB838_67:                             ;   in Loop: Header=BB838_68 Depth=1
	s_and_b64 s[46:47], exec, s[42:43]
	s_or_b64 s[40:41], s[46:47], s[40:41]
	v_mov_b64_e32 v[24:25], s[44:45]
	s_andn2_b64 exec, exec, s[40:41]
	s_cbranch_execz .LBB838_70
.LBB838_68:                             ; =>This Inner Loop Header: Depth=1
	s_or_b64 s[42:43], s[42:43], exec
	s_cmp_eq_u64 s[12:13], s[44:45]
	s_cbranch_scc0 .LBB838_66
; %bb.69:                               ;   in Loop: Header=BB838_68 Depth=1
                                        ; implicit-def: $vgpr18_vgpr19
                                        ; implicit-def: $vgpr22_vgpr23
	s_mov_b64 s[44:45], s[26:27]
	s_branch .LBB838_67
.LBB838_70:
	s_or_b64 exec, exec, s[40:41]
	v_cmp_gt_i64_e32 vcc, s[26:27], v[24:25]
	s_orn2_b64 s[12:13], vcc, exec
.LBB838_71:
	s_or_b64 exec, exec, s[38:39]
.LBB838_72:
	v_mul_lo_u32 v22, v11, s26
	v_mul_lo_u32 v23, v10, s27
	v_mad_u64_u32 v[18:19], s[38:39], v10, s26, 0
	v_add3_u32 v19, v19, v23, v22
	s_mov_b64 s[40:41], 0
	s_and_b64 vcc, exec, s[4:5]
	v_lshl_add_u64 v[18:19], v[18:19], 3, s[28:29]
	s_cbranch_vccnz .LBB838_81
; %bb.73:
	global_load_dwordx2 v[22:23], v[18:19], off
	global_load_dwordx2 v[24:25], v[20:21], off
	s_mov_b64 s[40:41], -1
	s_waitcnt vmcnt(0)
	v_cmp_eq_f64_e32 vcc, v[22:23], v[24:25]
	s_and_saveexec_b64 s[38:39], vcc
	s_cbranch_execz .LBB838_80
; %bb.74:
	s_add_u32 s40, s26, -1
	v_lshl_add_u64 v[20:21], v[20:21], 0, 8
	v_lshl_add_u64 v[22:23], v[18:19], 0, 8
	s_addc_u32 s41, s27, -1
	s_mov_b64 s[42:43], 0
	s_mov_b64 s[46:47], 0
                                        ; implicit-def: $sgpr44_sgpr45
	s_branch .LBB838_77
.LBB838_75:                             ;   in Loop: Header=BB838_77 Depth=1
	global_load_dwordx2 v[24:25], v[22:23], off
	global_load_dwordx2 v[34:35], v[20:21], off
	s_add_u32 s46, s46, 1
	s_addc_u32 s47, s47, 0
	s_andn2_b64 s[44:45], s[44:45], exec
	v_lshl_add_u64 v[20:21], v[20:21], 0, 8
	v_lshl_add_u64 v[22:23], v[22:23], 0, 8
	s_waitcnt vmcnt(0)
	v_cmp_neq_f64_e32 vcc, v[24:25], v[34:35]
	s_and_b64 s[48:49], vcc, exec
	s_or_b64 s[44:45], s[44:45], s[48:49]
.LBB838_76:                             ;   in Loop: Header=BB838_77 Depth=1
	s_and_b64 s[48:49], exec, s[44:45]
	s_or_b64 s[42:43], s[48:49], s[42:43]
	v_mov_b64_e32 v[24:25], s[46:47]
	s_andn2_b64 exec, exec, s[42:43]
	s_cbranch_execz .LBB838_79
.LBB838_77:                             ; =>This Inner Loop Header: Depth=1
	s_or_b64 s[44:45], s[44:45], exec
	s_cmp_eq_u64 s[40:41], s[46:47]
	s_cbranch_scc0 .LBB838_75
; %bb.78:                               ;   in Loop: Header=BB838_77 Depth=1
                                        ; implicit-def: $vgpr20_vgpr21
                                        ; implicit-def: $vgpr22_vgpr23
	s_mov_b64 s[46:47], s[26:27]
	s_branch .LBB838_76
.LBB838_79:
	s_or_b64 exec, exec, s[42:43]
	v_cmp_gt_i64_e32 vcc, s[26:27], v[24:25]
	s_orn2_b64 s[40:41], vcc, exec
.LBB838_80:
	s_or_b64 exec, exec, s[38:39]
.LBB838_81:
	s_waitcnt vmcnt(0)
	v_mov_b64_e32 v[20:21], v[16:17]
	s_waitcnt lgkmcnt(0)
	s_barrier
	s_and_saveexec_b64 s[38:39], s[2:3]
	s_cbranch_execz .LBB838_83
; %bb.82:
	v_add_u32_e32 v20, -8, v33
	ds_read_b64 v[20:21], v20
.LBB838_83:
	s_or_b64 exec, exec, s[38:39]
	v_cndmask_b32_e64 v23, 0, 1, s[14:15]
	v_cndmask_b32_e64 v22, 0, 1, s[12:13]
	v_cndmask_b32_e64 v24, 0, 1, s[40:41]
	v_lshlrev_b16_e32 v23, 8, v23
	v_lshlrev_b16_e32 v24, 8, v24
	v_or_b32_sdwa v36, v22, v23 dst_sel:WORD_1 dst_unused:UNUSED_PAD src0_sel:DWORD src1_sel:DWORD
	s_mov_b64 s[14:15], 0
	s_and_b64 vcc, exec, s[4:5]
	s_mov_b64 s[12:13], 0
	s_cbranch_vccnz .LBB838_92
; %bb.84:
	s_waitcnt lgkmcnt(0)
	v_mul_lo_u32 v22, v21, s26
	v_mul_lo_u32 v23, v20, s27
	v_mad_u64_u32 v[20:21], s[12:13], v20, s26, 0
	v_add3_u32 v21, v21, v23, v22
	v_lshl_add_u64 v[20:21], v[20:21], 3, s[28:29]
	global_load_dwordx2 v[22:23], v[20:21], off
	global_load_dwordx2 v[34:35], v[18:19], off
	s_mov_b64 s[12:13], -1
	s_waitcnt vmcnt(0)
	v_cmp_eq_f64_e32 vcc, v[22:23], v[34:35]
	s_and_saveexec_b64 s[38:39], vcc
	s_cbranch_execz .LBB838_91
; %bb.85:
	s_add_u32 s12, s26, -1
	v_lshl_add_u64 v[18:19], v[18:19], 0, 8
	v_lshl_add_u64 v[20:21], v[20:21], 0, 8
	s_addc_u32 s13, s27, -1
	s_mov_b64 s[40:41], 0
	s_mov_b64 s[44:45], 0
                                        ; implicit-def: $sgpr42_sgpr43
	s_branch .LBB838_88
.LBB838_86:                             ;   in Loop: Header=BB838_88 Depth=1
	global_load_dwordx2 v[22:23], v[20:21], off
	global_load_dwordx2 v[34:35], v[18:19], off
	s_add_u32 s44, s44, 1
	s_addc_u32 s45, s45, 0
	s_andn2_b64 s[42:43], s[42:43], exec
	v_lshl_add_u64 v[18:19], v[18:19], 0, 8
	v_lshl_add_u64 v[20:21], v[20:21], 0, 8
	s_waitcnt vmcnt(0)
	v_cmp_neq_f64_e32 vcc, v[22:23], v[34:35]
	s_and_b64 s[46:47], vcc, exec
	s_or_b64 s[42:43], s[42:43], s[46:47]
.LBB838_87:                             ;   in Loop: Header=BB838_88 Depth=1
	s_and_b64 s[46:47], exec, s[42:43]
	s_or_b64 s[40:41], s[46:47], s[40:41]
	v_mov_b64_e32 v[22:23], s[44:45]
	s_andn2_b64 exec, exec, s[40:41]
	s_cbranch_execz .LBB838_90
.LBB838_88:                             ; =>This Inner Loop Header: Depth=1
	s_or_b64 s[42:43], s[42:43], exec
	s_cmp_eq_u64 s[12:13], s[44:45]
	s_cbranch_scc0 .LBB838_86
; %bb.89:                               ;   in Loop: Header=BB838_88 Depth=1
                                        ; implicit-def: $vgpr18_vgpr19
                                        ; implicit-def: $vgpr20_vgpr21
	s_mov_b64 s[44:45], s[26:27]
	s_branch .LBB838_87
.LBB838_90:
	s_or_b64 exec, exec, s[40:41]
	v_cmp_gt_i64_e32 vcc, s[26:27], v[22:23]
	s_orn2_b64 s[12:13], vcc, exec
.LBB838_91:
	s_or_b64 exec, exec, s[38:39]
.LBB838_92:
	v_cndmask_b32_e64 v25, 0, 1, s[8:9]
	v_cndmask_b32_e64 v34, 0, 1, s[10:11]
	;; [unrolled: 1-line block ×3, first 2 shown]
	s_waitcnt lgkmcnt(0)
	v_or_b32_e32 v20, v24, v36
	s_and_b64 vcc, exec, s[14:15]
	s_cbranch_vccz .LBB838_173
.LBB838_93:
	v_cmp_gt_u32_e32 vcc, s52, v29
	s_mov_b64 s[8:9], 0
	s_mov_b64 s[6:7], 0
	s_and_saveexec_b64 s[10:11], vcc
	s_cbranch_execz .LBB838_104
; %bb.94:
	s_and_b64 vcc, exec, s[4:5]
	s_mov_b64 s[12:13], 0
	s_cbranch_vccnz .LBB838_103
; %bb.95:
	v_mul_lo_u32 v20, v5, s26
	v_mul_lo_u32 v21, v4, s27
	v_mad_u64_u32 v[18:19], s[6:7], v4, s26, 0
	v_add3_u32 v19, v19, v21, v20
	v_mul_lo_u32 v20, v15, s26
	v_mul_lo_u32 v21, v14, s27
	v_mad_u64_u32 v[22:23], s[6:7], v14, s26, 0
	v_add3_u32 v23, v23, v21, v20
	v_lshl_add_u64 v[20:21], v[18:19], 3, s[28:29]
	v_lshl_add_u64 v[18:19], v[22:23], 3, s[28:29]
	global_load_dwordx2 v[22:23], v[20:21], off
	global_load_dwordx2 v[24:25], v[18:19], off
	s_mov_b64 s[12:13], -1
	s_waitcnt vmcnt(0)
	v_cmp_eq_f64_e32 vcc, v[22:23], v[24:25]
	s_and_saveexec_b64 s[6:7], vcc
	s_cbranch_execz .LBB838_102
; %bb.96:
	s_add_u32 s12, s26, -1
	v_lshl_add_u64 v[18:19], v[18:19], 0, 8
	v_lshl_add_u64 v[20:21], v[20:21], 0, 8
	s_addc_u32 s13, s27, -1
	s_mov_b64 s[14:15], 0
	s_mov_b64 s[40:41], 0
                                        ; implicit-def: $sgpr38_sgpr39
	s_branch .LBB838_99
.LBB838_97:                             ;   in Loop: Header=BB838_99 Depth=1
	global_load_dwordx2 v[22:23], v[20:21], off
	global_load_dwordx2 v[24:25], v[18:19], off
	s_add_u32 s40, s40, 1
	s_addc_u32 s41, s41, 0
	s_andn2_b64 s[38:39], s[38:39], exec
	v_lshl_add_u64 v[18:19], v[18:19], 0, 8
	v_lshl_add_u64 v[20:21], v[20:21], 0, 8
	s_waitcnt vmcnt(0)
	v_cmp_neq_f64_e32 vcc, v[22:23], v[24:25]
	s_and_b64 s[42:43], vcc, exec
	s_or_b64 s[38:39], s[38:39], s[42:43]
.LBB838_98:                             ;   in Loop: Header=BB838_99 Depth=1
	s_and_b64 s[42:43], exec, s[38:39]
	s_or_b64 s[14:15], s[42:43], s[14:15]
	v_mov_b64_e32 v[22:23], s[40:41]
	s_andn2_b64 exec, exec, s[14:15]
	s_cbranch_execz .LBB838_101
.LBB838_99:                             ; =>This Inner Loop Header: Depth=1
	s_or_b64 s[38:39], s[38:39], exec
	s_cmp_eq_u64 s[12:13], s[40:41]
	s_cbranch_scc0 .LBB838_97
; %bb.100:                              ;   in Loop: Header=BB838_99 Depth=1
                                        ; implicit-def: $vgpr18_vgpr19
                                        ; implicit-def: $vgpr20_vgpr21
	s_mov_b64 s[40:41], s[26:27]
	s_branch .LBB838_98
.LBB838_101:
	s_or_b64 exec, exec, s[14:15]
	v_cmp_gt_i64_e32 vcc, s[26:27], v[22:23]
	s_orn2_b64 s[12:13], vcc, exec
.LBB838_102:
	s_or_b64 exec, exec, s[6:7]
.LBB838_103:
	s_and_b64 s[6:7], s[12:13], exec
.LBB838_104:
	s_or_b64 exec, exec, s[10:11]
	v_cmp_gt_u32_e32 vcc, s52, v31
	s_and_saveexec_b64 s[10:11], vcc
	s_cbranch_execz .LBB838_115
; %bb.105:
	s_and_b64 vcc, exec, s[4:5]
	s_mov_b64 s[12:13], 0
	s_cbranch_vccnz .LBB838_114
; %bb.106:
	v_mul_lo_u32 v20, v3, s26
	v_mul_lo_u32 v21, v2, s27
	v_mad_u64_u32 v[18:19], s[8:9], v2, s26, 0
	v_add3_u32 v19, v19, v21, v20
	v_mul_lo_u32 v20, v5, s26
	v_mul_lo_u32 v21, v4, s27
	v_mad_u64_u32 v[22:23], s[8:9], v4, s26, 0
	v_add3_u32 v23, v23, v21, v20
	v_lshl_add_u64 v[20:21], v[18:19], 3, s[28:29]
	v_lshl_add_u64 v[18:19], v[22:23], 3, s[28:29]
	global_load_dwordx2 v[22:23], v[20:21], off
	global_load_dwordx2 v[24:25], v[18:19], off
	s_mov_b64 s[12:13], -1
	s_waitcnt vmcnt(0)
	v_cmp_eq_f64_e32 vcc, v[22:23], v[24:25]
	s_and_saveexec_b64 s[8:9], vcc
	s_cbranch_execz .LBB838_113
; %bb.107:
	s_add_u32 s12, s26, -1
	v_lshl_add_u64 v[18:19], v[18:19], 0, 8
	v_lshl_add_u64 v[20:21], v[20:21], 0, 8
	s_addc_u32 s13, s27, -1
	s_mov_b64 s[14:15], 0
	s_mov_b64 s[40:41], 0
                                        ; implicit-def: $sgpr38_sgpr39
	s_branch .LBB838_110
.LBB838_108:                            ;   in Loop: Header=BB838_110 Depth=1
	global_load_dwordx2 v[22:23], v[20:21], off
	global_load_dwordx2 v[24:25], v[18:19], off
	s_add_u32 s40, s40, 1
	s_addc_u32 s41, s41, 0
	s_andn2_b64 s[38:39], s[38:39], exec
	v_lshl_add_u64 v[18:19], v[18:19], 0, 8
	v_lshl_add_u64 v[20:21], v[20:21], 0, 8
	s_waitcnt vmcnt(0)
	v_cmp_neq_f64_e32 vcc, v[22:23], v[24:25]
	s_and_b64 s[42:43], vcc, exec
	s_or_b64 s[38:39], s[38:39], s[42:43]
.LBB838_109:                            ;   in Loop: Header=BB838_110 Depth=1
	s_and_b64 s[42:43], exec, s[38:39]
	s_or_b64 s[14:15], s[42:43], s[14:15]
	v_mov_b64_e32 v[22:23], s[40:41]
	s_andn2_b64 exec, exec, s[14:15]
	s_cbranch_execz .LBB838_112
.LBB838_110:                            ; =>This Inner Loop Header: Depth=1
	s_or_b64 s[38:39], s[38:39], exec
	s_cmp_eq_u64 s[12:13], s[40:41]
	s_cbranch_scc0 .LBB838_108
; %bb.111:                              ;   in Loop: Header=BB838_110 Depth=1
                                        ; implicit-def: $vgpr18_vgpr19
                                        ; implicit-def: $vgpr20_vgpr21
	s_mov_b64 s[40:41], s[26:27]
	s_branch .LBB838_109
.LBB838_112:
	s_or_b64 exec, exec, s[14:15]
	v_cmp_gt_i64_e32 vcc, s[26:27], v[22:23]
	s_orn2_b64 s[12:13], vcc, exec
.LBB838_113:
	s_or_b64 exec, exec, s[8:9]
.LBB838_114:
	s_and_b64 s[8:9], s[12:13], exec
.LBB838_115:
	s_or_b64 exec, exec, s[10:11]
	v_cmp_gt_u32_e32 vcc, s52, v28
	s_mov_b64 s[12:13], 0
	s_mov_b64 s[10:11], 0
	s_and_saveexec_b64 s[14:15], vcc
	s_cbranch_execz .LBB838_126
; %bb.116:
	s_and_b64 vcc, exec, s[4:5]
	s_mov_b64 s[38:39], 0
	s_cbranch_vccnz .LBB838_125
; %bb.117:
	v_mul_lo_u32 v20, v9, s26
	v_mul_lo_u32 v21, v8, s27
	v_mad_u64_u32 v[18:19], s[10:11], v8, s26, 0
	v_add3_u32 v19, v19, v21, v20
	v_mul_lo_u32 v20, v3, s26
	v_mul_lo_u32 v21, v2, s27
	v_mad_u64_u32 v[22:23], s[10:11], v2, s26, 0
	v_add3_u32 v23, v23, v21, v20
	v_lshl_add_u64 v[20:21], v[18:19], 3, s[28:29]
	v_lshl_add_u64 v[18:19], v[22:23], 3, s[28:29]
	global_load_dwordx2 v[22:23], v[20:21], off
	global_load_dwordx2 v[24:25], v[18:19], off
	s_mov_b64 s[38:39], -1
	s_waitcnt vmcnt(0)
	v_cmp_eq_f64_e32 vcc, v[22:23], v[24:25]
	s_and_saveexec_b64 s[10:11], vcc
	s_cbranch_execz .LBB838_124
; %bb.118:
	s_add_u32 s38, s26, -1
	v_lshl_add_u64 v[18:19], v[18:19], 0, 8
	v_lshl_add_u64 v[20:21], v[20:21], 0, 8
	s_addc_u32 s39, s27, -1
	s_mov_b64 s[40:41], 0
	s_mov_b64 s[44:45], 0
                                        ; implicit-def: $sgpr42_sgpr43
	s_branch .LBB838_121
.LBB838_119:                            ;   in Loop: Header=BB838_121 Depth=1
	global_load_dwordx2 v[22:23], v[20:21], off
	global_load_dwordx2 v[24:25], v[18:19], off
	s_add_u32 s44, s44, 1
	s_addc_u32 s45, s45, 0
	s_andn2_b64 s[42:43], s[42:43], exec
	v_lshl_add_u64 v[18:19], v[18:19], 0, 8
	v_lshl_add_u64 v[20:21], v[20:21], 0, 8
	s_waitcnt vmcnt(0)
	v_cmp_neq_f64_e32 vcc, v[22:23], v[24:25]
	s_and_b64 s[46:47], vcc, exec
	s_or_b64 s[42:43], s[42:43], s[46:47]
.LBB838_120:                            ;   in Loop: Header=BB838_121 Depth=1
	s_and_b64 s[46:47], exec, s[42:43]
	s_or_b64 s[40:41], s[46:47], s[40:41]
	v_mov_b64_e32 v[22:23], s[44:45]
	s_andn2_b64 exec, exec, s[40:41]
	s_cbranch_execz .LBB838_123
.LBB838_121:                            ; =>This Inner Loop Header: Depth=1
	s_or_b64 s[42:43], s[42:43], exec
	s_cmp_eq_u64 s[38:39], s[44:45]
	s_cbranch_scc0 .LBB838_119
; %bb.122:                              ;   in Loop: Header=BB838_121 Depth=1
                                        ; implicit-def: $vgpr18_vgpr19
                                        ; implicit-def: $vgpr20_vgpr21
	s_mov_b64 s[44:45], s[26:27]
	s_branch .LBB838_120
.LBB838_123:
	s_or_b64 exec, exec, s[40:41]
	v_cmp_gt_i64_e32 vcc, s[26:27], v[22:23]
	s_orn2_b64 s[38:39], vcc, exec
.LBB838_124:
	s_or_b64 exec, exec, s[10:11]
.LBB838_125:
	s_and_b64 s[10:11], s[38:39], exec
.LBB838_126:
	s_or_b64 exec, exec, s[14:15]
	v_cmp_gt_u32_e32 vcc, s52, v30
	s_and_saveexec_b64 s[14:15], vcc
	s_cbranch_execz .LBB838_137
; %bb.127:
	s_and_b64 vcc, exec, s[4:5]
	s_mov_b64 s[38:39], 0
	s_cbranch_vccnz .LBB838_136
; %bb.128:
	v_mul_lo_u32 v20, v7, s26
	v_mul_lo_u32 v21, v6, s27
	v_mad_u64_u32 v[18:19], s[12:13], v6, s26, 0
	v_add3_u32 v19, v19, v21, v20
	v_mul_lo_u32 v20, v9, s26
	v_mul_lo_u32 v21, v8, s27
	v_mad_u64_u32 v[22:23], s[12:13], v8, s26, 0
	v_add3_u32 v23, v23, v21, v20
	v_lshl_add_u64 v[20:21], v[18:19], 3, s[28:29]
	v_lshl_add_u64 v[18:19], v[22:23], 3, s[28:29]
	global_load_dwordx2 v[22:23], v[20:21], off
	global_load_dwordx2 v[24:25], v[18:19], off
	s_mov_b64 s[38:39], -1
	s_waitcnt vmcnt(0)
	v_cmp_eq_f64_e32 vcc, v[22:23], v[24:25]
	s_and_saveexec_b64 s[12:13], vcc
	s_cbranch_execz .LBB838_135
; %bb.129:
	s_add_u32 s38, s26, -1
	v_lshl_add_u64 v[18:19], v[18:19], 0, 8
	v_lshl_add_u64 v[20:21], v[20:21], 0, 8
	s_addc_u32 s39, s27, -1
	s_mov_b64 s[40:41], 0
	s_mov_b64 s[44:45], 0
                                        ; implicit-def: $sgpr42_sgpr43
	s_branch .LBB838_132
.LBB838_130:                            ;   in Loop: Header=BB838_132 Depth=1
	global_load_dwordx2 v[22:23], v[20:21], off
	global_load_dwordx2 v[24:25], v[18:19], off
	s_add_u32 s44, s44, 1
	s_addc_u32 s45, s45, 0
	s_andn2_b64 s[42:43], s[42:43], exec
	v_lshl_add_u64 v[18:19], v[18:19], 0, 8
	v_lshl_add_u64 v[20:21], v[20:21], 0, 8
	s_waitcnt vmcnt(0)
	v_cmp_neq_f64_e32 vcc, v[22:23], v[24:25]
	s_and_b64 s[46:47], vcc, exec
	s_or_b64 s[42:43], s[42:43], s[46:47]
.LBB838_131:                            ;   in Loop: Header=BB838_132 Depth=1
	s_and_b64 s[46:47], exec, s[42:43]
	s_or_b64 s[40:41], s[46:47], s[40:41]
	v_mov_b64_e32 v[22:23], s[44:45]
	s_andn2_b64 exec, exec, s[40:41]
	s_cbranch_execz .LBB838_134
.LBB838_132:                            ; =>This Inner Loop Header: Depth=1
	s_or_b64 s[42:43], s[42:43], exec
	s_cmp_eq_u64 s[38:39], s[44:45]
	s_cbranch_scc0 .LBB838_130
; %bb.133:                              ;   in Loop: Header=BB838_132 Depth=1
                                        ; implicit-def: $vgpr18_vgpr19
                                        ; implicit-def: $vgpr20_vgpr21
	s_mov_b64 s[44:45], s[26:27]
	s_branch .LBB838_131
.LBB838_134:
	s_or_b64 exec, exec, s[40:41]
	v_cmp_gt_i64_e32 vcc, s[26:27], v[22:23]
	s_orn2_b64 s[38:39], vcc, exec
.LBB838_135:
	s_or_b64 exec, exec, s[12:13]
.LBB838_136:
	s_and_b64 s[12:13], s[38:39], exec
.LBB838_137:
	s_or_b64 exec, exec, s[14:15]
	v_cmp_gt_u32_e32 vcc, s52, v26
	s_mov_b64 s[14:15], 0
	s_mov_b64 s[38:39], 0
	s_and_saveexec_b64 s[40:41], vcc
	s_cbranch_execz .LBB838_148
; %bb.138:
	s_and_b64 vcc, exec, s[4:5]
	s_mov_b64 s[42:43], 0
	s_cbranch_vccnz .LBB838_147
; %bb.139:
	v_mul_lo_u32 v20, v13, s26
	v_mul_lo_u32 v21, v12, s27
	v_mad_u64_u32 v[18:19], s[38:39], v12, s26, 0
	v_add3_u32 v19, v19, v21, v20
	v_mul_lo_u32 v20, v7, s26
	v_mul_lo_u32 v21, v6, s27
	v_mad_u64_u32 v[22:23], s[38:39], v6, s26, 0
	v_add3_u32 v23, v23, v21, v20
	v_lshl_add_u64 v[20:21], v[18:19], 3, s[28:29]
	v_lshl_add_u64 v[18:19], v[22:23], 3, s[28:29]
	global_load_dwordx2 v[22:23], v[20:21], off
	global_load_dwordx2 v[24:25], v[18:19], off
	s_mov_b64 s[42:43], -1
	s_waitcnt vmcnt(0)
	v_cmp_eq_f64_e32 vcc, v[22:23], v[24:25]
	s_and_saveexec_b64 s[38:39], vcc
	s_cbranch_execz .LBB838_146
; %bb.140:
	s_add_u32 s42, s26, -1
	v_lshl_add_u64 v[18:19], v[18:19], 0, 8
	v_lshl_add_u64 v[20:21], v[20:21], 0, 8
	s_addc_u32 s43, s27, -1
	s_mov_b64 s[44:45], 0
	s_mov_b64 s[48:49], 0
                                        ; implicit-def: $sgpr46_sgpr47
	s_branch .LBB838_143
.LBB838_141:                            ;   in Loop: Header=BB838_143 Depth=1
	global_load_dwordx2 v[22:23], v[20:21], off
	global_load_dwordx2 v[24:25], v[18:19], off
	s_add_u32 s48, s48, 1
	s_addc_u32 s49, s49, 0
	s_andn2_b64 s[46:47], s[46:47], exec
	v_lshl_add_u64 v[18:19], v[18:19], 0, 8
	v_lshl_add_u64 v[20:21], v[20:21], 0, 8
	s_waitcnt vmcnt(0)
	v_cmp_neq_f64_e32 vcc, v[22:23], v[24:25]
	s_and_b64 s[50:51], vcc, exec
	s_or_b64 s[46:47], s[46:47], s[50:51]
.LBB838_142:                            ;   in Loop: Header=BB838_143 Depth=1
	s_and_b64 s[50:51], exec, s[46:47]
	s_or_b64 s[44:45], s[50:51], s[44:45]
	v_mov_b64_e32 v[22:23], s[48:49]
	s_andn2_b64 exec, exec, s[44:45]
	s_cbranch_execz .LBB838_145
.LBB838_143:                            ; =>This Inner Loop Header: Depth=1
	s_or_b64 s[46:47], s[46:47], exec
	s_cmp_eq_u64 s[42:43], s[48:49]
	s_cbranch_scc0 .LBB838_141
; %bb.144:                              ;   in Loop: Header=BB838_143 Depth=1
                                        ; implicit-def: $vgpr18_vgpr19
                                        ; implicit-def: $vgpr20_vgpr21
	s_mov_b64 s[48:49], s[26:27]
	s_branch .LBB838_142
.LBB838_145:
	s_or_b64 exec, exec, s[44:45]
	v_cmp_gt_i64_e32 vcc, s[26:27], v[22:23]
	s_orn2_b64 s[42:43], vcc, exec
.LBB838_146:
	s_or_b64 exec, exec, s[38:39]
.LBB838_147:
	s_and_b64 s[38:39], s[42:43], exec
.LBB838_148:
	s_or_b64 exec, exec, s[40:41]
	v_cmp_gt_u32_e32 vcc, s52, v27
	s_and_saveexec_b64 s[40:41], vcc
	s_cbranch_execz .LBB838_159
; %bb.149:
	s_and_b64 vcc, exec, s[4:5]
	s_mov_b64 s[42:43], 0
	s_cbranch_vccnz .LBB838_158
; %bb.150:
	v_mul_lo_u32 v20, v11, s26
	v_mul_lo_u32 v21, v10, s27
	v_mad_u64_u32 v[18:19], s[14:15], v10, s26, 0
	v_add3_u32 v19, v19, v21, v20
	v_mul_lo_u32 v20, v13, s26
	v_mul_lo_u32 v21, v12, s27
	v_mad_u64_u32 v[22:23], s[14:15], v12, s26, 0
	v_add3_u32 v23, v23, v21, v20
	v_lshl_add_u64 v[20:21], v[18:19], 3, s[28:29]
	v_lshl_add_u64 v[18:19], v[22:23], 3, s[28:29]
	global_load_dwordx2 v[22:23], v[20:21], off
	global_load_dwordx2 v[24:25], v[18:19], off
	s_mov_b64 s[42:43], -1
	s_waitcnt vmcnt(0)
	v_cmp_eq_f64_e32 vcc, v[22:23], v[24:25]
	s_and_saveexec_b64 s[14:15], vcc
	s_cbranch_execz .LBB838_157
; %bb.151:
	s_add_u32 s42, s26, -1
	v_lshl_add_u64 v[18:19], v[18:19], 0, 8
	v_lshl_add_u64 v[20:21], v[20:21], 0, 8
	s_addc_u32 s43, s27, -1
	s_mov_b64 s[44:45], 0
	s_mov_b64 s[48:49], 0
                                        ; implicit-def: $sgpr46_sgpr47
	s_branch .LBB838_154
.LBB838_152:                            ;   in Loop: Header=BB838_154 Depth=1
	global_load_dwordx2 v[22:23], v[20:21], off
	global_load_dwordx2 v[24:25], v[18:19], off
	s_add_u32 s48, s48, 1
	s_addc_u32 s49, s49, 0
	s_andn2_b64 s[46:47], s[46:47], exec
	v_lshl_add_u64 v[18:19], v[18:19], 0, 8
	v_lshl_add_u64 v[20:21], v[20:21], 0, 8
	s_waitcnt vmcnt(0)
	v_cmp_neq_f64_e32 vcc, v[22:23], v[24:25]
	s_and_b64 s[50:51], vcc, exec
	s_or_b64 s[46:47], s[46:47], s[50:51]
.LBB838_153:                            ;   in Loop: Header=BB838_154 Depth=1
	s_and_b64 s[50:51], exec, s[46:47]
	s_or_b64 s[44:45], s[50:51], s[44:45]
	v_mov_b64_e32 v[22:23], s[48:49]
	s_andn2_b64 exec, exec, s[44:45]
	s_cbranch_execz .LBB838_156
.LBB838_154:                            ; =>This Inner Loop Header: Depth=1
	s_or_b64 s[46:47], s[46:47], exec
	s_cmp_eq_u64 s[42:43], s[48:49]
	s_cbranch_scc0 .LBB838_152
; %bb.155:                              ;   in Loop: Header=BB838_154 Depth=1
                                        ; implicit-def: $vgpr18_vgpr19
                                        ; implicit-def: $vgpr20_vgpr21
	s_mov_b64 s[48:49], s[26:27]
	s_branch .LBB838_153
.LBB838_156:
	s_or_b64 exec, exec, s[44:45]
	v_cmp_gt_i64_e32 vcc, s[26:27], v[22:23]
	s_orn2_b64 s[42:43], vcc, exec
.LBB838_157:
	s_or_b64 exec, exec, s[14:15]
.LBB838_158:
	s_and_b64 s[14:15], s[42:43], exec
.LBB838_159:
	s_or_b64 exec, exec, s[40:41]
	s_waitcnt lgkmcnt(0)
	s_barrier
	s_and_saveexec_b64 s[40:41], s[2:3]
	s_cbranch_execz .LBB838_161
; %bb.160:
	s_waitcnt vmcnt(0)
	v_add_u32_e32 v16, -8, v33
	ds_read_b64 v[16:17], v16
.LBB838_161:
	s_or_b64 exec, exec, s[40:41]
	v_cndmask_b32_e64 v19, 0, 1, s[12:13]
	v_cndmask_b32_e64 v18, 0, 1, s[38:39]
	;; [unrolled: 1-line block ×3, first 2 shown]
	v_lshlrev_b16_e32 v19, 8, v19
	v_cmp_gt_u32_e32 vcc, s52, v1
	v_lshlrev_b16_e32 v22, 8, v20
	v_or_b32_sdwa v23, v18, v19 dst_sel:WORD_1 dst_unused:UNUSED_PAD src0_sel:DWORD src1_sel:DWORD
	s_mov_b64 s[12:13], 0
	s_and_saveexec_b64 s[14:15], vcc
	s_cbranch_execz .LBB838_172
; %bb.162:
	s_and_b64 vcc, exec, s[4:5]
	s_cbranch_vccnz .LBB838_171
; %bb.163:
	s_waitcnt vmcnt(0) lgkmcnt(0)
	v_mul_lo_u32 v18, v17, s26
	v_mul_lo_u32 v19, v16, s27
	v_mad_u64_u32 v[16:17], s[4:5], v16, s26, 0
	v_add3_u32 v17, v17, v19, v18
	v_mul_lo_u32 v18, v11, s26
	v_mul_lo_u32 v19, v10, s27
	v_mad_u64_u32 v[20:21], s[4:5], v10, s26, 0
	v_add3_u32 v21, v21, v19, v18
	v_lshl_add_u64 v[18:19], v[16:17], 3, s[28:29]
	v_lshl_add_u64 v[16:17], v[20:21], 3, s[28:29]
	global_load_dwordx2 v[20:21], v[18:19], off
	global_load_dwordx2 v[24:25], v[16:17], off
	s_mov_b64 s[12:13], -1
	s_waitcnt vmcnt(0)
	v_cmp_eq_f64_e32 vcc, v[20:21], v[24:25]
	s_and_saveexec_b64 s[4:5], vcc
	s_cbranch_execz .LBB838_170
; %bb.164:
	s_add_u32 s12, s26, -1
	v_lshl_add_u64 v[16:17], v[16:17], 0, 8
	v_lshl_add_u64 v[18:19], v[18:19], 0, 8
	s_addc_u32 s13, s27, -1
	s_mov_b64 s[38:39], 0
	s_mov_b64 s[42:43], 0
                                        ; implicit-def: $sgpr40_sgpr41
	s_branch .LBB838_167
.LBB838_165:                            ;   in Loop: Header=BB838_167 Depth=1
	global_load_dwordx2 v[20:21], v[18:19], off
	global_load_dwordx2 v[24:25], v[16:17], off
	s_add_u32 s42, s42, 1
	s_addc_u32 s43, s43, 0
	s_andn2_b64 s[40:41], s[40:41], exec
	v_lshl_add_u64 v[16:17], v[16:17], 0, 8
	v_lshl_add_u64 v[18:19], v[18:19], 0, 8
	s_waitcnt vmcnt(0)
	v_cmp_neq_f64_e32 vcc, v[20:21], v[24:25]
	s_and_b64 s[44:45], vcc, exec
	s_or_b64 s[40:41], s[40:41], s[44:45]
.LBB838_166:                            ;   in Loop: Header=BB838_167 Depth=1
	s_and_b64 s[44:45], exec, s[40:41]
	s_or_b64 s[38:39], s[44:45], s[38:39]
	v_mov_b64_e32 v[20:21], s[42:43]
	s_andn2_b64 exec, exec, s[38:39]
	s_cbranch_execz .LBB838_169
.LBB838_167:                            ; =>This Inner Loop Header: Depth=1
	s_or_b64 s[40:41], s[40:41], exec
	s_cmp_eq_u64 s[12:13], s[42:43]
	s_cbranch_scc0 .LBB838_165
; %bb.168:                              ;   in Loop: Header=BB838_167 Depth=1
                                        ; implicit-def: $vgpr16_vgpr17
                                        ; implicit-def: $vgpr18_vgpr19
	s_mov_b64 s[42:43], s[26:27]
	s_branch .LBB838_166
.LBB838_169:
	s_or_b64 exec, exec, s[38:39]
	v_cmp_gt_i64_e32 vcc, s[26:27], v[20:21]
	s_orn2_b64 s[12:13], vcc, exec
.LBB838_170:
	s_or_b64 exec, exec, s[4:5]
.LBB838_171:
	s_and_b64 s[12:13], s[12:13], exec
.LBB838_172:
	s_or_b64 exec, exec, s[14:15]
	v_cndmask_b32_e64 v25, 0, 1, s[10:11]
	v_cndmask_b32_e64 v34, 0, 1, s[8:9]
	;; [unrolled: 1-line block ×3, first 2 shown]
	v_or_b32_e32 v20, v22, v23
.LBB838_173:
	s_mov_b64 s[8:9], -1
	s_cbranch_execnz .LBB838_32
.LBB838_174:
	s_movk_i32 s4, 0xffd0
	v_mad_i32_i24 v24, v0, s4, v32
	s_mov_b64 s[10:11], 0
	v_cmp_gt_i64_e64 s[6:7], s[26:27], 0
	s_and_b64 vcc, exec, s[36:37]
	ds_write_b64 v24, v[14:15]
	s_cbranch_vccz .LBB838_182
; %bb.175:
	v_mul_lo_u32 v18, v5, s26
	v_mul_lo_u32 v19, v4, s27
	s_waitcnt vmcnt(0) lgkmcnt(1)
	v_mad_u64_u32 v[16:17], s[4:5], v4, s26, 0
	v_add3_u32 v17, v17, v19, v18
	v_cndmask_b32_e64 v18, 0, 1, s[6:7]
	v_cmp_ne_u32_e64 s[4:5], 1, v18
	s_andn2_b64 vcc, exec, s[6:7]
	v_lshl_add_u64 v[16:17], v[16:17], 3, s[28:29]
	s_cbranch_vccnz .LBB838_185
; %bb.176:
	v_mul_lo_u32 v20, v15, s26
	v_mul_lo_u32 v21, v14, s27
	v_mad_u64_u32 v[18:19], s[10:11], v14, s26, 0
	v_add3_u32 v19, v19, v21, v20
	v_lshl_add_u64 v[18:19], v[18:19], 3, s[28:29]
	global_load_dwordx2 v[20:21], v[16:17], off
	global_load_dwordx2 v[22:23], v[18:19], off
	s_mov_b64 s[10:11], -1
	s_waitcnt vmcnt(0)
	v_cmp_eq_f64_e32 vcc, v[20:21], v[22:23]
	s_and_saveexec_b64 s[12:13], vcc
	s_cbranch_execz .LBB838_184
; %bb.177:
	s_add_u32 s10, s26, -1
	v_lshl_add_u64 v[18:19], v[18:19], 0, 8
	v_lshl_add_u64 v[20:21], v[16:17], 0, 8
	s_addc_u32 s11, s27, -1
	s_mov_b64 s[14:15], 0
	s_mov_b64 s[40:41], 0
                                        ; implicit-def: $sgpr38_sgpr39
	s_branch .LBB838_180
.LBB838_178:                            ;   in Loop: Header=BB838_180 Depth=1
	global_load_dwordx2 v[22:23], v[20:21], off
	global_load_dwordx2 v[32:33], v[18:19], off
	s_add_u32 s40, s40, 1
	s_addc_u32 s41, s41, 0
	s_andn2_b64 s[38:39], s[38:39], exec
	v_lshl_add_u64 v[18:19], v[18:19], 0, 8
	v_lshl_add_u64 v[20:21], v[20:21], 0, 8
	s_waitcnt vmcnt(0)
	v_cmp_neq_f64_e32 vcc, v[22:23], v[32:33]
	s_and_b64 s[42:43], vcc, exec
	s_or_b64 s[38:39], s[38:39], s[42:43]
.LBB838_179:                            ;   in Loop: Header=BB838_180 Depth=1
	s_and_b64 s[42:43], exec, s[38:39]
	s_or_b64 s[14:15], s[42:43], s[14:15]
	v_mov_b64_e32 v[22:23], s[40:41]
	s_andn2_b64 exec, exec, s[14:15]
	s_cbranch_execz .LBB838_183
.LBB838_180:                            ; =>This Inner Loop Header: Depth=1
	s_or_b64 s[38:39], s[38:39], exec
	s_cmp_eq_u64 s[10:11], s[40:41]
	s_cbranch_scc0 .LBB838_178
; %bb.181:                              ;   in Loop: Header=BB838_180 Depth=1
                                        ; implicit-def: $vgpr18_vgpr19
                                        ; implicit-def: $vgpr20_vgpr21
	s_mov_b64 s[40:41], s[26:27]
	s_branch .LBB838_179
.LBB838_182:
                                        ; implicit-def: $sgpr12_sgpr13
                                        ; implicit-def: $vgpr35
                                        ; implicit-def: $vgpr34
                                        ; implicit-def: $vgpr25
                                        ; implicit-def: $vgpr20
                                        ; implicit-def: $vgpr16_vgpr17
	s_cbranch_execnz .LBB838_242
	s_branch .LBB838_322
.LBB838_183:
	s_or_b64 exec, exec, s[14:15]
	v_cmp_gt_i64_e32 vcc, s[26:27], v[22:23]
	s_orn2_b64 s[10:11], vcc, exec
.LBB838_184:
	s_or_b64 exec, exec, s[12:13]
.LBB838_185:
	v_mul_lo_u32 v20, v3, s26
	v_mul_lo_u32 v21, v2, s27
	v_mad_u64_u32 v[18:19], s[12:13], v2, s26, 0
	v_add3_u32 v19, v19, v21, v20
	s_mov_b64 s[12:13], 0
	s_and_b64 vcc, exec, s[4:5]
	v_lshl_add_u64 v[18:19], v[18:19], 3, s[28:29]
	s_mov_b64 s[14:15], 0
	s_cbranch_vccnz .LBB838_194
; %bb.186:
	global_load_dwordx2 v[20:21], v[18:19], off
	global_load_dwordx2 v[22:23], v[16:17], off
	s_mov_b64 s[14:15], -1
	s_waitcnt vmcnt(0)
	v_cmp_eq_f64_e32 vcc, v[20:21], v[22:23]
	s_and_saveexec_b64 s[38:39], vcc
	s_cbranch_execz .LBB838_193
; %bb.187:
	s_add_u32 s14, s26, -1
	v_lshl_add_u64 v[16:17], v[16:17], 0, 8
	v_lshl_add_u64 v[20:21], v[18:19], 0, 8
	s_addc_u32 s15, s27, -1
	s_mov_b64 s[40:41], 0
	s_mov_b64 s[44:45], 0
                                        ; implicit-def: $sgpr42_sgpr43
	s_branch .LBB838_190
.LBB838_188:                            ;   in Loop: Header=BB838_190 Depth=1
	global_load_dwordx2 v[22:23], v[20:21], off
	global_load_dwordx2 v[32:33], v[16:17], off
	s_add_u32 s44, s44, 1
	s_addc_u32 s45, s45, 0
	s_andn2_b64 s[42:43], s[42:43], exec
	v_lshl_add_u64 v[16:17], v[16:17], 0, 8
	v_lshl_add_u64 v[20:21], v[20:21], 0, 8
	s_waitcnt vmcnt(0)
	v_cmp_neq_f64_e32 vcc, v[22:23], v[32:33]
	s_and_b64 s[46:47], vcc, exec
	s_or_b64 s[42:43], s[42:43], s[46:47]
.LBB838_189:                            ;   in Loop: Header=BB838_190 Depth=1
	s_and_b64 s[46:47], exec, s[42:43]
	s_or_b64 s[40:41], s[46:47], s[40:41]
	v_mov_b64_e32 v[22:23], s[44:45]
	s_andn2_b64 exec, exec, s[40:41]
	s_cbranch_execz .LBB838_192
.LBB838_190:                            ; =>This Inner Loop Header: Depth=1
	s_or_b64 s[42:43], s[42:43], exec
	s_cmp_eq_u64 s[14:15], s[44:45]
	s_cbranch_scc0 .LBB838_188
; %bb.191:                              ;   in Loop: Header=BB838_190 Depth=1
                                        ; implicit-def: $vgpr16_vgpr17
                                        ; implicit-def: $vgpr20_vgpr21
	s_mov_b64 s[44:45], s[26:27]
	s_branch .LBB838_189
.LBB838_192:
	s_or_b64 exec, exec, s[40:41]
	v_cmp_gt_i64_e32 vcc, s[26:27], v[22:23]
	s_orn2_b64 s[14:15], vcc, exec
.LBB838_193:
	s_or_b64 exec, exec, s[38:39]
.LBB838_194:
	v_mul_lo_u32 v20, v9, s26
	v_mul_lo_u32 v21, v8, s27
	v_mad_u64_u32 v[16:17], s[38:39], v8, s26, 0
	v_add3_u32 v17, v17, v21, v20
	s_and_b64 vcc, exec, s[4:5]
	v_lshl_add_u64 v[16:17], v[16:17], 3, s[28:29]
	s_cbranch_vccnz .LBB838_203
; %bb.195:
	global_load_dwordx2 v[20:21], v[16:17], off
	global_load_dwordx2 v[22:23], v[18:19], off
	s_mov_b64 s[12:13], -1
	s_waitcnt vmcnt(0)
	v_cmp_eq_f64_e32 vcc, v[20:21], v[22:23]
	s_and_saveexec_b64 s[38:39], vcc
	s_cbranch_execz .LBB838_202
; %bb.196:
	s_add_u32 s12, s26, -1
	v_lshl_add_u64 v[18:19], v[18:19], 0, 8
	v_lshl_add_u64 v[20:21], v[16:17], 0, 8
	s_addc_u32 s13, s27, -1
	s_mov_b64 s[40:41], 0
	s_mov_b64 s[44:45], 0
                                        ; implicit-def: $sgpr42_sgpr43
	s_branch .LBB838_199
.LBB838_197:                            ;   in Loop: Header=BB838_199 Depth=1
	global_load_dwordx2 v[22:23], v[20:21], off
	global_load_dwordx2 v[32:33], v[18:19], off
	s_add_u32 s44, s44, 1
	s_addc_u32 s45, s45, 0
	s_andn2_b64 s[42:43], s[42:43], exec
	v_lshl_add_u64 v[18:19], v[18:19], 0, 8
	v_lshl_add_u64 v[20:21], v[20:21], 0, 8
	s_waitcnt vmcnt(0)
	v_cmp_neq_f64_e32 vcc, v[22:23], v[32:33]
	s_and_b64 s[46:47], vcc, exec
	s_or_b64 s[42:43], s[42:43], s[46:47]
.LBB838_198:                            ;   in Loop: Header=BB838_199 Depth=1
	s_and_b64 s[46:47], exec, s[42:43]
	s_or_b64 s[40:41], s[46:47], s[40:41]
	v_mov_b64_e32 v[22:23], s[44:45]
	s_andn2_b64 exec, exec, s[40:41]
	s_cbranch_execz .LBB838_201
.LBB838_199:                            ; =>This Inner Loop Header: Depth=1
	s_or_b64 s[42:43], s[42:43], exec
	s_cmp_eq_u64 s[12:13], s[44:45]
	s_cbranch_scc0 .LBB838_197
; %bb.200:                              ;   in Loop: Header=BB838_199 Depth=1
                                        ; implicit-def: $vgpr18_vgpr19
                                        ; implicit-def: $vgpr20_vgpr21
	s_mov_b64 s[44:45], s[26:27]
	s_branch .LBB838_198
.LBB838_201:
	s_or_b64 exec, exec, s[40:41]
	v_cmp_gt_i64_e32 vcc, s[26:27], v[22:23]
	s_orn2_b64 s[12:13], vcc, exec
.LBB838_202:
	s_or_b64 exec, exec, s[38:39]
.LBB838_203:
	v_mul_lo_u32 v20, v7, s26
	v_mul_lo_u32 v21, v6, s27
	v_mad_u64_u32 v[18:19], s[38:39], v6, s26, 0
	v_add3_u32 v19, v19, v21, v20
	s_mov_b64 s[38:39], 0
	s_and_b64 vcc, exec, s[4:5]
	v_lshl_add_u64 v[18:19], v[18:19], 3, s[28:29]
	s_mov_b64 s[40:41], 0
	s_cbranch_vccnz .LBB838_212
; %bb.204:
	global_load_dwordx2 v[20:21], v[18:19], off
	global_load_dwordx2 v[22:23], v[16:17], off
	s_mov_b64 s[40:41], -1
	s_waitcnt vmcnt(0)
	v_cmp_eq_f64_e32 vcc, v[20:21], v[22:23]
	s_and_saveexec_b64 s[42:43], vcc
	s_cbranch_execz .LBB838_211
; %bb.205:
	s_add_u32 s40, s26, -1
	v_lshl_add_u64 v[16:17], v[16:17], 0, 8
	v_lshl_add_u64 v[20:21], v[18:19], 0, 8
	s_addc_u32 s41, s27, -1
	s_mov_b64 s[44:45], 0
	s_mov_b64 s[48:49], 0
                                        ; implicit-def: $sgpr46_sgpr47
	s_branch .LBB838_208
.LBB838_206:                            ;   in Loop: Header=BB838_208 Depth=1
	global_load_dwordx2 v[22:23], v[20:21], off
	global_load_dwordx2 v[32:33], v[16:17], off
	s_add_u32 s48, s48, 1
	s_addc_u32 s49, s49, 0
	s_andn2_b64 s[46:47], s[46:47], exec
	v_lshl_add_u64 v[16:17], v[16:17], 0, 8
	v_lshl_add_u64 v[20:21], v[20:21], 0, 8
	s_waitcnt vmcnt(0)
	v_cmp_neq_f64_e32 vcc, v[22:23], v[32:33]
	s_and_b64 s[50:51], vcc, exec
	s_or_b64 s[46:47], s[46:47], s[50:51]
.LBB838_207:                            ;   in Loop: Header=BB838_208 Depth=1
	s_and_b64 s[50:51], exec, s[46:47]
	s_or_b64 s[44:45], s[50:51], s[44:45]
	v_mov_b64_e32 v[22:23], s[48:49]
	s_andn2_b64 exec, exec, s[44:45]
	s_cbranch_execz .LBB838_210
.LBB838_208:                            ; =>This Inner Loop Header: Depth=1
	s_or_b64 s[46:47], s[46:47], exec
	s_cmp_eq_u64 s[40:41], s[48:49]
	s_cbranch_scc0 .LBB838_206
; %bb.209:                              ;   in Loop: Header=BB838_208 Depth=1
                                        ; implicit-def: $vgpr16_vgpr17
                                        ; implicit-def: $vgpr20_vgpr21
	s_mov_b64 s[48:49], s[26:27]
	s_branch .LBB838_207
.LBB838_210:
	s_or_b64 exec, exec, s[44:45]
	v_cmp_gt_i64_e32 vcc, s[26:27], v[22:23]
	s_orn2_b64 s[40:41], vcc, exec
.LBB838_211:
	s_or_b64 exec, exec, s[42:43]
.LBB838_212:
	v_mul_lo_u32 v20, v13, s26
	v_mul_lo_u32 v21, v12, s27
	v_mad_u64_u32 v[16:17], s[42:43], v12, s26, 0
	v_add3_u32 v17, v17, v21, v20
	s_and_b64 vcc, exec, s[4:5]
	v_lshl_add_u64 v[16:17], v[16:17], 3, s[28:29]
	s_cbranch_vccnz .LBB838_221
; %bb.213:
	global_load_dwordx2 v[20:21], v[16:17], off
	global_load_dwordx2 v[22:23], v[18:19], off
	s_mov_b64 s[38:39], -1
	s_waitcnt vmcnt(0)
	v_cmp_eq_f64_e32 vcc, v[20:21], v[22:23]
	s_and_saveexec_b64 s[42:43], vcc
	s_cbranch_execz .LBB838_220
; %bb.214:
	s_add_u32 s38, s26, -1
	v_lshl_add_u64 v[18:19], v[18:19], 0, 8
	v_lshl_add_u64 v[20:21], v[16:17], 0, 8
	s_addc_u32 s39, s27, -1
	s_mov_b64 s[44:45], 0
	s_mov_b64 s[48:49], 0
                                        ; implicit-def: $sgpr46_sgpr47
	s_branch .LBB838_217
.LBB838_215:                            ;   in Loop: Header=BB838_217 Depth=1
	global_load_dwordx2 v[22:23], v[20:21], off
	global_load_dwordx2 v[32:33], v[18:19], off
	s_add_u32 s48, s48, 1
	s_addc_u32 s49, s49, 0
	s_andn2_b64 s[46:47], s[46:47], exec
	v_lshl_add_u64 v[18:19], v[18:19], 0, 8
	v_lshl_add_u64 v[20:21], v[20:21], 0, 8
	s_waitcnt vmcnt(0)
	v_cmp_neq_f64_e32 vcc, v[22:23], v[32:33]
	s_and_b64 s[50:51], vcc, exec
	s_or_b64 s[46:47], s[46:47], s[50:51]
.LBB838_216:                            ;   in Loop: Header=BB838_217 Depth=1
	s_and_b64 s[50:51], exec, s[46:47]
	s_or_b64 s[44:45], s[50:51], s[44:45]
	v_mov_b64_e32 v[22:23], s[48:49]
	s_andn2_b64 exec, exec, s[44:45]
	s_cbranch_execz .LBB838_219
.LBB838_217:                            ; =>This Inner Loop Header: Depth=1
	s_or_b64 s[46:47], s[46:47], exec
	s_cmp_eq_u64 s[38:39], s[48:49]
	s_cbranch_scc0 .LBB838_215
; %bb.218:                              ;   in Loop: Header=BB838_217 Depth=1
                                        ; implicit-def: $vgpr18_vgpr19
                                        ; implicit-def: $vgpr20_vgpr21
	s_mov_b64 s[48:49], s[26:27]
	s_branch .LBB838_216
.LBB838_219:
	s_or_b64 exec, exec, s[44:45]
	v_cmp_gt_i64_e32 vcc, s[26:27], v[22:23]
	s_orn2_b64 s[38:39], vcc, exec
.LBB838_220:
	s_or_b64 exec, exec, s[42:43]
.LBB838_221:
	v_mul_lo_u32 v20, v11, s26
	v_mul_lo_u32 v21, v10, s27
	v_mad_u64_u32 v[18:19], s[42:43], v10, s26, 0
	v_add3_u32 v19, v19, v21, v20
	s_and_b64 vcc, exec, s[4:5]
	s_mov_b64 s[44:45], 0
	s_cbranch_vccnz .LBB838_230
; %bb.222:
	v_lshl_add_u64 v[20:21], v[18:19], 3, s[28:29]
	global_load_dwordx2 v[22:23], v[20:21], off
	global_load_dwordx2 v[32:33], v[16:17], off
	s_mov_b64 s[44:45], -1
	s_waitcnt vmcnt(0)
	v_cmp_eq_f64_e32 vcc, v[22:23], v[32:33]
	s_and_saveexec_b64 s[42:43], vcc
	s_cbranch_execz .LBB838_229
; %bb.223:
	s_add_u32 s44, s26, -1
	v_lshl_add_u64 v[16:17], v[16:17], 0, 8
	v_lshl_add_u64 v[20:21], v[20:21], 0, 8
	s_addc_u32 s45, s27, -1
	s_mov_b64 s[46:47], 0
	s_mov_b64 s[50:51], 0
                                        ; implicit-def: $sgpr48_sgpr49
	s_branch .LBB838_226
.LBB838_224:                            ;   in Loop: Header=BB838_226 Depth=1
	global_load_dwordx2 v[22:23], v[20:21], off
	global_load_dwordx2 v[32:33], v[16:17], off
	s_add_u32 s50, s50, 1
	s_addc_u32 s51, s51, 0
	s_andn2_b64 s[48:49], s[48:49], exec
	v_lshl_add_u64 v[16:17], v[16:17], 0, 8
	v_lshl_add_u64 v[20:21], v[20:21], 0, 8
	s_waitcnt vmcnt(0)
	v_cmp_neq_f64_e32 vcc, v[22:23], v[32:33]
	s_and_b64 s[54:55], vcc, exec
	s_or_b64 s[48:49], s[48:49], s[54:55]
.LBB838_225:                            ;   in Loop: Header=BB838_226 Depth=1
	s_and_b64 s[54:55], exec, s[48:49]
	s_or_b64 s[46:47], s[54:55], s[46:47]
	v_mov_b64_e32 v[22:23], s[50:51]
	s_andn2_b64 exec, exec, s[46:47]
	s_cbranch_execz .LBB838_228
.LBB838_226:                            ; =>This Inner Loop Header: Depth=1
	s_or_b64 s[48:49], s[48:49], exec
	s_cmp_eq_u64 s[44:45], s[50:51]
	s_cbranch_scc0 .LBB838_224
; %bb.227:                              ;   in Loop: Header=BB838_226 Depth=1
                                        ; implicit-def: $vgpr16_vgpr17
                                        ; implicit-def: $vgpr20_vgpr21
	s_mov_b64 s[50:51], s[26:27]
	s_branch .LBB838_225
.LBB838_228:
	s_or_b64 exec, exec, s[46:47]
	v_cmp_gt_i64_e32 vcc, s[26:27], v[22:23]
	s_orn2_b64 s[44:45], vcc, exec
.LBB838_229:
	s_or_b64 exec, exec, s[42:43]
.LBB838_230:
	v_cndmask_b32_e64 v17, 0, 1, s[40:41]
	v_cndmask_b32_e64 v16, 0, 1, s[38:39]
	;; [unrolled: 1-line block ×3, first 2 shown]
	v_lshlrev_b16_e32 v17, 8, v17
	v_cndmask_b32_e64 v25, 0, 1, s[12:13]
	v_cndmask_b32_e64 v20, 0, 1, s[44:45]
	v_or_b32_sdwa v16, v16, v17 dst_sel:WORD_1 dst_unused:UNUSED_PAD src0_sel:DWORD src1_sel:DWORD
	v_lshlrev_b16_e32 v17, 8, v34
	v_lshlrev_b16_e32 v20, 8, v20
	v_or_b32_e32 v17, v25, v17
	v_or_b32_e32 v20, 1, v20
	v_and_b32_e32 v17, 0xffff, v17
	v_cndmask_b32_e64 v35, 0, 1, s[10:11]
	v_or_b32_sdwa v16, v20, v16 dst_sel:DWORD dst_unused:UNUSED_PAD src0_sel:WORD_0 src1_sel:DWORD
	v_lshl_or_b32 v17, v35, 16, v17
	s_waitcnt lgkmcnt(0)
	s_barrier
	s_waitcnt lgkmcnt(0)
                                        ; implicit-def: $sgpr12_sgpr13
                                        ; implicit-def: $vgpr20
	s_and_saveexec_b64 s[10:11], s[2:3]
	s_xor_b64 s[10:11], exec, s[10:11]
	s_cbranch_execz .LBB838_241
; %bb.231:
	s_mov_b32 s42, 0x3020104
	s_and_b64 vcc, exec, s[4:5]
	s_mov_b64 s[12:13], 0
	s_cbranch_vccnz .LBB838_240
; %bb.232:
	v_add_u32_e32 v17, -8, v24
	ds_read_b64 v[20:21], v17
	v_lshl_add_u64 v[18:19], v[18:19], 3, s[28:29]
	s_mov_b64 s[12:13], -1
	s_waitcnt lgkmcnt(0)
	v_mul_lo_u32 v17, v21, s26
	v_mul_lo_u32 v22, v20, s27
	v_mad_u64_u32 v[20:21], s[4:5], v20, s26, 0
	v_add3_u32 v21, v21, v22, v17
	v_lshl_add_u64 v[20:21], v[20:21], 3, s[28:29]
	global_load_dwordx2 v[22:23], v[20:21], off
	global_load_dwordx2 v[32:33], v[18:19], off
	s_waitcnt vmcnt(0)
	v_cmp_eq_f64_e32 vcc, v[22:23], v[32:33]
	s_and_saveexec_b64 s[4:5], vcc
	s_cbranch_execz .LBB838_239
; %bb.233:
	s_add_u32 s12, s26, -1
	v_lshl_add_u64 v[18:19], v[18:19], 0, 8
	v_lshl_add_u64 v[20:21], v[20:21], 0, 8
	s_addc_u32 s13, s27, -1
	s_mov_b64 s[14:15], 0
	s_mov_b64 s[40:41], 0
                                        ; implicit-def: $sgpr38_sgpr39
	s_branch .LBB838_236
.LBB838_234:                            ;   in Loop: Header=BB838_236 Depth=1
	global_load_dwordx2 v[22:23], v[20:21], off
	global_load_dwordx2 v[32:33], v[18:19], off
	s_add_u32 s40, s40, 1
	s_addc_u32 s41, s41, 0
	s_andn2_b64 s[38:39], s[38:39], exec
	v_lshl_add_u64 v[18:19], v[18:19], 0, 8
	v_lshl_add_u64 v[20:21], v[20:21], 0, 8
	s_waitcnt vmcnt(0)
	v_cmp_neq_f64_e32 vcc, v[22:23], v[32:33]
	s_and_b64 s[44:45], vcc, exec
	s_or_b64 s[38:39], s[38:39], s[44:45]
.LBB838_235:                            ;   in Loop: Header=BB838_236 Depth=1
	s_and_b64 s[44:45], exec, s[38:39]
	s_or_b64 s[14:15], s[44:45], s[14:15]
	v_mov_b64_e32 v[22:23], s[40:41]
	s_andn2_b64 exec, exec, s[14:15]
	s_cbranch_execz .LBB838_238
.LBB838_236:                            ; =>This Inner Loop Header: Depth=1
	s_or_b64 s[38:39], s[38:39], exec
	s_cmp_eq_u64 s[12:13], s[40:41]
	s_cbranch_scc0 .LBB838_234
; %bb.237:                              ;   in Loop: Header=BB838_236 Depth=1
                                        ; implicit-def: $vgpr18_vgpr19
                                        ; implicit-def: $vgpr20_vgpr21
	s_mov_b64 s[40:41], s[26:27]
	s_branch .LBB838_235
.LBB838_238:
	s_or_b64 exec, exec, s[14:15]
	v_cmp_gt_i64_e32 vcc, s[26:27], v[22:23]
	s_orn2_b64 s[12:13], vcc, exec
.LBB838_239:
	s_or_b64 exec, exec, s[4:5]
.LBB838_240:
	v_perm_b32 v20, v16, v16, s42
	s_and_b64 s[12:13], s[12:13], exec
	s_or_b64 s[8:9], s[8:9], exec
                                        ; implicit-def: $vgpr16_vgpr17
.LBB838_241:
	s_or_b64 exec, exec, s[10:11]
	s_branch .LBB838_322
.LBB838_242:
	v_cmp_gt_u32_e32 vcc, s52, v29
	s_mov_b64 s[10:11], 0
	s_mov_b64 s[4:5], 0
	s_and_saveexec_b64 s[12:13], vcc
	s_cbranch_execz .LBB838_253
; %bb.243:
	s_andn2_b64 vcc, exec, s[6:7]
	s_mov_b64 s[14:15], 0
	s_cbranch_vccnz .LBB838_252
; %bb.244:
	v_mul_lo_u32 v18, v5, s26
	v_mul_lo_u32 v19, v4, s27
	s_waitcnt vmcnt(0) lgkmcnt(1)
	v_mad_u64_u32 v[16:17], s[4:5], v4, s26, 0
	v_add3_u32 v17, v17, v19, v18
	v_mul_lo_u32 v18, v15, s26
	v_mul_lo_u32 v19, v14, s27
	v_mad_u64_u32 v[20:21], s[4:5], v14, s26, 0
	v_add3_u32 v21, v21, v19, v18
	v_lshl_add_u64 v[18:19], v[16:17], 3, s[28:29]
	v_lshl_add_u64 v[16:17], v[20:21], 3, s[28:29]
	global_load_dwordx2 v[20:21], v[18:19], off
	global_load_dwordx2 v[22:23], v[16:17], off
	s_mov_b64 s[14:15], -1
	s_waitcnt vmcnt(0)
	v_cmp_eq_f64_e32 vcc, v[20:21], v[22:23]
	s_and_saveexec_b64 s[4:5], vcc
	s_cbranch_execz .LBB838_251
; %bb.245:
	s_add_u32 s14, s26, -1
	v_lshl_add_u64 v[16:17], v[16:17], 0, 8
	v_lshl_add_u64 v[18:19], v[18:19], 0, 8
	s_addc_u32 s15, s27, -1
	s_mov_b64 s[38:39], 0
	s_mov_b64 s[42:43], 0
                                        ; implicit-def: $sgpr40_sgpr41
	s_branch .LBB838_248
.LBB838_246:                            ;   in Loop: Header=BB838_248 Depth=1
	global_load_dwordx2 v[20:21], v[18:19], off
	global_load_dwordx2 v[22:23], v[16:17], off
	s_add_u32 s42, s42, 1
	s_addc_u32 s43, s43, 0
	s_andn2_b64 s[40:41], s[40:41], exec
	v_lshl_add_u64 v[16:17], v[16:17], 0, 8
	v_lshl_add_u64 v[18:19], v[18:19], 0, 8
	s_waitcnt vmcnt(0)
	v_cmp_neq_f64_e32 vcc, v[20:21], v[22:23]
	s_and_b64 s[44:45], vcc, exec
	s_or_b64 s[40:41], s[40:41], s[44:45]
.LBB838_247:                            ;   in Loop: Header=BB838_248 Depth=1
	s_and_b64 s[44:45], exec, s[40:41]
	s_or_b64 s[38:39], s[44:45], s[38:39]
	v_mov_b64_e32 v[20:21], s[42:43]
	s_andn2_b64 exec, exec, s[38:39]
	s_cbranch_execz .LBB838_250
.LBB838_248:                            ; =>This Inner Loop Header: Depth=1
	s_or_b64 s[40:41], s[40:41], exec
	s_cmp_eq_u64 s[14:15], s[42:43]
	s_cbranch_scc0 .LBB838_246
; %bb.249:                              ;   in Loop: Header=BB838_248 Depth=1
                                        ; implicit-def: $vgpr16_vgpr17
                                        ; implicit-def: $vgpr18_vgpr19
	s_mov_b64 s[42:43], s[26:27]
	s_branch .LBB838_247
.LBB838_250:
	s_or_b64 exec, exec, s[38:39]
	v_cmp_gt_i64_e32 vcc, s[26:27], v[20:21]
	s_orn2_b64 s[14:15], vcc, exec
.LBB838_251:
	s_or_b64 exec, exec, s[4:5]
.LBB838_252:
	s_and_b64 s[4:5], s[14:15], exec
.LBB838_253:
	s_or_b64 exec, exec, s[12:13]
	v_cmp_gt_u32_e32 vcc, s52, v31
	s_and_saveexec_b64 s[12:13], vcc
	s_cbranch_execz .LBB838_264
; %bb.254:
	s_andn2_b64 vcc, exec, s[6:7]
	s_mov_b64 s[14:15], 0
	s_cbranch_vccnz .LBB838_263
; %bb.255:
	v_mul_lo_u32 v18, v3, s26
	v_mul_lo_u32 v19, v2, s27
	s_waitcnt vmcnt(0) lgkmcnt(1)
	v_mad_u64_u32 v[16:17], s[10:11], v2, s26, 0
	v_add3_u32 v17, v17, v19, v18
	v_mul_lo_u32 v18, v5, s26
	v_mul_lo_u32 v19, v4, s27
	v_mad_u64_u32 v[20:21], s[10:11], v4, s26, 0
	v_add3_u32 v21, v21, v19, v18
	v_lshl_add_u64 v[18:19], v[16:17], 3, s[28:29]
	v_lshl_add_u64 v[16:17], v[20:21], 3, s[28:29]
	global_load_dwordx2 v[20:21], v[18:19], off
	global_load_dwordx2 v[22:23], v[16:17], off
	s_mov_b64 s[14:15], -1
	s_waitcnt vmcnt(0)
	v_cmp_eq_f64_e32 vcc, v[20:21], v[22:23]
	s_and_saveexec_b64 s[10:11], vcc
	s_cbranch_execz .LBB838_262
; %bb.256:
	s_add_u32 s14, s26, -1
	v_lshl_add_u64 v[16:17], v[16:17], 0, 8
	v_lshl_add_u64 v[18:19], v[18:19], 0, 8
	s_addc_u32 s15, s27, -1
	s_mov_b64 s[38:39], 0
	s_mov_b64 s[42:43], 0
                                        ; implicit-def: $sgpr40_sgpr41
	s_branch .LBB838_259
.LBB838_257:                            ;   in Loop: Header=BB838_259 Depth=1
	global_load_dwordx2 v[20:21], v[18:19], off
	global_load_dwordx2 v[22:23], v[16:17], off
	s_add_u32 s42, s42, 1
	s_addc_u32 s43, s43, 0
	s_andn2_b64 s[40:41], s[40:41], exec
	v_lshl_add_u64 v[16:17], v[16:17], 0, 8
	v_lshl_add_u64 v[18:19], v[18:19], 0, 8
	s_waitcnt vmcnt(0)
	v_cmp_neq_f64_e32 vcc, v[20:21], v[22:23]
	s_and_b64 s[44:45], vcc, exec
	s_or_b64 s[40:41], s[40:41], s[44:45]
.LBB838_258:                            ;   in Loop: Header=BB838_259 Depth=1
	s_and_b64 s[44:45], exec, s[40:41]
	s_or_b64 s[38:39], s[44:45], s[38:39]
	v_mov_b64_e32 v[20:21], s[42:43]
	s_andn2_b64 exec, exec, s[38:39]
	s_cbranch_execz .LBB838_261
.LBB838_259:                            ; =>This Inner Loop Header: Depth=1
	s_or_b64 s[40:41], s[40:41], exec
	s_cmp_eq_u64 s[14:15], s[42:43]
	s_cbranch_scc0 .LBB838_257
; %bb.260:                              ;   in Loop: Header=BB838_259 Depth=1
                                        ; implicit-def: $vgpr16_vgpr17
                                        ; implicit-def: $vgpr18_vgpr19
	s_mov_b64 s[42:43], s[26:27]
	s_branch .LBB838_258
.LBB838_261:
	s_or_b64 exec, exec, s[38:39]
	v_cmp_gt_i64_e32 vcc, s[26:27], v[20:21]
	s_orn2_b64 s[14:15], vcc, exec
.LBB838_262:
	s_or_b64 exec, exec, s[10:11]
.LBB838_263:
	s_and_b64 s[10:11], s[14:15], exec
.LBB838_264:
	s_or_b64 exec, exec, s[12:13]
	v_cmp_gt_u32_e32 vcc, s52, v28
	s_mov_b64 s[14:15], 0
	s_mov_b64 s[12:13], 0
	s_and_saveexec_b64 s[38:39], vcc
	s_cbranch_execz .LBB838_275
; %bb.265:
	s_andn2_b64 vcc, exec, s[6:7]
	s_mov_b64 s[40:41], 0
	s_cbranch_vccnz .LBB838_274
; %bb.266:
	v_mul_lo_u32 v18, v9, s26
	v_mul_lo_u32 v19, v8, s27
	s_waitcnt vmcnt(0) lgkmcnt(1)
	v_mad_u64_u32 v[16:17], s[12:13], v8, s26, 0
	v_add3_u32 v17, v17, v19, v18
	v_mul_lo_u32 v18, v3, s26
	v_mul_lo_u32 v19, v2, s27
	v_mad_u64_u32 v[20:21], s[12:13], v2, s26, 0
	v_add3_u32 v21, v21, v19, v18
	v_lshl_add_u64 v[18:19], v[16:17], 3, s[28:29]
	v_lshl_add_u64 v[16:17], v[20:21], 3, s[28:29]
	global_load_dwordx2 v[20:21], v[18:19], off
	global_load_dwordx2 v[22:23], v[16:17], off
	s_mov_b64 s[40:41], -1
	s_waitcnt vmcnt(0)
	v_cmp_eq_f64_e32 vcc, v[20:21], v[22:23]
	s_and_saveexec_b64 s[12:13], vcc
	s_cbranch_execz .LBB838_273
; %bb.267:
	s_add_u32 s40, s26, -1
	v_lshl_add_u64 v[16:17], v[16:17], 0, 8
	v_lshl_add_u64 v[18:19], v[18:19], 0, 8
	s_addc_u32 s41, s27, -1
	s_mov_b64 s[42:43], 0
	s_mov_b64 s[46:47], 0
                                        ; implicit-def: $sgpr44_sgpr45
	s_branch .LBB838_270
.LBB838_268:                            ;   in Loop: Header=BB838_270 Depth=1
	global_load_dwordx2 v[20:21], v[18:19], off
	global_load_dwordx2 v[22:23], v[16:17], off
	s_add_u32 s46, s46, 1
	s_addc_u32 s47, s47, 0
	s_andn2_b64 s[44:45], s[44:45], exec
	v_lshl_add_u64 v[16:17], v[16:17], 0, 8
	v_lshl_add_u64 v[18:19], v[18:19], 0, 8
	s_waitcnt vmcnt(0)
	v_cmp_neq_f64_e32 vcc, v[20:21], v[22:23]
	s_and_b64 s[48:49], vcc, exec
	s_or_b64 s[44:45], s[44:45], s[48:49]
.LBB838_269:                            ;   in Loop: Header=BB838_270 Depth=1
	s_and_b64 s[48:49], exec, s[44:45]
	s_or_b64 s[42:43], s[48:49], s[42:43]
	v_mov_b64_e32 v[20:21], s[46:47]
	s_andn2_b64 exec, exec, s[42:43]
	s_cbranch_execz .LBB838_272
.LBB838_270:                            ; =>This Inner Loop Header: Depth=1
	s_or_b64 s[44:45], s[44:45], exec
	s_cmp_eq_u64 s[40:41], s[46:47]
	s_cbranch_scc0 .LBB838_268
; %bb.271:                              ;   in Loop: Header=BB838_270 Depth=1
                                        ; implicit-def: $vgpr16_vgpr17
                                        ; implicit-def: $vgpr18_vgpr19
	s_mov_b64 s[46:47], s[26:27]
	s_branch .LBB838_269
.LBB838_272:
	s_or_b64 exec, exec, s[42:43]
	v_cmp_gt_i64_e32 vcc, s[26:27], v[20:21]
	s_orn2_b64 s[40:41], vcc, exec
.LBB838_273:
	s_or_b64 exec, exec, s[12:13]
.LBB838_274:
	s_and_b64 s[12:13], s[40:41], exec
.LBB838_275:
	s_or_b64 exec, exec, s[38:39]
	v_cmp_gt_u32_e32 vcc, s52, v30
	s_and_saveexec_b64 s[38:39], vcc
	s_cbranch_execz .LBB838_286
; %bb.276:
	s_andn2_b64 vcc, exec, s[6:7]
	s_mov_b64 s[40:41], 0
	s_cbranch_vccnz .LBB838_285
; %bb.277:
	v_mul_lo_u32 v18, v7, s26
	v_mul_lo_u32 v19, v6, s27
	s_waitcnt vmcnt(0) lgkmcnt(1)
	v_mad_u64_u32 v[16:17], s[14:15], v6, s26, 0
	v_add3_u32 v17, v17, v19, v18
	v_mul_lo_u32 v18, v9, s26
	v_mul_lo_u32 v19, v8, s27
	v_mad_u64_u32 v[20:21], s[14:15], v8, s26, 0
	v_add3_u32 v21, v21, v19, v18
	v_lshl_add_u64 v[18:19], v[16:17], 3, s[28:29]
	v_lshl_add_u64 v[16:17], v[20:21], 3, s[28:29]
	global_load_dwordx2 v[20:21], v[18:19], off
	global_load_dwordx2 v[22:23], v[16:17], off
	s_mov_b64 s[40:41], -1
	s_waitcnt vmcnt(0)
	v_cmp_eq_f64_e32 vcc, v[20:21], v[22:23]
	s_and_saveexec_b64 s[14:15], vcc
	s_cbranch_execz .LBB838_284
; %bb.278:
	s_add_u32 s40, s26, -1
	v_lshl_add_u64 v[16:17], v[16:17], 0, 8
	v_lshl_add_u64 v[18:19], v[18:19], 0, 8
	s_addc_u32 s41, s27, -1
	s_mov_b64 s[42:43], 0
	s_mov_b64 s[46:47], 0
                                        ; implicit-def: $sgpr44_sgpr45
	s_branch .LBB838_281
.LBB838_279:                            ;   in Loop: Header=BB838_281 Depth=1
	global_load_dwordx2 v[20:21], v[18:19], off
	global_load_dwordx2 v[22:23], v[16:17], off
	s_add_u32 s46, s46, 1
	s_addc_u32 s47, s47, 0
	s_andn2_b64 s[44:45], s[44:45], exec
	v_lshl_add_u64 v[16:17], v[16:17], 0, 8
	v_lshl_add_u64 v[18:19], v[18:19], 0, 8
	s_waitcnt vmcnt(0)
	v_cmp_neq_f64_e32 vcc, v[20:21], v[22:23]
	s_and_b64 s[48:49], vcc, exec
	s_or_b64 s[44:45], s[44:45], s[48:49]
.LBB838_280:                            ;   in Loop: Header=BB838_281 Depth=1
	s_and_b64 s[48:49], exec, s[44:45]
	s_or_b64 s[42:43], s[48:49], s[42:43]
	v_mov_b64_e32 v[20:21], s[46:47]
	s_andn2_b64 exec, exec, s[42:43]
	s_cbranch_execz .LBB838_283
.LBB838_281:                            ; =>This Inner Loop Header: Depth=1
	s_or_b64 s[44:45], s[44:45], exec
	s_cmp_eq_u64 s[40:41], s[46:47]
	s_cbranch_scc0 .LBB838_279
; %bb.282:                              ;   in Loop: Header=BB838_281 Depth=1
                                        ; implicit-def: $vgpr16_vgpr17
                                        ; implicit-def: $vgpr18_vgpr19
	s_mov_b64 s[46:47], s[26:27]
	s_branch .LBB838_280
.LBB838_283:
	s_or_b64 exec, exec, s[42:43]
	v_cmp_gt_i64_e32 vcc, s[26:27], v[20:21]
	s_orn2_b64 s[40:41], vcc, exec
.LBB838_284:
	s_or_b64 exec, exec, s[14:15]
.LBB838_285:
	s_and_b64 s[14:15], s[40:41], exec
.LBB838_286:
	s_or_b64 exec, exec, s[38:39]
	v_cmp_gt_u32_e32 vcc, s52, v26
	s_mov_b64 s[38:39], 0
	s_mov_b64 s[40:41], 0
	s_and_saveexec_b64 s[42:43], vcc
	s_cbranch_execz .LBB838_297
; %bb.287:
	s_andn2_b64 vcc, exec, s[6:7]
	s_mov_b64 s[44:45], 0
	s_cbranch_vccnz .LBB838_296
; %bb.288:
	v_mul_lo_u32 v18, v13, s26
	v_mul_lo_u32 v19, v12, s27
	s_waitcnt vmcnt(0) lgkmcnt(1)
	v_mad_u64_u32 v[16:17], s[40:41], v12, s26, 0
	v_add3_u32 v17, v17, v19, v18
	v_mul_lo_u32 v18, v7, s26
	v_mul_lo_u32 v19, v6, s27
	v_mad_u64_u32 v[20:21], s[40:41], v6, s26, 0
	v_add3_u32 v21, v21, v19, v18
	v_lshl_add_u64 v[18:19], v[16:17], 3, s[28:29]
	v_lshl_add_u64 v[16:17], v[20:21], 3, s[28:29]
	global_load_dwordx2 v[20:21], v[18:19], off
	global_load_dwordx2 v[22:23], v[16:17], off
	s_mov_b64 s[44:45], -1
	s_waitcnt vmcnt(0)
	v_cmp_eq_f64_e32 vcc, v[20:21], v[22:23]
	s_and_saveexec_b64 s[40:41], vcc
	s_cbranch_execz .LBB838_295
; %bb.289:
	s_add_u32 s44, s26, -1
	v_lshl_add_u64 v[16:17], v[16:17], 0, 8
	v_lshl_add_u64 v[18:19], v[18:19], 0, 8
	s_addc_u32 s45, s27, -1
	s_mov_b64 s[46:47], 0
	s_mov_b64 s[50:51], 0
                                        ; implicit-def: $sgpr48_sgpr49
	s_branch .LBB838_292
.LBB838_290:                            ;   in Loop: Header=BB838_292 Depth=1
	global_load_dwordx2 v[20:21], v[18:19], off
	global_load_dwordx2 v[22:23], v[16:17], off
	s_add_u32 s50, s50, 1
	s_addc_u32 s51, s51, 0
	s_andn2_b64 s[48:49], s[48:49], exec
	v_lshl_add_u64 v[16:17], v[16:17], 0, 8
	v_lshl_add_u64 v[18:19], v[18:19], 0, 8
	s_waitcnt vmcnt(0)
	v_cmp_neq_f64_e32 vcc, v[20:21], v[22:23]
	s_and_b64 s[54:55], vcc, exec
	s_or_b64 s[48:49], s[48:49], s[54:55]
.LBB838_291:                            ;   in Loop: Header=BB838_292 Depth=1
	s_and_b64 s[54:55], exec, s[48:49]
	s_or_b64 s[46:47], s[54:55], s[46:47]
	v_mov_b64_e32 v[20:21], s[50:51]
	s_andn2_b64 exec, exec, s[46:47]
	s_cbranch_execz .LBB838_294
.LBB838_292:                            ; =>This Inner Loop Header: Depth=1
	s_or_b64 s[48:49], s[48:49], exec
	s_cmp_eq_u64 s[44:45], s[50:51]
	s_cbranch_scc0 .LBB838_290
; %bb.293:                              ;   in Loop: Header=BB838_292 Depth=1
                                        ; implicit-def: $vgpr16_vgpr17
                                        ; implicit-def: $vgpr18_vgpr19
	s_mov_b64 s[50:51], s[26:27]
	s_branch .LBB838_291
.LBB838_294:
	s_or_b64 exec, exec, s[46:47]
	v_cmp_gt_i64_e32 vcc, s[26:27], v[20:21]
	s_orn2_b64 s[44:45], vcc, exec
.LBB838_295:
	s_or_b64 exec, exec, s[40:41]
.LBB838_296:
	s_and_b64 s[40:41], s[44:45], exec
.LBB838_297:
	s_or_b64 exec, exec, s[42:43]
	v_cmp_gt_u32_e32 vcc, s52, v27
	s_and_saveexec_b64 s[42:43], vcc
	s_cbranch_execz .LBB838_308
; %bb.298:
	s_andn2_b64 vcc, exec, s[6:7]
	s_mov_b64 s[44:45], 0
	s_cbranch_vccnz .LBB838_307
; %bb.299:
	v_mul_lo_u32 v18, v11, s26
	v_mul_lo_u32 v19, v10, s27
	s_waitcnt vmcnt(0) lgkmcnt(1)
	v_mad_u64_u32 v[16:17], s[38:39], v10, s26, 0
	v_add3_u32 v17, v17, v19, v18
	v_mul_lo_u32 v18, v13, s26
	v_mul_lo_u32 v19, v12, s27
	v_mad_u64_u32 v[20:21], s[38:39], v12, s26, 0
	v_add3_u32 v21, v21, v19, v18
	v_lshl_add_u64 v[18:19], v[16:17], 3, s[28:29]
	v_lshl_add_u64 v[16:17], v[20:21], 3, s[28:29]
	global_load_dwordx2 v[20:21], v[18:19], off
	global_load_dwordx2 v[22:23], v[16:17], off
	s_mov_b64 s[44:45], -1
	s_waitcnt vmcnt(0)
	v_cmp_eq_f64_e32 vcc, v[20:21], v[22:23]
	s_and_saveexec_b64 s[38:39], vcc
	s_cbranch_execz .LBB838_306
; %bb.300:
	s_add_u32 s44, s26, -1
	v_lshl_add_u64 v[16:17], v[16:17], 0, 8
	v_lshl_add_u64 v[18:19], v[18:19], 0, 8
	s_addc_u32 s45, s27, -1
	s_mov_b64 s[46:47], 0
	s_mov_b64 s[50:51], 0
                                        ; implicit-def: $sgpr48_sgpr49
	s_branch .LBB838_303
.LBB838_301:                            ;   in Loop: Header=BB838_303 Depth=1
	global_load_dwordx2 v[20:21], v[18:19], off
	global_load_dwordx2 v[22:23], v[16:17], off
	s_add_u32 s50, s50, 1
	s_addc_u32 s51, s51, 0
	s_andn2_b64 s[48:49], s[48:49], exec
	v_lshl_add_u64 v[16:17], v[16:17], 0, 8
	v_lshl_add_u64 v[18:19], v[18:19], 0, 8
	s_waitcnt vmcnt(0)
	v_cmp_neq_f64_e32 vcc, v[20:21], v[22:23]
	s_and_b64 s[54:55], vcc, exec
	s_or_b64 s[48:49], s[48:49], s[54:55]
.LBB838_302:                            ;   in Loop: Header=BB838_303 Depth=1
	s_and_b64 s[54:55], exec, s[48:49]
	s_or_b64 s[46:47], s[54:55], s[46:47]
	v_mov_b64_e32 v[20:21], s[50:51]
	s_andn2_b64 exec, exec, s[46:47]
	s_cbranch_execz .LBB838_305
.LBB838_303:                            ; =>This Inner Loop Header: Depth=1
	s_or_b64 s[48:49], s[48:49], exec
	s_cmp_eq_u64 s[44:45], s[50:51]
	s_cbranch_scc0 .LBB838_301
; %bb.304:                              ;   in Loop: Header=BB838_303 Depth=1
                                        ; implicit-def: $vgpr16_vgpr17
                                        ; implicit-def: $vgpr18_vgpr19
	s_mov_b64 s[50:51], s[26:27]
	s_branch .LBB838_302
.LBB838_305:
	s_or_b64 exec, exec, s[46:47]
	v_cmp_gt_i64_e32 vcc, s[26:27], v[20:21]
	s_orn2_b64 s[44:45], vcc, exec
.LBB838_306:
	s_or_b64 exec, exec, s[38:39]
.LBB838_307:
	s_and_b64 s[38:39], s[44:45], exec
.LBB838_308:
	s_or_b64 exec, exec, s[42:43]
	s_waitcnt vmcnt(0) lgkmcnt(1)
	v_cndmask_b32_e64 v17, 0, 1, s[14:15]
	v_cndmask_b32_e64 v16, 0, 1, s[40:41]
	;; [unrolled: 1-line block ×3, first 2 shown]
	v_lshlrev_b16_e32 v17, 8, v17
	v_cndmask_b32_e64 v25, 0, 1, s[12:13]
	v_cndmask_b32_e64 v18, 0, 1, s[38:39]
	v_or_b32_sdwa v16, v16, v17 dst_sel:WORD_1 dst_unused:UNUSED_PAD src0_sel:DWORD src1_sel:DWORD
	v_lshlrev_b16_e32 v17, 8, v34
	v_lshlrev_b16_e32 v18, 8, v18
	v_or_b32_e32 v17, v25, v17
	v_or_b32_e32 v18, 1, v18
	v_and_b32_e32 v17, 0xffff, v17
	v_cndmask_b32_e64 v35, 0, 1, s[4:5]
	v_or_b32_sdwa v16, v18, v16 dst_sel:DWORD dst_unused:UNUSED_PAD src0_sel:WORD_0 src1_sel:DWORD
	v_lshl_or_b32 v17, v35, 16, v17
	s_waitcnt lgkmcnt(0)
	s_barrier
	s_waitcnt lgkmcnt(0)
                                        ; implicit-def: $sgpr12_sgpr13
                                        ; implicit-def: $vgpr20
	s_and_saveexec_b64 s[4:5], s[2:3]
	s_cbranch_execz .LBB838_321
; %bb.309:
	v_cmp_gt_u32_e32 vcc, s52, v1
	s_mov_b32 s38, 0x3020104
	s_mov_b64 s[10:11], 0
	s_and_saveexec_b64 s[2:3], vcc
	s_cbranch_execz .LBB838_320
; %bb.310:
	s_andn2_b64 vcc, exec, s[6:7]
	s_cbranch_vccnz .LBB838_319
; %bb.311:
	v_add_u32_e32 v17, -8, v24
	ds_read_b64 v[18:19], v17
	v_mul_lo_u32 v17, v11, s26
	v_mad_u64_u32 v[22:23], s[6:7], v10, s26, 0
	s_mov_b64 s[10:11], -1
	s_waitcnt lgkmcnt(0)
	v_mul_lo_u32 v20, v19, s26
	v_mul_lo_u32 v21, v18, s27
	v_mad_u64_u32 v[18:19], s[6:7], v18, s26, 0
	v_add3_u32 v19, v19, v21, v20
	v_mul_lo_u32 v20, v10, s27
	v_add3_u32 v23, v23, v20, v17
	v_lshl_add_u64 v[20:21], v[18:19], 3, s[28:29]
	v_lshl_add_u64 v[18:19], v[22:23], 3, s[28:29]
	global_load_dwordx2 v[22:23], v[20:21], off
	global_load_dwordx2 v[32:33], v[18:19], off
	s_waitcnt vmcnt(0)
	v_cmp_eq_f64_e32 vcc, v[22:23], v[32:33]
	s_and_saveexec_b64 s[6:7], vcc
	s_cbranch_execz .LBB838_318
; %bb.312:
	s_add_u32 s10, s26, -1
	v_lshl_add_u64 v[18:19], v[18:19], 0, 8
	v_lshl_add_u64 v[20:21], v[20:21], 0, 8
	s_addc_u32 s11, s27, -1
	s_mov_b64 s[12:13], 0
	s_mov_b64 s[28:29], 0
                                        ; implicit-def: $sgpr14_sgpr15
	s_branch .LBB838_315
.LBB838_313:                            ;   in Loop: Header=BB838_315 Depth=1
	global_load_dwordx2 v[22:23], v[20:21], off
	global_load_dwordx2 v[32:33], v[18:19], off
	s_add_u32 s28, s28, 1
	s_addc_u32 s29, s29, 0
	s_andn2_b64 s[14:15], s[14:15], exec
	v_lshl_add_u64 v[18:19], v[18:19], 0, 8
	v_lshl_add_u64 v[20:21], v[20:21], 0, 8
	s_waitcnt vmcnt(0)
	v_cmp_neq_f64_e32 vcc, v[22:23], v[32:33]
	s_and_b64 s[40:41], vcc, exec
	s_or_b64 s[14:15], s[14:15], s[40:41]
.LBB838_314:                            ;   in Loop: Header=BB838_315 Depth=1
	s_and_b64 s[40:41], exec, s[14:15]
	s_or_b64 s[12:13], s[40:41], s[12:13]
	v_mov_b64_e32 v[22:23], s[28:29]
	s_andn2_b64 exec, exec, s[12:13]
	s_cbranch_execz .LBB838_317
.LBB838_315:                            ; =>This Inner Loop Header: Depth=1
	s_or_b64 s[14:15], s[14:15], exec
	s_cmp_eq_u64 s[10:11], s[28:29]
	s_cbranch_scc0 .LBB838_313
; %bb.316:                              ;   in Loop: Header=BB838_315 Depth=1
                                        ; implicit-def: $vgpr18_vgpr19
                                        ; implicit-def: $vgpr20_vgpr21
	s_mov_b64 s[28:29], s[26:27]
	s_branch .LBB838_314
.LBB838_317:
	s_or_b64 exec, exec, s[12:13]
	v_cmp_gt_i64_e32 vcc, s[26:27], v[22:23]
	s_orn2_b64 s[10:11], vcc, exec
.LBB838_318:
	s_or_b64 exec, exec, s[6:7]
.LBB838_319:
	s_and_b64 s[10:11], s[10:11], exec
.LBB838_320:
	s_or_b64 exec, exec, s[2:3]
	v_perm_b32 v20, v16, v16, s38
	s_and_b64 s[12:13], s[10:11], exec
	s_or_b64 s[8:9], s[8:9], exec
                                        ; implicit-def: $vgpr16_vgpr17
.LBB838_321:
	s_or_b64 exec, exec, s[4:5]
.LBB838_322:
	s_and_saveexec_b64 s[2:3], s[8:9]
	s_cbranch_execz .LBB838_324
; %bb.323:
	s_waitcnt vmcnt(0) lgkmcnt(0)
	v_lshlrev_b16_e32 v17, 8, v34
	v_and_b32_e32 v18, 0xff, v35
	v_or_b32_sdwa v17, v25, v17 dst_sel:DWORD dst_unused:UNUSED_PAD src0_sel:BYTE_0 src1_sel:DWORD
	v_lshlrev_b32_e32 v18, 16, v18
	s_movk_i32 s4, 0xff
	v_or_b32_sdwa v17, v17, v18 dst_sel:DWORD dst_unused:UNUSED_PAD src0_sel:WORD_0 src1_sel:DWORD
	v_lshrrev_b32_e32 v18, 24, v20
	v_lshlrev_b16_e32 v18, 8, v18
	v_and_b32_sdwa v19, v20, s4 dst_sel:DWORD dst_unused:UNUSED_PAD src0_sel:WORD_1 src1_sel:DWORD
	v_or_b32_sdwa v18, v19, v18 dst_sel:WORD_1 dst_unused:UNUSED_PAD src0_sel:DWORD src1_sel:DWORD
	v_mov_b32_e32 v19, 8
	v_cndmask_b32_e64 v16, 0, 1, s[12:13]
	v_lshrrev_b32_sdwa v19, v19, v20 dst_sel:BYTE_1 dst_unused:UNUSED_PAD src0_sel:DWORD src1_sel:DWORD
	s_nop 0
	v_or_b32_e32 v16, v16, v19
	v_or_b32_sdwa v16, v16, v18 dst_sel:DWORD dst_unused:UNUSED_PAD src0_sel:WORD_0 src1_sel:DWORD
.LBB838_324:
	s_or_b64 exec, exec, s[2:3]
	s_andn2_b64 vcc, exec, s[0:1]
	s_cbranch_vccnz .LBB838_326
; %bb.325:
	s_waitcnt vmcnt(0) lgkmcnt(0)
	v_and_b32_e32 v18, 0xffff0000, v16
	v_cmp_gt_u32_e32 vcc, s52, v1
	s_mov_b32 s0, 0x40c0100
	s_nop 0
	v_cndmask_b32_e32 v1, v18, v16, vcc
	v_and_b32_e32 v1, 0xffff00ff, v1
	v_cmp_gt_u32_e32 vcc, s52, v27
	s_nop 1
	v_cndmask_b32_e32 v1, v1, v16, vcc
	v_lshrrev_b32_e32 v18, 24, v1
	v_perm_b32 v1, v18, v1, s0
	v_cmp_gt_u32_e32 vcc, s52, v26
	v_and_b32_e32 v18, 0xffffff00, v17
	s_nop 0
	v_cndmask_b32_e32 v1, v1, v16, vcc
	v_and_b32_e32 v1, 0xffffff, v1
	v_cmp_gt_u32_e32 vcc, s52, v30
	s_nop 1
	v_cndmask_b32_e32 v1, v1, v16, vcc
	v_cmp_gt_u32_e32 vcc, s52, v28
	s_nop 1
	v_cndmask_b32_e32 v18, v18, v17, vcc
	v_and_b32_e32 v18, 0xffff00ff, v18
	v_cndmask_b32_e32 v1, v1, v16, vcc
	v_cmp_gt_u32_e32 vcc, s52, v31
	s_nop 1
	v_cndmask_b32_e32 v18, v18, v17, vcc
	v_lshrrev_b32_e32 v19, 24, v18
	v_cndmask_b32_e32 v1, v1, v16, vcc
	v_perm_b32 v18, v19, v18, s0
	v_cmp_gt_u32_e32 vcc, s52, v29
	s_mov_b32 s0, 0x3020104
	s_nop 0
	v_cndmask_b32_e32 v1, v1, v16, vcc
	v_cndmask_b32_e32 v16, v18, v17, vcc
	v_mov_b32_e32 v17, 8
	v_lshrrev_b32_sdwa v17, v17, v16 dst_sel:BYTE_1 dst_unused:UNUSED_PAD src0_sel:DWORD src1_sel:DWORD
	s_nop 0
	v_or_b32_sdwa v17, v16, v17 dst_sel:DWORD dst_unused:UNUSED_PAD src0_sel:BYTE_0 src1_sel:DWORD
	v_and_b32_e32 v17, 0xffff, v17
	v_bfe_u32 v16, v16, 16, 8
	v_lshl_or_b32 v17, v16, 16, v17
	v_perm_b32 v16, v1, v1, s0
.LBB838_326:
	s_waitcnt vmcnt(0) lgkmcnt(0)
	v_and_b32_e32 v1, 0xff, v16
	v_bfe_u32 v29, v16, 8, 8
	v_bfe_u32 v31, v16, 16, 8
	v_alignbit_b32 v18, v17, v16, 24
	v_and_b32_e32 v33, 0xff, v18
	v_and_b32_e32 v35, 0xff, v17
	v_add3_u32 v19, v29, v1, v31
	v_bfe_u32 v36, v17, 8, 8
	v_bfe_u32 v18, v17, 16, 8
	v_add3_u32 v19, v19, v33, v35
	v_add3_u32 v39, v19, v36, v18
	v_mbcnt_lo_u32_b32 v18, -1, 0
	v_mbcnt_hi_u32_b32 v37, -1, v18
	v_and_b32_e32 v18, 15, v37
	v_cmp_eq_u32_e64 s[14:15], 0, v18
	v_cmp_lt_u32_e64 s[12:13], 1, v18
	v_cmp_lt_u32_e64 s[10:11], 3, v18
	;; [unrolled: 1-line block ×3, first 2 shown]
	v_and_b32_e32 v18, 16, v37
	v_cmp_eq_u32_e64 s[6:7], 0, v18
	v_or_b32_e32 v18, 63, v0
	v_cmp_lt_u32_e64 s[2:3], 31, v37
	v_lshrrev_b32_e32 v38, 6, v0
	v_cmp_eq_u32_e64 s[4:5], v18, v0
	s_and_b64 vcc, exec, s[16:17]
	s_barrier
	s_cbranch_vccz .LBB838_353
; %bb.327:
	v_mov_b32_dpp v18, v39 row_shr:1 row_mask:0xf bank_mask:0xf
	v_cndmask_b32_e64 v18, v18, 0, s[14:15]
	v_add_u32_e32 v18, v18, v39
	s_nop 1
	v_mov_b32_dpp v19, v18 row_shr:2 row_mask:0xf bank_mask:0xf
	v_cndmask_b32_e64 v19, 0, v19, s[12:13]
	v_add_u32_e32 v18, v18, v19
	s_nop 1
	;; [unrolled: 4-line block ×4, first 2 shown]
	v_mov_b32_dpp v19, v18 row_bcast:15 row_mask:0xf bank_mask:0xf
	v_cndmask_b32_e64 v19, v19, 0, s[6:7]
	v_add_u32_e32 v18, v18, v19
	s_nop 1
	v_mov_b32_dpp v19, v18 row_bcast:31 row_mask:0xf bank_mask:0xf
	v_cndmask_b32_e64 v19, 0, v19, s[2:3]
	v_add_u32_e32 v18, v18, v19
	s_and_saveexec_b64 s[0:1], s[4:5]
	s_cbranch_execz .LBB838_329
; %bb.328:
	v_lshlrev_b32_e32 v19, 2, v38
	ds_write_b32 v19, v18
.LBB838_329:
	s_or_b64 exec, exec, s[0:1]
	v_cmp_gt_u32_e32 vcc, 8, v0
	s_waitcnt lgkmcnt(0)
	s_barrier
	s_and_saveexec_b64 s[0:1], vcc
	s_cbranch_execz .LBB838_331
; %bb.330:
	v_lshlrev_b32_e32 v19, 2, v0
	ds_read_b32 v20, v19
	v_and_b32_e32 v21, 7, v37
	v_cmp_ne_u32_e32 vcc, 0, v21
	s_waitcnt lgkmcnt(0)
	v_mov_b32_dpp v22, v20 row_shr:1 row_mask:0xf bank_mask:0xf
	v_cndmask_b32_e32 v22, 0, v22, vcc
	v_add_u32_e32 v20, v22, v20
	v_cmp_lt_u32_e32 vcc, 1, v21
	s_nop 0
	v_mov_b32_dpp v22, v20 row_shr:2 row_mask:0xf bank_mask:0xf
	v_cndmask_b32_e32 v22, 0, v22, vcc
	v_add_u32_e32 v20, v20, v22
	v_cmp_lt_u32_e32 vcc, 3, v21
	s_nop 0
	v_mov_b32_dpp v22, v20 row_shr:4 row_mask:0xf bank_mask:0xf
	v_cndmask_b32_e32 v21, 0, v22, vcc
	v_add_u32_e32 v20, v20, v21
	ds_write_b32 v19, v20
.LBB838_331:
	s_or_b64 exec, exec, s[0:1]
	v_cmp_gt_u32_e32 vcc, 64, v0
	v_cmp_lt_u32_e64 s[0:1], 63, v0
	s_waitcnt lgkmcnt(0)
	s_barrier
	s_waitcnt lgkmcnt(0)
                                        ; implicit-def: $vgpr28
	s_and_saveexec_b64 s[16:17], s[0:1]
	s_cbranch_execz .LBB838_333
; %bb.332:
	v_lshl_add_u32 v19, v38, 2, -4
	ds_read_b32 v28, v19
	s_waitcnt lgkmcnt(0)
	v_add_u32_e32 v18, v28, v18
.LBB838_333:
	s_or_b64 exec, exec, s[16:17]
	v_add_u32_e32 v19, -1, v37
	v_and_b32_e32 v20, 64, v37
	v_cmp_lt_i32_e64 s[0:1], v19, v20
	v_cmp_eq_u32_e64 s[16:17], 0, v37
	s_nop 0
	v_cndmask_b32_e64 v19, v19, v37, s[0:1]
	v_lshlrev_b32_e32 v19, 2, v19
	ds_bpermute_b32 v30, v19, v18
	s_and_saveexec_b64 s[0:1], vcc
	s_cbranch_execz .LBB838_352
; %bb.334:
	v_mov_b32_e32 v25, 0
	ds_read_b32 v18, v25 offset:28
	s_and_saveexec_b64 s[26:27], s[16:17]
	s_cbranch_execz .LBB838_336
; %bb.335:
	s_add_i32 s28, s33, 64
	s_mov_b32 s29, 0
	s_lshl_b64 s[28:29], s[28:29], 3
	s_add_u32 s28, s30, s28
	v_mov_b32_e32 v19, 1
	s_addc_u32 s29, s31, s29
	s_waitcnt lgkmcnt(0)
	global_store_dwordx2 v25, v[18:19], s[28:29] sc1
.LBB838_336:
	s_or_b64 exec, exec, s[26:27]
	v_xad_u32 v20, v37, -1, s33
	v_add_u32_e32 v24, 64, v20
	v_lshl_add_u64 v[26:27], v[24:25], 3, s[30:31]
	global_load_dwordx2 v[22:23], v[26:27], off sc1
	s_waitcnt vmcnt(0)
	v_cmp_eq_u16_sdwa s[28:29], v23, v25 src0_sel:BYTE_0 src1_sel:DWORD
	s_and_saveexec_b64 s[26:27], s[28:29]
	s_cbranch_execz .LBB838_340
; %bb.337:
	s_mov_b64 s[28:29], 0
	v_mov_b32_e32 v19, 0
.LBB838_338:                            ; =>This Inner Loop Header: Depth=1
	global_load_dwordx2 v[22:23], v[26:27], off sc1
	s_waitcnt vmcnt(0)
	v_cmp_ne_u16_sdwa s[38:39], v23, v19 src0_sel:BYTE_0 src1_sel:DWORD
	s_or_b64 s[28:29], s[38:39], s[28:29]
	s_andn2_b64 exec, exec, s[28:29]
	s_cbranch_execnz .LBB838_338
; %bb.339:
	s_or_b64 exec, exec, s[28:29]
.LBB838_340:
	s_or_b64 exec, exec, s[26:27]
	v_and_b32_e32 v32, 63, v37
	v_mov_b32_e32 v19, 2
	v_cmp_ne_u32_e32 vcc, 63, v32
	v_cmp_eq_u16_sdwa s[26:27], v23, v19 src0_sel:BYTE_0 src1_sel:DWORD
	v_lshlrev_b64 v[24:25], v37, -1
	v_addc_co_u32_e32 v27, vcc, 0, v37, vcc
	v_and_b32_e32 v21, s27, v25
	v_lshlrev_b32_e32 v34, 2, v27
	v_or_b32_e32 v21, 0x80000000, v21
	ds_bpermute_b32 v27, v34, v22
	v_and_b32_e32 v26, s26, v24
	v_ffbl_b32_e32 v21, v21
	v_add_u32_e32 v21, 32, v21
	v_ffbl_b32_e32 v26, v26
	v_min_u32_e32 v21, v26, v21
	v_cmp_lt_u32_e32 vcc, v32, v21
	v_add_u32_e32 v41, 2, v32
	v_add_u32_e32 v43, 4, v32
	s_waitcnt lgkmcnt(0)
	v_cndmask_b32_e32 v26, 0, v27, vcc
	v_cmp_gt_u32_e32 vcc, 62, v32
	v_add_u32_e32 v22, v26, v22
	v_add_u32_e32 v45, 8, v32
	v_cndmask_b32_e64 v26, 0, 1, vcc
	v_lshlrev_b32_e32 v26, 1, v26
	v_add_lshl_u32 v40, v26, v37, 2
	ds_bpermute_b32 v26, v40, v22
	v_cmp_le_u32_e32 vcc, v41, v21
	v_add_u32_e32 v48, 16, v32
	v_add_u32_e32 v50, 32, v32
	s_waitcnt lgkmcnt(0)
	v_cndmask_b32_e32 v26, 0, v26, vcc
	v_cmp_gt_u32_e32 vcc, 60, v32
	v_add_u32_e32 v22, v22, v26
	s_nop 0
	v_cndmask_b32_e64 v26, 0, 1, vcc
	v_lshlrev_b32_e32 v26, 2, v26
	v_add_lshl_u32 v42, v26, v37, 2
	ds_bpermute_b32 v26, v42, v22
	v_cmp_le_u32_e32 vcc, v43, v21
	s_waitcnt lgkmcnt(0)
	s_nop 0
	v_cndmask_b32_e32 v26, 0, v26, vcc
	v_cmp_gt_u32_e32 vcc, 56, v32
	v_add_u32_e32 v22, v22, v26
	s_nop 0
	v_cndmask_b32_e64 v26, 0, 1, vcc
	v_lshlrev_b32_e32 v26, 3, v26
	v_add_lshl_u32 v44, v26, v37, 2
	ds_bpermute_b32 v26, v44, v22
	v_cmp_le_u32_e32 vcc, v45, v21
	s_waitcnt lgkmcnt(0)
	s_nop 0
	;; [unrolled: 11-line block ×4, first 2 shown]
	v_cndmask_b32_e32 v21, 0, v26, vcc
	v_add_u32_e32 v22, v22, v21
	v_mov_b32_e32 v21, 0
	s_branch .LBB838_342
.LBB838_341:                            ;   in Loop: Header=BB838_342 Depth=1
	s_or_b64 exec, exec, s[26:27]
	v_cmp_eq_u16_sdwa s[26:27], v23, v19 src0_sel:BYTE_0 src1_sel:DWORD
	ds_bpermute_b32 v51, v34, v22
	v_subrev_u32_e32 v20, 64, v20
	v_and_b32_e32 v26, s27, v25
	v_or_b32_e32 v26, 0x80000000, v26
	v_and_b32_e32 v27, s26, v24
	v_ffbl_b32_e32 v26, v26
	v_add_u32_e32 v26, 32, v26
	v_ffbl_b32_e32 v27, v27
	v_min_u32_e32 v26, v27, v26
	v_cmp_lt_u32_e32 vcc, v32, v26
	s_waitcnt lgkmcnt(0)
	s_nop 0
	v_cndmask_b32_e32 v27, 0, v51, vcc
	v_add_u32_e32 v22, v27, v22
	ds_bpermute_b32 v27, v40, v22
	v_cmp_le_u32_e32 vcc, v41, v26
	s_waitcnt lgkmcnt(0)
	s_nop 0
	v_cndmask_b32_e32 v27, 0, v27, vcc
	v_add_u32_e32 v22, v22, v27
	ds_bpermute_b32 v27, v42, v22
	v_cmp_le_u32_e32 vcc, v43, v26
	;; [unrolled: 6-line block ×5, first 2 shown]
	s_waitcnt lgkmcnt(0)
	s_nop 0
	v_cndmask_b32_e32 v26, 0, v27, vcc
	v_add3_u32 v22, v26, v46, v22
.LBB838_342:                            ; =>This Loop Header: Depth=1
                                        ;     Child Loop BB838_345 Depth 2
	v_cmp_ne_u16_sdwa s[26:27], v23, v19 src0_sel:BYTE_0 src1_sel:DWORD
	v_mov_b32_e32 v46, v22
	s_nop 0
	v_cndmask_b32_e64 v23, 0, 1, s[26:27]
	;;#ASMSTART
	;;#ASMEND
	s_nop 0
	v_cmp_ne_u32_e32 vcc, 0, v23
	s_cmp_lg_u64 vcc, exec
	s_cbranch_scc1 .LBB838_347
; %bb.343:                              ;   in Loop: Header=BB838_342 Depth=1
	v_lshl_add_u64 v[26:27], v[20:21], 3, s[30:31]
	global_load_dwordx2 v[22:23], v[26:27], off sc1
	s_waitcnt vmcnt(0)
	v_cmp_eq_u16_sdwa s[28:29], v23, v21 src0_sel:BYTE_0 src1_sel:DWORD
	s_and_saveexec_b64 s[26:27], s[28:29]
	s_cbranch_execz .LBB838_341
; %bb.344:                              ;   in Loop: Header=BB838_342 Depth=1
	s_mov_b64 s[28:29], 0
.LBB838_345:                            ;   Parent Loop BB838_342 Depth=1
                                        ; =>  This Inner Loop Header: Depth=2
	global_load_dwordx2 v[22:23], v[26:27], off sc1
	s_waitcnt vmcnt(0)
	v_cmp_ne_u16_sdwa s[38:39], v23, v21 src0_sel:BYTE_0 src1_sel:DWORD
	s_or_b64 s[28:29], s[38:39], s[28:29]
	s_andn2_b64 exec, exec, s[28:29]
	s_cbranch_execnz .LBB838_345
; %bb.346:                              ;   in Loop: Header=BB838_342 Depth=1
	s_or_b64 exec, exec, s[28:29]
	s_branch .LBB838_341
.LBB838_347:                            ;   in Loop: Header=BB838_342 Depth=1
                                        ; implicit-def: $vgpr22
                                        ; implicit-def: $vgpr23
	s_cbranch_execz .LBB838_342
; %bb.348:
	s_and_saveexec_b64 s[26:27], s[16:17]
	s_cbranch_execz .LBB838_350
; %bb.349:
	s_add_i32 s28, s33, 64
	s_mov_b32 s29, 0
	s_lshl_b64 s[28:29], s[28:29], 3
	s_add_u32 s28, s30, s28
	v_add_u32_e32 v20, v46, v18
	v_mov_b32_e32 v21, 2
	s_addc_u32 s29, s31, s29
	v_mov_b32_e32 v19, 0
	global_store_dwordx2 v19, v[20:21], s[28:29] sc1
	s_movk_i32 s28, 0x7000
	v_add_u32_e64 v19, s28, 0
	ds_write2_b32 v19, v18, v46 offset1:2
.LBB838_350:
	s_or_b64 exec, exec, s[26:27]
	s_and_b64 exec, exec, s[18:19]
	s_cbranch_execz .LBB838_352
; %bb.351:
	v_mov_b32_e32 v18, 0
	ds_write_b32 v18, v46 offset:28
.LBB838_352:
	s_or_b64 exec, exec, s[0:1]
	v_mov_b32_e32 v18, 0
	s_waitcnt lgkmcnt(0)
	s_barrier
	ds_read_b32 v18, v18 offset:28
	v_cndmask_b32_e64 v19, v30, v28, s[16:17]
	v_cndmask_b32_e64 v19, v19, 0, s[18:19]
	s_movk_i32 s0, 0x7000
	s_waitcnt lgkmcnt(0)
	v_add_u32_e32 v34, v18, v19
	v_add_u32_e32 v32, v34, v1
	v_add_u32_e64 v18, s0, 0
	v_add_u32_e32 v30, v32, v29
	s_barrier
	ds_read2_b32 v[18:19], v18 offset1:2
	v_add_u32_e32 v28, v30, v31
	v_add_u32_e32 v26, v28, v33
	;; [unrolled: 1-line block ×4, first 2 shown]
	v_lshrrev_b64 v[20:21], 24, v[16:17]
	s_branch .LBB838_363
.LBB838_353:
                                        ; implicit-def: $vgpr22
                                        ; implicit-def: $vgpr24
                                        ; implicit-def: $vgpr26
                                        ; implicit-def: $vgpr28
                                        ; implicit-def: $vgpr30
                                        ; implicit-def: $vgpr32
                                        ; implicit-def: $vgpr34
                                        ; implicit-def: $vgpr19
	v_lshrrev_b64 v[20:21], 24, v[16:17]
	s_cbranch_execz .LBB838_363
; %bb.354:
	s_waitcnt lgkmcnt(0)
	v_mov_b32_dpp v18, v39 row_shr:1 row_mask:0xf bank_mask:0xf
	v_cndmask_b32_e64 v18, v18, 0, s[14:15]
	v_add_u32_e32 v18, v18, v39
	s_nop 1
	v_mov_b32_dpp v19, v18 row_shr:2 row_mask:0xf bank_mask:0xf
	v_cndmask_b32_e64 v19, 0, v19, s[12:13]
	v_add_u32_e32 v18, v18, v19
	s_nop 1
	;; [unrolled: 4-line block ×4, first 2 shown]
	v_mov_b32_dpp v19, v18 row_bcast:15 row_mask:0xf bank_mask:0xf
	v_cndmask_b32_e64 v19, v19, 0, s[6:7]
	v_add_u32_e32 v18, v18, v19
	s_nop 1
	v_mov_b32_dpp v19, v18 row_bcast:31 row_mask:0xf bank_mask:0xf
	v_cndmask_b32_e64 v19, 0, v19, s[2:3]
	v_add_u32_e32 v18, v18, v19
	s_and_saveexec_b64 s[0:1], s[4:5]
	s_cbranch_execz .LBB838_356
; %bb.355:
	v_lshlrev_b32_e32 v19, 2, v38
	ds_write_b32 v19, v18
.LBB838_356:
	s_or_b64 exec, exec, s[0:1]
	v_cmp_gt_u32_e32 vcc, 8, v0
	s_waitcnt lgkmcnt(0)
	s_barrier
	s_and_saveexec_b64 s[0:1], vcc
	s_cbranch_execz .LBB838_358
; %bb.357:
	v_lshlrev_b32_e32 v19, 2, v0
	ds_read_b32 v21, v19
	v_and_b32_e32 v22, 7, v37
	v_cmp_ne_u32_e32 vcc, 0, v22
	s_waitcnt lgkmcnt(0)
	v_mov_b32_dpp v23, v21 row_shr:1 row_mask:0xf bank_mask:0xf
	v_cndmask_b32_e32 v23, 0, v23, vcc
	v_add_u32_e32 v21, v23, v21
	v_cmp_lt_u32_e32 vcc, 1, v22
	s_nop 0
	v_mov_b32_dpp v23, v21 row_shr:2 row_mask:0xf bank_mask:0xf
	v_cndmask_b32_e32 v23, 0, v23, vcc
	v_add_u32_e32 v21, v21, v23
	v_cmp_lt_u32_e32 vcc, 3, v22
	s_nop 0
	v_mov_b32_dpp v23, v21 row_shr:4 row_mask:0xf bank_mask:0xf
	v_cndmask_b32_e32 v22, 0, v23, vcc
	v_add_u32_e32 v21, v21, v22
	ds_write_b32 v19, v21
.LBB838_358:
	s_or_b64 exec, exec, s[0:1]
	v_cmp_lt_u32_e32 vcc, 63, v0
	v_mov_b32_e32 v19, 0
	v_mov_b32_e32 v21, 0
	s_waitcnt lgkmcnt(0)
	s_barrier
	s_and_saveexec_b64 s[0:1], vcc
	s_cbranch_execz .LBB838_360
; %bb.359:
	v_lshl_add_u32 v21, v38, 2, -4
	ds_read_b32 v21, v21
.LBB838_360:
	s_or_b64 exec, exec, s[0:1]
	v_add_u32_e32 v22, -1, v37
	v_and_b32_e32 v23, 64, v37
	v_cmp_lt_i32_e32 vcc, v22, v23
	s_waitcnt lgkmcnt(0)
	v_add_u32_e32 v18, v21, v18
	v_cndmask_b32_e32 v22, v22, v37, vcc
	v_lshlrev_b32_e32 v22, 2, v22
	ds_bpermute_b32 v22, v22, v18
	ds_read_b32 v18, v19 offset:28
	s_and_saveexec_b64 s[0:1], s[18:19]
	s_cbranch_execz .LBB838_362
; %bb.361:
	v_mov_b32_e32 v23, 0
	v_mov_b32_e32 v19, 2
	s_waitcnt lgkmcnt(0)
	global_store_dwordx2 v23, v[18:19], s[30:31] offset:512 sc1
.LBB838_362:
	s_or_b64 exec, exec, s[0:1]
	v_cmp_eq_u32_e32 vcc, 0, v37
	v_mov_b32_e32 v19, 0
	s_waitcnt lgkmcnt(0)
	v_cndmask_b32_e32 v21, v22, v21, vcc
	v_cndmask_b32_e64 v34, v21, 0, s[18:19]
	v_add_u32_e32 v32, v34, v1
	v_add_u32_e32 v30, v32, v29
	;; [unrolled: 1-line block ×6, first 2 shown]
	s_barrier
.LBB838_363:
	s_movk_i32 s0, 0x201
	s_waitcnt lgkmcnt(0)
	v_cmp_gt_u32_e32 vcc, s0, v18
	v_lshrrev_b32_e32 v21, 8, v16
	v_lshrrev_b32_e32 v1, 8, v17
	s_mov_b64 s[0:1], -1
	s_cbranch_vccnz .LBB838_367
; %bb.364:
	s_and_b64 vcc, exec, s[0:1]
	s_cbranch_vccnz .LBB838_389
.LBB838_365:
	s_and_b64 s[0:1], s[18:19], s[24:25]
	s_and_saveexec_b64 s[2:3], s[0:1]
	s_cbranch_execnz .LBB838_407
.LBB838_366:
	s_endpgm
.LBB838_367:
	v_add_u32_e32 v23, v19, v18
	v_cmp_lt_u32_e32 vcc, v34, v23
	s_or_b64 s[2:3], s[36:37], vcc
	s_and_saveexec_b64 s[0:1], s[2:3]
	s_cbranch_execz .LBB838_370
; %bb.368:
	v_and_b32_e32 v25, 1, v16
	v_cmp_eq_u32_e32 vcc, 1, v25
	s_and_b64 exec, exec, vcc
	s_cbranch_execz .LBB838_370
; %bb.369:
	s_lshl_b64 s[2:3], s[22:23], 3
	s_add_u32 s2, s34, s2
	s_addc_u32 s3, s35, s3
	v_mov_b32_e32 v35, 0
	v_lshl_add_u64 v[36:37], v[34:35], 3, s[2:3]
	global_store_dwordx2 v[36:37], v[10:11], off
.LBB838_370:
	s_or_b64 exec, exec, s[0:1]
	v_cmp_lt_u32_e32 vcc, v32, v23
	s_or_b64 s[2:3], s[36:37], vcc
	s_and_saveexec_b64 s[0:1], s[2:3]
	s_cbranch_execz .LBB838_373
; %bb.371:
	v_and_b32_e32 v25, 1, v21
	v_cmp_eq_u32_e32 vcc, 1, v25
	s_and_b64 exec, exec, vcc
	s_cbranch_execz .LBB838_373
; %bb.372:
	s_lshl_b64 s[2:3], s[22:23], 3
	s_add_u32 s2, s34, s2
	s_addc_u32 s3, s35, s3
	v_mov_b32_e32 v33, 0
	v_lshl_add_u64 v[36:37], v[32:33], 3, s[2:3]
	global_store_dwordx2 v[36:37], v[12:13], off
.LBB838_373:
	s_or_b64 exec, exec, s[0:1]
	v_cmp_lt_u32_e32 vcc, v30, v23
	s_or_b64 s[2:3], s[36:37], vcc
	s_and_saveexec_b64 s[0:1], s[2:3]
	s_cbranch_execz .LBB838_376
; %bb.374:
	v_mov_b32_e32 v25, 1
	v_and_b32_sdwa v25, v25, v16 dst_sel:DWORD dst_unused:UNUSED_PAD src0_sel:DWORD src1_sel:WORD_1
	v_cmp_eq_u32_e32 vcc, 1, v25
	s_and_b64 exec, exec, vcc
	s_cbranch_execz .LBB838_376
; %bb.375:
	s_lshl_b64 s[2:3], s[22:23], 3
	s_add_u32 s2, s34, s2
	s_addc_u32 s3, s35, s3
	v_mov_b32_e32 v31, 0
	v_lshl_add_u64 v[36:37], v[30:31], 3, s[2:3]
	global_store_dwordx2 v[36:37], v[6:7], off
.LBB838_376:
	s_or_b64 exec, exec, s[0:1]
	v_cmp_lt_u32_e32 vcc, v28, v23
	s_or_b64 s[2:3], s[36:37], vcc
	s_and_saveexec_b64 s[0:1], s[2:3]
	s_cbranch_execz .LBB838_379
; %bb.377:
	v_and_b32_e32 v25, 1, v20
	v_cmp_eq_u32_e32 vcc, 1, v25
	s_and_b64 exec, exec, vcc
	s_cbranch_execz .LBB838_379
; %bb.378:
	s_lshl_b64 s[2:3], s[22:23], 3
	s_add_u32 s2, s34, s2
	s_addc_u32 s3, s35, s3
	v_mov_b32_e32 v29, 0
	v_lshl_add_u64 v[36:37], v[28:29], 3, s[2:3]
	global_store_dwordx2 v[36:37], v[8:9], off
.LBB838_379:
	s_or_b64 exec, exec, s[0:1]
	v_cmp_lt_u32_e32 vcc, v26, v23
	s_or_b64 s[2:3], s[36:37], vcc
	s_and_saveexec_b64 s[0:1], s[2:3]
	s_cbranch_execz .LBB838_382
; %bb.380:
	v_and_b32_e32 v25, 1, v17
	v_cmp_eq_u32_e32 vcc, 1, v25
	s_and_b64 exec, exec, vcc
	s_cbranch_execz .LBB838_382
; %bb.381:
	s_lshl_b64 s[2:3], s[22:23], 3
	s_add_u32 s2, s34, s2
	s_addc_u32 s3, s35, s3
	v_mov_b32_e32 v27, 0
	v_lshl_add_u64 v[36:37], v[26:27], 3, s[2:3]
	global_store_dwordx2 v[36:37], v[2:3], off
.LBB838_382:
	;; [unrolled: 18-line block ×3, first 2 shown]
	s_or_b64 exec, exec, s[0:1]
	v_cmp_lt_u32_e32 vcc, v22, v23
	s_or_b64 s[2:3], s[36:37], vcc
	s_and_saveexec_b64 s[0:1], s[2:3]
	s_cbranch_execz .LBB838_388
; %bb.386:
	v_mov_b32_e32 v23, 1
	v_and_b32_sdwa v23, v23, v17 dst_sel:DWORD dst_unused:UNUSED_PAD src0_sel:DWORD src1_sel:WORD_1
	v_cmp_eq_u32_e32 vcc, 1, v23
	s_and_b64 exec, exec, vcc
	s_cbranch_execz .LBB838_388
; %bb.387:
	s_lshl_b64 s[2:3], s[22:23], 3
	s_add_u32 s2, s34, s2
	s_addc_u32 s3, s35, s3
	v_mov_b32_e32 v23, 0
	v_lshl_add_u64 v[36:37], v[22:23], 3, s[2:3]
	global_store_dwordx2 v[36:37], v[14:15], off
.LBB838_388:
	s_or_b64 exec, exec, s[0:1]
	s_branch .LBB838_365
.LBB838_389:
	v_and_b32_e32 v23, 1, v16
	v_cmp_eq_u32_e32 vcc, 1, v23
	s_and_saveexec_b64 s[0:1], vcc
	s_cbranch_execz .LBB838_391
; %bb.390:
	v_sub_u32_e32 v23, v34, v19
	v_lshlrev_b32_e32 v23, 3, v23
	ds_write_b64 v23, v[10:11]
.LBB838_391:
	s_or_b64 exec, exec, s[0:1]
	v_and_b32_e32 v10, 1, v21
	v_cmp_eq_u32_e32 vcc, 1, v10
	s_and_saveexec_b64 s[0:1], vcc
	s_cbranch_execz .LBB838_393
; %bb.392:
	v_sub_u32_e32 v10, v32, v19
	v_lshlrev_b32_e32 v10, 3, v10
	ds_write_b64 v10, v[12:13]
.LBB838_393:
	s_or_b64 exec, exec, s[0:1]
	v_mov_b32_e32 v10, 1
	v_and_b32_sdwa v10, v10, v16 dst_sel:DWORD dst_unused:UNUSED_PAD src0_sel:DWORD src1_sel:WORD_1
	v_cmp_eq_u32_e32 vcc, 1, v10
	s_and_saveexec_b64 s[0:1], vcc
	s_cbranch_execz .LBB838_395
; %bb.394:
	v_sub_u32_e32 v10, v30, v19
	v_lshlrev_b32_e32 v10, 3, v10
	ds_write_b64 v10, v[6:7]
.LBB838_395:
	s_or_b64 exec, exec, s[0:1]
	v_and_b32_e32 v6, 1, v20
	v_cmp_eq_u32_e32 vcc, 1, v6
	s_and_saveexec_b64 s[0:1], vcc
	s_cbranch_execz .LBB838_397
; %bb.396:
	v_sub_u32_e32 v6, v28, v19
	v_lshlrev_b32_e32 v6, 3, v6
	ds_write_b64 v6, v[8:9]
.LBB838_397:
	s_or_b64 exec, exec, s[0:1]
	v_and_b32_e32 v6, 1, v17
	v_cmp_eq_u32_e32 vcc, 1, v6
	s_and_saveexec_b64 s[0:1], vcc
	s_cbranch_execz .LBB838_399
; %bb.398:
	v_sub_u32_e32 v6, v26, v19
	v_lshlrev_b32_e32 v6, 3, v6
	ds_write_b64 v6, v[2:3]
.LBB838_399:
	s_or_b64 exec, exec, s[0:1]
	v_and_b32_e32 v1, 1, v1
	v_cmp_eq_u32_e32 vcc, 1, v1
	s_and_saveexec_b64 s[0:1], vcc
	s_cbranch_execz .LBB838_401
; %bb.400:
	v_sub_u32_e32 v1, v24, v19
	v_lshlrev_b32_e32 v1, 3, v1
	ds_write_b64 v1, v[4:5]
.LBB838_401:
	s_or_b64 exec, exec, s[0:1]
	v_mov_b32_e32 v1, 1
	v_and_b32_sdwa v1, v1, v17 dst_sel:DWORD dst_unused:UNUSED_PAD src0_sel:DWORD src1_sel:WORD_1
	v_cmp_eq_u32_e32 vcc, 1, v1
	s_and_saveexec_b64 s[0:1], vcc
	s_cbranch_execz .LBB838_403
; %bb.402:
	v_sub_u32_e32 v1, v22, v19
	v_lshlrev_b32_e32 v1, 3, v1
	ds_write_b64 v1, v[14:15]
.LBB838_403:
	s_or_b64 exec, exec, s[0:1]
	v_cmp_lt_u32_e32 vcc, v0, v18
	s_waitcnt lgkmcnt(0)
	s_barrier
	s_and_saveexec_b64 s[0:1], vcc
	s_cbranch_execz .LBB838_406
; %bb.404:
	v_mov_b32_e32 v5, 0
	v_mov_b32_e32 v4, v19
	s_lshl_b64 s[2:3], s[22:23], 3
	v_lshlrev_b64 v[6:7], 3, v[4:5]
	v_lshl_add_u64 v[6:7], s[2:3], 0, v[6:7]
	v_lshlrev_b32_e32 v2, 3, v0
	v_mov_b32_e32 v3, v5
	v_lshl_add_u64 v[4:5], s[34:35], 0, v[6:7]
	v_lshl_add_u64 v[4:5], v[4:5], 0, v[2:3]
	s_mov_b64 s[2:3], 0
	s_mov_b64 s[4:5], 0x1000
.LBB838_405:                            ; =>This Inner Loop Header: Depth=1
	ds_read_b64 v[6:7], v2
	v_add_u32_e32 v0, 0x200, v0
	v_cmp_ge_u32_e32 vcc, v0, v18
	v_add_u32_e32 v2, 0x1000, v2
	s_or_b64 s[2:3], vcc, s[2:3]
	s_waitcnt lgkmcnt(0)
	global_store_dwordx2 v[4:5], v[6:7], off
	v_lshl_add_u64 v[4:5], v[4:5], 0, s[4:5]
	s_andn2_b64 exec, exec, s[2:3]
	s_cbranch_execnz .LBB838_405
.LBB838_406:
	s_or_b64 exec, exec, s[0:1]
	s_and_b64 s[0:1], s[18:19], s[24:25]
	s_and_saveexec_b64 s[2:3], s[0:1]
	s_cbranch_execz .LBB838_366
.LBB838_407:
	v_mov_b32_e32 v1, 0
	v_mov_b32_e32 v0, v18
	v_lshl_add_u64 v[2:3], s[22:23], 0, v[0:1]
	v_mov_b32_e32 v0, v19
	v_lshl_add_u64 v[2:3], v[2:3], 0, v[0:1]
	global_store_dwordx2 v1, v[2:3], s[20:21]
	s_endpgm
	.section	.rodata,"a",@progbits
	.p2align	6, 0x0
	.amdhsa_kernel _ZN7rocprim17ROCPRIM_400000_NS6detail17trampoline_kernelINS0_14default_configENS1_25partition_config_selectorILNS1_17partition_subalgoE8ElNS0_10empty_typeEbEEZZNS1_14partition_implILS5_8ELb0ES3_jPlPS6_PKS6_NS0_5tupleIJS9_S6_EEENSD_IJSA_SA_EEENS0_18inequality_wrapperIZN2at6native12_GLOBAL__N_124unique_dim_cuda_templateIdEESt5tupleIJNSH_6TensorESM_SM_EERKSM_lbbbEUlllE0_EEPmJS6_EEE10hipError_tPvRmT3_T4_T5_T6_T7_T9_mT8_P12ihipStream_tbDpT10_ENKUlT_T0_E_clISt17integral_constantIbLb0EES1B_IbLb1EEEEDaS17_S18_EUlS17_E_NS1_11comp_targetILNS1_3genE5ELNS1_11target_archE942ELNS1_3gpuE9ELNS1_3repE0EEENS1_30default_config_static_selectorELNS0_4arch9wavefront6targetE1EEEvT1_
		.amdhsa_group_segment_fixed_size 28684
		.amdhsa_private_segment_fixed_size 0
		.amdhsa_kernarg_size 136
		.amdhsa_user_sgpr_count 2
		.amdhsa_user_sgpr_dispatch_ptr 0
		.amdhsa_user_sgpr_queue_ptr 0
		.amdhsa_user_sgpr_kernarg_segment_ptr 1
		.amdhsa_user_sgpr_dispatch_id 0
		.amdhsa_user_sgpr_kernarg_preload_length 0
		.amdhsa_user_sgpr_kernarg_preload_offset 0
		.amdhsa_user_sgpr_private_segment_size 0
		.amdhsa_uses_dynamic_stack 0
		.amdhsa_enable_private_segment 0
		.amdhsa_system_sgpr_workgroup_id_x 1
		.amdhsa_system_sgpr_workgroup_id_y 0
		.amdhsa_system_sgpr_workgroup_id_z 0
		.amdhsa_system_sgpr_workgroup_info 0
		.amdhsa_system_vgpr_workitem_id 0
		.amdhsa_next_free_vgpr 52
		.amdhsa_next_free_sgpr 56
		.amdhsa_accum_offset 52
		.amdhsa_reserve_vcc 1
		.amdhsa_float_round_mode_32 0
		.amdhsa_float_round_mode_16_64 0
		.amdhsa_float_denorm_mode_32 3
		.amdhsa_float_denorm_mode_16_64 3
		.amdhsa_dx10_clamp 1
		.amdhsa_ieee_mode 1
		.amdhsa_fp16_overflow 0
		.amdhsa_tg_split 0
		.amdhsa_exception_fp_ieee_invalid_op 0
		.amdhsa_exception_fp_denorm_src 0
		.amdhsa_exception_fp_ieee_div_zero 0
		.amdhsa_exception_fp_ieee_overflow 0
		.amdhsa_exception_fp_ieee_underflow 0
		.amdhsa_exception_fp_ieee_inexact 0
		.amdhsa_exception_int_div_zero 0
	.end_amdhsa_kernel
	.section	.text._ZN7rocprim17ROCPRIM_400000_NS6detail17trampoline_kernelINS0_14default_configENS1_25partition_config_selectorILNS1_17partition_subalgoE8ElNS0_10empty_typeEbEEZZNS1_14partition_implILS5_8ELb0ES3_jPlPS6_PKS6_NS0_5tupleIJS9_S6_EEENSD_IJSA_SA_EEENS0_18inequality_wrapperIZN2at6native12_GLOBAL__N_124unique_dim_cuda_templateIdEESt5tupleIJNSH_6TensorESM_SM_EERKSM_lbbbEUlllE0_EEPmJS6_EEE10hipError_tPvRmT3_T4_T5_T6_T7_T9_mT8_P12ihipStream_tbDpT10_ENKUlT_T0_E_clISt17integral_constantIbLb0EES1B_IbLb1EEEEDaS17_S18_EUlS17_E_NS1_11comp_targetILNS1_3genE5ELNS1_11target_archE942ELNS1_3gpuE9ELNS1_3repE0EEENS1_30default_config_static_selectorELNS0_4arch9wavefront6targetE1EEEvT1_,"axG",@progbits,_ZN7rocprim17ROCPRIM_400000_NS6detail17trampoline_kernelINS0_14default_configENS1_25partition_config_selectorILNS1_17partition_subalgoE8ElNS0_10empty_typeEbEEZZNS1_14partition_implILS5_8ELb0ES3_jPlPS6_PKS6_NS0_5tupleIJS9_S6_EEENSD_IJSA_SA_EEENS0_18inequality_wrapperIZN2at6native12_GLOBAL__N_124unique_dim_cuda_templateIdEESt5tupleIJNSH_6TensorESM_SM_EERKSM_lbbbEUlllE0_EEPmJS6_EEE10hipError_tPvRmT3_T4_T5_T6_T7_T9_mT8_P12ihipStream_tbDpT10_ENKUlT_T0_E_clISt17integral_constantIbLb0EES1B_IbLb1EEEEDaS17_S18_EUlS17_E_NS1_11comp_targetILNS1_3genE5ELNS1_11target_archE942ELNS1_3gpuE9ELNS1_3repE0EEENS1_30default_config_static_selectorELNS0_4arch9wavefront6targetE1EEEvT1_,comdat
.Lfunc_end838:
	.size	_ZN7rocprim17ROCPRIM_400000_NS6detail17trampoline_kernelINS0_14default_configENS1_25partition_config_selectorILNS1_17partition_subalgoE8ElNS0_10empty_typeEbEEZZNS1_14partition_implILS5_8ELb0ES3_jPlPS6_PKS6_NS0_5tupleIJS9_S6_EEENSD_IJSA_SA_EEENS0_18inequality_wrapperIZN2at6native12_GLOBAL__N_124unique_dim_cuda_templateIdEESt5tupleIJNSH_6TensorESM_SM_EERKSM_lbbbEUlllE0_EEPmJS6_EEE10hipError_tPvRmT3_T4_T5_T6_T7_T9_mT8_P12ihipStream_tbDpT10_ENKUlT_T0_E_clISt17integral_constantIbLb0EES1B_IbLb1EEEEDaS17_S18_EUlS17_E_NS1_11comp_targetILNS1_3genE5ELNS1_11target_archE942ELNS1_3gpuE9ELNS1_3repE0EEENS1_30default_config_static_selectorELNS0_4arch9wavefront6targetE1EEEvT1_, .Lfunc_end838-_ZN7rocprim17ROCPRIM_400000_NS6detail17trampoline_kernelINS0_14default_configENS1_25partition_config_selectorILNS1_17partition_subalgoE8ElNS0_10empty_typeEbEEZZNS1_14partition_implILS5_8ELb0ES3_jPlPS6_PKS6_NS0_5tupleIJS9_S6_EEENSD_IJSA_SA_EEENS0_18inequality_wrapperIZN2at6native12_GLOBAL__N_124unique_dim_cuda_templateIdEESt5tupleIJNSH_6TensorESM_SM_EERKSM_lbbbEUlllE0_EEPmJS6_EEE10hipError_tPvRmT3_T4_T5_T6_T7_T9_mT8_P12ihipStream_tbDpT10_ENKUlT_T0_E_clISt17integral_constantIbLb0EES1B_IbLb1EEEEDaS17_S18_EUlS17_E_NS1_11comp_targetILNS1_3genE5ELNS1_11target_archE942ELNS1_3gpuE9ELNS1_3repE0EEENS1_30default_config_static_selectorELNS0_4arch9wavefront6targetE1EEEvT1_
                                        ; -- End function
	.section	.AMDGPU.csdata,"",@progbits
; Kernel info:
; codeLenInByte = 13044
; NumSgprs: 62
; NumVgprs: 52
; NumAgprs: 0
; TotalNumVgprs: 52
; ScratchSize: 0
; MemoryBound: 1
; FloatMode: 240
; IeeeMode: 1
; LDSByteSize: 28684 bytes/workgroup (compile time only)
; SGPRBlocks: 7
; VGPRBlocks: 6
; NumSGPRsForWavesPerEU: 62
; NumVGPRsForWavesPerEU: 52
; AccumOffset: 52
; Occupancy: 4
; WaveLimiterHint : 1
; COMPUTE_PGM_RSRC2:SCRATCH_EN: 0
; COMPUTE_PGM_RSRC2:USER_SGPR: 2
; COMPUTE_PGM_RSRC2:TRAP_HANDLER: 0
; COMPUTE_PGM_RSRC2:TGID_X_EN: 1
; COMPUTE_PGM_RSRC2:TGID_Y_EN: 0
; COMPUTE_PGM_RSRC2:TGID_Z_EN: 0
; COMPUTE_PGM_RSRC2:TIDIG_COMP_CNT: 0
; COMPUTE_PGM_RSRC3_GFX90A:ACCUM_OFFSET: 12
; COMPUTE_PGM_RSRC3_GFX90A:TG_SPLIT: 0
	.section	.text._ZN7rocprim17ROCPRIM_400000_NS6detail17trampoline_kernelINS0_14default_configENS1_25partition_config_selectorILNS1_17partition_subalgoE8ElNS0_10empty_typeEbEEZZNS1_14partition_implILS5_8ELb0ES3_jPlPS6_PKS6_NS0_5tupleIJS9_S6_EEENSD_IJSA_SA_EEENS0_18inequality_wrapperIZN2at6native12_GLOBAL__N_124unique_dim_cuda_templateIdEESt5tupleIJNSH_6TensorESM_SM_EERKSM_lbbbEUlllE0_EEPmJS6_EEE10hipError_tPvRmT3_T4_T5_T6_T7_T9_mT8_P12ihipStream_tbDpT10_ENKUlT_T0_E_clISt17integral_constantIbLb0EES1B_IbLb1EEEEDaS17_S18_EUlS17_E_NS1_11comp_targetILNS1_3genE4ELNS1_11target_archE910ELNS1_3gpuE8ELNS1_3repE0EEENS1_30default_config_static_selectorELNS0_4arch9wavefront6targetE1EEEvT1_,"axG",@progbits,_ZN7rocprim17ROCPRIM_400000_NS6detail17trampoline_kernelINS0_14default_configENS1_25partition_config_selectorILNS1_17partition_subalgoE8ElNS0_10empty_typeEbEEZZNS1_14partition_implILS5_8ELb0ES3_jPlPS6_PKS6_NS0_5tupleIJS9_S6_EEENSD_IJSA_SA_EEENS0_18inequality_wrapperIZN2at6native12_GLOBAL__N_124unique_dim_cuda_templateIdEESt5tupleIJNSH_6TensorESM_SM_EERKSM_lbbbEUlllE0_EEPmJS6_EEE10hipError_tPvRmT3_T4_T5_T6_T7_T9_mT8_P12ihipStream_tbDpT10_ENKUlT_T0_E_clISt17integral_constantIbLb0EES1B_IbLb1EEEEDaS17_S18_EUlS17_E_NS1_11comp_targetILNS1_3genE4ELNS1_11target_archE910ELNS1_3gpuE8ELNS1_3repE0EEENS1_30default_config_static_selectorELNS0_4arch9wavefront6targetE1EEEvT1_,comdat
	.globl	_ZN7rocprim17ROCPRIM_400000_NS6detail17trampoline_kernelINS0_14default_configENS1_25partition_config_selectorILNS1_17partition_subalgoE8ElNS0_10empty_typeEbEEZZNS1_14partition_implILS5_8ELb0ES3_jPlPS6_PKS6_NS0_5tupleIJS9_S6_EEENSD_IJSA_SA_EEENS0_18inequality_wrapperIZN2at6native12_GLOBAL__N_124unique_dim_cuda_templateIdEESt5tupleIJNSH_6TensorESM_SM_EERKSM_lbbbEUlllE0_EEPmJS6_EEE10hipError_tPvRmT3_T4_T5_T6_T7_T9_mT8_P12ihipStream_tbDpT10_ENKUlT_T0_E_clISt17integral_constantIbLb0EES1B_IbLb1EEEEDaS17_S18_EUlS17_E_NS1_11comp_targetILNS1_3genE4ELNS1_11target_archE910ELNS1_3gpuE8ELNS1_3repE0EEENS1_30default_config_static_selectorELNS0_4arch9wavefront6targetE1EEEvT1_ ; -- Begin function _ZN7rocprim17ROCPRIM_400000_NS6detail17trampoline_kernelINS0_14default_configENS1_25partition_config_selectorILNS1_17partition_subalgoE8ElNS0_10empty_typeEbEEZZNS1_14partition_implILS5_8ELb0ES3_jPlPS6_PKS6_NS0_5tupleIJS9_S6_EEENSD_IJSA_SA_EEENS0_18inequality_wrapperIZN2at6native12_GLOBAL__N_124unique_dim_cuda_templateIdEESt5tupleIJNSH_6TensorESM_SM_EERKSM_lbbbEUlllE0_EEPmJS6_EEE10hipError_tPvRmT3_T4_T5_T6_T7_T9_mT8_P12ihipStream_tbDpT10_ENKUlT_T0_E_clISt17integral_constantIbLb0EES1B_IbLb1EEEEDaS17_S18_EUlS17_E_NS1_11comp_targetILNS1_3genE4ELNS1_11target_archE910ELNS1_3gpuE8ELNS1_3repE0EEENS1_30default_config_static_selectorELNS0_4arch9wavefront6targetE1EEEvT1_
	.p2align	8
	.type	_ZN7rocprim17ROCPRIM_400000_NS6detail17trampoline_kernelINS0_14default_configENS1_25partition_config_selectorILNS1_17partition_subalgoE8ElNS0_10empty_typeEbEEZZNS1_14partition_implILS5_8ELb0ES3_jPlPS6_PKS6_NS0_5tupleIJS9_S6_EEENSD_IJSA_SA_EEENS0_18inequality_wrapperIZN2at6native12_GLOBAL__N_124unique_dim_cuda_templateIdEESt5tupleIJNSH_6TensorESM_SM_EERKSM_lbbbEUlllE0_EEPmJS6_EEE10hipError_tPvRmT3_T4_T5_T6_T7_T9_mT8_P12ihipStream_tbDpT10_ENKUlT_T0_E_clISt17integral_constantIbLb0EES1B_IbLb1EEEEDaS17_S18_EUlS17_E_NS1_11comp_targetILNS1_3genE4ELNS1_11target_archE910ELNS1_3gpuE8ELNS1_3repE0EEENS1_30default_config_static_selectorELNS0_4arch9wavefront6targetE1EEEvT1_,@function
_ZN7rocprim17ROCPRIM_400000_NS6detail17trampoline_kernelINS0_14default_configENS1_25partition_config_selectorILNS1_17partition_subalgoE8ElNS0_10empty_typeEbEEZZNS1_14partition_implILS5_8ELb0ES3_jPlPS6_PKS6_NS0_5tupleIJS9_S6_EEENSD_IJSA_SA_EEENS0_18inequality_wrapperIZN2at6native12_GLOBAL__N_124unique_dim_cuda_templateIdEESt5tupleIJNSH_6TensorESM_SM_EERKSM_lbbbEUlllE0_EEPmJS6_EEE10hipError_tPvRmT3_T4_T5_T6_T7_T9_mT8_P12ihipStream_tbDpT10_ENKUlT_T0_E_clISt17integral_constantIbLb0EES1B_IbLb1EEEEDaS17_S18_EUlS17_E_NS1_11comp_targetILNS1_3genE4ELNS1_11target_archE910ELNS1_3gpuE8ELNS1_3repE0EEENS1_30default_config_static_selectorELNS0_4arch9wavefront6targetE1EEEvT1_: ; @_ZN7rocprim17ROCPRIM_400000_NS6detail17trampoline_kernelINS0_14default_configENS1_25partition_config_selectorILNS1_17partition_subalgoE8ElNS0_10empty_typeEbEEZZNS1_14partition_implILS5_8ELb0ES3_jPlPS6_PKS6_NS0_5tupleIJS9_S6_EEENSD_IJSA_SA_EEENS0_18inequality_wrapperIZN2at6native12_GLOBAL__N_124unique_dim_cuda_templateIdEESt5tupleIJNSH_6TensorESM_SM_EERKSM_lbbbEUlllE0_EEPmJS6_EEE10hipError_tPvRmT3_T4_T5_T6_T7_T9_mT8_P12ihipStream_tbDpT10_ENKUlT_T0_E_clISt17integral_constantIbLb0EES1B_IbLb1EEEEDaS17_S18_EUlS17_E_NS1_11comp_targetILNS1_3genE4ELNS1_11target_archE910ELNS1_3gpuE8ELNS1_3repE0EEENS1_30default_config_static_selectorELNS0_4arch9wavefront6targetE1EEEvT1_
; %bb.0:
	.section	.rodata,"a",@progbits
	.p2align	6, 0x0
	.amdhsa_kernel _ZN7rocprim17ROCPRIM_400000_NS6detail17trampoline_kernelINS0_14default_configENS1_25partition_config_selectorILNS1_17partition_subalgoE8ElNS0_10empty_typeEbEEZZNS1_14partition_implILS5_8ELb0ES3_jPlPS6_PKS6_NS0_5tupleIJS9_S6_EEENSD_IJSA_SA_EEENS0_18inequality_wrapperIZN2at6native12_GLOBAL__N_124unique_dim_cuda_templateIdEESt5tupleIJNSH_6TensorESM_SM_EERKSM_lbbbEUlllE0_EEPmJS6_EEE10hipError_tPvRmT3_T4_T5_T6_T7_T9_mT8_P12ihipStream_tbDpT10_ENKUlT_T0_E_clISt17integral_constantIbLb0EES1B_IbLb1EEEEDaS17_S18_EUlS17_E_NS1_11comp_targetILNS1_3genE4ELNS1_11target_archE910ELNS1_3gpuE8ELNS1_3repE0EEENS1_30default_config_static_selectorELNS0_4arch9wavefront6targetE1EEEvT1_
		.amdhsa_group_segment_fixed_size 0
		.amdhsa_private_segment_fixed_size 0
		.amdhsa_kernarg_size 136
		.amdhsa_user_sgpr_count 2
		.amdhsa_user_sgpr_dispatch_ptr 0
		.amdhsa_user_sgpr_queue_ptr 0
		.amdhsa_user_sgpr_kernarg_segment_ptr 1
		.amdhsa_user_sgpr_dispatch_id 0
		.amdhsa_user_sgpr_kernarg_preload_length 0
		.amdhsa_user_sgpr_kernarg_preload_offset 0
		.amdhsa_user_sgpr_private_segment_size 0
		.amdhsa_uses_dynamic_stack 0
		.amdhsa_enable_private_segment 0
		.amdhsa_system_sgpr_workgroup_id_x 1
		.amdhsa_system_sgpr_workgroup_id_y 0
		.amdhsa_system_sgpr_workgroup_id_z 0
		.amdhsa_system_sgpr_workgroup_info 0
		.amdhsa_system_vgpr_workitem_id 0
		.amdhsa_next_free_vgpr 1
		.amdhsa_next_free_sgpr 0
		.amdhsa_accum_offset 4
		.amdhsa_reserve_vcc 0
		.amdhsa_float_round_mode_32 0
		.amdhsa_float_round_mode_16_64 0
		.amdhsa_float_denorm_mode_32 3
		.amdhsa_float_denorm_mode_16_64 3
		.amdhsa_dx10_clamp 1
		.amdhsa_ieee_mode 1
		.amdhsa_fp16_overflow 0
		.amdhsa_tg_split 0
		.amdhsa_exception_fp_ieee_invalid_op 0
		.amdhsa_exception_fp_denorm_src 0
		.amdhsa_exception_fp_ieee_div_zero 0
		.amdhsa_exception_fp_ieee_overflow 0
		.amdhsa_exception_fp_ieee_underflow 0
		.amdhsa_exception_fp_ieee_inexact 0
		.amdhsa_exception_int_div_zero 0
	.end_amdhsa_kernel
	.section	.text._ZN7rocprim17ROCPRIM_400000_NS6detail17trampoline_kernelINS0_14default_configENS1_25partition_config_selectorILNS1_17partition_subalgoE8ElNS0_10empty_typeEbEEZZNS1_14partition_implILS5_8ELb0ES3_jPlPS6_PKS6_NS0_5tupleIJS9_S6_EEENSD_IJSA_SA_EEENS0_18inequality_wrapperIZN2at6native12_GLOBAL__N_124unique_dim_cuda_templateIdEESt5tupleIJNSH_6TensorESM_SM_EERKSM_lbbbEUlllE0_EEPmJS6_EEE10hipError_tPvRmT3_T4_T5_T6_T7_T9_mT8_P12ihipStream_tbDpT10_ENKUlT_T0_E_clISt17integral_constantIbLb0EES1B_IbLb1EEEEDaS17_S18_EUlS17_E_NS1_11comp_targetILNS1_3genE4ELNS1_11target_archE910ELNS1_3gpuE8ELNS1_3repE0EEENS1_30default_config_static_selectorELNS0_4arch9wavefront6targetE1EEEvT1_,"axG",@progbits,_ZN7rocprim17ROCPRIM_400000_NS6detail17trampoline_kernelINS0_14default_configENS1_25partition_config_selectorILNS1_17partition_subalgoE8ElNS0_10empty_typeEbEEZZNS1_14partition_implILS5_8ELb0ES3_jPlPS6_PKS6_NS0_5tupleIJS9_S6_EEENSD_IJSA_SA_EEENS0_18inequality_wrapperIZN2at6native12_GLOBAL__N_124unique_dim_cuda_templateIdEESt5tupleIJNSH_6TensorESM_SM_EERKSM_lbbbEUlllE0_EEPmJS6_EEE10hipError_tPvRmT3_T4_T5_T6_T7_T9_mT8_P12ihipStream_tbDpT10_ENKUlT_T0_E_clISt17integral_constantIbLb0EES1B_IbLb1EEEEDaS17_S18_EUlS17_E_NS1_11comp_targetILNS1_3genE4ELNS1_11target_archE910ELNS1_3gpuE8ELNS1_3repE0EEENS1_30default_config_static_selectorELNS0_4arch9wavefront6targetE1EEEvT1_,comdat
.Lfunc_end839:
	.size	_ZN7rocprim17ROCPRIM_400000_NS6detail17trampoline_kernelINS0_14default_configENS1_25partition_config_selectorILNS1_17partition_subalgoE8ElNS0_10empty_typeEbEEZZNS1_14partition_implILS5_8ELb0ES3_jPlPS6_PKS6_NS0_5tupleIJS9_S6_EEENSD_IJSA_SA_EEENS0_18inequality_wrapperIZN2at6native12_GLOBAL__N_124unique_dim_cuda_templateIdEESt5tupleIJNSH_6TensorESM_SM_EERKSM_lbbbEUlllE0_EEPmJS6_EEE10hipError_tPvRmT3_T4_T5_T6_T7_T9_mT8_P12ihipStream_tbDpT10_ENKUlT_T0_E_clISt17integral_constantIbLb0EES1B_IbLb1EEEEDaS17_S18_EUlS17_E_NS1_11comp_targetILNS1_3genE4ELNS1_11target_archE910ELNS1_3gpuE8ELNS1_3repE0EEENS1_30default_config_static_selectorELNS0_4arch9wavefront6targetE1EEEvT1_, .Lfunc_end839-_ZN7rocprim17ROCPRIM_400000_NS6detail17trampoline_kernelINS0_14default_configENS1_25partition_config_selectorILNS1_17partition_subalgoE8ElNS0_10empty_typeEbEEZZNS1_14partition_implILS5_8ELb0ES3_jPlPS6_PKS6_NS0_5tupleIJS9_S6_EEENSD_IJSA_SA_EEENS0_18inequality_wrapperIZN2at6native12_GLOBAL__N_124unique_dim_cuda_templateIdEESt5tupleIJNSH_6TensorESM_SM_EERKSM_lbbbEUlllE0_EEPmJS6_EEE10hipError_tPvRmT3_T4_T5_T6_T7_T9_mT8_P12ihipStream_tbDpT10_ENKUlT_T0_E_clISt17integral_constantIbLb0EES1B_IbLb1EEEEDaS17_S18_EUlS17_E_NS1_11comp_targetILNS1_3genE4ELNS1_11target_archE910ELNS1_3gpuE8ELNS1_3repE0EEENS1_30default_config_static_selectorELNS0_4arch9wavefront6targetE1EEEvT1_
                                        ; -- End function
	.section	.AMDGPU.csdata,"",@progbits
; Kernel info:
; codeLenInByte = 0
; NumSgprs: 6
; NumVgprs: 0
; NumAgprs: 0
; TotalNumVgprs: 0
; ScratchSize: 0
; MemoryBound: 0
; FloatMode: 240
; IeeeMode: 1
; LDSByteSize: 0 bytes/workgroup (compile time only)
; SGPRBlocks: 0
; VGPRBlocks: 0
; NumSGPRsForWavesPerEU: 6
; NumVGPRsForWavesPerEU: 1
; AccumOffset: 4
; Occupancy: 8
; WaveLimiterHint : 0
; COMPUTE_PGM_RSRC2:SCRATCH_EN: 0
; COMPUTE_PGM_RSRC2:USER_SGPR: 2
; COMPUTE_PGM_RSRC2:TRAP_HANDLER: 0
; COMPUTE_PGM_RSRC2:TGID_X_EN: 1
; COMPUTE_PGM_RSRC2:TGID_Y_EN: 0
; COMPUTE_PGM_RSRC2:TGID_Z_EN: 0
; COMPUTE_PGM_RSRC2:TIDIG_COMP_CNT: 0
; COMPUTE_PGM_RSRC3_GFX90A:ACCUM_OFFSET: 0
; COMPUTE_PGM_RSRC3_GFX90A:TG_SPLIT: 0
	.section	.text._ZN7rocprim17ROCPRIM_400000_NS6detail17trampoline_kernelINS0_14default_configENS1_25partition_config_selectorILNS1_17partition_subalgoE8ElNS0_10empty_typeEbEEZZNS1_14partition_implILS5_8ELb0ES3_jPlPS6_PKS6_NS0_5tupleIJS9_S6_EEENSD_IJSA_SA_EEENS0_18inequality_wrapperIZN2at6native12_GLOBAL__N_124unique_dim_cuda_templateIdEESt5tupleIJNSH_6TensorESM_SM_EERKSM_lbbbEUlllE0_EEPmJS6_EEE10hipError_tPvRmT3_T4_T5_T6_T7_T9_mT8_P12ihipStream_tbDpT10_ENKUlT_T0_E_clISt17integral_constantIbLb0EES1B_IbLb1EEEEDaS17_S18_EUlS17_E_NS1_11comp_targetILNS1_3genE3ELNS1_11target_archE908ELNS1_3gpuE7ELNS1_3repE0EEENS1_30default_config_static_selectorELNS0_4arch9wavefront6targetE1EEEvT1_,"axG",@progbits,_ZN7rocprim17ROCPRIM_400000_NS6detail17trampoline_kernelINS0_14default_configENS1_25partition_config_selectorILNS1_17partition_subalgoE8ElNS0_10empty_typeEbEEZZNS1_14partition_implILS5_8ELb0ES3_jPlPS6_PKS6_NS0_5tupleIJS9_S6_EEENSD_IJSA_SA_EEENS0_18inequality_wrapperIZN2at6native12_GLOBAL__N_124unique_dim_cuda_templateIdEESt5tupleIJNSH_6TensorESM_SM_EERKSM_lbbbEUlllE0_EEPmJS6_EEE10hipError_tPvRmT3_T4_T5_T6_T7_T9_mT8_P12ihipStream_tbDpT10_ENKUlT_T0_E_clISt17integral_constantIbLb0EES1B_IbLb1EEEEDaS17_S18_EUlS17_E_NS1_11comp_targetILNS1_3genE3ELNS1_11target_archE908ELNS1_3gpuE7ELNS1_3repE0EEENS1_30default_config_static_selectorELNS0_4arch9wavefront6targetE1EEEvT1_,comdat
	.globl	_ZN7rocprim17ROCPRIM_400000_NS6detail17trampoline_kernelINS0_14default_configENS1_25partition_config_selectorILNS1_17partition_subalgoE8ElNS0_10empty_typeEbEEZZNS1_14partition_implILS5_8ELb0ES3_jPlPS6_PKS6_NS0_5tupleIJS9_S6_EEENSD_IJSA_SA_EEENS0_18inequality_wrapperIZN2at6native12_GLOBAL__N_124unique_dim_cuda_templateIdEESt5tupleIJNSH_6TensorESM_SM_EERKSM_lbbbEUlllE0_EEPmJS6_EEE10hipError_tPvRmT3_T4_T5_T6_T7_T9_mT8_P12ihipStream_tbDpT10_ENKUlT_T0_E_clISt17integral_constantIbLb0EES1B_IbLb1EEEEDaS17_S18_EUlS17_E_NS1_11comp_targetILNS1_3genE3ELNS1_11target_archE908ELNS1_3gpuE7ELNS1_3repE0EEENS1_30default_config_static_selectorELNS0_4arch9wavefront6targetE1EEEvT1_ ; -- Begin function _ZN7rocprim17ROCPRIM_400000_NS6detail17trampoline_kernelINS0_14default_configENS1_25partition_config_selectorILNS1_17partition_subalgoE8ElNS0_10empty_typeEbEEZZNS1_14partition_implILS5_8ELb0ES3_jPlPS6_PKS6_NS0_5tupleIJS9_S6_EEENSD_IJSA_SA_EEENS0_18inequality_wrapperIZN2at6native12_GLOBAL__N_124unique_dim_cuda_templateIdEESt5tupleIJNSH_6TensorESM_SM_EERKSM_lbbbEUlllE0_EEPmJS6_EEE10hipError_tPvRmT3_T4_T5_T6_T7_T9_mT8_P12ihipStream_tbDpT10_ENKUlT_T0_E_clISt17integral_constantIbLb0EES1B_IbLb1EEEEDaS17_S18_EUlS17_E_NS1_11comp_targetILNS1_3genE3ELNS1_11target_archE908ELNS1_3gpuE7ELNS1_3repE0EEENS1_30default_config_static_selectorELNS0_4arch9wavefront6targetE1EEEvT1_
	.p2align	8
	.type	_ZN7rocprim17ROCPRIM_400000_NS6detail17trampoline_kernelINS0_14default_configENS1_25partition_config_selectorILNS1_17partition_subalgoE8ElNS0_10empty_typeEbEEZZNS1_14partition_implILS5_8ELb0ES3_jPlPS6_PKS6_NS0_5tupleIJS9_S6_EEENSD_IJSA_SA_EEENS0_18inequality_wrapperIZN2at6native12_GLOBAL__N_124unique_dim_cuda_templateIdEESt5tupleIJNSH_6TensorESM_SM_EERKSM_lbbbEUlllE0_EEPmJS6_EEE10hipError_tPvRmT3_T4_T5_T6_T7_T9_mT8_P12ihipStream_tbDpT10_ENKUlT_T0_E_clISt17integral_constantIbLb0EES1B_IbLb1EEEEDaS17_S18_EUlS17_E_NS1_11comp_targetILNS1_3genE3ELNS1_11target_archE908ELNS1_3gpuE7ELNS1_3repE0EEENS1_30default_config_static_selectorELNS0_4arch9wavefront6targetE1EEEvT1_,@function
_ZN7rocprim17ROCPRIM_400000_NS6detail17trampoline_kernelINS0_14default_configENS1_25partition_config_selectorILNS1_17partition_subalgoE8ElNS0_10empty_typeEbEEZZNS1_14partition_implILS5_8ELb0ES3_jPlPS6_PKS6_NS0_5tupleIJS9_S6_EEENSD_IJSA_SA_EEENS0_18inequality_wrapperIZN2at6native12_GLOBAL__N_124unique_dim_cuda_templateIdEESt5tupleIJNSH_6TensorESM_SM_EERKSM_lbbbEUlllE0_EEPmJS6_EEE10hipError_tPvRmT3_T4_T5_T6_T7_T9_mT8_P12ihipStream_tbDpT10_ENKUlT_T0_E_clISt17integral_constantIbLb0EES1B_IbLb1EEEEDaS17_S18_EUlS17_E_NS1_11comp_targetILNS1_3genE3ELNS1_11target_archE908ELNS1_3gpuE7ELNS1_3repE0EEENS1_30default_config_static_selectorELNS0_4arch9wavefront6targetE1EEEvT1_: ; @_ZN7rocprim17ROCPRIM_400000_NS6detail17trampoline_kernelINS0_14default_configENS1_25partition_config_selectorILNS1_17partition_subalgoE8ElNS0_10empty_typeEbEEZZNS1_14partition_implILS5_8ELb0ES3_jPlPS6_PKS6_NS0_5tupleIJS9_S6_EEENSD_IJSA_SA_EEENS0_18inequality_wrapperIZN2at6native12_GLOBAL__N_124unique_dim_cuda_templateIdEESt5tupleIJNSH_6TensorESM_SM_EERKSM_lbbbEUlllE0_EEPmJS6_EEE10hipError_tPvRmT3_T4_T5_T6_T7_T9_mT8_P12ihipStream_tbDpT10_ENKUlT_T0_E_clISt17integral_constantIbLb0EES1B_IbLb1EEEEDaS17_S18_EUlS17_E_NS1_11comp_targetILNS1_3genE3ELNS1_11target_archE908ELNS1_3gpuE7ELNS1_3repE0EEENS1_30default_config_static_selectorELNS0_4arch9wavefront6targetE1EEEvT1_
; %bb.0:
	.section	.rodata,"a",@progbits
	.p2align	6, 0x0
	.amdhsa_kernel _ZN7rocprim17ROCPRIM_400000_NS6detail17trampoline_kernelINS0_14default_configENS1_25partition_config_selectorILNS1_17partition_subalgoE8ElNS0_10empty_typeEbEEZZNS1_14partition_implILS5_8ELb0ES3_jPlPS6_PKS6_NS0_5tupleIJS9_S6_EEENSD_IJSA_SA_EEENS0_18inequality_wrapperIZN2at6native12_GLOBAL__N_124unique_dim_cuda_templateIdEESt5tupleIJNSH_6TensorESM_SM_EERKSM_lbbbEUlllE0_EEPmJS6_EEE10hipError_tPvRmT3_T4_T5_T6_T7_T9_mT8_P12ihipStream_tbDpT10_ENKUlT_T0_E_clISt17integral_constantIbLb0EES1B_IbLb1EEEEDaS17_S18_EUlS17_E_NS1_11comp_targetILNS1_3genE3ELNS1_11target_archE908ELNS1_3gpuE7ELNS1_3repE0EEENS1_30default_config_static_selectorELNS0_4arch9wavefront6targetE1EEEvT1_
		.amdhsa_group_segment_fixed_size 0
		.amdhsa_private_segment_fixed_size 0
		.amdhsa_kernarg_size 136
		.amdhsa_user_sgpr_count 2
		.amdhsa_user_sgpr_dispatch_ptr 0
		.amdhsa_user_sgpr_queue_ptr 0
		.amdhsa_user_sgpr_kernarg_segment_ptr 1
		.amdhsa_user_sgpr_dispatch_id 0
		.amdhsa_user_sgpr_kernarg_preload_length 0
		.amdhsa_user_sgpr_kernarg_preload_offset 0
		.amdhsa_user_sgpr_private_segment_size 0
		.amdhsa_uses_dynamic_stack 0
		.amdhsa_enable_private_segment 0
		.amdhsa_system_sgpr_workgroup_id_x 1
		.amdhsa_system_sgpr_workgroup_id_y 0
		.amdhsa_system_sgpr_workgroup_id_z 0
		.amdhsa_system_sgpr_workgroup_info 0
		.amdhsa_system_vgpr_workitem_id 0
		.amdhsa_next_free_vgpr 1
		.amdhsa_next_free_sgpr 0
		.amdhsa_accum_offset 4
		.amdhsa_reserve_vcc 0
		.amdhsa_float_round_mode_32 0
		.amdhsa_float_round_mode_16_64 0
		.amdhsa_float_denorm_mode_32 3
		.amdhsa_float_denorm_mode_16_64 3
		.amdhsa_dx10_clamp 1
		.amdhsa_ieee_mode 1
		.amdhsa_fp16_overflow 0
		.amdhsa_tg_split 0
		.amdhsa_exception_fp_ieee_invalid_op 0
		.amdhsa_exception_fp_denorm_src 0
		.amdhsa_exception_fp_ieee_div_zero 0
		.amdhsa_exception_fp_ieee_overflow 0
		.amdhsa_exception_fp_ieee_underflow 0
		.amdhsa_exception_fp_ieee_inexact 0
		.amdhsa_exception_int_div_zero 0
	.end_amdhsa_kernel
	.section	.text._ZN7rocprim17ROCPRIM_400000_NS6detail17trampoline_kernelINS0_14default_configENS1_25partition_config_selectorILNS1_17partition_subalgoE8ElNS0_10empty_typeEbEEZZNS1_14partition_implILS5_8ELb0ES3_jPlPS6_PKS6_NS0_5tupleIJS9_S6_EEENSD_IJSA_SA_EEENS0_18inequality_wrapperIZN2at6native12_GLOBAL__N_124unique_dim_cuda_templateIdEESt5tupleIJNSH_6TensorESM_SM_EERKSM_lbbbEUlllE0_EEPmJS6_EEE10hipError_tPvRmT3_T4_T5_T6_T7_T9_mT8_P12ihipStream_tbDpT10_ENKUlT_T0_E_clISt17integral_constantIbLb0EES1B_IbLb1EEEEDaS17_S18_EUlS17_E_NS1_11comp_targetILNS1_3genE3ELNS1_11target_archE908ELNS1_3gpuE7ELNS1_3repE0EEENS1_30default_config_static_selectorELNS0_4arch9wavefront6targetE1EEEvT1_,"axG",@progbits,_ZN7rocprim17ROCPRIM_400000_NS6detail17trampoline_kernelINS0_14default_configENS1_25partition_config_selectorILNS1_17partition_subalgoE8ElNS0_10empty_typeEbEEZZNS1_14partition_implILS5_8ELb0ES3_jPlPS6_PKS6_NS0_5tupleIJS9_S6_EEENSD_IJSA_SA_EEENS0_18inequality_wrapperIZN2at6native12_GLOBAL__N_124unique_dim_cuda_templateIdEESt5tupleIJNSH_6TensorESM_SM_EERKSM_lbbbEUlllE0_EEPmJS6_EEE10hipError_tPvRmT3_T4_T5_T6_T7_T9_mT8_P12ihipStream_tbDpT10_ENKUlT_T0_E_clISt17integral_constantIbLb0EES1B_IbLb1EEEEDaS17_S18_EUlS17_E_NS1_11comp_targetILNS1_3genE3ELNS1_11target_archE908ELNS1_3gpuE7ELNS1_3repE0EEENS1_30default_config_static_selectorELNS0_4arch9wavefront6targetE1EEEvT1_,comdat
.Lfunc_end840:
	.size	_ZN7rocprim17ROCPRIM_400000_NS6detail17trampoline_kernelINS0_14default_configENS1_25partition_config_selectorILNS1_17partition_subalgoE8ElNS0_10empty_typeEbEEZZNS1_14partition_implILS5_8ELb0ES3_jPlPS6_PKS6_NS0_5tupleIJS9_S6_EEENSD_IJSA_SA_EEENS0_18inequality_wrapperIZN2at6native12_GLOBAL__N_124unique_dim_cuda_templateIdEESt5tupleIJNSH_6TensorESM_SM_EERKSM_lbbbEUlllE0_EEPmJS6_EEE10hipError_tPvRmT3_T4_T5_T6_T7_T9_mT8_P12ihipStream_tbDpT10_ENKUlT_T0_E_clISt17integral_constantIbLb0EES1B_IbLb1EEEEDaS17_S18_EUlS17_E_NS1_11comp_targetILNS1_3genE3ELNS1_11target_archE908ELNS1_3gpuE7ELNS1_3repE0EEENS1_30default_config_static_selectorELNS0_4arch9wavefront6targetE1EEEvT1_, .Lfunc_end840-_ZN7rocprim17ROCPRIM_400000_NS6detail17trampoline_kernelINS0_14default_configENS1_25partition_config_selectorILNS1_17partition_subalgoE8ElNS0_10empty_typeEbEEZZNS1_14partition_implILS5_8ELb0ES3_jPlPS6_PKS6_NS0_5tupleIJS9_S6_EEENSD_IJSA_SA_EEENS0_18inequality_wrapperIZN2at6native12_GLOBAL__N_124unique_dim_cuda_templateIdEESt5tupleIJNSH_6TensorESM_SM_EERKSM_lbbbEUlllE0_EEPmJS6_EEE10hipError_tPvRmT3_T4_T5_T6_T7_T9_mT8_P12ihipStream_tbDpT10_ENKUlT_T0_E_clISt17integral_constantIbLb0EES1B_IbLb1EEEEDaS17_S18_EUlS17_E_NS1_11comp_targetILNS1_3genE3ELNS1_11target_archE908ELNS1_3gpuE7ELNS1_3repE0EEENS1_30default_config_static_selectorELNS0_4arch9wavefront6targetE1EEEvT1_
                                        ; -- End function
	.section	.AMDGPU.csdata,"",@progbits
; Kernel info:
; codeLenInByte = 0
; NumSgprs: 6
; NumVgprs: 0
; NumAgprs: 0
; TotalNumVgprs: 0
; ScratchSize: 0
; MemoryBound: 0
; FloatMode: 240
; IeeeMode: 1
; LDSByteSize: 0 bytes/workgroup (compile time only)
; SGPRBlocks: 0
; VGPRBlocks: 0
; NumSGPRsForWavesPerEU: 6
; NumVGPRsForWavesPerEU: 1
; AccumOffset: 4
; Occupancy: 8
; WaveLimiterHint : 0
; COMPUTE_PGM_RSRC2:SCRATCH_EN: 0
; COMPUTE_PGM_RSRC2:USER_SGPR: 2
; COMPUTE_PGM_RSRC2:TRAP_HANDLER: 0
; COMPUTE_PGM_RSRC2:TGID_X_EN: 1
; COMPUTE_PGM_RSRC2:TGID_Y_EN: 0
; COMPUTE_PGM_RSRC2:TGID_Z_EN: 0
; COMPUTE_PGM_RSRC2:TIDIG_COMP_CNT: 0
; COMPUTE_PGM_RSRC3_GFX90A:ACCUM_OFFSET: 0
; COMPUTE_PGM_RSRC3_GFX90A:TG_SPLIT: 0
	.section	.text._ZN7rocprim17ROCPRIM_400000_NS6detail17trampoline_kernelINS0_14default_configENS1_25partition_config_selectorILNS1_17partition_subalgoE8ElNS0_10empty_typeEbEEZZNS1_14partition_implILS5_8ELb0ES3_jPlPS6_PKS6_NS0_5tupleIJS9_S6_EEENSD_IJSA_SA_EEENS0_18inequality_wrapperIZN2at6native12_GLOBAL__N_124unique_dim_cuda_templateIdEESt5tupleIJNSH_6TensorESM_SM_EERKSM_lbbbEUlllE0_EEPmJS6_EEE10hipError_tPvRmT3_T4_T5_T6_T7_T9_mT8_P12ihipStream_tbDpT10_ENKUlT_T0_E_clISt17integral_constantIbLb0EES1B_IbLb1EEEEDaS17_S18_EUlS17_E_NS1_11comp_targetILNS1_3genE2ELNS1_11target_archE906ELNS1_3gpuE6ELNS1_3repE0EEENS1_30default_config_static_selectorELNS0_4arch9wavefront6targetE1EEEvT1_,"axG",@progbits,_ZN7rocprim17ROCPRIM_400000_NS6detail17trampoline_kernelINS0_14default_configENS1_25partition_config_selectorILNS1_17partition_subalgoE8ElNS0_10empty_typeEbEEZZNS1_14partition_implILS5_8ELb0ES3_jPlPS6_PKS6_NS0_5tupleIJS9_S6_EEENSD_IJSA_SA_EEENS0_18inequality_wrapperIZN2at6native12_GLOBAL__N_124unique_dim_cuda_templateIdEESt5tupleIJNSH_6TensorESM_SM_EERKSM_lbbbEUlllE0_EEPmJS6_EEE10hipError_tPvRmT3_T4_T5_T6_T7_T9_mT8_P12ihipStream_tbDpT10_ENKUlT_T0_E_clISt17integral_constantIbLb0EES1B_IbLb1EEEEDaS17_S18_EUlS17_E_NS1_11comp_targetILNS1_3genE2ELNS1_11target_archE906ELNS1_3gpuE6ELNS1_3repE0EEENS1_30default_config_static_selectorELNS0_4arch9wavefront6targetE1EEEvT1_,comdat
	.globl	_ZN7rocprim17ROCPRIM_400000_NS6detail17trampoline_kernelINS0_14default_configENS1_25partition_config_selectorILNS1_17partition_subalgoE8ElNS0_10empty_typeEbEEZZNS1_14partition_implILS5_8ELb0ES3_jPlPS6_PKS6_NS0_5tupleIJS9_S6_EEENSD_IJSA_SA_EEENS0_18inequality_wrapperIZN2at6native12_GLOBAL__N_124unique_dim_cuda_templateIdEESt5tupleIJNSH_6TensorESM_SM_EERKSM_lbbbEUlllE0_EEPmJS6_EEE10hipError_tPvRmT3_T4_T5_T6_T7_T9_mT8_P12ihipStream_tbDpT10_ENKUlT_T0_E_clISt17integral_constantIbLb0EES1B_IbLb1EEEEDaS17_S18_EUlS17_E_NS1_11comp_targetILNS1_3genE2ELNS1_11target_archE906ELNS1_3gpuE6ELNS1_3repE0EEENS1_30default_config_static_selectorELNS0_4arch9wavefront6targetE1EEEvT1_ ; -- Begin function _ZN7rocprim17ROCPRIM_400000_NS6detail17trampoline_kernelINS0_14default_configENS1_25partition_config_selectorILNS1_17partition_subalgoE8ElNS0_10empty_typeEbEEZZNS1_14partition_implILS5_8ELb0ES3_jPlPS6_PKS6_NS0_5tupleIJS9_S6_EEENSD_IJSA_SA_EEENS0_18inequality_wrapperIZN2at6native12_GLOBAL__N_124unique_dim_cuda_templateIdEESt5tupleIJNSH_6TensorESM_SM_EERKSM_lbbbEUlllE0_EEPmJS6_EEE10hipError_tPvRmT3_T4_T5_T6_T7_T9_mT8_P12ihipStream_tbDpT10_ENKUlT_T0_E_clISt17integral_constantIbLb0EES1B_IbLb1EEEEDaS17_S18_EUlS17_E_NS1_11comp_targetILNS1_3genE2ELNS1_11target_archE906ELNS1_3gpuE6ELNS1_3repE0EEENS1_30default_config_static_selectorELNS0_4arch9wavefront6targetE1EEEvT1_
	.p2align	8
	.type	_ZN7rocprim17ROCPRIM_400000_NS6detail17trampoline_kernelINS0_14default_configENS1_25partition_config_selectorILNS1_17partition_subalgoE8ElNS0_10empty_typeEbEEZZNS1_14partition_implILS5_8ELb0ES3_jPlPS6_PKS6_NS0_5tupleIJS9_S6_EEENSD_IJSA_SA_EEENS0_18inequality_wrapperIZN2at6native12_GLOBAL__N_124unique_dim_cuda_templateIdEESt5tupleIJNSH_6TensorESM_SM_EERKSM_lbbbEUlllE0_EEPmJS6_EEE10hipError_tPvRmT3_T4_T5_T6_T7_T9_mT8_P12ihipStream_tbDpT10_ENKUlT_T0_E_clISt17integral_constantIbLb0EES1B_IbLb1EEEEDaS17_S18_EUlS17_E_NS1_11comp_targetILNS1_3genE2ELNS1_11target_archE906ELNS1_3gpuE6ELNS1_3repE0EEENS1_30default_config_static_selectorELNS0_4arch9wavefront6targetE1EEEvT1_,@function
_ZN7rocprim17ROCPRIM_400000_NS6detail17trampoline_kernelINS0_14default_configENS1_25partition_config_selectorILNS1_17partition_subalgoE8ElNS0_10empty_typeEbEEZZNS1_14partition_implILS5_8ELb0ES3_jPlPS6_PKS6_NS0_5tupleIJS9_S6_EEENSD_IJSA_SA_EEENS0_18inequality_wrapperIZN2at6native12_GLOBAL__N_124unique_dim_cuda_templateIdEESt5tupleIJNSH_6TensorESM_SM_EERKSM_lbbbEUlllE0_EEPmJS6_EEE10hipError_tPvRmT3_T4_T5_T6_T7_T9_mT8_P12ihipStream_tbDpT10_ENKUlT_T0_E_clISt17integral_constantIbLb0EES1B_IbLb1EEEEDaS17_S18_EUlS17_E_NS1_11comp_targetILNS1_3genE2ELNS1_11target_archE906ELNS1_3gpuE6ELNS1_3repE0EEENS1_30default_config_static_selectorELNS0_4arch9wavefront6targetE1EEEvT1_: ; @_ZN7rocprim17ROCPRIM_400000_NS6detail17trampoline_kernelINS0_14default_configENS1_25partition_config_selectorILNS1_17partition_subalgoE8ElNS0_10empty_typeEbEEZZNS1_14partition_implILS5_8ELb0ES3_jPlPS6_PKS6_NS0_5tupleIJS9_S6_EEENSD_IJSA_SA_EEENS0_18inequality_wrapperIZN2at6native12_GLOBAL__N_124unique_dim_cuda_templateIdEESt5tupleIJNSH_6TensorESM_SM_EERKSM_lbbbEUlllE0_EEPmJS6_EEE10hipError_tPvRmT3_T4_T5_T6_T7_T9_mT8_P12ihipStream_tbDpT10_ENKUlT_T0_E_clISt17integral_constantIbLb0EES1B_IbLb1EEEEDaS17_S18_EUlS17_E_NS1_11comp_targetILNS1_3genE2ELNS1_11target_archE906ELNS1_3gpuE6ELNS1_3repE0EEENS1_30default_config_static_selectorELNS0_4arch9wavefront6targetE1EEEvT1_
; %bb.0:
	.section	.rodata,"a",@progbits
	.p2align	6, 0x0
	.amdhsa_kernel _ZN7rocprim17ROCPRIM_400000_NS6detail17trampoline_kernelINS0_14default_configENS1_25partition_config_selectorILNS1_17partition_subalgoE8ElNS0_10empty_typeEbEEZZNS1_14partition_implILS5_8ELb0ES3_jPlPS6_PKS6_NS0_5tupleIJS9_S6_EEENSD_IJSA_SA_EEENS0_18inequality_wrapperIZN2at6native12_GLOBAL__N_124unique_dim_cuda_templateIdEESt5tupleIJNSH_6TensorESM_SM_EERKSM_lbbbEUlllE0_EEPmJS6_EEE10hipError_tPvRmT3_T4_T5_T6_T7_T9_mT8_P12ihipStream_tbDpT10_ENKUlT_T0_E_clISt17integral_constantIbLb0EES1B_IbLb1EEEEDaS17_S18_EUlS17_E_NS1_11comp_targetILNS1_3genE2ELNS1_11target_archE906ELNS1_3gpuE6ELNS1_3repE0EEENS1_30default_config_static_selectorELNS0_4arch9wavefront6targetE1EEEvT1_
		.amdhsa_group_segment_fixed_size 0
		.amdhsa_private_segment_fixed_size 0
		.amdhsa_kernarg_size 136
		.amdhsa_user_sgpr_count 2
		.amdhsa_user_sgpr_dispatch_ptr 0
		.amdhsa_user_sgpr_queue_ptr 0
		.amdhsa_user_sgpr_kernarg_segment_ptr 1
		.amdhsa_user_sgpr_dispatch_id 0
		.amdhsa_user_sgpr_kernarg_preload_length 0
		.amdhsa_user_sgpr_kernarg_preload_offset 0
		.amdhsa_user_sgpr_private_segment_size 0
		.amdhsa_uses_dynamic_stack 0
		.amdhsa_enable_private_segment 0
		.amdhsa_system_sgpr_workgroup_id_x 1
		.amdhsa_system_sgpr_workgroup_id_y 0
		.amdhsa_system_sgpr_workgroup_id_z 0
		.amdhsa_system_sgpr_workgroup_info 0
		.amdhsa_system_vgpr_workitem_id 0
		.amdhsa_next_free_vgpr 1
		.amdhsa_next_free_sgpr 0
		.amdhsa_accum_offset 4
		.amdhsa_reserve_vcc 0
		.amdhsa_float_round_mode_32 0
		.amdhsa_float_round_mode_16_64 0
		.amdhsa_float_denorm_mode_32 3
		.amdhsa_float_denorm_mode_16_64 3
		.amdhsa_dx10_clamp 1
		.amdhsa_ieee_mode 1
		.amdhsa_fp16_overflow 0
		.amdhsa_tg_split 0
		.amdhsa_exception_fp_ieee_invalid_op 0
		.amdhsa_exception_fp_denorm_src 0
		.amdhsa_exception_fp_ieee_div_zero 0
		.amdhsa_exception_fp_ieee_overflow 0
		.amdhsa_exception_fp_ieee_underflow 0
		.amdhsa_exception_fp_ieee_inexact 0
		.amdhsa_exception_int_div_zero 0
	.end_amdhsa_kernel
	.section	.text._ZN7rocprim17ROCPRIM_400000_NS6detail17trampoline_kernelINS0_14default_configENS1_25partition_config_selectorILNS1_17partition_subalgoE8ElNS0_10empty_typeEbEEZZNS1_14partition_implILS5_8ELb0ES3_jPlPS6_PKS6_NS0_5tupleIJS9_S6_EEENSD_IJSA_SA_EEENS0_18inequality_wrapperIZN2at6native12_GLOBAL__N_124unique_dim_cuda_templateIdEESt5tupleIJNSH_6TensorESM_SM_EERKSM_lbbbEUlllE0_EEPmJS6_EEE10hipError_tPvRmT3_T4_T5_T6_T7_T9_mT8_P12ihipStream_tbDpT10_ENKUlT_T0_E_clISt17integral_constantIbLb0EES1B_IbLb1EEEEDaS17_S18_EUlS17_E_NS1_11comp_targetILNS1_3genE2ELNS1_11target_archE906ELNS1_3gpuE6ELNS1_3repE0EEENS1_30default_config_static_selectorELNS0_4arch9wavefront6targetE1EEEvT1_,"axG",@progbits,_ZN7rocprim17ROCPRIM_400000_NS6detail17trampoline_kernelINS0_14default_configENS1_25partition_config_selectorILNS1_17partition_subalgoE8ElNS0_10empty_typeEbEEZZNS1_14partition_implILS5_8ELb0ES3_jPlPS6_PKS6_NS0_5tupleIJS9_S6_EEENSD_IJSA_SA_EEENS0_18inequality_wrapperIZN2at6native12_GLOBAL__N_124unique_dim_cuda_templateIdEESt5tupleIJNSH_6TensorESM_SM_EERKSM_lbbbEUlllE0_EEPmJS6_EEE10hipError_tPvRmT3_T4_T5_T6_T7_T9_mT8_P12ihipStream_tbDpT10_ENKUlT_T0_E_clISt17integral_constantIbLb0EES1B_IbLb1EEEEDaS17_S18_EUlS17_E_NS1_11comp_targetILNS1_3genE2ELNS1_11target_archE906ELNS1_3gpuE6ELNS1_3repE0EEENS1_30default_config_static_selectorELNS0_4arch9wavefront6targetE1EEEvT1_,comdat
.Lfunc_end841:
	.size	_ZN7rocprim17ROCPRIM_400000_NS6detail17trampoline_kernelINS0_14default_configENS1_25partition_config_selectorILNS1_17partition_subalgoE8ElNS0_10empty_typeEbEEZZNS1_14partition_implILS5_8ELb0ES3_jPlPS6_PKS6_NS0_5tupleIJS9_S6_EEENSD_IJSA_SA_EEENS0_18inequality_wrapperIZN2at6native12_GLOBAL__N_124unique_dim_cuda_templateIdEESt5tupleIJNSH_6TensorESM_SM_EERKSM_lbbbEUlllE0_EEPmJS6_EEE10hipError_tPvRmT3_T4_T5_T6_T7_T9_mT8_P12ihipStream_tbDpT10_ENKUlT_T0_E_clISt17integral_constantIbLb0EES1B_IbLb1EEEEDaS17_S18_EUlS17_E_NS1_11comp_targetILNS1_3genE2ELNS1_11target_archE906ELNS1_3gpuE6ELNS1_3repE0EEENS1_30default_config_static_selectorELNS0_4arch9wavefront6targetE1EEEvT1_, .Lfunc_end841-_ZN7rocprim17ROCPRIM_400000_NS6detail17trampoline_kernelINS0_14default_configENS1_25partition_config_selectorILNS1_17partition_subalgoE8ElNS0_10empty_typeEbEEZZNS1_14partition_implILS5_8ELb0ES3_jPlPS6_PKS6_NS0_5tupleIJS9_S6_EEENSD_IJSA_SA_EEENS0_18inequality_wrapperIZN2at6native12_GLOBAL__N_124unique_dim_cuda_templateIdEESt5tupleIJNSH_6TensorESM_SM_EERKSM_lbbbEUlllE0_EEPmJS6_EEE10hipError_tPvRmT3_T4_T5_T6_T7_T9_mT8_P12ihipStream_tbDpT10_ENKUlT_T0_E_clISt17integral_constantIbLb0EES1B_IbLb1EEEEDaS17_S18_EUlS17_E_NS1_11comp_targetILNS1_3genE2ELNS1_11target_archE906ELNS1_3gpuE6ELNS1_3repE0EEENS1_30default_config_static_selectorELNS0_4arch9wavefront6targetE1EEEvT1_
                                        ; -- End function
	.section	.AMDGPU.csdata,"",@progbits
; Kernel info:
; codeLenInByte = 0
; NumSgprs: 6
; NumVgprs: 0
; NumAgprs: 0
; TotalNumVgprs: 0
; ScratchSize: 0
; MemoryBound: 0
; FloatMode: 240
; IeeeMode: 1
; LDSByteSize: 0 bytes/workgroup (compile time only)
; SGPRBlocks: 0
; VGPRBlocks: 0
; NumSGPRsForWavesPerEU: 6
; NumVGPRsForWavesPerEU: 1
; AccumOffset: 4
; Occupancy: 8
; WaveLimiterHint : 0
; COMPUTE_PGM_RSRC2:SCRATCH_EN: 0
; COMPUTE_PGM_RSRC2:USER_SGPR: 2
; COMPUTE_PGM_RSRC2:TRAP_HANDLER: 0
; COMPUTE_PGM_RSRC2:TGID_X_EN: 1
; COMPUTE_PGM_RSRC2:TGID_Y_EN: 0
; COMPUTE_PGM_RSRC2:TGID_Z_EN: 0
; COMPUTE_PGM_RSRC2:TIDIG_COMP_CNT: 0
; COMPUTE_PGM_RSRC3_GFX90A:ACCUM_OFFSET: 0
; COMPUTE_PGM_RSRC3_GFX90A:TG_SPLIT: 0
	.section	.text._ZN7rocprim17ROCPRIM_400000_NS6detail17trampoline_kernelINS0_14default_configENS1_25partition_config_selectorILNS1_17partition_subalgoE8ElNS0_10empty_typeEbEEZZNS1_14partition_implILS5_8ELb0ES3_jPlPS6_PKS6_NS0_5tupleIJS9_S6_EEENSD_IJSA_SA_EEENS0_18inequality_wrapperIZN2at6native12_GLOBAL__N_124unique_dim_cuda_templateIdEESt5tupleIJNSH_6TensorESM_SM_EERKSM_lbbbEUlllE0_EEPmJS6_EEE10hipError_tPvRmT3_T4_T5_T6_T7_T9_mT8_P12ihipStream_tbDpT10_ENKUlT_T0_E_clISt17integral_constantIbLb0EES1B_IbLb1EEEEDaS17_S18_EUlS17_E_NS1_11comp_targetILNS1_3genE10ELNS1_11target_archE1200ELNS1_3gpuE4ELNS1_3repE0EEENS1_30default_config_static_selectorELNS0_4arch9wavefront6targetE1EEEvT1_,"axG",@progbits,_ZN7rocprim17ROCPRIM_400000_NS6detail17trampoline_kernelINS0_14default_configENS1_25partition_config_selectorILNS1_17partition_subalgoE8ElNS0_10empty_typeEbEEZZNS1_14partition_implILS5_8ELb0ES3_jPlPS6_PKS6_NS0_5tupleIJS9_S6_EEENSD_IJSA_SA_EEENS0_18inequality_wrapperIZN2at6native12_GLOBAL__N_124unique_dim_cuda_templateIdEESt5tupleIJNSH_6TensorESM_SM_EERKSM_lbbbEUlllE0_EEPmJS6_EEE10hipError_tPvRmT3_T4_T5_T6_T7_T9_mT8_P12ihipStream_tbDpT10_ENKUlT_T0_E_clISt17integral_constantIbLb0EES1B_IbLb1EEEEDaS17_S18_EUlS17_E_NS1_11comp_targetILNS1_3genE10ELNS1_11target_archE1200ELNS1_3gpuE4ELNS1_3repE0EEENS1_30default_config_static_selectorELNS0_4arch9wavefront6targetE1EEEvT1_,comdat
	.globl	_ZN7rocprim17ROCPRIM_400000_NS6detail17trampoline_kernelINS0_14default_configENS1_25partition_config_selectorILNS1_17partition_subalgoE8ElNS0_10empty_typeEbEEZZNS1_14partition_implILS5_8ELb0ES3_jPlPS6_PKS6_NS0_5tupleIJS9_S6_EEENSD_IJSA_SA_EEENS0_18inequality_wrapperIZN2at6native12_GLOBAL__N_124unique_dim_cuda_templateIdEESt5tupleIJNSH_6TensorESM_SM_EERKSM_lbbbEUlllE0_EEPmJS6_EEE10hipError_tPvRmT3_T4_T5_T6_T7_T9_mT8_P12ihipStream_tbDpT10_ENKUlT_T0_E_clISt17integral_constantIbLb0EES1B_IbLb1EEEEDaS17_S18_EUlS17_E_NS1_11comp_targetILNS1_3genE10ELNS1_11target_archE1200ELNS1_3gpuE4ELNS1_3repE0EEENS1_30default_config_static_selectorELNS0_4arch9wavefront6targetE1EEEvT1_ ; -- Begin function _ZN7rocprim17ROCPRIM_400000_NS6detail17trampoline_kernelINS0_14default_configENS1_25partition_config_selectorILNS1_17partition_subalgoE8ElNS0_10empty_typeEbEEZZNS1_14partition_implILS5_8ELb0ES3_jPlPS6_PKS6_NS0_5tupleIJS9_S6_EEENSD_IJSA_SA_EEENS0_18inequality_wrapperIZN2at6native12_GLOBAL__N_124unique_dim_cuda_templateIdEESt5tupleIJNSH_6TensorESM_SM_EERKSM_lbbbEUlllE0_EEPmJS6_EEE10hipError_tPvRmT3_T4_T5_T6_T7_T9_mT8_P12ihipStream_tbDpT10_ENKUlT_T0_E_clISt17integral_constantIbLb0EES1B_IbLb1EEEEDaS17_S18_EUlS17_E_NS1_11comp_targetILNS1_3genE10ELNS1_11target_archE1200ELNS1_3gpuE4ELNS1_3repE0EEENS1_30default_config_static_selectorELNS0_4arch9wavefront6targetE1EEEvT1_
	.p2align	8
	.type	_ZN7rocprim17ROCPRIM_400000_NS6detail17trampoline_kernelINS0_14default_configENS1_25partition_config_selectorILNS1_17partition_subalgoE8ElNS0_10empty_typeEbEEZZNS1_14partition_implILS5_8ELb0ES3_jPlPS6_PKS6_NS0_5tupleIJS9_S6_EEENSD_IJSA_SA_EEENS0_18inequality_wrapperIZN2at6native12_GLOBAL__N_124unique_dim_cuda_templateIdEESt5tupleIJNSH_6TensorESM_SM_EERKSM_lbbbEUlllE0_EEPmJS6_EEE10hipError_tPvRmT3_T4_T5_T6_T7_T9_mT8_P12ihipStream_tbDpT10_ENKUlT_T0_E_clISt17integral_constantIbLb0EES1B_IbLb1EEEEDaS17_S18_EUlS17_E_NS1_11comp_targetILNS1_3genE10ELNS1_11target_archE1200ELNS1_3gpuE4ELNS1_3repE0EEENS1_30default_config_static_selectorELNS0_4arch9wavefront6targetE1EEEvT1_,@function
_ZN7rocprim17ROCPRIM_400000_NS6detail17trampoline_kernelINS0_14default_configENS1_25partition_config_selectorILNS1_17partition_subalgoE8ElNS0_10empty_typeEbEEZZNS1_14partition_implILS5_8ELb0ES3_jPlPS6_PKS6_NS0_5tupleIJS9_S6_EEENSD_IJSA_SA_EEENS0_18inequality_wrapperIZN2at6native12_GLOBAL__N_124unique_dim_cuda_templateIdEESt5tupleIJNSH_6TensorESM_SM_EERKSM_lbbbEUlllE0_EEPmJS6_EEE10hipError_tPvRmT3_T4_T5_T6_T7_T9_mT8_P12ihipStream_tbDpT10_ENKUlT_T0_E_clISt17integral_constantIbLb0EES1B_IbLb1EEEEDaS17_S18_EUlS17_E_NS1_11comp_targetILNS1_3genE10ELNS1_11target_archE1200ELNS1_3gpuE4ELNS1_3repE0EEENS1_30default_config_static_selectorELNS0_4arch9wavefront6targetE1EEEvT1_: ; @_ZN7rocprim17ROCPRIM_400000_NS6detail17trampoline_kernelINS0_14default_configENS1_25partition_config_selectorILNS1_17partition_subalgoE8ElNS0_10empty_typeEbEEZZNS1_14partition_implILS5_8ELb0ES3_jPlPS6_PKS6_NS0_5tupleIJS9_S6_EEENSD_IJSA_SA_EEENS0_18inequality_wrapperIZN2at6native12_GLOBAL__N_124unique_dim_cuda_templateIdEESt5tupleIJNSH_6TensorESM_SM_EERKSM_lbbbEUlllE0_EEPmJS6_EEE10hipError_tPvRmT3_T4_T5_T6_T7_T9_mT8_P12ihipStream_tbDpT10_ENKUlT_T0_E_clISt17integral_constantIbLb0EES1B_IbLb1EEEEDaS17_S18_EUlS17_E_NS1_11comp_targetILNS1_3genE10ELNS1_11target_archE1200ELNS1_3gpuE4ELNS1_3repE0EEENS1_30default_config_static_selectorELNS0_4arch9wavefront6targetE1EEEvT1_
; %bb.0:
	.section	.rodata,"a",@progbits
	.p2align	6, 0x0
	.amdhsa_kernel _ZN7rocprim17ROCPRIM_400000_NS6detail17trampoline_kernelINS0_14default_configENS1_25partition_config_selectorILNS1_17partition_subalgoE8ElNS0_10empty_typeEbEEZZNS1_14partition_implILS5_8ELb0ES3_jPlPS6_PKS6_NS0_5tupleIJS9_S6_EEENSD_IJSA_SA_EEENS0_18inequality_wrapperIZN2at6native12_GLOBAL__N_124unique_dim_cuda_templateIdEESt5tupleIJNSH_6TensorESM_SM_EERKSM_lbbbEUlllE0_EEPmJS6_EEE10hipError_tPvRmT3_T4_T5_T6_T7_T9_mT8_P12ihipStream_tbDpT10_ENKUlT_T0_E_clISt17integral_constantIbLb0EES1B_IbLb1EEEEDaS17_S18_EUlS17_E_NS1_11comp_targetILNS1_3genE10ELNS1_11target_archE1200ELNS1_3gpuE4ELNS1_3repE0EEENS1_30default_config_static_selectorELNS0_4arch9wavefront6targetE1EEEvT1_
		.amdhsa_group_segment_fixed_size 0
		.amdhsa_private_segment_fixed_size 0
		.amdhsa_kernarg_size 136
		.amdhsa_user_sgpr_count 2
		.amdhsa_user_sgpr_dispatch_ptr 0
		.amdhsa_user_sgpr_queue_ptr 0
		.amdhsa_user_sgpr_kernarg_segment_ptr 1
		.amdhsa_user_sgpr_dispatch_id 0
		.amdhsa_user_sgpr_kernarg_preload_length 0
		.amdhsa_user_sgpr_kernarg_preload_offset 0
		.amdhsa_user_sgpr_private_segment_size 0
		.amdhsa_uses_dynamic_stack 0
		.amdhsa_enable_private_segment 0
		.amdhsa_system_sgpr_workgroup_id_x 1
		.amdhsa_system_sgpr_workgroup_id_y 0
		.amdhsa_system_sgpr_workgroup_id_z 0
		.amdhsa_system_sgpr_workgroup_info 0
		.amdhsa_system_vgpr_workitem_id 0
		.amdhsa_next_free_vgpr 1
		.amdhsa_next_free_sgpr 0
		.amdhsa_accum_offset 4
		.amdhsa_reserve_vcc 0
		.amdhsa_float_round_mode_32 0
		.amdhsa_float_round_mode_16_64 0
		.amdhsa_float_denorm_mode_32 3
		.amdhsa_float_denorm_mode_16_64 3
		.amdhsa_dx10_clamp 1
		.amdhsa_ieee_mode 1
		.amdhsa_fp16_overflow 0
		.amdhsa_tg_split 0
		.amdhsa_exception_fp_ieee_invalid_op 0
		.amdhsa_exception_fp_denorm_src 0
		.amdhsa_exception_fp_ieee_div_zero 0
		.amdhsa_exception_fp_ieee_overflow 0
		.amdhsa_exception_fp_ieee_underflow 0
		.amdhsa_exception_fp_ieee_inexact 0
		.amdhsa_exception_int_div_zero 0
	.end_amdhsa_kernel
	.section	.text._ZN7rocprim17ROCPRIM_400000_NS6detail17trampoline_kernelINS0_14default_configENS1_25partition_config_selectorILNS1_17partition_subalgoE8ElNS0_10empty_typeEbEEZZNS1_14partition_implILS5_8ELb0ES3_jPlPS6_PKS6_NS0_5tupleIJS9_S6_EEENSD_IJSA_SA_EEENS0_18inequality_wrapperIZN2at6native12_GLOBAL__N_124unique_dim_cuda_templateIdEESt5tupleIJNSH_6TensorESM_SM_EERKSM_lbbbEUlllE0_EEPmJS6_EEE10hipError_tPvRmT3_T4_T5_T6_T7_T9_mT8_P12ihipStream_tbDpT10_ENKUlT_T0_E_clISt17integral_constantIbLb0EES1B_IbLb1EEEEDaS17_S18_EUlS17_E_NS1_11comp_targetILNS1_3genE10ELNS1_11target_archE1200ELNS1_3gpuE4ELNS1_3repE0EEENS1_30default_config_static_selectorELNS0_4arch9wavefront6targetE1EEEvT1_,"axG",@progbits,_ZN7rocprim17ROCPRIM_400000_NS6detail17trampoline_kernelINS0_14default_configENS1_25partition_config_selectorILNS1_17partition_subalgoE8ElNS0_10empty_typeEbEEZZNS1_14partition_implILS5_8ELb0ES3_jPlPS6_PKS6_NS0_5tupleIJS9_S6_EEENSD_IJSA_SA_EEENS0_18inequality_wrapperIZN2at6native12_GLOBAL__N_124unique_dim_cuda_templateIdEESt5tupleIJNSH_6TensorESM_SM_EERKSM_lbbbEUlllE0_EEPmJS6_EEE10hipError_tPvRmT3_T4_T5_T6_T7_T9_mT8_P12ihipStream_tbDpT10_ENKUlT_T0_E_clISt17integral_constantIbLb0EES1B_IbLb1EEEEDaS17_S18_EUlS17_E_NS1_11comp_targetILNS1_3genE10ELNS1_11target_archE1200ELNS1_3gpuE4ELNS1_3repE0EEENS1_30default_config_static_selectorELNS0_4arch9wavefront6targetE1EEEvT1_,comdat
.Lfunc_end842:
	.size	_ZN7rocprim17ROCPRIM_400000_NS6detail17trampoline_kernelINS0_14default_configENS1_25partition_config_selectorILNS1_17partition_subalgoE8ElNS0_10empty_typeEbEEZZNS1_14partition_implILS5_8ELb0ES3_jPlPS6_PKS6_NS0_5tupleIJS9_S6_EEENSD_IJSA_SA_EEENS0_18inequality_wrapperIZN2at6native12_GLOBAL__N_124unique_dim_cuda_templateIdEESt5tupleIJNSH_6TensorESM_SM_EERKSM_lbbbEUlllE0_EEPmJS6_EEE10hipError_tPvRmT3_T4_T5_T6_T7_T9_mT8_P12ihipStream_tbDpT10_ENKUlT_T0_E_clISt17integral_constantIbLb0EES1B_IbLb1EEEEDaS17_S18_EUlS17_E_NS1_11comp_targetILNS1_3genE10ELNS1_11target_archE1200ELNS1_3gpuE4ELNS1_3repE0EEENS1_30default_config_static_selectorELNS0_4arch9wavefront6targetE1EEEvT1_, .Lfunc_end842-_ZN7rocprim17ROCPRIM_400000_NS6detail17trampoline_kernelINS0_14default_configENS1_25partition_config_selectorILNS1_17partition_subalgoE8ElNS0_10empty_typeEbEEZZNS1_14partition_implILS5_8ELb0ES3_jPlPS6_PKS6_NS0_5tupleIJS9_S6_EEENSD_IJSA_SA_EEENS0_18inequality_wrapperIZN2at6native12_GLOBAL__N_124unique_dim_cuda_templateIdEESt5tupleIJNSH_6TensorESM_SM_EERKSM_lbbbEUlllE0_EEPmJS6_EEE10hipError_tPvRmT3_T4_T5_T6_T7_T9_mT8_P12ihipStream_tbDpT10_ENKUlT_T0_E_clISt17integral_constantIbLb0EES1B_IbLb1EEEEDaS17_S18_EUlS17_E_NS1_11comp_targetILNS1_3genE10ELNS1_11target_archE1200ELNS1_3gpuE4ELNS1_3repE0EEENS1_30default_config_static_selectorELNS0_4arch9wavefront6targetE1EEEvT1_
                                        ; -- End function
	.section	.AMDGPU.csdata,"",@progbits
; Kernel info:
; codeLenInByte = 0
; NumSgprs: 6
; NumVgprs: 0
; NumAgprs: 0
; TotalNumVgprs: 0
; ScratchSize: 0
; MemoryBound: 0
; FloatMode: 240
; IeeeMode: 1
; LDSByteSize: 0 bytes/workgroup (compile time only)
; SGPRBlocks: 0
; VGPRBlocks: 0
; NumSGPRsForWavesPerEU: 6
; NumVGPRsForWavesPerEU: 1
; AccumOffset: 4
; Occupancy: 8
; WaveLimiterHint : 0
; COMPUTE_PGM_RSRC2:SCRATCH_EN: 0
; COMPUTE_PGM_RSRC2:USER_SGPR: 2
; COMPUTE_PGM_RSRC2:TRAP_HANDLER: 0
; COMPUTE_PGM_RSRC2:TGID_X_EN: 1
; COMPUTE_PGM_RSRC2:TGID_Y_EN: 0
; COMPUTE_PGM_RSRC2:TGID_Z_EN: 0
; COMPUTE_PGM_RSRC2:TIDIG_COMP_CNT: 0
; COMPUTE_PGM_RSRC3_GFX90A:ACCUM_OFFSET: 0
; COMPUTE_PGM_RSRC3_GFX90A:TG_SPLIT: 0
	.section	.text._ZN7rocprim17ROCPRIM_400000_NS6detail17trampoline_kernelINS0_14default_configENS1_25partition_config_selectorILNS1_17partition_subalgoE8ElNS0_10empty_typeEbEEZZNS1_14partition_implILS5_8ELb0ES3_jPlPS6_PKS6_NS0_5tupleIJS9_S6_EEENSD_IJSA_SA_EEENS0_18inequality_wrapperIZN2at6native12_GLOBAL__N_124unique_dim_cuda_templateIdEESt5tupleIJNSH_6TensorESM_SM_EERKSM_lbbbEUlllE0_EEPmJS6_EEE10hipError_tPvRmT3_T4_T5_T6_T7_T9_mT8_P12ihipStream_tbDpT10_ENKUlT_T0_E_clISt17integral_constantIbLb0EES1B_IbLb1EEEEDaS17_S18_EUlS17_E_NS1_11comp_targetILNS1_3genE9ELNS1_11target_archE1100ELNS1_3gpuE3ELNS1_3repE0EEENS1_30default_config_static_selectorELNS0_4arch9wavefront6targetE1EEEvT1_,"axG",@progbits,_ZN7rocprim17ROCPRIM_400000_NS6detail17trampoline_kernelINS0_14default_configENS1_25partition_config_selectorILNS1_17partition_subalgoE8ElNS0_10empty_typeEbEEZZNS1_14partition_implILS5_8ELb0ES3_jPlPS6_PKS6_NS0_5tupleIJS9_S6_EEENSD_IJSA_SA_EEENS0_18inequality_wrapperIZN2at6native12_GLOBAL__N_124unique_dim_cuda_templateIdEESt5tupleIJNSH_6TensorESM_SM_EERKSM_lbbbEUlllE0_EEPmJS6_EEE10hipError_tPvRmT3_T4_T5_T6_T7_T9_mT8_P12ihipStream_tbDpT10_ENKUlT_T0_E_clISt17integral_constantIbLb0EES1B_IbLb1EEEEDaS17_S18_EUlS17_E_NS1_11comp_targetILNS1_3genE9ELNS1_11target_archE1100ELNS1_3gpuE3ELNS1_3repE0EEENS1_30default_config_static_selectorELNS0_4arch9wavefront6targetE1EEEvT1_,comdat
	.globl	_ZN7rocprim17ROCPRIM_400000_NS6detail17trampoline_kernelINS0_14default_configENS1_25partition_config_selectorILNS1_17partition_subalgoE8ElNS0_10empty_typeEbEEZZNS1_14partition_implILS5_8ELb0ES3_jPlPS6_PKS6_NS0_5tupleIJS9_S6_EEENSD_IJSA_SA_EEENS0_18inequality_wrapperIZN2at6native12_GLOBAL__N_124unique_dim_cuda_templateIdEESt5tupleIJNSH_6TensorESM_SM_EERKSM_lbbbEUlllE0_EEPmJS6_EEE10hipError_tPvRmT3_T4_T5_T6_T7_T9_mT8_P12ihipStream_tbDpT10_ENKUlT_T0_E_clISt17integral_constantIbLb0EES1B_IbLb1EEEEDaS17_S18_EUlS17_E_NS1_11comp_targetILNS1_3genE9ELNS1_11target_archE1100ELNS1_3gpuE3ELNS1_3repE0EEENS1_30default_config_static_selectorELNS0_4arch9wavefront6targetE1EEEvT1_ ; -- Begin function _ZN7rocprim17ROCPRIM_400000_NS6detail17trampoline_kernelINS0_14default_configENS1_25partition_config_selectorILNS1_17partition_subalgoE8ElNS0_10empty_typeEbEEZZNS1_14partition_implILS5_8ELb0ES3_jPlPS6_PKS6_NS0_5tupleIJS9_S6_EEENSD_IJSA_SA_EEENS0_18inequality_wrapperIZN2at6native12_GLOBAL__N_124unique_dim_cuda_templateIdEESt5tupleIJNSH_6TensorESM_SM_EERKSM_lbbbEUlllE0_EEPmJS6_EEE10hipError_tPvRmT3_T4_T5_T6_T7_T9_mT8_P12ihipStream_tbDpT10_ENKUlT_T0_E_clISt17integral_constantIbLb0EES1B_IbLb1EEEEDaS17_S18_EUlS17_E_NS1_11comp_targetILNS1_3genE9ELNS1_11target_archE1100ELNS1_3gpuE3ELNS1_3repE0EEENS1_30default_config_static_selectorELNS0_4arch9wavefront6targetE1EEEvT1_
	.p2align	8
	.type	_ZN7rocprim17ROCPRIM_400000_NS6detail17trampoline_kernelINS0_14default_configENS1_25partition_config_selectorILNS1_17partition_subalgoE8ElNS0_10empty_typeEbEEZZNS1_14partition_implILS5_8ELb0ES3_jPlPS6_PKS6_NS0_5tupleIJS9_S6_EEENSD_IJSA_SA_EEENS0_18inequality_wrapperIZN2at6native12_GLOBAL__N_124unique_dim_cuda_templateIdEESt5tupleIJNSH_6TensorESM_SM_EERKSM_lbbbEUlllE0_EEPmJS6_EEE10hipError_tPvRmT3_T4_T5_T6_T7_T9_mT8_P12ihipStream_tbDpT10_ENKUlT_T0_E_clISt17integral_constantIbLb0EES1B_IbLb1EEEEDaS17_S18_EUlS17_E_NS1_11comp_targetILNS1_3genE9ELNS1_11target_archE1100ELNS1_3gpuE3ELNS1_3repE0EEENS1_30default_config_static_selectorELNS0_4arch9wavefront6targetE1EEEvT1_,@function
_ZN7rocprim17ROCPRIM_400000_NS6detail17trampoline_kernelINS0_14default_configENS1_25partition_config_selectorILNS1_17partition_subalgoE8ElNS0_10empty_typeEbEEZZNS1_14partition_implILS5_8ELb0ES3_jPlPS6_PKS6_NS0_5tupleIJS9_S6_EEENSD_IJSA_SA_EEENS0_18inequality_wrapperIZN2at6native12_GLOBAL__N_124unique_dim_cuda_templateIdEESt5tupleIJNSH_6TensorESM_SM_EERKSM_lbbbEUlllE0_EEPmJS6_EEE10hipError_tPvRmT3_T4_T5_T6_T7_T9_mT8_P12ihipStream_tbDpT10_ENKUlT_T0_E_clISt17integral_constantIbLb0EES1B_IbLb1EEEEDaS17_S18_EUlS17_E_NS1_11comp_targetILNS1_3genE9ELNS1_11target_archE1100ELNS1_3gpuE3ELNS1_3repE0EEENS1_30default_config_static_selectorELNS0_4arch9wavefront6targetE1EEEvT1_: ; @_ZN7rocprim17ROCPRIM_400000_NS6detail17trampoline_kernelINS0_14default_configENS1_25partition_config_selectorILNS1_17partition_subalgoE8ElNS0_10empty_typeEbEEZZNS1_14partition_implILS5_8ELb0ES3_jPlPS6_PKS6_NS0_5tupleIJS9_S6_EEENSD_IJSA_SA_EEENS0_18inequality_wrapperIZN2at6native12_GLOBAL__N_124unique_dim_cuda_templateIdEESt5tupleIJNSH_6TensorESM_SM_EERKSM_lbbbEUlllE0_EEPmJS6_EEE10hipError_tPvRmT3_T4_T5_T6_T7_T9_mT8_P12ihipStream_tbDpT10_ENKUlT_T0_E_clISt17integral_constantIbLb0EES1B_IbLb1EEEEDaS17_S18_EUlS17_E_NS1_11comp_targetILNS1_3genE9ELNS1_11target_archE1100ELNS1_3gpuE3ELNS1_3repE0EEENS1_30default_config_static_selectorELNS0_4arch9wavefront6targetE1EEEvT1_
; %bb.0:
	.section	.rodata,"a",@progbits
	.p2align	6, 0x0
	.amdhsa_kernel _ZN7rocprim17ROCPRIM_400000_NS6detail17trampoline_kernelINS0_14default_configENS1_25partition_config_selectorILNS1_17partition_subalgoE8ElNS0_10empty_typeEbEEZZNS1_14partition_implILS5_8ELb0ES3_jPlPS6_PKS6_NS0_5tupleIJS9_S6_EEENSD_IJSA_SA_EEENS0_18inequality_wrapperIZN2at6native12_GLOBAL__N_124unique_dim_cuda_templateIdEESt5tupleIJNSH_6TensorESM_SM_EERKSM_lbbbEUlllE0_EEPmJS6_EEE10hipError_tPvRmT3_T4_T5_T6_T7_T9_mT8_P12ihipStream_tbDpT10_ENKUlT_T0_E_clISt17integral_constantIbLb0EES1B_IbLb1EEEEDaS17_S18_EUlS17_E_NS1_11comp_targetILNS1_3genE9ELNS1_11target_archE1100ELNS1_3gpuE3ELNS1_3repE0EEENS1_30default_config_static_selectorELNS0_4arch9wavefront6targetE1EEEvT1_
		.amdhsa_group_segment_fixed_size 0
		.amdhsa_private_segment_fixed_size 0
		.amdhsa_kernarg_size 136
		.amdhsa_user_sgpr_count 2
		.amdhsa_user_sgpr_dispatch_ptr 0
		.amdhsa_user_sgpr_queue_ptr 0
		.amdhsa_user_sgpr_kernarg_segment_ptr 1
		.amdhsa_user_sgpr_dispatch_id 0
		.amdhsa_user_sgpr_kernarg_preload_length 0
		.amdhsa_user_sgpr_kernarg_preload_offset 0
		.amdhsa_user_sgpr_private_segment_size 0
		.amdhsa_uses_dynamic_stack 0
		.amdhsa_enable_private_segment 0
		.amdhsa_system_sgpr_workgroup_id_x 1
		.amdhsa_system_sgpr_workgroup_id_y 0
		.amdhsa_system_sgpr_workgroup_id_z 0
		.amdhsa_system_sgpr_workgroup_info 0
		.amdhsa_system_vgpr_workitem_id 0
		.amdhsa_next_free_vgpr 1
		.amdhsa_next_free_sgpr 0
		.amdhsa_accum_offset 4
		.amdhsa_reserve_vcc 0
		.amdhsa_float_round_mode_32 0
		.amdhsa_float_round_mode_16_64 0
		.amdhsa_float_denorm_mode_32 3
		.amdhsa_float_denorm_mode_16_64 3
		.amdhsa_dx10_clamp 1
		.amdhsa_ieee_mode 1
		.amdhsa_fp16_overflow 0
		.amdhsa_tg_split 0
		.amdhsa_exception_fp_ieee_invalid_op 0
		.amdhsa_exception_fp_denorm_src 0
		.amdhsa_exception_fp_ieee_div_zero 0
		.amdhsa_exception_fp_ieee_overflow 0
		.amdhsa_exception_fp_ieee_underflow 0
		.amdhsa_exception_fp_ieee_inexact 0
		.amdhsa_exception_int_div_zero 0
	.end_amdhsa_kernel
	.section	.text._ZN7rocprim17ROCPRIM_400000_NS6detail17trampoline_kernelINS0_14default_configENS1_25partition_config_selectorILNS1_17partition_subalgoE8ElNS0_10empty_typeEbEEZZNS1_14partition_implILS5_8ELb0ES3_jPlPS6_PKS6_NS0_5tupleIJS9_S6_EEENSD_IJSA_SA_EEENS0_18inequality_wrapperIZN2at6native12_GLOBAL__N_124unique_dim_cuda_templateIdEESt5tupleIJNSH_6TensorESM_SM_EERKSM_lbbbEUlllE0_EEPmJS6_EEE10hipError_tPvRmT3_T4_T5_T6_T7_T9_mT8_P12ihipStream_tbDpT10_ENKUlT_T0_E_clISt17integral_constantIbLb0EES1B_IbLb1EEEEDaS17_S18_EUlS17_E_NS1_11comp_targetILNS1_3genE9ELNS1_11target_archE1100ELNS1_3gpuE3ELNS1_3repE0EEENS1_30default_config_static_selectorELNS0_4arch9wavefront6targetE1EEEvT1_,"axG",@progbits,_ZN7rocprim17ROCPRIM_400000_NS6detail17trampoline_kernelINS0_14default_configENS1_25partition_config_selectorILNS1_17partition_subalgoE8ElNS0_10empty_typeEbEEZZNS1_14partition_implILS5_8ELb0ES3_jPlPS6_PKS6_NS0_5tupleIJS9_S6_EEENSD_IJSA_SA_EEENS0_18inequality_wrapperIZN2at6native12_GLOBAL__N_124unique_dim_cuda_templateIdEESt5tupleIJNSH_6TensorESM_SM_EERKSM_lbbbEUlllE0_EEPmJS6_EEE10hipError_tPvRmT3_T4_T5_T6_T7_T9_mT8_P12ihipStream_tbDpT10_ENKUlT_T0_E_clISt17integral_constantIbLb0EES1B_IbLb1EEEEDaS17_S18_EUlS17_E_NS1_11comp_targetILNS1_3genE9ELNS1_11target_archE1100ELNS1_3gpuE3ELNS1_3repE0EEENS1_30default_config_static_selectorELNS0_4arch9wavefront6targetE1EEEvT1_,comdat
.Lfunc_end843:
	.size	_ZN7rocprim17ROCPRIM_400000_NS6detail17trampoline_kernelINS0_14default_configENS1_25partition_config_selectorILNS1_17partition_subalgoE8ElNS0_10empty_typeEbEEZZNS1_14partition_implILS5_8ELb0ES3_jPlPS6_PKS6_NS0_5tupleIJS9_S6_EEENSD_IJSA_SA_EEENS0_18inequality_wrapperIZN2at6native12_GLOBAL__N_124unique_dim_cuda_templateIdEESt5tupleIJNSH_6TensorESM_SM_EERKSM_lbbbEUlllE0_EEPmJS6_EEE10hipError_tPvRmT3_T4_T5_T6_T7_T9_mT8_P12ihipStream_tbDpT10_ENKUlT_T0_E_clISt17integral_constantIbLb0EES1B_IbLb1EEEEDaS17_S18_EUlS17_E_NS1_11comp_targetILNS1_3genE9ELNS1_11target_archE1100ELNS1_3gpuE3ELNS1_3repE0EEENS1_30default_config_static_selectorELNS0_4arch9wavefront6targetE1EEEvT1_, .Lfunc_end843-_ZN7rocprim17ROCPRIM_400000_NS6detail17trampoline_kernelINS0_14default_configENS1_25partition_config_selectorILNS1_17partition_subalgoE8ElNS0_10empty_typeEbEEZZNS1_14partition_implILS5_8ELb0ES3_jPlPS6_PKS6_NS0_5tupleIJS9_S6_EEENSD_IJSA_SA_EEENS0_18inequality_wrapperIZN2at6native12_GLOBAL__N_124unique_dim_cuda_templateIdEESt5tupleIJNSH_6TensorESM_SM_EERKSM_lbbbEUlllE0_EEPmJS6_EEE10hipError_tPvRmT3_T4_T5_T6_T7_T9_mT8_P12ihipStream_tbDpT10_ENKUlT_T0_E_clISt17integral_constantIbLb0EES1B_IbLb1EEEEDaS17_S18_EUlS17_E_NS1_11comp_targetILNS1_3genE9ELNS1_11target_archE1100ELNS1_3gpuE3ELNS1_3repE0EEENS1_30default_config_static_selectorELNS0_4arch9wavefront6targetE1EEEvT1_
                                        ; -- End function
	.section	.AMDGPU.csdata,"",@progbits
; Kernel info:
; codeLenInByte = 0
; NumSgprs: 6
; NumVgprs: 0
; NumAgprs: 0
; TotalNumVgprs: 0
; ScratchSize: 0
; MemoryBound: 0
; FloatMode: 240
; IeeeMode: 1
; LDSByteSize: 0 bytes/workgroup (compile time only)
; SGPRBlocks: 0
; VGPRBlocks: 0
; NumSGPRsForWavesPerEU: 6
; NumVGPRsForWavesPerEU: 1
; AccumOffset: 4
; Occupancy: 8
; WaveLimiterHint : 0
; COMPUTE_PGM_RSRC2:SCRATCH_EN: 0
; COMPUTE_PGM_RSRC2:USER_SGPR: 2
; COMPUTE_PGM_RSRC2:TRAP_HANDLER: 0
; COMPUTE_PGM_RSRC2:TGID_X_EN: 1
; COMPUTE_PGM_RSRC2:TGID_Y_EN: 0
; COMPUTE_PGM_RSRC2:TGID_Z_EN: 0
; COMPUTE_PGM_RSRC2:TIDIG_COMP_CNT: 0
; COMPUTE_PGM_RSRC3_GFX90A:ACCUM_OFFSET: 0
; COMPUTE_PGM_RSRC3_GFX90A:TG_SPLIT: 0
	.section	.text._ZN7rocprim17ROCPRIM_400000_NS6detail17trampoline_kernelINS0_14default_configENS1_25partition_config_selectorILNS1_17partition_subalgoE8ElNS0_10empty_typeEbEEZZNS1_14partition_implILS5_8ELb0ES3_jPlPS6_PKS6_NS0_5tupleIJS9_S6_EEENSD_IJSA_SA_EEENS0_18inequality_wrapperIZN2at6native12_GLOBAL__N_124unique_dim_cuda_templateIdEESt5tupleIJNSH_6TensorESM_SM_EERKSM_lbbbEUlllE0_EEPmJS6_EEE10hipError_tPvRmT3_T4_T5_T6_T7_T9_mT8_P12ihipStream_tbDpT10_ENKUlT_T0_E_clISt17integral_constantIbLb0EES1B_IbLb1EEEEDaS17_S18_EUlS17_E_NS1_11comp_targetILNS1_3genE8ELNS1_11target_archE1030ELNS1_3gpuE2ELNS1_3repE0EEENS1_30default_config_static_selectorELNS0_4arch9wavefront6targetE1EEEvT1_,"axG",@progbits,_ZN7rocprim17ROCPRIM_400000_NS6detail17trampoline_kernelINS0_14default_configENS1_25partition_config_selectorILNS1_17partition_subalgoE8ElNS0_10empty_typeEbEEZZNS1_14partition_implILS5_8ELb0ES3_jPlPS6_PKS6_NS0_5tupleIJS9_S6_EEENSD_IJSA_SA_EEENS0_18inequality_wrapperIZN2at6native12_GLOBAL__N_124unique_dim_cuda_templateIdEESt5tupleIJNSH_6TensorESM_SM_EERKSM_lbbbEUlllE0_EEPmJS6_EEE10hipError_tPvRmT3_T4_T5_T6_T7_T9_mT8_P12ihipStream_tbDpT10_ENKUlT_T0_E_clISt17integral_constantIbLb0EES1B_IbLb1EEEEDaS17_S18_EUlS17_E_NS1_11comp_targetILNS1_3genE8ELNS1_11target_archE1030ELNS1_3gpuE2ELNS1_3repE0EEENS1_30default_config_static_selectorELNS0_4arch9wavefront6targetE1EEEvT1_,comdat
	.globl	_ZN7rocprim17ROCPRIM_400000_NS6detail17trampoline_kernelINS0_14default_configENS1_25partition_config_selectorILNS1_17partition_subalgoE8ElNS0_10empty_typeEbEEZZNS1_14partition_implILS5_8ELb0ES3_jPlPS6_PKS6_NS0_5tupleIJS9_S6_EEENSD_IJSA_SA_EEENS0_18inequality_wrapperIZN2at6native12_GLOBAL__N_124unique_dim_cuda_templateIdEESt5tupleIJNSH_6TensorESM_SM_EERKSM_lbbbEUlllE0_EEPmJS6_EEE10hipError_tPvRmT3_T4_T5_T6_T7_T9_mT8_P12ihipStream_tbDpT10_ENKUlT_T0_E_clISt17integral_constantIbLb0EES1B_IbLb1EEEEDaS17_S18_EUlS17_E_NS1_11comp_targetILNS1_3genE8ELNS1_11target_archE1030ELNS1_3gpuE2ELNS1_3repE0EEENS1_30default_config_static_selectorELNS0_4arch9wavefront6targetE1EEEvT1_ ; -- Begin function _ZN7rocprim17ROCPRIM_400000_NS6detail17trampoline_kernelINS0_14default_configENS1_25partition_config_selectorILNS1_17partition_subalgoE8ElNS0_10empty_typeEbEEZZNS1_14partition_implILS5_8ELb0ES3_jPlPS6_PKS6_NS0_5tupleIJS9_S6_EEENSD_IJSA_SA_EEENS0_18inequality_wrapperIZN2at6native12_GLOBAL__N_124unique_dim_cuda_templateIdEESt5tupleIJNSH_6TensorESM_SM_EERKSM_lbbbEUlllE0_EEPmJS6_EEE10hipError_tPvRmT3_T4_T5_T6_T7_T9_mT8_P12ihipStream_tbDpT10_ENKUlT_T0_E_clISt17integral_constantIbLb0EES1B_IbLb1EEEEDaS17_S18_EUlS17_E_NS1_11comp_targetILNS1_3genE8ELNS1_11target_archE1030ELNS1_3gpuE2ELNS1_3repE0EEENS1_30default_config_static_selectorELNS0_4arch9wavefront6targetE1EEEvT1_
	.p2align	8
	.type	_ZN7rocprim17ROCPRIM_400000_NS6detail17trampoline_kernelINS0_14default_configENS1_25partition_config_selectorILNS1_17partition_subalgoE8ElNS0_10empty_typeEbEEZZNS1_14partition_implILS5_8ELb0ES3_jPlPS6_PKS6_NS0_5tupleIJS9_S6_EEENSD_IJSA_SA_EEENS0_18inequality_wrapperIZN2at6native12_GLOBAL__N_124unique_dim_cuda_templateIdEESt5tupleIJNSH_6TensorESM_SM_EERKSM_lbbbEUlllE0_EEPmJS6_EEE10hipError_tPvRmT3_T4_T5_T6_T7_T9_mT8_P12ihipStream_tbDpT10_ENKUlT_T0_E_clISt17integral_constantIbLb0EES1B_IbLb1EEEEDaS17_S18_EUlS17_E_NS1_11comp_targetILNS1_3genE8ELNS1_11target_archE1030ELNS1_3gpuE2ELNS1_3repE0EEENS1_30default_config_static_selectorELNS0_4arch9wavefront6targetE1EEEvT1_,@function
_ZN7rocprim17ROCPRIM_400000_NS6detail17trampoline_kernelINS0_14default_configENS1_25partition_config_selectorILNS1_17partition_subalgoE8ElNS0_10empty_typeEbEEZZNS1_14partition_implILS5_8ELb0ES3_jPlPS6_PKS6_NS0_5tupleIJS9_S6_EEENSD_IJSA_SA_EEENS0_18inequality_wrapperIZN2at6native12_GLOBAL__N_124unique_dim_cuda_templateIdEESt5tupleIJNSH_6TensorESM_SM_EERKSM_lbbbEUlllE0_EEPmJS6_EEE10hipError_tPvRmT3_T4_T5_T6_T7_T9_mT8_P12ihipStream_tbDpT10_ENKUlT_T0_E_clISt17integral_constantIbLb0EES1B_IbLb1EEEEDaS17_S18_EUlS17_E_NS1_11comp_targetILNS1_3genE8ELNS1_11target_archE1030ELNS1_3gpuE2ELNS1_3repE0EEENS1_30default_config_static_selectorELNS0_4arch9wavefront6targetE1EEEvT1_: ; @_ZN7rocprim17ROCPRIM_400000_NS6detail17trampoline_kernelINS0_14default_configENS1_25partition_config_selectorILNS1_17partition_subalgoE8ElNS0_10empty_typeEbEEZZNS1_14partition_implILS5_8ELb0ES3_jPlPS6_PKS6_NS0_5tupleIJS9_S6_EEENSD_IJSA_SA_EEENS0_18inequality_wrapperIZN2at6native12_GLOBAL__N_124unique_dim_cuda_templateIdEESt5tupleIJNSH_6TensorESM_SM_EERKSM_lbbbEUlllE0_EEPmJS6_EEE10hipError_tPvRmT3_T4_T5_T6_T7_T9_mT8_P12ihipStream_tbDpT10_ENKUlT_T0_E_clISt17integral_constantIbLb0EES1B_IbLb1EEEEDaS17_S18_EUlS17_E_NS1_11comp_targetILNS1_3genE8ELNS1_11target_archE1030ELNS1_3gpuE2ELNS1_3repE0EEENS1_30default_config_static_selectorELNS0_4arch9wavefront6targetE1EEEvT1_
; %bb.0:
	.section	.rodata,"a",@progbits
	.p2align	6, 0x0
	.amdhsa_kernel _ZN7rocprim17ROCPRIM_400000_NS6detail17trampoline_kernelINS0_14default_configENS1_25partition_config_selectorILNS1_17partition_subalgoE8ElNS0_10empty_typeEbEEZZNS1_14partition_implILS5_8ELb0ES3_jPlPS6_PKS6_NS0_5tupleIJS9_S6_EEENSD_IJSA_SA_EEENS0_18inequality_wrapperIZN2at6native12_GLOBAL__N_124unique_dim_cuda_templateIdEESt5tupleIJNSH_6TensorESM_SM_EERKSM_lbbbEUlllE0_EEPmJS6_EEE10hipError_tPvRmT3_T4_T5_T6_T7_T9_mT8_P12ihipStream_tbDpT10_ENKUlT_T0_E_clISt17integral_constantIbLb0EES1B_IbLb1EEEEDaS17_S18_EUlS17_E_NS1_11comp_targetILNS1_3genE8ELNS1_11target_archE1030ELNS1_3gpuE2ELNS1_3repE0EEENS1_30default_config_static_selectorELNS0_4arch9wavefront6targetE1EEEvT1_
		.amdhsa_group_segment_fixed_size 0
		.amdhsa_private_segment_fixed_size 0
		.amdhsa_kernarg_size 136
		.amdhsa_user_sgpr_count 2
		.amdhsa_user_sgpr_dispatch_ptr 0
		.amdhsa_user_sgpr_queue_ptr 0
		.amdhsa_user_sgpr_kernarg_segment_ptr 1
		.amdhsa_user_sgpr_dispatch_id 0
		.amdhsa_user_sgpr_kernarg_preload_length 0
		.amdhsa_user_sgpr_kernarg_preload_offset 0
		.amdhsa_user_sgpr_private_segment_size 0
		.amdhsa_uses_dynamic_stack 0
		.amdhsa_enable_private_segment 0
		.amdhsa_system_sgpr_workgroup_id_x 1
		.amdhsa_system_sgpr_workgroup_id_y 0
		.amdhsa_system_sgpr_workgroup_id_z 0
		.amdhsa_system_sgpr_workgroup_info 0
		.amdhsa_system_vgpr_workitem_id 0
		.amdhsa_next_free_vgpr 1
		.amdhsa_next_free_sgpr 0
		.amdhsa_accum_offset 4
		.amdhsa_reserve_vcc 0
		.amdhsa_float_round_mode_32 0
		.amdhsa_float_round_mode_16_64 0
		.amdhsa_float_denorm_mode_32 3
		.amdhsa_float_denorm_mode_16_64 3
		.amdhsa_dx10_clamp 1
		.amdhsa_ieee_mode 1
		.amdhsa_fp16_overflow 0
		.amdhsa_tg_split 0
		.amdhsa_exception_fp_ieee_invalid_op 0
		.amdhsa_exception_fp_denorm_src 0
		.amdhsa_exception_fp_ieee_div_zero 0
		.amdhsa_exception_fp_ieee_overflow 0
		.amdhsa_exception_fp_ieee_underflow 0
		.amdhsa_exception_fp_ieee_inexact 0
		.amdhsa_exception_int_div_zero 0
	.end_amdhsa_kernel
	.section	.text._ZN7rocprim17ROCPRIM_400000_NS6detail17trampoline_kernelINS0_14default_configENS1_25partition_config_selectorILNS1_17partition_subalgoE8ElNS0_10empty_typeEbEEZZNS1_14partition_implILS5_8ELb0ES3_jPlPS6_PKS6_NS0_5tupleIJS9_S6_EEENSD_IJSA_SA_EEENS0_18inequality_wrapperIZN2at6native12_GLOBAL__N_124unique_dim_cuda_templateIdEESt5tupleIJNSH_6TensorESM_SM_EERKSM_lbbbEUlllE0_EEPmJS6_EEE10hipError_tPvRmT3_T4_T5_T6_T7_T9_mT8_P12ihipStream_tbDpT10_ENKUlT_T0_E_clISt17integral_constantIbLb0EES1B_IbLb1EEEEDaS17_S18_EUlS17_E_NS1_11comp_targetILNS1_3genE8ELNS1_11target_archE1030ELNS1_3gpuE2ELNS1_3repE0EEENS1_30default_config_static_selectorELNS0_4arch9wavefront6targetE1EEEvT1_,"axG",@progbits,_ZN7rocprim17ROCPRIM_400000_NS6detail17trampoline_kernelINS0_14default_configENS1_25partition_config_selectorILNS1_17partition_subalgoE8ElNS0_10empty_typeEbEEZZNS1_14partition_implILS5_8ELb0ES3_jPlPS6_PKS6_NS0_5tupleIJS9_S6_EEENSD_IJSA_SA_EEENS0_18inequality_wrapperIZN2at6native12_GLOBAL__N_124unique_dim_cuda_templateIdEESt5tupleIJNSH_6TensorESM_SM_EERKSM_lbbbEUlllE0_EEPmJS6_EEE10hipError_tPvRmT3_T4_T5_T6_T7_T9_mT8_P12ihipStream_tbDpT10_ENKUlT_T0_E_clISt17integral_constantIbLb0EES1B_IbLb1EEEEDaS17_S18_EUlS17_E_NS1_11comp_targetILNS1_3genE8ELNS1_11target_archE1030ELNS1_3gpuE2ELNS1_3repE0EEENS1_30default_config_static_selectorELNS0_4arch9wavefront6targetE1EEEvT1_,comdat
.Lfunc_end844:
	.size	_ZN7rocprim17ROCPRIM_400000_NS6detail17trampoline_kernelINS0_14default_configENS1_25partition_config_selectorILNS1_17partition_subalgoE8ElNS0_10empty_typeEbEEZZNS1_14partition_implILS5_8ELb0ES3_jPlPS6_PKS6_NS0_5tupleIJS9_S6_EEENSD_IJSA_SA_EEENS0_18inequality_wrapperIZN2at6native12_GLOBAL__N_124unique_dim_cuda_templateIdEESt5tupleIJNSH_6TensorESM_SM_EERKSM_lbbbEUlllE0_EEPmJS6_EEE10hipError_tPvRmT3_T4_T5_T6_T7_T9_mT8_P12ihipStream_tbDpT10_ENKUlT_T0_E_clISt17integral_constantIbLb0EES1B_IbLb1EEEEDaS17_S18_EUlS17_E_NS1_11comp_targetILNS1_3genE8ELNS1_11target_archE1030ELNS1_3gpuE2ELNS1_3repE0EEENS1_30default_config_static_selectorELNS0_4arch9wavefront6targetE1EEEvT1_, .Lfunc_end844-_ZN7rocprim17ROCPRIM_400000_NS6detail17trampoline_kernelINS0_14default_configENS1_25partition_config_selectorILNS1_17partition_subalgoE8ElNS0_10empty_typeEbEEZZNS1_14partition_implILS5_8ELb0ES3_jPlPS6_PKS6_NS0_5tupleIJS9_S6_EEENSD_IJSA_SA_EEENS0_18inequality_wrapperIZN2at6native12_GLOBAL__N_124unique_dim_cuda_templateIdEESt5tupleIJNSH_6TensorESM_SM_EERKSM_lbbbEUlllE0_EEPmJS6_EEE10hipError_tPvRmT3_T4_T5_T6_T7_T9_mT8_P12ihipStream_tbDpT10_ENKUlT_T0_E_clISt17integral_constantIbLb0EES1B_IbLb1EEEEDaS17_S18_EUlS17_E_NS1_11comp_targetILNS1_3genE8ELNS1_11target_archE1030ELNS1_3gpuE2ELNS1_3repE0EEENS1_30default_config_static_selectorELNS0_4arch9wavefront6targetE1EEEvT1_
                                        ; -- End function
	.section	.AMDGPU.csdata,"",@progbits
; Kernel info:
; codeLenInByte = 0
; NumSgprs: 6
; NumVgprs: 0
; NumAgprs: 0
; TotalNumVgprs: 0
; ScratchSize: 0
; MemoryBound: 0
; FloatMode: 240
; IeeeMode: 1
; LDSByteSize: 0 bytes/workgroup (compile time only)
; SGPRBlocks: 0
; VGPRBlocks: 0
; NumSGPRsForWavesPerEU: 6
; NumVGPRsForWavesPerEU: 1
; AccumOffset: 4
; Occupancy: 8
; WaveLimiterHint : 0
; COMPUTE_PGM_RSRC2:SCRATCH_EN: 0
; COMPUTE_PGM_RSRC2:USER_SGPR: 2
; COMPUTE_PGM_RSRC2:TRAP_HANDLER: 0
; COMPUTE_PGM_RSRC2:TGID_X_EN: 1
; COMPUTE_PGM_RSRC2:TGID_Y_EN: 0
; COMPUTE_PGM_RSRC2:TGID_Z_EN: 0
; COMPUTE_PGM_RSRC2:TIDIG_COMP_CNT: 0
; COMPUTE_PGM_RSRC3_GFX90A:ACCUM_OFFSET: 0
; COMPUTE_PGM_RSRC3_GFX90A:TG_SPLIT: 0
	.section	.text._ZN7rocprim17ROCPRIM_400000_NS6detail17trampoline_kernelINS0_14default_configENS1_25partition_config_selectorILNS1_17partition_subalgoE9EllbEEZZNS1_14partition_implILS5_9ELb0ES3_jPlS8_PNS0_10empty_typeENS0_5tupleIJS8_S9_EEENSB_IJS8_SA_EEENS0_18inequality_wrapperIZN2at6native12_GLOBAL__N_124unique_dim_cuda_templateIdEESt5tupleIJNSF_6TensorESK_SK_EERKSK_lbbbEUlllE0_EEPmJS9_EEE10hipError_tPvRmT3_T4_T5_T6_T7_T9_mT8_P12ihipStream_tbDpT10_ENKUlT_T0_E_clISt17integral_constantIbLb0EES1A_EEDaS15_S16_EUlS15_E_NS1_11comp_targetILNS1_3genE0ELNS1_11target_archE4294967295ELNS1_3gpuE0ELNS1_3repE0EEENS1_30default_config_static_selectorELNS0_4arch9wavefront6targetE1EEEvT1_,"axG",@progbits,_ZN7rocprim17ROCPRIM_400000_NS6detail17trampoline_kernelINS0_14default_configENS1_25partition_config_selectorILNS1_17partition_subalgoE9EllbEEZZNS1_14partition_implILS5_9ELb0ES3_jPlS8_PNS0_10empty_typeENS0_5tupleIJS8_S9_EEENSB_IJS8_SA_EEENS0_18inequality_wrapperIZN2at6native12_GLOBAL__N_124unique_dim_cuda_templateIdEESt5tupleIJNSF_6TensorESK_SK_EERKSK_lbbbEUlllE0_EEPmJS9_EEE10hipError_tPvRmT3_T4_T5_T6_T7_T9_mT8_P12ihipStream_tbDpT10_ENKUlT_T0_E_clISt17integral_constantIbLb0EES1A_EEDaS15_S16_EUlS15_E_NS1_11comp_targetILNS1_3genE0ELNS1_11target_archE4294967295ELNS1_3gpuE0ELNS1_3repE0EEENS1_30default_config_static_selectorELNS0_4arch9wavefront6targetE1EEEvT1_,comdat
	.globl	_ZN7rocprim17ROCPRIM_400000_NS6detail17trampoline_kernelINS0_14default_configENS1_25partition_config_selectorILNS1_17partition_subalgoE9EllbEEZZNS1_14partition_implILS5_9ELb0ES3_jPlS8_PNS0_10empty_typeENS0_5tupleIJS8_S9_EEENSB_IJS8_SA_EEENS0_18inequality_wrapperIZN2at6native12_GLOBAL__N_124unique_dim_cuda_templateIdEESt5tupleIJNSF_6TensorESK_SK_EERKSK_lbbbEUlllE0_EEPmJS9_EEE10hipError_tPvRmT3_T4_T5_T6_T7_T9_mT8_P12ihipStream_tbDpT10_ENKUlT_T0_E_clISt17integral_constantIbLb0EES1A_EEDaS15_S16_EUlS15_E_NS1_11comp_targetILNS1_3genE0ELNS1_11target_archE4294967295ELNS1_3gpuE0ELNS1_3repE0EEENS1_30default_config_static_selectorELNS0_4arch9wavefront6targetE1EEEvT1_ ; -- Begin function _ZN7rocprim17ROCPRIM_400000_NS6detail17trampoline_kernelINS0_14default_configENS1_25partition_config_selectorILNS1_17partition_subalgoE9EllbEEZZNS1_14partition_implILS5_9ELb0ES3_jPlS8_PNS0_10empty_typeENS0_5tupleIJS8_S9_EEENSB_IJS8_SA_EEENS0_18inequality_wrapperIZN2at6native12_GLOBAL__N_124unique_dim_cuda_templateIdEESt5tupleIJNSF_6TensorESK_SK_EERKSK_lbbbEUlllE0_EEPmJS9_EEE10hipError_tPvRmT3_T4_T5_T6_T7_T9_mT8_P12ihipStream_tbDpT10_ENKUlT_T0_E_clISt17integral_constantIbLb0EES1A_EEDaS15_S16_EUlS15_E_NS1_11comp_targetILNS1_3genE0ELNS1_11target_archE4294967295ELNS1_3gpuE0ELNS1_3repE0EEENS1_30default_config_static_selectorELNS0_4arch9wavefront6targetE1EEEvT1_
	.p2align	8
	.type	_ZN7rocprim17ROCPRIM_400000_NS6detail17trampoline_kernelINS0_14default_configENS1_25partition_config_selectorILNS1_17partition_subalgoE9EllbEEZZNS1_14partition_implILS5_9ELb0ES3_jPlS8_PNS0_10empty_typeENS0_5tupleIJS8_S9_EEENSB_IJS8_SA_EEENS0_18inequality_wrapperIZN2at6native12_GLOBAL__N_124unique_dim_cuda_templateIdEESt5tupleIJNSF_6TensorESK_SK_EERKSK_lbbbEUlllE0_EEPmJS9_EEE10hipError_tPvRmT3_T4_T5_T6_T7_T9_mT8_P12ihipStream_tbDpT10_ENKUlT_T0_E_clISt17integral_constantIbLb0EES1A_EEDaS15_S16_EUlS15_E_NS1_11comp_targetILNS1_3genE0ELNS1_11target_archE4294967295ELNS1_3gpuE0ELNS1_3repE0EEENS1_30default_config_static_selectorELNS0_4arch9wavefront6targetE1EEEvT1_,@function
_ZN7rocprim17ROCPRIM_400000_NS6detail17trampoline_kernelINS0_14default_configENS1_25partition_config_selectorILNS1_17partition_subalgoE9EllbEEZZNS1_14partition_implILS5_9ELb0ES3_jPlS8_PNS0_10empty_typeENS0_5tupleIJS8_S9_EEENSB_IJS8_SA_EEENS0_18inequality_wrapperIZN2at6native12_GLOBAL__N_124unique_dim_cuda_templateIdEESt5tupleIJNSF_6TensorESK_SK_EERKSK_lbbbEUlllE0_EEPmJS9_EEE10hipError_tPvRmT3_T4_T5_T6_T7_T9_mT8_P12ihipStream_tbDpT10_ENKUlT_T0_E_clISt17integral_constantIbLb0EES1A_EEDaS15_S16_EUlS15_E_NS1_11comp_targetILNS1_3genE0ELNS1_11target_archE4294967295ELNS1_3gpuE0ELNS1_3repE0EEENS1_30default_config_static_selectorELNS0_4arch9wavefront6targetE1EEEvT1_: ; @_ZN7rocprim17ROCPRIM_400000_NS6detail17trampoline_kernelINS0_14default_configENS1_25partition_config_selectorILNS1_17partition_subalgoE9EllbEEZZNS1_14partition_implILS5_9ELb0ES3_jPlS8_PNS0_10empty_typeENS0_5tupleIJS8_S9_EEENSB_IJS8_SA_EEENS0_18inequality_wrapperIZN2at6native12_GLOBAL__N_124unique_dim_cuda_templateIdEESt5tupleIJNSF_6TensorESK_SK_EERKSK_lbbbEUlllE0_EEPmJS9_EEE10hipError_tPvRmT3_T4_T5_T6_T7_T9_mT8_P12ihipStream_tbDpT10_ENKUlT_T0_E_clISt17integral_constantIbLb0EES1A_EEDaS15_S16_EUlS15_E_NS1_11comp_targetILNS1_3genE0ELNS1_11target_archE4294967295ELNS1_3gpuE0ELNS1_3repE0EEENS1_30default_config_static_selectorELNS0_4arch9wavefront6targetE1EEEvT1_
; %bb.0:
	.section	.rodata,"a",@progbits
	.p2align	6, 0x0
	.amdhsa_kernel _ZN7rocprim17ROCPRIM_400000_NS6detail17trampoline_kernelINS0_14default_configENS1_25partition_config_selectorILNS1_17partition_subalgoE9EllbEEZZNS1_14partition_implILS5_9ELb0ES3_jPlS8_PNS0_10empty_typeENS0_5tupleIJS8_S9_EEENSB_IJS8_SA_EEENS0_18inequality_wrapperIZN2at6native12_GLOBAL__N_124unique_dim_cuda_templateIdEESt5tupleIJNSF_6TensorESK_SK_EERKSK_lbbbEUlllE0_EEPmJS9_EEE10hipError_tPvRmT3_T4_T5_T6_T7_T9_mT8_P12ihipStream_tbDpT10_ENKUlT_T0_E_clISt17integral_constantIbLb0EES1A_EEDaS15_S16_EUlS15_E_NS1_11comp_targetILNS1_3genE0ELNS1_11target_archE4294967295ELNS1_3gpuE0ELNS1_3repE0EEENS1_30default_config_static_selectorELNS0_4arch9wavefront6targetE1EEEvT1_
		.amdhsa_group_segment_fixed_size 0
		.amdhsa_private_segment_fixed_size 0
		.amdhsa_kernarg_size 120
		.amdhsa_user_sgpr_count 2
		.amdhsa_user_sgpr_dispatch_ptr 0
		.amdhsa_user_sgpr_queue_ptr 0
		.amdhsa_user_sgpr_kernarg_segment_ptr 1
		.amdhsa_user_sgpr_dispatch_id 0
		.amdhsa_user_sgpr_kernarg_preload_length 0
		.amdhsa_user_sgpr_kernarg_preload_offset 0
		.amdhsa_user_sgpr_private_segment_size 0
		.amdhsa_uses_dynamic_stack 0
		.amdhsa_enable_private_segment 0
		.amdhsa_system_sgpr_workgroup_id_x 1
		.amdhsa_system_sgpr_workgroup_id_y 0
		.amdhsa_system_sgpr_workgroup_id_z 0
		.amdhsa_system_sgpr_workgroup_info 0
		.amdhsa_system_vgpr_workitem_id 0
		.amdhsa_next_free_vgpr 1
		.amdhsa_next_free_sgpr 0
		.amdhsa_accum_offset 4
		.amdhsa_reserve_vcc 0
		.amdhsa_float_round_mode_32 0
		.amdhsa_float_round_mode_16_64 0
		.amdhsa_float_denorm_mode_32 3
		.amdhsa_float_denorm_mode_16_64 3
		.amdhsa_dx10_clamp 1
		.amdhsa_ieee_mode 1
		.amdhsa_fp16_overflow 0
		.amdhsa_tg_split 0
		.amdhsa_exception_fp_ieee_invalid_op 0
		.amdhsa_exception_fp_denorm_src 0
		.amdhsa_exception_fp_ieee_div_zero 0
		.amdhsa_exception_fp_ieee_overflow 0
		.amdhsa_exception_fp_ieee_underflow 0
		.amdhsa_exception_fp_ieee_inexact 0
		.amdhsa_exception_int_div_zero 0
	.end_amdhsa_kernel
	.section	.text._ZN7rocprim17ROCPRIM_400000_NS6detail17trampoline_kernelINS0_14default_configENS1_25partition_config_selectorILNS1_17partition_subalgoE9EllbEEZZNS1_14partition_implILS5_9ELb0ES3_jPlS8_PNS0_10empty_typeENS0_5tupleIJS8_S9_EEENSB_IJS8_SA_EEENS0_18inequality_wrapperIZN2at6native12_GLOBAL__N_124unique_dim_cuda_templateIdEESt5tupleIJNSF_6TensorESK_SK_EERKSK_lbbbEUlllE0_EEPmJS9_EEE10hipError_tPvRmT3_T4_T5_T6_T7_T9_mT8_P12ihipStream_tbDpT10_ENKUlT_T0_E_clISt17integral_constantIbLb0EES1A_EEDaS15_S16_EUlS15_E_NS1_11comp_targetILNS1_3genE0ELNS1_11target_archE4294967295ELNS1_3gpuE0ELNS1_3repE0EEENS1_30default_config_static_selectorELNS0_4arch9wavefront6targetE1EEEvT1_,"axG",@progbits,_ZN7rocprim17ROCPRIM_400000_NS6detail17trampoline_kernelINS0_14default_configENS1_25partition_config_selectorILNS1_17partition_subalgoE9EllbEEZZNS1_14partition_implILS5_9ELb0ES3_jPlS8_PNS0_10empty_typeENS0_5tupleIJS8_S9_EEENSB_IJS8_SA_EEENS0_18inequality_wrapperIZN2at6native12_GLOBAL__N_124unique_dim_cuda_templateIdEESt5tupleIJNSF_6TensorESK_SK_EERKSK_lbbbEUlllE0_EEPmJS9_EEE10hipError_tPvRmT3_T4_T5_T6_T7_T9_mT8_P12ihipStream_tbDpT10_ENKUlT_T0_E_clISt17integral_constantIbLb0EES1A_EEDaS15_S16_EUlS15_E_NS1_11comp_targetILNS1_3genE0ELNS1_11target_archE4294967295ELNS1_3gpuE0ELNS1_3repE0EEENS1_30default_config_static_selectorELNS0_4arch9wavefront6targetE1EEEvT1_,comdat
.Lfunc_end845:
	.size	_ZN7rocprim17ROCPRIM_400000_NS6detail17trampoline_kernelINS0_14default_configENS1_25partition_config_selectorILNS1_17partition_subalgoE9EllbEEZZNS1_14partition_implILS5_9ELb0ES3_jPlS8_PNS0_10empty_typeENS0_5tupleIJS8_S9_EEENSB_IJS8_SA_EEENS0_18inequality_wrapperIZN2at6native12_GLOBAL__N_124unique_dim_cuda_templateIdEESt5tupleIJNSF_6TensorESK_SK_EERKSK_lbbbEUlllE0_EEPmJS9_EEE10hipError_tPvRmT3_T4_T5_T6_T7_T9_mT8_P12ihipStream_tbDpT10_ENKUlT_T0_E_clISt17integral_constantIbLb0EES1A_EEDaS15_S16_EUlS15_E_NS1_11comp_targetILNS1_3genE0ELNS1_11target_archE4294967295ELNS1_3gpuE0ELNS1_3repE0EEENS1_30default_config_static_selectorELNS0_4arch9wavefront6targetE1EEEvT1_, .Lfunc_end845-_ZN7rocprim17ROCPRIM_400000_NS6detail17trampoline_kernelINS0_14default_configENS1_25partition_config_selectorILNS1_17partition_subalgoE9EllbEEZZNS1_14partition_implILS5_9ELb0ES3_jPlS8_PNS0_10empty_typeENS0_5tupleIJS8_S9_EEENSB_IJS8_SA_EEENS0_18inequality_wrapperIZN2at6native12_GLOBAL__N_124unique_dim_cuda_templateIdEESt5tupleIJNSF_6TensorESK_SK_EERKSK_lbbbEUlllE0_EEPmJS9_EEE10hipError_tPvRmT3_T4_T5_T6_T7_T9_mT8_P12ihipStream_tbDpT10_ENKUlT_T0_E_clISt17integral_constantIbLb0EES1A_EEDaS15_S16_EUlS15_E_NS1_11comp_targetILNS1_3genE0ELNS1_11target_archE4294967295ELNS1_3gpuE0ELNS1_3repE0EEENS1_30default_config_static_selectorELNS0_4arch9wavefront6targetE1EEEvT1_
                                        ; -- End function
	.section	.AMDGPU.csdata,"",@progbits
; Kernel info:
; codeLenInByte = 0
; NumSgprs: 6
; NumVgprs: 0
; NumAgprs: 0
; TotalNumVgprs: 0
; ScratchSize: 0
; MemoryBound: 0
; FloatMode: 240
; IeeeMode: 1
; LDSByteSize: 0 bytes/workgroup (compile time only)
; SGPRBlocks: 0
; VGPRBlocks: 0
; NumSGPRsForWavesPerEU: 6
; NumVGPRsForWavesPerEU: 1
; AccumOffset: 4
; Occupancy: 8
; WaveLimiterHint : 0
; COMPUTE_PGM_RSRC2:SCRATCH_EN: 0
; COMPUTE_PGM_RSRC2:USER_SGPR: 2
; COMPUTE_PGM_RSRC2:TRAP_HANDLER: 0
; COMPUTE_PGM_RSRC2:TGID_X_EN: 1
; COMPUTE_PGM_RSRC2:TGID_Y_EN: 0
; COMPUTE_PGM_RSRC2:TGID_Z_EN: 0
; COMPUTE_PGM_RSRC2:TIDIG_COMP_CNT: 0
; COMPUTE_PGM_RSRC3_GFX90A:ACCUM_OFFSET: 0
; COMPUTE_PGM_RSRC3_GFX90A:TG_SPLIT: 0
	.section	.text._ZN7rocprim17ROCPRIM_400000_NS6detail17trampoline_kernelINS0_14default_configENS1_25partition_config_selectorILNS1_17partition_subalgoE9EllbEEZZNS1_14partition_implILS5_9ELb0ES3_jPlS8_PNS0_10empty_typeENS0_5tupleIJS8_S9_EEENSB_IJS8_SA_EEENS0_18inequality_wrapperIZN2at6native12_GLOBAL__N_124unique_dim_cuda_templateIdEESt5tupleIJNSF_6TensorESK_SK_EERKSK_lbbbEUlllE0_EEPmJS9_EEE10hipError_tPvRmT3_T4_T5_T6_T7_T9_mT8_P12ihipStream_tbDpT10_ENKUlT_T0_E_clISt17integral_constantIbLb0EES1A_EEDaS15_S16_EUlS15_E_NS1_11comp_targetILNS1_3genE5ELNS1_11target_archE942ELNS1_3gpuE9ELNS1_3repE0EEENS1_30default_config_static_selectorELNS0_4arch9wavefront6targetE1EEEvT1_,"axG",@progbits,_ZN7rocprim17ROCPRIM_400000_NS6detail17trampoline_kernelINS0_14default_configENS1_25partition_config_selectorILNS1_17partition_subalgoE9EllbEEZZNS1_14partition_implILS5_9ELb0ES3_jPlS8_PNS0_10empty_typeENS0_5tupleIJS8_S9_EEENSB_IJS8_SA_EEENS0_18inequality_wrapperIZN2at6native12_GLOBAL__N_124unique_dim_cuda_templateIdEESt5tupleIJNSF_6TensorESK_SK_EERKSK_lbbbEUlllE0_EEPmJS9_EEE10hipError_tPvRmT3_T4_T5_T6_T7_T9_mT8_P12ihipStream_tbDpT10_ENKUlT_T0_E_clISt17integral_constantIbLb0EES1A_EEDaS15_S16_EUlS15_E_NS1_11comp_targetILNS1_3genE5ELNS1_11target_archE942ELNS1_3gpuE9ELNS1_3repE0EEENS1_30default_config_static_selectorELNS0_4arch9wavefront6targetE1EEEvT1_,comdat
	.globl	_ZN7rocprim17ROCPRIM_400000_NS6detail17trampoline_kernelINS0_14default_configENS1_25partition_config_selectorILNS1_17partition_subalgoE9EllbEEZZNS1_14partition_implILS5_9ELb0ES3_jPlS8_PNS0_10empty_typeENS0_5tupleIJS8_S9_EEENSB_IJS8_SA_EEENS0_18inequality_wrapperIZN2at6native12_GLOBAL__N_124unique_dim_cuda_templateIdEESt5tupleIJNSF_6TensorESK_SK_EERKSK_lbbbEUlllE0_EEPmJS9_EEE10hipError_tPvRmT3_T4_T5_T6_T7_T9_mT8_P12ihipStream_tbDpT10_ENKUlT_T0_E_clISt17integral_constantIbLb0EES1A_EEDaS15_S16_EUlS15_E_NS1_11comp_targetILNS1_3genE5ELNS1_11target_archE942ELNS1_3gpuE9ELNS1_3repE0EEENS1_30default_config_static_selectorELNS0_4arch9wavefront6targetE1EEEvT1_ ; -- Begin function _ZN7rocprim17ROCPRIM_400000_NS6detail17trampoline_kernelINS0_14default_configENS1_25partition_config_selectorILNS1_17partition_subalgoE9EllbEEZZNS1_14partition_implILS5_9ELb0ES3_jPlS8_PNS0_10empty_typeENS0_5tupleIJS8_S9_EEENSB_IJS8_SA_EEENS0_18inequality_wrapperIZN2at6native12_GLOBAL__N_124unique_dim_cuda_templateIdEESt5tupleIJNSF_6TensorESK_SK_EERKSK_lbbbEUlllE0_EEPmJS9_EEE10hipError_tPvRmT3_T4_T5_T6_T7_T9_mT8_P12ihipStream_tbDpT10_ENKUlT_T0_E_clISt17integral_constantIbLb0EES1A_EEDaS15_S16_EUlS15_E_NS1_11comp_targetILNS1_3genE5ELNS1_11target_archE942ELNS1_3gpuE9ELNS1_3repE0EEENS1_30default_config_static_selectorELNS0_4arch9wavefront6targetE1EEEvT1_
	.p2align	8
	.type	_ZN7rocprim17ROCPRIM_400000_NS6detail17trampoline_kernelINS0_14default_configENS1_25partition_config_selectorILNS1_17partition_subalgoE9EllbEEZZNS1_14partition_implILS5_9ELb0ES3_jPlS8_PNS0_10empty_typeENS0_5tupleIJS8_S9_EEENSB_IJS8_SA_EEENS0_18inequality_wrapperIZN2at6native12_GLOBAL__N_124unique_dim_cuda_templateIdEESt5tupleIJNSF_6TensorESK_SK_EERKSK_lbbbEUlllE0_EEPmJS9_EEE10hipError_tPvRmT3_T4_T5_T6_T7_T9_mT8_P12ihipStream_tbDpT10_ENKUlT_T0_E_clISt17integral_constantIbLb0EES1A_EEDaS15_S16_EUlS15_E_NS1_11comp_targetILNS1_3genE5ELNS1_11target_archE942ELNS1_3gpuE9ELNS1_3repE0EEENS1_30default_config_static_selectorELNS0_4arch9wavefront6targetE1EEEvT1_,@function
_ZN7rocprim17ROCPRIM_400000_NS6detail17trampoline_kernelINS0_14default_configENS1_25partition_config_selectorILNS1_17partition_subalgoE9EllbEEZZNS1_14partition_implILS5_9ELb0ES3_jPlS8_PNS0_10empty_typeENS0_5tupleIJS8_S9_EEENSB_IJS8_SA_EEENS0_18inequality_wrapperIZN2at6native12_GLOBAL__N_124unique_dim_cuda_templateIdEESt5tupleIJNSF_6TensorESK_SK_EERKSK_lbbbEUlllE0_EEPmJS9_EEE10hipError_tPvRmT3_T4_T5_T6_T7_T9_mT8_P12ihipStream_tbDpT10_ENKUlT_T0_E_clISt17integral_constantIbLb0EES1A_EEDaS15_S16_EUlS15_E_NS1_11comp_targetILNS1_3genE5ELNS1_11target_archE942ELNS1_3gpuE9ELNS1_3repE0EEENS1_30default_config_static_selectorELNS0_4arch9wavefront6targetE1EEEvT1_: ; @_ZN7rocprim17ROCPRIM_400000_NS6detail17trampoline_kernelINS0_14default_configENS1_25partition_config_selectorILNS1_17partition_subalgoE9EllbEEZZNS1_14partition_implILS5_9ELb0ES3_jPlS8_PNS0_10empty_typeENS0_5tupleIJS8_S9_EEENSB_IJS8_SA_EEENS0_18inequality_wrapperIZN2at6native12_GLOBAL__N_124unique_dim_cuda_templateIdEESt5tupleIJNSF_6TensorESK_SK_EERKSK_lbbbEUlllE0_EEPmJS9_EEE10hipError_tPvRmT3_T4_T5_T6_T7_T9_mT8_P12ihipStream_tbDpT10_ENKUlT_T0_E_clISt17integral_constantIbLb0EES1A_EEDaS15_S16_EUlS15_E_NS1_11comp_targetILNS1_3genE5ELNS1_11target_archE942ELNS1_3gpuE9ELNS1_3repE0EEENS1_30default_config_static_selectorELNS0_4arch9wavefront6targetE1EEEvT1_
; %bb.0:
	s_load_dwordx8 s[20:27], s[0:1], 0x40
	s_load_dwordx4 s[4:7], s[0:1], 0x8
	s_load_dwordx2 s[10:11], s[0:1], 0x18
	s_load_dword s3, s[0:1], 0x70
	s_mul_i32 s12, s2, 0xe00
	s_waitcnt lgkmcnt(0)
	v_mov_b32_e32 v2, s24
	s_lshl_b64 s[14:15], s[6:7], 3
	s_add_u32 s18, s4, s14
	s_mul_i32 s4, s3, 0xe00
	s_addc_u32 s19, s5, s15
	s_add_i32 s8, s3, -1
	s_add_i32 s3, s4, s6
	s_sub_i32 s3, s24, s3
	s_addk_i32 s3, 0xe00
	s_add_u32 s4, s6, s4
	s_addc_u32 s5, s7, 0
	v_mov_b32_e32 v3, s25
	s_cmp_eq_u32 s2, s8
	s_load_dwordx2 s[22:23], s[22:23], 0x0
	v_cmp_ge_u64_e32 vcc, s[4:5], v[2:3]
	s_cselect_b64 s[24:25], -1, 0
	s_mov_b32 s13, 0
	s_and_b64 s[8:9], s[24:25], vcc
	s_xor_b64 s[34:35], s[8:9], -1
	s_lshl_b64 s[16:17], s[12:13], 3
	s_add_u32 s12, s18, s16
	s_mov_b64 s[4:5], -1
	s_addc_u32 s13, s19, s17
	s_and_b64 vcc, exec, s[34:35]
	s_cbranch_vccz .LBB846_2
; %bb.1:
	v_lshlrev_b32_e32 v2, 3, v0
	v_mov_b32_e32 v3, 0
	v_lshl_add_u64 v[4:5], s[12:13], 0, v[2:3]
	v_add_co_u32_e32 v8, vcc, 0x1000, v4
	global_load_dwordx2 v[6:7], v2, s[12:13]
	s_nop 0
	v_addc_co_u32_e32 v9, vcc, 0, v5, vcc
	v_add_co_u32_e32 v10, vcc, 0x2000, v4
	s_mov_b64 s[4:5], 0
	s_nop 0
	v_addc_co_u32_e32 v11, vcc, 0, v5, vcc
	v_add_co_u32_e32 v12, vcc, 0x3000, v4
	s_nop 1
	v_addc_co_u32_e32 v13, vcc, 0, v5, vcc
	v_add_co_u32_e32 v14, vcc, 0x4000, v4
	s_nop 1
	v_addc_co_u32_e32 v15, vcc, 0, v5, vcc
	global_load_dwordx2 v[16:17], v[8:9], off
	global_load_dwordx2 v[18:19], v[10:11], off
	;; [unrolled: 1-line block ×4, first 2 shown]
	v_add_co_u32_e32 v8, vcc, 0x5000, v4
	s_nop 1
	v_addc_co_u32_e32 v9, vcc, 0, v5, vcc
	v_add_co_u32_e32 v4, vcc, 0x6000, v4
	global_load_dwordx2 v[8:9], v[8:9], off
	s_nop 0
	v_addc_co_u32_e32 v5, vcc, 0, v5, vcc
	global_load_dwordx2 v[4:5], v[4:5], off
	s_waitcnt vmcnt(5)
	ds_write2st64_b64 v2, v[6:7], v[16:17] offset1:8
	s_waitcnt vmcnt(3)
	ds_write2st64_b64 v2, v[18:19], v[20:21] offset0:16 offset1:24
	s_waitcnt vmcnt(1)
	ds_write2st64_b64 v2, v[22:23], v[8:9] offset0:32 offset1:40
	s_waitcnt vmcnt(0)
	ds_write_b64 v2, v[4:5] offset:24576
	s_waitcnt lgkmcnt(0)
	s_barrier
.LBB846_2:
	s_load_dwordx4 s[28:31], s[0:1], 0x60
	s_andn2_b64 vcc, exec, s[4:5]
	v_cmp_gt_u32_e64 s[4:5], s3, v0
	s_cbranch_vccnz .LBB846_18
; %bb.3:
                                        ; implicit-def: $vgpr2_vgpr3_vgpr4_vgpr5_vgpr6_vgpr7_vgpr8_vgpr9_vgpr10_vgpr11_vgpr12_vgpr13_vgpr14_vgpr15_vgpr16_vgpr17
	s_and_saveexec_b64 s[18:19], s[4:5]
	s_cbranch_execz .LBB846_5
; %bb.4:
	v_lshlrev_b32_e32 v1, 3, v0
	global_load_dwordx2 v[2:3], v1, s[12:13]
.LBB846_5:
	s_or_b64 exec, exec, s[18:19]
	v_or_b32_e32 v1, 0x200, v0
	v_cmp_gt_u32_e32 vcc, s3, v1
	s_and_saveexec_b64 s[4:5], vcc
	s_cbranch_execz .LBB846_7
; %bb.6:
	v_lshlrev_b32_e32 v1, 3, v1
	global_load_dwordx2 v[4:5], v1, s[12:13]
.LBB846_7:
	s_or_b64 exec, exec, s[4:5]
	v_or_b32_e32 v1, 0x400, v0
	v_cmp_gt_u32_e32 vcc, s3, v1
	s_and_saveexec_b64 s[4:5], vcc
	;; [unrolled: 9-line block ×6, first 2 shown]
	s_cbranch_execz .LBB846_17
; %bb.16:
	v_lshlrev_b32_e32 v1, 3, v1
	global_load_dwordx2 v[14:15], v1, s[12:13]
.LBB846_17:
	s_or_b64 exec, exec, s[4:5]
	v_lshlrev_b32_e32 v1, 3, v0
	s_waitcnt vmcnt(0)
	ds_write2st64_b64 v1, v[2:3], v[4:5] offset1:8
	ds_write2st64_b64 v1, v[6:7], v[8:9] offset0:16 offset1:24
	ds_write2st64_b64 v1, v[10:11], v[12:13] offset0:32 offset1:40
	ds_write_b64 v1, v[14:15] offset:24576
	s_waitcnt lgkmcnt(0)
	s_barrier
.LBB846_18:
	v_mul_u32_u24_e32 v1, 7, v0
	v_lshlrev_b32_e32 v44, 3, v1
	s_waitcnt lgkmcnt(0)
	ds_read2_b64 v[22:25], v44 offset1:1
	ds_read2_b64 v[18:21], v44 offset0:2 offset1:3
	ds_read2_b64 v[14:17], v44 offset0:4 offset1:5
	ds_read_b64 v[28:29], v44 offset:48
	s_add_u32 s4, s10, s14
	s_addc_u32 s5, s11, s15
	s_add_u32 s4, s4, s16
	s_addc_u32 s5, s5, s17
	s_mov_b64 s[10:11], -1
	s_and_b64 vcc, exec, s[34:35]
	s_waitcnt lgkmcnt(0)
	s_barrier
	s_cbranch_vccz .LBB846_20
; %bb.19:
	v_lshlrev_b32_e32 v2, 3, v0
	v_mov_b32_e32 v3, 0
	v_lshl_add_u64 v[4:5], s[4:5], 0, v[2:3]
	v_add_co_u32_e32 v8, vcc, 0x1000, v4
	global_load_dwordx2 v[6:7], v2, s[4:5]
	s_nop 0
	v_addc_co_u32_e32 v9, vcc, 0, v5, vcc
	v_add_co_u32_e32 v10, vcc, 0x2000, v4
	s_mov_b64 s[10:11], 0
	s_nop 0
	v_addc_co_u32_e32 v11, vcc, 0, v5, vcc
	v_add_co_u32_e32 v12, vcc, 0x3000, v4
	s_nop 1
	v_addc_co_u32_e32 v13, vcc, 0, v5, vcc
	v_add_co_u32_e32 v26, vcc, 0x4000, v4
	s_nop 1
	v_addc_co_u32_e32 v27, vcc, 0, v5, vcc
	global_load_dwordx2 v[30:31], v[8:9], off
	global_load_dwordx2 v[32:33], v[10:11], off
	;; [unrolled: 1-line block ×4, first 2 shown]
	v_add_co_u32_e32 v8, vcc, 0x5000, v4
	s_nop 1
	v_addc_co_u32_e32 v9, vcc, 0, v5, vcc
	v_add_co_u32_e32 v4, vcc, 0x6000, v4
	global_load_dwordx2 v[8:9], v[8:9], off
	s_nop 0
	v_addc_co_u32_e32 v5, vcc, 0, v5, vcc
	global_load_dwordx2 v[4:5], v[4:5], off
	s_waitcnt vmcnt(5)
	ds_write2st64_b64 v2, v[6:7], v[30:31] offset1:8
	s_waitcnt vmcnt(3)
	ds_write2st64_b64 v2, v[32:33], v[34:35] offset0:16 offset1:24
	s_waitcnt vmcnt(1)
	ds_write2st64_b64 v2, v[36:37], v[8:9] offset0:32 offset1:40
	s_waitcnt vmcnt(0)
	ds_write_b64 v2, v[4:5] offset:24576
	s_waitcnt lgkmcnt(0)
	s_barrier
.LBB846_20:
	s_andn2_b64 vcc, exec, s[10:11]
	s_cbranch_vccnz .LBB846_36
; %bb.21:
	v_cmp_gt_u32_e32 vcc, s3, v0
                                        ; implicit-def: $vgpr2_vgpr3
	s_and_saveexec_b64 s[10:11], vcc
	s_cbranch_execz .LBB846_23
; %bb.22:
	v_lshlrev_b32_e32 v2, 3, v0
	global_load_dwordx2 v[2:3], v2, s[4:5]
.LBB846_23:
	s_or_b64 exec, exec, s[10:11]
	v_or_b32_e32 v6, 0x200, v0
	v_cmp_gt_u32_e32 vcc, s3, v6
                                        ; implicit-def: $vgpr4_vgpr5
	s_and_saveexec_b64 s[10:11], vcc
	s_cbranch_execz .LBB846_25
; %bb.24:
	v_lshlrev_b32_e32 v4, 3, v6
	global_load_dwordx2 v[4:5], v4, s[4:5]
.LBB846_25:
	s_or_b64 exec, exec, s[10:11]
	v_or_b32_e32 v8, 0x400, v0
	v_cmp_gt_u32_e32 vcc, s3, v8
                                        ; implicit-def: $vgpr6_vgpr7
	s_and_saveexec_b64 s[10:11], vcc
	s_cbranch_execz .LBB846_27
; %bb.26:
	v_lshlrev_b32_e32 v6, 3, v8
	global_load_dwordx2 v[6:7], v6, s[4:5]
.LBB846_27:
	s_or_b64 exec, exec, s[10:11]
	v_or_b32_e32 v10, 0x600, v0
	v_cmp_gt_u32_e32 vcc, s3, v10
                                        ; implicit-def: $vgpr8_vgpr9
	s_and_saveexec_b64 s[10:11], vcc
	s_cbranch_execz .LBB846_29
; %bb.28:
	v_lshlrev_b32_e32 v8, 3, v10
	global_load_dwordx2 v[8:9], v8, s[4:5]
.LBB846_29:
	s_or_b64 exec, exec, s[10:11]
	v_or_b32_e32 v12, 0x800, v0
	v_cmp_gt_u32_e32 vcc, s3, v12
                                        ; implicit-def: $vgpr10_vgpr11
	s_and_saveexec_b64 s[10:11], vcc
	s_cbranch_execz .LBB846_31
; %bb.30:
	v_lshlrev_b32_e32 v10, 3, v12
	global_load_dwordx2 v[10:11], v10, s[4:5]
.LBB846_31:
	s_or_b64 exec, exec, s[10:11]
	v_or_b32_e32 v26, 0xa00, v0
	v_cmp_gt_u32_e32 vcc, s3, v26
                                        ; implicit-def: $vgpr12_vgpr13
	s_and_saveexec_b64 s[10:11], vcc
	s_cbranch_execz .LBB846_33
; %bb.32:
	v_lshlrev_b32_e32 v12, 3, v26
	global_load_dwordx2 v[12:13], v12, s[4:5]
.LBB846_33:
	s_or_b64 exec, exec, s[10:11]
	v_or_b32_e32 v30, 0xc00, v0
	v_cmp_gt_u32_e32 vcc, s3, v30
                                        ; implicit-def: $vgpr26_vgpr27
	s_and_saveexec_b64 s[10:11], vcc
	s_cbranch_execz .LBB846_35
; %bb.34:
	v_lshlrev_b32_e32 v26, 3, v30
	global_load_dwordx2 v[26:27], v26, s[4:5]
.LBB846_35:
	s_or_b64 exec, exec, s[10:11]
	s_movk_i32 s4, 0xffd0
	v_mad_i32_i24 v30, v0, s4, v44
	s_waitcnt vmcnt(0)
	ds_write2st64_b64 v30, v[2:3], v[4:5] offset1:8
	ds_write2st64_b64 v30, v[6:7], v[8:9] offset0:16 offset1:24
	ds_write2st64_b64 v30, v[10:11], v[12:13] offset0:32 offset1:40
	ds_write_b64 v30, v[26:27] offset:24576
	s_waitcnt lgkmcnt(0)
	s_barrier
.LBB846_36:
	ds_read2_b64 v[10:13], v44 offset1:1
	ds_read2_b64 v[6:9], v44 offset0:2 offset1:3
	ds_read2_b64 v[2:5], v44 offset0:4 offset1:5
	ds_read_b64 v[26:27], v44 offset:48
	s_cmp_lg_u32 s2, 0
	s_cselect_b64 s[16:17], -1, 0
	s_cmp_lg_u64 s[6:7], 0
	s_cselect_b64 s[4:5], -1, 0
	s_or_b64 s[4:5], s[16:17], s[4:5]
	v_add_u32_e32 v41, 1, v1
	v_add_u32_e32 v38, 2, v1
	;; [unrolled: 1-line block ×6, first 2 shown]
	s_mov_b64 s[10:11], 0
	s_and_b64 vcc, exec, s[4:5]
	v_cmp_gt_i64_e64 s[4:5], s[26:27], 0
	s_waitcnt lgkmcnt(0)
	s_barrier
	s_cbranch_vccz .LBB846_45
; %bb.37:
	s_add_u32 s6, s12, -8
	s_addc_u32 s7, s13, -1
	s_load_dwordx2 s[6:7], s[6:7], 0x0
	v_cndmask_b32_e64 v30, 0, 1, s[4:5]
	v_lshlrev_b32_e32 v45, 3, v0
	s_and_b64 vcc, exec, s[34:35]
	v_cmp_ne_u32_e64 s[4:5], 1, v30
	ds_write_b64 v45, v[28:29]
	s_cbranch_vccz .LBB846_47
; %bb.38:
	v_mul_lo_u32 v32, v17, s26
	v_mul_lo_u32 v33, v16, s27
	v_mad_u64_u32 v[30:31], s[12:13], v16, s26, 0
	v_add3_u32 v31, v31, v33, v32
	s_and_b64 vcc, exec, s[4:5]
	v_lshl_add_u64 v[30:31], v[30:31], 3, s[28:29]
	s_cbranch_vccnz .LBB846_50
; %bb.39:
	v_mul_lo_u32 v34, v29, s26
	v_mul_lo_u32 v35, v28, s27
	v_mad_u64_u32 v[32:33], s[10:11], v28, s26, 0
	v_add3_u32 v33, v33, v35, v34
	v_lshl_add_u64 v[32:33], v[32:33], 3, s[28:29]
	global_load_dwordx2 v[34:35], v[30:31], off
	global_load_dwordx2 v[36:37], v[32:33], off
	s_mov_b64 s[10:11], -1
	s_waitcnt vmcnt(0)
	v_cmp_eq_f64_e32 vcc, v[34:35], v[36:37]
	s_and_saveexec_b64 s[12:13], vcc
	s_cbranch_execz .LBB846_49
; %bb.40:
	s_add_u32 s10, s26, -1
	v_lshl_add_u64 v[32:33], v[32:33], 0, 8
	v_lshl_add_u64 v[34:35], v[30:31], 0, 8
	s_addc_u32 s11, s27, -1
	s_mov_b64 s[14:15], 0
	s_mov_b64 s[36:37], 0
                                        ; implicit-def: $sgpr18_sgpr19
	s_branch .LBB846_43
.LBB846_41:                             ;   in Loop: Header=BB846_43 Depth=1
	global_load_dwordx2 v[36:37], v[34:35], off
	global_load_dwordx2 v[46:47], v[32:33], off
	s_add_u32 s36, s36, 1
	s_addc_u32 s37, s37, 0
	s_andn2_b64 s[18:19], s[18:19], exec
	v_lshl_add_u64 v[32:33], v[32:33], 0, 8
	v_lshl_add_u64 v[34:35], v[34:35], 0, 8
	s_waitcnt vmcnt(0)
	v_cmp_neq_f64_e32 vcc, v[36:37], v[46:47]
	s_and_b64 s[38:39], vcc, exec
	s_or_b64 s[18:19], s[18:19], s[38:39]
.LBB846_42:                             ;   in Loop: Header=BB846_43 Depth=1
	s_and_b64 s[38:39], exec, s[18:19]
	s_or_b64 s[14:15], s[38:39], s[14:15]
	v_mov_b64_e32 v[36:37], s[36:37]
	s_andn2_b64 exec, exec, s[14:15]
	s_cbranch_execz .LBB846_48
.LBB846_43:                             ; =>This Inner Loop Header: Depth=1
	s_or_b64 s[18:19], s[18:19], exec
	s_cmp_eq_u64 s[10:11], s[36:37]
	s_cbranch_scc0 .LBB846_41
; %bb.44:                               ;   in Loop: Header=BB846_43 Depth=1
                                        ; implicit-def: $vgpr32_vgpr33
                                        ; implicit-def: $vgpr34_vgpr35
	s_mov_b64 s[36:37], s[26:27]
	s_branch .LBB846_42
.LBB846_45:
                                        ; implicit-def: $sgpr18_sgpr19
                                        ; implicit-def: $vgpr48
                                        ; implicit-def: $vgpr47
                                        ; implicit-def: $vgpr46
                                        ; implicit-def: $vgpr34
	s_branch .LBB846_188
.LBB846_46:
                                        ; implicit-def: $vgpr30_vgpr31
	s_branch .LBB846_336
.LBB846_47:
                                        ; implicit-def: $sgpr18_sgpr19
                                        ; implicit-def: $vgpr48
                                        ; implicit-def: $vgpr47
                                        ; implicit-def: $vgpr46
                                        ; implicit-def: $vgpr34
	s_cbranch_execnz .LBB846_107
	s_branch .LBB846_187
.LBB846_48:
	s_or_b64 exec, exec, s[14:15]
	v_cmp_gt_i64_e32 vcc, s[26:27], v[36:37]
	s_orn2_b64 s[10:11], vcc, exec
.LBB846_49:
	s_or_b64 exec, exec, s[12:13]
.LBB846_50:
	v_mul_lo_u32 v34, v15, s26
	v_mul_lo_u32 v35, v14, s27
	v_mad_u64_u32 v[32:33], s[12:13], v14, s26, 0
	v_add3_u32 v33, v33, v35, v34
	s_mov_b64 s[12:13], 0
	s_and_b64 vcc, exec, s[4:5]
	v_lshl_add_u64 v[32:33], v[32:33], 3, s[28:29]
	s_mov_b64 s[14:15], 0
	s_cbranch_vccnz .LBB846_59
; %bb.51:
	global_load_dwordx2 v[34:35], v[32:33], off
	global_load_dwordx2 v[36:37], v[30:31], off
	s_mov_b64 s[14:15], -1
	s_waitcnt vmcnt(0)
	v_cmp_eq_f64_e32 vcc, v[34:35], v[36:37]
	s_and_saveexec_b64 s[18:19], vcc
	s_cbranch_execz .LBB846_58
; %bb.52:
	s_add_u32 s14, s26, -1
	v_lshl_add_u64 v[30:31], v[30:31], 0, 8
	v_lshl_add_u64 v[34:35], v[32:33], 0, 8
	s_addc_u32 s15, s27, -1
	s_mov_b64 s[36:37], 0
	s_mov_b64 s[40:41], 0
                                        ; implicit-def: $sgpr38_sgpr39
	s_branch .LBB846_55
.LBB846_53:                             ;   in Loop: Header=BB846_55 Depth=1
	global_load_dwordx2 v[36:37], v[34:35], off
	global_load_dwordx2 v[46:47], v[30:31], off
	s_add_u32 s40, s40, 1
	s_addc_u32 s41, s41, 0
	s_andn2_b64 s[38:39], s[38:39], exec
	v_lshl_add_u64 v[30:31], v[30:31], 0, 8
	v_lshl_add_u64 v[34:35], v[34:35], 0, 8
	s_waitcnt vmcnt(0)
	v_cmp_neq_f64_e32 vcc, v[36:37], v[46:47]
	s_and_b64 s[42:43], vcc, exec
	s_or_b64 s[38:39], s[38:39], s[42:43]
.LBB846_54:                             ;   in Loop: Header=BB846_55 Depth=1
	s_and_b64 s[42:43], exec, s[38:39]
	s_or_b64 s[36:37], s[42:43], s[36:37]
	v_mov_b64_e32 v[36:37], s[40:41]
	s_andn2_b64 exec, exec, s[36:37]
	s_cbranch_execz .LBB846_57
.LBB846_55:                             ; =>This Inner Loop Header: Depth=1
	s_or_b64 s[38:39], s[38:39], exec
	s_cmp_eq_u64 s[14:15], s[40:41]
	s_cbranch_scc0 .LBB846_53
; %bb.56:                               ;   in Loop: Header=BB846_55 Depth=1
                                        ; implicit-def: $vgpr30_vgpr31
                                        ; implicit-def: $vgpr34_vgpr35
	s_mov_b64 s[40:41], s[26:27]
	s_branch .LBB846_54
.LBB846_57:
	s_or_b64 exec, exec, s[36:37]
	v_cmp_gt_i64_e32 vcc, s[26:27], v[36:37]
	s_orn2_b64 s[14:15], vcc, exec
.LBB846_58:
	s_or_b64 exec, exec, s[18:19]
.LBB846_59:
	v_mul_lo_u32 v34, v21, s26
	v_mul_lo_u32 v35, v20, s27
	v_mad_u64_u32 v[30:31], s[18:19], v20, s26, 0
	v_add3_u32 v31, v31, v35, v34
	s_and_b64 vcc, exec, s[4:5]
	v_lshl_add_u64 v[30:31], v[30:31], 3, s[28:29]
	s_cbranch_vccnz .LBB846_68
; %bb.60:
	global_load_dwordx2 v[34:35], v[30:31], off
	global_load_dwordx2 v[36:37], v[32:33], off
	s_mov_b64 s[12:13], -1
	s_waitcnt vmcnt(0)
	v_cmp_eq_f64_e32 vcc, v[34:35], v[36:37]
	s_and_saveexec_b64 s[18:19], vcc
	s_cbranch_execz .LBB846_67
; %bb.61:
	s_add_u32 s12, s26, -1
	v_lshl_add_u64 v[32:33], v[32:33], 0, 8
	v_lshl_add_u64 v[34:35], v[30:31], 0, 8
	s_addc_u32 s13, s27, -1
	s_mov_b64 s[36:37], 0
	s_mov_b64 s[40:41], 0
                                        ; implicit-def: $sgpr38_sgpr39
	s_branch .LBB846_64
.LBB846_62:                             ;   in Loop: Header=BB846_64 Depth=1
	global_load_dwordx2 v[36:37], v[34:35], off
	global_load_dwordx2 v[46:47], v[32:33], off
	s_add_u32 s40, s40, 1
	s_addc_u32 s41, s41, 0
	s_andn2_b64 s[38:39], s[38:39], exec
	v_lshl_add_u64 v[32:33], v[32:33], 0, 8
	v_lshl_add_u64 v[34:35], v[34:35], 0, 8
	s_waitcnt vmcnt(0)
	v_cmp_neq_f64_e32 vcc, v[36:37], v[46:47]
	s_and_b64 s[42:43], vcc, exec
	s_or_b64 s[38:39], s[38:39], s[42:43]
.LBB846_63:                             ;   in Loop: Header=BB846_64 Depth=1
	s_and_b64 s[42:43], exec, s[38:39]
	s_or_b64 s[36:37], s[42:43], s[36:37]
	v_mov_b64_e32 v[36:37], s[40:41]
	s_andn2_b64 exec, exec, s[36:37]
	s_cbranch_execz .LBB846_66
.LBB846_64:                             ; =>This Inner Loop Header: Depth=1
	s_or_b64 s[38:39], s[38:39], exec
	s_cmp_eq_u64 s[12:13], s[40:41]
	s_cbranch_scc0 .LBB846_62
; %bb.65:                               ;   in Loop: Header=BB846_64 Depth=1
                                        ; implicit-def: $vgpr32_vgpr33
                                        ; implicit-def: $vgpr34_vgpr35
	s_mov_b64 s[40:41], s[26:27]
	s_branch .LBB846_63
.LBB846_66:
	s_or_b64 exec, exec, s[36:37]
	v_cmp_gt_i64_e32 vcc, s[26:27], v[36:37]
	s_orn2_b64 s[12:13], vcc, exec
.LBB846_67:
	s_or_b64 exec, exec, s[18:19]
.LBB846_68:
	v_mul_lo_u32 v34, v19, s26
	v_mul_lo_u32 v35, v18, s27
	v_mad_u64_u32 v[32:33], s[18:19], v18, s26, 0
	v_add3_u32 v33, v33, v35, v34
	s_mov_b64 s[18:19], 0
	s_and_b64 vcc, exec, s[4:5]
	v_lshl_add_u64 v[34:35], v[32:33], 3, s[28:29]
	s_mov_b64 s[36:37], 0
	s_cbranch_vccnz .LBB846_77
; %bb.69:
	global_load_dwordx2 v[32:33], v[34:35], off
	global_load_dwordx2 v[36:37], v[30:31], off
	s_mov_b64 s[36:37], -1
	s_waitcnt vmcnt(0)
	v_cmp_eq_f64_e32 vcc, v[32:33], v[36:37]
	s_and_saveexec_b64 s[38:39], vcc
	s_cbranch_execz .LBB846_76
; %bb.70:
	s_add_u32 s36, s26, -1
	v_lshl_add_u64 v[30:31], v[30:31], 0, 8
	v_lshl_add_u64 v[32:33], v[34:35], 0, 8
	s_addc_u32 s37, s27, -1
	s_mov_b64 s[40:41], 0
	s_mov_b64 s[44:45], 0
                                        ; implicit-def: $sgpr42_sgpr43
	s_branch .LBB846_73
.LBB846_71:                             ;   in Loop: Header=BB846_73 Depth=1
	global_load_dwordx2 v[36:37], v[32:33], off
	global_load_dwordx2 v[46:47], v[30:31], off
	s_add_u32 s44, s44, 1
	s_addc_u32 s45, s45, 0
	s_andn2_b64 s[42:43], s[42:43], exec
	v_lshl_add_u64 v[30:31], v[30:31], 0, 8
	v_lshl_add_u64 v[32:33], v[32:33], 0, 8
	s_waitcnt vmcnt(0)
	v_cmp_neq_f64_e32 vcc, v[36:37], v[46:47]
	s_and_b64 s[46:47], vcc, exec
	s_or_b64 s[42:43], s[42:43], s[46:47]
.LBB846_72:                             ;   in Loop: Header=BB846_73 Depth=1
	s_and_b64 s[46:47], exec, s[42:43]
	s_or_b64 s[40:41], s[46:47], s[40:41]
	v_mov_b64_e32 v[36:37], s[44:45]
	s_andn2_b64 exec, exec, s[40:41]
	s_cbranch_execz .LBB846_75
.LBB846_73:                             ; =>This Inner Loop Header: Depth=1
	s_or_b64 s[42:43], s[42:43], exec
	s_cmp_eq_u64 s[36:37], s[44:45]
	s_cbranch_scc0 .LBB846_71
; %bb.74:                               ;   in Loop: Header=BB846_73 Depth=1
                                        ; implicit-def: $vgpr30_vgpr31
                                        ; implicit-def: $vgpr32_vgpr33
	s_mov_b64 s[44:45], s[26:27]
	s_branch .LBB846_72
.LBB846_75:
	s_or_b64 exec, exec, s[40:41]
	v_cmp_gt_i64_e32 vcc, s[26:27], v[36:37]
	s_orn2_b64 s[36:37], vcc, exec
.LBB846_76:
	s_or_b64 exec, exec, s[38:39]
.LBB846_77:
	v_mul_lo_u32 v32, v25, s26
	v_mul_lo_u32 v33, v24, s27
	v_mad_u64_u32 v[30:31], s[38:39], v24, s26, 0
	v_add3_u32 v31, v31, v33, v32
	s_and_b64 vcc, exec, s[4:5]
	v_lshl_add_u64 v[32:33], v[30:31], 3, s[28:29]
	s_cbranch_vccnz .LBB846_86
; %bb.78:
	global_load_dwordx2 v[30:31], v[32:33], off
	global_load_dwordx2 v[36:37], v[34:35], off
	s_mov_b64 s[18:19], -1
	s_waitcnt vmcnt(0)
	v_cmp_eq_f64_e32 vcc, v[30:31], v[36:37]
	s_and_saveexec_b64 s[38:39], vcc
	s_cbranch_execz .LBB846_85
; %bb.79:
	s_add_u32 s18, s26, -1
	v_lshl_add_u64 v[30:31], v[34:35], 0, 8
	v_lshl_add_u64 v[34:35], v[32:33], 0, 8
	s_addc_u32 s19, s27, -1
	s_mov_b64 s[40:41], 0
	s_mov_b64 s[44:45], 0
                                        ; implicit-def: $sgpr42_sgpr43
	s_branch .LBB846_82
.LBB846_80:                             ;   in Loop: Header=BB846_82 Depth=1
	global_load_dwordx2 v[36:37], v[34:35], off
	global_load_dwordx2 v[46:47], v[30:31], off
	s_add_u32 s44, s44, 1
	s_addc_u32 s45, s45, 0
	s_andn2_b64 s[42:43], s[42:43], exec
	v_lshl_add_u64 v[30:31], v[30:31], 0, 8
	v_lshl_add_u64 v[34:35], v[34:35], 0, 8
	s_waitcnt vmcnt(0)
	v_cmp_neq_f64_e32 vcc, v[36:37], v[46:47]
	s_and_b64 s[46:47], vcc, exec
	s_or_b64 s[42:43], s[42:43], s[46:47]
.LBB846_81:                             ;   in Loop: Header=BB846_82 Depth=1
	s_and_b64 s[46:47], exec, s[42:43]
	s_or_b64 s[40:41], s[46:47], s[40:41]
	v_mov_b64_e32 v[36:37], s[44:45]
	s_andn2_b64 exec, exec, s[40:41]
	s_cbranch_execz .LBB846_84
.LBB846_82:                             ; =>This Inner Loop Header: Depth=1
	s_or_b64 s[42:43], s[42:43], exec
	s_cmp_eq_u64 s[18:19], s[44:45]
	s_cbranch_scc0 .LBB846_80
; %bb.83:                               ;   in Loop: Header=BB846_82 Depth=1
                                        ; implicit-def: $vgpr30_vgpr31
                                        ; implicit-def: $vgpr34_vgpr35
	s_mov_b64 s[44:45], s[26:27]
	s_branch .LBB846_81
.LBB846_84:
	s_or_b64 exec, exec, s[40:41]
	v_cmp_gt_i64_e32 vcc, s[26:27], v[36:37]
	s_orn2_b64 s[18:19], vcc, exec
.LBB846_85:
	s_or_b64 exec, exec, s[38:39]
.LBB846_86:
	v_mul_lo_u32 v34, v23, s26
	v_mul_lo_u32 v35, v22, s27
	v_mad_u64_u32 v[30:31], s[38:39], v22, s26, 0
	v_add3_u32 v31, v31, v35, v34
	s_mov_b64 s[40:41], 0
	s_and_b64 vcc, exec, s[4:5]
	v_lshl_add_u64 v[30:31], v[30:31], 3, s[28:29]
	s_cbranch_vccnz .LBB846_95
; %bb.87:
	global_load_dwordx2 v[34:35], v[30:31], off
	global_load_dwordx2 v[36:37], v[32:33], off
	s_mov_b64 s[40:41], -1
	s_waitcnt vmcnt(0)
	v_cmp_eq_f64_e32 vcc, v[34:35], v[36:37]
	s_and_saveexec_b64 s[38:39], vcc
	s_cbranch_execz .LBB846_94
; %bb.88:
	s_add_u32 s40, s26, -1
	v_lshl_add_u64 v[32:33], v[32:33], 0, 8
	v_lshl_add_u64 v[34:35], v[30:31], 0, 8
	s_addc_u32 s41, s27, -1
	s_mov_b64 s[42:43], 0
	s_mov_b64 s[46:47], 0
                                        ; implicit-def: $sgpr44_sgpr45
	s_branch .LBB846_91
.LBB846_89:                             ;   in Loop: Header=BB846_91 Depth=1
	global_load_dwordx2 v[36:37], v[34:35], off
	global_load_dwordx2 v[46:47], v[32:33], off
	s_add_u32 s46, s46, 1
	s_addc_u32 s47, s47, 0
	s_andn2_b64 s[44:45], s[44:45], exec
	v_lshl_add_u64 v[32:33], v[32:33], 0, 8
	v_lshl_add_u64 v[34:35], v[34:35], 0, 8
	s_waitcnt vmcnt(0)
	v_cmp_neq_f64_e32 vcc, v[36:37], v[46:47]
	s_and_b64 s[48:49], vcc, exec
	s_or_b64 s[44:45], s[44:45], s[48:49]
.LBB846_90:                             ;   in Loop: Header=BB846_91 Depth=1
	s_and_b64 s[48:49], exec, s[44:45]
	s_or_b64 s[42:43], s[48:49], s[42:43]
	v_mov_b64_e32 v[36:37], s[46:47]
	s_andn2_b64 exec, exec, s[42:43]
	s_cbranch_execz .LBB846_93
.LBB846_91:                             ; =>This Inner Loop Header: Depth=1
	s_or_b64 s[44:45], s[44:45], exec
	s_cmp_eq_u64 s[40:41], s[46:47]
	s_cbranch_scc0 .LBB846_89
; %bb.92:                               ;   in Loop: Header=BB846_91 Depth=1
                                        ; implicit-def: $vgpr32_vgpr33
                                        ; implicit-def: $vgpr34_vgpr35
	s_mov_b64 s[46:47], s[26:27]
	s_branch .LBB846_90
.LBB846_93:
	s_or_b64 exec, exec, s[42:43]
	v_cmp_gt_i64_e32 vcc, s[26:27], v[36:37]
	s_orn2_b64 s[40:41], vcc, exec
.LBB846_94:
	s_or_b64 exec, exec, s[38:39]
.LBB846_95:
	v_cmp_ne_u32_e32 vcc, 0, v0
	s_waitcnt lgkmcnt(0)
	v_mov_b64_e32 v[32:33], s[6:7]
	s_barrier
	s_and_saveexec_b64 s[38:39], vcc
	s_cbranch_execz .LBB846_97
; %bb.96:
	v_add_u32_e32 v32, -8, v45
	ds_read_b64 v[32:33], v32
.LBB846_97:
	s_or_b64 exec, exec, s[38:39]
	v_cndmask_b32_e64 v35, 0, 1, s[36:37]
	v_cndmask_b32_e64 v34, 0, 1, s[18:19]
	;; [unrolled: 1-line block ×3, first 2 shown]
	v_lshlrev_b16_e32 v35, 8, v35
	v_lshlrev_b16_e32 v36, 8, v36
	v_or_b32_sdwa v37, v34, v35 dst_sel:WORD_1 dst_unused:UNUSED_PAD src0_sel:DWORD src1_sel:DWORD
	s_mov_b64 s[36:37], 0
	s_and_b64 vcc, exec, s[4:5]
	s_mov_b64 s[18:19], 0
	s_cbranch_vccnz .LBB846_106
; %bb.98:
	s_waitcnt lgkmcnt(0)
	v_mul_lo_u32 v34, v33, s26
	v_mul_lo_u32 v35, v32, s27
	v_mad_u64_u32 v[32:33], s[18:19], v32, s26, 0
	v_add3_u32 v33, v33, v35, v34
	v_lshl_add_u64 v[32:33], v[32:33], 3, s[28:29]
	global_load_dwordx2 v[34:35], v[32:33], off
	global_load_dwordx2 v[46:47], v[30:31], off
	s_mov_b64 s[18:19], -1
	s_waitcnt vmcnt(0)
	v_cmp_eq_f64_e32 vcc, v[34:35], v[46:47]
	s_and_saveexec_b64 s[38:39], vcc
	s_cbranch_execz .LBB846_105
; %bb.99:
	s_add_u32 s18, s26, -1
	v_lshl_add_u64 v[30:31], v[30:31], 0, 8
	v_lshl_add_u64 v[32:33], v[32:33], 0, 8
	s_addc_u32 s19, s27, -1
	s_mov_b64 s[40:41], 0
	s_mov_b64 s[44:45], 0
                                        ; implicit-def: $sgpr42_sgpr43
	s_branch .LBB846_102
.LBB846_100:                            ;   in Loop: Header=BB846_102 Depth=1
	global_load_dwordx2 v[34:35], v[32:33], off
	global_load_dwordx2 v[46:47], v[30:31], off
	s_add_u32 s44, s44, 1
	s_addc_u32 s45, s45, 0
	s_andn2_b64 s[42:43], s[42:43], exec
	v_lshl_add_u64 v[30:31], v[30:31], 0, 8
	v_lshl_add_u64 v[32:33], v[32:33], 0, 8
	s_waitcnt vmcnt(0)
	v_cmp_neq_f64_e32 vcc, v[34:35], v[46:47]
	s_and_b64 s[46:47], vcc, exec
	s_or_b64 s[42:43], s[42:43], s[46:47]
.LBB846_101:                            ;   in Loop: Header=BB846_102 Depth=1
	s_and_b64 s[46:47], exec, s[42:43]
	s_or_b64 s[40:41], s[46:47], s[40:41]
	v_mov_b64_e32 v[34:35], s[44:45]
	s_andn2_b64 exec, exec, s[40:41]
	s_cbranch_execz .LBB846_104
.LBB846_102:                            ; =>This Inner Loop Header: Depth=1
	s_or_b64 s[42:43], s[42:43], exec
	s_cmp_eq_u64 s[18:19], s[44:45]
	s_cbranch_scc0 .LBB846_100
; %bb.103:                              ;   in Loop: Header=BB846_102 Depth=1
                                        ; implicit-def: $vgpr30_vgpr31
                                        ; implicit-def: $vgpr32_vgpr33
	s_mov_b64 s[44:45], s[26:27]
	s_branch .LBB846_101
.LBB846_104:
	s_or_b64 exec, exec, s[40:41]
	v_cmp_gt_i64_e32 vcc, s[26:27], v[34:35]
	s_orn2_b64 s[18:19], vcc, exec
.LBB846_105:
	s_or_b64 exec, exec, s[38:39]
.LBB846_106:
	v_cndmask_b32_e64 v46, 0, 1, s[12:13]
	v_cndmask_b32_e64 v47, 0, 1, s[14:15]
	;; [unrolled: 1-line block ×3, first 2 shown]
	v_or_b32_e32 v34, v36, v37
	s_and_b64 vcc, exec, s[36:37]
	s_cbranch_vccz .LBB846_187
.LBB846_107:
	v_cmp_gt_u32_e32 vcc, s3, v40
	s_mov_b64 s[12:13], 0
	s_mov_b64 s[10:11], 0
	s_and_saveexec_b64 s[14:15], vcc
	s_cbranch_execz .LBB846_118
; %bb.108:
	s_and_b64 vcc, exec, s[4:5]
	s_mov_b64 s[18:19], 0
	s_cbranch_vccnz .LBB846_117
; %bb.109:
	s_waitcnt lgkmcnt(0)
	v_mul_lo_u32 v32, v17, s26
	v_mul_lo_u32 v33, v16, s27
	v_mad_u64_u32 v[30:31], s[10:11], v16, s26, 0
	v_add3_u32 v31, v31, v33, v32
	v_mul_lo_u32 v32, v29, s26
	v_mul_lo_u32 v33, v28, s27
	v_mad_u64_u32 v[34:35], s[10:11], v28, s26, 0
	v_add3_u32 v35, v35, v33, v32
	v_lshl_add_u64 v[32:33], v[30:31], 3, s[28:29]
	v_lshl_add_u64 v[30:31], v[34:35], 3, s[28:29]
	global_load_dwordx2 v[34:35], v[32:33], off
	global_load_dwordx2 v[36:37], v[30:31], off
	s_mov_b64 s[18:19], -1
	s_waitcnt vmcnt(0)
	v_cmp_eq_f64_e32 vcc, v[34:35], v[36:37]
	s_and_saveexec_b64 s[10:11], vcc
	s_cbranch_execz .LBB846_116
; %bb.110:
	s_add_u32 s18, s26, -1
	v_lshl_add_u64 v[30:31], v[30:31], 0, 8
	v_lshl_add_u64 v[32:33], v[32:33], 0, 8
	s_addc_u32 s19, s27, -1
	s_mov_b64 s[36:37], 0
	s_mov_b64 s[40:41], 0
                                        ; implicit-def: $sgpr38_sgpr39
	s_branch .LBB846_113
.LBB846_111:                            ;   in Loop: Header=BB846_113 Depth=1
	global_load_dwordx2 v[34:35], v[32:33], off
	global_load_dwordx2 v[36:37], v[30:31], off
	s_add_u32 s40, s40, 1
	s_addc_u32 s41, s41, 0
	s_andn2_b64 s[38:39], s[38:39], exec
	v_lshl_add_u64 v[30:31], v[30:31], 0, 8
	v_lshl_add_u64 v[32:33], v[32:33], 0, 8
	s_waitcnt vmcnt(0)
	v_cmp_neq_f64_e32 vcc, v[34:35], v[36:37]
	s_and_b64 s[42:43], vcc, exec
	s_or_b64 s[38:39], s[38:39], s[42:43]
.LBB846_112:                            ;   in Loop: Header=BB846_113 Depth=1
	s_and_b64 s[42:43], exec, s[38:39]
	s_or_b64 s[36:37], s[42:43], s[36:37]
	v_mov_b64_e32 v[34:35], s[40:41]
	s_andn2_b64 exec, exec, s[36:37]
	s_cbranch_execz .LBB846_115
.LBB846_113:                            ; =>This Inner Loop Header: Depth=1
	s_or_b64 s[38:39], s[38:39], exec
	s_cmp_eq_u64 s[18:19], s[40:41]
	s_cbranch_scc0 .LBB846_111
; %bb.114:                              ;   in Loop: Header=BB846_113 Depth=1
                                        ; implicit-def: $vgpr30_vgpr31
                                        ; implicit-def: $vgpr32_vgpr33
	s_mov_b64 s[40:41], s[26:27]
	s_branch .LBB846_112
.LBB846_115:
	s_or_b64 exec, exec, s[36:37]
	v_cmp_gt_i64_e32 vcc, s[26:27], v[34:35]
	s_orn2_b64 s[18:19], vcc, exec
.LBB846_116:
	s_or_b64 exec, exec, s[10:11]
.LBB846_117:
	s_and_b64 s[10:11], s[18:19], exec
.LBB846_118:
	s_or_b64 exec, exec, s[14:15]
	v_cmp_gt_u32_e32 vcc, s3, v43
	s_and_saveexec_b64 s[14:15], vcc
	s_cbranch_execz .LBB846_129
; %bb.119:
	s_and_b64 vcc, exec, s[4:5]
	s_mov_b64 s[18:19], 0
	s_cbranch_vccnz .LBB846_128
; %bb.120:
	s_waitcnt lgkmcnt(0)
	v_mul_lo_u32 v32, v15, s26
	v_mul_lo_u32 v33, v14, s27
	v_mad_u64_u32 v[30:31], s[12:13], v14, s26, 0
	v_add3_u32 v31, v31, v33, v32
	v_mul_lo_u32 v32, v17, s26
	v_mul_lo_u32 v33, v16, s27
	v_mad_u64_u32 v[34:35], s[12:13], v16, s26, 0
	v_add3_u32 v35, v35, v33, v32
	v_lshl_add_u64 v[32:33], v[30:31], 3, s[28:29]
	v_lshl_add_u64 v[30:31], v[34:35], 3, s[28:29]
	global_load_dwordx2 v[34:35], v[32:33], off
	global_load_dwordx2 v[36:37], v[30:31], off
	s_mov_b64 s[18:19], -1
	s_waitcnt vmcnt(0)
	v_cmp_eq_f64_e32 vcc, v[34:35], v[36:37]
	s_and_saveexec_b64 s[12:13], vcc
	s_cbranch_execz .LBB846_127
; %bb.121:
	s_add_u32 s18, s26, -1
	v_lshl_add_u64 v[30:31], v[30:31], 0, 8
	v_lshl_add_u64 v[32:33], v[32:33], 0, 8
	s_addc_u32 s19, s27, -1
	s_mov_b64 s[36:37], 0
	s_mov_b64 s[40:41], 0
                                        ; implicit-def: $sgpr38_sgpr39
	s_branch .LBB846_124
.LBB846_122:                            ;   in Loop: Header=BB846_124 Depth=1
	global_load_dwordx2 v[34:35], v[32:33], off
	global_load_dwordx2 v[36:37], v[30:31], off
	s_add_u32 s40, s40, 1
	s_addc_u32 s41, s41, 0
	s_andn2_b64 s[38:39], s[38:39], exec
	v_lshl_add_u64 v[30:31], v[30:31], 0, 8
	v_lshl_add_u64 v[32:33], v[32:33], 0, 8
	s_waitcnt vmcnt(0)
	v_cmp_neq_f64_e32 vcc, v[34:35], v[36:37]
	s_and_b64 s[42:43], vcc, exec
	s_or_b64 s[38:39], s[38:39], s[42:43]
.LBB846_123:                            ;   in Loop: Header=BB846_124 Depth=1
	s_and_b64 s[42:43], exec, s[38:39]
	s_or_b64 s[36:37], s[42:43], s[36:37]
	v_mov_b64_e32 v[34:35], s[40:41]
	s_andn2_b64 exec, exec, s[36:37]
	s_cbranch_execz .LBB846_126
.LBB846_124:                            ; =>This Inner Loop Header: Depth=1
	s_or_b64 s[38:39], s[38:39], exec
	s_cmp_eq_u64 s[18:19], s[40:41]
	s_cbranch_scc0 .LBB846_122
; %bb.125:                              ;   in Loop: Header=BB846_124 Depth=1
                                        ; implicit-def: $vgpr30_vgpr31
                                        ; implicit-def: $vgpr32_vgpr33
	s_mov_b64 s[40:41], s[26:27]
	s_branch .LBB846_123
.LBB846_126:
	s_or_b64 exec, exec, s[36:37]
	v_cmp_gt_i64_e32 vcc, s[26:27], v[34:35]
	s_orn2_b64 s[18:19], vcc, exec
.LBB846_127:
	s_or_b64 exec, exec, s[12:13]
.LBB846_128:
	s_and_b64 s[12:13], s[18:19], exec
.LBB846_129:
	s_or_b64 exec, exec, s[14:15]
	v_cmp_gt_u32_e32 vcc, s3, v39
	s_mov_b64 s[18:19], 0
	s_mov_b64 s[14:15], 0
	s_and_saveexec_b64 s[36:37], vcc
	s_cbranch_execz .LBB846_140
; %bb.130:
	s_and_b64 vcc, exec, s[4:5]
	s_mov_b64 s[38:39], 0
	s_cbranch_vccnz .LBB846_139
; %bb.131:
	s_waitcnt lgkmcnt(0)
	v_mul_lo_u32 v32, v21, s26
	v_mul_lo_u32 v33, v20, s27
	v_mad_u64_u32 v[30:31], s[14:15], v20, s26, 0
	v_add3_u32 v31, v31, v33, v32
	v_mul_lo_u32 v32, v15, s26
	v_mul_lo_u32 v33, v14, s27
	v_mad_u64_u32 v[34:35], s[14:15], v14, s26, 0
	v_add3_u32 v35, v35, v33, v32
	v_lshl_add_u64 v[32:33], v[30:31], 3, s[28:29]
	v_lshl_add_u64 v[30:31], v[34:35], 3, s[28:29]
	global_load_dwordx2 v[34:35], v[32:33], off
	global_load_dwordx2 v[36:37], v[30:31], off
	s_mov_b64 s[38:39], -1
	s_waitcnt vmcnt(0)
	v_cmp_eq_f64_e32 vcc, v[34:35], v[36:37]
	s_and_saveexec_b64 s[14:15], vcc
	s_cbranch_execz .LBB846_138
; %bb.132:
	s_add_u32 s38, s26, -1
	v_lshl_add_u64 v[30:31], v[30:31], 0, 8
	v_lshl_add_u64 v[32:33], v[32:33], 0, 8
	s_addc_u32 s39, s27, -1
	s_mov_b64 s[40:41], 0
	s_mov_b64 s[44:45], 0
                                        ; implicit-def: $sgpr42_sgpr43
	s_branch .LBB846_135
.LBB846_133:                            ;   in Loop: Header=BB846_135 Depth=1
	global_load_dwordx2 v[34:35], v[32:33], off
	global_load_dwordx2 v[36:37], v[30:31], off
	s_add_u32 s44, s44, 1
	s_addc_u32 s45, s45, 0
	s_andn2_b64 s[42:43], s[42:43], exec
	v_lshl_add_u64 v[30:31], v[30:31], 0, 8
	v_lshl_add_u64 v[32:33], v[32:33], 0, 8
	s_waitcnt vmcnt(0)
	v_cmp_neq_f64_e32 vcc, v[34:35], v[36:37]
	s_and_b64 s[46:47], vcc, exec
	s_or_b64 s[42:43], s[42:43], s[46:47]
.LBB846_134:                            ;   in Loop: Header=BB846_135 Depth=1
	s_and_b64 s[46:47], exec, s[42:43]
	s_or_b64 s[40:41], s[46:47], s[40:41]
	v_mov_b64_e32 v[34:35], s[44:45]
	s_andn2_b64 exec, exec, s[40:41]
	s_cbranch_execz .LBB846_137
.LBB846_135:                            ; =>This Inner Loop Header: Depth=1
	s_or_b64 s[42:43], s[42:43], exec
	s_cmp_eq_u64 s[38:39], s[44:45]
	s_cbranch_scc0 .LBB846_133
; %bb.136:                              ;   in Loop: Header=BB846_135 Depth=1
                                        ; implicit-def: $vgpr30_vgpr31
                                        ; implicit-def: $vgpr32_vgpr33
	s_mov_b64 s[44:45], s[26:27]
	s_branch .LBB846_134
.LBB846_137:
	s_or_b64 exec, exec, s[40:41]
	v_cmp_gt_i64_e32 vcc, s[26:27], v[34:35]
	s_orn2_b64 s[38:39], vcc, exec
.LBB846_138:
	s_or_b64 exec, exec, s[14:15]
.LBB846_139:
	s_and_b64 s[14:15], s[38:39], exec
.LBB846_140:
	s_or_b64 exec, exec, s[36:37]
	v_cmp_gt_u32_e32 vcc, s3, v42
	s_and_saveexec_b64 s[36:37], vcc
	s_cbranch_execz .LBB846_151
; %bb.141:
	s_and_b64 vcc, exec, s[4:5]
	s_mov_b64 s[38:39], 0
	s_cbranch_vccnz .LBB846_150
; %bb.142:
	s_waitcnt lgkmcnt(0)
	v_mul_lo_u32 v32, v19, s26
	v_mul_lo_u32 v33, v18, s27
	v_mad_u64_u32 v[30:31], s[18:19], v18, s26, 0
	v_add3_u32 v31, v31, v33, v32
	v_mul_lo_u32 v32, v21, s26
	v_mul_lo_u32 v33, v20, s27
	v_mad_u64_u32 v[34:35], s[18:19], v20, s26, 0
	v_add3_u32 v35, v35, v33, v32
	v_lshl_add_u64 v[32:33], v[30:31], 3, s[28:29]
	v_lshl_add_u64 v[30:31], v[34:35], 3, s[28:29]
	global_load_dwordx2 v[34:35], v[32:33], off
	global_load_dwordx2 v[36:37], v[30:31], off
	s_mov_b64 s[38:39], -1
	s_waitcnt vmcnt(0)
	v_cmp_eq_f64_e32 vcc, v[34:35], v[36:37]
	s_and_saveexec_b64 s[18:19], vcc
	s_cbranch_execz .LBB846_149
; %bb.143:
	s_add_u32 s38, s26, -1
	v_lshl_add_u64 v[30:31], v[30:31], 0, 8
	v_lshl_add_u64 v[32:33], v[32:33], 0, 8
	s_addc_u32 s39, s27, -1
	s_mov_b64 s[40:41], 0
	s_mov_b64 s[44:45], 0
                                        ; implicit-def: $sgpr42_sgpr43
	s_branch .LBB846_146
.LBB846_144:                            ;   in Loop: Header=BB846_146 Depth=1
	global_load_dwordx2 v[34:35], v[32:33], off
	global_load_dwordx2 v[36:37], v[30:31], off
	s_add_u32 s44, s44, 1
	s_addc_u32 s45, s45, 0
	s_andn2_b64 s[42:43], s[42:43], exec
	v_lshl_add_u64 v[30:31], v[30:31], 0, 8
	v_lshl_add_u64 v[32:33], v[32:33], 0, 8
	s_waitcnt vmcnt(0)
	v_cmp_neq_f64_e32 vcc, v[34:35], v[36:37]
	s_and_b64 s[46:47], vcc, exec
	s_or_b64 s[42:43], s[42:43], s[46:47]
.LBB846_145:                            ;   in Loop: Header=BB846_146 Depth=1
	s_and_b64 s[46:47], exec, s[42:43]
	s_or_b64 s[40:41], s[46:47], s[40:41]
	v_mov_b64_e32 v[34:35], s[44:45]
	s_andn2_b64 exec, exec, s[40:41]
	s_cbranch_execz .LBB846_148
.LBB846_146:                            ; =>This Inner Loop Header: Depth=1
	s_or_b64 s[42:43], s[42:43], exec
	s_cmp_eq_u64 s[38:39], s[44:45]
	s_cbranch_scc0 .LBB846_144
; %bb.147:                              ;   in Loop: Header=BB846_146 Depth=1
                                        ; implicit-def: $vgpr30_vgpr31
                                        ; implicit-def: $vgpr32_vgpr33
	s_mov_b64 s[44:45], s[26:27]
	s_branch .LBB846_145
.LBB846_148:
	s_or_b64 exec, exec, s[40:41]
	v_cmp_gt_i64_e32 vcc, s[26:27], v[34:35]
	s_orn2_b64 s[38:39], vcc, exec
.LBB846_149:
	s_or_b64 exec, exec, s[18:19]
.LBB846_150:
	s_and_b64 s[18:19], s[38:39], exec
.LBB846_151:
	s_or_b64 exec, exec, s[36:37]
	v_cmp_gt_u32_e32 vcc, s3, v38
	s_mov_b64 s[36:37], 0
	s_mov_b64 s[38:39], 0
	s_and_saveexec_b64 s[40:41], vcc
	s_cbranch_execz .LBB846_162
; %bb.152:
	s_and_b64 vcc, exec, s[4:5]
	s_mov_b64 s[42:43], 0
	s_cbranch_vccnz .LBB846_161
; %bb.153:
	s_waitcnt lgkmcnt(0)
	v_mul_lo_u32 v32, v25, s26
	v_mul_lo_u32 v33, v24, s27
	v_mad_u64_u32 v[30:31], s[38:39], v24, s26, 0
	v_add3_u32 v31, v31, v33, v32
	v_mul_lo_u32 v32, v19, s26
	v_mul_lo_u32 v33, v18, s27
	v_mad_u64_u32 v[34:35], s[38:39], v18, s26, 0
	v_add3_u32 v35, v35, v33, v32
	v_lshl_add_u64 v[32:33], v[30:31], 3, s[28:29]
	v_lshl_add_u64 v[30:31], v[34:35], 3, s[28:29]
	global_load_dwordx2 v[34:35], v[32:33], off
	global_load_dwordx2 v[36:37], v[30:31], off
	s_mov_b64 s[42:43], -1
	s_waitcnt vmcnt(0)
	v_cmp_eq_f64_e32 vcc, v[34:35], v[36:37]
	s_and_saveexec_b64 s[38:39], vcc
	s_cbranch_execz .LBB846_160
; %bb.154:
	s_add_u32 s42, s26, -1
	v_lshl_add_u64 v[30:31], v[30:31], 0, 8
	v_lshl_add_u64 v[32:33], v[32:33], 0, 8
	s_addc_u32 s43, s27, -1
	s_mov_b64 s[44:45], 0
	s_mov_b64 s[48:49], 0
                                        ; implicit-def: $sgpr46_sgpr47
	s_branch .LBB846_157
.LBB846_155:                            ;   in Loop: Header=BB846_157 Depth=1
	global_load_dwordx2 v[34:35], v[32:33], off
	global_load_dwordx2 v[36:37], v[30:31], off
	s_add_u32 s48, s48, 1
	s_addc_u32 s49, s49, 0
	s_andn2_b64 s[46:47], s[46:47], exec
	v_lshl_add_u64 v[30:31], v[30:31], 0, 8
	v_lshl_add_u64 v[32:33], v[32:33], 0, 8
	s_waitcnt vmcnt(0)
	v_cmp_neq_f64_e32 vcc, v[34:35], v[36:37]
	s_and_b64 s[50:51], vcc, exec
	s_or_b64 s[46:47], s[46:47], s[50:51]
.LBB846_156:                            ;   in Loop: Header=BB846_157 Depth=1
	s_and_b64 s[50:51], exec, s[46:47]
	s_or_b64 s[44:45], s[50:51], s[44:45]
	v_mov_b64_e32 v[34:35], s[48:49]
	s_andn2_b64 exec, exec, s[44:45]
	s_cbranch_execz .LBB846_159
.LBB846_157:                            ; =>This Inner Loop Header: Depth=1
	s_or_b64 s[46:47], s[46:47], exec
	s_cmp_eq_u64 s[42:43], s[48:49]
	s_cbranch_scc0 .LBB846_155
; %bb.158:                              ;   in Loop: Header=BB846_157 Depth=1
                                        ; implicit-def: $vgpr30_vgpr31
                                        ; implicit-def: $vgpr32_vgpr33
	s_mov_b64 s[48:49], s[26:27]
	s_branch .LBB846_156
.LBB846_159:
	s_or_b64 exec, exec, s[44:45]
	v_cmp_gt_i64_e32 vcc, s[26:27], v[34:35]
	s_orn2_b64 s[42:43], vcc, exec
.LBB846_160:
	s_or_b64 exec, exec, s[38:39]
.LBB846_161:
	s_and_b64 s[38:39], s[42:43], exec
.LBB846_162:
	s_or_b64 exec, exec, s[40:41]
	v_cmp_gt_u32_e32 vcc, s3, v41
	s_and_saveexec_b64 s[40:41], vcc
	s_cbranch_execz .LBB846_173
; %bb.163:
	s_and_b64 vcc, exec, s[4:5]
	s_mov_b64 s[42:43], 0
	s_cbranch_vccnz .LBB846_172
; %bb.164:
	s_waitcnt lgkmcnt(0)
	v_mul_lo_u32 v32, v23, s26
	v_mul_lo_u32 v33, v22, s27
	v_mad_u64_u32 v[30:31], s[36:37], v22, s26, 0
	v_add3_u32 v31, v31, v33, v32
	v_mul_lo_u32 v32, v25, s26
	v_mul_lo_u32 v33, v24, s27
	v_mad_u64_u32 v[34:35], s[36:37], v24, s26, 0
	v_add3_u32 v35, v35, v33, v32
	v_lshl_add_u64 v[32:33], v[30:31], 3, s[28:29]
	v_lshl_add_u64 v[30:31], v[34:35], 3, s[28:29]
	global_load_dwordx2 v[34:35], v[32:33], off
	global_load_dwordx2 v[36:37], v[30:31], off
	s_mov_b64 s[42:43], -1
	s_waitcnt vmcnt(0)
	v_cmp_eq_f64_e32 vcc, v[34:35], v[36:37]
	s_and_saveexec_b64 s[36:37], vcc
	s_cbranch_execz .LBB846_171
; %bb.165:
	s_add_u32 s42, s26, -1
	v_lshl_add_u64 v[30:31], v[30:31], 0, 8
	v_lshl_add_u64 v[32:33], v[32:33], 0, 8
	s_addc_u32 s43, s27, -1
	s_mov_b64 s[44:45], 0
	s_mov_b64 s[48:49], 0
                                        ; implicit-def: $sgpr46_sgpr47
	s_branch .LBB846_168
.LBB846_166:                            ;   in Loop: Header=BB846_168 Depth=1
	global_load_dwordx2 v[34:35], v[32:33], off
	global_load_dwordx2 v[36:37], v[30:31], off
	s_add_u32 s48, s48, 1
	s_addc_u32 s49, s49, 0
	s_andn2_b64 s[46:47], s[46:47], exec
	v_lshl_add_u64 v[30:31], v[30:31], 0, 8
	v_lshl_add_u64 v[32:33], v[32:33], 0, 8
	s_waitcnt vmcnt(0)
	v_cmp_neq_f64_e32 vcc, v[34:35], v[36:37]
	s_and_b64 s[50:51], vcc, exec
	s_or_b64 s[46:47], s[46:47], s[50:51]
.LBB846_167:                            ;   in Loop: Header=BB846_168 Depth=1
	s_and_b64 s[50:51], exec, s[46:47]
	s_or_b64 s[44:45], s[50:51], s[44:45]
	v_mov_b64_e32 v[34:35], s[48:49]
	s_andn2_b64 exec, exec, s[44:45]
	s_cbranch_execz .LBB846_170
.LBB846_168:                            ; =>This Inner Loop Header: Depth=1
	s_or_b64 s[46:47], s[46:47], exec
	s_cmp_eq_u64 s[42:43], s[48:49]
	s_cbranch_scc0 .LBB846_166
; %bb.169:                              ;   in Loop: Header=BB846_168 Depth=1
                                        ; implicit-def: $vgpr30_vgpr31
                                        ; implicit-def: $vgpr32_vgpr33
	s_mov_b64 s[48:49], s[26:27]
	s_branch .LBB846_167
.LBB846_170:
	s_or_b64 exec, exec, s[44:45]
	v_cmp_gt_i64_e32 vcc, s[26:27], v[34:35]
	s_orn2_b64 s[42:43], vcc, exec
.LBB846_171:
	s_or_b64 exec, exec, s[36:37]
.LBB846_172:
	s_and_b64 s[36:37], s[42:43], exec
.LBB846_173:
	s_or_b64 exec, exec, s[40:41]
	v_cmp_ne_u32_e32 vcc, 0, v0
	s_waitcnt lgkmcnt(0)
	v_mov_b64_e32 v[30:31], s[6:7]
	s_barrier
	s_and_saveexec_b64 s[6:7], vcc
	s_cbranch_execz .LBB846_175
; %bb.174:
	v_add_u32_e32 v30, -8, v45
	ds_read_b64 v[30:31], v30
.LBB846_175:
	s_or_b64 exec, exec, s[6:7]
	v_cndmask_b32_e64 v33, 0, 1, s[18:19]
	v_cndmask_b32_e64 v32, 0, 1, s[38:39]
	;; [unrolled: 1-line block ×3, first 2 shown]
	v_lshlrev_b16_e32 v33, 8, v33
	v_cmp_gt_u32_e32 vcc, s3, v1
	v_lshlrev_b16_e32 v36, 8, v34
	v_or_b32_sdwa v37, v32, v33 dst_sel:WORD_1 dst_unused:UNUSED_PAD src0_sel:DWORD src1_sel:DWORD
	s_mov_b64 s[18:19], 0
	s_and_saveexec_b64 s[6:7], vcc
	s_cbranch_execz .LBB846_186
; %bb.176:
	s_and_b64 vcc, exec, s[4:5]
	s_cbranch_vccnz .LBB846_185
; %bb.177:
	s_waitcnt lgkmcnt(0)
	v_mul_lo_u32 v32, v31, s26
	v_mul_lo_u32 v33, v30, s27
	v_mad_u64_u32 v[30:31], s[4:5], v30, s26, 0
	v_add3_u32 v31, v31, v33, v32
	v_mul_lo_u32 v32, v23, s26
	v_mul_lo_u32 v33, v22, s27
	v_mad_u64_u32 v[34:35], s[4:5], v22, s26, 0
	v_add3_u32 v35, v35, v33, v32
	v_lshl_add_u64 v[32:33], v[30:31], 3, s[28:29]
	v_lshl_add_u64 v[30:31], v[34:35], 3, s[28:29]
	global_load_dwordx2 v[34:35], v[32:33], off
	global_load_dwordx2 v[46:47], v[30:31], off
	s_mov_b64 s[18:19], -1
	s_waitcnt vmcnt(0)
	v_cmp_eq_f64_e32 vcc, v[34:35], v[46:47]
	s_and_saveexec_b64 s[4:5], vcc
	s_cbranch_execz .LBB846_184
; %bb.178:
	s_add_u32 s18, s26, -1
	v_lshl_add_u64 v[30:31], v[30:31], 0, 8
	v_lshl_add_u64 v[32:33], v[32:33], 0, 8
	s_addc_u32 s19, s27, -1
	s_mov_b64 s[36:37], 0
	s_mov_b64 s[40:41], 0
                                        ; implicit-def: $sgpr38_sgpr39
	s_branch .LBB846_181
.LBB846_179:                            ;   in Loop: Header=BB846_181 Depth=1
	global_load_dwordx2 v[34:35], v[32:33], off
	global_load_dwordx2 v[46:47], v[30:31], off
	s_add_u32 s40, s40, 1
	s_addc_u32 s41, s41, 0
	s_andn2_b64 s[38:39], s[38:39], exec
	v_lshl_add_u64 v[30:31], v[30:31], 0, 8
	v_lshl_add_u64 v[32:33], v[32:33], 0, 8
	s_waitcnt vmcnt(0)
	v_cmp_neq_f64_e32 vcc, v[34:35], v[46:47]
	s_and_b64 s[42:43], vcc, exec
	s_or_b64 s[38:39], s[38:39], s[42:43]
.LBB846_180:                            ;   in Loop: Header=BB846_181 Depth=1
	s_and_b64 s[42:43], exec, s[38:39]
	s_or_b64 s[36:37], s[42:43], s[36:37]
	v_mov_b64_e32 v[34:35], s[40:41]
	s_andn2_b64 exec, exec, s[36:37]
	s_cbranch_execz .LBB846_183
.LBB846_181:                            ; =>This Inner Loop Header: Depth=1
	s_or_b64 s[38:39], s[38:39], exec
	s_cmp_eq_u64 s[18:19], s[40:41]
	s_cbranch_scc0 .LBB846_179
; %bb.182:                              ;   in Loop: Header=BB846_181 Depth=1
                                        ; implicit-def: $vgpr30_vgpr31
                                        ; implicit-def: $vgpr32_vgpr33
	s_mov_b64 s[40:41], s[26:27]
	s_branch .LBB846_180
.LBB846_183:
	s_or_b64 exec, exec, s[36:37]
	v_cmp_gt_i64_e32 vcc, s[26:27], v[34:35]
	s_orn2_b64 s[18:19], vcc, exec
.LBB846_184:
	s_or_b64 exec, exec, s[4:5]
.LBB846_185:
	s_and_b64 s[18:19], s[18:19], exec
.LBB846_186:
	s_or_b64 exec, exec, s[6:7]
	v_cndmask_b32_e64 v46, 0, 1, s[14:15]
	v_cndmask_b32_e64 v47, 0, 1, s[12:13]
	;; [unrolled: 1-line block ×3, first 2 shown]
	v_or_b32_e32 v34, v36, v37
.LBB846_187:
	s_mov_b64 s[10:11], -1
	s_cbranch_execnz .LBB846_46
.LBB846_188:
	s_movk_i32 s4, 0xffd0
	v_mad_i32_i24 v44, v0, s4, v44
	s_mov_b64 s[12:13], 0
	s_waitcnt lgkmcnt(0)
	v_cmp_gt_i64_e64 s[6:7], s[26:27], 0
	s_and_b64 vcc, exec, s[34:35]
	ds_write_b64 v44, v[28:29]
	s_cbranch_vccz .LBB846_196
; %bb.189:
	v_mul_lo_u32 v32, v17, s26
	v_mul_lo_u32 v33, v16, s27
	v_mad_u64_u32 v[30:31], s[4:5], v16, s26, 0
	v_add3_u32 v31, v31, v33, v32
	v_cndmask_b32_e64 v32, 0, 1, s[6:7]
	v_cmp_ne_u32_e64 s[4:5], 1, v32
	s_andn2_b64 vcc, exec, s[6:7]
	v_lshl_add_u64 v[30:31], v[30:31], 3, s[28:29]
	s_cbranch_vccnz .LBB846_199
; %bb.190:
	v_mul_lo_u32 v34, v29, s26
	v_mul_lo_u32 v35, v28, s27
	v_mad_u64_u32 v[32:33], s[12:13], v28, s26, 0
	v_add3_u32 v33, v33, v35, v34
	v_lshl_add_u64 v[32:33], v[32:33], 3, s[28:29]
	global_load_dwordx2 v[34:35], v[30:31], off
	global_load_dwordx2 v[36:37], v[32:33], off
	s_mov_b64 s[12:13], -1
	s_waitcnt vmcnt(0)
	v_cmp_eq_f64_e32 vcc, v[34:35], v[36:37]
	s_and_saveexec_b64 s[14:15], vcc
	s_cbranch_execz .LBB846_198
; %bb.191:
	s_add_u32 s12, s26, -1
	v_lshl_add_u64 v[32:33], v[32:33], 0, 8
	v_lshl_add_u64 v[34:35], v[30:31], 0, 8
	s_addc_u32 s13, s27, -1
	s_mov_b64 s[18:19], 0
	s_mov_b64 s[38:39], 0
                                        ; implicit-def: $sgpr36_sgpr37
	s_branch .LBB846_194
.LBB846_192:                            ;   in Loop: Header=BB846_194 Depth=1
	global_load_dwordx2 v[36:37], v[34:35], off
	global_load_dwordx2 v[46:47], v[32:33], off
	s_add_u32 s38, s38, 1
	s_addc_u32 s39, s39, 0
	s_andn2_b64 s[36:37], s[36:37], exec
	v_lshl_add_u64 v[32:33], v[32:33], 0, 8
	v_lshl_add_u64 v[34:35], v[34:35], 0, 8
	s_waitcnt vmcnt(0)
	v_cmp_neq_f64_e32 vcc, v[36:37], v[46:47]
	s_and_b64 s[40:41], vcc, exec
	s_or_b64 s[36:37], s[36:37], s[40:41]
.LBB846_193:                            ;   in Loop: Header=BB846_194 Depth=1
	s_and_b64 s[40:41], exec, s[36:37]
	s_or_b64 s[18:19], s[40:41], s[18:19]
	v_mov_b64_e32 v[36:37], s[38:39]
	s_andn2_b64 exec, exec, s[18:19]
	s_cbranch_execz .LBB846_197
.LBB846_194:                            ; =>This Inner Loop Header: Depth=1
	s_or_b64 s[36:37], s[36:37], exec
	s_cmp_eq_u64 s[12:13], s[38:39]
	s_cbranch_scc0 .LBB846_192
; %bb.195:                              ;   in Loop: Header=BB846_194 Depth=1
                                        ; implicit-def: $vgpr32_vgpr33
                                        ; implicit-def: $vgpr34_vgpr35
	s_mov_b64 s[38:39], s[26:27]
	s_branch .LBB846_193
.LBB846_196:
                                        ; implicit-def: $sgpr18_sgpr19
                                        ; implicit-def: $vgpr48
                                        ; implicit-def: $vgpr47
                                        ; implicit-def: $vgpr46
                                        ; implicit-def: $vgpr34
                                        ; implicit-def: $vgpr30_vgpr31
	s_cbranch_execnz .LBB846_256
	s_branch .LBB846_336
.LBB846_197:
	s_or_b64 exec, exec, s[18:19]
	v_cmp_gt_i64_e32 vcc, s[26:27], v[36:37]
	s_orn2_b64 s[12:13], vcc, exec
.LBB846_198:
	s_or_b64 exec, exec, s[14:15]
.LBB846_199:
	v_mul_lo_u32 v34, v15, s26
	v_mul_lo_u32 v35, v14, s27
	v_mad_u64_u32 v[32:33], s[14:15], v14, s26, 0
	v_add3_u32 v33, v33, v35, v34
	s_mov_b64 s[14:15], 0
	s_and_b64 vcc, exec, s[4:5]
	v_lshl_add_u64 v[32:33], v[32:33], 3, s[28:29]
	s_mov_b64 s[18:19], 0
	s_cbranch_vccnz .LBB846_208
; %bb.200:
	global_load_dwordx2 v[34:35], v[32:33], off
	global_load_dwordx2 v[36:37], v[30:31], off
	s_mov_b64 s[18:19], -1
	s_waitcnt vmcnt(0)
	v_cmp_eq_f64_e32 vcc, v[34:35], v[36:37]
	s_and_saveexec_b64 s[36:37], vcc
	s_cbranch_execz .LBB846_207
; %bb.201:
	s_add_u32 s18, s26, -1
	v_lshl_add_u64 v[30:31], v[30:31], 0, 8
	v_lshl_add_u64 v[34:35], v[32:33], 0, 8
	s_addc_u32 s19, s27, -1
	s_mov_b64 s[38:39], 0
	s_mov_b64 s[42:43], 0
                                        ; implicit-def: $sgpr40_sgpr41
	s_branch .LBB846_204
.LBB846_202:                            ;   in Loop: Header=BB846_204 Depth=1
	global_load_dwordx2 v[36:37], v[34:35], off
	global_load_dwordx2 v[46:47], v[30:31], off
	s_add_u32 s42, s42, 1
	s_addc_u32 s43, s43, 0
	s_andn2_b64 s[40:41], s[40:41], exec
	v_lshl_add_u64 v[30:31], v[30:31], 0, 8
	v_lshl_add_u64 v[34:35], v[34:35], 0, 8
	s_waitcnt vmcnt(0)
	v_cmp_neq_f64_e32 vcc, v[36:37], v[46:47]
	s_and_b64 s[44:45], vcc, exec
	s_or_b64 s[40:41], s[40:41], s[44:45]
.LBB846_203:                            ;   in Loop: Header=BB846_204 Depth=1
	s_and_b64 s[44:45], exec, s[40:41]
	s_or_b64 s[38:39], s[44:45], s[38:39]
	v_mov_b64_e32 v[36:37], s[42:43]
	s_andn2_b64 exec, exec, s[38:39]
	s_cbranch_execz .LBB846_206
.LBB846_204:                            ; =>This Inner Loop Header: Depth=1
	s_or_b64 s[40:41], s[40:41], exec
	s_cmp_eq_u64 s[18:19], s[42:43]
	s_cbranch_scc0 .LBB846_202
; %bb.205:                              ;   in Loop: Header=BB846_204 Depth=1
                                        ; implicit-def: $vgpr30_vgpr31
                                        ; implicit-def: $vgpr34_vgpr35
	s_mov_b64 s[42:43], s[26:27]
	s_branch .LBB846_203
.LBB846_206:
	s_or_b64 exec, exec, s[38:39]
	v_cmp_gt_i64_e32 vcc, s[26:27], v[36:37]
	s_orn2_b64 s[18:19], vcc, exec
.LBB846_207:
	s_or_b64 exec, exec, s[36:37]
.LBB846_208:
	v_mul_lo_u32 v34, v21, s26
	v_mul_lo_u32 v35, v20, s27
	v_mad_u64_u32 v[30:31], s[36:37], v20, s26, 0
	v_add3_u32 v31, v31, v35, v34
	s_and_b64 vcc, exec, s[4:5]
	v_lshl_add_u64 v[30:31], v[30:31], 3, s[28:29]
	s_cbranch_vccnz .LBB846_217
; %bb.209:
	global_load_dwordx2 v[34:35], v[30:31], off
	global_load_dwordx2 v[36:37], v[32:33], off
	s_mov_b64 s[14:15], -1
	s_waitcnt vmcnt(0)
	v_cmp_eq_f64_e32 vcc, v[34:35], v[36:37]
	s_and_saveexec_b64 s[36:37], vcc
	s_cbranch_execz .LBB846_216
; %bb.210:
	s_add_u32 s14, s26, -1
	v_lshl_add_u64 v[32:33], v[32:33], 0, 8
	v_lshl_add_u64 v[34:35], v[30:31], 0, 8
	s_addc_u32 s15, s27, -1
	s_mov_b64 s[38:39], 0
	s_mov_b64 s[42:43], 0
                                        ; implicit-def: $sgpr40_sgpr41
	s_branch .LBB846_213
.LBB846_211:                            ;   in Loop: Header=BB846_213 Depth=1
	global_load_dwordx2 v[36:37], v[34:35], off
	global_load_dwordx2 v[46:47], v[32:33], off
	s_add_u32 s42, s42, 1
	s_addc_u32 s43, s43, 0
	s_andn2_b64 s[40:41], s[40:41], exec
	v_lshl_add_u64 v[32:33], v[32:33], 0, 8
	v_lshl_add_u64 v[34:35], v[34:35], 0, 8
	s_waitcnt vmcnt(0)
	v_cmp_neq_f64_e32 vcc, v[36:37], v[46:47]
	s_and_b64 s[44:45], vcc, exec
	s_or_b64 s[40:41], s[40:41], s[44:45]
.LBB846_212:                            ;   in Loop: Header=BB846_213 Depth=1
	s_and_b64 s[44:45], exec, s[40:41]
	s_or_b64 s[38:39], s[44:45], s[38:39]
	v_mov_b64_e32 v[36:37], s[42:43]
	s_andn2_b64 exec, exec, s[38:39]
	s_cbranch_execz .LBB846_215
.LBB846_213:                            ; =>This Inner Loop Header: Depth=1
	s_or_b64 s[40:41], s[40:41], exec
	s_cmp_eq_u64 s[14:15], s[42:43]
	s_cbranch_scc0 .LBB846_211
; %bb.214:                              ;   in Loop: Header=BB846_213 Depth=1
                                        ; implicit-def: $vgpr32_vgpr33
                                        ; implicit-def: $vgpr34_vgpr35
	s_mov_b64 s[42:43], s[26:27]
	s_branch .LBB846_212
.LBB846_215:
	s_or_b64 exec, exec, s[38:39]
	v_cmp_gt_i64_e32 vcc, s[26:27], v[36:37]
	s_orn2_b64 s[14:15], vcc, exec
.LBB846_216:
	s_or_b64 exec, exec, s[36:37]
.LBB846_217:
	v_mul_lo_u32 v34, v19, s26
	v_mul_lo_u32 v35, v18, s27
	v_mad_u64_u32 v[32:33], s[36:37], v18, s26, 0
	v_add3_u32 v33, v33, v35, v34
	s_mov_b64 s[36:37], 0
	s_and_b64 vcc, exec, s[4:5]
	v_lshl_add_u64 v[32:33], v[32:33], 3, s[28:29]
	s_mov_b64 s[38:39], 0
	s_cbranch_vccnz .LBB846_226
; %bb.218:
	global_load_dwordx2 v[34:35], v[32:33], off
	global_load_dwordx2 v[36:37], v[30:31], off
	s_mov_b64 s[38:39], -1
	s_waitcnt vmcnt(0)
	v_cmp_eq_f64_e32 vcc, v[34:35], v[36:37]
	s_and_saveexec_b64 s[40:41], vcc
	s_cbranch_execz .LBB846_225
; %bb.219:
	s_add_u32 s38, s26, -1
	v_lshl_add_u64 v[30:31], v[30:31], 0, 8
	v_lshl_add_u64 v[34:35], v[32:33], 0, 8
	s_addc_u32 s39, s27, -1
	s_mov_b64 s[42:43], 0
	s_mov_b64 s[46:47], 0
                                        ; implicit-def: $sgpr44_sgpr45
	s_branch .LBB846_222
.LBB846_220:                            ;   in Loop: Header=BB846_222 Depth=1
	global_load_dwordx2 v[36:37], v[34:35], off
	global_load_dwordx2 v[46:47], v[30:31], off
	s_add_u32 s46, s46, 1
	s_addc_u32 s47, s47, 0
	s_andn2_b64 s[44:45], s[44:45], exec
	v_lshl_add_u64 v[30:31], v[30:31], 0, 8
	v_lshl_add_u64 v[34:35], v[34:35], 0, 8
	s_waitcnt vmcnt(0)
	v_cmp_neq_f64_e32 vcc, v[36:37], v[46:47]
	s_and_b64 s[48:49], vcc, exec
	s_or_b64 s[44:45], s[44:45], s[48:49]
.LBB846_221:                            ;   in Loop: Header=BB846_222 Depth=1
	s_and_b64 s[48:49], exec, s[44:45]
	s_or_b64 s[42:43], s[48:49], s[42:43]
	v_mov_b64_e32 v[36:37], s[46:47]
	s_andn2_b64 exec, exec, s[42:43]
	s_cbranch_execz .LBB846_224
.LBB846_222:                            ; =>This Inner Loop Header: Depth=1
	s_or_b64 s[44:45], s[44:45], exec
	s_cmp_eq_u64 s[38:39], s[46:47]
	s_cbranch_scc0 .LBB846_220
; %bb.223:                              ;   in Loop: Header=BB846_222 Depth=1
                                        ; implicit-def: $vgpr30_vgpr31
                                        ; implicit-def: $vgpr34_vgpr35
	s_mov_b64 s[46:47], s[26:27]
	s_branch .LBB846_221
.LBB846_224:
	s_or_b64 exec, exec, s[42:43]
	v_cmp_gt_i64_e32 vcc, s[26:27], v[36:37]
	s_orn2_b64 s[38:39], vcc, exec
.LBB846_225:
	s_or_b64 exec, exec, s[40:41]
.LBB846_226:
	v_mul_lo_u32 v34, v25, s26
	v_mul_lo_u32 v35, v24, s27
	v_mad_u64_u32 v[30:31], s[40:41], v24, s26, 0
	v_add3_u32 v31, v31, v35, v34
	s_and_b64 vcc, exec, s[4:5]
	v_lshl_add_u64 v[30:31], v[30:31], 3, s[28:29]
	s_cbranch_vccnz .LBB846_235
; %bb.227:
	global_load_dwordx2 v[34:35], v[30:31], off
	global_load_dwordx2 v[36:37], v[32:33], off
	s_mov_b64 s[36:37], -1
	s_waitcnt vmcnt(0)
	v_cmp_eq_f64_e32 vcc, v[34:35], v[36:37]
	s_and_saveexec_b64 s[40:41], vcc
	s_cbranch_execz .LBB846_234
; %bb.228:
	s_add_u32 s36, s26, -1
	v_lshl_add_u64 v[32:33], v[32:33], 0, 8
	v_lshl_add_u64 v[34:35], v[30:31], 0, 8
	s_addc_u32 s37, s27, -1
	s_mov_b64 s[42:43], 0
	s_mov_b64 s[46:47], 0
                                        ; implicit-def: $sgpr44_sgpr45
	s_branch .LBB846_231
.LBB846_229:                            ;   in Loop: Header=BB846_231 Depth=1
	global_load_dwordx2 v[36:37], v[34:35], off
	global_load_dwordx2 v[46:47], v[32:33], off
	s_add_u32 s46, s46, 1
	s_addc_u32 s47, s47, 0
	s_andn2_b64 s[44:45], s[44:45], exec
	v_lshl_add_u64 v[32:33], v[32:33], 0, 8
	v_lshl_add_u64 v[34:35], v[34:35], 0, 8
	s_waitcnt vmcnt(0)
	v_cmp_neq_f64_e32 vcc, v[36:37], v[46:47]
	s_and_b64 s[48:49], vcc, exec
	s_or_b64 s[44:45], s[44:45], s[48:49]
.LBB846_230:                            ;   in Loop: Header=BB846_231 Depth=1
	s_and_b64 s[48:49], exec, s[44:45]
	s_or_b64 s[42:43], s[48:49], s[42:43]
	v_mov_b64_e32 v[36:37], s[46:47]
	s_andn2_b64 exec, exec, s[42:43]
	s_cbranch_execz .LBB846_233
.LBB846_231:                            ; =>This Inner Loop Header: Depth=1
	s_or_b64 s[44:45], s[44:45], exec
	s_cmp_eq_u64 s[36:37], s[46:47]
	s_cbranch_scc0 .LBB846_229
; %bb.232:                              ;   in Loop: Header=BB846_231 Depth=1
                                        ; implicit-def: $vgpr32_vgpr33
                                        ; implicit-def: $vgpr34_vgpr35
	s_mov_b64 s[46:47], s[26:27]
	s_branch .LBB846_230
.LBB846_233:
	s_or_b64 exec, exec, s[42:43]
	v_cmp_gt_i64_e32 vcc, s[26:27], v[36:37]
	s_orn2_b64 s[36:37], vcc, exec
.LBB846_234:
	s_or_b64 exec, exec, s[40:41]
.LBB846_235:
	v_mul_lo_u32 v34, v23, s26
	v_mul_lo_u32 v35, v22, s27
	v_mad_u64_u32 v[32:33], s[40:41], v22, s26, 0
	v_add3_u32 v33, v33, v35, v34
	s_and_b64 vcc, exec, s[4:5]
	s_mov_b64 s[42:43], 0
	s_cbranch_vccnz .LBB846_244
; %bb.236:
	v_lshl_add_u64 v[34:35], v[32:33], 3, s[28:29]
	global_load_dwordx2 v[36:37], v[34:35], off
	global_load_dwordx2 v[46:47], v[30:31], off
	s_mov_b64 s[42:43], -1
	s_waitcnt vmcnt(0)
	v_cmp_eq_f64_e32 vcc, v[36:37], v[46:47]
	s_and_saveexec_b64 s[40:41], vcc
	s_cbranch_execz .LBB846_243
; %bb.237:
	s_add_u32 s42, s26, -1
	v_lshl_add_u64 v[30:31], v[30:31], 0, 8
	v_lshl_add_u64 v[34:35], v[34:35], 0, 8
	s_addc_u32 s43, s27, -1
	s_mov_b64 s[44:45], 0
	s_mov_b64 s[48:49], 0
                                        ; implicit-def: $sgpr46_sgpr47
	s_branch .LBB846_240
.LBB846_238:                            ;   in Loop: Header=BB846_240 Depth=1
	global_load_dwordx2 v[36:37], v[34:35], off
	global_load_dwordx2 v[46:47], v[30:31], off
	s_add_u32 s48, s48, 1
	s_addc_u32 s49, s49, 0
	s_andn2_b64 s[46:47], s[46:47], exec
	v_lshl_add_u64 v[30:31], v[30:31], 0, 8
	v_lshl_add_u64 v[34:35], v[34:35], 0, 8
	s_waitcnt vmcnt(0)
	v_cmp_neq_f64_e32 vcc, v[36:37], v[46:47]
	s_and_b64 s[50:51], vcc, exec
	s_or_b64 s[46:47], s[46:47], s[50:51]
.LBB846_239:                            ;   in Loop: Header=BB846_240 Depth=1
	s_and_b64 s[50:51], exec, s[46:47]
	s_or_b64 s[44:45], s[50:51], s[44:45]
	v_mov_b64_e32 v[36:37], s[48:49]
	s_andn2_b64 exec, exec, s[44:45]
	s_cbranch_execz .LBB846_242
.LBB846_240:                            ; =>This Inner Loop Header: Depth=1
	s_or_b64 s[46:47], s[46:47], exec
	s_cmp_eq_u64 s[42:43], s[48:49]
	s_cbranch_scc0 .LBB846_238
; %bb.241:                              ;   in Loop: Header=BB846_240 Depth=1
                                        ; implicit-def: $vgpr30_vgpr31
                                        ; implicit-def: $vgpr34_vgpr35
	s_mov_b64 s[48:49], s[26:27]
	s_branch .LBB846_239
.LBB846_242:
	s_or_b64 exec, exec, s[44:45]
	v_cmp_gt_i64_e32 vcc, s[26:27], v[36:37]
	s_orn2_b64 s[42:43], vcc, exec
.LBB846_243:
	s_or_b64 exec, exec, s[40:41]
.LBB846_244:
	v_cndmask_b32_e64 v31, 0, 1, s[38:39]
	v_cndmask_b32_e64 v30, 0, 1, s[36:37]
	v_cndmask_b32_e64 v47, 0, 1, s[18:19]
	v_lshlrev_b16_e32 v31, 8, v31
	v_cndmask_b32_e64 v46, 0, 1, s[14:15]
	v_cndmask_b32_e64 v34, 0, 1, s[42:43]
	v_or_b32_sdwa v30, v30, v31 dst_sel:WORD_1 dst_unused:UNUSED_PAD src0_sel:DWORD src1_sel:DWORD
	v_lshlrev_b16_e32 v31, 8, v47
	v_lshlrev_b16_e32 v34, 8, v34
	v_or_b32_e32 v31, v46, v31
	v_or_b32_e32 v34, 1, v34
	v_and_b32_e32 v31, 0xffff, v31
	v_cndmask_b32_e64 v48, 0, 1, s[12:13]
	v_or_b32_sdwa v30, v34, v30 dst_sel:DWORD dst_unused:UNUSED_PAD src0_sel:WORD_0 src1_sel:DWORD
	v_lshl_or_b32 v31, v48, 16, v31
	v_cmp_ne_u32_e32 vcc, 0, v0
	s_waitcnt lgkmcnt(0)
	s_barrier
	s_waitcnt lgkmcnt(0)
                                        ; implicit-def: $sgpr18_sgpr19
                                        ; implicit-def: $vgpr34
	s_and_saveexec_b64 s[12:13], vcc
	s_xor_b64 s[12:13], exec, s[12:13]
	s_cbranch_execz .LBB846_255
; %bb.245:
	s_mov_b32 s33, 0x3020104
	s_and_b64 vcc, exec, s[4:5]
	s_mov_b64 s[14:15], 0
	s_cbranch_vccnz .LBB846_254
; %bb.246:
	v_add_u32_e32 v31, -8, v44
	ds_read_b64 v[34:35], v31
	v_lshl_add_u64 v[32:33], v[32:33], 3, s[28:29]
	s_mov_b64 s[14:15], -1
	s_waitcnt lgkmcnt(0)
	v_mul_lo_u32 v31, v35, s26
	v_mul_lo_u32 v36, v34, s27
	v_mad_u64_u32 v[34:35], s[4:5], v34, s26, 0
	v_add3_u32 v35, v35, v36, v31
	v_lshl_add_u64 v[34:35], v[34:35], 3, s[28:29]
	global_load_dwordx2 v[36:37], v[34:35], off
	global_load_dwordx2 v[50:51], v[32:33], off
	s_waitcnt vmcnt(0)
	v_cmp_eq_f64_e32 vcc, v[36:37], v[50:51]
	s_and_saveexec_b64 s[4:5], vcc
	s_cbranch_execz .LBB846_253
; %bb.247:
	s_add_u32 s14, s26, -1
	v_lshl_add_u64 v[32:33], v[32:33], 0, 8
	v_lshl_add_u64 v[34:35], v[34:35], 0, 8
	s_addc_u32 s15, s27, -1
	s_mov_b64 s[18:19], 0
	s_mov_b64 s[38:39], 0
                                        ; implicit-def: $sgpr36_sgpr37
	s_branch .LBB846_250
.LBB846_248:                            ;   in Loop: Header=BB846_250 Depth=1
	global_load_dwordx2 v[36:37], v[34:35], off
	global_load_dwordx2 v[50:51], v[32:33], off
	s_add_u32 s38, s38, 1
	s_addc_u32 s39, s39, 0
	s_andn2_b64 s[36:37], s[36:37], exec
	v_lshl_add_u64 v[32:33], v[32:33], 0, 8
	v_lshl_add_u64 v[34:35], v[34:35], 0, 8
	s_waitcnt vmcnt(0)
	v_cmp_neq_f64_e32 vcc, v[36:37], v[50:51]
	s_and_b64 s[40:41], vcc, exec
	s_or_b64 s[36:37], s[36:37], s[40:41]
.LBB846_249:                            ;   in Loop: Header=BB846_250 Depth=1
	s_and_b64 s[40:41], exec, s[36:37]
	s_or_b64 s[18:19], s[40:41], s[18:19]
	v_mov_b64_e32 v[36:37], s[38:39]
	s_andn2_b64 exec, exec, s[18:19]
	s_cbranch_execz .LBB846_252
.LBB846_250:                            ; =>This Inner Loop Header: Depth=1
	s_or_b64 s[36:37], s[36:37], exec
	s_cmp_eq_u64 s[14:15], s[38:39]
	s_cbranch_scc0 .LBB846_248
; %bb.251:                              ;   in Loop: Header=BB846_250 Depth=1
                                        ; implicit-def: $vgpr32_vgpr33
                                        ; implicit-def: $vgpr34_vgpr35
	s_mov_b64 s[38:39], s[26:27]
	s_branch .LBB846_249
.LBB846_252:
	s_or_b64 exec, exec, s[18:19]
	v_cmp_gt_i64_e32 vcc, s[26:27], v[36:37]
	s_orn2_b64 s[14:15], vcc, exec
.LBB846_253:
	s_or_b64 exec, exec, s[4:5]
.LBB846_254:
	v_perm_b32 v34, v30, v30, s33
	s_and_b64 s[18:19], s[14:15], exec
	s_or_b64 s[10:11], s[10:11], exec
                                        ; implicit-def: $vgpr30_vgpr31
.LBB846_255:
	s_or_b64 exec, exec, s[12:13]
	s_branch .LBB846_336
.LBB846_256:
	v_cmp_gt_u32_e32 vcc, s3, v40
	s_mov_b64 s[12:13], 0
	s_mov_b64 s[4:5], 0
	s_and_saveexec_b64 s[14:15], vcc
	s_cbranch_execz .LBB846_267
; %bb.257:
	s_andn2_b64 vcc, exec, s[6:7]
	s_mov_b64 s[18:19], 0
	s_cbranch_vccnz .LBB846_266
; %bb.258:
	v_mul_lo_u32 v32, v17, s26
	v_mul_lo_u32 v33, v16, s27
	v_mad_u64_u32 v[30:31], s[4:5], v16, s26, 0
	v_add3_u32 v31, v31, v33, v32
	v_mul_lo_u32 v32, v29, s26
	v_mul_lo_u32 v33, v28, s27
	v_mad_u64_u32 v[34:35], s[4:5], v28, s26, 0
	v_add3_u32 v35, v35, v33, v32
	v_lshl_add_u64 v[32:33], v[30:31], 3, s[28:29]
	v_lshl_add_u64 v[30:31], v[34:35], 3, s[28:29]
	global_load_dwordx2 v[34:35], v[32:33], off
	global_load_dwordx2 v[36:37], v[30:31], off
	s_mov_b64 s[18:19], -1
	s_waitcnt vmcnt(0)
	v_cmp_eq_f64_e32 vcc, v[34:35], v[36:37]
	s_and_saveexec_b64 s[4:5], vcc
	s_cbranch_execz .LBB846_265
; %bb.259:
	s_add_u32 s18, s26, -1
	v_lshl_add_u64 v[30:31], v[30:31], 0, 8
	v_lshl_add_u64 v[32:33], v[32:33], 0, 8
	s_addc_u32 s19, s27, -1
	s_mov_b64 s[36:37], 0
	s_mov_b64 s[40:41], 0
                                        ; implicit-def: $sgpr38_sgpr39
	s_branch .LBB846_262
.LBB846_260:                            ;   in Loop: Header=BB846_262 Depth=1
	global_load_dwordx2 v[34:35], v[32:33], off
	global_load_dwordx2 v[36:37], v[30:31], off
	s_add_u32 s40, s40, 1
	s_addc_u32 s41, s41, 0
	s_andn2_b64 s[38:39], s[38:39], exec
	v_lshl_add_u64 v[30:31], v[30:31], 0, 8
	v_lshl_add_u64 v[32:33], v[32:33], 0, 8
	s_waitcnt vmcnt(0)
	v_cmp_neq_f64_e32 vcc, v[34:35], v[36:37]
	s_and_b64 s[42:43], vcc, exec
	s_or_b64 s[38:39], s[38:39], s[42:43]
.LBB846_261:                            ;   in Loop: Header=BB846_262 Depth=1
	s_and_b64 s[42:43], exec, s[38:39]
	s_or_b64 s[36:37], s[42:43], s[36:37]
	v_mov_b64_e32 v[34:35], s[40:41]
	s_andn2_b64 exec, exec, s[36:37]
	s_cbranch_execz .LBB846_264
.LBB846_262:                            ; =>This Inner Loop Header: Depth=1
	s_or_b64 s[38:39], s[38:39], exec
	s_cmp_eq_u64 s[18:19], s[40:41]
	s_cbranch_scc0 .LBB846_260
; %bb.263:                              ;   in Loop: Header=BB846_262 Depth=1
                                        ; implicit-def: $vgpr30_vgpr31
                                        ; implicit-def: $vgpr32_vgpr33
	s_mov_b64 s[40:41], s[26:27]
	s_branch .LBB846_261
.LBB846_264:
	s_or_b64 exec, exec, s[36:37]
	v_cmp_gt_i64_e32 vcc, s[26:27], v[34:35]
	s_orn2_b64 s[18:19], vcc, exec
.LBB846_265:
	s_or_b64 exec, exec, s[4:5]
.LBB846_266:
	s_and_b64 s[4:5], s[18:19], exec
.LBB846_267:
	s_or_b64 exec, exec, s[14:15]
	v_cmp_gt_u32_e32 vcc, s3, v43
	s_and_saveexec_b64 s[14:15], vcc
	s_cbranch_execz .LBB846_278
; %bb.268:
	s_andn2_b64 vcc, exec, s[6:7]
	s_mov_b64 s[18:19], 0
	s_cbranch_vccnz .LBB846_277
; %bb.269:
	v_mul_lo_u32 v32, v15, s26
	v_mul_lo_u32 v33, v14, s27
	v_mad_u64_u32 v[30:31], s[12:13], v14, s26, 0
	v_add3_u32 v31, v31, v33, v32
	v_mul_lo_u32 v32, v17, s26
	v_mul_lo_u32 v33, v16, s27
	v_mad_u64_u32 v[34:35], s[12:13], v16, s26, 0
	v_add3_u32 v35, v35, v33, v32
	v_lshl_add_u64 v[32:33], v[30:31], 3, s[28:29]
	v_lshl_add_u64 v[30:31], v[34:35], 3, s[28:29]
	global_load_dwordx2 v[34:35], v[32:33], off
	global_load_dwordx2 v[36:37], v[30:31], off
	s_mov_b64 s[18:19], -1
	s_waitcnt vmcnt(0)
	v_cmp_eq_f64_e32 vcc, v[34:35], v[36:37]
	s_and_saveexec_b64 s[12:13], vcc
	s_cbranch_execz .LBB846_276
; %bb.270:
	s_add_u32 s18, s26, -1
	v_lshl_add_u64 v[30:31], v[30:31], 0, 8
	v_lshl_add_u64 v[32:33], v[32:33], 0, 8
	s_addc_u32 s19, s27, -1
	s_mov_b64 s[36:37], 0
	s_mov_b64 s[40:41], 0
                                        ; implicit-def: $sgpr38_sgpr39
	s_branch .LBB846_273
.LBB846_271:                            ;   in Loop: Header=BB846_273 Depth=1
	global_load_dwordx2 v[34:35], v[32:33], off
	global_load_dwordx2 v[36:37], v[30:31], off
	s_add_u32 s40, s40, 1
	s_addc_u32 s41, s41, 0
	s_andn2_b64 s[38:39], s[38:39], exec
	v_lshl_add_u64 v[30:31], v[30:31], 0, 8
	v_lshl_add_u64 v[32:33], v[32:33], 0, 8
	s_waitcnt vmcnt(0)
	v_cmp_neq_f64_e32 vcc, v[34:35], v[36:37]
	s_and_b64 s[42:43], vcc, exec
	s_or_b64 s[38:39], s[38:39], s[42:43]
.LBB846_272:                            ;   in Loop: Header=BB846_273 Depth=1
	s_and_b64 s[42:43], exec, s[38:39]
	s_or_b64 s[36:37], s[42:43], s[36:37]
	v_mov_b64_e32 v[34:35], s[40:41]
	s_andn2_b64 exec, exec, s[36:37]
	s_cbranch_execz .LBB846_275
.LBB846_273:                            ; =>This Inner Loop Header: Depth=1
	s_or_b64 s[38:39], s[38:39], exec
	s_cmp_eq_u64 s[18:19], s[40:41]
	s_cbranch_scc0 .LBB846_271
; %bb.274:                              ;   in Loop: Header=BB846_273 Depth=1
                                        ; implicit-def: $vgpr30_vgpr31
                                        ; implicit-def: $vgpr32_vgpr33
	s_mov_b64 s[40:41], s[26:27]
	s_branch .LBB846_272
.LBB846_275:
	s_or_b64 exec, exec, s[36:37]
	v_cmp_gt_i64_e32 vcc, s[26:27], v[34:35]
	s_orn2_b64 s[18:19], vcc, exec
.LBB846_276:
	s_or_b64 exec, exec, s[12:13]
.LBB846_277:
	s_and_b64 s[12:13], s[18:19], exec
.LBB846_278:
	s_or_b64 exec, exec, s[14:15]
	v_cmp_gt_u32_e32 vcc, s3, v39
	s_mov_b64 s[18:19], 0
	s_mov_b64 s[14:15], 0
	s_and_saveexec_b64 s[36:37], vcc
	s_cbranch_execz .LBB846_289
; %bb.279:
	s_andn2_b64 vcc, exec, s[6:7]
	s_mov_b64 s[38:39], 0
	s_cbranch_vccnz .LBB846_288
; %bb.280:
	v_mul_lo_u32 v32, v21, s26
	v_mul_lo_u32 v33, v20, s27
	v_mad_u64_u32 v[30:31], s[14:15], v20, s26, 0
	v_add3_u32 v31, v31, v33, v32
	v_mul_lo_u32 v32, v15, s26
	v_mul_lo_u32 v33, v14, s27
	v_mad_u64_u32 v[34:35], s[14:15], v14, s26, 0
	v_add3_u32 v35, v35, v33, v32
	v_lshl_add_u64 v[32:33], v[30:31], 3, s[28:29]
	v_lshl_add_u64 v[30:31], v[34:35], 3, s[28:29]
	global_load_dwordx2 v[34:35], v[32:33], off
	global_load_dwordx2 v[36:37], v[30:31], off
	s_mov_b64 s[38:39], -1
	s_waitcnt vmcnt(0)
	v_cmp_eq_f64_e32 vcc, v[34:35], v[36:37]
	s_and_saveexec_b64 s[14:15], vcc
	s_cbranch_execz .LBB846_287
; %bb.281:
	s_add_u32 s38, s26, -1
	v_lshl_add_u64 v[30:31], v[30:31], 0, 8
	v_lshl_add_u64 v[32:33], v[32:33], 0, 8
	s_addc_u32 s39, s27, -1
	s_mov_b64 s[40:41], 0
	s_mov_b64 s[44:45], 0
                                        ; implicit-def: $sgpr42_sgpr43
	s_branch .LBB846_284
.LBB846_282:                            ;   in Loop: Header=BB846_284 Depth=1
	global_load_dwordx2 v[34:35], v[32:33], off
	global_load_dwordx2 v[36:37], v[30:31], off
	s_add_u32 s44, s44, 1
	s_addc_u32 s45, s45, 0
	s_andn2_b64 s[42:43], s[42:43], exec
	v_lshl_add_u64 v[30:31], v[30:31], 0, 8
	v_lshl_add_u64 v[32:33], v[32:33], 0, 8
	s_waitcnt vmcnt(0)
	v_cmp_neq_f64_e32 vcc, v[34:35], v[36:37]
	s_and_b64 s[46:47], vcc, exec
	s_or_b64 s[42:43], s[42:43], s[46:47]
.LBB846_283:                            ;   in Loop: Header=BB846_284 Depth=1
	s_and_b64 s[46:47], exec, s[42:43]
	s_or_b64 s[40:41], s[46:47], s[40:41]
	v_mov_b64_e32 v[34:35], s[44:45]
	s_andn2_b64 exec, exec, s[40:41]
	s_cbranch_execz .LBB846_286
.LBB846_284:                            ; =>This Inner Loop Header: Depth=1
	s_or_b64 s[42:43], s[42:43], exec
	s_cmp_eq_u64 s[38:39], s[44:45]
	s_cbranch_scc0 .LBB846_282
; %bb.285:                              ;   in Loop: Header=BB846_284 Depth=1
                                        ; implicit-def: $vgpr30_vgpr31
                                        ; implicit-def: $vgpr32_vgpr33
	s_mov_b64 s[44:45], s[26:27]
	s_branch .LBB846_283
.LBB846_286:
	s_or_b64 exec, exec, s[40:41]
	v_cmp_gt_i64_e32 vcc, s[26:27], v[34:35]
	s_orn2_b64 s[38:39], vcc, exec
.LBB846_287:
	s_or_b64 exec, exec, s[14:15]
.LBB846_288:
	s_and_b64 s[14:15], s[38:39], exec
.LBB846_289:
	s_or_b64 exec, exec, s[36:37]
	v_cmp_gt_u32_e32 vcc, s3, v42
	s_and_saveexec_b64 s[36:37], vcc
	s_cbranch_execz .LBB846_300
; %bb.290:
	s_andn2_b64 vcc, exec, s[6:7]
	s_mov_b64 s[38:39], 0
	s_cbranch_vccnz .LBB846_299
; %bb.291:
	v_mul_lo_u32 v32, v19, s26
	v_mul_lo_u32 v33, v18, s27
	v_mad_u64_u32 v[30:31], s[18:19], v18, s26, 0
	v_add3_u32 v31, v31, v33, v32
	v_mul_lo_u32 v32, v21, s26
	v_mul_lo_u32 v33, v20, s27
	v_mad_u64_u32 v[34:35], s[18:19], v20, s26, 0
	v_add3_u32 v35, v35, v33, v32
	v_lshl_add_u64 v[32:33], v[30:31], 3, s[28:29]
	v_lshl_add_u64 v[30:31], v[34:35], 3, s[28:29]
	global_load_dwordx2 v[34:35], v[32:33], off
	global_load_dwordx2 v[36:37], v[30:31], off
	s_mov_b64 s[38:39], -1
	s_waitcnt vmcnt(0)
	v_cmp_eq_f64_e32 vcc, v[34:35], v[36:37]
	s_and_saveexec_b64 s[18:19], vcc
	s_cbranch_execz .LBB846_298
; %bb.292:
	s_add_u32 s38, s26, -1
	v_lshl_add_u64 v[30:31], v[30:31], 0, 8
	v_lshl_add_u64 v[32:33], v[32:33], 0, 8
	s_addc_u32 s39, s27, -1
	s_mov_b64 s[40:41], 0
	s_mov_b64 s[44:45], 0
                                        ; implicit-def: $sgpr42_sgpr43
	s_branch .LBB846_295
.LBB846_293:                            ;   in Loop: Header=BB846_295 Depth=1
	global_load_dwordx2 v[34:35], v[32:33], off
	global_load_dwordx2 v[36:37], v[30:31], off
	s_add_u32 s44, s44, 1
	s_addc_u32 s45, s45, 0
	s_andn2_b64 s[42:43], s[42:43], exec
	v_lshl_add_u64 v[30:31], v[30:31], 0, 8
	v_lshl_add_u64 v[32:33], v[32:33], 0, 8
	s_waitcnt vmcnt(0)
	v_cmp_neq_f64_e32 vcc, v[34:35], v[36:37]
	s_and_b64 s[46:47], vcc, exec
	s_or_b64 s[42:43], s[42:43], s[46:47]
.LBB846_294:                            ;   in Loop: Header=BB846_295 Depth=1
	s_and_b64 s[46:47], exec, s[42:43]
	s_or_b64 s[40:41], s[46:47], s[40:41]
	v_mov_b64_e32 v[34:35], s[44:45]
	s_andn2_b64 exec, exec, s[40:41]
	s_cbranch_execz .LBB846_297
.LBB846_295:                            ; =>This Inner Loop Header: Depth=1
	s_or_b64 s[42:43], s[42:43], exec
	s_cmp_eq_u64 s[38:39], s[44:45]
	s_cbranch_scc0 .LBB846_293
; %bb.296:                              ;   in Loop: Header=BB846_295 Depth=1
                                        ; implicit-def: $vgpr30_vgpr31
                                        ; implicit-def: $vgpr32_vgpr33
	s_mov_b64 s[44:45], s[26:27]
	s_branch .LBB846_294
.LBB846_297:
	s_or_b64 exec, exec, s[40:41]
	v_cmp_gt_i64_e32 vcc, s[26:27], v[34:35]
	s_orn2_b64 s[38:39], vcc, exec
.LBB846_298:
	s_or_b64 exec, exec, s[18:19]
.LBB846_299:
	s_and_b64 s[18:19], s[38:39], exec
.LBB846_300:
	s_or_b64 exec, exec, s[36:37]
	v_cmp_gt_u32_e32 vcc, s3, v38
	s_mov_b64 s[36:37], 0
	s_mov_b64 s[38:39], 0
	s_and_saveexec_b64 s[40:41], vcc
	s_cbranch_execz .LBB846_311
; %bb.301:
	s_andn2_b64 vcc, exec, s[6:7]
	s_mov_b64 s[42:43], 0
	s_cbranch_vccnz .LBB846_310
; %bb.302:
	v_mul_lo_u32 v32, v25, s26
	v_mul_lo_u32 v33, v24, s27
	v_mad_u64_u32 v[30:31], s[38:39], v24, s26, 0
	v_add3_u32 v31, v31, v33, v32
	v_mul_lo_u32 v32, v19, s26
	v_mul_lo_u32 v33, v18, s27
	v_mad_u64_u32 v[34:35], s[38:39], v18, s26, 0
	v_add3_u32 v35, v35, v33, v32
	v_lshl_add_u64 v[32:33], v[30:31], 3, s[28:29]
	v_lshl_add_u64 v[30:31], v[34:35], 3, s[28:29]
	global_load_dwordx2 v[34:35], v[32:33], off
	global_load_dwordx2 v[36:37], v[30:31], off
	s_mov_b64 s[42:43], -1
	s_waitcnt vmcnt(0)
	v_cmp_eq_f64_e32 vcc, v[34:35], v[36:37]
	s_and_saveexec_b64 s[38:39], vcc
	s_cbranch_execz .LBB846_309
; %bb.303:
	s_add_u32 s42, s26, -1
	v_lshl_add_u64 v[30:31], v[30:31], 0, 8
	v_lshl_add_u64 v[32:33], v[32:33], 0, 8
	s_addc_u32 s43, s27, -1
	s_mov_b64 s[44:45], 0
	s_mov_b64 s[48:49], 0
                                        ; implicit-def: $sgpr46_sgpr47
	s_branch .LBB846_306
.LBB846_304:                            ;   in Loop: Header=BB846_306 Depth=1
	global_load_dwordx2 v[34:35], v[32:33], off
	global_load_dwordx2 v[36:37], v[30:31], off
	s_add_u32 s48, s48, 1
	s_addc_u32 s49, s49, 0
	s_andn2_b64 s[46:47], s[46:47], exec
	v_lshl_add_u64 v[30:31], v[30:31], 0, 8
	v_lshl_add_u64 v[32:33], v[32:33], 0, 8
	s_waitcnt vmcnt(0)
	v_cmp_neq_f64_e32 vcc, v[34:35], v[36:37]
	s_and_b64 s[50:51], vcc, exec
	s_or_b64 s[46:47], s[46:47], s[50:51]
.LBB846_305:                            ;   in Loop: Header=BB846_306 Depth=1
	s_and_b64 s[50:51], exec, s[46:47]
	s_or_b64 s[44:45], s[50:51], s[44:45]
	v_mov_b64_e32 v[34:35], s[48:49]
	s_andn2_b64 exec, exec, s[44:45]
	s_cbranch_execz .LBB846_308
.LBB846_306:                            ; =>This Inner Loop Header: Depth=1
	s_or_b64 s[46:47], s[46:47], exec
	s_cmp_eq_u64 s[42:43], s[48:49]
	s_cbranch_scc0 .LBB846_304
; %bb.307:                              ;   in Loop: Header=BB846_306 Depth=1
                                        ; implicit-def: $vgpr30_vgpr31
                                        ; implicit-def: $vgpr32_vgpr33
	s_mov_b64 s[48:49], s[26:27]
	s_branch .LBB846_305
.LBB846_308:
	s_or_b64 exec, exec, s[44:45]
	v_cmp_gt_i64_e32 vcc, s[26:27], v[34:35]
	s_orn2_b64 s[42:43], vcc, exec
.LBB846_309:
	s_or_b64 exec, exec, s[38:39]
.LBB846_310:
	s_and_b64 s[38:39], s[42:43], exec
.LBB846_311:
	s_or_b64 exec, exec, s[40:41]
	v_cmp_gt_u32_e32 vcc, s3, v41
	s_and_saveexec_b64 s[40:41], vcc
	s_cbranch_execz .LBB846_322
; %bb.312:
	s_andn2_b64 vcc, exec, s[6:7]
	s_mov_b64 s[42:43], 0
	s_cbranch_vccnz .LBB846_321
; %bb.313:
	v_mul_lo_u32 v32, v23, s26
	v_mul_lo_u32 v33, v22, s27
	v_mad_u64_u32 v[30:31], s[36:37], v22, s26, 0
	v_add3_u32 v31, v31, v33, v32
	v_mul_lo_u32 v32, v25, s26
	v_mul_lo_u32 v33, v24, s27
	v_mad_u64_u32 v[34:35], s[36:37], v24, s26, 0
	v_add3_u32 v35, v35, v33, v32
	v_lshl_add_u64 v[32:33], v[30:31], 3, s[28:29]
	v_lshl_add_u64 v[30:31], v[34:35], 3, s[28:29]
	global_load_dwordx2 v[34:35], v[32:33], off
	global_load_dwordx2 v[36:37], v[30:31], off
	s_mov_b64 s[42:43], -1
	s_waitcnt vmcnt(0)
	v_cmp_eq_f64_e32 vcc, v[34:35], v[36:37]
	s_and_saveexec_b64 s[36:37], vcc
	s_cbranch_execz .LBB846_320
; %bb.314:
	s_add_u32 s42, s26, -1
	v_lshl_add_u64 v[30:31], v[30:31], 0, 8
	v_lshl_add_u64 v[32:33], v[32:33], 0, 8
	s_addc_u32 s43, s27, -1
	s_mov_b64 s[44:45], 0
	s_mov_b64 s[48:49], 0
                                        ; implicit-def: $sgpr46_sgpr47
	s_branch .LBB846_317
.LBB846_315:                            ;   in Loop: Header=BB846_317 Depth=1
	global_load_dwordx2 v[34:35], v[32:33], off
	global_load_dwordx2 v[36:37], v[30:31], off
	s_add_u32 s48, s48, 1
	s_addc_u32 s49, s49, 0
	s_andn2_b64 s[46:47], s[46:47], exec
	v_lshl_add_u64 v[30:31], v[30:31], 0, 8
	v_lshl_add_u64 v[32:33], v[32:33], 0, 8
	s_waitcnt vmcnt(0)
	v_cmp_neq_f64_e32 vcc, v[34:35], v[36:37]
	s_and_b64 s[50:51], vcc, exec
	s_or_b64 s[46:47], s[46:47], s[50:51]
.LBB846_316:                            ;   in Loop: Header=BB846_317 Depth=1
	s_and_b64 s[50:51], exec, s[46:47]
	s_or_b64 s[44:45], s[50:51], s[44:45]
	v_mov_b64_e32 v[34:35], s[48:49]
	s_andn2_b64 exec, exec, s[44:45]
	s_cbranch_execz .LBB846_319
.LBB846_317:                            ; =>This Inner Loop Header: Depth=1
	s_or_b64 s[46:47], s[46:47], exec
	s_cmp_eq_u64 s[42:43], s[48:49]
	s_cbranch_scc0 .LBB846_315
; %bb.318:                              ;   in Loop: Header=BB846_317 Depth=1
                                        ; implicit-def: $vgpr30_vgpr31
                                        ; implicit-def: $vgpr32_vgpr33
	s_mov_b64 s[48:49], s[26:27]
	s_branch .LBB846_316
.LBB846_319:
	s_or_b64 exec, exec, s[44:45]
	v_cmp_gt_i64_e32 vcc, s[26:27], v[34:35]
	s_orn2_b64 s[42:43], vcc, exec
.LBB846_320:
	s_or_b64 exec, exec, s[36:37]
.LBB846_321:
	s_and_b64 s[36:37], s[42:43], exec
.LBB846_322:
	s_or_b64 exec, exec, s[40:41]
	v_cndmask_b32_e64 v31, 0, 1, s[18:19]
	v_cndmask_b32_e64 v30, 0, 1, s[38:39]
	;; [unrolled: 1-line block ×3, first 2 shown]
	v_lshlrev_b16_e32 v31, 8, v31
	v_cndmask_b32_e64 v46, 0, 1, s[14:15]
	v_cndmask_b32_e64 v32, 0, 1, s[36:37]
	v_or_b32_sdwa v30, v30, v31 dst_sel:WORD_1 dst_unused:UNUSED_PAD src0_sel:DWORD src1_sel:DWORD
	v_lshlrev_b16_e32 v31, 8, v47
	v_lshlrev_b16_e32 v32, 8, v32
	v_or_b32_e32 v31, v46, v31
	v_or_b32_e32 v32, 1, v32
	v_and_b32_e32 v31, 0xffff, v31
	v_cndmask_b32_e64 v48, 0, 1, s[4:5]
	v_or_b32_sdwa v30, v32, v30 dst_sel:DWORD dst_unused:UNUSED_PAD src0_sel:WORD_0 src1_sel:DWORD
	v_lshl_or_b32 v31, v48, 16, v31
	v_cmp_ne_u32_e32 vcc, 0, v0
	s_waitcnt lgkmcnt(0)
	s_barrier
	s_waitcnt lgkmcnt(0)
                                        ; implicit-def: $sgpr18_sgpr19
                                        ; implicit-def: $vgpr34
	s_and_saveexec_b64 s[4:5], vcc
	s_cbranch_execz .LBB846_335
; %bb.323:
	v_cmp_gt_u32_e32 vcc, s3, v1
	s_mov_b32 s33, 0x3020104
	s_mov_b64 s[14:15], 0
	s_and_saveexec_b64 s[12:13], vcc
	s_cbranch_execz .LBB846_334
; %bb.324:
	s_andn2_b64 vcc, exec, s[6:7]
	s_cbranch_vccnz .LBB846_333
; %bb.325:
	v_add_u32_e32 v31, -8, v44
	ds_read_b64 v[32:33], v31
	v_mul_lo_u32 v31, v23, s26
	v_mad_u64_u32 v[36:37], s[6:7], v22, s26, 0
	s_mov_b64 s[14:15], -1
	s_waitcnt lgkmcnt(0)
	v_mul_lo_u32 v34, v33, s26
	v_mul_lo_u32 v35, v32, s27
	v_mad_u64_u32 v[32:33], s[6:7], v32, s26, 0
	v_add3_u32 v33, v33, v35, v34
	v_mul_lo_u32 v34, v22, s27
	v_add3_u32 v37, v37, v34, v31
	v_lshl_add_u64 v[34:35], v[32:33], 3, s[28:29]
	v_lshl_add_u64 v[32:33], v[36:37], 3, s[28:29]
	global_load_dwordx2 v[36:37], v[34:35], off
	global_load_dwordx2 v[44:45], v[32:33], off
	s_waitcnt vmcnt(0)
	v_cmp_eq_f64_e32 vcc, v[36:37], v[44:45]
	s_and_saveexec_b64 s[6:7], vcc
	s_cbranch_execz .LBB846_332
; %bb.326:
	s_add_u32 s14, s26, -1
	v_lshl_add_u64 v[32:33], v[32:33], 0, 8
	v_lshl_add_u64 v[34:35], v[34:35], 0, 8
	s_addc_u32 s15, s27, -1
	s_mov_b64 s[18:19], 0
	s_mov_b64 s[36:37], 0
                                        ; implicit-def: $sgpr28_sgpr29
	s_branch .LBB846_329
.LBB846_327:                            ;   in Loop: Header=BB846_329 Depth=1
	global_load_dwordx2 v[36:37], v[34:35], off
	global_load_dwordx2 v[44:45], v[32:33], off
	s_add_u32 s36, s36, 1
	s_addc_u32 s37, s37, 0
	s_andn2_b64 s[28:29], s[28:29], exec
	v_lshl_add_u64 v[32:33], v[32:33], 0, 8
	v_lshl_add_u64 v[34:35], v[34:35], 0, 8
	s_waitcnt vmcnt(0)
	v_cmp_neq_f64_e32 vcc, v[36:37], v[44:45]
	s_and_b64 s[38:39], vcc, exec
	s_or_b64 s[28:29], s[28:29], s[38:39]
.LBB846_328:                            ;   in Loop: Header=BB846_329 Depth=1
	s_and_b64 s[38:39], exec, s[28:29]
	s_or_b64 s[18:19], s[38:39], s[18:19]
	v_mov_b64_e32 v[36:37], s[36:37]
	s_andn2_b64 exec, exec, s[18:19]
	s_cbranch_execz .LBB846_331
.LBB846_329:                            ; =>This Inner Loop Header: Depth=1
	s_or_b64 s[28:29], s[28:29], exec
	s_cmp_eq_u64 s[14:15], s[36:37]
	s_cbranch_scc0 .LBB846_327
; %bb.330:                              ;   in Loop: Header=BB846_329 Depth=1
                                        ; implicit-def: $vgpr32_vgpr33
                                        ; implicit-def: $vgpr34_vgpr35
	s_mov_b64 s[36:37], s[26:27]
	s_branch .LBB846_328
.LBB846_331:
	s_or_b64 exec, exec, s[18:19]
	v_cmp_gt_i64_e32 vcc, s[26:27], v[36:37]
	s_orn2_b64 s[14:15], vcc, exec
.LBB846_332:
	s_or_b64 exec, exec, s[6:7]
.LBB846_333:
	s_and_b64 s[14:15], s[14:15], exec
.LBB846_334:
	s_or_b64 exec, exec, s[12:13]
	v_perm_b32 v34, v30, v30, s33
	s_and_b64 s[18:19], s[14:15], exec
	s_or_b64 s[10:11], s[10:11], exec
                                        ; implicit-def: $vgpr30_vgpr31
.LBB846_335:
	s_or_b64 exec, exec, s[4:5]
.LBB846_336:
	s_and_saveexec_b64 s[4:5], s[10:11]
	s_cbranch_execz .LBB846_338
; %bb.337:
	s_waitcnt lgkmcnt(0)
	v_lshlrev_b16_e32 v31, 8, v47
	v_and_b32_e32 v32, 0xff, v48
	v_or_b32_sdwa v31, v46, v31 dst_sel:DWORD dst_unused:UNUSED_PAD src0_sel:BYTE_0 src1_sel:DWORD
	v_lshlrev_b32_e32 v32, 16, v32
	s_movk_i32 s6, 0xff
	v_or_b32_sdwa v31, v31, v32 dst_sel:DWORD dst_unused:UNUSED_PAD src0_sel:WORD_0 src1_sel:DWORD
	v_lshrrev_b32_e32 v32, 24, v34
	v_lshlrev_b16_e32 v32, 8, v32
	v_and_b32_sdwa v33, v34, s6 dst_sel:DWORD dst_unused:UNUSED_PAD src0_sel:WORD_1 src1_sel:DWORD
	v_or_b32_sdwa v32, v33, v32 dst_sel:WORD_1 dst_unused:UNUSED_PAD src0_sel:DWORD src1_sel:DWORD
	v_mov_b32_e32 v33, 8
	v_cndmask_b32_e64 v30, 0, 1, s[18:19]
	v_lshrrev_b32_sdwa v33, v33, v34 dst_sel:BYTE_1 dst_unused:UNUSED_PAD src0_sel:DWORD src1_sel:DWORD
	s_nop 0
	v_or_b32_e32 v30, v30, v33
	v_or_b32_sdwa v30, v30, v32 dst_sel:DWORD dst_unused:UNUSED_PAD src0_sel:WORD_0 src1_sel:DWORD
.LBB846_338:
	s_or_b64 exec, exec, s[4:5]
	s_andn2_b64 vcc, exec, s[8:9]
	s_cbranch_vccnz .LBB846_340
; %bb.339:
	s_waitcnt lgkmcnt(0)
	v_and_b32_e32 v32, 0xffff0000, v30
	v_cmp_gt_u32_e32 vcc, s3, v1
	s_mov_b32 s4, 0x40c0100
	s_nop 0
	v_cndmask_b32_e32 v1, v32, v30, vcc
	v_and_b32_e32 v1, 0xffff00ff, v1
	v_cmp_gt_u32_e32 vcc, s3, v41
	s_nop 1
	v_cndmask_b32_e32 v1, v1, v30, vcc
	v_lshrrev_b32_e32 v32, 24, v1
	v_perm_b32 v1, v32, v1, s4
	v_cmp_gt_u32_e32 vcc, s3, v38
	v_and_b32_e32 v32, 0xffffff00, v31
	s_nop 0
	v_cndmask_b32_e32 v1, v1, v30, vcc
	v_and_b32_e32 v1, 0xffffff, v1
	v_cmp_gt_u32_e32 vcc, s3, v42
	s_nop 1
	v_cndmask_b32_e32 v1, v1, v30, vcc
	v_cmp_gt_u32_e32 vcc, s3, v39
	s_nop 1
	v_cndmask_b32_e32 v32, v32, v31, vcc
	v_and_b32_e32 v32, 0xffff00ff, v32
	v_cndmask_b32_e32 v1, v1, v30, vcc
	v_cmp_gt_u32_e32 vcc, s3, v43
	s_nop 1
	v_cndmask_b32_e32 v32, v32, v31, vcc
	v_lshrrev_b32_e32 v33, 24, v32
	v_cndmask_b32_e32 v1, v1, v30, vcc
	v_perm_b32 v32, v33, v32, s4
	v_cmp_gt_u32_e32 vcc, s3, v40
	s_mov_b32 s3, 0x3020104
	s_nop 0
	v_cndmask_b32_e32 v1, v1, v30, vcc
	v_cndmask_b32_e32 v30, v32, v31, vcc
	v_mov_b32_e32 v31, 8
	v_lshrrev_b32_sdwa v31, v31, v30 dst_sel:BYTE_1 dst_unused:UNUSED_PAD src0_sel:DWORD src1_sel:DWORD
	s_nop 0
	v_or_b32_sdwa v31, v30, v31 dst_sel:DWORD dst_unused:UNUSED_PAD src0_sel:BYTE_0 src1_sel:DWORD
	v_and_b32_e32 v31, 0xffff, v31
	v_bfe_u32 v30, v30, 16, 8
	v_lshl_or_b32 v31, v30, 16, v31
	v_perm_b32 v30, v1, v1, s3
.LBB846_340:
	s_waitcnt lgkmcnt(0)
	v_and_b32_e32 v1, 0xff, v30
	v_bfe_u32 v43, v30, 8, 8
	v_bfe_u32 v45, v30, 16, 8
	v_alignbit_b32 v32, v31, v30, 24
	v_and_b32_e32 v47, 0xff, v32
	v_and_b32_e32 v48, 0xff, v31
	v_add3_u32 v33, v43, v1, v45
	v_bfe_u32 v49, v31, 8, 8
	v_bfe_u32 v32, v31, 16, 8
	v_add3_u32 v33, v33, v47, v48
	v_add3_u32 v52, v33, v49, v32
	v_mbcnt_lo_u32_b32 v32, -1, 0
	v_mbcnt_hi_u32_b32 v50, -1, v32
	v_and_b32_e32 v32, 15, v50
	v_cmp_eq_u32_e64 s[14:15], 0, v32
	v_cmp_lt_u32_e64 s[12:13], 1, v32
	v_cmp_lt_u32_e64 s[10:11], 3, v32
	;; [unrolled: 1-line block ×3, first 2 shown]
	v_and_b32_e32 v32, 16, v50
	v_cmp_eq_u32_e64 s[6:7], 0, v32
	v_or_b32_e32 v32, 63, v0
	v_cmp_lt_u32_e64 s[18:19], 31, v50
	v_lshrrev_b32_e32 v51, 6, v0
	v_cmp_eq_u32_e64 s[4:5], v32, v0
	s_and_b64 vcc, exec, s[16:17]
	s_barrier
	s_cbranch_vccz .LBB846_367
; %bb.341:
	v_mov_b32_dpp v32, v52 row_shr:1 row_mask:0xf bank_mask:0xf
	v_cndmask_b32_e64 v32, v32, 0, s[14:15]
	v_add_u32_e32 v32, v32, v52
	s_nop 1
	v_mov_b32_dpp v33, v32 row_shr:2 row_mask:0xf bank_mask:0xf
	v_cndmask_b32_e64 v33, 0, v33, s[12:13]
	v_add_u32_e32 v32, v32, v33
	s_nop 1
	;; [unrolled: 4-line block ×4, first 2 shown]
	v_mov_b32_dpp v33, v32 row_bcast:15 row_mask:0xf bank_mask:0xf
	v_cndmask_b32_e64 v33, v33, 0, s[6:7]
	v_add_u32_e32 v32, v32, v33
	s_nop 1
	v_mov_b32_dpp v33, v32 row_bcast:31 row_mask:0xf bank_mask:0xf
	v_cndmask_b32_e64 v33, 0, v33, s[18:19]
	v_add_u32_e32 v32, v32, v33
	s_and_saveexec_b64 s[16:17], s[4:5]
	s_cbranch_execz .LBB846_343
; %bb.342:
	v_lshlrev_b32_e32 v33, 2, v51
	ds_write_b32 v33, v32
.LBB846_343:
	s_or_b64 exec, exec, s[16:17]
	v_cmp_gt_u32_e32 vcc, 8, v0
	s_waitcnt lgkmcnt(0)
	s_barrier
	s_and_saveexec_b64 s[16:17], vcc
	s_cbranch_execz .LBB846_345
; %bb.344:
	v_lshlrev_b32_e32 v33, 2, v0
	ds_read_b32 v34, v33
	v_and_b32_e32 v35, 7, v50
	v_cmp_ne_u32_e32 vcc, 0, v35
	s_waitcnt lgkmcnt(0)
	v_mov_b32_dpp v36, v34 row_shr:1 row_mask:0xf bank_mask:0xf
	v_cndmask_b32_e32 v36, 0, v36, vcc
	v_add_u32_e32 v34, v36, v34
	v_cmp_lt_u32_e32 vcc, 1, v35
	s_nop 0
	v_mov_b32_dpp v36, v34 row_shr:2 row_mask:0xf bank_mask:0xf
	v_cndmask_b32_e32 v36, 0, v36, vcc
	v_add_u32_e32 v34, v34, v36
	v_cmp_lt_u32_e32 vcc, 3, v35
	s_nop 0
	v_mov_b32_dpp v36, v34 row_shr:4 row_mask:0xf bank_mask:0xf
	v_cndmask_b32_e32 v35, 0, v36, vcc
	v_add_u32_e32 v34, v34, v35
	ds_write_b32 v33, v34
.LBB846_345:
	s_or_b64 exec, exec, s[16:17]
	v_cmp_gt_u32_e32 vcc, 64, v0
	v_cmp_lt_u32_e64 s[16:17], 63, v0
	s_waitcnt lgkmcnt(0)
	s_barrier
	s_waitcnt lgkmcnt(0)
                                        ; implicit-def: $vgpr42
	s_and_saveexec_b64 s[26:27], s[16:17]
	s_cbranch_execz .LBB846_347
; %bb.346:
	v_lshl_add_u32 v33, v51, 2, -4
	ds_read_b32 v42, v33
	s_waitcnt lgkmcnt(0)
	v_add_u32_e32 v32, v42, v32
.LBB846_347:
	s_or_b64 exec, exec, s[26:27]
	v_add_u32_e32 v33, -1, v50
	v_and_b32_e32 v34, 64, v50
	v_cmp_lt_i32_e64 s[16:17], v33, v34
	s_nop 1
	v_cndmask_b32_e64 v33, v33, v50, s[16:17]
	v_lshlrev_b32_e32 v33, 2, v33
	ds_bpermute_b32 v44, v33, v32
	v_cmp_eq_u32_e64 s[16:17], 0, v50
	s_and_saveexec_b64 s[26:27], vcc
	s_cbranch_execz .LBB846_366
; %bb.348:
	v_mov_b32_e32 v39, 0
	ds_read_b32 v32, v39 offset:28
	s_and_saveexec_b64 s[28:29], s[16:17]
	s_cbranch_execz .LBB846_350
; %bb.349:
	s_add_i32 s36, s2, 64
	s_mov_b32 s37, 0
	s_lshl_b64 s[36:37], s[36:37], 3
	s_add_u32 s36, s30, s36
	v_mov_b32_e32 v33, 1
	s_addc_u32 s37, s31, s37
	s_waitcnt lgkmcnt(0)
	global_store_dwordx2 v39, v[32:33], s[36:37] sc1
.LBB846_350:
	s_or_b64 exec, exec, s[28:29]
	v_xad_u32 v34, v50, -1, s2
	v_add_u32_e32 v38, 64, v34
	v_lshl_add_u64 v[40:41], v[38:39], 3, s[30:31]
	global_load_dwordx2 v[36:37], v[40:41], off sc1
	s_waitcnt vmcnt(0)
	v_cmp_eq_u16_sdwa s[36:37], v37, v39 src0_sel:BYTE_0 src1_sel:DWORD
	s_and_saveexec_b64 s[28:29], s[36:37]
	s_cbranch_execz .LBB846_354
; %bb.351:
	s_mov_b64 s[36:37], 0
	v_mov_b32_e32 v33, 0
.LBB846_352:                            ; =>This Inner Loop Header: Depth=1
	global_load_dwordx2 v[36:37], v[40:41], off sc1
	s_waitcnt vmcnt(0)
	v_cmp_ne_u16_sdwa s[38:39], v37, v33 src0_sel:BYTE_0 src1_sel:DWORD
	s_or_b64 s[36:37], s[38:39], s[36:37]
	s_andn2_b64 exec, exec, s[36:37]
	s_cbranch_execnz .LBB846_352
; %bb.353:
	s_or_b64 exec, exec, s[36:37]
.LBB846_354:
	s_or_b64 exec, exec, s[28:29]
	v_and_b32_e32 v46, 63, v50
	v_mov_b32_e32 v33, 2
	v_cmp_ne_u32_e32 vcc, 63, v46
	v_cmp_eq_u16_sdwa s[28:29], v37, v33 src0_sel:BYTE_0 src1_sel:DWORD
	v_lshlrev_b64 v[38:39], v50, -1
	v_addc_co_u32_e32 v41, vcc, 0, v50, vcc
	v_and_b32_e32 v35, s29, v39
	v_lshlrev_b32_e32 v53, 2, v41
	v_or_b32_e32 v35, 0x80000000, v35
	ds_bpermute_b32 v41, v53, v36
	v_and_b32_e32 v40, s28, v38
	v_ffbl_b32_e32 v35, v35
	v_add_u32_e32 v35, 32, v35
	v_ffbl_b32_e32 v40, v40
	v_min_u32_e32 v35, v40, v35
	v_cmp_lt_u32_e32 vcc, v46, v35
	v_add_u32_e32 v55, 2, v46
	v_add_u32_e32 v57, 4, v46
	s_waitcnt lgkmcnt(0)
	v_cndmask_b32_e32 v40, 0, v41, vcc
	v_cmp_gt_u32_e32 vcc, 62, v46
	v_add_u32_e32 v36, v40, v36
	v_add_u32_e32 v59, 8, v46
	v_cndmask_b32_e64 v40, 0, 1, vcc
	v_lshlrev_b32_e32 v40, 1, v40
	v_add_lshl_u32 v54, v40, v50, 2
	ds_bpermute_b32 v40, v54, v36
	v_cmp_le_u32_e32 vcc, v55, v35
	v_add_u32_e32 v62, 16, v46
	v_add_u32_e32 v64, 32, v46
	s_waitcnt lgkmcnt(0)
	v_cndmask_b32_e32 v40, 0, v40, vcc
	v_cmp_gt_u32_e32 vcc, 60, v46
	v_add_u32_e32 v36, v36, v40
	s_nop 0
	v_cndmask_b32_e64 v40, 0, 1, vcc
	v_lshlrev_b32_e32 v40, 2, v40
	v_add_lshl_u32 v56, v40, v50, 2
	ds_bpermute_b32 v40, v56, v36
	v_cmp_le_u32_e32 vcc, v57, v35
	s_waitcnt lgkmcnt(0)
	s_nop 0
	v_cndmask_b32_e32 v40, 0, v40, vcc
	v_cmp_gt_u32_e32 vcc, 56, v46
	v_add_u32_e32 v36, v36, v40
	s_nop 0
	v_cndmask_b32_e64 v40, 0, 1, vcc
	v_lshlrev_b32_e32 v40, 3, v40
	v_add_lshl_u32 v58, v40, v50, 2
	ds_bpermute_b32 v40, v58, v36
	v_cmp_le_u32_e32 vcc, v59, v35
	s_waitcnt lgkmcnt(0)
	s_nop 0
	;; [unrolled: 11-line block ×4, first 2 shown]
	v_cndmask_b32_e32 v35, 0, v40, vcc
	v_add_u32_e32 v36, v36, v35
	v_mov_b32_e32 v35, 0
	s_branch .LBB846_356
.LBB846_355:                            ;   in Loop: Header=BB846_356 Depth=1
	s_or_b64 exec, exec, s[28:29]
	v_cmp_eq_u16_sdwa s[28:29], v37, v33 src0_sel:BYTE_0 src1_sel:DWORD
	ds_bpermute_b32 v65, v53, v36
	v_subrev_u32_e32 v34, 64, v34
	v_and_b32_e32 v40, s29, v39
	v_or_b32_e32 v40, 0x80000000, v40
	v_and_b32_e32 v41, s28, v38
	v_ffbl_b32_e32 v40, v40
	v_add_u32_e32 v40, 32, v40
	v_ffbl_b32_e32 v41, v41
	v_min_u32_e32 v40, v41, v40
	v_cmp_lt_u32_e32 vcc, v46, v40
	s_waitcnt lgkmcnt(0)
	s_nop 0
	v_cndmask_b32_e32 v41, 0, v65, vcc
	v_add_u32_e32 v36, v41, v36
	ds_bpermute_b32 v41, v54, v36
	v_cmp_le_u32_e32 vcc, v55, v40
	s_waitcnt lgkmcnt(0)
	s_nop 0
	v_cndmask_b32_e32 v41, 0, v41, vcc
	v_add_u32_e32 v36, v36, v41
	ds_bpermute_b32 v41, v56, v36
	v_cmp_le_u32_e32 vcc, v57, v40
	;; [unrolled: 6-line block ×5, first 2 shown]
	s_waitcnt lgkmcnt(0)
	s_nop 0
	v_cndmask_b32_e32 v40, 0, v41, vcc
	v_add3_u32 v36, v40, v60, v36
.LBB846_356:                            ; =>This Loop Header: Depth=1
                                        ;     Child Loop BB846_359 Depth 2
	v_cmp_ne_u16_sdwa s[28:29], v37, v33 src0_sel:BYTE_0 src1_sel:DWORD
	v_mov_b32_e32 v60, v36
	s_nop 0
	v_cndmask_b32_e64 v37, 0, 1, s[28:29]
	;;#ASMSTART
	;;#ASMEND
	s_nop 0
	v_cmp_ne_u32_e32 vcc, 0, v37
	s_cmp_lg_u64 vcc, exec
	s_cbranch_scc1 .LBB846_361
; %bb.357:                              ;   in Loop: Header=BB846_356 Depth=1
	v_lshl_add_u64 v[40:41], v[34:35], 3, s[30:31]
	global_load_dwordx2 v[36:37], v[40:41], off sc1
	s_waitcnt vmcnt(0)
	v_cmp_eq_u16_sdwa s[36:37], v37, v35 src0_sel:BYTE_0 src1_sel:DWORD
	s_and_saveexec_b64 s[28:29], s[36:37]
	s_cbranch_execz .LBB846_355
; %bb.358:                              ;   in Loop: Header=BB846_356 Depth=1
	s_mov_b64 s[36:37], 0
.LBB846_359:                            ;   Parent Loop BB846_356 Depth=1
                                        ; =>  This Inner Loop Header: Depth=2
	global_load_dwordx2 v[36:37], v[40:41], off sc1
	s_waitcnt vmcnt(0)
	v_cmp_ne_u16_sdwa s[38:39], v37, v35 src0_sel:BYTE_0 src1_sel:DWORD
	s_or_b64 s[36:37], s[38:39], s[36:37]
	s_andn2_b64 exec, exec, s[36:37]
	s_cbranch_execnz .LBB846_359
; %bb.360:                              ;   in Loop: Header=BB846_356 Depth=1
	s_or_b64 exec, exec, s[36:37]
	s_branch .LBB846_355
.LBB846_361:                            ;   in Loop: Header=BB846_356 Depth=1
                                        ; implicit-def: $vgpr36
                                        ; implicit-def: $vgpr37
	s_cbranch_execz .LBB846_356
; %bb.362:
	s_and_saveexec_b64 s[28:29], s[16:17]
	s_cbranch_execz .LBB846_364
; %bb.363:
	s_add_i32 s2, s2, 64
	s_mov_b32 s3, 0
	s_lshl_b64 s[2:3], s[2:3], 3
	s_add_u32 s2, s30, s2
	v_add_u32_e32 v34, v60, v32
	v_mov_b32_e32 v35, 2
	s_addc_u32 s3, s31, s3
	v_mov_b32_e32 v33, 0
	global_store_dwordx2 v33, v[34:35], s[2:3] sc1
	s_movk_i32 s2, 0x7000
	v_add_u32_e64 v33, s2, 0
	ds_write2_b32 v33, v32, v60 offset1:2
.LBB846_364:
	s_or_b64 exec, exec, s[28:29]
	v_cmp_eq_u32_e32 vcc, 0, v0
	s_and_b64 exec, exec, vcc
	s_cbranch_execz .LBB846_366
; %bb.365:
	v_mov_b32_e32 v32, 0
	ds_write_b32 v32, v60 offset:28
.LBB846_366:
	s_or_b64 exec, exec, s[26:27]
	v_mov_b32_e32 v32, 0
	s_waitcnt lgkmcnt(0)
	s_barrier
	ds_read_b32 v32, v32 offset:28
	v_cndmask_b32_e64 v33, v44, v42, s[16:17]
	v_cmp_ne_u32_e32 vcc, 0, v0
	s_movk_i32 s2, 0x7000
	s_waitcnt lgkmcnt(0)
	v_cndmask_b32_e32 v33, 0, v33, vcc
	v_add_u32_e32 v46, v32, v33
	v_add_u32_e64 v32, s2, 0
	v_add_u32_e32 v44, v46, v1
	s_barrier
	ds_read2_b32 v[32:33], v32 offset1:2
	v_add_u32_e32 v42, v44, v43
	v_add_u32_e32 v40, v42, v45
	;; [unrolled: 1-line block ×5, first 2 shown]
	s_waitcnt lgkmcnt(0)
	v_readfirstlane_b32 s26, v32
	v_readfirstlane_b32 s16, v33
	v_lshrrev_b64 v[32:33], 24, v[30:31]
	s_branch .LBB846_377
.LBB846_367:
                                        ; implicit-def: $vgpr34
                                        ; implicit-def: $vgpr36
                                        ; implicit-def: $vgpr38
                                        ; implicit-def: $vgpr40
                                        ; implicit-def: $vgpr42
                                        ; implicit-def: $vgpr44
                                        ; implicit-def: $vgpr46
                                        ; implicit-def: $sgpr16
                                        ; implicit-def: $sgpr26
	v_lshrrev_b64 v[32:33], 24, v[30:31]
	s_cbranch_execz .LBB846_377
; %bb.368:
	s_nop 0
	v_mov_b32_dpp v33, v52 row_shr:1 row_mask:0xf bank_mask:0xf
	v_cndmask_b32_e64 v33, v33, 0, s[14:15]
	v_add_u32_e32 v33, v33, v52
	s_nop 1
	v_mov_b32_dpp v34, v33 row_shr:2 row_mask:0xf bank_mask:0xf
	v_cndmask_b32_e64 v34, 0, v34, s[12:13]
	v_add_u32_e32 v33, v33, v34
	;; [unrolled: 4-line block ×4, first 2 shown]
	s_nop 1
	v_mov_b32_dpp v34, v33 row_bcast:15 row_mask:0xf bank_mask:0xf
	v_cndmask_b32_e64 v34, v34, 0, s[6:7]
	v_add_u32_e32 v33, v33, v34
	s_nop 1
	v_mov_b32_dpp v34, v33 row_bcast:31 row_mask:0xf bank_mask:0xf
	v_cndmask_b32_e64 v34, 0, v34, s[18:19]
	v_add_u32_e32 v33, v33, v34
	s_and_saveexec_b64 s[2:3], s[4:5]
	s_cbranch_execz .LBB846_370
; %bb.369:
	v_lshlrev_b32_e32 v34, 2, v51
	ds_write_b32 v34, v33
.LBB846_370:
	s_or_b64 exec, exec, s[2:3]
	v_cmp_gt_u32_e32 vcc, 8, v0
	s_waitcnt lgkmcnt(0)
	s_barrier
	s_and_saveexec_b64 s[2:3], vcc
	s_cbranch_execz .LBB846_372
; %bb.371:
	v_lshlrev_b32_e32 v34, 2, v0
	ds_read_b32 v35, v34
	v_and_b32_e32 v36, 7, v50
	v_cmp_ne_u32_e32 vcc, 0, v36
	s_waitcnt lgkmcnt(0)
	v_mov_b32_dpp v37, v35 row_shr:1 row_mask:0xf bank_mask:0xf
	v_cndmask_b32_e32 v37, 0, v37, vcc
	v_add_u32_e32 v35, v37, v35
	v_cmp_lt_u32_e32 vcc, 1, v36
	s_nop 0
	v_mov_b32_dpp v37, v35 row_shr:2 row_mask:0xf bank_mask:0xf
	v_cndmask_b32_e32 v37, 0, v37, vcc
	v_add_u32_e32 v35, v35, v37
	v_cmp_lt_u32_e32 vcc, 3, v36
	s_nop 0
	v_mov_b32_dpp v37, v35 row_shr:4 row_mask:0xf bank_mask:0xf
	v_cndmask_b32_e32 v36, 0, v37, vcc
	v_add_u32_e32 v35, v35, v36
	ds_write_b32 v34, v35
.LBB846_372:
	s_or_b64 exec, exec, s[2:3]
	v_cmp_lt_u32_e32 vcc, 63, v0
	v_mov_b32_e32 v35, 0
	v_mov_b32_e32 v34, 0
	s_waitcnt lgkmcnt(0)
	s_barrier
	s_and_saveexec_b64 s[2:3], vcc
	s_cbranch_execz .LBB846_374
; %bb.373:
	v_lshl_add_u32 v34, v51, 2, -4
	ds_read_b32 v34, v34
.LBB846_374:
	s_or_b64 exec, exec, s[2:3]
	v_add_u32_e32 v36, -1, v50
	v_and_b32_e32 v37, 64, v50
	v_cmp_lt_i32_e32 vcc, v36, v37
	s_waitcnt lgkmcnt(0)
	v_add_u32_e32 v33, v34, v33
	ds_read_b32 v35, v35 offset:28
	v_cndmask_b32_e32 v36, v36, v50, vcc
	v_lshlrev_b32_e32 v36, 2, v36
	ds_bpermute_b32 v33, v36, v33
	s_mov_b32 s16, 0
	v_cmp_eq_u32_e32 vcc, 0, v0
	s_waitcnt lgkmcnt(1)
	v_readfirstlane_b32 s26, v35
	s_and_saveexec_b64 s[2:3], vcc
	s_cbranch_execz .LBB846_376
; %bb.375:
	v_mov_b32_e32 v35, 0
	v_mov_b32_e32 v36, s26
	;; [unrolled: 1-line block ×3, first 2 shown]
	global_store_dwordx2 v35, v[36:37], s[30:31] offset:512 sc1
.LBB846_376:
	s_or_b64 exec, exec, s[2:3]
	v_cmp_eq_u32_e64 s[2:3], 0, v50
	s_waitcnt lgkmcnt(0)
	s_barrier
	v_cndmask_b32_e64 v33, v33, v34, s[2:3]
	v_cndmask_b32_e64 v46, v33, 0, vcc
	v_add_u32_e32 v44, v46, v1
	v_add_u32_e32 v42, v44, v43
	;; [unrolled: 1-line block ×6, first 2 shown]
.LBB846_377:
	s_load_dwordx4 s[4:7], s[0:1], 0x28
	s_cmpk_lt_u32 s26, 0x201
	s_cselect_b64 s[2:3], -1, 0
	v_lshrrev_b32_e32 v33, 8, v30
	v_lshrrev_b32_e32 v1, 8, v31
	s_mov_b64 s[0:1], -1
	s_and_b64 vcc, exec, s[2:3]
	s_cbranch_vccz .LBB846_400
; %bb.378:
	s_add_i32 s8, s16, s26
	v_cmp_gt_u32_e32 vcc, s8, v46
	s_or_b64 s[10:11], s[34:35], vcc
	s_and_saveexec_b64 s[0:1], s[10:11]
	s_cbranch_execz .LBB846_381
; %bb.379:
	v_and_b32_e32 v35, 1, v30
	v_cmp_eq_u32_e32 vcc, 1, v35
	s_and_b64 exec, exec, vcc
	s_cbranch_execz .LBB846_381
; %bb.380:
	s_lshl_b64 s[10:11], s[22:23], 3
	s_waitcnt lgkmcnt(0)
	s_add_u32 s10, s4, s10
	s_addc_u32 s11, s5, s11
	v_mov_b32_e32 v47, 0
	v_lshl_add_u64 v[48:49], v[46:47], 3, s[10:11]
	global_store_dwordx2 v[48:49], v[22:23], off
.LBB846_381:
	s_or_b64 exec, exec, s[0:1]
	v_cmp_gt_u32_e32 vcc, s8, v44
	s_or_b64 s[10:11], s[34:35], vcc
	s_and_saveexec_b64 s[0:1], s[10:11]
	s_cbranch_execz .LBB846_384
; %bb.382:
	v_and_b32_e32 v35, 1, v33
	v_cmp_eq_u32_e32 vcc, 1, v35
	s_and_b64 exec, exec, vcc
	s_cbranch_execz .LBB846_384
; %bb.383:
	s_lshl_b64 s[10:11], s[22:23], 3
	s_waitcnt lgkmcnt(0)
	s_add_u32 s10, s4, s10
	s_addc_u32 s11, s5, s11
	v_mov_b32_e32 v45, 0
	v_lshl_add_u64 v[48:49], v[44:45], 3, s[10:11]
	global_store_dwordx2 v[48:49], v[24:25], off
.LBB846_384:
	s_or_b64 exec, exec, s[0:1]
	v_cmp_gt_u32_e32 vcc, s8, v42
	s_or_b64 s[10:11], s[34:35], vcc
	s_and_saveexec_b64 s[0:1], s[10:11]
	s_cbranch_execz .LBB846_387
; %bb.385:
	v_mov_b32_e32 v35, 1
	v_and_b32_sdwa v35, v35, v30 dst_sel:DWORD dst_unused:UNUSED_PAD src0_sel:DWORD src1_sel:WORD_1
	v_cmp_eq_u32_e32 vcc, 1, v35
	s_and_b64 exec, exec, vcc
	s_cbranch_execz .LBB846_387
; %bb.386:
	s_lshl_b64 s[10:11], s[22:23], 3
	s_waitcnt lgkmcnt(0)
	s_add_u32 s10, s4, s10
	s_addc_u32 s11, s5, s11
	v_mov_b32_e32 v43, 0
	v_lshl_add_u64 v[48:49], v[42:43], 3, s[10:11]
	global_store_dwordx2 v[48:49], v[18:19], off
.LBB846_387:
	s_or_b64 exec, exec, s[0:1]
	v_cmp_gt_u32_e32 vcc, s8, v40
	s_or_b64 s[10:11], s[34:35], vcc
	s_and_saveexec_b64 s[0:1], s[10:11]
	s_cbranch_execz .LBB846_390
; %bb.388:
	v_and_b32_e32 v35, 1, v32
	v_cmp_eq_u32_e32 vcc, 1, v35
	s_and_b64 exec, exec, vcc
	s_cbranch_execz .LBB846_390
; %bb.389:
	s_lshl_b64 s[10:11], s[22:23], 3
	s_waitcnt lgkmcnt(0)
	s_add_u32 s10, s4, s10
	s_addc_u32 s11, s5, s11
	v_mov_b32_e32 v41, 0
	v_lshl_add_u64 v[48:49], v[40:41], 3, s[10:11]
	global_store_dwordx2 v[48:49], v[20:21], off
.LBB846_390:
	s_or_b64 exec, exec, s[0:1]
	v_cmp_gt_u32_e32 vcc, s8, v38
	s_or_b64 s[10:11], s[34:35], vcc
	s_and_saveexec_b64 s[0:1], s[10:11]
	s_cbranch_execz .LBB846_393
; %bb.391:
	v_and_b32_e32 v35, 1, v31
	v_cmp_eq_u32_e32 vcc, 1, v35
	s_and_b64 exec, exec, vcc
	s_cbranch_execz .LBB846_393
; %bb.392:
	s_lshl_b64 s[10:11], s[22:23], 3
	s_waitcnt lgkmcnt(0)
	s_add_u32 s10, s4, s10
	s_addc_u32 s11, s5, s11
	v_mov_b32_e32 v39, 0
	v_lshl_add_u64 v[48:49], v[38:39], 3, s[10:11]
	global_store_dwordx2 v[48:49], v[14:15], off
.LBB846_393:
	;; [unrolled: 19-line block ×3, first 2 shown]
	s_or_b64 exec, exec, s[0:1]
	v_cmp_gt_u32_e32 vcc, s8, v34
	s_or_b64 s[8:9], s[34:35], vcc
	s_and_saveexec_b64 s[0:1], s[8:9]
	s_cbranch_execz .LBB846_399
; %bb.397:
	v_mov_b32_e32 v35, 1
	v_and_b32_sdwa v35, v35, v31 dst_sel:DWORD dst_unused:UNUSED_PAD src0_sel:DWORD src1_sel:WORD_1
	v_cmp_eq_u32_e32 vcc, 1, v35
	s_and_b64 exec, exec, vcc
	s_cbranch_execz .LBB846_399
; %bb.398:
	s_lshl_b64 s[8:9], s[22:23], 3
	s_waitcnt lgkmcnt(0)
	s_add_u32 s8, s4, s8
	s_addc_u32 s9, s5, s9
	v_mov_b32_e32 v35, 0
	v_lshl_add_u64 v[48:49], v[34:35], 3, s[8:9]
	global_store_dwordx2 v[48:49], v[28:29], off
.LBB846_399:
	s_or_b64 exec, exec, s[0:1]
	s_mov_b64 s[0:1], 0
.LBB846_400:
	v_and_b32_e32 v48, 1, v30
	s_and_b64 vcc, exec, s[0:1]
	v_cmp_eq_u32_e64 s[0:1], 1, v48
	s_cbranch_vccz .LBB846_419
; %bb.401:
	s_and_saveexec_b64 s[8:9], s[0:1]
	s_cbranch_execz .LBB846_403
; %bb.402:
	v_subrev_u32_e32 v35, s16, v46
	v_lshlrev_b32_e32 v35, 3, v35
	ds_write_b64 v35, v[22:23]
.LBB846_403:
	s_or_b64 exec, exec, s[8:9]
	v_and_b32_e32 v22, 1, v33
	v_cmp_eq_u32_e32 vcc, 1, v22
	s_and_saveexec_b64 s[0:1], vcc
	s_cbranch_execz .LBB846_405
; %bb.404:
	v_subrev_u32_e32 v22, s16, v44
	v_lshlrev_b32_e32 v22, 3, v22
	ds_write_b64 v22, v[24:25]
.LBB846_405:
	s_or_b64 exec, exec, s[0:1]
	v_mov_b32_e32 v22, 1
	v_and_b32_sdwa v22, v22, v30 dst_sel:DWORD dst_unused:UNUSED_PAD src0_sel:DWORD src1_sel:WORD_1
	v_cmp_eq_u32_e32 vcc, 1, v22
	s_and_saveexec_b64 s[0:1], vcc
	s_cbranch_execz .LBB846_407
; %bb.406:
	v_subrev_u32_e32 v22, s16, v42
	v_lshlrev_b32_e32 v22, 3, v22
	ds_write_b64 v22, v[18:19]
.LBB846_407:
	s_or_b64 exec, exec, s[0:1]
	v_and_b32_e32 v18, 1, v32
	v_cmp_eq_u32_e32 vcc, 1, v18
	s_and_saveexec_b64 s[0:1], vcc
	s_cbranch_execz .LBB846_409
; %bb.408:
	v_subrev_u32_e32 v18, s16, v40
	v_lshlrev_b32_e32 v18, 3, v18
	ds_write_b64 v18, v[20:21]
.LBB846_409:
	s_or_b64 exec, exec, s[0:1]
	v_and_b32_e32 v18, 1, v31
	;; [unrolled: 10-line block ×3, first 2 shown]
	v_cmp_eq_u32_e32 vcc, 1, v14
	s_and_saveexec_b64 s[0:1], vcc
	s_cbranch_execz .LBB846_413
; %bb.412:
	v_subrev_u32_e32 v14, s16, v36
	v_lshlrev_b32_e32 v14, 3, v14
	ds_write_b64 v14, v[16:17]
.LBB846_413:
	s_or_b64 exec, exec, s[0:1]
	v_mov_b32_e32 v14, 1
	v_and_b32_sdwa v14, v14, v31 dst_sel:DWORD dst_unused:UNUSED_PAD src0_sel:DWORD src1_sel:WORD_1
	v_cmp_eq_u32_e32 vcc, 1, v14
	s_and_saveexec_b64 s[0:1], vcc
	s_cbranch_execz .LBB846_415
; %bb.414:
	v_subrev_u32_e32 v14, s16, v34
	v_lshlrev_b32_e32 v14, 3, v14
	ds_write_b64 v14, v[28:29]
.LBB846_415:
	s_or_b64 exec, exec, s[0:1]
	v_cmp_gt_u32_e32 vcc, s26, v0
	s_waitcnt lgkmcnt(0)
	s_barrier
	s_and_saveexec_b64 s[0:1], vcc
	s_cbranch_execz .LBB846_418
; %bb.416:
	s_mov_b32 s17, 0
	s_lshl_b64 s[8:9], s[22:23], 3
	s_lshl_b64 s[10:11], s[16:17], 3
	s_add_u32 s8, s8, s10
	s_addc_u32 s9, s9, s11
	s_add_u32 s4, s4, s8
	v_lshlrev_b32_e32 v14, 3, v0
	v_mov_b32_e32 v15, 0
	s_addc_u32 s5, s5, s9
	v_lshl_add_u64 v[16:17], s[4:5], 0, v[14:15]
	s_mov_b64 s[4:5], 0
	s_mov_b64 s[8:9], 0x1000
	v_mov_b32_e32 v15, v0
.LBB846_417:                            ; =>This Inner Loop Header: Depth=1
	ds_read_b64 v[18:19], v14
	v_add_u32_e32 v15, 0x200, v15
	v_cmp_le_u32_e32 vcc, s26, v15
	v_add_u32_e32 v14, 0x1000, v14
	s_or_b64 s[4:5], vcc, s[4:5]
	s_waitcnt lgkmcnt(0)
	global_store_dwordx2 v[16:17], v[18:19], off
	v_lshl_add_u64 v[16:17], v[16:17], 0, s[8:9]
	s_andn2_b64 exec, exec, s[4:5]
	s_cbranch_execnz .LBB846_417
.LBB846_418:
	s_or_b64 exec, exec, s[0:1]
.LBB846_419:
	s_mov_b64 s[0:1], -1
	s_and_b64 vcc, exec, s[2:3]
	s_waitcnt lgkmcnt(0)
	s_barrier
	s_cbranch_vccnz .LBB846_423
; %bb.420:
	s_and_b64 vcc, exec, s[0:1]
	s_cbranch_vccnz .LBB846_445
.LBB846_421:
	v_cmp_eq_u32_e32 vcc, 0, v0
	s_and_b64 s[0:1], vcc, s[24:25]
	s_and_saveexec_b64 s[2:3], s[0:1]
	s_cbranch_execnz .LBB846_463
.LBB846_422:
	s_endpgm
.LBB846_423:
	s_add_i32 s2, s16, s26
	v_cmp_gt_u32_e32 vcc, s2, v46
	s_or_b64 s[4:5], s[34:35], vcc
	s_and_saveexec_b64 s[0:1], s[4:5]
	s_cbranch_execz .LBB846_426
; %bb.424:
	v_cmp_eq_u32_e32 vcc, 1, v48
	s_and_b64 exec, exec, vcc
	s_cbranch_execz .LBB846_426
; %bb.425:
	s_lshl_b64 s[4:5], s[22:23], 3
	s_add_u32 s4, s6, s4
	s_addc_u32 s5, s7, s5
	v_mov_b32_e32 v47, 0
	v_lshl_add_u64 v[14:15], v[46:47], 3, s[4:5]
	global_store_dwordx2 v[14:15], v[10:11], off
.LBB846_426:
	s_or_b64 exec, exec, s[0:1]
	v_cmp_gt_u32_e32 vcc, s2, v44
	s_or_b64 s[4:5], s[34:35], vcc
	s_and_saveexec_b64 s[0:1], s[4:5]
	s_cbranch_execz .LBB846_429
; %bb.427:
	v_and_b32_e32 v14, 1, v33
	v_cmp_eq_u32_e32 vcc, 1, v14
	s_and_b64 exec, exec, vcc
	s_cbranch_execz .LBB846_429
; %bb.428:
	s_lshl_b64 s[4:5], s[22:23], 3
	s_add_u32 s4, s6, s4
	s_addc_u32 s5, s7, s5
	v_mov_b32_e32 v45, 0
	v_lshl_add_u64 v[14:15], v[44:45], 3, s[4:5]
	global_store_dwordx2 v[14:15], v[12:13], off
.LBB846_429:
	s_or_b64 exec, exec, s[0:1]
	v_cmp_gt_u32_e32 vcc, s2, v42
	s_or_b64 s[4:5], s[34:35], vcc
	s_and_saveexec_b64 s[0:1], s[4:5]
	s_cbranch_execz .LBB846_432
; %bb.430:
	v_mov_b32_e32 v14, 1
	v_and_b32_sdwa v14, v14, v30 dst_sel:DWORD dst_unused:UNUSED_PAD src0_sel:DWORD src1_sel:WORD_1
	v_cmp_eq_u32_e32 vcc, 1, v14
	s_and_b64 exec, exec, vcc
	s_cbranch_execz .LBB846_432
; %bb.431:
	s_lshl_b64 s[4:5], s[22:23], 3
	s_add_u32 s4, s6, s4
	s_addc_u32 s5, s7, s5
	v_mov_b32_e32 v43, 0
	v_lshl_add_u64 v[14:15], v[42:43], 3, s[4:5]
	global_store_dwordx2 v[14:15], v[6:7], off
.LBB846_432:
	s_or_b64 exec, exec, s[0:1]
	v_cmp_gt_u32_e32 vcc, s2, v40
	s_or_b64 s[4:5], s[34:35], vcc
	s_and_saveexec_b64 s[0:1], s[4:5]
	s_cbranch_execz .LBB846_435
; %bb.433:
	v_and_b32_e32 v14, 1, v32
	v_cmp_eq_u32_e32 vcc, 1, v14
	s_and_b64 exec, exec, vcc
	s_cbranch_execz .LBB846_435
; %bb.434:
	s_lshl_b64 s[4:5], s[22:23], 3
	s_add_u32 s4, s6, s4
	s_addc_u32 s5, s7, s5
	v_mov_b32_e32 v41, 0
	v_lshl_add_u64 v[14:15], v[40:41], 3, s[4:5]
	global_store_dwordx2 v[14:15], v[8:9], off
.LBB846_435:
	s_or_b64 exec, exec, s[0:1]
	v_cmp_gt_u32_e32 vcc, s2, v38
	s_or_b64 s[4:5], s[34:35], vcc
	s_and_saveexec_b64 s[0:1], s[4:5]
	s_cbranch_execz .LBB846_438
; %bb.436:
	v_and_b32_e32 v14, 1, v31
	v_cmp_eq_u32_e32 vcc, 1, v14
	s_and_b64 exec, exec, vcc
	s_cbranch_execz .LBB846_438
; %bb.437:
	s_lshl_b64 s[4:5], s[22:23], 3
	s_add_u32 s4, s6, s4
	s_addc_u32 s5, s7, s5
	v_mov_b32_e32 v39, 0
	v_lshl_add_u64 v[14:15], v[38:39], 3, s[4:5]
	global_store_dwordx2 v[14:15], v[2:3], off
.LBB846_438:
	;; [unrolled: 18-line block ×3, first 2 shown]
	s_or_b64 exec, exec, s[0:1]
	v_cmp_gt_u32_e32 vcc, s2, v34
	s_or_b64 s[2:3], s[34:35], vcc
	s_and_saveexec_b64 s[0:1], s[2:3]
	s_cbranch_execz .LBB846_444
; %bb.442:
	v_mov_b32_e32 v14, 1
	v_and_b32_sdwa v14, v14, v31 dst_sel:DWORD dst_unused:UNUSED_PAD src0_sel:DWORD src1_sel:WORD_1
	v_cmp_eq_u32_e32 vcc, 1, v14
	s_and_b64 exec, exec, vcc
	s_cbranch_execz .LBB846_444
; %bb.443:
	s_lshl_b64 s[2:3], s[22:23], 3
	s_add_u32 s2, s6, s2
	s_addc_u32 s3, s7, s3
	v_mov_b32_e32 v35, 0
	v_lshl_add_u64 v[14:15], v[34:35], 3, s[2:3]
	global_store_dwordx2 v[14:15], v[26:27], off
.LBB846_444:
	s_or_b64 exec, exec, s[0:1]
	s_branch .LBB846_421
.LBB846_445:
	v_cmp_eq_u32_e32 vcc, 1, v48
	s_and_saveexec_b64 s[0:1], vcc
	s_cbranch_execz .LBB846_447
; %bb.446:
	v_subrev_u32_e32 v14, s16, v46
	v_lshlrev_b32_e32 v14, 3, v14
	ds_write_b64 v14, v[10:11]
.LBB846_447:
	s_or_b64 exec, exec, s[0:1]
	v_and_b32_e32 v10, 1, v33
	v_cmp_eq_u32_e32 vcc, 1, v10
	s_and_saveexec_b64 s[0:1], vcc
	s_cbranch_execz .LBB846_449
; %bb.448:
	v_subrev_u32_e32 v10, s16, v44
	v_lshlrev_b32_e32 v10, 3, v10
	ds_write_b64 v10, v[12:13]
.LBB846_449:
	s_or_b64 exec, exec, s[0:1]
	v_mov_b32_e32 v10, 1
	v_and_b32_sdwa v10, v10, v30 dst_sel:DWORD dst_unused:UNUSED_PAD src0_sel:DWORD src1_sel:WORD_1
	v_cmp_eq_u32_e32 vcc, 1, v10
	s_and_saveexec_b64 s[0:1], vcc
	s_cbranch_execz .LBB846_451
; %bb.450:
	v_subrev_u32_e32 v10, s16, v42
	v_lshlrev_b32_e32 v10, 3, v10
	ds_write_b64 v10, v[6:7]
.LBB846_451:
	s_or_b64 exec, exec, s[0:1]
	v_and_b32_e32 v6, 1, v32
	v_cmp_eq_u32_e32 vcc, 1, v6
	s_and_saveexec_b64 s[0:1], vcc
	s_cbranch_execz .LBB846_453
; %bb.452:
	v_subrev_u32_e32 v6, s16, v40
	v_lshlrev_b32_e32 v6, 3, v6
	ds_write_b64 v6, v[8:9]
.LBB846_453:
	s_or_b64 exec, exec, s[0:1]
	v_and_b32_e32 v6, 1, v31
	;; [unrolled: 10-line block ×3, first 2 shown]
	v_cmp_eq_u32_e32 vcc, 1, v1
	s_and_saveexec_b64 s[0:1], vcc
	s_cbranch_execz .LBB846_457
; %bb.456:
	v_subrev_u32_e32 v1, s16, v36
	v_lshlrev_b32_e32 v1, 3, v1
	ds_write_b64 v1, v[4:5]
.LBB846_457:
	s_or_b64 exec, exec, s[0:1]
	v_mov_b32_e32 v1, 1
	v_and_b32_sdwa v1, v1, v31 dst_sel:DWORD dst_unused:UNUSED_PAD src0_sel:DWORD src1_sel:WORD_1
	v_cmp_eq_u32_e32 vcc, 1, v1
	s_and_saveexec_b64 s[0:1], vcc
	s_cbranch_execz .LBB846_459
; %bb.458:
	v_subrev_u32_e32 v1, s16, v34
	v_lshlrev_b32_e32 v1, 3, v1
	ds_write_b64 v1, v[26:27]
.LBB846_459:
	s_or_b64 exec, exec, s[0:1]
	v_cmp_gt_u32_e32 vcc, s26, v0
	s_waitcnt lgkmcnt(0)
	s_barrier
	s_and_saveexec_b64 s[0:1], vcc
	s_cbranch_execz .LBB846_462
; %bb.460:
	s_mov_b32 s17, 0
	s_lshl_b64 s[2:3], s[22:23], 3
	s_lshl_b64 s[4:5], s[16:17], 3
	s_add_u32 s2, s2, s4
	s_addc_u32 s3, s3, s5
	s_add_u32 s2, s6, s2
	v_lshlrev_b32_e32 v2, 3, v0
	v_mov_b32_e32 v3, 0
	s_addc_u32 s3, s7, s3
	v_lshl_add_u64 v[4:5], s[2:3], 0, v[2:3]
	s_mov_b64 s[2:3], 0
	s_mov_b64 s[4:5], 0x1000
	v_mov_b32_e32 v1, v0
.LBB846_461:                            ; =>This Inner Loop Header: Depth=1
	ds_read_b64 v[6:7], v2
	v_add_u32_e32 v1, 0x200, v1
	v_cmp_le_u32_e32 vcc, s26, v1
	v_add_u32_e32 v2, 0x1000, v2
	s_or_b64 s[2:3], vcc, s[2:3]
	s_waitcnt lgkmcnt(0)
	global_store_dwordx2 v[4:5], v[6:7], off
	v_lshl_add_u64 v[4:5], v[4:5], 0, s[4:5]
	s_andn2_b64 exec, exec, s[2:3]
	s_cbranch_execnz .LBB846_461
.LBB846_462:
	s_or_b64 exec, exec, s[0:1]
	v_cmp_eq_u32_e32 vcc, 0, v0
	s_and_b64 s[0:1], vcc, s[24:25]
	s_and_saveexec_b64 s[2:3], s[0:1]
	s_cbranch_execz .LBB846_422
.LBB846_463:
	s_add_u32 s0, s22, s26
	s_addc_u32 s1, s23, 0
	s_add_u32 s0, s0, s16
	s_addc_u32 s1, s1, 0
	v_mov_b32_e32 v2, 0
	v_mov_b64_e32 v[0:1], s[0:1]
	global_store_dwordx2 v2, v[0:1], s[20:21]
	s_endpgm
	.section	.rodata,"a",@progbits
	.p2align	6, 0x0
	.amdhsa_kernel _ZN7rocprim17ROCPRIM_400000_NS6detail17trampoline_kernelINS0_14default_configENS1_25partition_config_selectorILNS1_17partition_subalgoE9EllbEEZZNS1_14partition_implILS5_9ELb0ES3_jPlS8_PNS0_10empty_typeENS0_5tupleIJS8_S9_EEENSB_IJS8_SA_EEENS0_18inequality_wrapperIZN2at6native12_GLOBAL__N_124unique_dim_cuda_templateIdEESt5tupleIJNSF_6TensorESK_SK_EERKSK_lbbbEUlllE0_EEPmJS9_EEE10hipError_tPvRmT3_T4_T5_T6_T7_T9_mT8_P12ihipStream_tbDpT10_ENKUlT_T0_E_clISt17integral_constantIbLb0EES1A_EEDaS15_S16_EUlS15_E_NS1_11comp_targetILNS1_3genE5ELNS1_11target_archE942ELNS1_3gpuE9ELNS1_3repE0EEENS1_30default_config_static_selectorELNS0_4arch9wavefront6targetE1EEEvT1_
		.amdhsa_group_segment_fixed_size 28684
		.amdhsa_private_segment_fixed_size 0
		.amdhsa_kernarg_size 120
		.amdhsa_user_sgpr_count 2
		.amdhsa_user_sgpr_dispatch_ptr 0
		.amdhsa_user_sgpr_queue_ptr 0
		.amdhsa_user_sgpr_kernarg_segment_ptr 1
		.amdhsa_user_sgpr_dispatch_id 0
		.amdhsa_user_sgpr_kernarg_preload_length 0
		.amdhsa_user_sgpr_kernarg_preload_offset 0
		.amdhsa_user_sgpr_private_segment_size 0
		.amdhsa_uses_dynamic_stack 0
		.amdhsa_enable_private_segment 0
		.amdhsa_system_sgpr_workgroup_id_x 1
		.amdhsa_system_sgpr_workgroup_id_y 0
		.amdhsa_system_sgpr_workgroup_id_z 0
		.amdhsa_system_sgpr_workgroup_info 0
		.amdhsa_system_vgpr_workitem_id 0
		.amdhsa_next_free_vgpr 66
		.amdhsa_next_free_sgpr 52
		.amdhsa_accum_offset 68
		.amdhsa_reserve_vcc 1
		.amdhsa_float_round_mode_32 0
		.amdhsa_float_round_mode_16_64 0
		.amdhsa_float_denorm_mode_32 3
		.amdhsa_float_denorm_mode_16_64 3
		.amdhsa_dx10_clamp 1
		.amdhsa_ieee_mode 1
		.amdhsa_fp16_overflow 0
		.amdhsa_tg_split 0
		.amdhsa_exception_fp_ieee_invalid_op 0
		.amdhsa_exception_fp_denorm_src 0
		.amdhsa_exception_fp_ieee_div_zero 0
		.amdhsa_exception_fp_ieee_overflow 0
		.amdhsa_exception_fp_ieee_underflow 0
		.amdhsa_exception_fp_ieee_inexact 0
		.amdhsa_exception_int_div_zero 0
	.end_amdhsa_kernel
	.section	.text._ZN7rocprim17ROCPRIM_400000_NS6detail17trampoline_kernelINS0_14default_configENS1_25partition_config_selectorILNS1_17partition_subalgoE9EllbEEZZNS1_14partition_implILS5_9ELb0ES3_jPlS8_PNS0_10empty_typeENS0_5tupleIJS8_S9_EEENSB_IJS8_SA_EEENS0_18inequality_wrapperIZN2at6native12_GLOBAL__N_124unique_dim_cuda_templateIdEESt5tupleIJNSF_6TensorESK_SK_EERKSK_lbbbEUlllE0_EEPmJS9_EEE10hipError_tPvRmT3_T4_T5_T6_T7_T9_mT8_P12ihipStream_tbDpT10_ENKUlT_T0_E_clISt17integral_constantIbLb0EES1A_EEDaS15_S16_EUlS15_E_NS1_11comp_targetILNS1_3genE5ELNS1_11target_archE942ELNS1_3gpuE9ELNS1_3repE0EEENS1_30default_config_static_selectorELNS0_4arch9wavefront6targetE1EEEvT1_,"axG",@progbits,_ZN7rocprim17ROCPRIM_400000_NS6detail17trampoline_kernelINS0_14default_configENS1_25partition_config_selectorILNS1_17partition_subalgoE9EllbEEZZNS1_14partition_implILS5_9ELb0ES3_jPlS8_PNS0_10empty_typeENS0_5tupleIJS8_S9_EEENSB_IJS8_SA_EEENS0_18inequality_wrapperIZN2at6native12_GLOBAL__N_124unique_dim_cuda_templateIdEESt5tupleIJNSF_6TensorESK_SK_EERKSK_lbbbEUlllE0_EEPmJS9_EEE10hipError_tPvRmT3_T4_T5_T6_T7_T9_mT8_P12ihipStream_tbDpT10_ENKUlT_T0_E_clISt17integral_constantIbLb0EES1A_EEDaS15_S16_EUlS15_E_NS1_11comp_targetILNS1_3genE5ELNS1_11target_archE942ELNS1_3gpuE9ELNS1_3repE0EEENS1_30default_config_static_selectorELNS0_4arch9wavefront6targetE1EEEvT1_,comdat
.Lfunc_end846:
	.size	_ZN7rocprim17ROCPRIM_400000_NS6detail17trampoline_kernelINS0_14default_configENS1_25partition_config_selectorILNS1_17partition_subalgoE9EllbEEZZNS1_14partition_implILS5_9ELb0ES3_jPlS8_PNS0_10empty_typeENS0_5tupleIJS8_S9_EEENSB_IJS8_SA_EEENS0_18inequality_wrapperIZN2at6native12_GLOBAL__N_124unique_dim_cuda_templateIdEESt5tupleIJNSF_6TensorESK_SK_EERKSK_lbbbEUlllE0_EEPmJS9_EEE10hipError_tPvRmT3_T4_T5_T6_T7_T9_mT8_P12ihipStream_tbDpT10_ENKUlT_T0_E_clISt17integral_constantIbLb0EES1A_EEDaS15_S16_EUlS15_E_NS1_11comp_targetILNS1_3genE5ELNS1_11target_archE942ELNS1_3gpuE9ELNS1_3repE0EEENS1_30default_config_static_selectorELNS0_4arch9wavefront6targetE1EEEvT1_, .Lfunc_end846-_ZN7rocprim17ROCPRIM_400000_NS6detail17trampoline_kernelINS0_14default_configENS1_25partition_config_selectorILNS1_17partition_subalgoE9EllbEEZZNS1_14partition_implILS5_9ELb0ES3_jPlS8_PNS0_10empty_typeENS0_5tupleIJS8_S9_EEENSB_IJS8_SA_EEENS0_18inequality_wrapperIZN2at6native12_GLOBAL__N_124unique_dim_cuda_templateIdEESt5tupleIJNSF_6TensorESK_SK_EERKSK_lbbbEUlllE0_EEPmJS9_EEE10hipError_tPvRmT3_T4_T5_T6_T7_T9_mT8_P12ihipStream_tbDpT10_ENKUlT_T0_E_clISt17integral_constantIbLb0EES1A_EEDaS15_S16_EUlS15_E_NS1_11comp_targetILNS1_3genE5ELNS1_11target_archE942ELNS1_3gpuE9ELNS1_3repE0EEENS1_30default_config_static_selectorELNS0_4arch9wavefront6targetE1EEEvT1_
                                        ; -- End function
	.section	.AMDGPU.csdata,"",@progbits
; Kernel info:
; codeLenInByte = 14392
; NumSgprs: 58
; NumVgprs: 66
; NumAgprs: 0
; TotalNumVgprs: 66
; ScratchSize: 0
; MemoryBound: 1
; FloatMode: 240
; IeeeMode: 1
; LDSByteSize: 28684 bytes/workgroup (compile time only)
; SGPRBlocks: 7
; VGPRBlocks: 8
; NumSGPRsForWavesPerEU: 58
; NumVGPRsForWavesPerEU: 66
; AccumOffset: 68
; Occupancy: 4
; WaveLimiterHint : 1
; COMPUTE_PGM_RSRC2:SCRATCH_EN: 0
; COMPUTE_PGM_RSRC2:USER_SGPR: 2
; COMPUTE_PGM_RSRC2:TRAP_HANDLER: 0
; COMPUTE_PGM_RSRC2:TGID_X_EN: 1
; COMPUTE_PGM_RSRC2:TGID_Y_EN: 0
; COMPUTE_PGM_RSRC2:TGID_Z_EN: 0
; COMPUTE_PGM_RSRC2:TIDIG_COMP_CNT: 0
; COMPUTE_PGM_RSRC3_GFX90A:ACCUM_OFFSET: 16
; COMPUTE_PGM_RSRC3_GFX90A:TG_SPLIT: 0
	.section	.text._ZN7rocprim17ROCPRIM_400000_NS6detail17trampoline_kernelINS0_14default_configENS1_25partition_config_selectorILNS1_17partition_subalgoE9EllbEEZZNS1_14partition_implILS5_9ELb0ES3_jPlS8_PNS0_10empty_typeENS0_5tupleIJS8_S9_EEENSB_IJS8_SA_EEENS0_18inequality_wrapperIZN2at6native12_GLOBAL__N_124unique_dim_cuda_templateIdEESt5tupleIJNSF_6TensorESK_SK_EERKSK_lbbbEUlllE0_EEPmJS9_EEE10hipError_tPvRmT3_T4_T5_T6_T7_T9_mT8_P12ihipStream_tbDpT10_ENKUlT_T0_E_clISt17integral_constantIbLb0EES1A_EEDaS15_S16_EUlS15_E_NS1_11comp_targetILNS1_3genE4ELNS1_11target_archE910ELNS1_3gpuE8ELNS1_3repE0EEENS1_30default_config_static_selectorELNS0_4arch9wavefront6targetE1EEEvT1_,"axG",@progbits,_ZN7rocprim17ROCPRIM_400000_NS6detail17trampoline_kernelINS0_14default_configENS1_25partition_config_selectorILNS1_17partition_subalgoE9EllbEEZZNS1_14partition_implILS5_9ELb0ES3_jPlS8_PNS0_10empty_typeENS0_5tupleIJS8_S9_EEENSB_IJS8_SA_EEENS0_18inequality_wrapperIZN2at6native12_GLOBAL__N_124unique_dim_cuda_templateIdEESt5tupleIJNSF_6TensorESK_SK_EERKSK_lbbbEUlllE0_EEPmJS9_EEE10hipError_tPvRmT3_T4_T5_T6_T7_T9_mT8_P12ihipStream_tbDpT10_ENKUlT_T0_E_clISt17integral_constantIbLb0EES1A_EEDaS15_S16_EUlS15_E_NS1_11comp_targetILNS1_3genE4ELNS1_11target_archE910ELNS1_3gpuE8ELNS1_3repE0EEENS1_30default_config_static_selectorELNS0_4arch9wavefront6targetE1EEEvT1_,comdat
	.globl	_ZN7rocprim17ROCPRIM_400000_NS6detail17trampoline_kernelINS0_14default_configENS1_25partition_config_selectorILNS1_17partition_subalgoE9EllbEEZZNS1_14partition_implILS5_9ELb0ES3_jPlS8_PNS0_10empty_typeENS0_5tupleIJS8_S9_EEENSB_IJS8_SA_EEENS0_18inequality_wrapperIZN2at6native12_GLOBAL__N_124unique_dim_cuda_templateIdEESt5tupleIJNSF_6TensorESK_SK_EERKSK_lbbbEUlllE0_EEPmJS9_EEE10hipError_tPvRmT3_T4_T5_T6_T7_T9_mT8_P12ihipStream_tbDpT10_ENKUlT_T0_E_clISt17integral_constantIbLb0EES1A_EEDaS15_S16_EUlS15_E_NS1_11comp_targetILNS1_3genE4ELNS1_11target_archE910ELNS1_3gpuE8ELNS1_3repE0EEENS1_30default_config_static_selectorELNS0_4arch9wavefront6targetE1EEEvT1_ ; -- Begin function _ZN7rocprim17ROCPRIM_400000_NS6detail17trampoline_kernelINS0_14default_configENS1_25partition_config_selectorILNS1_17partition_subalgoE9EllbEEZZNS1_14partition_implILS5_9ELb0ES3_jPlS8_PNS0_10empty_typeENS0_5tupleIJS8_S9_EEENSB_IJS8_SA_EEENS0_18inequality_wrapperIZN2at6native12_GLOBAL__N_124unique_dim_cuda_templateIdEESt5tupleIJNSF_6TensorESK_SK_EERKSK_lbbbEUlllE0_EEPmJS9_EEE10hipError_tPvRmT3_T4_T5_T6_T7_T9_mT8_P12ihipStream_tbDpT10_ENKUlT_T0_E_clISt17integral_constantIbLb0EES1A_EEDaS15_S16_EUlS15_E_NS1_11comp_targetILNS1_3genE4ELNS1_11target_archE910ELNS1_3gpuE8ELNS1_3repE0EEENS1_30default_config_static_selectorELNS0_4arch9wavefront6targetE1EEEvT1_
	.p2align	8
	.type	_ZN7rocprim17ROCPRIM_400000_NS6detail17trampoline_kernelINS0_14default_configENS1_25partition_config_selectorILNS1_17partition_subalgoE9EllbEEZZNS1_14partition_implILS5_9ELb0ES3_jPlS8_PNS0_10empty_typeENS0_5tupleIJS8_S9_EEENSB_IJS8_SA_EEENS0_18inequality_wrapperIZN2at6native12_GLOBAL__N_124unique_dim_cuda_templateIdEESt5tupleIJNSF_6TensorESK_SK_EERKSK_lbbbEUlllE0_EEPmJS9_EEE10hipError_tPvRmT3_T4_T5_T6_T7_T9_mT8_P12ihipStream_tbDpT10_ENKUlT_T0_E_clISt17integral_constantIbLb0EES1A_EEDaS15_S16_EUlS15_E_NS1_11comp_targetILNS1_3genE4ELNS1_11target_archE910ELNS1_3gpuE8ELNS1_3repE0EEENS1_30default_config_static_selectorELNS0_4arch9wavefront6targetE1EEEvT1_,@function
_ZN7rocprim17ROCPRIM_400000_NS6detail17trampoline_kernelINS0_14default_configENS1_25partition_config_selectorILNS1_17partition_subalgoE9EllbEEZZNS1_14partition_implILS5_9ELb0ES3_jPlS8_PNS0_10empty_typeENS0_5tupleIJS8_S9_EEENSB_IJS8_SA_EEENS0_18inequality_wrapperIZN2at6native12_GLOBAL__N_124unique_dim_cuda_templateIdEESt5tupleIJNSF_6TensorESK_SK_EERKSK_lbbbEUlllE0_EEPmJS9_EEE10hipError_tPvRmT3_T4_T5_T6_T7_T9_mT8_P12ihipStream_tbDpT10_ENKUlT_T0_E_clISt17integral_constantIbLb0EES1A_EEDaS15_S16_EUlS15_E_NS1_11comp_targetILNS1_3genE4ELNS1_11target_archE910ELNS1_3gpuE8ELNS1_3repE0EEENS1_30default_config_static_selectorELNS0_4arch9wavefront6targetE1EEEvT1_: ; @_ZN7rocprim17ROCPRIM_400000_NS6detail17trampoline_kernelINS0_14default_configENS1_25partition_config_selectorILNS1_17partition_subalgoE9EllbEEZZNS1_14partition_implILS5_9ELb0ES3_jPlS8_PNS0_10empty_typeENS0_5tupleIJS8_S9_EEENSB_IJS8_SA_EEENS0_18inequality_wrapperIZN2at6native12_GLOBAL__N_124unique_dim_cuda_templateIdEESt5tupleIJNSF_6TensorESK_SK_EERKSK_lbbbEUlllE0_EEPmJS9_EEE10hipError_tPvRmT3_T4_T5_T6_T7_T9_mT8_P12ihipStream_tbDpT10_ENKUlT_T0_E_clISt17integral_constantIbLb0EES1A_EEDaS15_S16_EUlS15_E_NS1_11comp_targetILNS1_3genE4ELNS1_11target_archE910ELNS1_3gpuE8ELNS1_3repE0EEENS1_30default_config_static_selectorELNS0_4arch9wavefront6targetE1EEEvT1_
; %bb.0:
	.section	.rodata,"a",@progbits
	.p2align	6, 0x0
	.amdhsa_kernel _ZN7rocprim17ROCPRIM_400000_NS6detail17trampoline_kernelINS0_14default_configENS1_25partition_config_selectorILNS1_17partition_subalgoE9EllbEEZZNS1_14partition_implILS5_9ELb0ES3_jPlS8_PNS0_10empty_typeENS0_5tupleIJS8_S9_EEENSB_IJS8_SA_EEENS0_18inequality_wrapperIZN2at6native12_GLOBAL__N_124unique_dim_cuda_templateIdEESt5tupleIJNSF_6TensorESK_SK_EERKSK_lbbbEUlllE0_EEPmJS9_EEE10hipError_tPvRmT3_T4_T5_T6_T7_T9_mT8_P12ihipStream_tbDpT10_ENKUlT_T0_E_clISt17integral_constantIbLb0EES1A_EEDaS15_S16_EUlS15_E_NS1_11comp_targetILNS1_3genE4ELNS1_11target_archE910ELNS1_3gpuE8ELNS1_3repE0EEENS1_30default_config_static_selectorELNS0_4arch9wavefront6targetE1EEEvT1_
		.amdhsa_group_segment_fixed_size 0
		.amdhsa_private_segment_fixed_size 0
		.amdhsa_kernarg_size 120
		.amdhsa_user_sgpr_count 2
		.amdhsa_user_sgpr_dispatch_ptr 0
		.amdhsa_user_sgpr_queue_ptr 0
		.amdhsa_user_sgpr_kernarg_segment_ptr 1
		.amdhsa_user_sgpr_dispatch_id 0
		.amdhsa_user_sgpr_kernarg_preload_length 0
		.amdhsa_user_sgpr_kernarg_preload_offset 0
		.amdhsa_user_sgpr_private_segment_size 0
		.amdhsa_uses_dynamic_stack 0
		.amdhsa_enable_private_segment 0
		.amdhsa_system_sgpr_workgroup_id_x 1
		.amdhsa_system_sgpr_workgroup_id_y 0
		.amdhsa_system_sgpr_workgroup_id_z 0
		.amdhsa_system_sgpr_workgroup_info 0
		.amdhsa_system_vgpr_workitem_id 0
		.amdhsa_next_free_vgpr 1
		.amdhsa_next_free_sgpr 0
		.amdhsa_accum_offset 4
		.amdhsa_reserve_vcc 0
		.amdhsa_float_round_mode_32 0
		.amdhsa_float_round_mode_16_64 0
		.amdhsa_float_denorm_mode_32 3
		.amdhsa_float_denorm_mode_16_64 3
		.amdhsa_dx10_clamp 1
		.amdhsa_ieee_mode 1
		.amdhsa_fp16_overflow 0
		.amdhsa_tg_split 0
		.amdhsa_exception_fp_ieee_invalid_op 0
		.amdhsa_exception_fp_denorm_src 0
		.amdhsa_exception_fp_ieee_div_zero 0
		.amdhsa_exception_fp_ieee_overflow 0
		.amdhsa_exception_fp_ieee_underflow 0
		.amdhsa_exception_fp_ieee_inexact 0
		.amdhsa_exception_int_div_zero 0
	.end_amdhsa_kernel
	.section	.text._ZN7rocprim17ROCPRIM_400000_NS6detail17trampoline_kernelINS0_14default_configENS1_25partition_config_selectorILNS1_17partition_subalgoE9EllbEEZZNS1_14partition_implILS5_9ELb0ES3_jPlS8_PNS0_10empty_typeENS0_5tupleIJS8_S9_EEENSB_IJS8_SA_EEENS0_18inequality_wrapperIZN2at6native12_GLOBAL__N_124unique_dim_cuda_templateIdEESt5tupleIJNSF_6TensorESK_SK_EERKSK_lbbbEUlllE0_EEPmJS9_EEE10hipError_tPvRmT3_T4_T5_T6_T7_T9_mT8_P12ihipStream_tbDpT10_ENKUlT_T0_E_clISt17integral_constantIbLb0EES1A_EEDaS15_S16_EUlS15_E_NS1_11comp_targetILNS1_3genE4ELNS1_11target_archE910ELNS1_3gpuE8ELNS1_3repE0EEENS1_30default_config_static_selectorELNS0_4arch9wavefront6targetE1EEEvT1_,"axG",@progbits,_ZN7rocprim17ROCPRIM_400000_NS6detail17trampoline_kernelINS0_14default_configENS1_25partition_config_selectorILNS1_17partition_subalgoE9EllbEEZZNS1_14partition_implILS5_9ELb0ES3_jPlS8_PNS0_10empty_typeENS0_5tupleIJS8_S9_EEENSB_IJS8_SA_EEENS0_18inequality_wrapperIZN2at6native12_GLOBAL__N_124unique_dim_cuda_templateIdEESt5tupleIJNSF_6TensorESK_SK_EERKSK_lbbbEUlllE0_EEPmJS9_EEE10hipError_tPvRmT3_T4_T5_T6_T7_T9_mT8_P12ihipStream_tbDpT10_ENKUlT_T0_E_clISt17integral_constantIbLb0EES1A_EEDaS15_S16_EUlS15_E_NS1_11comp_targetILNS1_3genE4ELNS1_11target_archE910ELNS1_3gpuE8ELNS1_3repE0EEENS1_30default_config_static_selectorELNS0_4arch9wavefront6targetE1EEEvT1_,comdat
.Lfunc_end847:
	.size	_ZN7rocprim17ROCPRIM_400000_NS6detail17trampoline_kernelINS0_14default_configENS1_25partition_config_selectorILNS1_17partition_subalgoE9EllbEEZZNS1_14partition_implILS5_9ELb0ES3_jPlS8_PNS0_10empty_typeENS0_5tupleIJS8_S9_EEENSB_IJS8_SA_EEENS0_18inequality_wrapperIZN2at6native12_GLOBAL__N_124unique_dim_cuda_templateIdEESt5tupleIJNSF_6TensorESK_SK_EERKSK_lbbbEUlllE0_EEPmJS9_EEE10hipError_tPvRmT3_T4_T5_T6_T7_T9_mT8_P12ihipStream_tbDpT10_ENKUlT_T0_E_clISt17integral_constantIbLb0EES1A_EEDaS15_S16_EUlS15_E_NS1_11comp_targetILNS1_3genE4ELNS1_11target_archE910ELNS1_3gpuE8ELNS1_3repE0EEENS1_30default_config_static_selectorELNS0_4arch9wavefront6targetE1EEEvT1_, .Lfunc_end847-_ZN7rocprim17ROCPRIM_400000_NS6detail17trampoline_kernelINS0_14default_configENS1_25partition_config_selectorILNS1_17partition_subalgoE9EllbEEZZNS1_14partition_implILS5_9ELb0ES3_jPlS8_PNS0_10empty_typeENS0_5tupleIJS8_S9_EEENSB_IJS8_SA_EEENS0_18inequality_wrapperIZN2at6native12_GLOBAL__N_124unique_dim_cuda_templateIdEESt5tupleIJNSF_6TensorESK_SK_EERKSK_lbbbEUlllE0_EEPmJS9_EEE10hipError_tPvRmT3_T4_T5_T6_T7_T9_mT8_P12ihipStream_tbDpT10_ENKUlT_T0_E_clISt17integral_constantIbLb0EES1A_EEDaS15_S16_EUlS15_E_NS1_11comp_targetILNS1_3genE4ELNS1_11target_archE910ELNS1_3gpuE8ELNS1_3repE0EEENS1_30default_config_static_selectorELNS0_4arch9wavefront6targetE1EEEvT1_
                                        ; -- End function
	.section	.AMDGPU.csdata,"",@progbits
; Kernel info:
; codeLenInByte = 0
; NumSgprs: 6
; NumVgprs: 0
; NumAgprs: 0
; TotalNumVgprs: 0
; ScratchSize: 0
; MemoryBound: 0
; FloatMode: 240
; IeeeMode: 1
; LDSByteSize: 0 bytes/workgroup (compile time only)
; SGPRBlocks: 0
; VGPRBlocks: 0
; NumSGPRsForWavesPerEU: 6
; NumVGPRsForWavesPerEU: 1
; AccumOffset: 4
; Occupancy: 8
; WaveLimiterHint : 0
; COMPUTE_PGM_RSRC2:SCRATCH_EN: 0
; COMPUTE_PGM_RSRC2:USER_SGPR: 2
; COMPUTE_PGM_RSRC2:TRAP_HANDLER: 0
; COMPUTE_PGM_RSRC2:TGID_X_EN: 1
; COMPUTE_PGM_RSRC2:TGID_Y_EN: 0
; COMPUTE_PGM_RSRC2:TGID_Z_EN: 0
; COMPUTE_PGM_RSRC2:TIDIG_COMP_CNT: 0
; COMPUTE_PGM_RSRC3_GFX90A:ACCUM_OFFSET: 0
; COMPUTE_PGM_RSRC3_GFX90A:TG_SPLIT: 0
	.section	.text._ZN7rocprim17ROCPRIM_400000_NS6detail17trampoline_kernelINS0_14default_configENS1_25partition_config_selectorILNS1_17partition_subalgoE9EllbEEZZNS1_14partition_implILS5_9ELb0ES3_jPlS8_PNS0_10empty_typeENS0_5tupleIJS8_S9_EEENSB_IJS8_SA_EEENS0_18inequality_wrapperIZN2at6native12_GLOBAL__N_124unique_dim_cuda_templateIdEESt5tupleIJNSF_6TensorESK_SK_EERKSK_lbbbEUlllE0_EEPmJS9_EEE10hipError_tPvRmT3_T4_T5_T6_T7_T9_mT8_P12ihipStream_tbDpT10_ENKUlT_T0_E_clISt17integral_constantIbLb0EES1A_EEDaS15_S16_EUlS15_E_NS1_11comp_targetILNS1_3genE3ELNS1_11target_archE908ELNS1_3gpuE7ELNS1_3repE0EEENS1_30default_config_static_selectorELNS0_4arch9wavefront6targetE1EEEvT1_,"axG",@progbits,_ZN7rocprim17ROCPRIM_400000_NS6detail17trampoline_kernelINS0_14default_configENS1_25partition_config_selectorILNS1_17partition_subalgoE9EllbEEZZNS1_14partition_implILS5_9ELb0ES3_jPlS8_PNS0_10empty_typeENS0_5tupleIJS8_S9_EEENSB_IJS8_SA_EEENS0_18inequality_wrapperIZN2at6native12_GLOBAL__N_124unique_dim_cuda_templateIdEESt5tupleIJNSF_6TensorESK_SK_EERKSK_lbbbEUlllE0_EEPmJS9_EEE10hipError_tPvRmT3_T4_T5_T6_T7_T9_mT8_P12ihipStream_tbDpT10_ENKUlT_T0_E_clISt17integral_constantIbLb0EES1A_EEDaS15_S16_EUlS15_E_NS1_11comp_targetILNS1_3genE3ELNS1_11target_archE908ELNS1_3gpuE7ELNS1_3repE0EEENS1_30default_config_static_selectorELNS0_4arch9wavefront6targetE1EEEvT1_,comdat
	.globl	_ZN7rocprim17ROCPRIM_400000_NS6detail17trampoline_kernelINS0_14default_configENS1_25partition_config_selectorILNS1_17partition_subalgoE9EllbEEZZNS1_14partition_implILS5_9ELb0ES3_jPlS8_PNS0_10empty_typeENS0_5tupleIJS8_S9_EEENSB_IJS8_SA_EEENS0_18inequality_wrapperIZN2at6native12_GLOBAL__N_124unique_dim_cuda_templateIdEESt5tupleIJNSF_6TensorESK_SK_EERKSK_lbbbEUlllE0_EEPmJS9_EEE10hipError_tPvRmT3_T4_T5_T6_T7_T9_mT8_P12ihipStream_tbDpT10_ENKUlT_T0_E_clISt17integral_constantIbLb0EES1A_EEDaS15_S16_EUlS15_E_NS1_11comp_targetILNS1_3genE3ELNS1_11target_archE908ELNS1_3gpuE7ELNS1_3repE0EEENS1_30default_config_static_selectorELNS0_4arch9wavefront6targetE1EEEvT1_ ; -- Begin function _ZN7rocprim17ROCPRIM_400000_NS6detail17trampoline_kernelINS0_14default_configENS1_25partition_config_selectorILNS1_17partition_subalgoE9EllbEEZZNS1_14partition_implILS5_9ELb0ES3_jPlS8_PNS0_10empty_typeENS0_5tupleIJS8_S9_EEENSB_IJS8_SA_EEENS0_18inequality_wrapperIZN2at6native12_GLOBAL__N_124unique_dim_cuda_templateIdEESt5tupleIJNSF_6TensorESK_SK_EERKSK_lbbbEUlllE0_EEPmJS9_EEE10hipError_tPvRmT3_T4_T5_T6_T7_T9_mT8_P12ihipStream_tbDpT10_ENKUlT_T0_E_clISt17integral_constantIbLb0EES1A_EEDaS15_S16_EUlS15_E_NS1_11comp_targetILNS1_3genE3ELNS1_11target_archE908ELNS1_3gpuE7ELNS1_3repE0EEENS1_30default_config_static_selectorELNS0_4arch9wavefront6targetE1EEEvT1_
	.p2align	8
	.type	_ZN7rocprim17ROCPRIM_400000_NS6detail17trampoline_kernelINS0_14default_configENS1_25partition_config_selectorILNS1_17partition_subalgoE9EllbEEZZNS1_14partition_implILS5_9ELb0ES3_jPlS8_PNS0_10empty_typeENS0_5tupleIJS8_S9_EEENSB_IJS8_SA_EEENS0_18inequality_wrapperIZN2at6native12_GLOBAL__N_124unique_dim_cuda_templateIdEESt5tupleIJNSF_6TensorESK_SK_EERKSK_lbbbEUlllE0_EEPmJS9_EEE10hipError_tPvRmT3_T4_T5_T6_T7_T9_mT8_P12ihipStream_tbDpT10_ENKUlT_T0_E_clISt17integral_constantIbLb0EES1A_EEDaS15_S16_EUlS15_E_NS1_11comp_targetILNS1_3genE3ELNS1_11target_archE908ELNS1_3gpuE7ELNS1_3repE0EEENS1_30default_config_static_selectorELNS0_4arch9wavefront6targetE1EEEvT1_,@function
_ZN7rocprim17ROCPRIM_400000_NS6detail17trampoline_kernelINS0_14default_configENS1_25partition_config_selectorILNS1_17partition_subalgoE9EllbEEZZNS1_14partition_implILS5_9ELb0ES3_jPlS8_PNS0_10empty_typeENS0_5tupleIJS8_S9_EEENSB_IJS8_SA_EEENS0_18inequality_wrapperIZN2at6native12_GLOBAL__N_124unique_dim_cuda_templateIdEESt5tupleIJNSF_6TensorESK_SK_EERKSK_lbbbEUlllE0_EEPmJS9_EEE10hipError_tPvRmT3_T4_T5_T6_T7_T9_mT8_P12ihipStream_tbDpT10_ENKUlT_T0_E_clISt17integral_constantIbLb0EES1A_EEDaS15_S16_EUlS15_E_NS1_11comp_targetILNS1_3genE3ELNS1_11target_archE908ELNS1_3gpuE7ELNS1_3repE0EEENS1_30default_config_static_selectorELNS0_4arch9wavefront6targetE1EEEvT1_: ; @_ZN7rocprim17ROCPRIM_400000_NS6detail17trampoline_kernelINS0_14default_configENS1_25partition_config_selectorILNS1_17partition_subalgoE9EllbEEZZNS1_14partition_implILS5_9ELb0ES3_jPlS8_PNS0_10empty_typeENS0_5tupleIJS8_S9_EEENSB_IJS8_SA_EEENS0_18inequality_wrapperIZN2at6native12_GLOBAL__N_124unique_dim_cuda_templateIdEESt5tupleIJNSF_6TensorESK_SK_EERKSK_lbbbEUlllE0_EEPmJS9_EEE10hipError_tPvRmT3_T4_T5_T6_T7_T9_mT8_P12ihipStream_tbDpT10_ENKUlT_T0_E_clISt17integral_constantIbLb0EES1A_EEDaS15_S16_EUlS15_E_NS1_11comp_targetILNS1_3genE3ELNS1_11target_archE908ELNS1_3gpuE7ELNS1_3repE0EEENS1_30default_config_static_selectorELNS0_4arch9wavefront6targetE1EEEvT1_
; %bb.0:
	.section	.rodata,"a",@progbits
	.p2align	6, 0x0
	.amdhsa_kernel _ZN7rocprim17ROCPRIM_400000_NS6detail17trampoline_kernelINS0_14default_configENS1_25partition_config_selectorILNS1_17partition_subalgoE9EllbEEZZNS1_14partition_implILS5_9ELb0ES3_jPlS8_PNS0_10empty_typeENS0_5tupleIJS8_S9_EEENSB_IJS8_SA_EEENS0_18inequality_wrapperIZN2at6native12_GLOBAL__N_124unique_dim_cuda_templateIdEESt5tupleIJNSF_6TensorESK_SK_EERKSK_lbbbEUlllE0_EEPmJS9_EEE10hipError_tPvRmT3_T4_T5_T6_T7_T9_mT8_P12ihipStream_tbDpT10_ENKUlT_T0_E_clISt17integral_constantIbLb0EES1A_EEDaS15_S16_EUlS15_E_NS1_11comp_targetILNS1_3genE3ELNS1_11target_archE908ELNS1_3gpuE7ELNS1_3repE0EEENS1_30default_config_static_selectorELNS0_4arch9wavefront6targetE1EEEvT1_
		.amdhsa_group_segment_fixed_size 0
		.amdhsa_private_segment_fixed_size 0
		.amdhsa_kernarg_size 120
		.amdhsa_user_sgpr_count 2
		.amdhsa_user_sgpr_dispatch_ptr 0
		.amdhsa_user_sgpr_queue_ptr 0
		.amdhsa_user_sgpr_kernarg_segment_ptr 1
		.amdhsa_user_sgpr_dispatch_id 0
		.amdhsa_user_sgpr_kernarg_preload_length 0
		.amdhsa_user_sgpr_kernarg_preload_offset 0
		.amdhsa_user_sgpr_private_segment_size 0
		.amdhsa_uses_dynamic_stack 0
		.amdhsa_enable_private_segment 0
		.amdhsa_system_sgpr_workgroup_id_x 1
		.amdhsa_system_sgpr_workgroup_id_y 0
		.amdhsa_system_sgpr_workgroup_id_z 0
		.amdhsa_system_sgpr_workgroup_info 0
		.amdhsa_system_vgpr_workitem_id 0
		.amdhsa_next_free_vgpr 1
		.amdhsa_next_free_sgpr 0
		.amdhsa_accum_offset 4
		.amdhsa_reserve_vcc 0
		.amdhsa_float_round_mode_32 0
		.amdhsa_float_round_mode_16_64 0
		.amdhsa_float_denorm_mode_32 3
		.amdhsa_float_denorm_mode_16_64 3
		.amdhsa_dx10_clamp 1
		.amdhsa_ieee_mode 1
		.amdhsa_fp16_overflow 0
		.amdhsa_tg_split 0
		.amdhsa_exception_fp_ieee_invalid_op 0
		.amdhsa_exception_fp_denorm_src 0
		.amdhsa_exception_fp_ieee_div_zero 0
		.amdhsa_exception_fp_ieee_overflow 0
		.amdhsa_exception_fp_ieee_underflow 0
		.amdhsa_exception_fp_ieee_inexact 0
		.amdhsa_exception_int_div_zero 0
	.end_amdhsa_kernel
	.section	.text._ZN7rocprim17ROCPRIM_400000_NS6detail17trampoline_kernelINS0_14default_configENS1_25partition_config_selectorILNS1_17partition_subalgoE9EllbEEZZNS1_14partition_implILS5_9ELb0ES3_jPlS8_PNS0_10empty_typeENS0_5tupleIJS8_S9_EEENSB_IJS8_SA_EEENS0_18inequality_wrapperIZN2at6native12_GLOBAL__N_124unique_dim_cuda_templateIdEESt5tupleIJNSF_6TensorESK_SK_EERKSK_lbbbEUlllE0_EEPmJS9_EEE10hipError_tPvRmT3_T4_T5_T6_T7_T9_mT8_P12ihipStream_tbDpT10_ENKUlT_T0_E_clISt17integral_constantIbLb0EES1A_EEDaS15_S16_EUlS15_E_NS1_11comp_targetILNS1_3genE3ELNS1_11target_archE908ELNS1_3gpuE7ELNS1_3repE0EEENS1_30default_config_static_selectorELNS0_4arch9wavefront6targetE1EEEvT1_,"axG",@progbits,_ZN7rocprim17ROCPRIM_400000_NS6detail17trampoline_kernelINS0_14default_configENS1_25partition_config_selectorILNS1_17partition_subalgoE9EllbEEZZNS1_14partition_implILS5_9ELb0ES3_jPlS8_PNS0_10empty_typeENS0_5tupleIJS8_S9_EEENSB_IJS8_SA_EEENS0_18inequality_wrapperIZN2at6native12_GLOBAL__N_124unique_dim_cuda_templateIdEESt5tupleIJNSF_6TensorESK_SK_EERKSK_lbbbEUlllE0_EEPmJS9_EEE10hipError_tPvRmT3_T4_T5_T6_T7_T9_mT8_P12ihipStream_tbDpT10_ENKUlT_T0_E_clISt17integral_constantIbLb0EES1A_EEDaS15_S16_EUlS15_E_NS1_11comp_targetILNS1_3genE3ELNS1_11target_archE908ELNS1_3gpuE7ELNS1_3repE0EEENS1_30default_config_static_selectorELNS0_4arch9wavefront6targetE1EEEvT1_,comdat
.Lfunc_end848:
	.size	_ZN7rocprim17ROCPRIM_400000_NS6detail17trampoline_kernelINS0_14default_configENS1_25partition_config_selectorILNS1_17partition_subalgoE9EllbEEZZNS1_14partition_implILS5_9ELb0ES3_jPlS8_PNS0_10empty_typeENS0_5tupleIJS8_S9_EEENSB_IJS8_SA_EEENS0_18inequality_wrapperIZN2at6native12_GLOBAL__N_124unique_dim_cuda_templateIdEESt5tupleIJNSF_6TensorESK_SK_EERKSK_lbbbEUlllE0_EEPmJS9_EEE10hipError_tPvRmT3_T4_T5_T6_T7_T9_mT8_P12ihipStream_tbDpT10_ENKUlT_T0_E_clISt17integral_constantIbLb0EES1A_EEDaS15_S16_EUlS15_E_NS1_11comp_targetILNS1_3genE3ELNS1_11target_archE908ELNS1_3gpuE7ELNS1_3repE0EEENS1_30default_config_static_selectorELNS0_4arch9wavefront6targetE1EEEvT1_, .Lfunc_end848-_ZN7rocprim17ROCPRIM_400000_NS6detail17trampoline_kernelINS0_14default_configENS1_25partition_config_selectorILNS1_17partition_subalgoE9EllbEEZZNS1_14partition_implILS5_9ELb0ES3_jPlS8_PNS0_10empty_typeENS0_5tupleIJS8_S9_EEENSB_IJS8_SA_EEENS0_18inequality_wrapperIZN2at6native12_GLOBAL__N_124unique_dim_cuda_templateIdEESt5tupleIJNSF_6TensorESK_SK_EERKSK_lbbbEUlllE0_EEPmJS9_EEE10hipError_tPvRmT3_T4_T5_T6_T7_T9_mT8_P12ihipStream_tbDpT10_ENKUlT_T0_E_clISt17integral_constantIbLb0EES1A_EEDaS15_S16_EUlS15_E_NS1_11comp_targetILNS1_3genE3ELNS1_11target_archE908ELNS1_3gpuE7ELNS1_3repE0EEENS1_30default_config_static_selectorELNS0_4arch9wavefront6targetE1EEEvT1_
                                        ; -- End function
	.section	.AMDGPU.csdata,"",@progbits
; Kernel info:
; codeLenInByte = 0
; NumSgprs: 6
; NumVgprs: 0
; NumAgprs: 0
; TotalNumVgprs: 0
; ScratchSize: 0
; MemoryBound: 0
; FloatMode: 240
; IeeeMode: 1
; LDSByteSize: 0 bytes/workgroup (compile time only)
; SGPRBlocks: 0
; VGPRBlocks: 0
; NumSGPRsForWavesPerEU: 6
; NumVGPRsForWavesPerEU: 1
; AccumOffset: 4
; Occupancy: 8
; WaveLimiterHint : 0
; COMPUTE_PGM_RSRC2:SCRATCH_EN: 0
; COMPUTE_PGM_RSRC2:USER_SGPR: 2
; COMPUTE_PGM_RSRC2:TRAP_HANDLER: 0
; COMPUTE_PGM_RSRC2:TGID_X_EN: 1
; COMPUTE_PGM_RSRC2:TGID_Y_EN: 0
; COMPUTE_PGM_RSRC2:TGID_Z_EN: 0
; COMPUTE_PGM_RSRC2:TIDIG_COMP_CNT: 0
; COMPUTE_PGM_RSRC3_GFX90A:ACCUM_OFFSET: 0
; COMPUTE_PGM_RSRC3_GFX90A:TG_SPLIT: 0
	.section	.text._ZN7rocprim17ROCPRIM_400000_NS6detail17trampoline_kernelINS0_14default_configENS1_25partition_config_selectorILNS1_17partition_subalgoE9EllbEEZZNS1_14partition_implILS5_9ELb0ES3_jPlS8_PNS0_10empty_typeENS0_5tupleIJS8_S9_EEENSB_IJS8_SA_EEENS0_18inequality_wrapperIZN2at6native12_GLOBAL__N_124unique_dim_cuda_templateIdEESt5tupleIJNSF_6TensorESK_SK_EERKSK_lbbbEUlllE0_EEPmJS9_EEE10hipError_tPvRmT3_T4_T5_T6_T7_T9_mT8_P12ihipStream_tbDpT10_ENKUlT_T0_E_clISt17integral_constantIbLb0EES1A_EEDaS15_S16_EUlS15_E_NS1_11comp_targetILNS1_3genE2ELNS1_11target_archE906ELNS1_3gpuE6ELNS1_3repE0EEENS1_30default_config_static_selectorELNS0_4arch9wavefront6targetE1EEEvT1_,"axG",@progbits,_ZN7rocprim17ROCPRIM_400000_NS6detail17trampoline_kernelINS0_14default_configENS1_25partition_config_selectorILNS1_17partition_subalgoE9EllbEEZZNS1_14partition_implILS5_9ELb0ES3_jPlS8_PNS0_10empty_typeENS0_5tupleIJS8_S9_EEENSB_IJS8_SA_EEENS0_18inequality_wrapperIZN2at6native12_GLOBAL__N_124unique_dim_cuda_templateIdEESt5tupleIJNSF_6TensorESK_SK_EERKSK_lbbbEUlllE0_EEPmJS9_EEE10hipError_tPvRmT3_T4_T5_T6_T7_T9_mT8_P12ihipStream_tbDpT10_ENKUlT_T0_E_clISt17integral_constantIbLb0EES1A_EEDaS15_S16_EUlS15_E_NS1_11comp_targetILNS1_3genE2ELNS1_11target_archE906ELNS1_3gpuE6ELNS1_3repE0EEENS1_30default_config_static_selectorELNS0_4arch9wavefront6targetE1EEEvT1_,comdat
	.globl	_ZN7rocprim17ROCPRIM_400000_NS6detail17trampoline_kernelINS0_14default_configENS1_25partition_config_selectorILNS1_17partition_subalgoE9EllbEEZZNS1_14partition_implILS5_9ELb0ES3_jPlS8_PNS0_10empty_typeENS0_5tupleIJS8_S9_EEENSB_IJS8_SA_EEENS0_18inequality_wrapperIZN2at6native12_GLOBAL__N_124unique_dim_cuda_templateIdEESt5tupleIJNSF_6TensorESK_SK_EERKSK_lbbbEUlllE0_EEPmJS9_EEE10hipError_tPvRmT3_T4_T5_T6_T7_T9_mT8_P12ihipStream_tbDpT10_ENKUlT_T0_E_clISt17integral_constantIbLb0EES1A_EEDaS15_S16_EUlS15_E_NS1_11comp_targetILNS1_3genE2ELNS1_11target_archE906ELNS1_3gpuE6ELNS1_3repE0EEENS1_30default_config_static_selectorELNS0_4arch9wavefront6targetE1EEEvT1_ ; -- Begin function _ZN7rocprim17ROCPRIM_400000_NS6detail17trampoline_kernelINS0_14default_configENS1_25partition_config_selectorILNS1_17partition_subalgoE9EllbEEZZNS1_14partition_implILS5_9ELb0ES3_jPlS8_PNS0_10empty_typeENS0_5tupleIJS8_S9_EEENSB_IJS8_SA_EEENS0_18inequality_wrapperIZN2at6native12_GLOBAL__N_124unique_dim_cuda_templateIdEESt5tupleIJNSF_6TensorESK_SK_EERKSK_lbbbEUlllE0_EEPmJS9_EEE10hipError_tPvRmT3_T4_T5_T6_T7_T9_mT8_P12ihipStream_tbDpT10_ENKUlT_T0_E_clISt17integral_constantIbLb0EES1A_EEDaS15_S16_EUlS15_E_NS1_11comp_targetILNS1_3genE2ELNS1_11target_archE906ELNS1_3gpuE6ELNS1_3repE0EEENS1_30default_config_static_selectorELNS0_4arch9wavefront6targetE1EEEvT1_
	.p2align	8
	.type	_ZN7rocprim17ROCPRIM_400000_NS6detail17trampoline_kernelINS0_14default_configENS1_25partition_config_selectorILNS1_17partition_subalgoE9EllbEEZZNS1_14partition_implILS5_9ELb0ES3_jPlS8_PNS0_10empty_typeENS0_5tupleIJS8_S9_EEENSB_IJS8_SA_EEENS0_18inequality_wrapperIZN2at6native12_GLOBAL__N_124unique_dim_cuda_templateIdEESt5tupleIJNSF_6TensorESK_SK_EERKSK_lbbbEUlllE0_EEPmJS9_EEE10hipError_tPvRmT3_T4_T5_T6_T7_T9_mT8_P12ihipStream_tbDpT10_ENKUlT_T0_E_clISt17integral_constantIbLb0EES1A_EEDaS15_S16_EUlS15_E_NS1_11comp_targetILNS1_3genE2ELNS1_11target_archE906ELNS1_3gpuE6ELNS1_3repE0EEENS1_30default_config_static_selectorELNS0_4arch9wavefront6targetE1EEEvT1_,@function
_ZN7rocprim17ROCPRIM_400000_NS6detail17trampoline_kernelINS0_14default_configENS1_25partition_config_selectorILNS1_17partition_subalgoE9EllbEEZZNS1_14partition_implILS5_9ELb0ES3_jPlS8_PNS0_10empty_typeENS0_5tupleIJS8_S9_EEENSB_IJS8_SA_EEENS0_18inequality_wrapperIZN2at6native12_GLOBAL__N_124unique_dim_cuda_templateIdEESt5tupleIJNSF_6TensorESK_SK_EERKSK_lbbbEUlllE0_EEPmJS9_EEE10hipError_tPvRmT3_T4_T5_T6_T7_T9_mT8_P12ihipStream_tbDpT10_ENKUlT_T0_E_clISt17integral_constantIbLb0EES1A_EEDaS15_S16_EUlS15_E_NS1_11comp_targetILNS1_3genE2ELNS1_11target_archE906ELNS1_3gpuE6ELNS1_3repE0EEENS1_30default_config_static_selectorELNS0_4arch9wavefront6targetE1EEEvT1_: ; @_ZN7rocprim17ROCPRIM_400000_NS6detail17trampoline_kernelINS0_14default_configENS1_25partition_config_selectorILNS1_17partition_subalgoE9EllbEEZZNS1_14partition_implILS5_9ELb0ES3_jPlS8_PNS0_10empty_typeENS0_5tupleIJS8_S9_EEENSB_IJS8_SA_EEENS0_18inequality_wrapperIZN2at6native12_GLOBAL__N_124unique_dim_cuda_templateIdEESt5tupleIJNSF_6TensorESK_SK_EERKSK_lbbbEUlllE0_EEPmJS9_EEE10hipError_tPvRmT3_T4_T5_T6_T7_T9_mT8_P12ihipStream_tbDpT10_ENKUlT_T0_E_clISt17integral_constantIbLb0EES1A_EEDaS15_S16_EUlS15_E_NS1_11comp_targetILNS1_3genE2ELNS1_11target_archE906ELNS1_3gpuE6ELNS1_3repE0EEENS1_30default_config_static_selectorELNS0_4arch9wavefront6targetE1EEEvT1_
; %bb.0:
	.section	.rodata,"a",@progbits
	.p2align	6, 0x0
	.amdhsa_kernel _ZN7rocprim17ROCPRIM_400000_NS6detail17trampoline_kernelINS0_14default_configENS1_25partition_config_selectorILNS1_17partition_subalgoE9EllbEEZZNS1_14partition_implILS5_9ELb0ES3_jPlS8_PNS0_10empty_typeENS0_5tupleIJS8_S9_EEENSB_IJS8_SA_EEENS0_18inequality_wrapperIZN2at6native12_GLOBAL__N_124unique_dim_cuda_templateIdEESt5tupleIJNSF_6TensorESK_SK_EERKSK_lbbbEUlllE0_EEPmJS9_EEE10hipError_tPvRmT3_T4_T5_T6_T7_T9_mT8_P12ihipStream_tbDpT10_ENKUlT_T0_E_clISt17integral_constantIbLb0EES1A_EEDaS15_S16_EUlS15_E_NS1_11comp_targetILNS1_3genE2ELNS1_11target_archE906ELNS1_3gpuE6ELNS1_3repE0EEENS1_30default_config_static_selectorELNS0_4arch9wavefront6targetE1EEEvT1_
		.amdhsa_group_segment_fixed_size 0
		.amdhsa_private_segment_fixed_size 0
		.amdhsa_kernarg_size 120
		.amdhsa_user_sgpr_count 2
		.amdhsa_user_sgpr_dispatch_ptr 0
		.amdhsa_user_sgpr_queue_ptr 0
		.amdhsa_user_sgpr_kernarg_segment_ptr 1
		.amdhsa_user_sgpr_dispatch_id 0
		.amdhsa_user_sgpr_kernarg_preload_length 0
		.amdhsa_user_sgpr_kernarg_preload_offset 0
		.amdhsa_user_sgpr_private_segment_size 0
		.amdhsa_uses_dynamic_stack 0
		.amdhsa_enable_private_segment 0
		.amdhsa_system_sgpr_workgroup_id_x 1
		.amdhsa_system_sgpr_workgroup_id_y 0
		.amdhsa_system_sgpr_workgroup_id_z 0
		.amdhsa_system_sgpr_workgroup_info 0
		.amdhsa_system_vgpr_workitem_id 0
		.amdhsa_next_free_vgpr 1
		.amdhsa_next_free_sgpr 0
		.amdhsa_accum_offset 4
		.amdhsa_reserve_vcc 0
		.amdhsa_float_round_mode_32 0
		.amdhsa_float_round_mode_16_64 0
		.amdhsa_float_denorm_mode_32 3
		.amdhsa_float_denorm_mode_16_64 3
		.amdhsa_dx10_clamp 1
		.amdhsa_ieee_mode 1
		.amdhsa_fp16_overflow 0
		.amdhsa_tg_split 0
		.amdhsa_exception_fp_ieee_invalid_op 0
		.amdhsa_exception_fp_denorm_src 0
		.amdhsa_exception_fp_ieee_div_zero 0
		.amdhsa_exception_fp_ieee_overflow 0
		.amdhsa_exception_fp_ieee_underflow 0
		.amdhsa_exception_fp_ieee_inexact 0
		.amdhsa_exception_int_div_zero 0
	.end_amdhsa_kernel
	.section	.text._ZN7rocprim17ROCPRIM_400000_NS6detail17trampoline_kernelINS0_14default_configENS1_25partition_config_selectorILNS1_17partition_subalgoE9EllbEEZZNS1_14partition_implILS5_9ELb0ES3_jPlS8_PNS0_10empty_typeENS0_5tupleIJS8_S9_EEENSB_IJS8_SA_EEENS0_18inequality_wrapperIZN2at6native12_GLOBAL__N_124unique_dim_cuda_templateIdEESt5tupleIJNSF_6TensorESK_SK_EERKSK_lbbbEUlllE0_EEPmJS9_EEE10hipError_tPvRmT3_T4_T5_T6_T7_T9_mT8_P12ihipStream_tbDpT10_ENKUlT_T0_E_clISt17integral_constantIbLb0EES1A_EEDaS15_S16_EUlS15_E_NS1_11comp_targetILNS1_3genE2ELNS1_11target_archE906ELNS1_3gpuE6ELNS1_3repE0EEENS1_30default_config_static_selectorELNS0_4arch9wavefront6targetE1EEEvT1_,"axG",@progbits,_ZN7rocprim17ROCPRIM_400000_NS6detail17trampoline_kernelINS0_14default_configENS1_25partition_config_selectorILNS1_17partition_subalgoE9EllbEEZZNS1_14partition_implILS5_9ELb0ES3_jPlS8_PNS0_10empty_typeENS0_5tupleIJS8_S9_EEENSB_IJS8_SA_EEENS0_18inequality_wrapperIZN2at6native12_GLOBAL__N_124unique_dim_cuda_templateIdEESt5tupleIJNSF_6TensorESK_SK_EERKSK_lbbbEUlllE0_EEPmJS9_EEE10hipError_tPvRmT3_T4_T5_T6_T7_T9_mT8_P12ihipStream_tbDpT10_ENKUlT_T0_E_clISt17integral_constantIbLb0EES1A_EEDaS15_S16_EUlS15_E_NS1_11comp_targetILNS1_3genE2ELNS1_11target_archE906ELNS1_3gpuE6ELNS1_3repE0EEENS1_30default_config_static_selectorELNS0_4arch9wavefront6targetE1EEEvT1_,comdat
.Lfunc_end849:
	.size	_ZN7rocprim17ROCPRIM_400000_NS6detail17trampoline_kernelINS0_14default_configENS1_25partition_config_selectorILNS1_17partition_subalgoE9EllbEEZZNS1_14partition_implILS5_9ELb0ES3_jPlS8_PNS0_10empty_typeENS0_5tupleIJS8_S9_EEENSB_IJS8_SA_EEENS0_18inequality_wrapperIZN2at6native12_GLOBAL__N_124unique_dim_cuda_templateIdEESt5tupleIJNSF_6TensorESK_SK_EERKSK_lbbbEUlllE0_EEPmJS9_EEE10hipError_tPvRmT3_T4_T5_T6_T7_T9_mT8_P12ihipStream_tbDpT10_ENKUlT_T0_E_clISt17integral_constantIbLb0EES1A_EEDaS15_S16_EUlS15_E_NS1_11comp_targetILNS1_3genE2ELNS1_11target_archE906ELNS1_3gpuE6ELNS1_3repE0EEENS1_30default_config_static_selectorELNS0_4arch9wavefront6targetE1EEEvT1_, .Lfunc_end849-_ZN7rocprim17ROCPRIM_400000_NS6detail17trampoline_kernelINS0_14default_configENS1_25partition_config_selectorILNS1_17partition_subalgoE9EllbEEZZNS1_14partition_implILS5_9ELb0ES3_jPlS8_PNS0_10empty_typeENS0_5tupleIJS8_S9_EEENSB_IJS8_SA_EEENS0_18inequality_wrapperIZN2at6native12_GLOBAL__N_124unique_dim_cuda_templateIdEESt5tupleIJNSF_6TensorESK_SK_EERKSK_lbbbEUlllE0_EEPmJS9_EEE10hipError_tPvRmT3_T4_T5_T6_T7_T9_mT8_P12ihipStream_tbDpT10_ENKUlT_T0_E_clISt17integral_constantIbLb0EES1A_EEDaS15_S16_EUlS15_E_NS1_11comp_targetILNS1_3genE2ELNS1_11target_archE906ELNS1_3gpuE6ELNS1_3repE0EEENS1_30default_config_static_selectorELNS0_4arch9wavefront6targetE1EEEvT1_
                                        ; -- End function
	.section	.AMDGPU.csdata,"",@progbits
; Kernel info:
; codeLenInByte = 0
; NumSgprs: 6
; NumVgprs: 0
; NumAgprs: 0
; TotalNumVgprs: 0
; ScratchSize: 0
; MemoryBound: 0
; FloatMode: 240
; IeeeMode: 1
; LDSByteSize: 0 bytes/workgroup (compile time only)
; SGPRBlocks: 0
; VGPRBlocks: 0
; NumSGPRsForWavesPerEU: 6
; NumVGPRsForWavesPerEU: 1
; AccumOffset: 4
; Occupancy: 8
; WaveLimiterHint : 0
; COMPUTE_PGM_RSRC2:SCRATCH_EN: 0
; COMPUTE_PGM_RSRC2:USER_SGPR: 2
; COMPUTE_PGM_RSRC2:TRAP_HANDLER: 0
; COMPUTE_PGM_RSRC2:TGID_X_EN: 1
; COMPUTE_PGM_RSRC2:TGID_Y_EN: 0
; COMPUTE_PGM_RSRC2:TGID_Z_EN: 0
; COMPUTE_PGM_RSRC2:TIDIG_COMP_CNT: 0
; COMPUTE_PGM_RSRC3_GFX90A:ACCUM_OFFSET: 0
; COMPUTE_PGM_RSRC3_GFX90A:TG_SPLIT: 0
	.section	.text._ZN7rocprim17ROCPRIM_400000_NS6detail17trampoline_kernelINS0_14default_configENS1_25partition_config_selectorILNS1_17partition_subalgoE9EllbEEZZNS1_14partition_implILS5_9ELb0ES3_jPlS8_PNS0_10empty_typeENS0_5tupleIJS8_S9_EEENSB_IJS8_SA_EEENS0_18inequality_wrapperIZN2at6native12_GLOBAL__N_124unique_dim_cuda_templateIdEESt5tupleIJNSF_6TensorESK_SK_EERKSK_lbbbEUlllE0_EEPmJS9_EEE10hipError_tPvRmT3_T4_T5_T6_T7_T9_mT8_P12ihipStream_tbDpT10_ENKUlT_T0_E_clISt17integral_constantIbLb0EES1A_EEDaS15_S16_EUlS15_E_NS1_11comp_targetILNS1_3genE10ELNS1_11target_archE1200ELNS1_3gpuE4ELNS1_3repE0EEENS1_30default_config_static_selectorELNS0_4arch9wavefront6targetE1EEEvT1_,"axG",@progbits,_ZN7rocprim17ROCPRIM_400000_NS6detail17trampoline_kernelINS0_14default_configENS1_25partition_config_selectorILNS1_17partition_subalgoE9EllbEEZZNS1_14partition_implILS5_9ELb0ES3_jPlS8_PNS0_10empty_typeENS0_5tupleIJS8_S9_EEENSB_IJS8_SA_EEENS0_18inequality_wrapperIZN2at6native12_GLOBAL__N_124unique_dim_cuda_templateIdEESt5tupleIJNSF_6TensorESK_SK_EERKSK_lbbbEUlllE0_EEPmJS9_EEE10hipError_tPvRmT3_T4_T5_T6_T7_T9_mT8_P12ihipStream_tbDpT10_ENKUlT_T0_E_clISt17integral_constantIbLb0EES1A_EEDaS15_S16_EUlS15_E_NS1_11comp_targetILNS1_3genE10ELNS1_11target_archE1200ELNS1_3gpuE4ELNS1_3repE0EEENS1_30default_config_static_selectorELNS0_4arch9wavefront6targetE1EEEvT1_,comdat
	.globl	_ZN7rocprim17ROCPRIM_400000_NS6detail17trampoline_kernelINS0_14default_configENS1_25partition_config_selectorILNS1_17partition_subalgoE9EllbEEZZNS1_14partition_implILS5_9ELb0ES3_jPlS8_PNS0_10empty_typeENS0_5tupleIJS8_S9_EEENSB_IJS8_SA_EEENS0_18inequality_wrapperIZN2at6native12_GLOBAL__N_124unique_dim_cuda_templateIdEESt5tupleIJNSF_6TensorESK_SK_EERKSK_lbbbEUlllE0_EEPmJS9_EEE10hipError_tPvRmT3_T4_T5_T6_T7_T9_mT8_P12ihipStream_tbDpT10_ENKUlT_T0_E_clISt17integral_constantIbLb0EES1A_EEDaS15_S16_EUlS15_E_NS1_11comp_targetILNS1_3genE10ELNS1_11target_archE1200ELNS1_3gpuE4ELNS1_3repE0EEENS1_30default_config_static_selectorELNS0_4arch9wavefront6targetE1EEEvT1_ ; -- Begin function _ZN7rocprim17ROCPRIM_400000_NS6detail17trampoline_kernelINS0_14default_configENS1_25partition_config_selectorILNS1_17partition_subalgoE9EllbEEZZNS1_14partition_implILS5_9ELb0ES3_jPlS8_PNS0_10empty_typeENS0_5tupleIJS8_S9_EEENSB_IJS8_SA_EEENS0_18inequality_wrapperIZN2at6native12_GLOBAL__N_124unique_dim_cuda_templateIdEESt5tupleIJNSF_6TensorESK_SK_EERKSK_lbbbEUlllE0_EEPmJS9_EEE10hipError_tPvRmT3_T4_T5_T6_T7_T9_mT8_P12ihipStream_tbDpT10_ENKUlT_T0_E_clISt17integral_constantIbLb0EES1A_EEDaS15_S16_EUlS15_E_NS1_11comp_targetILNS1_3genE10ELNS1_11target_archE1200ELNS1_3gpuE4ELNS1_3repE0EEENS1_30default_config_static_selectorELNS0_4arch9wavefront6targetE1EEEvT1_
	.p2align	8
	.type	_ZN7rocprim17ROCPRIM_400000_NS6detail17trampoline_kernelINS0_14default_configENS1_25partition_config_selectorILNS1_17partition_subalgoE9EllbEEZZNS1_14partition_implILS5_9ELb0ES3_jPlS8_PNS0_10empty_typeENS0_5tupleIJS8_S9_EEENSB_IJS8_SA_EEENS0_18inequality_wrapperIZN2at6native12_GLOBAL__N_124unique_dim_cuda_templateIdEESt5tupleIJNSF_6TensorESK_SK_EERKSK_lbbbEUlllE0_EEPmJS9_EEE10hipError_tPvRmT3_T4_T5_T6_T7_T9_mT8_P12ihipStream_tbDpT10_ENKUlT_T0_E_clISt17integral_constantIbLb0EES1A_EEDaS15_S16_EUlS15_E_NS1_11comp_targetILNS1_3genE10ELNS1_11target_archE1200ELNS1_3gpuE4ELNS1_3repE0EEENS1_30default_config_static_selectorELNS0_4arch9wavefront6targetE1EEEvT1_,@function
_ZN7rocprim17ROCPRIM_400000_NS6detail17trampoline_kernelINS0_14default_configENS1_25partition_config_selectorILNS1_17partition_subalgoE9EllbEEZZNS1_14partition_implILS5_9ELb0ES3_jPlS8_PNS0_10empty_typeENS0_5tupleIJS8_S9_EEENSB_IJS8_SA_EEENS0_18inequality_wrapperIZN2at6native12_GLOBAL__N_124unique_dim_cuda_templateIdEESt5tupleIJNSF_6TensorESK_SK_EERKSK_lbbbEUlllE0_EEPmJS9_EEE10hipError_tPvRmT3_T4_T5_T6_T7_T9_mT8_P12ihipStream_tbDpT10_ENKUlT_T0_E_clISt17integral_constantIbLb0EES1A_EEDaS15_S16_EUlS15_E_NS1_11comp_targetILNS1_3genE10ELNS1_11target_archE1200ELNS1_3gpuE4ELNS1_3repE0EEENS1_30default_config_static_selectorELNS0_4arch9wavefront6targetE1EEEvT1_: ; @_ZN7rocprim17ROCPRIM_400000_NS6detail17trampoline_kernelINS0_14default_configENS1_25partition_config_selectorILNS1_17partition_subalgoE9EllbEEZZNS1_14partition_implILS5_9ELb0ES3_jPlS8_PNS0_10empty_typeENS0_5tupleIJS8_S9_EEENSB_IJS8_SA_EEENS0_18inequality_wrapperIZN2at6native12_GLOBAL__N_124unique_dim_cuda_templateIdEESt5tupleIJNSF_6TensorESK_SK_EERKSK_lbbbEUlllE0_EEPmJS9_EEE10hipError_tPvRmT3_T4_T5_T6_T7_T9_mT8_P12ihipStream_tbDpT10_ENKUlT_T0_E_clISt17integral_constantIbLb0EES1A_EEDaS15_S16_EUlS15_E_NS1_11comp_targetILNS1_3genE10ELNS1_11target_archE1200ELNS1_3gpuE4ELNS1_3repE0EEENS1_30default_config_static_selectorELNS0_4arch9wavefront6targetE1EEEvT1_
; %bb.0:
	.section	.rodata,"a",@progbits
	.p2align	6, 0x0
	.amdhsa_kernel _ZN7rocprim17ROCPRIM_400000_NS6detail17trampoline_kernelINS0_14default_configENS1_25partition_config_selectorILNS1_17partition_subalgoE9EllbEEZZNS1_14partition_implILS5_9ELb0ES3_jPlS8_PNS0_10empty_typeENS0_5tupleIJS8_S9_EEENSB_IJS8_SA_EEENS0_18inequality_wrapperIZN2at6native12_GLOBAL__N_124unique_dim_cuda_templateIdEESt5tupleIJNSF_6TensorESK_SK_EERKSK_lbbbEUlllE0_EEPmJS9_EEE10hipError_tPvRmT3_T4_T5_T6_T7_T9_mT8_P12ihipStream_tbDpT10_ENKUlT_T0_E_clISt17integral_constantIbLb0EES1A_EEDaS15_S16_EUlS15_E_NS1_11comp_targetILNS1_3genE10ELNS1_11target_archE1200ELNS1_3gpuE4ELNS1_3repE0EEENS1_30default_config_static_selectorELNS0_4arch9wavefront6targetE1EEEvT1_
		.amdhsa_group_segment_fixed_size 0
		.amdhsa_private_segment_fixed_size 0
		.amdhsa_kernarg_size 120
		.amdhsa_user_sgpr_count 2
		.amdhsa_user_sgpr_dispatch_ptr 0
		.amdhsa_user_sgpr_queue_ptr 0
		.amdhsa_user_sgpr_kernarg_segment_ptr 1
		.amdhsa_user_sgpr_dispatch_id 0
		.amdhsa_user_sgpr_kernarg_preload_length 0
		.amdhsa_user_sgpr_kernarg_preload_offset 0
		.amdhsa_user_sgpr_private_segment_size 0
		.amdhsa_uses_dynamic_stack 0
		.amdhsa_enable_private_segment 0
		.amdhsa_system_sgpr_workgroup_id_x 1
		.amdhsa_system_sgpr_workgroup_id_y 0
		.amdhsa_system_sgpr_workgroup_id_z 0
		.amdhsa_system_sgpr_workgroup_info 0
		.amdhsa_system_vgpr_workitem_id 0
		.amdhsa_next_free_vgpr 1
		.amdhsa_next_free_sgpr 0
		.amdhsa_accum_offset 4
		.amdhsa_reserve_vcc 0
		.amdhsa_float_round_mode_32 0
		.amdhsa_float_round_mode_16_64 0
		.amdhsa_float_denorm_mode_32 3
		.amdhsa_float_denorm_mode_16_64 3
		.amdhsa_dx10_clamp 1
		.amdhsa_ieee_mode 1
		.amdhsa_fp16_overflow 0
		.amdhsa_tg_split 0
		.amdhsa_exception_fp_ieee_invalid_op 0
		.amdhsa_exception_fp_denorm_src 0
		.amdhsa_exception_fp_ieee_div_zero 0
		.amdhsa_exception_fp_ieee_overflow 0
		.amdhsa_exception_fp_ieee_underflow 0
		.amdhsa_exception_fp_ieee_inexact 0
		.amdhsa_exception_int_div_zero 0
	.end_amdhsa_kernel
	.section	.text._ZN7rocprim17ROCPRIM_400000_NS6detail17trampoline_kernelINS0_14default_configENS1_25partition_config_selectorILNS1_17partition_subalgoE9EllbEEZZNS1_14partition_implILS5_9ELb0ES3_jPlS8_PNS0_10empty_typeENS0_5tupleIJS8_S9_EEENSB_IJS8_SA_EEENS0_18inequality_wrapperIZN2at6native12_GLOBAL__N_124unique_dim_cuda_templateIdEESt5tupleIJNSF_6TensorESK_SK_EERKSK_lbbbEUlllE0_EEPmJS9_EEE10hipError_tPvRmT3_T4_T5_T6_T7_T9_mT8_P12ihipStream_tbDpT10_ENKUlT_T0_E_clISt17integral_constantIbLb0EES1A_EEDaS15_S16_EUlS15_E_NS1_11comp_targetILNS1_3genE10ELNS1_11target_archE1200ELNS1_3gpuE4ELNS1_3repE0EEENS1_30default_config_static_selectorELNS0_4arch9wavefront6targetE1EEEvT1_,"axG",@progbits,_ZN7rocprim17ROCPRIM_400000_NS6detail17trampoline_kernelINS0_14default_configENS1_25partition_config_selectorILNS1_17partition_subalgoE9EllbEEZZNS1_14partition_implILS5_9ELb0ES3_jPlS8_PNS0_10empty_typeENS0_5tupleIJS8_S9_EEENSB_IJS8_SA_EEENS0_18inequality_wrapperIZN2at6native12_GLOBAL__N_124unique_dim_cuda_templateIdEESt5tupleIJNSF_6TensorESK_SK_EERKSK_lbbbEUlllE0_EEPmJS9_EEE10hipError_tPvRmT3_T4_T5_T6_T7_T9_mT8_P12ihipStream_tbDpT10_ENKUlT_T0_E_clISt17integral_constantIbLb0EES1A_EEDaS15_S16_EUlS15_E_NS1_11comp_targetILNS1_3genE10ELNS1_11target_archE1200ELNS1_3gpuE4ELNS1_3repE0EEENS1_30default_config_static_selectorELNS0_4arch9wavefront6targetE1EEEvT1_,comdat
.Lfunc_end850:
	.size	_ZN7rocprim17ROCPRIM_400000_NS6detail17trampoline_kernelINS0_14default_configENS1_25partition_config_selectorILNS1_17partition_subalgoE9EllbEEZZNS1_14partition_implILS5_9ELb0ES3_jPlS8_PNS0_10empty_typeENS0_5tupleIJS8_S9_EEENSB_IJS8_SA_EEENS0_18inequality_wrapperIZN2at6native12_GLOBAL__N_124unique_dim_cuda_templateIdEESt5tupleIJNSF_6TensorESK_SK_EERKSK_lbbbEUlllE0_EEPmJS9_EEE10hipError_tPvRmT3_T4_T5_T6_T7_T9_mT8_P12ihipStream_tbDpT10_ENKUlT_T0_E_clISt17integral_constantIbLb0EES1A_EEDaS15_S16_EUlS15_E_NS1_11comp_targetILNS1_3genE10ELNS1_11target_archE1200ELNS1_3gpuE4ELNS1_3repE0EEENS1_30default_config_static_selectorELNS0_4arch9wavefront6targetE1EEEvT1_, .Lfunc_end850-_ZN7rocprim17ROCPRIM_400000_NS6detail17trampoline_kernelINS0_14default_configENS1_25partition_config_selectorILNS1_17partition_subalgoE9EllbEEZZNS1_14partition_implILS5_9ELb0ES3_jPlS8_PNS0_10empty_typeENS0_5tupleIJS8_S9_EEENSB_IJS8_SA_EEENS0_18inequality_wrapperIZN2at6native12_GLOBAL__N_124unique_dim_cuda_templateIdEESt5tupleIJNSF_6TensorESK_SK_EERKSK_lbbbEUlllE0_EEPmJS9_EEE10hipError_tPvRmT3_T4_T5_T6_T7_T9_mT8_P12ihipStream_tbDpT10_ENKUlT_T0_E_clISt17integral_constantIbLb0EES1A_EEDaS15_S16_EUlS15_E_NS1_11comp_targetILNS1_3genE10ELNS1_11target_archE1200ELNS1_3gpuE4ELNS1_3repE0EEENS1_30default_config_static_selectorELNS0_4arch9wavefront6targetE1EEEvT1_
                                        ; -- End function
	.section	.AMDGPU.csdata,"",@progbits
; Kernel info:
; codeLenInByte = 0
; NumSgprs: 6
; NumVgprs: 0
; NumAgprs: 0
; TotalNumVgprs: 0
; ScratchSize: 0
; MemoryBound: 0
; FloatMode: 240
; IeeeMode: 1
; LDSByteSize: 0 bytes/workgroup (compile time only)
; SGPRBlocks: 0
; VGPRBlocks: 0
; NumSGPRsForWavesPerEU: 6
; NumVGPRsForWavesPerEU: 1
; AccumOffset: 4
; Occupancy: 8
; WaveLimiterHint : 0
; COMPUTE_PGM_RSRC2:SCRATCH_EN: 0
; COMPUTE_PGM_RSRC2:USER_SGPR: 2
; COMPUTE_PGM_RSRC2:TRAP_HANDLER: 0
; COMPUTE_PGM_RSRC2:TGID_X_EN: 1
; COMPUTE_PGM_RSRC2:TGID_Y_EN: 0
; COMPUTE_PGM_RSRC2:TGID_Z_EN: 0
; COMPUTE_PGM_RSRC2:TIDIG_COMP_CNT: 0
; COMPUTE_PGM_RSRC3_GFX90A:ACCUM_OFFSET: 0
; COMPUTE_PGM_RSRC3_GFX90A:TG_SPLIT: 0
	.section	.text._ZN7rocprim17ROCPRIM_400000_NS6detail17trampoline_kernelINS0_14default_configENS1_25partition_config_selectorILNS1_17partition_subalgoE9EllbEEZZNS1_14partition_implILS5_9ELb0ES3_jPlS8_PNS0_10empty_typeENS0_5tupleIJS8_S9_EEENSB_IJS8_SA_EEENS0_18inequality_wrapperIZN2at6native12_GLOBAL__N_124unique_dim_cuda_templateIdEESt5tupleIJNSF_6TensorESK_SK_EERKSK_lbbbEUlllE0_EEPmJS9_EEE10hipError_tPvRmT3_T4_T5_T6_T7_T9_mT8_P12ihipStream_tbDpT10_ENKUlT_T0_E_clISt17integral_constantIbLb0EES1A_EEDaS15_S16_EUlS15_E_NS1_11comp_targetILNS1_3genE9ELNS1_11target_archE1100ELNS1_3gpuE3ELNS1_3repE0EEENS1_30default_config_static_selectorELNS0_4arch9wavefront6targetE1EEEvT1_,"axG",@progbits,_ZN7rocprim17ROCPRIM_400000_NS6detail17trampoline_kernelINS0_14default_configENS1_25partition_config_selectorILNS1_17partition_subalgoE9EllbEEZZNS1_14partition_implILS5_9ELb0ES3_jPlS8_PNS0_10empty_typeENS0_5tupleIJS8_S9_EEENSB_IJS8_SA_EEENS0_18inequality_wrapperIZN2at6native12_GLOBAL__N_124unique_dim_cuda_templateIdEESt5tupleIJNSF_6TensorESK_SK_EERKSK_lbbbEUlllE0_EEPmJS9_EEE10hipError_tPvRmT3_T4_T5_T6_T7_T9_mT8_P12ihipStream_tbDpT10_ENKUlT_T0_E_clISt17integral_constantIbLb0EES1A_EEDaS15_S16_EUlS15_E_NS1_11comp_targetILNS1_3genE9ELNS1_11target_archE1100ELNS1_3gpuE3ELNS1_3repE0EEENS1_30default_config_static_selectorELNS0_4arch9wavefront6targetE1EEEvT1_,comdat
	.globl	_ZN7rocprim17ROCPRIM_400000_NS6detail17trampoline_kernelINS0_14default_configENS1_25partition_config_selectorILNS1_17partition_subalgoE9EllbEEZZNS1_14partition_implILS5_9ELb0ES3_jPlS8_PNS0_10empty_typeENS0_5tupleIJS8_S9_EEENSB_IJS8_SA_EEENS0_18inequality_wrapperIZN2at6native12_GLOBAL__N_124unique_dim_cuda_templateIdEESt5tupleIJNSF_6TensorESK_SK_EERKSK_lbbbEUlllE0_EEPmJS9_EEE10hipError_tPvRmT3_T4_T5_T6_T7_T9_mT8_P12ihipStream_tbDpT10_ENKUlT_T0_E_clISt17integral_constantIbLb0EES1A_EEDaS15_S16_EUlS15_E_NS1_11comp_targetILNS1_3genE9ELNS1_11target_archE1100ELNS1_3gpuE3ELNS1_3repE0EEENS1_30default_config_static_selectorELNS0_4arch9wavefront6targetE1EEEvT1_ ; -- Begin function _ZN7rocprim17ROCPRIM_400000_NS6detail17trampoline_kernelINS0_14default_configENS1_25partition_config_selectorILNS1_17partition_subalgoE9EllbEEZZNS1_14partition_implILS5_9ELb0ES3_jPlS8_PNS0_10empty_typeENS0_5tupleIJS8_S9_EEENSB_IJS8_SA_EEENS0_18inequality_wrapperIZN2at6native12_GLOBAL__N_124unique_dim_cuda_templateIdEESt5tupleIJNSF_6TensorESK_SK_EERKSK_lbbbEUlllE0_EEPmJS9_EEE10hipError_tPvRmT3_T4_T5_T6_T7_T9_mT8_P12ihipStream_tbDpT10_ENKUlT_T0_E_clISt17integral_constantIbLb0EES1A_EEDaS15_S16_EUlS15_E_NS1_11comp_targetILNS1_3genE9ELNS1_11target_archE1100ELNS1_3gpuE3ELNS1_3repE0EEENS1_30default_config_static_selectorELNS0_4arch9wavefront6targetE1EEEvT1_
	.p2align	8
	.type	_ZN7rocprim17ROCPRIM_400000_NS6detail17trampoline_kernelINS0_14default_configENS1_25partition_config_selectorILNS1_17partition_subalgoE9EllbEEZZNS1_14partition_implILS5_9ELb0ES3_jPlS8_PNS0_10empty_typeENS0_5tupleIJS8_S9_EEENSB_IJS8_SA_EEENS0_18inequality_wrapperIZN2at6native12_GLOBAL__N_124unique_dim_cuda_templateIdEESt5tupleIJNSF_6TensorESK_SK_EERKSK_lbbbEUlllE0_EEPmJS9_EEE10hipError_tPvRmT3_T4_T5_T6_T7_T9_mT8_P12ihipStream_tbDpT10_ENKUlT_T0_E_clISt17integral_constantIbLb0EES1A_EEDaS15_S16_EUlS15_E_NS1_11comp_targetILNS1_3genE9ELNS1_11target_archE1100ELNS1_3gpuE3ELNS1_3repE0EEENS1_30default_config_static_selectorELNS0_4arch9wavefront6targetE1EEEvT1_,@function
_ZN7rocprim17ROCPRIM_400000_NS6detail17trampoline_kernelINS0_14default_configENS1_25partition_config_selectorILNS1_17partition_subalgoE9EllbEEZZNS1_14partition_implILS5_9ELb0ES3_jPlS8_PNS0_10empty_typeENS0_5tupleIJS8_S9_EEENSB_IJS8_SA_EEENS0_18inequality_wrapperIZN2at6native12_GLOBAL__N_124unique_dim_cuda_templateIdEESt5tupleIJNSF_6TensorESK_SK_EERKSK_lbbbEUlllE0_EEPmJS9_EEE10hipError_tPvRmT3_T4_T5_T6_T7_T9_mT8_P12ihipStream_tbDpT10_ENKUlT_T0_E_clISt17integral_constantIbLb0EES1A_EEDaS15_S16_EUlS15_E_NS1_11comp_targetILNS1_3genE9ELNS1_11target_archE1100ELNS1_3gpuE3ELNS1_3repE0EEENS1_30default_config_static_selectorELNS0_4arch9wavefront6targetE1EEEvT1_: ; @_ZN7rocprim17ROCPRIM_400000_NS6detail17trampoline_kernelINS0_14default_configENS1_25partition_config_selectorILNS1_17partition_subalgoE9EllbEEZZNS1_14partition_implILS5_9ELb0ES3_jPlS8_PNS0_10empty_typeENS0_5tupleIJS8_S9_EEENSB_IJS8_SA_EEENS0_18inequality_wrapperIZN2at6native12_GLOBAL__N_124unique_dim_cuda_templateIdEESt5tupleIJNSF_6TensorESK_SK_EERKSK_lbbbEUlllE0_EEPmJS9_EEE10hipError_tPvRmT3_T4_T5_T6_T7_T9_mT8_P12ihipStream_tbDpT10_ENKUlT_T0_E_clISt17integral_constantIbLb0EES1A_EEDaS15_S16_EUlS15_E_NS1_11comp_targetILNS1_3genE9ELNS1_11target_archE1100ELNS1_3gpuE3ELNS1_3repE0EEENS1_30default_config_static_selectorELNS0_4arch9wavefront6targetE1EEEvT1_
; %bb.0:
	.section	.rodata,"a",@progbits
	.p2align	6, 0x0
	.amdhsa_kernel _ZN7rocprim17ROCPRIM_400000_NS6detail17trampoline_kernelINS0_14default_configENS1_25partition_config_selectorILNS1_17partition_subalgoE9EllbEEZZNS1_14partition_implILS5_9ELb0ES3_jPlS8_PNS0_10empty_typeENS0_5tupleIJS8_S9_EEENSB_IJS8_SA_EEENS0_18inequality_wrapperIZN2at6native12_GLOBAL__N_124unique_dim_cuda_templateIdEESt5tupleIJNSF_6TensorESK_SK_EERKSK_lbbbEUlllE0_EEPmJS9_EEE10hipError_tPvRmT3_T4_T5_T6_T7_T9_mT8_P12ihipStream_tbDpT10_ENKUlT_T0_E_clISt17integral_constantIbLb0EES1A_EEDaS15_S16_EUlS15_E_NS1_11comp_targetILNS1_3genE9ELNS1_11target_archE1100ELNS1_3gpuE3ELNS1_3repE0EEENS1_30default_config_static_selectorELNS0_4arch9wavefront6targetE1EEEvT1_
		.amdhsa_group_segment_fixed_size 0
		.amdhsa_private_segment_fixed_size 0
		.amdhsa_kernarg_size 120
		.amdhsa_user_sgpr_count 2
		.amdhsa_user_sgpr_dispatch_ptr 0
		.amdhsa_user_sgpr_queue_ptr 0
		.amdhsa_user_sgpr_kernarg_segment_ptr 1
		.amdhsa_user_sgpr_dispatch_id 0
		.amdhsa_user_sgpr_kernarg_preload_length 0
		.amdhsa_user_sgpr_kernarg_preload_offset 0
		.amdhsa_user_sgpr_private_segment_size 0
		.amdhsa_uses_dynamic_stack 0
		.amdhsa_enable_private_segment 0
		.amdhsa_system_sgpr_workgroup_id_x 1
		.amdhsa_system_sgpr_workgroup_id_y 0
		.amdhsa_system_sgpr_workgroup_id_z 0
		.amdhsa_system_sgpr_workgroup_info 0
		.amdhsa_system_vgpr_workitem_id 0
		.amdhsa_next_free_vgpr 1
		.amdhsa_next_free_sgpr 0
		.amdhsa_accum_offset 4
		.amdhsa_reserve_vcc 0
		.amdhsa_float_round_mode_32 0
		.amdhsa_float_round_mode_16_64 0
		.amdhsa_float_denorm_mode_32 3
		.amdhsa_float_denorm_mode_16_64 3
		.amdhsa_dx10_clamp 1
		.amdhsa_ieee_mode 1
		.amdhsa_fp16_overflow 0
		.amdhsa_tg_split 0
		.amdhsa_exception_fp_ieee_invalid_op 0
		.amdhsa_exception_fp_denorm_src 0
		.amdhsa_exception_fp_ieee_div_zero 0
		.amdhsa_exception_fp_ieee_overflow 0
		.amdhsa_exception_fp_ieee_underflow 0
		.amdhsa_exception_fp_ieee_inexact 0
		.amdhsa_exception_int_div_zero 0
	.end_amdhsa_kernel
	.section	.text._ZN7rocprim17ROCPRIM_400000_NS6detail17trampoline_kernelINS0_14default_configENS1_25partition_config_selectorILNS1_17partition_subalgoE9EllbEEZZNS1_14partition_implILS5_9ELb0ES3_jPlS8_PNS0_10empty_typeENS0_5tupleIJS8_S9_EEENSB_IJS8_SA_EEENS0_18inequality_wrapperIZN2at6native12_GLOBAL__N_124unique_dim_cuda_templateIdEESt5tupleIJNSF_6TensorESK_SK_EERKSK_lbbbEUlllE0_EEPmJS9_EEE10hipError_tPvRmT3_T4_T5_T6_T7_T9_mT8_P12ihipStream_tbDpT10_ENKUlT_T0_E_clISt17integral_constantIbLb0EES1A_EEDaS15_S16_EUlS15_E_NS1_11comp_targetILNS1_3genE9ELNS1_11target_archE1100ELNS1_3gpuE3ELNS1_3repE0EEENS1_30default_config_static_selectorELNS0_4arch9wavefront6targetE1EEEvT1_,"axG",@progbits,_ZN7rocprim17ROCPRIM_400000_NS6detail17trampoline_kernelINS0_14default_configENS1_25partition_config_selectorILNS1_17partition_subalgoE9EllbEEZZNS1_14partition_implILS5_9ELb0ES3_jPlS8_PNS0_10empty_typeENS0_5tupleIJS8_S9_EEENSB_IJS8_SA_EEENS0_18inequality_wrapperIZN2at6native12_GLOBAL__N_124unique_dim_cuda_templateIdEESt5tupleIJNSF_6TensorESK_SK_EERKSK_lbbbEUlllE0_EEPmJS9_EEE10hipError_tPvRmT3_T4_T5_T6_T7_T9_mT8_P12ihipStream_tbDpT10_ENKUlT_T0_E_clISt17integral_constantIbLb0EES1A_EEDaS15_S16_EUlS15_E_NS1_11comp_targetILNS1_3genE9ELNS1_11target_archE1100ELNS1_3gpuE3ELNS1_3repE0EEENS1_30default_config_static_selectorELNS0_4arch9wavefront6targetE1EEEvT1_,comdat
.Lfunc_end851:
	.size	_ZN7rocprim17ROCPRIM_400000_NS6detail17trampoline_kernelINS0_14default_configENS1_25partition_config_selectorILNS1_17partition_subalgoE9EllbEEZZNS1_14partition_implILS5_9ELb0ES3_jPlS8_PNS0_10empty_typeENS0_5tupleIJS8_S9_EEENSB_IJS8_SA_EEENS0_18inequality_wrapperIZN2at6native12_GLOBAL__N_124unique_dim_cuda_templateIdEESt5tupleIJNSF_6TensorESK_SK_EERKSK_lbbbEUlllE0_EEPmJS9_EEE10hipError_tPvRmT3_T4_T5_T6_T7_T9_mT8_P12ihipStream_tbDpT10_ENKUlT_T0_E_clISt17integral_constantIbLb0EES1A_EEDaS15_S16_EUlS15_E_NS1_11comp_targetILNS1_3genE9ELNS1_11target_archE1100ELNS1_3gpuE3ELNS1_3repE0EEENS1_30default_config_static_selectorELNS0_4arch9wavefront6targetE1EEEvT1_, .Lfunc_end851-_ZN7rocprim17ROCPRIM_400000_NS6detail17trampoline_kernelINS0_14default_configENS1_25partition_config_selectorILNS1_17partition_subalgoE9EllbEEZZNS1_14partition_implILS5_9ELb0ES3_jPlS8_PNS0_10empty_typeENS0_5tupleIJS8_S9_EEENSB_IJS8_SA_EEENS0_18inequality_wrapperIZN2at6native12_GLOBAL__N_124unique_dim_cuda_templateIdEESt5tupleIJNSF_6TensorESK_SK_EERKSK_lbbbEUlllE0_EEPmJS9_EEE10hipError_tPvRmT3_T4_T5_T6_T7_T9_mT8_P12ihipStream_tbDpT10_ENKUlT_T0_E_clISt17integral_constantIbLb0EES1A_EEDaS15_S16_EUlS15_E_NS1_11comp_targetILNS1_3genE9ELNS1_11target_archE1100ELNS1_3gpuE3ELNS1_3repE0EEENS1_30default_config_static_selectorELNS0_4arch9wavefront6targetE1EEEvT1_
                                        ; -- End function
	.section	.AMDGPU.csdata,"",@progbits
; Kernel info:
; codeLenInByte = 0
; NumSgprs: 6
; NumVgprs: 0
; NumAgprs: 0
; TotalNumVgprs: 0
; ScratchSize: 0
; MemoryBound: 0
; FloatMode: 240
; IeeeMode: 1
; LDSByteSize: 0 bytes/workgroup (compile time only)
; SGPRBlocks: 0
; VGPRBlocks: 0
; NumSGPRsForWavesPerEU: 6
; NumVGPRsForWavesPerEU: 1
; AccumOffset: 4
; Occupancy: 8
; WaveLimiterHint : 0
; COMPUTE_PGM_RSRC2:SCRATCH_EN: 0
; COMPUTE_PGM_RSRC2:USER_SGPR: 2
; COMPUTE_PGM_RSRC2:TRAP_HANDLER: 0
; COMPUTE_PGM_RSRC2:TGID_X_EN: 1
; COMPUTE_PGM_RSRC2:TGID_Y_EN: 0
; COMPUTE_PGM_RSRC2:TGID_Z_EN: 0
; COMPUTE_PGM_RSRC2:TIDIG_COMP_CNT: 0
; COMPUTE_PGM_RSRC3_GFX90A:ACCUM_OFFSET: 0
; COMPUTE_PGM_RSRC3_GFX90A:TG_SPLIT: 0
	.section	.text._ZN7rocprim17ROCPRIM_400000_NS6detail17trampoline_kernelINS0_14default_configENS1_25partition_config_selectorILNS1_17partition_subalgoE9EllbEEZZNS1_14partition_implILS5_9ELb0ES3_jPlS8_PNS0_10empty_typeENS0_5tupleIJS8_S9_EEENSB_IJS8_SA_EEENS0_18inequality_wrapperIZN2at6native12_GLOBAL__N_124unique_dim_cuda_templateIdEESt5tupleIJNSF_6TensorESK_SK_EERKSK_lbbbEUlllE0_EEPmJS9_EEE10hipError_tPvRmT3_T4_T5_T6_T7_T9_mT8_P12ihipStream_tbDpT10_ENKUlT_T0_E_clISt17integral_constantIbLb0EES1A_EEDaS15_S16_EUlS15_E_NS1_11comp_targetILNS1_3genE8ELNS1_11target_archE1030ELNS1_3gpuE2ELNS1_3repE0EEENS1_30default_config_static_selectorELNS0_4arch9wavefront6targetE1EEEvT1_,"axG",@progbits,_ZN7rocprim17ROCPRIM_400000_NS6detail17trampoline_kernelINS0_14default_configENS1_25partition_config_selectorILNS1_17partition_subalgoE9EllbEEZZNS1_14partition_implILS5_9ELb0ES3_jPlS8_PNS0_10empty_typeENS0_5tupleIJS8_S9_EEENSB_IJS8_SA_EEENS0_18inequality_wrapperIZN2at6native12_GLOBAL__N_124unique_dim_cuda_templateIdEESt5tupleIJNSF_6TensorESK_SK_EERKSK_lbbbEUlllE0_EEPmJS9_EEE10hipError_tPvRmT3_T4_T5_T6_T7_T9_mT8_P12ihipStream_tbDpT10_ENKUlT_T0_E_clISt17integral_constantIbLb0EES1A_EEDaS15_S16_EUlS15_E_NS1_11comp_targetILNS1_3genE8ELNS1_11target_archE1030ELNS1_3gpuE2ELNS1_3repE0EEENS1_30default_config_static_selectorELNS0_4arch9wavefront6targetE1EEEvT1_,comdat
	.globl	_ZN7rocprim17ROCPRIM_400000_NS6detail17trampoline_kernelINS0_14default_configENS1_25partition_config_selectorILNS1_17partition_subalgoE9EllbEEZZNS1_14partition_implILS5_9ELb0ES3_jPlS8_PNS0_10empty_typeENS0_5tupleIJS8_S9_EEENSB_IJS8_SA_EEENS0_18inequality_wrapperIZN2at6native12_GLOBAL__N_124unique_dim_cuda_templateIdEESt5tupleIJNSF_6TensorESK_SK_EERKSK_lbbbEUlllE0_EEPmJS9_EEE10hipError_tPvRmT3_T4_T5_T6_T7_T9_mT8_P12ihipStream_tbDpT10_ENKUlT_T0_E_clISt17integral_constantIbLb0EES1A_EEDaS15_S16_EUlS15_E_NS1_11comp_targetILNS1_3genE8ELNS1_11target_archE1030ELNS1_3gpuE2ELNS1_3repE0EEENS1_30default_config_static_selectorELNS0_4arch9wavefront6targetE1EEEvT1_ ; -- Begin function _ZN7rocprim17ROCPRIM_400000_NS6detail17trampoline_kernelINS0_14default_configENS1_25partition_config_selectorILNS1_17partition_subalgoE9EllbEEZZNS1_14partition_implILS5_9ELb0ES3_jPlS8_PNS0_10empty_typeENS0_5tupleIJS8_S9_EEENSB_IJS8_SA_EEENS0_18inequality_wrapperIZN2at6native12_GLOBAL__N_124unique_dim_cuda_templateIdEESt5tupleIJNSF_6TensorESK_SK_EERKSK_lbbbEUlllE0_EEPmJS9_EEE10hipError_tPvRmT3_T4_T5_T6_T7_T9_mT8_P12ihipStream_tbDpT10_ENKUlT_T0_E_clISt17integral_constantIbLb0EES1A_EEDaS15_S16_EUlS15_E_NS1_11comp_targetILNS1_3genE8ELNS1_11target_archE1030ELNS1_3gpuE2ELNS1_3repE0EEENS1_30default_config_static_selectorELNS0_4arch9wavefront6targetE1EEEvT1_
	.p2align	8
	.type	_ZN7rocprim17ROCPRIM_400000_NS6detail17trampoline_kernelINS0_14default_configENS1_25partition_config_selectorILNS1_17partition_subalgoE9EllbEEZZNS1_14partition_implILS5_9ELb0ES3_jPlS8_PNS0_10empty_typeENS0_5tupleIJS8_S9_EEENSB_IJS8_SA_EEENS0_18inequality_wrapperIZN2at6native12_GLOBAL__N_124unique_dim_cuda_templateIdEESt5tupleIJNSF_6TensorESK_SK_EERKSK_lbbbEUlllE0_EEPmJS9_EEE10hipError_tPvRmT3_T4_T5_T6_T7_T9_mT8_P12ihipStream_tbDpT10_ENKUlT_T0_E_clISt17integral_constantIbLb0EES1A_EEDaS15_S16_EUlS15_E_NS1_11comp_targetILNS1_3genE8ELNS1_11target_archE1030ELNS1_3gpuE2ELNS1_3repE0EEENS1_30default_config_static_selectorELNS0_4arch9wavefront6targetE1EEEvT1_,@function
_ZN7rocprim17ROCPRIM_400000_NS6detail17trampoline_kernelINS0_14default_configENS1_25partition_config_selectorILNS1_17partition_subalgoE9EllbEEZZNS1_14partition_implILS5_9ELb0ES3_jPlS8_PNS0_10empty_typeENS0_5tupleIJS8_S9_EEENSB_IJS8_SA_EEENS0_18inequality_wrapperIZN2at6native12_GLOBAL__N_124unique_dim_cuda_templateIdEESt5tupleIJNSF_6TensorESK_SK_EERKSK_lbbbEUlllE0_EEPmJS9_EEE10hipError_tPvRmT3_T4_T5_T6_T7_T9_mT8_P12ihipStream_tbDpT10_ENKUlT_T0_E_clISt17integral_constantIbLb0EES1A_EEDaS15_S16_EUlS15_E_NS1_11comp_targetILNS1_3genE8ELNS1_11target_archE1030ELNS1_3gpuE2ELNS1_3repE0EEENS1_30default_config_static_selectorELNS0_4arch9wavefront6targetE1EEEvT1_: ; @_ZN7rocprim17ROCPRIM_400000_NS6detail17trampoline_kernelINS0_14default_configENS1_25partition_config_selectorILNS1_17partition_subalgoE9EllbEEZZNS1_14partition_implILS5_9ELb0ES3_jPlS8_PNS0_10empty_typeENS0_5tupleIJS8_S9_EEENSB_IJS8_SA_EEENS0_18inequality_wrapperIZN2at6native12_GLOBAL__N_124unique_dim_cuda_templateIdEESt5tupleIJNSF_6TensorESK_SK_EERKSK_lbbbEUlllE0_EEPmJS9_EEE10hipError_tPvRmT3_T4_T5_T6_T7_T9_mT8_P12ihipStream_tbDpT10_ENKUlT_T0_E_clISt17integral_constantIbLb0EES1A_EEDaS15_S16_EUlS15_E_NS1_11comp_targetILNS1_3genE8ELNS1_11target_archE1030ELNS1_3gpuE2ELNS1_3repE0EEENS1_30default_config_static_selectorELNS0_4arch9wavefront6targetE1EEEvT1_
; %bb.0:
	.section	.rodata,"a",@progbits
	.p2align	6, 0x0
	.amdhsa_kernel _ZN7rocprim17ROCPRIM_400000_NS6detail17trampoline_kernelINS0_14default_configENS1_25partition_config_selectorILNS1_17partition_subalgoE9EllbEEZZNS1_14partition_implILS5_9ELb0ES3_jPlS8_PNS0_10empty_typeENS0_5tupleIJS8_S9_EEENSB_IJS8_SA_EEENS0_18inequality_wrapperIZN2at6native12_GLOBAL__N_124unique_dim_cuda_templateIdEESt5tupleIJNSF_6TensorESK_SK_EERKSK_lbbbEUlllE0_EEPmJS9_EEE10hipError_tPvRmT3_T4_T5_T6_T7_T9_mT8_P12ihipStream_tbDpT10_ENKUlT_T0_E_clISt17integral_constantIbLb0EES1A_EEDaS15_S16_EUlS15_E_NS1_11comp_targetILNS1_3genE8ELNS1_11target_archE1030ELNS1_3gpuE2ELNS1_3repE0EEENS1_30default_config_static_selectorELNS0_4arch9wavefront6targetE1EEEvT1_
		.amdhsa_group_segment_fixed_size 0
		.amdhsa_private_segment_fixed_size 0
		.amdhsa_kernarg_size 120
		.amdhsa_user_sgpr_count 2
		.amdhsa_user_sgpr_dispatch_ptr 0
		.amdhsa_user_sgpr_queue_ptr 0
		.amdhsa_user_sgpr_kernarg_segment_ptr 1
		.amdhsa_user_sgpr_dispatch_id 0
		.amdhsa_user_sgpr_kernarg_preload_length 0
		.amdhsa_user_sgpr_kernarg_preload_offset 0
		.amdhsa_user_sgpr_private_segment_size 0
		.amdhsa_uses_dynamic_stack 0
		.amdhsa_enable_private_segment 0
		.amdhsa_system_sgpr_workgroup_id_x 1
		.amdhsa_system_sgpr_workgroup_id_y 0
		.amdhsa_system_sgpr_workgroup_id_z 0
		.amdhsa_system_sgpr_workgroup_info 0
		.amdhsa_system_vgpr_workitem_id 0
		.amdhsa_next_free_vgpr 1
		.amdhsa_next_free_sgpr 0
		.amdhsa_accum_offset 4
		.amdhsa_reserve_vcc 0
		.amdhsa_float_round_mode_32 0
		.amdhsa_float_round_mode_16_64 0
		.amdhsa_float_denorm_mode_32 3
		.amdhsa_float_denorm_mode_16_64 3
		.amdhsa_dx10_clamp 1
		.amdhsa_ieee_mode 1
		.amdhsa_fp16_overflow 0
		.amdhsa_tg_split 0
		.amdhsa_exception_fp_ieee_invalid_op 0
		.amdhsa_exception_fp_denorm_src 0
		.amdhsa_exception_fp_ieee_div_zero 0
		.amdhsa_exception_fp_ieee_overflow 0
		.amdhsa_exception_fp_ieee_underflow 0
		.amdhsa_exception_fp_ieee_inexact 0
		.amdhsa_exception_int_div_zero 0
	.end_amdhsa_kernel
	.section	.text._ZN7rocprim17ROCPRIM_400000_NS6detail17trampoline_kernelINS0_14default_configENS1_25partition_config_selectorILNS1_17partition_subalgoE9EllbEEZZNS1_14partition_implILS5_9ELb0ES3_jPlS8_PNS0_10empty_typeENS0_5tupleIJS8_S9_EEENSB_IJS8_SA_EEENS0_18inequality_wrapperIZN2at6native12_GLOBAL__N_124unique_dim_cuda_templateIdEESt5tupleIJNSF_6TensorESK_SK_EERKSK_lbbbEUlllE0_EEPmJS9_EEE10hipError_tPvRmT3_T4_T5_T6_T7_T9_mT8_P12ihipStream_tbDpT10_ENKUlT_T0_E_clISt17integral_constantIbLb0EES1A_EEDaS15_S16_EUlS15_E_NS1_11comp_targetILNS1_3genE8ELNS1_11target_archE1030ELNS1_3gpuE2ELNS1_3repE0EEENS1_30default_config_static_selectorELNS0_4arch9wavefront6targetE1EEEvT1_,"axG",@progbits,_ZN7rocprim17ROCPRIM_400000_NS6detail17trampoline_kernelINS0_14default_configENS1_25partition_config_selectorILNS1_17partition_subalgoE9EllbEEZZNS1_14partition_implILS5_9ELb0ES3_jPlS8_PNS0_10empty_typeENS0_5tupleIJS8_S9_EEENSB_IJS8_SA_EEENS0_18inequality_wrapperIZN2at6native12_GLOBAL__N_124unique_dim_cuda_templateIdEESt5tupleIJNSF_6TensorESK_SK_EERKSK_lbbbEUlllE0_EEPmJS9_EEE10hipError_tPvRmT3_T4_T5_T6_T7_T9_mT8_P12ihipStream_tbDpT10_ENKUlT_T0_E_clISt17integral_constantIbLb0EES1A_EEDaS15_S16_EUlS15_E_NS1_11comp_targetILNS1_3genE8ELNS1_11target_archE1030ELNS1_3gpuE2ELNS1_3repE0EEENS1_30default_config_static_selectorELNS0_4arch9wavefront6targetE1EEEvT1_,comdat
.Lfunc_end852:
	.size	_ZN7rocprim17ROCPRIM_400000_NS6detail17trampoline_kernelINS0_14default_configENS1_25partition_config_selectorILNS1_17partition_subalgoE9EllbEEZZNS1_14partition_implILS5_9ELb0ES3_jPlS8_PNS0_10empty_typeENS0_5tupleIJS8_S9_EEENSB_IJS8_SA_EEENS0_18inequality_wrapperIZN2at6native12_GLOBAL__N_124unique_dim_cuda_templateIdEESt5tupleIJNSF_6TensorESK_SK_EERKSK_lbbbEUlllE0_EEPmJS9_EEE10hipError_tPvRmT3_T4_T5_T6_T7_T9_mT8_P12ihipStream_tbDpT10_ENKUlT_T0_E_clISt17integral_constantIbLb0EES1A_EEDaS15_S16_EUlS15_E_NS1_11comp_targetILNS1_3genE8ELNS1_11target_archE1030ELNS1_3gpuE2ELNS1_3repE0EEENS1_30default_config_static_selectorELNS0_4arch9wavefront6targetE1EEEvT1_, .Lfunc_end852-_ZN7rocprim17ROCPRIM_400000_NS6detail17trampoline_kernelINS0_14default_configENS1_25partition_config_selectorILNS1_17partition_subalgoE9EllbEEZZNS1_14partition_implILS5_9ELb0ES3_jPlS8_PNS0_10empty_typeENS0_5tupleIJS8_S9_EEENSB_IJS8_SA_EEENS0_18inequality_wrapperIZN2at6native12_GLOBAL__N_124unique_dim_cuda_templateIdEESt5tupleIJNSF_6TensorESK_SK_EERKSK_lbbbEUlllE0_EEPmJS9_EEE10hipError_tPvRmT3_T4_T5_T6_T7_T9_mT8_P12ihipStream_tbDpT10_ENKUlT_T0_E_clISt17integral_constantIbLb0EES1A_EEDaS15_S16_EUlS15_E_NS1_11comp_targetILNS1_3genE8ELNS1_11target_archE1030ELNS1_3gpuE2ELNS1_3repE0EEENS1_30default_config_static_selectorELNS0_4arch9wavefront6targetE1EEEvT1_
                                        ; -- End function
	.section	.AMDGPU.csdata,"",@progbits
; Kernel info:
; codeLenInByte = 0
; NumSgprs: 6
; NumVgprs: 0
; NumAgprs: 0
; TotalNumVgprs: 0
; ScratchSize: 0
; MemoryBound: 0
; FloatMode: 240
; IeeeMode: 1
; LDSByteSize: 0 bytes/workgroup (compile time only)
; SGPRBlocks: 0
; VGPRBlocks: 0
; NumSGPRsForWavesPerEU: 6
; NumVGPRsForWavesPerEU: 1
; AccumOffset: 4
; Occupancy: 8
; WaveLimiterHint : 0
; COMPUTE_PGM_RSRC2:SCRATCH_EN: 0
; COMPUTE_PGM_RSRC2:USER_SGPR: 2
; COMPUTE_PGM_RSRC2:TRAP_HANDLER: 0
; COMPUTE_PGM_RSRC2:TGID_X_EN: 1
; COMPUTE_PGM_RSRC2:TGID_Y_EN: 0
; COMPUTE_PGM_RSRC2:TGID_Z_EN: 0
; COMPUTE_PGM_RSRC2:TIDIG_COMP_CNT: 0
; COMPUTE_PGM_RSRC3_GFX90A:ACCUM_OFFSET: 0
; COMPUTE_PGM_RSRC3_GFX90A:TG_SPLIT: 0
	.section	.text._ZN7rocprim17ROCPRIM_400000_NS6detail17trampoline_kernelINS0_14default_configENS1_25partition_config_selectorILNS1_17partition_subalgoE9EllbEEZZNS1_14partition_implILS5_9ELb0ES3_jPlS8_PNS0_10empty_typeENS0_5tupleIJS8_S9_EEENSB_IJS8_SA_EEENS0_18inequality_wrapperIZN2at6native12_GLOBAL__N_124unique_dim_cuda_templateIdEESt5tupleIJNSF_6TensorESK_SK_EERKSK_lbbbEUlllE0_EEPmJS9_EEE10hipError_tPvRmT3_T4_T5_T6_T7_T9_mT8_P12ihipStream_tbDpT10_ENKUlT_T0_E_clISt17integral_constantIbLb1EES1A_EEDaS15_S16_EUlS15_E_NS1_11comp_targetILNS1_3genE0ELNS1_11target_archE4294967295ELNS1_3gpuE0ELNS1_3repE0EEENS1_30default_config_static_selectorELNS0_4arch9wavefront6targetE1EEEvT1_,"axG",@progbits,_ZN7rocprim17ROCPRIM_400000_NS6detail17trampoline_kernelINS0_14default_configENS1_25partition_config_selectorILNS1_17partition_subalgoE9EllbEEZZNS1_14partition_implILS5_9ELb0ES3_jPlS8_PNS0_10empty_typeENS0_5tupleIJS8_S9_EEENSB_IJS8_SA_EEENS0_18inequality_wrapperIZN2at6native12_GLOBAL__N_124unique_dim_cuda_templateIdEESt5tupleIJNSF_6TensorESK_SK_EERKSK_lbbbEUlllE0_EEPmJS9_EEE10hipError_tPvRmT3_T4_T5_T6_T7_T9_mT8_P12ihipStream_tbDpT10_ENKUlT_T0_E_clISt17integral_constantIbLb1EES1A_EEDaS15_S16_EUlS15_E_NS1_11comp_targetILNS1_3genE0ELNS1_11target_archE4294967295ELNS1_3gpuE0ELNS1_3repE0EEENS1_30default_config_static_selectorELNS0_4arch9wavefront6targetE1EEEvT1_,comdat
	.globl	_ZN7rocprim17ROCPRIM_400000_NS6detail17trampoline_kernelINS0_14default_configENS1_25partition_config_selectorILNS1_17partition_subalgoE9EllbEEZZNS1_14partition_implILS5_9ELb0ES3_jPlS8_PNS0_10empty_typeENS0_5tupleIJS8_S9_EEENSB_IJS8_SA_EEENS0_18inequality_wrapperIZN2at6native12_GLOBAL__N_124unique_dim_cuda_templateIdEESt5tupleIJNSF_6TensorESK_SK_EERKSK_lbbbEUlllE0_EEPmJS9_EEE10hipError_tPvRmT3_T4_T5_T6_T7_T9_mT8_P12ihipStream_tbDpT10_ENKUlT_T0_E_clISt17integral_constantIbLb1EES1A_EEDaS15_S16_EUlS15_E_NS1_11comp_targetILNS1_3genE0ELNS1_11target_archE4294967295ELNS1_3gpuE0ELNS1_3repE0EEENS1_30default_config_static_selectorELNS0_4arch9wavefront6targetE1EEEvT1_ ; -- Begin function _ZN7rocprim17ROCPRIM_400000_NS6detail17trampoline_kernelINS0_14default_configENS1_25partition_config_selectorILNS1_17partition_subalgoE9EllbEEZZNS1_14partition_implILS5_9ELb0ES3_jPlS8_PNS0_10empty_typeENS0_5tupleIJS8_S9_EEENSB_IJS8_SA_EEENS0_18inequality_wrapperIZN2at6native12_GLOBAL__N_124unique_dim_cuda_templateIdEESt5tupleIJNSF_6TensorESK_SK_EERKSK_lbbbEUlllE0_EEPmJS9_EEE10hipError_tPvRmT3_T4_T5_T6_T7_T9_mT8_P12ihipStream_tbDpT10_ENKUlT_T0_E_clISt17integral_constantIbLb1EES1A_EEDaS15_S16_EUlS15_E_NS1_11comp_targetILNS1_3genE0ELNS1_11target_archE4294967295ELNS1_3gpuE0ELNS1_3repE0EEENS1_30default_config_static_selectorELNS0_4arch9wavefront6targetE1EEEvT1_
	.p2align	8
	.type	_ZN7rocprim17ROCPRIM_400000_NS6detail17trampoline_kernelINS0_14default_configENS1_25partition_config_selectorILNS1_17partition_subalgoE9EllbEEZZNS1_14partition_implILS5_9ELb0ES3_jPlS8_PNS0_10empty_typeENS0_5tupleIJS8_S9_EEENSB_IJS8_SA_EEENS0_18inequality_wrapperIZN2at6native12_GLOBAL__N_124unique_dim_cuda_templateIdEESt5tupleIJNSF_6TensorESK_SK_EERKSK_lbbbEUlllE0_EEPmJS9_EEE10hipError_tPvRmT3_T4_T5_T6_T7_T9_mT8_P12ihipStream_tbDpT10_ENKUlT_T0_E_clISt17integral_constantIbLb1EES1A_EEDaS15_S16_EUlS15_E_NS1_11comp_targetILNS1_3genE0ELNS1_11target_archE4294967295ELNS1_3gpuE0ELNS1_3repE0EEENS1_30default_config_static_selectorELNS0_4arch9wavefront6targetE1EEEvT1_,@function
_ZN7rocprim17ROCPRIM_400000_NS6detail17trampoline_kernelINS0_14default_configENS1_25partition_config_selectorILNS1_17partition_subalgoE9EllbEEZZNS1_14partition_implILS5_9ELb0ES3_jPlS8_PNS0_10empty_typeENS0_5tupleIJS8_S9_EEENSB_IJS8_SA_EEENS0_18inequality_wrapperIZN2at6native12_GLOBAL__N_124unique_dim_cuda_templateIdEESt5tupleIJNSF_6TensorESK_SK_EERKSK_lbbbEUlllE0_EEPmJS9_EEE10hipError_tPvRmT3_T4_T5_T6_T7_T9_mT8_P12ihipStream_tbDpT10_ENKUlT_T0_E_clISt17integral_constantIbLb1EES1A_EEDaS15_S16_EUlS15_E_NS1_11comp_targetILNS1_3genE0ELNS1_11target_archE4294967295ELNS1_3gpuE0ELNS1_3repE0EEENS1_30default_config_static_selectorELNS0_4arch9wavefront6targetE1EEEvT1_: ; @_ZN7rocprim17ROCPRIM_400000_NS6detail17trampoline_kernelINS0_14default_configENS1_25partition_config_selectorILNS1_17partition_subalgoE9EllbEEZZNS1_14partition_implILS5_9ELb0ES3_jPlS8_PNS0_10empty_typeENS0_5tupleIJS8_S9_EEENSB_IJS8_SA_EEENS0_18inequality_wrapperIZN2at6native12_GLOBAL__N_124unique_dim_cuda_templateIdEESt5tupleIJNSF_6TensorESK_SK_EERKSK_lbbbEUlllE0_EEPmJS9_EEE10hipError_tPvRmT3_T4_T5_T6_T7_T9_mT8_P12ihipStream_tbDpT10_ENKUlT_T0_E_clISt17integral_constantIbLb1EES1A_EEDaS15_S16_EUlS15_E_NS1_11comp_targetILNS1_3genE0ELNS1_11target_archE4294967295ELNS1_3gpuE0ELNS1_3repE0EEENS1_30default_config_static_selectorELNS0_4arch9wavefront6targetE1EEEvT1_
; %bb.0:
	.section	.rodata,"a",@progbits
	.p2align	6, 0x0
	.amdhsa_kernel _ZN7rocprim17ROCPRIM_400000_NS6detail17trampoline_kernelINS0_14default_configENS1_25partition_config_selectorILNS1_17partition_subalgoE9EllbEEZZNS1_14partition_implILS5_9ELb0ES3_jPlS8_PNS0_10empty_typeENS0_5tupleIJS8_S9_EEENSB_IJS8_SA_EEENS0_18inequality_wrapperIZN2at6native12_GLOBAL__N_124unique_dim_cuda_templateIdEESt5tupleIJNSF_6TensorESK_SK_EERKSK_lbbbEUlllE0_EEPmJS9_EEE10hipError_tPvRmT3_T4_T5_T6_T7_T9_mT8_P12ihipStream_tbDpT10_ENKUlT_T0_E_clISt17integral_constantIbLb1EES1A_EEDaS15_S16_EUlS15_E_NS1_11comp_targetILNS1_3genE0ELNS1_11target_archE4294967295ELNS1_3gpuE0ELNS1_3repE0EEENS1_30default_config_static_selectorELNS0_4arch9wavefront6targetE1EEEvT1_
		.amdhsa_group_segment_fixed_size 0
		.amdhsa_private_segment_fixed_size 0
		.amdhsa_kernarg_size 136
		.amdhsa_user_sgpr_count 2
		.amdhsa_user_sgpr_dispatch_ptr 0
		.amdhsa_user_sgpr_queue_ptr 0
		.amdhsa_user_sgpr_kernarg_segment_ptr 1
		.amdhsa_user_sgpr_dispatch_id 0
		.amdhsa_user_sgpr_kernarg_preload_length 0
		.amdhsa_user_sgpr_kernarg_preload_offset 0
		.amdhsa_user_sgpr_private_segment_size 0
		.amdhsa_uses_dynamic_stack 0
		.amdhsa_enable_private_segment 0
		.amdhsa_system_sgpr_workgroup_id_x 1
		.amdhsa_system_sgpr_workgroup_id_y 0
		.amdhsa_system_sgpr_workgroup_id_z 0
		.amdhsa_system_sgpr_workgroup_info 0
		.amdhsa_system_vgpr_workitem_id 0
		.amdhsa_next_free_vgpr 1
		.amdhsa_next_free_sgpr 0
		.amdhsa_accum_offset 4
		.amdhsa_reserve_vcc 0
		.amdhsa_float_round_mode_32 0
		.amdhsa_float_round_mode_16_64 0
		.amdhsa_float_denorm_mode_32 3
		.amdhsa_float_denorm_mode_16_64 3
		.amdhsa_dx10_clamp 1
		.amdhsa_ieee_mode 1
		.amdhsa_fp16_overflow 0
		.amdhsa_tg_split 0
		.amdhsa_exception_fp_ieee_invalid_op 0
		.amdhsa_exception_fp_denorm_src 0
		.amdhsa_exception_fp_ieee_div_zero 0
		.amdhsa_exception_fp_ieee_overflow 0
		.amdhsa_exception_fp_ieee_underflow 0
		.amdhsa_exception_fp_ieee_inexact 0
		.amdhsa_exception_int_div_zero 0
	.end_amdhsa_kernel
	.section	.text._ZN7rocprim17ROCPRIM_400000_NS6detail17trampoline_kernelINS0_14default_configENS1_25partition_config_selectorILNS1_17partition_subalgoE9EllbEEZZNS1_14partition_implILS5_9ELb0ES3_jPlS8_PNS0_10empty_typeENS0_5tupleIJS8_S9_EEENSB_IJS8_SA_EEENS0_18inequality_wrapperIZN2at6native12_GLOBAL__N_124unique_dim_cuda_templateIdEESt5tupleIJNSF_6TensorESK_SK_EERKSK_lbbbEUlllE0_EEPmJS9_EEE10hipError_tPvRmT3_T4_T5_T6_T7_T9_mT8_P12ihipStream_tbDpT10_ENKUlT_T0_E_clISt17integral_constantIbLb1EES1A_EEDaS15_S16_EUlS15_E_NS1_11comp_targetILNS1_3genE0ELNS1_11target_archE4294967295ELNS1_3gpuE0ELNS1_3repE0EEENS1_30default_config_static_selectorELNS0_4arch9wavefront6targetE1EEEvT1_,"axG",@progbits,_ZN7rocprim17ROCPRIM_400000_NS6detail17trampoline_kernelINS0_14default_configENS1_25partition_config_selectorILNS1_17partition_subalgoE9EllbEEZZNS1_14partition_implILS5_9ELb0ES3_jPlS8_PNS0_10empty_typeENS0_5tupleIJS8_S9_EEENSB_IJS8_SA_EEENS0_18inequality_wrapperIZN2at6native12_GLOBAL__N_124unique_dim_cuda_templateIdEESt5tupleIJNSF_6TensorESK_SK_EERKSK_lbbbEUlllE0_EEPmJS9_EEE10hipError_tPvRmT3_T4_T5_T6_T7_T9_mT8_P12ihipStream_tbDpT10_ENKUlT_T0_E_clISt17integral_constantIbLb1EES1A_EEDaS15_S16_EUlS15_E_NS1_11comp_targetILNS1_3genE0ELNS1_11target_archE4294967295ELNS1_3gpuE0ELNS1_3repE0EEENS1_30default_config_static_selectorELNS0_4arch9wavefront6targetE1EEEvT1_,comdat
.Lfunc_end853:
	.size	_ZN7rocprim17ROCPRIM_400000_NS6detail17trampoline_kernelINS0_14default_configENS1_25partition_config_selectorILNS1_17partition_subalgoE9EllbEEZZNS1_14partition_implILS5_9ELb0ES3_jPlS8_PNS0_10empty_typeENS0_5tupleIJS8_S9_EEENSB_IJS8_SA_EEENS0_18inequality_wrapperIZN2at6native12_GLOBAL__N_124unique_dim_cuda_templateIdEESt5tupleIJNSF_6TensorESK_SK_EERKSK_lbbbEUlllE0_EEPmJS9_EEE10hipError_tPvRmT3_T4_T5_T6_T7_T9_mT8_P12ihipStream_tbDpT10_ENKUlT_T0_E_clISt17integral_constantIbLb1EES1A_EEDaS15_S16_EUlS15_E_NS1_11comp_targetILNS1_3genE0ELNS1_11target_archE4294967295ELNS1_3gpuE0ELNS1_3repE0EEENS1_30default_config_static_selectorELNS0_4arch9wavefront6targetE1EEEvT1_, .Lfunc_end853-_ZN7rocprim17ROCPRIM_400000_NS6detail17trampoline_kernelINS0_14default_configENS1_25partition_config_selectorILNS1_17partition_subalgoE9EllbEEZZNS1_14partition_implILS5_9ELb0ES3_jPlS8_PNS0_10empty_typeENS0_5tupleIJS8_S9_EEENSB_IJS8_SA_EEENS0_18inequality_wrapperIZN2at6native12_GLOBAL__N_124unique_dim_cuda_templateIdEESt5tupleIJNSF_6TensorESK_SK_EERKSK_lbbbEUlllE0_EEPmJS9_EEE10hipError_tPvRmT3_T4_T5_T6_T7_T9_mT8_P12ihipStream_tbDpT10_ENKUlT_T0_E_clISt17integral_constantIbLb1EES1A_EEDaS15_S16_EUlS15_E_NS1_11comp_targetILNS1_3genE0ELNS1_11target_archE4294967295ELNS1_3gpuE0ELNS1_3repE0EEENS1_30default_config_static_selectorELNS0_4arch9wavefront6targetE1EEEvT1_
                                        ; -- End function
	.section	.AMDGPU.csdata,"",@progbits
; Kernel info:
; codeLenInByte = 0
; NumSgprs: 6
; NumVgprs: 0
; NumAgprs: 0
; TotalNumVgprs: 0
; ScratchSize: 0
; MemoryBound: 0
; FloatMode: 240
; IeeeMode: 1
; LDSByteSize: 0 bytes/workgroup (compile time only)
; SGPRBlocks: 0
; VGPRBlocks: 0
; NumSGPRsForWavesPerEU: 6
; NumVGPRsForWavesPerEU: 1
; AccumOffset: 4
; Occupancy: 8
; WaveLimiterHint : 0
; COMPUTE_PGM_RSRC2:SCRATCH_EN: 0
; COMPUTE_PGM_RSRC2:USER_SGPR: 2
; COMPUTE_PGM_RSRC2:TRAP_HANDLER: 0
; COMPUTE_PGM_RSRC2:TGID_X_EN: 1
; COMPUTE_PGM_RSRC2:TGID_Y_EN: 0
; COMPUTE_PGM_RSRC2:TGID_Z_EN: 0
; COMPUTE_PGM_RSRC2:TIDIG_COMP_CNT: 0
; COMPUTE_PGM_RSRC3_GFX90A:ACCUM_OFFSET: 0
; COMPUTE_PGM_RSRC3_GFX90A:TG_SPLIT: 0
	.section	.text._ZN7rocprim17ROCPRIM_400000_NS6detail17trampoline_kernelINS0_14default_configENS1_25partition_config_selectorILNS1_17partition_subalgoE9EllbEEZZNS1_14partition_implILS5_9ELb0ES3_jPlS8_PNS0_10empty_typeENS0_5tupleIJS8_S9_EEENSB_IJS8_SA_EEENS0_18inequality_wrapperIZN2at6native12_GLOBAL__N_124unique_dim_cuda_templateIdEESt5tupleIJNSF_6TensorESK_SK_EERKSK_lbbbEUlllE0_EEPmJS9_EEE10hipError_tPvRmT3_T4_T5_T6_T7_T9_mT8_P12ihipStream_tbDpT10_ENKUlT_T0_E_clISt17integral_constantIbLb1EES1A_EEDaS15_S16_EUlS15_E_NS1_11comp_targetILNS1_3genE5ELNS1_11target_archE942ELNS1_3gpuE9ELNS1_3repE0EEENS1_30default_config_static_selectorELNS0_4arch9wavefront6targetE1EEEvT1_,"axG",@progbits,_ZN7rocprim17ROCPRIM_400000_NS6detail17trampoline_kernelINS0_14default_configENS1_25partition_config_selectorILNS1_17partition_subalgoE9EllbEEZZNS1_14partition_implILS5_9ELb0ES3_jPlS8_PNS0_10empty_typeENS0_5tupleIJS8_S9_EEENSB_IJS8_SA_EEENS0_18inequality_wrapperIZN2at6native12_GLOBAL__N_124unique_dim_cuda_templateIdEESt5tupleIJNSF_6TensorESK_SK_EERKSK_lbbbEUlllE0_EEPmJS9_EEE10hipError_tPvRmT3_T4_T5_T6_T7_T9_mT8_P12ihipStream_tbDpT10_ENKUlT_T0_E_clISt17integral_constantIbLb1EES1A_EEDaS15_S16_EUlS15_E_NS1_11comp_targetILNS1_3genE5ELNS1_11target_archE942ELNS1_3gpuE9ELNS1_3repE0EEENS1_30default_config_static_selectorELNS0_4arch9wavefront6targetE1EEEvT1_,comdat
	.globl	_ZN7rocprim17ROCPRIM_400000_NS6detail17trampoline_kernelINS0_14default_configENS1_25partition_config_selectorILNS1_17partition_subalgoE9EllbEEZZNS1_14partition_implILS5_9ELb0ES3_jPlS8_PNS0_10empty_typeENS0_5tupleIJS8_S9_EEENSB_IJS8_SA_EEENS0_18inequality_wrapperIZN2at6native12_GLOBAL__N_124unique_dim_cuda_templateIdEESt5tupleIJNSF_6TensorESK_SK_EERKSK_lbbbEUlllE0_EEPmJS9_EEE10hipError_tPvRmT3_T4_T5_T6_T7_T9_mT8_P12ihipStream_tbDpT10_ENKUlT_T0_E_clISt17integral_constantIbLb1EES1A_EEDaS15_S16_EUlS15_E_NS1_11comp_targetILNS1_3genE5ELNS1_11target_archE942ELNS1_3gpuE9ELNS1_3repE0EEENS1_30default_config_static_selectorELNS0_4arch9wavefront6targetE1EEEvT1_ ; -- Begin function _ZN7rocprim17ROCPRIM_400000_NS6detail17trampoline_kernelINS0_14default_configENS1_25partition_config_selectorILNS1_17partition_subalgoE9EllbEEZZNS1_14partition_implILS5_9ELb0ES3_jPlS8_PNS0_10empty_typeENS0_5tupleIJS8_S9_EEENSB_IJS8_SA_EEENS0_18inequality_wrapperIZN2at6native12_GLOBAL__N_124unique_dim_cuda_templateIdEESt5tupleIJNSF_6TensorESK_SK_EERKSK_lbbbEUlllE0_EEPmJS9_EEE10hipError_tPvRmT3_T4_T5_T6_T7_T9_mT8_P12ihipStream_tbDpT10_ENKUlT_T0_E_clISt17integral_constantIbLb1EES1A_EEDaS15_S16_EUlS15_E_NS1_11comp_targetILNS1_3genE5ELNS1_11target_archE942ELNS1_3gpuE9ELNS1_3repE0EEENS1_30default_config_static_selectorELNS0_4arch9wavefront6targetE1EEEvT1_
	.p2align	8
	.type	_ZN7rocprim17ROCPRIM_400000_NS6detail17trampoline_kernelINS0_14default_configENS1_25partition_config_selectorILNS1_17partition_subalgoE9EllbEEZZNS1_14partition_implILS5_9ELb0ES3_jPlS8_PNS0_10empty_typeENS0_5tupleIJS8_S9_EEENSB_IJS8_SA_EEENS0_18inequality_wrapperIZN2at6native12_GLOBAL__N_124unique_dim_cuda_templateIdEESt5tupleIJNSF_6TensorESK_SK_EERKSK_lbbbEUlllE0_EEPmJS9_EEE10hipError_tPvRmT3_T4_T5_T6_T7_T9_mT8_P12ihipStream_tbDpT10_ENKUlT_T0_E_clISt17integral_constantIbLb1EES1A_EEDaS15_S16_EUlS15_E_NS1_11comp_targetILNS1_3genE5ELNS1_11target_archE942ELNS1_3gpuE9ELNS1_3repE0EEENS1_30default_config_static_selectorELNS0_4arch9wavefront6targetE1EEEvT1_,@function
_ZN7rocprim17ROCPRIM_400000_NS6detail17trampoline_kernelINS0_14default_configENS1_25partition_config_selectorILNS1_17partition_subalgoE9EllbEEZZNS1_14partition_implILS5_9ELb0ES3_jPlS8_PNS0_10empty_typeENS0_5tupleIJS8_S9_EEENSB_IJS8_SA_EEENS0_18inequality_wrapperIZN2at6native12_GLOBAL__N_124unique_dim_cuda_templateIdEESt5tupleIJNSF_6TensorESK_SK_EERKSK_lbbbEUlllE0_EEPmJS9_EEE10hipError_tPvRmT3_T4_T5_T6_T7_T9_mT8_P12ihipStream_tbDpT10_ENKUlT_T0_E_clISt17integral_constantIbLb1EES1A_EEDaS15_S16_EUlS15_E_NS1_11comp_targetILNS1_3genE5ELNS1_11target_archE942ELNS1_3gpuE9ELNS1_3repE0EEENS1_30default_config_static_selectorELNS0_4arch9wavefront6targetE1EEEvT1_: ; @_ZN7rocprim17ROCPRIM_400000_NS6detail17trampoline_kernelINS0_14default_configENS1_25partition_config_selectorILNS1_17partition_subalgoE9EllbEEZZNS1_14partition_implILS5_9ELb0ES3_jPlS8_PNS0_10empty_typeENS0_5tupleIJS8_S9_EEENSB_IJS8_SA_EEENS0_18inequality_wrapperIZN2at6native12_GLOBAL__N_124unique_dim_cuda_templateIdEESt5tupleIJNSF_6TensorESK_SK_EERKSK_lbbbEUlllE0_EEPmJS9_EEE10hipError_tPvRmT3_T4_T5_T6_T7_T9_mT8_P12ihipStream_tbDpT10_ENKUlT_T0_E_clISt17integral_constantIbLb1EES1A_EEDaS15_S16_EUlS15_E_NS1_11comp_targetILNS1_3genE5ELNS1_11target_archE942ELNS1_3gpuE9ELNS1_3repE0EEENS1_30default_config_static_selectorELNS0_4arch9wavefront6targetE1EEEvT1_
; %bb.0:
	s_load_dwordx4 s[4:7], s[0:1], 0x8
	s_load_dwordx2 s[10:11], s[0:1], 0x18
	s_load_dwordx8 s[20:27], s[0:1], 0x40
	s_load_dwordx4 s[36:39], s[0:1], 0x60
	v_cmp_ne_u32_e64 s[2:3], 0, v0
	v_cmp_eq_u32_e64 s[18:19], 0, v0
	s_and_saveexec_b64 s[8:9], s[18:19]
	s_cbranch_execz .LBB854_4
; %bb.1:
	s_mov_b64 s[14:15], exec
	v_mbcnt_lo_u32_b32 v1, s14, 0
	v_mbcnt_hi_u32_b32 v1, s15, v1
	v_cmp_eq_u32_e32 vcc, 0, v1
                                        ; implicit-def: $vgpr2
	s_and_saveexec_b64 s[12:13], vcc
	s_cbranch_execz .LBB854_3
; %bb.2:
	s_load_dwordx2 s[16:17], s[0:1], 0x78
	s_bcnt1_i32_b64 s14, s[14:15]
	v_mov_b32_e32 v2, 0
	v_mov_b32_e32 v3, s14
	s_waitcnt lgkmcnt(0)
	global_atomic_add v2, v2, v3, s[16:17] sc0
.LBB854_3:
	s_or_b64 exec, exec, s[12:13]
	s_waitcnt vmcnt(0)
	v_readfirstlane_b32 s12, v2
	v_mov_b32_e32 v2, 0
	s_nop 0
	v_add_u32_e32 v1, s12, v1
	ds_write_b32 v2, v1
.LBB854_4:
	s_or_b64 exec, exec, s[8:9]
	v_mov_b32_e32 v3, 0
	s_load_dwordx4 s[28:31], s[0:1], 0x28
	s_load_dword s8, s[0:1], 0x70
	s_waitcnt lgkmcnt(0)
	s_barrier
	ds_read_b32 v1, v3
	s_waitcnt lgkmcnt(0)
	s_barrier
	global_load_dwordx2 v[4:5], v3, s[22:23]
	s_lshl_b64 s[12:13], s[6:7], 3
	s_mul_i32 s14, s8, 0xe00
	s_add_u32 s16, s4, s12
	s_addc_u32 s17, s5, s13
	s_add_i32 s4, s14, s6
	s_sub_i32 s54, s24, s4
	s_add_i32 s15, s8, -1
	s_addk_i32 s54, 0xe00
	s_add_u32 s4, s6, s14
	v_readfirstlane_b32 s33, v1
	s_addc_u32 s5, s7, 0
	v_mov_b32_e32 v6, s24
	v_mov_b32_e32 v7, s25
	s_cmp_eq_u32 s33, s15
	s_mov_b32 s9, 0
	s_mul_i32 s8, s33, 0xe00
	v_cmp_ge_u64_e32 vcc, s[4:5], v[6:7]
	s_cselect_b64 s[24:25], -1, 0
	s_lshl_b64 s[14:15], s[8:9], 3
	s_and_b64 s[8:9], vcc, s[24:25]
	s_xor_b64 s[34:35], s[8:9], -1
	s_add_u32 s4, s16, s14
	s_mov_b64 s[0:1], -1
	s_addc_u32 s5, s17, s15
	s_and_b64 vcc, exec, s[34:35]
	s_waitcnt vmcnt(0)
	v_readfirstlane_b32 s22, v4
	v_readfirstlane_b32 s23, v5
	s_cbranch_vccz .LBB854_6
; %bb.5:
	v_lshlrev_b32_e32 v2, 3, v0
	v_lshl_add_u64 v[4:5], s[4:5], 0, v[2:3]
	v_add_co_u32_e32 v8, vcc, 0x1000, v4
	global_load_dwordx2 v[6:7], v2, s[4:5]
	s_nop 0
	v_addc_co_u32_e32 v9, vcc, 0, v5, vcc
	v_add_co_u32_e32 v10, vcc, 0x2000, v4
	s_mov_b64 s[0:1], 0
	s_nop 0
	v_addc_co_u32_e32 v11, vcc, 0, v5, vcc
	v_add_co_u32_e32 v12, vcc, 0x3000, v4
	s_nop 1
	v_addc_co_u32_e32 v13, vcc, 0, v5, vcc
	v_add_co_u32_e32 v14, vcc, 0x4000, v4
	s_nop 1
	v_addc_co_u32_e32 v15, vcc, 0, v5, vcc
	global_load_dwordx2 v[16:17], v[8:9], off
	global_load_dwordx2 v[18:19], v[10:11], off
	;; [unrolled: 1-line block ×4, first 2 shown]
	v_add_co_u32_e32 v8, vcc, 0x5000, v4
	s_nop 1
	v_addc_co_u32_e32 v9, vcc, 0, v5, vcc
	v_add_co_u32_e32 v4, vcc, 0x6000, v4
	global_load_dwordx2 v[8:9], v[8:9], off
	s_nop 0
	v_addc_co_u32_e32 v5, vcc, 0, v5, vcc
	global_load_dwordx2 v[4:5], v[4:5], off
	s_waitcnt vmcnt(5)
	ds_write2st64_b64 v2, v[6:7], v[16:17] offset1:8
	s_waitcnt vmcnt(3)
	ds_write2st64_b64 v2, v[18:19], v[20:21] offset0:16 offset1:24
	s_waitcnt vmcnt(1)
	ds_write2st64_b64 v2, v[22:23], v[8:9] offset0:32 offset1:40
	s_waitcnt vmcnt(0)
	ds_write_b64 v2, v[4:5] offset:24576
	s_waitcnt lgkmcnt(0)
	s_barrier
.LBB854_6:
	s_andn2_b64 vcc, exec, s[0:1]
	v_cmp_gt_u32_e64 s[0:1], s54, v0
	s_cbranch_vccnz .LBB854_22
; %bb.7:
                                        ; implicit-def: $vgpr2_vgpr3_vgpr4_vgpr5_vgpr6_vgpr7_vgpr8_vgpr9_vgpr10_vgpr11_vgpr12_vgpr13_vgpr14_vgpr15_vgpr16_vgpr17
	s_and_saveexec_b64 s[16:17], s[0:1]
	s_cbranch_execz .LBB854_9
; %bb.8:
	v_lshlrev_b32_e32 v1, 3, v0
	global_load_dwordx2 v[2:3], v1, s[4:5]
.LBB854_9:
	s_or_b64 exec, exec, s[16:17]
	v_or_b32_e32 v1, 0x200, v0
	v_cmp_gt_u32_e32 vcc, s54, v1
	s_and_saveexec_b64 s[0:1], vcc
	s_cbranch_execz .LBB854_11
; %bb.10:
	v_lshlrev_b32_e32 v1, 3, v1
	global_load_dwordx2 v[4:5], v1, s[4:5]
.LBB854_11:
	s_or_b64 exec, exec, s[0:1]
	v_or_b32_e32 v1, 0x400, v0
	v_cmp_gt_u32_e32 vcc, s54, v1
	s_and_saveexec_b64 s[0:1], vcc
	;; [unrolled: 9-line block ×6, first 2 shown]
	s_cbranch_execz .LBB854_21
; %bb.20:
	v_lshlrev_b32_e32 v1, 3, v1
	global_load_dwordx2 v[14:15], v1, s[4:5]
.LBB854_21:
	s_or_b64 exec, exec, s[0:1]
	v_lshlrev_b32_e32 v1, 3, v0
	s_waitcnt vmcnt(0)
	ds_write2st64_b64 v1, v[2:3], v[4:5] offset1:8
	ds_write2st64_b64 v1, v[6:7], v[8:9] offset0:16 offset1:24
	ds_write2st64_b64 v1, v[10:11], v[12:13] offset0:32 offset1:40
	ds_write_b64 v1, v[14:15] offset:24576
	s_waitcnt lgkmcnt(0)
	s_barrier
.LBB854_22:
	v_mul_u32_u24_e32 v1, 7, v0
	v_lshlrev_b32_e32 v46, 3, v1
	ds_read2_b64 v[22:25], v46 offset1:1
	ds_read2_b64 v[18:21], v46 offset0:2 offset1:3
	ds_read2_b64 v[14:17], v46 offset0:4 offset1:5
	ds_read_b64 v[28:29], v46 offset:48
	s_add_u32 s0, s10, s12
	s_addc_u32 s1, s11, s13
	s_add_u32 s0, s0, s14
	s_addc_u32 s1, s1, s15
	s_mov_b64 s[10:11], -1
	s_and_b64 vcc, exec, s[34:35]
	s_waitcnt lgkmcnt(0)
	s_barrier
	s_cbranch_vccz .LBB854_24
; %bb.23:
	v_lshlrev_b32_e32 v2, 3, v0
	v_mov_b32_e32 v3, 0
	v_lshl_add_u64 v[4:5], s[0:1], 0, v[2:3]
	v_add_co_u32_e32 v8, vcc, 0x1000, v4
	global_load_dwordx2 v[6:7], v2, s[0:1]
	s_nop 0
	v_addc_co_u32_e32 v9, vcc, 0, v5, vcc
	v_add_co_u32_e32 v10, vcc, 0x2000, v4
	s_mov_b64 s[10:11], 0
	s_nop 0
	v_addc_co_u32_e32 v11, vcc, 0, v5, vcc
	v_add_co_u32_e32 v12, vcc, 0x3000, v4
	s_nop 1
	v_addc_co_u32_e32 v13, vcc, 0, v5, vcc
	v_add_co_u32_e32 v26, vcc, 0x4000, v4
	s_nop 1
	v_addc_co_u32_e32 v27, vcc, 0, v5, vcc
	global_load_dwordx2 v[30:31], v[8:9], off
	global_load_dwordx2 v[32:33], v[10:11], off
	;; [unrolled: 1-line block ×4, first 2 shown]
	v_add_co_u32_e32 v8, vcc, 0x5000, v4
	s_nop 1
	v_addc_co_u32_e32 v9, vcc, 0, v5, vcc
	v_add_co_u32_e32 v4, vcc, 0x6000, v4
	global_load_dwordx2 v[8:9], v[8:9], off
	s_nop 0
	v_addc_co_u32_e32 v5, vcc, 0, v5, vcc
	global_load_dwordx2 v[4:5], v[4:5], off
	s_waitcnt vmcnt(5)
	ds_write2st64_b64 v2, v[6:7], v[30:31] offset1:8
	s_waitcnt vmcnt(3)
	ds_write2st64_b64 v2, v[32:33], v[34:35] offset0:16 offset1:24
	s_waitcnt vmcnt(1)
	ds_write2st64_b64 v2, v[36:37], v[8:9] offset0:32 offset1:40
	s_waitcnt vmcnt(0)
	ds_write_b64 v2, v[4:5] offset:24576
	s_waitcnt lgkmcnt(0)
	s_barrier
.LBB854_24:
	s_andn2_b64 vcc, exec, s[10:11]
	s_cbranch_vccnz .LBB854_40
; %bb.25:
	v_cmp_gt_u32_e32 vcc, s54, v0
                                        ; implicit-def: $vgpr2_vgpr3
	s_and_saveexec_b64 s[10:11], vcc
	s_cbranch_execz .LBB854_27
; %bb.26:
	v_lshlrev_b32_e32 v2, 3, v0
	global_load_dwordx2 v[2:3], v2, s[0:1]
.LBB854_27:
	s_or_b64 exec, exec, s[10:11]
	v_or_b32_e32 v6, 0x200, v0
	v_cmp_gt_u32_e32 vcc, s54, v6
                                        ; implicit-def: $vgpr4_vgpr5
	s_and_saveexec_b64 s[10:11], vcc
	s_cbranch_execz .LBB854_29
; %bb.28:
	v_lshlrev_b32_e32 v4, 3, v6
	global_load_dwordx2 v[4:5], v4, s[0:1]
.LBB854_29:
	s_or_b64 exec, exec, s[10:11]
	v_or_b32_e32 v8, 0x400, v0
	v_cmp_gt_u32_e32 vcc, s54, v8
                                        ; implicit-def: $vgpr6_vgpr7
	s_and_saveexec_b64 s[10:11], vcc
	s_cbranch_execz .LBB854_31
; %bb.30:
	v_lshlrev_b32_e32 v6, 3, v8
	global_load_dwordx2 v[6:7], v6, s[0:1]
.LBB854_31:
	s_or_b64 exec, exec, s[10:11]
	v_or_b32_e32 v10, 0x600, v0
	v_cmp_gt_u32_e32 vcc, s54, v10
                                        ; implicit-def: $vgpr8_vgpr9
	s_and_saveexec_b64 s[10:11], vcc
	s_cbranch_execz .LBB854_33
; %bb.32:
	v_lshlrev_b32_e32 v8, 3, v10
	global_load_dwordx2 v[8:9], v8, s[0:1]
.LBB854_33:
	s_or_b64 exec, exec, s[10:11]
	v_or_b32_e32 v12, 0x800, v0
	v_cmp_gt_u32_e32 vcc, s54, v12
                                        ; implicit-def: $vgpr10_vgpr11
	s_and_saveexec_b64 s[10:11], vcc
	s_cbranch_execz .LBB854_35
; %bb.34:
	v_lshlrev_b32_e32 v10, 3, v12
	global_load_dwordx2 v[10:11], v10, s[0:1]
.LBB854_35:
	s_or_b64 exec, exec, s[10:11]
	v_or_b32_e32 v26, 0xa00, v0
	v_cmp_gt_u32_e32 vcc, s54, v26
                                        ; implicit-def: $vgpr12_vgpr13
	s_and_saveexec_b64 s[10:11], vcc
	s_cbranch_execz .LBB854_37
; %bb.36:
	v_lshlrev_b32_e32 v12, 3, v26
	global_load_dwordx2 v[12:13], v12, s[0:1]
.LBB854_37:
	s_or_b64 exec, exec, s[10:11]
	v_or_b32_e32 v30, 0xc00, v0
	v_cmp_gt_u32_e32 vcc, s54, v30
                                        ; implicit-def: $vgpr26_vgpr27
	s_and_saveexec_b64 s[10:11], vcc
	s_cbranch_execz .LBB854_39
; %bb.38:
	v_lshlrev_b32_e32 v26, 3, v30
	global_load_dwordx2 v[26:27], v26, s[0:1]
.LBB854_39:
	s_or_b64 exec, exec, s[10:11]
	s_movk_i32 s0, 0xffd0
	v_mad_i32_i24 v30, v0, s0, v46
	s_waitcnt vmcnt(0)
	ds_write2st64_b64 v30, v[2:3], v[4:5] offset1:8
	ds_write2st64_b64 v30, v[6:7], v[8:9] offset0:16 offset1:24
	ds_write2st64_b64 v30, v[10:11], v[12:13] offset0:32 offset1:40
	ds_write_b64 v30, v[26:27] offset:24576
	s_waitcnt lgkmcnt(0)
	s_barrier
.LBB854_40:
	ds_read2_b64 v[10:13], v46 offset1:1
	ds_read2_b64 v[6:9], v46 offset0:2 offset1:3
	ds_read2_b64 v[2:5], v46 offset0:4 offset1:5
	ds_read_b64 v[26:27], v46 offset:48
	s_cmp_lg_u32 s33, 0
	s_cselect_b64 s[0:1], -1, 0
	s_cmp_lg_u64 s[6:7], 0
	s_cselect_b64 s[6:7], -1, 0
	s_or_b64 s[6:7], s[6:7], s[0:1]
	v_add_u32_e32 v43, 1, v1
	v_add_u32_e32 v40, 2, v1
	;; [unrolled: 1-line block ×6, first 2 shown]
	s_mov_b64 s[10:11], 0
	s_and_b64 vcc, exec, s[6:7]
	v_cmp_gt_i64_e64 s[12:13], s[26:27], 0
	s_waitcnt lgkmcnt(0)
	s_barrier
	s_cbranch_vccz .LBB854_49
; %bb.41:
	v_mov_b32_e32 v30, 0
	global_load_dwordx2 v[30:31], v30, s[4:5] offset:-8
	v_cndmask_b32_e64 v32, 0, 1, s[12:13]
	v_lshlrev_b32_e32 v47, 3, v0
	s_mov_b64 s[6:7], 0
	s_and_b64 vcc, exec, s[34:35]
	v_cmp_ne_u32_e64 s[4:5], 1, v32
	ds_write_b64 v47, v[28:29]
	s_cbranch_vccz .LBB854_51
; %bb.42:
	v_mul_lo_u32 v34, v17, s26
	v_mul_lo_u32 v35, v16, s27
	v_mad_u64_u32 v[32:33], s[10:11], v16, s26, 0
	v_add3_u32 v33, v33, v35, v34
	s_and_b64 vcc, exec, s[4:5]
	v_lshl_add_u64 v[32:33], v[32:33], 3, s[36:37]
	s_cbranch_vccnz .LBB854_54
; %bb.43:
	v_mul_lo_u32 v36, v29, s26
	v_mul_lo_u32 v37, v28, s27
	v_mad_u64_u32 v[34:35], s[6:7], v28, s26, 0
	v_add3_u32 v35, v35, v37, v36
	v_lshl_add_u64 v[34:35], v[34:35], 3, s[36:37]
	global_load_dwordx2 v[36:37], v[32:33], off
	global_load_dwordx2 v[38:39], v[34:35], off
	s_mov_b64 s[6:7], -1
	s_waitcnt vmcnt(0)
	v_cmp_eq_f64_e32 vcc, v[36:37], v[38:39]
	s_and_saveexec_b64 s[10:11], vcc
	s_cbranch_execz .LBB854_53
; %bb.44:
	s_add_u32 s6, s26, -1
	v_lshl_add_u64 v[34:35], v[34:35], 0, 8
	v_lshl_add_u64 v[36:37], v[32:33], 0, 8
	s_addc_u32 s7, s27, -1
	s_mov_b64 s[12:13], 0
	s_mov_b64 s[16:17], 0
                                        ; implicit-def: $sgpr14_sgpr15
	s_branch .LBB854_47
.LBB854_45:                             ;   in Loop: Header=BB854_47 Depth=1
	global_load_dwordx2 v[38:39], v[36:37], off
	global_load_dwordx2 v[48:49], v[34:35], off
	s_add_u32 s16, s16, 1
	s_addc_u32 s17, s17, 0
	s_andn2_b64 s[14:15], s[14:15], exec
	v_lshl_add_u64 v[34:35], v[34:35], 0, 8
	v_lshl_add_u64 v[36:37], v[36:37], 0, 8
	s_waitcnt vmcnt(0)
	v_cmp_neq_f64_e32 vcc, v[38:39], v[48:49]
	s_and_b64 s[40:41], vcc, exec
	s_or_b64 s[14:15], s[14:15], s[40:41]
.LBB854_46:                             ;   in Loop: Header=BB854_47 Depth=1
	s_and_b64 s[40:41], exec, s[14:15]
	s_or_b64 s[12:13], s[40:41], s[12:13]
	v_mov_b64_e32 v[38:39], s[16:17]
	s_andn2_b64 exec, exec, s[12:13]
	s_cbranch_execz .LBB854_52
.LBB854_47:                             ; =>This Inner Loop Header: Depth=1
	s_or_b64 s[14:15], s[14:15], exec
	s_cmp_eq_u64 s[6:7], s[16:17]
	s_cbranch_scc0 .LBB854_45
; %bb.48:                               ;   in Loop: Header=BB854_47 Depth=1
                                        ; implicit-def: $vgpr34_vgpr35
                                        ; implicit-def: $vgpr36_vgpr37
	s_mov_b64 s[16:17], s[26:27]
	s_branch .LBB854_46
.LBB854_49:
                                        ; implicit-def: $sgpr14_sgpr15
                                        ; implicit-def: $vgpr49
                                        ; implicit-def: $vgpr48
                                        ; implicit-def: $vgpr39
                                        ; implicit-def: $vgpr34
	s_branch .LBB854_192
.LBB854_50:
                                        ; implicit-def: $vgpr30_vgpr31
	s_branch .LBB854_340
.LBB854_51:
                                        ; implicit-def: $sgpr14_sgpr15
                                        ; implicit-def: $vgpr49
                                        ; implicit-def: $vgpr48
                                        ; implicit-def: $vgpr39
                                        ; implicit-def: $vgpr34
	s_cbranch_execnz .LBB854_111
	s_branch .LBB854_191
.LBB854_52:
	s_or_b64 exec, exec, s[12:13]
	v_cmp_gt_i64_e32 vcc, s[26:27], v[38:39]
	s_orn2_b64 s[6:7], vcc, exec
.LBB854_53:
	s_or_b64 exec, exec, s[10:11]
.LBB854_54:
	v_mul_lo_u32 v36, v15, s26
	v_mul_lo_u32 v37, v14, s27
	v_mad_u64_u32 v[34:35], s[10:11], v14, s26, 0
	v_add3_u32 v35, v35, v37, v36
	s_mov_b64 s[10:11], 0
	s_and_b64 vcc, exec, s[4:5]
	v_lshl_add_u64 v[34:35], v[34:35], 3, s[36:37]
	s_mov_b64 s[12:13], 0
	s_cbranch_vccnz .LBB854_63
; %bb.55:
	global_load_dwordx2 v[36:37], v[34:35], off
	global_load_dwordx2 v[38:39], v[32:33], off
	s_mov_b64 s[12:13], -1
	s_waitcnt vmcnt(0)
	v_cmp_eq_f64_e32 vcc, v[36:37], v[38:39]
	s_and_saveexec_b64 s[14:15], vcc
	s_cbranch_execz .LBB854_62
; %bb.56:
	s_add_u32 s12, s26, -1
	v_lshl_add_u64 v[32:33], v[32:33], 0, 8
	v_lshl_add_u64 v[36:37], v[34:35], 0, 8
	s_addc_u32 s13, s27, -1
	s_mov_b64 s[16:17], 0
	s_mov_b64 s[42:43], 0
                                        ; implicit-def: $sgpr40_sgpr41
	s_branch .LBB854_59
.LBB854_57:                             ;   in Loop: Header=BB854_59 Depth=1
	global_load_dwordx2 v[38:39], v[36:37], off
	global_load_dwordx2 v[48:49], v[32:33], off
	s_add_u32 s42, s42, 1
	s_addc_u32 s43, s43, 0
	s_andn2_b64 s[40:41], s[40:41], exec
	v_lshl_add_u64 v[32:33], v[32:33], 0, 8
	v_lshl_add_u64 v[36:37], v[36:37], 0, 8
	s_waitcnt vmcnt(0)
	v_cmp_neq_f64_e32 vcc, v[38:39], v[48:49]
	s_and_b64 s[44:45], vcc, exec
	s_or_b64 s[40:41], s[40:41], s[44:45]
.LBB854_58:                             ;   in Loop: Header=BB854_59 Depth=1
	s_and_b64 s[44:45], exec, s[40:41]
	s_or_b64 s[16:17], s[44:45], s[16:17]
	v_mov_b64_e32 v[38:39], s[42:43]
	s_andn2_b64 exec, exec, s[16:17]
	s_cbranch_execz .LBB854_61
.LBB854_59:                             ; =>This Inner Loop Header: Depth=1
	s_or_b64 s[40:41], s[40:41], exec
	s_cmp_eq_u64 s[12:13], s[42:43]
	s_cbranch_scc0 .LBB854_57
; %bb.60:                               ;   in Loop: Header=BB854_59 Depth=1
                                        ; implicit-def: $vgpr32_vgpr33
                                        ; implicit-def: $vgpr36_vgpr37
	s_mov_b64 s[42:43], s[26:27]
	s_branch .LBB854_58
.LBB854_61:
	s_or_b64 exec, exec, s[16:17]
	v_cmp_gt_i64_e32 vcc, s[26:27], v[38:39]
	s_orn2_b64 s[12:13], vcc, exec
.LBB854_62:
	s_or_b64 exec, exec, s[14:15]
.LBB854_63:
	v_mul_lo_u32 v36, v21, s26
	v_mul_lo_u32 v37, v20, s27
	v_mad_u64_u32 v[32:33], s[14:15], v20, s26, 0
	v_add3_u32 v33, v33, v37, v36
	s_and_b64 vcc, exec, s[4:5]
	v_lshl_add_u64 v[32:33], v[32:33], 3, s[36:37]
	s_cbranch_vccnz .LBB854_72
; %bb.64:
	global_load_dwordx2 v[36:37], v[32:33], off
	global_load_dwordx2 v[38:39], v[34:35], off
	s_mov_b64 s[10:11], -1
	s_waitcnt vmcnt(0)
	v_cmp_eq_f64_e32 vcc, v[36:37], v[38:39]
	s_and_saveexec_b64 s[14:15], vcc
	s_cbranch_execz .LBB854_71
; %bb.65:
	s_add_u32 s10, s26, -1
	v_lshl_add_u64 v[34:35], v[34:35], 0, 8
	v_lshl_add_u64 v[36:37], v[32:33], 0, 8
	s_addc_u32 s11, s27, -1
	s_mov_b64 s[16:17], 0
	s_mov_b64 s[42:43], 0
                                        ; implicit-def: $sgpr40_sgpr41
	s_branch .LBB854_68
.LBB854_66:                             ;   in Loop: Header=BB854_68 Depth=1
	global_load_dwordx2 v[38:39], v[36:37], off
	global_load_dwordx2 v[48:49], v[34:35], off
	s_add_u32 s42, s42, 1
	s_addc_u32 s43, s43, 0
	s_andn2_b64 s[40:41], s[40:41], exec
	v_lshl_add_u64 v[34:35], v[34:35], 0, 8
	v_lshl_add_u64 v[36:37], v[36:37], 0, 8
	s_waitcnt vmcnt(0)
	v_cmp_neq_f64_e32 vcc, v[38:39], v[48:49]
	s_and_b64 s[44:45], vcc, exec
	s_or_b64 s[40:41], s[40:41], s[44:45]
.LBB854_67:                             ;   in Loop: Header=BB854_68 Depth=1
	s_and_b64 s[44:45], exec, s[40:41]
	s_or_b64 s[16:17], s[44:45], s[16:17]
	v_mov_b64_e32 v[38:39], s[42:43]
	s_andn2_b64 exec, exec, s[16:17]
	s_cbranch_execz .LBB854_70
.LBB854_68:                             ; =>This Inner Loop Header: Depth=1
	s_or_b64 s[40:41], s[40:41], exec
	s_cmp_eq_u64 s[10:11], s[42:43]
	s_cbranch_scc0 .LBB854_66
; %bb.69:                               ;   in Loop: Header=BB854_68 Depth=1
                                        ; implicit-def: $vgpr34_vgpr35
                                        ; implicit-def: $vgpr36_vgpr37
	s_mov_b64 s[42:43], s[26:27]
	s_branch .LBB854_67
.LBB854_70:
	s_or_b64 exec, exec, s[16:17]
	v_cmp_gt_i64_e32 vcc, s[26:27], v[38:39]
	s_orn2_b64 s[10:11], vcc, exec
.LBB854_71:
	s_or_b64 exec, exec, s[14:15]
.LBB854_72:
	v_mul_lo_u32 v36, v19, s26
	v_mul_lo_u32 v37, v18, s27
	v_mad_u64_u32 v[34:35], s[14:15], v18, s26, 0
	v_add3_u32 v35, v35, v37, v36
	s_mov_b64 s[14:15], 0
	s_and_b64 vcc, exec, s[4:5]
	v_lshl_add_u64 v[36:37], v[34:35], 3, s[36:37]
	s_mov_b64 s[16:17], 0
	s_cbranch_vccnz .LBB854_81
; %bb.73:
	global_load_dwordx2 v[34:35], v[36:37], off
	global_load_dwordx2 v[38:39], v[32:33], off
	s_mov_b64 s[16:17], -1
	s_waitcnt vmcnt(0)
	v_cmp_eq_f64_e32 vcc, v[34:35], v[38:39]
	s_and_saveexec_b64 s[40:41], vcc
	s_cbranch_execz .LBB854_80
; %bb.74:
	s_add_u32 s16, s26, -1
	v_lshl_add_u64 v[32:33], v[32:33], 0, 8
	v_lshl_add_u64 v[34:35], v[36:37], 0, 8
	s_addc_u32 s17, s27, -1
	s_mov_b64 s[42:43], 0
	s_mov_b64 s[46:47], 0
                                        ; implicit-def: $sgpr44_sgpr45
	s_branch .LBB854_77
.LBB854_75:                             ;   in Loop: Header=BB854_77 Depth=1
	global_load_dwordx2 v[38:39], v[34:35], off
	global_load_dwordx2 v[48:49], v[32:33], off
	s_add_u32 s46, s46, 1
	s_addc_u32 s47, s47, 0
	s_andn2_b64 s[44:45], s[44:45], exec
	v_lshl_add_u64 v[32:33], v[32:33], 0, 8
	v_lshl_add_u64 v[34:35], v[34:35], 0, 8
	s_waitcnt vmcnt(0)
	v_cmp_neq_f64_e32 vcc, v[38:39], v[48:49]
	s_and_b64 s[48:49], vcc, exec
	s_or_b64 s[44:45], s[44:45], s[48:49]
.LBB854_76:                             ;   in Loop: Header=BB854_77 Depth=1
	s_and_b64 s[48:49], exec, s[44:45]
	s_or_b64 s[42:43], s[48:49], s[42:43]
	v_mov_b64_e32 v[38:39], s[46:47]
	s_andn2_b64 exec, exec, s[42:43]
	s_cbranch_execz .LBB854_79
.LBB854_77:                             ; =>This Inner Loop Header: Depth=1
	s_or_b64 s[44:45], s[44:45], exec
	s_cmp_eq_u64 s[16:17], s[46:47]
	s_cbranch_scc0 .LBB854_75
; %bb.78:                               ;   in Loop: Header=BB854_77 Depth=1
                                        ; implicit-def: $vgpr32_vgpr33
                                        ; implicit-def: $vgpr34_vgpr35
	s_mov_b64 s[46:47], s[26:27]
	s_branch .LBB854_76
.LBB854_79:
	s_or_b64 exec, exec, s[42:43]
	v_cmp_gt_i64_e32 vcc, s[26:27], v[38:39]
	s_orn2_b64 s[16:17], vcc, exec
.LBB854_80:
	s_or_b64 exec, exec, s[40:41]
.LBB854_81:
	v_mul_lo_u32 v34, v25, s26
	v_mul_lo_u32 v35, v24, s27
	v_mad_u64_u32 v[32:33], s[40:41], v24, s26, 0
	v_add3_u32 v33, v33, v35, v34
	s_and_b64 vcc, exec, s[4:5]
	v_lshl_add_u64 v[34:35], v[32:33], 3, s[36:37]
	s_cbranch_vccnz .LBB854_90
; %bb.82:
	global_load_dwordx2 v[32:33], v[34:35], off
	global_load_dwordx2 v[38:39], v[36:37], off
	s_mov_b64 s[14:15], -1
	s_waitcnt vmcnt(0)
	v_cmp_eq_f64_e32 vcc, v[32:33], v[38:39]
	s_and_saveexec_b64 s[40:41], vcc
	s_cbranch_execz .LBB854_89
; %bb.83:
	s_add_u32 s14, s26, -1
	v_lshl_add_u64 v[32:33], v[36:37], 0, 8
	v_lshl_add_u64 v[36:37], v[34:35], 0, 8
	s_addc_u32 s15, s27, -1
	s_mov_b64 s[42:43], 0
	s_mov_b64 s[46:47], 0
                                        ; implicit-def: $sgpr44_sgpr45
	s_branch .LBB854_86
.LBB854_84:                             ;   in Loop: Header=BB854_86 Depth=1
	global_load_dwordx2 v[38:39], v[36:37], off
	global_load_dwordx2 v[48:49], v[32:33], off
	s_add_u32 s46, s46, 1
	s_addc_u32 s47, s47, 0
	s_andn2_b64 s[44:45], s[44:45], exec
	v_lshl_add_u64 v[32:33], v[32:33], 0, 8
	v_lshl_add_u64 v[36:37], v[36:37], 0, 8
	s_waitcnt vmcnt(0)
	v_cmp_neq_f64_e32 vcc, v[38:39], v[48:49]
	s_and_b64 s[48:49], vcc, exec
	s_or_b64 s[44:45], s[44:45], s[48:49]
.LBB854_85:                             ;   in Loop: Header=BB854_86 Depth=1
	s_and_b64 s[48:49], exec, s[44:45]
	s_or_b64 s[42:43], s[48:49], s[42:43]
	v_mov_b64_e32 v[38:39], s[46:47]
	s_andn2_b64 exec, exec, s[42:43]
	s_cbranch_execz .LBB854_88
.LBB854_86:                             ; =>This Inner Loop Header: Depth=1
	s_or_b64 s[44:45], s[44:45], exec
	s_cmp_eq_u64 s[14:15], s[46:47]
	s_cbranch_scc0 .LBB854_84
; %bb.87:                               ;   in Loop: Header=BB854_86 Depth=1
                                        ; implicit-def: $vgpr32_vgpr33
                                        ; implicit-def: $vgpr36_vgpr37
	s_mov_b64 s[46:47], s[26:27]
	s_branch .LBB854_85
.LBB854_88:
	s_or_b64 exec, exec, s[42:43]
	v_cmp_gt_i64_e32 vcc, s[26:27], v[38:39]
	s_orn2_b64 s[14:15], vcc, exec
.LBB854_89:
	s_or_b64 exec, exec, s[40:41]
.LBB854_90:
	v_mul_lo_u32 v36, v23, s26
	v_mul_lo_u32 v37, v22, s27
	v_mad_u64_u32 v[32:33], s[40:41], v22, s26, 0
	v_add3_u32 v33, v33, v37, v36
	s_mov_b64 s[42:43], 0
	s_and_b64 vcc, exec, s[4:5]
	v_lshl_add_u64 v[32:33], v[32:33], 3, s[36:37]
	s_cbranch_vccnz .LBB854_99
; %bb.91:
	global_load_dwordx2 v[36:37], v[32:33], off
	global_load_dwordx2 v[38:39], v[34:35], off
	s_mov_b64 s[42:43], -1
	s_waitcnt vmcnt(0)
	v_cmp_eq_f64_e32 vcc, v[36:37], v[38:39]
	s_and_saveexec_b64 s[40:41], vcc
	s_cbranch_execz .LBB854_98
; %bb.92:
	s_add_u32 s42, s26, -1
	v_lshl_add_u64 v[34:35], v[34:35], 0, 8
	v_lshl_add_u64 v[36:37], v[32:33], 0, 8
	s_addc_u32 s43, s27, -1
	s_mov_b64 s[44:45], 0
	s_mov_b64 s[48:49], 0
                                        ; implicit-def: $sgpr46_sgpr47
	s_branch .LBB854_95
.LBB854_93:                             ;   in Loop: Header=BB854_95 Depth=1
	global_load_dwordx2 v[38:39], v[36:37], off
	global_load_dwordx2 v[48:49], v[34:35], off
	s_add_u32 s48, s48, 1
	s_addc_u32 s49, s49, 0
	s_andn2_b64 s[46:47], s[46:47], exec
	v_lshl_add_u64 v[34:35], v[34:35], 0, 8
	v_lshl_add_u64 v[36:37], v[36:37], 0, 8
	s_waitcnt vmcnt(0)
	v_cmp_neq_f64_e32 vcc, v[38:39], v[48:49]
	s_and_b64 s[50:51], vcc, exec
	s_or_b64 s[46:47], s[46:47], s[50:51]
.LBB854_94:                             ;   in Loop: Header=BB854_95 Depth=1
	s_and_b64 s[50:51], exec, s[46:47]
	s_or_b64 s[44:45], s[50:51], s[44:45]
	v_mov_b64_e32 v[38:39], s[48:49]
	s_andn2_b64 exec, exec, s[44:45]
	s_cbranch_execz .LBB854_97
.LBB854_95:                             ; =>This Inner Loop Header: Depth=1
	s_or_b64 s[46:47], s[46:47], exec
	s_cmp_eq_u64 s[42:43], s[48:49]
	s_cbranch_scc0 .LBB854_93
; %bb.96:                               ;   in Loop: Header=BB854_95 Depth=1
                                        ; implicit-def: $vgpr34_vgpr35
                                        ; implicit-def: $vgpr36_vgpr37
	s_mov_b64 s[48:49], s[26:27]
	s_branch .LBB854_94
.LBB854_97:
	s_or_b64 exec, exec, s[44:45]
	v_cmp_gt_i64_e32 vcc, s[26:27], v[38:39]
	s_orn2_b64 s[42:43], vcc, exec
.LBB854_98:
	s_or_b64 exec, exec, s[40:41]
.LBB854_99:
	s_waitcnt vmcnt(0)
	v_mov_b64_e32 v[34:35], v[30:31]
	s_waitcnt lgkmcnt(0)
	s_barrier
	s_and_saveexec_b64 s[40:41], s[2:3]
	s_cbranch_execz .LBB854_101
; %bb.100:
	v_add_u32_e32 v34, -8, v47
	ds_read_b64 v[34:35], v34
.LBB854_101:
	s_or_b64 exec, exec, s[40:41]
	v_cndmask_b32_e64 v37, 0, 1, s[16:17]
	v_cndmask_b32_e64 v36, 0, 1, s[14:15]
	;; [unrolled: 1-line block ×3, first 2 shown]
	v_lshlrev_b16_e32 v37, 8, v37
	v_lshlrev_b16_e32 v38, 8, v38
	v_or_b32_sdwa v50, v36, v37 dst_sel:WORD_1 dst_unused:UNUSED_PAD src0_sel:DWORD src1_sel:DWORD
	s_mov_b64 s[16:17], 0
	s_and_b64 vcc, exec, s[4:5]
	s_mov_b64 s[14:15], 0
	s_cbranch_vccnz .LBB854_110
; %bb.102:
	s_waitcnt lgkmcnt(0)
	v_mul_lo_u32 v36, v35, s26
	v_mul_lo_u32 v37, v34, s27
	v_mad_u64_u32 v[34:35], s[14:15], v34, s26, 0
	v_add3_u32 v35, v35, v37, v36
	v_lshl_add_u64 v[34:35], v[34:35], 3, s[36:37]
	global_load_dwordx2 v[36:37], v[34:35], off
	global_load_dwordx2 v[48:49], v[32:33], off
	s_mov_b64 s[14:15], -1
	s_waitcnt vmcnt(0)
	v_cmp_eq_f64_e32 vcc, v[36:37], v[48:49]
	s_and_saveexec_b64 s[40:41], vcc
	s_cbranch_execz .LBB854_109
; %bb.103:
	s_add_u32 s14, s26, -1
	v_lshl_add_u64 v[32:33], v[32:33], 0, 8
	v_lshl_add_u64 v[34:35], v[34:35], 0, 8
	s_addc_u32 s15, s27, -1
	s_mov_b64 s[42:43], 0
	s_mov_b64 s[46:47], 0
                                        ; implicit-def: $sgpr44_sgpr45
	s_branch .LBB854_106
.LBB854_104:                            ;   in Loop: Header=BB854_106 Depth=1
	global_load_dwordx2 v[36:37], v[34:35], off
	global_load_dwordx2 v[48:49], v[32:33], off
	s_add_u32 s46, s46, 1
	s_addc_u32 s47, s47, 0
	s_andn2_b64 s[44:45], s[44:45], exec
	v_lshl_add_u64 v[32:33], v[32:33], 0, 8
	v_lshl_add_u64 v[34:35], v[34:35], 0, 8
	s_waitcnt vmcnt(0)
	v_cmp_neq_f64_e32 vcc, v[36:37], v[48:49]
	s_and_b64 s[48:49], vcc, exec
	s_or_b64 s[44:45], s[44:45], s[48:49]
.LBB854_105:                            ;   in Loop: Header=BB854_106 Depth=1
	s_and_b64 s[48:49], exec, s[44:45]
	s_or_b64 s[42:43], s[48:49], s[42:43]
	v_mov_b64_e32 v[36:37], s[46:47]
	s_andn2_b64 exec, exec, s[42:43]
	s_cbranch_execz .LBB854_108
.LBB854_106:                            ; =>This Inner Loop Header: Depth=1
	s_or_b64 s[44:45], s[44:45], exec
	s_cmp_eq_u64 s[14:15], s[46:47]
	s_cbranch_scc0 .LBB854_104
; %bb.107:                              ;   in Loop: Header=BB854_106 Depth=1
                                        ; implicit-def: $vgpr32_vgpr33
                                        ; implicit-def: $vgpr34_vgpr35
	s_mov_b64 s[46:47], s[26:27]
	s_branch .LBB854_105
.LBB854_108:
	s_or_b64 exec, exec, s[42:43]
	v_cmp_gt_i64_e32 vcc, s[26:27], v[36:37]
	s_orn2_b64 s[14:15], vcc, exec
.LBB854_109:
	s_or_b64 exec, exec, s[40:41]
.LBB854_110:
	v_cndmask_b32_e64 v39, 0, 1, s[10:11]
	v_cndmask_b32_e64 v48, 0, 1, s[12:13]
	;; [unrolled: 1-line block ×3, first 2 shown]
	s_waitcnt lgkmcnt(0)
	v_or_b32_e32 v34, v38, v50
	s_and_b64 vcc, exec, s[16:17]
	s_cbranch_vccz .LBB854_191
.LBB854_111:
	v_cmp_gt_u32_e32 vcc, s54, v42
	s_mov_b64 s[10:11], 0
	s_mov_b64 s[6:7], 0
	s_and_saveexec_b64 s[12:13], vcc
	s_cbranch_execz .LBB854_122
; %bb.112:
	s_and_b64 vcc, exec, s[4:5]
	s_mov_b64 s[14:15], 0
	s_cbranch_vccnz .LBB854_121
; %bb.113:
	v_mul_lo_u32 v34, v17, s26
	v_mul_lo_u32 v35, v16, s27
	v_mad_u64_u32 v[32:33], s[6:7], v16, s26, 0
	v_add3_u32 v33, v33, v35, v34
	v_mul_lo_u32 v34, v29, s26
	v_mul_lo_u32 v35, v28, s27
	v_mad_u64_u32 v[36:37], s[6:7], v28, s26, 0
	v_add3_u32 v37, v37, v35, v34
	v_lshl_add_u64 v[34:35], v[32:33], 3, s[36:37]
	v_lshl_add_u64 v[32:33], v[36:37], 3, s[36:37]
	global_load_dwordx2 v[36:37], v[34:35], off
	global_load_dwordx2 v[38:39], v[32:33], off
	s_mov_b64 s[14:15], -1
	s_waitcnt vmcnt(0)
	v_cmp_eq_f64_e32 vcc, v[36:37], v[38:39]
	s_and_saveexec_b64 s[6:7], vcc
	s_cbranch_execz .LBB854_120
; %bb.114:
	s_add_u32 s14, s26, -1
	v_lshl_add_u64 v[32:33], v[32:33], 0, 8
	v_lshl_add_u64 v[34:35], v[34:35], 0, 8
	s_addc_u32 s15, s27, -1
	s_mov_b64 s[16:17], 0
	s_mov_b64 s[42:43], 0
                                        ; implicit-def: $sgpr40_sgpr41
	s_branch .LBB854_117
.LBB854_115:                            ;   in Loop: Header=BB854_117 Depth=1
	global_load_dwordx2 v[36:37], v[34:35], off
	global_load_dwordx2 v[38:39], v[32:33], off
	s_add_u32 s42, s42, 1
	s_addc_u32 s43, s43, 0
	s_andn2_b64 s[40:41], s[40:41], exec
	v_lshl_add_u64 v[32:33], v[32:33], 0, 8
	v_lshl_add_u64 v[34:35], v[34:35], 0, 8
	s_waitcnt vmcnt(0)
	v_cmp_neq_f64_e32 vcc, v[36:37], v[38:39]
	s_and_b64 s[44:45], vcc, exec
	s_or_b64 s[40:41], s[40:41], s[44:45]
.LBB854_116:                            ;   in Loop: Header=BB854_117 Depth=1
	s_and_b64 s[44:45], exec, s[40:41]
	s_or_b64 s[16:17], s[44:45], s[16:17]
	v_mov_b64_e32 v[36:37], s[42:43]
	s_andn2_b64 exec, exec, s[16:17]
	s_cbranch_execz .LBB854_119
.LBB854_117:                            ; =>This Inner Loop Header: Depth=1
	s_or_b64 s[40:41], s[40:41], exec
	s_cmp_eq_u64 s[14:15], s[42:43]
	s_cbranch_scc0 .LBB854_115
; %bb.118:                              ;   in Loop: Header=BB854_117 Depth=1
                                        ; implicit-def: $vgpr32_vgpr33
                                        ; implicit-def: $vgpr34_vgpr35
	s_mov_b64 s[42:43], s[26:27]
	s_branch .LBB854_116
.LBB854_119:
	s_or_b64 exec, exec, s[16:17]
	v_cmp_gt_i64_e32 vcc, s[26:27], v[36:37]
	s_orn2_b64 s[14:15], vcc, exec
.LBB854_120:
	s_or_b64 exec, exec, s[6:7]
.LBB854_121:
	s_and_b64 s[6:7], s[14:15], exec
.LBB854_122:
	s_or_b64 exec, exec, s[12:13]
	v_cmp_gt_u32_e32 vcc, s54, v45
	s_and_saveexec_b64 s[12:13], vcc
	s_cbranch_execz .LBB854_133
; %bb.123:
	s_and_b64 vcc, exec, s[4:5]
	s_mov_b64 s[14:15], 0
	s_cbranch_vccnz .LBB854_132
; %bb.124:
	v_mul_lo_u32 v34, v15, s26
	v_mul_lo_u32 v35, v14, s27
	v_mad_u64_u32 v[32:33], s[10:11], v14, s26, 0
	v_add3_u32 v33, v33, v35, v34
	v_mul_lo_u32 v34, v17, s26
	v_mul_lo_u32 v35, v16, s27
	v_mad_u64_u32 v[36:37], s[10:11], v16, s26, 0
	v_add3_u32 v37, v37, v35, v34
	v_lshl_add_u64 v[34:35], v[32:33], 3, s[36:37]
	v_lshl_add_u64 v[32:33], v[36:37], 3, s[36:37]
	global_load_dwordx2 v[36:37], v[34:35], off
	global_load_dwordx2 v[38:39], v[32:33], off
	s_mov_b64 s[14:15], -1
	s_waitcnt vmcnt(0)
	v_cmp_eq_f64_e32 vcc, v[36:37], v[38:39]
	s_and_saveexec_b64 s[10:11], vcc
	s_cbranch_execz .LBB854_131
; %bb.125:
	s_add_u32 s14, s26, -1
	v_lshl_add_u64 v[32:33], v[32:33], 0, 8
	v_lshl_add_u64 v[34:35], v[34:35], 0, 8
	s_addc_u32 s15, s27, -1
	s_mov_b64 s[16:17], 0
	s_mov_b64 s[42:43], 0
                                        ; implicit-def: $sgpr40_sgpr41
	s_branch .LBB854_128
.LBB854_126:                            ;   in Loop: Header=BB854_128 Depth=1
	global_load_dwordx2 v[36:37], v[34:35], off
	global_load_dwordx2 v[38:39], v[32:33], off
	s_add_u32 s42, s42, 1
	s_addc_u32 s43, s43, 0
	s_andn2_b64 s[40:41], s[40:41], exec
	v_lshl_add_u64 v[32:33], v[32:33], 0, 8
	v_lshl_add_u64 v[34:35], v[34:35], 0, 8
	s_waitcnt vmcnt(0)
	v_cmp_neq_f64_e32 vcc, v[36:37], v[38:39]
	s_and_b64 s[44:45], vcc, exec
	s_or_b64 s[40:41], s[40:41], s[44:45]
.LBB854_127:                            ;   in Loop: Header=BB854_128 Depth=1
	s_and_b64 s[44:45], exec, s[40:41]
	s_or_b64 s[16:17], s[44:45], s[16:17]
	v_mov_b64_e32 v[36:37], s[42:43]
	s_andn2_b64 exec, exec, s[16:17]
	s_cbranch_execz .LBB854_130
.LBB854_128:                            ; =>This Inner Loop Header: Depth=1
	s_or_b64 s[40:41], s[40:41], exec
	s_cmp_eq_u64 s[14:15], s[42:43]
	s_cbranch_scc0 .LBB854_126
; %bb.129:                              ;   in Loop: Header=BB854_128 Depth=1
                                        ; implicit-def: $vgpr32_vgpr33
                                        ; implicit-def: $vgpr34_vgpr35
	s_mov_b64 s[42:43], s[26:27]
	s_branch .LBB854_127
.LBB854_130:
	s_or_b64 exec, exec, s[16:17]
	v_cmp_gt_i64_e32 vcc, s[26:27], v[36:37]
	s_orn2_b64 s[14:15], vcc, exec
.LBB854_131:
	s_or_b64 exec, exec, s[10:11]
.LBB854_132:
	s_and_b64 s[10:11], s[14:15], exec
.LBB854_133:
	s_or_b64 exec, exec, s[12:13]
	v_cmp_gt_u32_e32 vcc, s54, v41
	s_mov_b64 s[14:15], 0
	s_mov_b64 s[12:13], 0
	s_and_saveexec_b64 s[16:17], vcc
	s_cbranch_execz .LBB854_144
; %bb.134:
	s_and_b64 vcc, exec, s[4:5]
	s_mov_b64 s[40:41], 0
	s_cbranch_vccnz .LBB854_143
; %bb.135:
	v_mul_lo_u32 v34, v21, s26
	v_mul_lo_u32 v35, v20, s27
	v_mad_u64_u32 v[32:33], s[12:13], v20, s26, 0
	v_add3_u32 v33, v33, v35, v34
	v_mul_lo_u32 v34, v15, s26
	v_mul_lo_u32 v35, v14, s27
	v_mad_u64_u32 v[36:37], s[12:13], v14, s26, 0
	v_add3_u32 v37, v37, v35, v34
	v_lshl_add_u64 v[34:35], v[32:33], 3, s[36:37]
	v_lshl_add_u64 v[32:33], v[36:37], 3, s[36:37]
	global_load_dwordx2 v[36:37], v[34:35], off
	global_load_dwordx2 v[38:39], v[32:33], off
	s_mov_b64 s[40:41], -1
	s_waitcnt vmcnt(0)
	v_cmp_eq_f64_e32 vcc, v[36:37], v[38:39]
	s_and_saveexec_b64 s[12:13], vcc
	s_cbranch_execz .LBB854_142
; %bb.136:
	s_add_u32 s40, s26, -1
	v_lshl_add_u64 v[32:33], v[32:33], 0, 8
	v_lshl_add_u64 v[34:35], v[34:35], 0, 8
	s_addc_u32 s41, s27, -1
	s_mov_b64 s[42:43], 0
	s_mov_b64 s[46:47], 0
                                        ; implicit-def: $sgpr44_sgpr45
	s_branch .LBB854_139
.LBB854_137:                            ;   in Loop: Header=BB854_139 Depth=1
	global_load_dwordx2 v[36:37], v[34:35], off
	global_load_dwordx2 v[38:39], v[32:33], off
	s_add_u32 s46, s46, 1
	s_addc_u32 s47, s47, 0
	s_andn2_b64 s[44:45], s[44:45], exec
	v_lshl_add_u64 v[32:33], v[32:33], 0, 8
	v_lshl_add_u64 v[34:35], v[34:35], 0, 8
	s_waitcnt vmcnt(0)
	v_cmp_neq_f64_e32 vcc, v[36:37], v[38:39]
	s_and_b64 s[48:49], vcc, exec
	s_or_b64 s[44:45], s[44:45], s[48:49]
.LBB854_138:                            ;   in Loop: Header=BB854_139 Depth=1
	s_and_b64 s[48:49], exec, s[44:45]
	s_or_b64 s[42:43], s[48:49], s[42:43]
	v_mov_b64_e32 v[36:37], s[46:47]
	s_andn2_b64 exec, exec, s[42:43]
	s_cbranch_execz .LBB854_141
.LBB854_139:                            ; =>This Inner Loop Header: Depth=1
	s_or_b64 s[44:45], s[44:45], exec
	s_cmp_eq_u64 s[40:41], s[46:47]
	s_cbranch_scc0 .LBB854_137
; %bb.140:                              ;   in Loop: Header=BB854_139 Depth=1
                                        ; implicit-def: $vgpr32_vgpr33
                                        ; implicit-def: $vgpr34_vgpr35
	s_mov_b64 s[46:47], s[26:27]
	s_branch .LBB854_138
.LBB854_141:
	s_or_b64 exec, exec, s[42:43]
	v_cmp_gt_i64_e32 vcc, s[26:27], v[36:37]
	s_orn2_b64 s[40:41], vcc, exec
.LBB854_142:
	s_or_b64 exec, exec, s[12:13]
.LBB854_143:
	s_and_b64 s[12:13], s[40:41], exec
.LBB854_144:
	s_or_b64 exec, exec, s[16:17]
	v_cmp_gt_u32_e32 vcc, s54, v44
	s_and_saveexec_b64 s[16:17], vcc
	s_cbranch_execz .LBB854_155
; %bb.145:
	s_and_b64 vcc, exec, s[4:5]
	s_mov_b64 s[40:41], 0
	s_cbranch_vccnz .LBB854_154
; %bb.146:
	v_mul_lo_u32 v34, v19, s26
	v_mul_lo_u32 v35, v18, s27
	v_mad_u64_u32 v[32:33], s[14:15], v18, s26, 0
	v_add3_u32 v33, v33, v35, v34
	v_mul_lo_u32 v34, v21, s26
	v_mul_lo_u32 v35, v20, s27
	v_mad_u64_u32 v[36:37], s[14:15], v20, s26, 0
	v_add3_u32 v37, v37, v35, v34
	v_lshl_add_u64 v[34:35], v[32:33], 3, s[36:37]
	v_lshl_add_u64 v[32:33], v[36:37], 3, s[36:37]
	global_load_dwordx2 v[36:37], v[34:35], off
	global_load_dwordx2 v[38:39], v[32:33], off
	s_mov_b64 s[40:41], -1
	s_waitcnt vmcnt(0)
	v_cmp_eq_f64_e32 vcc, v[36:37], v[38:39]
	s_and_saveexec_b64 s[14:15], vcc
	s_cbranch_execz .LBB854_153
; %bb.147:
	s_add_u32 s40, s26, -1
	v_lshl_add_u64 v[32:33], v[32:33], 0, 8
	v_lshl_add_u64 v[34:35], v[34:35], 0, 8
	s_addc_u32 s41, s27, -1
	s_mov_b64 s[42:43], 0
	s_mov_b64 s[46:47], 0
                                        ; implicit-def: $sgpr44_sgpr45
	s_branch .LBB854_150
.LBB854_148:                            ;   in Loop: Header=BB854_150 Depth=1
	global_load_dwordx2 v[36:37], v[34:35], off
	global_load_dwordx2 v[38:39], v[32:33], off
	s_add_u32 s46, s46, 1
	s_addc_u32 s47, s47, 0
	s_andn2_b64 s[44:45], s[44:45], exec
	v_lshl_add_u64 v[32:33], v[32:33], 0, 8
	v_lshl_add_u64 v[34:35], v[34:35], 0, 8
	s_waitcnt vmcnt(0)
	v_cmp_neq_f64_e32 vcc, v[36:37], v[38:39]
	s_and_b64 s[48:49], vcc, exec
	s_or_b64 s[44:45], s[44:45], s[48:49]
.LBB854_149:                            ;   in Loop: Header=BB854_150 Depth=1
	s_and_b64 s[48:49], exec, s[44:45]
	s_or_b64 s[42:43], s[48:49], s[42:43]
	v_mov_b64_e32 v[36:37], s[46:47]
	s_andn2_b64 exec, exec, s[42:43]
	s_cbranch_execz .LBB854_152
.LBB854_150:                            ; =>This Inner Loop Header: Depth=1
	s_or_b64 s[44:45], s[44:45], exec
	s_cmp_eq_u64 s[40:41], s[46:47]
	s_cbranch_scc0 .LBB854_148
; %bb.151:                              ;   in Loop: Header=BB854_150 Depth=1
                                        ; implicit-def: $vgpr32_vgpr33
                                        ; implicit-def: $vgpr34_vgpr35
	s_mov_b64 s[46:47], s[26:27]
	s_branch .LBB854_149
.LBB854_152:
	s_or_b64 exec, exec, s[42:43]
	v_cmp_gt_i64_e32 vcc, s[26:27], v[36:37]
	s_orn2_b64 s[40:41], vcc, exec
.LBB854_153:
	s_or_b64 exec, exec, s[14:15]
.LBB854_154:
	s_and_b64 s[14:15], s[40:41], exec
.LBB854_155:
	s_or_b64 exec, exec, s[16:17]
	v_cmp_gt_u32_e32 vcc, s54, v40
	s_mov_b64 s[16:17], 0
	s_mov_b64 s[40:41], 0
	s_and_saveexec_b64 s[42:43], vcc
	s_cbranch_execz .LBB854_166
; %bb.156:
	s_and_b64 vcc, exec, s[4:5]
	s_mov_b64 s[44:45], 0
	s_cbranch_vccnz .LBB854_165
; %bb.157:
	v_mul_lo_u32 v34, v25, s26
	v_mul_lo_u32 v35, v24, s27
	v_mad_u64_u32 v[32:33], s[40:41], v24, s26, 0
	v_add3_u32 v33, v33, v35, v34
	v_mul_lo_u32 v34, v19, s26
	v_mul_lo_u32 v35, v18, s27
	v_mad_u64_u32 v[36:37], s[40:41], v18, s26, 0
	v_add3_u32 v37, v37, v35, v34
	v_lshl_add_u64 v[34:35], v[32:33], 3, s[36:37]
	v_lshl_add_u64 v[32:33], v[36:37], 3, s[36:37]
	global_load_dwordx2 v[36:37], v[34:35], off
	global_load_dwordx2 v[38:39], v[32:33], off
	s_mov_b64 s[44:45], -1
	s_waitcnt vmcnt(0)
	v_cmp_eq_f64_e32 vcc, v[36:37], v[38:39]
	s_and_saveexec_b64 s[40:41], vcc
	s_cbranch_execz .LBB854_164
; %bb.158:
	s_add_u32 s44, s26, -1
	v_lshl_add_u64 v[32:33], v[32:33], 0, 8
	v_lshl_add_u64 v[34:35], v[34:35], 0, 8
	s_addc_u32 s45, s27, -1
	s_mov_b64 s[46:47], 0
	s_mov_b64 s[50:51], 0
                                        ; implicit-def: $sgpr48_sgpr49
	s_branch .LBB854_161
.LBB854_159:                            ;   in Loop: Header=BB854_161 Depth=1
	global_load_dwordx2 v[36:37], v[34:35], off
	global_load_dwordx2 v[38:39], v[32:33], off
	s_add_u32 s50, s50, 1
	s_addc_u32 s51, s51, 0
	s_andn2_b64 s[48:49], s[48:49], exec
	v_lshl_add_u64 v[32:33], v[32:33], 0, 8
	v_lshl_add_u64 v[34:35], v[34:35], 0, 8
	s_waitcnt vmcnt(0)
	v_cmp_neq_f64_e32 vcc, v[36:37], v[38:39]
	s_and_b64 s[52:53], vcc, exec
	s_or_b64 s[48:49], s[48:49], s[52:53]
.LBB854_160:                            ;   in Loop: Header=BB854_161 Depth=1
	s_and_b64 s[52:53], exec, s[48:49]
	s_or_b64 s[46:47], s[52:53], s[46:47]
	v_mov_b64_e32 v[36:37], s[50:51]
	s_andn2_b64 exec, exec, s[46:47]
	s_cbranch_execz .LBB854_163
.LBB854_161:                            ; =>This Inner Loop Header: Depth=1
	s_or_b64 s[48:49], s[48:49], exec
	s_cmp_eq_u64 s[44:45], s[50:51]
	s_cbranch_scc0 .LBB854_159
; %bb.162:                              ;   in Loop: Header=BB854_161 Depth=1
                                        ; implicit-def: $vgpr32_vgpr33
                                        ; implicit-def: $vgpr34_vgpr35
	s_mov_b64 s[50:51], s[26:27]
	s_branch .LBB854_160
.LBB854_163:
	s_or_b64 exec, exec, s[46:47]
	v_cmp_gt_i64_e32 vcc, s[26:27], v[36:37]
	s_orn2_b64 s[44:45], vcc, exec
.LBB854_164:
	s_or_b64 exec, exec, s[40:41]
.LBB854_165:
	s_and_b64 s[40:41], s[44:45], exec
.LBB854_166:
	s_or_b64 exec, exec, s[42:43]
	v_cmp_gt_u32_e32 vcc, s54, v43
	s_and_saveexec_b64 s[42:43], vcc
	s_cbranch_execz .LBB854_177
; %bb.167:
	s_and_b64 vcc, exec, s[4:5]
	s_mov_b64 s[44:45], 0
	s_cbranch_vccnz .LBB854_176
; %bb.168:
	v_mul_lo_u32 v34, v23, s26
	v_mul_lo_u32 v35, v22, s27
	v_mad_u64_u32 v[32:33], s[16:17], v22, s26, 0
	v_add3_u32 v33, v33, v35, v34
	v_mul_lo_u32 v34, v25, s26
	v_mul_lo_u32 v35, v24, s27
	v_mad_u64_u32 v[36:37], s[16:17], v24, s26, 0
	v_add3_u32 v37, v37, v35, v34
	v_lshl_add_u64 v[34:35], v[32:33], 3, s[36:37]
	v_lshl_add_u64 v[32:33], v[36:37], 3, s[36:37]
	global_load_dwordx2 v[36:37], v[34:35], off
	global_load_dwordx2 v[38:39], v[32:33], off
	s_mov_b64 s[44:45], -1
	s_waitcnt vmcnt(0)
	v_cmp_eq_f64_e32 vcc, v[36:37], v[38:39]
	s_and_saveexec_b64 s[16:17], vcc
	s_cbranch_execz .LBB854_175
; %bb.169:
	s_add_u32 s44, s26, -1
	v_lshl_add_u64 v[32:33], v[32:33], 0, 8
	v_lshl_add_u64 v[34:35], v[34:35], 0, 8
	s_addc_u32 s45, s27, -1
	s_mov_b64 s[46:47], 0
	s_mov_b64 s[50:51], 0
                                        ; implicit-def: $sgpr48_sgpr49
	s_branch .LBB854_172
.LBB854_170:                            ;   in Loop: Header=BB854_172 Depth=1
	global_load_dwordx2 v[36:37], v[34:35], off
	global_load_dwordx2 v[38:39], v[32:33], off
	s_add_u32 s50, s50, 1
	s_addc_u32 s51, s51, 0
	s_andn2_b64 s[48:49], s[48:49], exec
	v_lshl_add_u64 v[32:33], v[32:33], 0, 8
	v_lshl_add_u64 v[34:35], v[34:35], 0, 8
	s_waitcnt vmcnt(0)
	v_cmp_neq_f64_e32 vcc, v[36:37], v[38:39]
	s_and_b64 s[52:53], vcc, exec
	s_or_b64 s[48:49], s[48:49], s[52:53]
.LBB854_171:                            ;   in Loop: Header=BB854_172 Depth=1
	s_and_b64 s[52:53], exec, s[48:49]
	s_or_b64 s[46:47], s[52:53], s[46:47]
	v_mov_b64_e32 v[36:37], s[50:51]
	s_andn2_b64 exec, exec, s[46:47]
	s_cbranch_execz .LBB854_174
.LBB854_172:                            ; =>This Inner Loop Header: Depth=1
	s_or_b64 s[48:49], s[48:49], exec
	s_cmp_eq_u64 s[44:45], s[50:51]
	s_cbranch_scc0 .LBB854_170
; %bb.173:                              ;   in Loop: Header=BB854_172 Depth=1
                                        ; implicit-def: $vgpr32_vgpr33
                                        ; implicit-def: $vgpr34_vgpr35
	s_mov_b64 s[50:51], s[26:27]
	s_branch .LBB854_171
.LBB854_174:
	s_or_b64 exec, exec, s[46:47]
	v_cmp_gt_i64_e32 vcc, s[26:27], v[36:37]
	s_orn2_b64 s[44:45], vcc, exec
.LBB854_175:
	s_or_b64 exec, exec, s[16:17]
.LBB854_176:
	s_and_b64 s[16:17], s[44:45], exec
.LBB854_177:
	s_or_b64 exec, exec, s[42:43]
	s_waitcnt lgkmcnt(0)
	s_barrier
	s_and_saveexec_b64 s[42:43], s[2:3]
	s_cbranch_execz .LBB854_179
; %bb.178:
	s_waitcnt vmcnt(0)
	v_add_u32_e32 v30, -8, v47
	ds_read_b64 v[30:31], v30
.LBB854_179:
	s_or_b64 exec, exec, s[42:43]
	v_cndmask_b32_e64 v33, 0, 1, s[14:15]
	v_cndmask_b32_e64 v32, 0, 1, s[40:41]
	;; [unrolled: 1-line block ×3, first 2 shown]
	v_lshlrev_b16_e32 v33, 8, v33
	v_cmp_gt_u32_e32 vcc, s54, v1
	v_lshlrev_b16_e32 v36, 8, v34
	v_or_b32_sdwa v37, v32, v33 dst_sel:WORD_1 dst_unused:UNUSED_PAD src0_sel:DWORD src1_sel:DWORD
	s_mov_b64 s[14:15], 0
	s_and_saveexec_b64 s[16:17], vcc
	s_cbranch_execz .LBB854_190
; %bb.180:
	s_and_b64 vcc, exec, s[4:5]
	s_cbranch_vccnz .LBB854_189
; %bb.181:
	s_waitcnt vmcnt(0) lgkmcnt(0)
	v_mul_lo_u32 v32, v31, s26
	v_mul_lo_u32 v33, v30, s27
	v_mad_u64_u32 v[30:31], s[4:5], v30, s26, 0
	v_add3_u32 v31, v31, v33, v32
	v_mul_lo_u32 v32, v23, s26
	v_mul_lo_u32 v33, v22, s27
	v_mad_u64_u32 v[34:35], s[4:5], v22, s26, 0
	v_add3_u32 v35, v35, v33, v32
	v_lshl_add_u64 v[32:33], v[30:31], 3, s[36:37]
	v_lshl_add_u64 v[30:31], v[34:35], 3, s[36:37]
	global_load_dwordx2 v[34:35], v[32:33], off
	global_load_dwordx2 v[38:39], v[30:31], off
	s_mov_b64 s[14:15], -1
	s_waitcnt vmcnt(0)
	v_cmp_eq_f64_e32 vcc, v[34:35], v[38:39]
	s_and_saveexec_b64 s[4:5], vcc
	s_cbranch_execz .LBB854_188
; %bb.182:
	s_add_u32 s14, s26, -1
	v_lshl_add_u64 v[30:31], v[30:31], 0, 8
	v_lshl_add_u64 v[32:33], v[32:33], 0, 8
	s_addc_u32 s15, s27, -1
	s_mov_b64 s[40:41], 0
	s_mov_b64 s[44:45], 0
                                        ; implicit-def: $sgpr42_sgpr43
	s_branch .LBB854_185
.LBB854_183:                            ;   in Loop: Header=BB854_185 Depth=1
	global_load_dwordx2 v[34:35], v[32:33], off
	global_load_dwordx2 v[38:39], v[30:31], off
	s_add_u32 s44, s44, 1
	s_addc_u32 s45, s45, 0
	s_andn2_b64 s[42:43], s[42:43], exec
	v_lshl_add_u64 v[30:31], v[30:31], 0, 8
	v_lshl_add_u64 v[32:33], v[32:33], 0, 8
	s_waitcnt vmcnt(0)
	v_cmp_neq_f64_e32 vcc, v[34:35], v[38:39]
	s_and_b64 s[46:47], vcc, exec
	s_or_b64 s[42:43], s[42:43], s[46:47]
.LBB854_184:                            ;   in Loop: Header=BB854_185 Depth=1
	s_and_b64 s[46:47], exec, s[42:43]
	s_or_b64 s[40:41], s[46:47], s[40:41]
	v_mov_b64_e32 v[34:35], s[44:45]
	s_andn2_b64 exec, exec, s[40:41]
	s_cbranch_execz .LBB854_187
.LBB854_185:                            ; =>This Inner Loop Header: Depth=1
	s_or_b64 s[42:43], s[42:43], exec
	s_cmp_eq_u64 s[14:15], s[44:45]
	s_cbranch_scc0 .LBB854_183
; %bb.186:                              ;   in Loop: Header=BB854_185 Depth=1
                                        ; implicit-def: $vgpr30_vgpr31
                                        ; implicit-def: $vgpr32_vgpr33
	s_mov_b64 s[44:45], s[26:27]
	s_branch .LBB854_184
.LBB854_187:
	s_or_b64 exec, exec, s[40:41]
	v_cmp_gt_i64_e32 vcc, s[26:27], v[34:35]
	s_orn2_b64 s[14:15], vcc, exec
.LBB854_188:
	s_or_b64 exec, exec, s[4:5]
.LBB854_189:
	s_and_b64 s[14:15], s[14:15], exec
.LBB854_190:
	s_or_b64 exec, exec, s[16:17]
	v_cndmask_b32_e64 v39, 0, 1, s[12:13]
	v_cndmask_b32_e64 v48, 0, 1, s[10:11]
	;; [unrolled: 1-line block ×3, first 2 shown]
	v_or_b32_e32 v34, v36, v37
.LBB854_191:
	s_mov_b64 s[10:11], -1
	s_cbranch_execnz .LBB854_50
.LBB854_192:
	s_movk_i32 s4, 0xffd0
	v_mad_i32_i24 v38, v0, s4, v46
	s_mov_b64 s[12:13], 0
	v_cmp_gt_i64_e64 s[6:7], s[26:27], 0
	s_and_b64 vcc, exec, s[34:35]
	ds_write_b64 v38, v[28:29]
	s_cbranch_vccz .LBB854_200
; %bb.193:
	v_mul_lo_u32 v32, v17, s26
	v_mul_lo_u32 v33, v16, s27
	s_waitcnt vmcnt(0) lgkmcnt(1)
	v_mad_u64_u32 v[30:31], s[4:5], v16, s26, 0
	v_add3_u32 v31, v31, v33, v32
	v_cndmask_b32_e64 v32, 0, 1, s[6:7]
	v_cmp_ne_u32_e64 s[4:5], 1, v32
	s_andn2_b64 vcc, exec, s[6:7]
	v_lshl_add_u64 v[30:31], v[30:31], 3, s[36:37]
	s_cbranch_vccnz .LBB854_203
; %bb.194:
	v_mul_lo_u32 v34, v29, s26
	v_mul_lo_u32 v35, v28, s27
	v_mad_u64_u32 v[32:33], s[12:13], v28, s26, 0
	v_add3_u32 v33, v33, v35, v34
	v_lshl_add_u64 v[32:33], v[32:33], 3, s[36:37]
	global_load_dwordx2 v[34:35], v[30:31], off
	global_load_dwordx2 v[36:37], v[32:33], off
	s_mov_b64 s[12:13], -1
	s_waitcnt vmcnt(0)
	v_cmp_eq_f64_e32 vcc, v[34:35], v[36:37]
	s_and_saveexec_b64 s[14:15], vcc
	s_cbranch_execz .LBB854_202
; %bb.195:
	s_add_u32 s12, s26, -1
	v_lshl_add_u64 v[32:33], v[32:33], 0, 8
	v_lshl_add_u64 v[34:35], v[30:31], 0, 8
	s_addc_u32 s13, s27, -1
	s_mov_b64 s[16:17], 0
	s_mov_b64 s[42:43], 0
                                        ; implicit-def: $sgpr40_sgpr41
	s_branch .LBB854_198
.LBB854_196:                            ;   in Loop: Header=BB854_198 Depth=1
	global_load_dwordx2 v[36:37], v[34:35], off
	global_load_dwordx2 v[46:47], v[32:33], off
	s_add_u32 s42, s42, 1
	s_addc_u32 s43, s43, 0
	s_andn2_b64 s[40:41], s[40:41], exec
	v_lshl_add_u64 v[32:33], v[32:33], 0, 8
	v_lshl_add_u64 v[34:35], v[34:35], 0, 8
	s_waitcnt vmcnt(0)
	v_cmp_neq_f64_e32 vcc, v[36:37], v[46:47]
	s_and_b64 s[44:45], vcc, exec
	s_or_b64 s[40:41], s[40:41], s[44:45]
.LBB854_197:                            ;   in Loop: Header=BB854_198 Depth=1
	s_and_b64 s[44:45], exec, s[40:41]
	s_or_b64 s[16:17], s[44:45], s[16:17]
	v_mov_b64_e32 v[36:37], s[42:43]
	s_andn2_b64 exec, exec, s[16:17]
	s_cbranch_execz .LBB854_201
.LBB854_198:                            ; =>This Inner Loop Header: Depth=1
	s_or_b64 s[40:41], s[40:41], exec
	s_cmp_eq_u64 s[12:13], s[42:43]
	s_cbranch_scc0 .LBB854_196
; %bb.199:                              ;   in Loop: Header=BB854_198 Depth=1
                                        ; implicit-def: $vgpr32_vgpr33
                                        ; implicit-def: $vgpr34_vgpr35
	s_mov_b64 s[42:43], s[26:27]
	s_branch .LBB854_197
.LBB854_200:
                                        ; implicit-def: $sgpr14_sgpr15
                                        ; implicit-def: $vgpr49
                                        ; implicit-def: $vgpr48
                                        ; implicit-def: $vgpr39
                                        ; implicit-def: $vgpr34
                                        ; implicit-def: $vgpr30_vgpr31
	s_cbranch_execnz .LBB854_260
	s_branch .LBB854_340
.LBB854_201:
	s_or_b64 exec, exec, s[16:17]
	v_cmp_gt_i64_e32 vcc, s[26:27], v[36:37]
	s_orn2_b64 s[12:13], vcc, exec
.LBB854_202:
	s_or_b64 exec, exec, s[14:15]
.LBB854_203:
	v_mul_lo_u32 v34, v15, s26
	v_mul_lo_u32 v35, v14, s27
	v_mad_u64_u32 v[32:33], s[14:15], v14, s26, 0
	v_add3_u32 v33, v33, v35, v34
	s_mov_b64 s[14:15], 0
	s_and_b64 vcc, exec, s[4:5]
	v_lshl_add_u64 v[32:33], v[32:33], 3, s[36:37]
	s_mov_b64 s[16:17], 0
	s_cbranch_vccnz .LBB854_212
; %bb.204:
	global_load_dwordx2 v[34:35], v[32:33], off
	global_load_dwordx2 v[36:37], v[30:31], off
	s_mov_b64 s[16:17], -1
	s_waitcnt vmcnt(0)
	v_cmp_eq_f64_e32 vcc, v[34:35], v[36:37]
	s_and_saveexec_b64 s[40:41], vcc
	s_cbranch_execz .LBB854_211
; %bb.205:
	s_add_u32 s16, s26, -1
	v_lshl_add_u64 v[30:31], v[30:31], 0, 8
	v_lshl_add_u64 v[34:35], v[32:33], 0, 8
	s_addc_u32 s17, s27, -1
	s_mov_b64 s[42:43], 0
	s_mov_b64 s[46:47], 0
                                        ; implicit-def: $sgpr44_sgpr45
	s_branch .LBB854_208
.LBB854_206:                            ;   in Loop: Header=BB854_208 Depth=1
	global_load_dwordx2 v[36:37], v[34:35], off
	global_load_dwordx2 v[46:47], v[30:31], off
	s_add_u32 s46, s46, 1
	s_addc_u32 s47, s47, 0
	s_andn2_b64 s[44:45], s[44:45], exec
	v_lshl_add_u64 v[30:31], v[30:31], 0, 8
	v_lshl_add_u64 v[34:35], v[34:35], 0, 8
	s_waitcnt vmcnt(0)
	v_cmp_neq_f64_e32 vcc, v[36:37], v[46:47]
	s_and_b64 s[48:49], vcc, exec
	s_or_b64 s[44:45], s[44:45], s[48:49]
.LBB854_207:                            ;   in Loop: Header=BB854_208 Depth=1
	s_and_b64 s[48:49], exec, s[44:45]
	s_or_b64 s[42:43], s[48:49], s[42:43]
	v_mov_b64_e32 v[36:37], s[46:47]
	s_andn2_b64 exec, exec, s[42:43]
	s_cbranch_execz .LBB854_210
.LBB854_208:                            ; =>This Inner Loop Header: Depth=1
	s_or_b64 s[44:45], s[44:45], exec
	s_cmp_eq_u64 s[16:17], s[46:47]
	s_cbranch_scc0 .LBB854_206
; %bb.209:                              ;   in Loop: Header=BB854_208 Depth=1
                                        ; implicit-def: $vgpr30_vgpr31
                                        ; implicit-def: $vgpr34_vgpr35
	s_mov_b64 s[46:47], s[26:27]
	s_branch .LBB854_207
.LBB854_210:
	s_or_b64 exec, exec, s[42:43]
	v_cmp_gt_i64_e32 vcc, s[26:27], v[36:37]
	s_orn2_b64 s[16:17], vcc, exec
.LBB854_211:
	s_or_b64 exec, exec, s[40:41]
.LBB854_212:
	v_mul_lo_u32 v34, v21, s26
	v_mul_lo_u32 v35, v20, s27
	v_mad_u64_u32 v[30:31], s[40:41], v20, s26, 0
	v_add3_u32 v31, v31, v35, v34
	s_and_b64 vcc, exec, s[4:5]
	v_lshl_add_u64 v[30:31], v[30:31], 3, s[36:37]
	s_cbranch_vccnz .LBB854_221
; %bb.213:
	global_load_dwordx2 v[34:35], v[30:31], off
	global_load_dwordx2 v[36:37], v[32:33], off
	s_mov_b64 s[14:15], -1
	s_waitcnt vmcnt(0)
	v_cmp_eq_f64_e32 vcc, v[34:35], v[36:37]
	s_and_saveexec_b64 s[40:41], vcc
	s_cbranch_execz .LBB854_220
; %bb.214:
	s_add_u32 s14, s26, -1
	v_lshl_add_u64 v[32:33], v[32:33], 0, 8
	v_lshl_add_u64 v[34:35], v[30:31], 0, 8
	s_addc_u32 s15, s27, -1
	s_mov_b64 s[42:43], 0
	s_mov_b64 s[46:47], 0
                                        ; implicit-def: $sgpr44_sgpr45
	s_branch .LBB854_217
.LBB854_215:                            ;   in Loop: Header=BB854_217 Depth=1
	global_load_dwordx2 v[36:37], v[34:35], off
	global_load_dwordx2 v[46:47], v[32:33], off
	s_add_u32 s46, s46, 1
	s_addc_u32 s47, s47, 0
	s_andn2_b64 s[44:45], s[44:45], exec
	v_lshl_add_u64 v[32:33], v[32:33], 0, 8
	v_lshl_add_u64 v[34:35], v[34:35], 0, 8
	s_waitcnt vmcnt(0)
	v_cmp_neq_f64_e32 vcc, v[36:37], v[46:47]
	s_and_b64 s[48:49], vcc, exec
	s_or_b64 s[44:45], s[44:45], s[48:49]
.LBB854_216:                            ;   in Loop: Header=BB854_217 Depth=1
	s_and_b64 s[48:49], exec, s[44:45]
	s_or_b64 s[42:43], s[48:49], s[42:43]
	v_mov_b64_e32 v[36:37], s[46:47]
	s_andn2_b64 exec, exec, s[42:43]
	s_cbranch_execz .LBB854_219
.LBB854_217:                            ; =>This Inner Loop Header: Depth=1
	s_or_b64 s[44:45], s[44:45], exec
	s_cmp_eq_u64 s[14:15], s[46:47]
	s_cbranch_scc0 .LBB854_215
; %bb.218:                              ;   in Loop: Header=BB854_217 Depth=1
                                        ; implicit-def: $vgpr32_vgpr33
                                        ; implicit-def: $vgpr34_vgpr35
	s_mov_b64 s[46:47], s[26:27]
	s_branch .LBB854_216
.LBB854_219:
	s_or_b64 exec, exec, s[42:43]
	v_cmp_gt_i64_e32 vcc, s[26:27], v[36:37]
	s_orn2_b64 s[14:15], vcc, exec
.LBB854_220:
	s_or_b64 exec, exec, s[40:41]
.LBB854_221:
	v_mul_lo_u32 v34, v19, s26
	v_mul_lo_u32 v35, v18, s27
	v_mad_u64_u32 v[32:33], s[40:41], v18, s26, 0
	v_add3_u32 v33, v33, v35, v34
	s_mov_b64 s[40:41], 0
	s_and_b64 vcc, exec, s[4:5]
	v_lshl_add_u64 v[32:33], v[32:33], 3, s[36:37]
	s_mov_b64 s[42:43], 0
	s_cbranch_vccnz .LBB854_230
; %bb.222:
	global_load_dwordx2 v[34:35], v[32:33], off
	global_load_dwordx2 v[36:37], v[30:31], off
	s_mov_b64 s[42:43], -1
	s_waitcnt vmcnt(0)
	v_cmp_eq_f64_e32 vcc, v[34:35], v[36:37]
	s_and_saveexec_b64 s[44:45], vcc
	s_cbranch_execz .LBB854_229
; %bb.223:
	s_add_u32 s42, s26, -1
	v_lshl_add_u64 v[30:31], v[30:31], 0, 8
	v_lshl_add_u64 v[34:35], v[32:33], 0, 8
	s_addc_u32 s43, s27, -1
	s_mov_b64 s[46:47], 0
	s_mov_b64 s[50:51], 0
                                        ; implicit-def: $sgpr48_sgpr49
	s_branch .LBB854_226
.LBB854_224:                            ;   in Loop: Header=BB854_226 Depth=1
	global_load_dwordx2 v[36:37], v[34:35], off
	global_load_dwordx2 v[46:47], v[30:31], off
	s_add_u32 s50, s50, 1
	s_addc_u32 s51, s51, 0
	s_andn2_b64 s[48:49], s[48:49], exec
	v_lshl_add_u64 v[30:31], v[30:31], 0, 8
	v_lshl_add_u64 v[34:35], v[34:35], 0, 8
	s_waitcnt vmcnt(0)
	v_cmp_neq_f64_e32 vcc, v[36:37], v[46:47]
	s_and_b64 s[52:53], vcc, exec
	s_or_b64 s[48:49], s[48:49], s[52:53]
.LBB854_225:                            ;   in Loop: Header=BB854_226 Depth=1
	s_and_b64 s[52:53], exec, s[48:49]
	s_or_b64 s[46:47], s[52:53], s[46:47]
	v_mov_b64_e32 v[36:37], s[50:51]
	s_andn2_b64 exec, exec, s[46:47]
	s_cbranch_execz .LBB854_228
.LBB854_226:                            ; =>This Inner Loop Header: Depth=1
	s_or_b64 s[48:49], s[48:49], exec
	s_cmp_eq_u64 s[42:43], s[50:51]
	s_cbranch_scc0 .LBB854_224
; %bb.227:                              ;   in Loop: Header=BB854_226 Depth=1
                                        ; implicit-def: $vgpr30_vgpr31
                                        ; implicit-def: $vgpr34_vgpr35
	s_mov_b64 s[50:51], s[26:27]
	s_branch .LBB854_225
.LBB854_228:
	s_or_b64 exec, exec, s[46:47]
	v_cmp_gt_i64_e32 vcc, s[26:27], v[36:37]
	s_orn2_b64 s[42:43], vcc, exec
.LBB854_229:
	s_or_b64 exec, exec, s[44:45]
.LBB854_230:
	v_mul_lo_u32 v34, v25, s26
	v_mul_lo_u32 v35, v24, s27
	v_mad_u64_u32 v[30:31], s[44:45], v24, s26, 0
	v_add3_u32 v31, v31, v35, v34
	s_and_b64 vcc, exec, s[4:5]
	v_lshl_add_u64 v[30:31], v[30:31], 3, s[36:37]
	s_cbranch_vccnz .LBB854_239
; %bb.231:
	global_load_dwordx2 v[34:35], v[30:31], off
	global_load_dwordx2 v[36:37], v[32:33], off
	s_mov_b64 s[40:41], -1
	s_waitcnt vmcnt(0)
	v_cmp_eq_f64_e32 vcc, v[34:35], v[36:37]
	s_and_saveexec_b64 s[44:45], vcc
	s_cbranch_execz .LBB854_238
; %bb.232:
	s_add_u32 s40, s26, -1
	v_lshl_add_u64 v[32:33], v[32:33], 0, 8
	v_lshl_add_u64 v[34:35], v[30:31], 0, 8
	s_addc_u32 s41, s27, -1
	s_mov_b64 s[46:47], 0
	s_mov_b64 s[50:51], 0
                                        ; implicit-def: $sgpr48_sgpr49
	s_branch .LBB854_235
.LBB854_233:                            ;   in Loop: Header=BB854_235 Depth=1
	global_load_dwordx2 v[36:37], v[34:35], off
	global_load_dwordx2 v[46:47], v[32:33], off
	s_add_u32 s50, s50, 1
	s_addc_u32 s51, s51, 0
	s_andn2_b64 s[48:49], s[48:49], exec
	v_lshl_add_u64 v[32:33], v[32:33], 0, 8
	v_lshl_add_u64 v[34:35], v[34:35], 0, 8
	s_waitcnt vmcnt(0)
	v_cmp_neq_f64_e32 vcc, v[36:37], v[46:47]
	s_and_b64 s[52:53], vcc, exec
	s_or_b64 s[48:49], s[48:49], s[52:53]
.LBB854_234:                            ;   in Loop: Header=BB854_235 Depth=1
	s_and_b64 s[52:53], exec, s[48:49]
	s_or_b64 s[46:47], s[52:53], s[46:47]
	v_mov_b64_e32 v[36:37], s[50:51]
	s_andn2_b64 exec, exec, s[46:47]
	s_cbranch_execz .LBB854_237
.LBB854_235:                            ; =>This Inner Loop Header: Depth=1
	s_or_b64 s[48:49], s[48:49], exec
	s_cmp_eq_u64 s[40:41], s[50:51]
	s_cbranch_scc0 .LBB854_233
; %bb.236:                              ;   in Loop: Header=BB854_235 Depth=1
                                        ; implicit-def: $vgpr32_vgpr33
                                        ; implicit-def: $vgpr34_vgpr35
	s_mov_b64 s[50:51], s[26:27]
	s_branch .LBB854_234
.LBB854_237:
	s_or_b64 exec, exec, s[46:47]
	v_cmp_gt_i64_e32 vcc, s[26:27], v[36:37]
	s_orn2_b64 s[40:41], vcc, exec
.LBB854_238:
	s_or_b64 exec, exec, s[44:45]
.LBB854_239:
	v_mul_lo_u32 v34, v23, s26
	v_mul_lo_u32 v35, v22, s27
	v_mad_u64_u32 v[32:33], s[44:45], v22, s26, 0
	v_add3_u32 v33, v33, v35, v34
	s_and_b64 vcc, exec, s[4:5]
	s_mov_b64 s[46:47], 0
	s_cbranch_vccnz .LBB854_248
; %bb.240:
	v_lshl_add_u64 v[34:35], v[32:33], 3, s[36:37]
	global_load_dwordx2 v[36:37], v[34:35], off
	global_load_dwordx2 v[46:47], v[30:31], off
	s_mov_b64 s[46:47], -1
	s_waitcnt vmcnt(0)
	v_cmp_eq_f64_e32 vcc, v[36:37], v[46:47]
	s_and_saveexec_b64 s[44:45], vcc
	s_cbranch_execz .LBB854_247
; %bb.241:
	s_add_u32 s46, s26, -1
	v_lshl_add_u64 v[30:31], v[30:31], 0, 8
	v_lshl_add_u64 v[34:35], v[34:35], 0, 8
	s_addc_u32 s47, s27, -1
	s_mov_b64 s[48:49], 0
	s_mov_b64 s[52:53], 0
                                        ; implicit-def: $sgpr50_sgpr51
	s_branch .LBB854_244
.LBB854_242:                            ;   in Loop: Header=BB854_244 Depth=1
	global_load_dwordx2 v[36:37], v[34:35], off
	global_load_dwordx2 v[46:47], v[30:31], off
	s_add_u32 s52, s52, 1
	s_addc_u32 s53, s53, 0
	s_andn2_b64 s[50:51], s[50:51], exec
	v_lshl_add_u64 v[30:31], v[30:31], 0, 8
	v_lshl_add_u64 v[34:35], v[34:35], 0, 8
	s_waitcnt vmcnt(0)
	v_cmp_neq_f64_e32 vcc, v[36:37], v[46:47]
	s_and_b64 s[56:57], vcc, exec
	s_or_b64 s[50:51], s[50:51], s[56:57]
.LBB854_243:                            ;   in Loop: Header=BB854_244 Depth=1
	s_and_b64 s[56:57], exec, s[50:51]
	s_or_b64 s[48:49], s[56:57], s[48:49]
	v_mov_b64_e32 v[36:37], s[52:53]
	s_andn2_b64 exec, exec, s[48:49]
	s_cbranch_execz .LBB854_246
.LBB854_244:                            ; =>This Inner Loop Header: Depth=1
	s_or_b64 s[50:51], s[50:51], exec
	s_cmp_eq_u64 s[46:47], s[52:53]
	s_cbranch_scc0 .LBB854_242
; %bb.245:                              ;   in Loop: Header=BB854_244 Depth=1
                                        ; implicit-def: $vgpr30_vgpr31
                                        ; implicit-def: $vgpr34_vgpr35
	s_mov_b64 s[52:53], s[26:27]
	s_branch .LBB854_243
.LBB854_246:
	s_or_b64 exec, exec, s[48:49]
	v_cmp_gt_i64_e32 vcc, s[26:27], v[36:37]
	s_orn2_b64 s[46:47], vcc, exec
.LBB854_247:
	s_or_b64 exec, exec, s[44:45]
.LBB854_248:
	v_cndmask_b32_e64 v31, 0, 1, s[42:43]
	v_cndmask_b32_e64 v30, 0, 1, s[40:41]
	v_cndmask_b32_e64 v48, 0, 1, s[16:17]
	v_lshlrev_b16_e32 v31, 8, v31
	v_cndmask_b32_e64 v39, 0, 1, s[14:15]
	v_cndmask_b32_e64 v34, 0, 1, s[46:47]
	v_or_b32_sdwa v30, v30, v31 dst_sel:WORD_1 dst_unused:UNUSED_PAD src0_sel:DWORD src1_sel:DWORD
	v_lshlrev_b16_e32 v31, 8, v48
	v_lshlrev_b16_e32 v34, 8, v34
	v_or_b32_e32 v31, v39, v31
	v_or_b32_e32 v34, 1, v34
	v_and_b32_e32 v31, 0xffff, v31
	v_cndmask_b32_e64 v49, 0, 1, s[12:13]
	v_or_b32_sdwa v30, v34, v30 dst_sel:DWORD dst_unused:UNUSED_PAD src0_sel:WORD_0 src1_sel:DWORD
	v_lshl_or_b32 v31, v49, 16, v31
	s_waitcnt lgkmcnt(0)
	s_barrier
	s_waitcnt lgkmcnt(0)
                                        ; implicit-def: $sgpr14_sgpr15
                                        ; implicit-def: $vgpr34
	s_and_saveexec_b64 s[12:13], s[2:3]
	s_xor_b64 s[12:13], exec, s[12:13]
	s_cbranch_execz .LBB854_259
; %bb.249:
	s_mov_b32 s44, 0x3020104
	s_and_b64 vcc, exec, s[4:5]
	s_mov_b64 s[14:15], 0
	s_cbranch_vccnz .LBB854_258
; %bb.250:
	v_add_u32_e32 v31, -8, v38
	ds_read_b64 v[34:35], v31
	v_lshl_add_u64 v[32:33], v[32:33], 3, s[36:37]
	s_mov_b64 s[14:15], -1
	s_waitcnt lgkmcnt(0)
	v_mul_lo_u32 v31, v35, s26
	v_mul_lo_u32 v36, v34, s27
	v_mad_u64_u32 v[34:35], s[4:5], v34, s26, 0
	v_add3_u32 v35, v35, v36, v31
	v_lshl_add_u64 v[34:35], v[34:35], 3, s[36:37]
	global_load_dwordx2 v[36:37], v[34:35], off
	global_load_dwordx2 v[46:47], v[32:33], off
	s_waitcnt vmcnt(0)
	v_cmp_eq_f64_e32 vcc, v[36:37], v[46:47]
	s_and_saveexec_b64 s[4:5], vcc
	s_cbranch_execz .LBB854_257
; %bb.251:
	s_add_u32 s14, s26, -1
	v_lshl_add_u64 v[32:33], v[32:33], 0, 8
	v_lshl_add_u64 v[34:35], v[34:35], 0, 8
	s_addc_u32 s15, s27, -1
	s_mov_b64 s[16:17], 0
	s_mov_b64 s[42:43], 0
                                        ; implicit-def: $sgpr40_sgpr41
	s_branch .LBB854_254
.LBB854_252:                            ;   in Loop: Header=BB854_254 Depth=1
	global_load_dwordx2 v[36:37], v[34:35], off
	global_load_dwordx2 v[46:47], v[32:33], off
	s_add_u32 s42, s42, 1
	s_addc_u32 s43, s43, 0
	s_andn2_b64 s[40:41], s[40:41], exec
	v_lshl_add_u64 v[32:33], v[32:33], 0, 8
	v_lshl_add_u64 v[34:35], v[34:35], 0, 8
	s_waitcnt vmcnt(0)
	v_cmp_neq_f64_e32 vcc, v[36:37], v[46:47]
	s_and_b64 s[46:47], vcc, exec
	s_or_b64 s[40:41], s[40:41], s[46:47]
.LBB854_253:                            ;   in Loop: Header=BB854_254 Depth=1
	s_and_b64 s[46:47], exec, s[40:41]
	s_or_b64 s[16:17], s[46:47], s[16:17]
	v_mov_b64_e32 v[36:37], s[42:43]
	s_andn2_b64 exec, exec, s[16:17]
	s_cbranch_execz .LBB854_256
.LBB854_254:                            ; =>This Inner Loop Header: Depth=1
	s_or_b64 s[40:41], s[40:41], exec
	s_cmp_eq_u64 s[14:15], s[42:43]
	s_cbranch_scc0 .LBB854_252
; %bb.255:                              ;   in Loop: Header=BB854_254 Depth=1
                                        ; implicit-def: $vgpr32_vgpr33
                                        ; implicit-def: $vgpr34_vgpr35
	s_mov_b64 s[42:43], s[26:27]
	s_branch .LBB854_253
.LBB854_256:
	s_or_b64 exec, exec, s[16:17]
	v_cmp_gt_i64_e32 vcc, s[26:27], v[36:37]
	s_orn2_b64 s[14:15], vcc, exec
.LBB854_257:
	s_or_b64 exec, exec, s[4:5]
.LBB854_258:
	v_perm_b32 v34, v30, v30, s44
	s_and_b64 s[14:15], s[14:15], exec
	s_or_b64 s[10:11], s[10:11], exec
                                        ; implicit-def: $vgpr30_vgpr31
.LBB854_259:
	s_or_b64 exec, exec, s[12:13]
	s_branch .LBB854_340
.LBB854_260:
	v_cmp_gt_u32_e32 vcc, s54, v42
	s_mov_b64 s[12:13], 0
	s_mov_b64 s[4:5], 0
	s_and_saveexec_b64 s[14:15], vcc
	s_cbranch_execz .LBB854_271
; %bb.261:
	s_andn2_b64 vcc, exec, s[6:7]
	s_mov_b64 s[16:17], 0
	s_cbranch_vccnz .LBB854_270
; %bb.262:
	v_mul_lo_u32 v32, v17, s26
	v_mul_lo_u32 v33, v16, s27
	s_waitcnt vmcnt(0) lgkmcnt(1)
	v_mad_u64_u32 v[30:31], s[4:5], v16, s26, 0
	v_add3_u32 v31, v31, v33, v32
	v_mul_lo_u32 v32, v29, s26
	v_mul_lo_u32 v33, v28, s27
	v_mad_u64_u32 v[34:35], s[4:5], v28, s26, 0
	v_add3_u32 v35, v35, v33, v32
	v_lshl_add_u64 v[32:33], v[30:31], 3, s[36:37]
	v_lshl_add_u64 v[30:31], v[34:35], 3, s[36:37]
	global_load_dwordx2 v[34:35], v[32:33], off
	global_load_dwordx2 v[36:37], v[30:31], off
	s_mov_b64 s[16:17], -1
	s_waitcnt vmcnt(0)
	v_cmp_eq_f64_e32 vcc, v[34:35], v[36:37]
	s_and_saveexec_b64 s[4:5], vcc
	s_cbranch_execz .LBB854_269
; %bb.263:
	s_add_u32 s16, s26, -1
	v_lshl_add_u64 v[30:31], v[30:31], 0, 8
	v_lshl_add_u64 v[32:33], v[32:33], 0, 8
	s_addc_u32 s17, s27, -1
	s_mov_b64 s[40:41], 0
	s_mov_b64 s[44:45], 0
                                        ; implicit-def: $sgpr42_sgpr43
	s_branch .LBB854_266
.LBB854_264:                            ;   in Loop: Header=BB854_266 Depth=1
	global_load_dwordx2 v[34:35], v[32:33], off
	global_load_dwordx2 v[36:37], v[30:31], off
	s_add_u32 s44, s44, 1
	s_addc_u32 s45, s45, 0
	s_andn2_b64 s[42:43], s[42:43], exec
	v_lshl_add_u64 v[30:31], v[30:31], 0, 8
	v_lshl_add_u64 v[32:33], v[32:33], 0, 8
	s_waitcnt vmcnt(0)
	v_cmp_neq_f64_e32 vcc, v[34:35], v[36:37]
	s_and_b64 s[46:47], vcc, exec
	s_or_b64 s[42:43], s[42:43], s[46:47]
.LBB854_265:                            ;   in Loop: Header=BB854_266 Depth=1
	s_and_b64 s[46:47], exec, s[42:43]
	s_or_b64 s[40:41], s[46:47], s[40:41]
	v_mov_b64_e32 v[34:35], s[44:45]
	s_andn2_b64 exec, exec, s[40:41]
	s_cbranch_execz .LBB854_268
.LBB854_266:                            ; =>This Inner Loop Header: Depth=1
	s_or_b64 s[42:43], s[42:43], exec
	s_cmp_eq_u64 s[16:17], s[44:45]
	s_cbranch_scc0 .LBB854_264
; %bb.267:                              ;   in Loop: Header=BB854_266 Depth=1
                                        ; implicit-def: $vgpr30_vgpr31
                                        ; implicit-def: $vgpr32_vgpr33
	s_mov_b64 s[44:45], s[26:27]
	s_branch .LBB854_265
.LBB854_268:
	s_or_b64 exec, exec, s[40:41]
	v_cmp_gt_i64_e32 vcc, s[26:27], v[34:35]
	s_orn2_b64 s[16:17], vcc, exec
.LBB854_269:
	s_or_b64 exec, exec, s[4:5]
.LBB854_270:
	s_and_b64 s[4:5], s[16:17], exec
.LBB854_271:
	s_or_b64 exec, exec, s[14:15]
	v_cmp_gt_u32_e32 vcc, s54, v45
	s_and_saveexec_b64 s[14:15], vcc
	s_cbranch_execz .LBB854_282
; %bb.272:
	s_andn2_b64 vcc, exec, s[6:7]
	s_mov_b64 s[16:17], 0
	s_cbranch_vccnz .LBB854_281
; %bb.273:
	v_mul_lo_u32 v32, v15, s26
	v_mul_lo_u32 v33, v14, s27
	s_waitcnt vmcnt(0) lgkmcnt(1)
	v_mad_u64_u32 v[30:31], s[12:13], v14, s26, 0
	v_add3_u32 v31, v31, v33, v32
	v_mul_lo_u32 v32, v17, s26
	v_mul_lo_u32 v33, v16, s27
	v_mad_u64_u32 v[34:35], s[12:13], v16, s26, 0
	v_add3_u32 v35, v35, v33, v32
	v_lshl_add_u64 v[32:33], v[30:31], 3, s[36:37]
	v_lshl_add_u64 v[30:31], v[34:35], 3, s[36:37]
	global_load_dwordx2 v[34:35], v[32:33], off
	global_load_dwordx2 v[36:37], v[30:31], off
	s_mov_b64 s[16:17], -1
	s_waitcnt vmcnt(0)
	v_cmp_eq_f64_e32 vcc, v[34:35], v[36:37]
	s_and_saveexec_b64 s[12:13], vcc
	s_cbranch_execz .LBB854_280
; %bb.274:
	s_add_u32 s16, s26, -1
	v_lshl_add_u64 v[30:31], v[30:31], 0, 8
	v_lshl_add_u64 v[32:33], v[32:33], 0, 8
	s_addc_u32 s17, s27, -1
	s_mov_b64 s[40:41], 0
	s_mov_b64 s[44:45], 0
                                        ; implicit-def: $sgpr42_sgpr43
	s_branch .LBB854_277
.LBB854_275:                            ;   in Loop: Header=BB854_277 Depth=1
	global_load_dwordx2 v[34:35], v[32:33], off
	global_load_dwordx2 v[36:37], v[30:31], off
	s_add_u32 s44, s44, 1
	s_addc_u32 s45, s45, 0
	s_andn2_b64 s[42:43], s[42:43], exec
	v_lshl_add_u64 v[30:31], v[30:31], 0, 8
	v_lshl_add_u64 v[32:33], v[32:33], 0, 8
	s_waitcnt vmcnt(0)
	v_cmp_neq_f64_e32 vcc, v[34:35], v[36:37]
	s_and_b64 s[46:47], vcc, exec
	s_or_b64 s[42:43], s[42:43], s[46:47]
.LBB854_276:                            ;   in Loop: Header=BB854_277 Depth=1
	s_and_b64 s[46:47], exec, s[42:43]
	s_or_b64 s[40:41], s[46:47], s[40:41]
	v_mov_b64_e32 v[34:35], s[44:45]
	s_andn2_b64 exec, exec, s[40:41]
	s_cbranch_execz .LBB854_279
.LBB854_277:                            ; =>This Inner Loop Header: Depth=1
	s_or_b64 s[42:43], s[42:43], exec
	s_cmp_eq_u64 s[16:17], s[44:45]
	s_cbranch_scc0 .LBB854_275
; %bb.278:                              ;   in Loop: Header=BB854_277 Depth=1
                                        ; implicit-def: $vgpr30_vgpr31
                                        ; implicit-def: $vgpr32_vgpr33
	s_mov_b64 s[44:45], s[26:27]
	s_branch .LBB854_276
.LBB854_279:
	s_or_b64 exec, exec, s[40:41]
	v_cmp_gt_i64_e32 vcc, s[26:27], v[34:35]
	s_orn2_b64 s[16:17], vcc, exec
.LBB854_280:
	s_or_b64 exec, exec, s[12:13]
.LBB854_281:
	s_and_b64 s[12:13], s[16:17], exec
.LBB854_282:
	s_or_b64 exec, exec, s[14:15]
	v_cmp_gt_u32_e32 vcc, s54, v41
	s_mov_b64 s[16:17], 0
	s_mov_b64 s[14:15], 0
	s_and_saveexec_b64 s[40:41], vcc
	s_cbranch_execz .LBB854_293
; %bb.283:
	s_andn2_b64 vcc, exec, s[6:7]
	s_mov_b64 s[42:43], 0
	s_cbranch_vccnz .LBB854_292
; %bb.284:
	v_mul_lo_u32 v32, v21, s26
	v_mul_lo_u32 v33, v20, s27
	s_waitcnt vmcnt(0) lgkmcnt(1)
	v_mad_u64_u32 v[30:31], s[14:15], v20, s26, 0
	v_add3_u32 v31, v31, v33, v32
	v_mul_lo_u32 v32, v15, s26
	v_mul_lo_u32 v33, v14, s27
	v_mad_u64_u32 v[34:35], s[14:15], v14, s26, 0
	v_add3_u32 v35, v35, v33, v32
	v_lshl_add_u64 v[32:33], v[30:31], 3, s[36:37]
	v_lshl_add_u64 v[30:31], v[34:35], 3, s[36:37]
	global_load_dwordx2 v[34:35], v[32:33], off
	global_load_dwordx2 v[36:37], v[30:31], off
	s_mov_b64 s[42:43], -1
	s_waitcnt vmcnt(0)
	v_cmp_eq_f64_e32 vcc, v[34:35], v[36:37]
	s_and_saveexec_b64 s[14:15], vcc
	s_cbranch_execz .LBB854_291
; %bb.285:
	s_add_u32 s42, s26, -1
	v_lshl_add_u64 v[30:31], v[30:31], 0, 8
	v_lshl_add_u64 v[32:33], v[32:33], 0, 8
	s_addc_u32 s43, s27, -1
	s_mov_b64 s[44:45], 0
	s_mov_b64 s[48:49], 0
                                        ; implicit-def: $sgpr46_sgpr47
	s_branch .LBB854_288
.LBB854_286:                            ;   in Loop: Header=BB854_288 Depth=1
	global_load_dwordx2 v[34:35], v[32:33], off
	global_load_dwordx2 v[36:37], v[30:31], off
	s_add_u32 s48, s48, 1
	s_addc_u32 s49, s49, 0
	s_andn2_b64 s[46:47], s[46:47], exec
	v_lshl_add_u64 v[30:31], v[30:31], 0, 8
	v_lshl_add_u64 v[32:33], v[32:33], 0, 8
	s_waitcnt vmcnt(0)
	v_cmp_neq_f64_e32 vcc, v[34:35], v[36:37]
	s_and_b64 s[50:51], vcc, exec
	s_or_b64 s[46:47], s[46:47], s[50:51]
.LBB854_287:                            ;   in Loop: Header=BB854_288 Depth=1
	s_and_b64 s[50:51], exec, s[46:47]
	s_or_b64 s[44:45], s[50:51], s[44:45]
	v_mov_b64_e32 v[34:35], s[48:49]
	s_andn2_b64 exec, exec, s[44:45]
	s_cbranch_execz .LBB854_290
.LBB854_288:                            ; =>This Inner Loop Header: Depth=1
	s_or_b64 s[46:47], s[46:47], exec
	s_cmp_eq_u64 s[42:43], s[48:49]
	s_cbranch_scc0 .LBB854_286
; %bb.289:                              ;   in Loop: Header=BB854_288 Depth=1
                                        ; implicit-def: $vgpr30_vgpr31
                                        ; implicit-def: $vgpr32_vgpr33
	s_mov_b64 s[48:49], s[26:27]
	s_branch .LBB854_287
.LBB854_290:
	s_or_b64 exec, exec, s[44:45]
	v_cmp_gt_i64_e32 vcc, s[26:27], v[34:35]
	s_orn2_b64 s[42:43], vcc, exec
.LBB854_291:
	s_or_b64 exec, exec, s[14:15]
.LBB854_292:
	s_and_b64 s[14:15], s[42:43], exec
.LBB854_293:
	s_or_b64 exec, exec, s[40:41]
	v_cmp_gt_u32_e32 vcc, s54, v44
	s_and_saveexec_b64 s[40:41], vcc
	s_cbranch_execz .LBB854_304
; %bb.294:
	s_andn2_b64 vcc, exec, s[6:7]
	s_mov_b64 s[42:43], 0
	s_cbranch_vccnz .LBB854_303
; %bb.295:
	v_mul_lo_u32 v32, v19, s26
	v_mul_lo_u32 v33, v18, s27
	s_waitcnt vmcnt(0) lgkmcnt(1)
	v_mad_u64_u32 v[30:31], s[16:17], v18, s26, 0
	v_add3_u32 v31, v31, v33, v32
	v_mul_lo_u32 v32, v21, s26
	v_mul_lo_u32 v33, v20, s27
	v_mad_u64_u32 v[34:35], s[16:17], v20, s26, 0
	v_add3_u32 v35, v35, v33, v32
	v_lshl_add_u64 v[32:33], v[30:31], 3, s[36:37]
	v_lshl_add_u64 v[30:31], v[34:35], 3, s[36:37]
	global_load_dwordx2 v[34:35], v[32:33], off
	global_load_dwordx2 v[36:37], v[30:31], off
	s_mov_b64 s[42:43], -1
	s_waitcnt vmcnt(0)
	v_cmp_eq_f64_e32 vcc, v[34:35], v[36:37]
	s_and_saveexec_b64 s[16:17], vcc
	s_cbranch_execz .LBB854_302
; %bb.296:
	s_add_u32 s42, s26, -1
	v_lshl_add_u64 v[30:31], v[30:31], 0, 8
	v_lshl_add_u64 v[32:33], v[32:33], 0, 8
	s_addc_u32 s43, s27, -1
	s_mov_b64 s[44:45], 0
	s_mov_b64 s[48:49], 0
                                        ; implicit-def: $sgpr46_sgpr47
	s_branch .LBB854_299
.LBB854_297:                            ;   in Loop: Header=BB854_299 Depth=1
	global_load_dwordx2 v[34:35], v[32:33], off
	global_load_dwordx2 v[36:37], v[30:31], off
	s_add_u32 s48, s48, 1
	s_addc_u32 s49, s49, 0
	s_andn2_b64 s[46:47], s[46:47], exec
	v_lshl_add_u64 v[30:31], v[30:31], 0, 8
	v_lshl_add_u64 v[32:33], v[32:33], 0, 8
	s_waitcnt vmcnt(0)
	v_cmp_neq_f64_e32 vcc, v[34:35], v[36:37]
	s_and_b64 s[50:51], vcc, exec
	s_or_b64 s[46:47], s[46:47], s[50:51]
.LBB854_298:                            ;   in Loop: Header=BB854_299 Depth=1
	s_and_b64 s[50:51], exec, s[46:47]
	s_or_b64 s[44:45], s[50:51], s[44:45]
	v_mov_b64_e32 v[34:35], s[48:49]
	s_andn2_b64 exec, exec, s[44:45]
	s_cbranch_execz .LBB854_301
.LBB854_299:                            ; =>This Inner Loop Header: Depth=1
	s_or_b64 s[46:47], s[46:47], exec
	s_cmp_eq_u64 s[42:43], s[48:49]
	s_cbranch_scc0 .LBB854_297
; %bb.300:                              ;   in Loop: Header=BB854_299 Depth=1
                                        ; implicit-def: $vgpr30_vgpr31
                                        ; implicit-def: $vgpr32_vgpr33
	s_mov_b64 s[48:49], s[26:27]
	s_branch .LBB854_298
.LBB854_301:
	s_or_b64 exec, exec, s[44:45]
	v_cmp_gt_i64_e32 vcc, s[26:27], v[34:35]
	s_orn2_b64 s[42:43], vcc, exec
.LBB854_302:
	s_or_b64 exec, exec, s[16:17]
.LBB854_303:
	s_and_b64 s[16:17], s[42:43], exec
.LBB854_304:
	s_or_b64 exec, exec, s[40:41]
	v_cmp_gt_u32_e32 vcc, s54, v40
	s_mov_b64 s[40:41], 0
	s_mov_b64 s[42:43], 0
	s_and_saveexec_b64 s[44:45], vcc
	s_cbranch_execz .LBB854_315
; %bb.305:
	s_andn2_b64 vcc, exec, s[6:7]
	s_mov_b64 s[46:47], 0
	s_cbranch_vccnz .LBB854_314
; %bb.306:
	v_mul_lo_u32 v32, v25, s26
	v_mul_lo_u32 v33, v24, s27
	s_waitcnt vmcnt(0) lgkmcnt(1)
	v_mad_u64_u32 v[30:31], s[42:43], v24, s26, 0
	v_add3_u32 v31, v31, v33, v32
	v_mul_lo_u32 v32, v19, s26
	v_mul_lo_u32 v33, v18, s27
	v_mad_u64_u32 v[34:35], s[42:43], v18, s26, 0
	v_add3_u32 v35, v35, v33, v32
	v_lshl_add_u64 v[32:33], v[30:31], 3, s[36:37]
	v_lshl_add_u64 v[30:31], v[34:35], 3, s[36:37]
	global_load_dwordx2 v[34:35], v[32:33], off
	global_load_dwordx2 v[36:37], v[30:31], off
	s_mov_b64 s[46:47], -1
	s_waitcnt vmcnt(0)
	v_cmp_eq_f64_e32 vcc, v[34:35], v[36:37]
	s_and_saveexec_b64 s[42:43], vcc
	s_cbranch_execz .LBB854_313
; %bb.307:
	s_add_u32 s46, s26, -1
	v_lshl_add_u64 v[30:31], v[30:31], 0, 8
	v_lshl_add_u64 v[32:33], v[32:33], 0, 8
	s_addc_u32 s47, s27, -1
	s_mov_b64 s[48:49], 0
	s_mov_b64 s[52:53], 0
                                        ; implicit-def: $sgpr50_sgpr51
	s_branch .LBB854_310
.LBB854_308:                            ;   in Loop: Header=BB854_310 Depth=1
	global_load_dwordx2 v[34:35], v[32:33], off
	global_load_dwordx2 v[36:37], v[30:31], off
	s_add_u32 s52, s52, 1
	s_addc_u32 s53, s53, 0
	s_andn2_b64 s[50:51], s[50:51], exec
	v_lshl_add_u64 v[30:31], v[30:31], 0, 8
	v_lshl_add_u64 v[32:33], v[32:33], 0, 8
	s_waitcnt vmcnt(0)
	v_cmp_neq_f64_e32 vcc, v[34:35], v[36:37]
	s_and_b64 s[56:57], vcc, exec
	s_or_b64 s[50:51], s[50:51], s[56:57]
.LBB854_309:                            ;   in Loop: Header=BB854_310 Depth=1
	s_and_b64 s[56:57], exec, s[50:51]
	s_or_b64 s[48:49], s[56:57], s[48:49]
	v_mov_b64_e32 v[34:35], s[52:53]
	s_andn2_b64 exec, exec, s[48:49]
	s_cbranch_execz .LBB854_312
.LBB854_310:                            ; =>This Inner Loop Header: Depth=1
	s_or_b64 s[50:51], s[50:51], exec
	s_cmp_eq_u64 s[46:47], s[52:53]
	s_cbranch_scc0 .LBB854_308
; %bb.311:                              ;   in Loop: Header=BB854_310 Depth=1
                                        ; implicit-def: $vgpr30_vgpr31
                                        ; implicit-def: $vgpr32_vgpr33
	s_mov_b64 s[52:53], s[26:27]
	s_branch .LBB854_309
.LBB854_312:
	s_or_b64 exec, exec, s[48:49]
	v_cmp_gt_i64_e32 vcc, s[26:27], v[34:35]
	s_orn2_b64 s[46:47], vcc, exec
.LBB854_313:
	s_or_b64 exec, exec, s[42:43]
.LBB854_314:
	s_and_b64 s[42:43], s[46:47], exec
.LBB854_315:
	s_or_b64 exec, exec, s[44:45]
	v_cmp_gt_u32_e32 vcc, s54, v43
	s_and_saveexec_b64 s[44:45], vcc
	s_cbranch_execz .LBB854_326
; %bb.316:
	s_andn2_b64 vcc, exec, s[6:7]
	s_mov_b64 s[46:47], 0
	s_cbranch_vccnz .LBB854_325
; %bb.317:
	v_mul_lo_u32 v32, v23, s26
	v_mul_lo_u32 v33, v22, s27
	s_waitcnt vmcnt(0) lgkmcnt(1)
	v_mad_u64_u32 v[30:31], s[40:41], v22, s26, 0
	v_add3_u32 v31, v31, v33, v32
	v_mul_lo_u32 v32, v25, s26
	v_mul_lo_u32 v33, v24, s27
	v_mad_u64_u32 v[34:35], s[40:41], v24, s26, 0
	v_add3_u32 v35, v35, v33, v32
	v_lshl_add_u64 v[32:33], v[30:31], 3, s[36:37]
	v_lshl_add_u64 v[30:31], v[34:35], 3, s[36:37]
	global_load_dwordx2 v[34:35], v[32:33], off
	global_load_dwordx2 v[36:37], v[30:31], off
	s_mov_b64 s[46:47], -1
	s_waitcnt vmcnt(0)
	v_cmp_eq_f64_e32 vcc, v[34:35], v[36:37]
	s_and_saveexec_b64 s[40:41], vcc
	s_cbranch_execz .LBB854_324
; %bb.318:
	s_add_u32 s46, s26, -1
	v_lshl_add_u64 v[30:31], v[30:31], 0, 8
	v_lshl_add_u64 v[32:33], v[32:33], 0, 8
	s_addc_u32 s47, s27, -1
	s_mov_b64 s[48:49], 0
	s_mov_b64 s[52:53], 0
                                        ; implicit-def: $sgpr50_sgpr51
	s_branch .LBB854_321
.LBB854_319:                            ;   in Loop: Header=BB854_321 Depth=1
	global_load_dwordx2 v[34:35], v[32:33], off
	global_load_dwordx2 v[36:37], v[30:31], off
	s_add_u32 s52, s52, 1
	s_addc_u32 s53, s53, 0
	s_andn2_b64 s[50:51], s[50:51], exec
	v_lshl_add_u64 v[30:31], v[30:31], 0, 8
	v_lshl_add_u64 v[32:33], v[32:33], 0, 8
	s_waitcnt vmcnt(0)
	v_cmp_neq_f64_e32 vcc, v[34:35], v[36:37]
	s_and_b64 s[56:57], vcc, exec
	s_or_b64 s[50:51], s[50:51], s[56:57]
.LBB854_320:                            ;   in Loop: Header=BB854_321 Depth=1
	s_and_b64 s[56:57], exec, s[50:51]
	s_or_b64 s[48:49], s[56:57], s[48:49]
	v_mov_b64_e32 v[34:35], s[52:53]
	s_andn2_b64 exec, exec, s[48:49]
	s_cbranch_execz .LBB854_323
.LBB854_321:                            ; =>This Inner Loop Header: Depth=1
	s_or_b64 s[50:51], s[50:51], exec
	s_cmp_eq_u64 s[46:47], s[52:53]
	s_cbranch_scc0 .LBB854_319
; %bb.322:                              ;   in Loop: Header=BB854_321 Depth=1
                                        ; implicit-def: $vgpr30_vgpr31
                                        ; implicit-def: $vgpr32_vgpr33
	s_mov_b64 s[52:53], s[26:27]
	s_branch .LBB854_320
.LBB854_323:
	s_or_b64 exec, exec, s[48:49]
	v_cmp_gt_i64_e32 vcc, s[26:27], v[34:35]
	s_orn2_b64 s[46:47], vcc, exec
.LBB854_324:
	s_or_b64 exec, exec, s[40:41]
.LBB854_325:
	s_and_b64 s[40:41], s[46:47], exec
.LBB854_326:
	s_or_b64 exec, exec, s[44:45]
	s_waitcnt vmcnt(0) lgkmcnt(1)
	v_cndmask_b32_e64 v31, 0, 1, s[16:17]
	v_cndmask_b32_e64 v30, 0, 1, s[42:43]
	;; [unrolled: 1-line block ×3, first 2 shown]
	v_lshlrev_b16_e32 v31, 8, v31
	v_cndmask_b32_e64 v39, 0, 1, s[14:15]
	v_cndmask_b32_e64 v32, 0, 1, s[40:41]
	v_or_b32_sdwa v30, v30, v31 dst_sel:WORD_1 dst_unused:UNUSED_PAD src0_sel:DWORD src1_sel:DWORD
	v_lshlrev_b16_e32 v31, 8, v48
	v_lshlrev_b16_e32 v32, 8, v32
	v_or_b32_e32 v31, v39, v31
	v_or_b32_e32 v32, 1, v32
	v_and_b32_e32 v31, 0xffff, v31
	v_cndmask_b32_e64 v49, 0, 1, s[4:5]
	v_or_b32_sdwa v30, v32, v30 dst_sel:DWORD dst_unused:UNUSED_PAD src0_sel:WORD_0 src1_sel:DWORD
	v_lshl_or_b32 v31, v49, 16, v31
	s_waitcnt lgkmcnt(0)
	s_barrier
	s_waitcnt lgkmcnt(0)
                                        ; implicit-def: $sgpr14_sgpr15
                                        ; implicit-def: $vgpr34
	s_and_saveexec_b64 s[4:5], s[2:3]
	s_cbranch_execz .LBB854_339
; %bb.327:
	v_cmp_gt_u32_e32 vcc, s54, v1
	s_mov_b32 s40, 0x3020104
	s_mov_b64 s[12:13], 0
	s_and_saveexec_b64 s[2:3], vcc
	s_cbranch_execz .LBB854_338
; %bb.328:
	s_andn2_b64 vcc, exec, s[6:7]
	s_cbranch_vccnz .LBB854_337
; %bb.329:
	v_add_u32_e32 v31, -8, v38
	ds_read_b64 v[32:33], v31
	v_mul_lo_u32 v31, v23, s26
	v_mad_u64_u32 v[36:37], s[6:7], v22, s26, 0
	s_mov_b64 s[12:13], -1
	s_waitcnt lgkmcnt(0)
	v_mul_lo_u32 v34, v33, s26
	v_mul_lo_u32 v35, v32, s27
	v_mad_u64_u32 v[32:33], s[6:7], v32, s26, 0
	v_add3_u32 v33, v33, v35, v34
	v_mul_lo_u32 v34, v22, s27
	v_add3_u32 v37, v37, v34, v31
	v_lshl_add_u64 v[34:35], v[32:33], 3, s[36:37]
	v_lshl_add_u64 v[32:33], v[36:37], 3, s[36:37]
	global_load_dwordx2 v[36:37], v[34:35], off
	global_load_dwordx2 v[46:47], v[32:33], off
	s_waitcnt vmcnt(0)
	v_cmp_eq_f64_e32 vcc, v[36:37], v[46:47]
	s_and_saveexec_b64 s[6:7], vcc
	s_cbranch_execz .LBB854_336
; %bb.330:
	s_add_u32 s12, s26, -1
	v_lshl_add_u64 v[32:33], v[32:33], 0, 8
	v_lshl_add_u64 v[34:35], v[34:35], 0, 8
	s_addc_u32 s13, s27, -1
	s_mov_b64 s[14:15], 0
	s_mov_b64 s[36:37], 0
                                        ; implicit-def: $sgpr16_sgpr17
	s_branch .LBB854_333
.LBB854_331:                            ;   in Loop: Header=BB854_333 Depth=1
	global_load_dwordx2 v[36:37], v[34:35], off
	global_load_dwordx2 v[46:47], v[32:33], off
	s_add_u32 s36, s36, 1
	s_addc_u32 s37, s37, 0
	s_andn2_b64 s[16:17], s[16:17], exec
	v_lshl_add_u64 v[32:33], v[32:33], 0, 8
	v_lshl_add_u64 v[34:35], v[34:35], 0, 8
	s_waitcnt vmcnt(0)
	v_cmp_neq_f64_e32 vcc, v[36:37], v[46:47]
	s_and_b64 s[42:43], vcc, exec
	s_or_b64 s[16:17], s[16:17], s[42:43]
.LBB854_332:                            ;   in Loop: Header=BB854_333 Depth=1
	s_and_b64 s[42:43], exec, s[16:17]
	s_or_b64 s[14:15], s[42:43], s[14:15]
	v_mov_b64_e32 v[36:37], s[36:37]
	s_andn2_b64 exec, exec, s[14:15]
	s_cbranch_execz .LBB854_335
.LBB854_333:                            ; =>This Inner Loop Header: Depth=1
	s_or_b64 s[16:17], s[16:17], exec
	s_cmp_eq_u64 s[12:13], s[36:37]
	s_cbranch_scc0 .LBB854_331
; %bb.334:                              ;   in Loop: Header=BB854_333 Depth=1
                                        ; implicit-def: $vgpr32_vgpr33
                                        ; implicit-def: $vgpr34_vgpr35
	s_mov_b64 s[36:37], s[26:27]
	s_branch .LBB854_332
.LBB854_335:
	s_or_b64 exec, exec, s[14:15]
	v_cmp_gt_i64_e32 vcc, s[26:27], v[36:37]
	s_orn2_b64 s[12:13], vcc, exec
.LBB854_336:
	s_or_b64 exec, exec, s[6:7]
.LBB854_337:
	s_and_b64 s[12:13], s[12:13], exec
.LBB854_338:
	s_or_b64 exec, exec, s[2:3]
	v_perm_b32 v34, v30, v30, s40
	s_and_b64 s[14:15], s[12:13], exec
	s_or_b64 s[10:11], s[10:11], exec
                                        ; implicit-def: $vgpr30_vgpr31
.LBB854_339:
	s_or_b64 exec, exec, s[4:5]
.LBB854_340:
	s_and_saveexec_b64 s[2:3], s[10:11]
	s_cbranch_execz .LBB854_342
; %bb.341:
	s_waitcnt vmcnt(0) lgkmcnt(0)
	v_lshlrev_b16_e32 v31, 8, v48
	v_and_b32_e32 v32, 0xff, v49
	v_or_b32_sdwa v31, v39, v31 dst_sel:DWORD dst_unused:UNUSED_PAD src0_sel:BYTE_0 src1_sel:DWORD
	v_lshlrev_b32_e32 v32, 16, v32
	s_movk_i32 s4, 0xff
	v_or_b32_sdwa v31, v31, v32 dst_sel:DWORD dst_unused:UNUSED_PAD src0_sel:WORD_0 src1_sel:DWORD
	v_lshrrev_b32_e32 v32, 24, v34
	v_lshlrev_b16_e32 v32, 8, v32
	v_and_b32_sdwa v33, v34, s4 dst_sel:DWORD dst_unused:UNUSED_PAD src0_sel:WORD_1 src1_sel:DWORD
	v_or_b32_sdwa v32, v33, v32 dst_sel:WORD_1 dst_unused:UNUSED_PAD src0_sel:DWORD src1_sel:DWORD
	v_mov_b32_e32 v33, 8
	v_cndmask_b32_e64 v30, 0, 1, s[14:15]
	v_lshrrev_b32_sdwa v33, v33, v34 dst_sel:BYTE_1 dst_unused:UNUSED_PAD src0_sel:DWORD src1_sel:DWORD
	s_nop 0
	v_or_b32_e32 v30, v30, v33
	v_or_b32_sdwa v30, v30, v32 dst_sel:DWORD dst_unused:UNUSED_PAD src0_sel:WORD_0 src1_sel:DWORD
.LBB854_342:
	s_or_b64 exec, exec, s[2:3]
	s_andn2_b64 vcc, exec, s[8:9]
	s_cbranch_vccnz .LBB854_344
; %bb.343:
	s_waitcnt vmcnt(0) lgkmcnt(0)
	v_and_b32_e32 v32, 0xffff0000, v30
	v_cmp_gt_u32_e32 vcc, s54, v1
	s_mov_b32 s2, 0x40c0100
	s_nop 0
	v_cndmask_b32_e32 v1, v32, v30, vcc
	v_and_b32_e32 v1, 0xffff00ff, v1
	v_cmp_gt_u32_e32 vcc, s54, v43
	s_nop 1
	v_cndmask_b32_e32 v1, v1, v30, vcc
	v_lshrrev_b32_e32 v32, 24, v1
	v_perm_b32 v1, v32, v1, s2
	v_cmp_gt_u32_e32 vcc, s54, v40
	v_and_b32_e32 v32, 0xffffff00, v31
	s_nop 0
	v_cndmask_b32_e32 v1, v1, v30, vcc
	v_and_b32_e32 v1, 0xffffff, v1
	v_cmp_gt_u32_e32 vcc, s54, v44
	s_nop 1
	v_cndmask_b32_e32 v1, v1, v30, vcc
	v_cmp_gt_u32_e32 vcc, s54, v41
	s_nop 1
	v_cndmask_b32_e32 v32, v32, v31, vcc
	v_and_b32_e32 v32, 0xffff00ff, v32
	v_cndmask_b32_e32 v1, v1, v30, vcc
	v_cmp_gt_u32_e32 vcc, s54, v45
	s_nop 1
	v_cndmask_b32_e32 v32, v32, v31, vcc
	v_lshrrev_b32_e32 v33, 24, v32
	v_cndmask_b32_e32 v1, v1, v30, vcc
	v_perm_b32 v32, v33, v32, s2
	v_cmp_gt_u32_e32 vcc, s54, v42
	s_mov_b32 s2, 0x3020104
	s_nop 0
	v_cndmask_b32_e32 v1, v1, v30, vcc
	v_cndmask_b32_e32 v30, v32, v31, vcc
	v_mov_b32_e32 v31, 8
	v_lshrrev_b32_sdwa v31, v31, v30 dst_sel:BYTE_1 dst_unused:UNUSED_PAD src0_sel:DWORD src1_sel:DWORD
	s_nop 0
	v_or_b32_sdwa v31, v30, v31 dst_sel:DWORD dst_unused:UNUSED_PAD src0_sel:BYTE_0 src1_sel:DWORD
	v_and_b32_e32 v31, 0xffff, v31
	v_bfe_u32 v30, v30, 16, 8
	v_lshl_or_b32 v31, v30, 16, v31
	v_perm_b32 v30, v1, v1, s2
.LBB854_344:
	s_waitcnt vmcnt(0) lgkmcnt(0)
	v_and_b32_e32 v1, 0xff, v30
	v_bfe_u32 v43, v30, 8, 8
	v_bfe_u32 v45, v30, 16, 8
	v_alignbit_b32 v32, v31, v30, 24
	v_and_b32_e32 v47, 0xff, v32
	v_and_b32_e32 v48, 0xff, v31
	v_add3_u32 v33, v43, v1, v45
	v_bfe_u32 v49, v31, 8, 8
	v_bfe_u32 v32, v31, 16, 8
	v_add3_u32 v33, v33, v47, v48
	v_add3_u32 v52, v33, v49, v32
	v_mbcnt_lo_u32_b32 v32, -1, 0
	v_mbcnt_hi_u32_b32 v50, -1, v32
	v_and_b32_e32 v32, 15, v50
	v_cmp_eq_u32_e64 s[14:15], 0, v32
	v_cmp_lt_u32_e64 s[12:13], 1, v32
	v_cmp_lt_u32_e64 s[10:11], 3, v32
	;; [unrolled: 1-line block ×3, first 2 shown]
	v_and_b32_e32 v32, 16, v50
	v_cmp_eq_u32_e64 s[6:7], 0, v32
	v_or_b32_e32 v32, 63, v0
	v_cmp_lt_u32_e64 s[2:3], 31, v50
	v_lshrrev_b32_e32 v51, 6, v0
	v_cmp_eq_u32_e64 s[4:5], v32, v0
	s_and_b64 vcc, exec, s[0:1]
	s_barrier
	s_cbranch_vccz .LBB854_375
; %bb.345:
	v_mov_b32_dpp v32, v52 row_shr:1 row_mask:0xf bank_mask:0xf
	v_cndmask_b32_e64 v32, v32, 0, s[14:15]
	v_add_u32_e32 v32, v32, v52
	s_nop 1
	v_mov_b32_dpp v33, v32 row_shr:2 row_mask:0xf bank_mask:0xf
	v_cndmask_b32_e64 v33, 0, v33, s[12:13]
	v_add_u32_e32 v32, v32, v33
	s_nop 1
	;; [unrolled: 4-line block ×4, first 2 shown]
	v_mov_b32_dpp v33, v32 row_bcast:15 row_mask:0xf bank_mask:0xf
	v_cndmask_b32_e64 v33, v33, 0, s[6:7]
	v_add_u32_e32 v32, v32, v33
	s_nop 1
	v_mov_b32_dpp v33, v32 row_bcast:31 row_mask:0xf bank_mask:0xf
	v_cndmask_b32_e64 v33, 0, v33, s[2:3]
	v_add_u32_e32 v32, v32, v33
	s_and_saveexec_b64 s[0:1], s[4:5]
	s_cbranch_execz .LBB854_347
; %bb.346:
	v_lshlrev_b32_e32 v33, 2, v51
	ds_write_b32 v33, v32
.LBB854_347:
	s_or_b64 exec, exec, s[0:1]
	v_cmp_gt_u32_e32 vcc, 8, v0
	s_waitcnt lgkmcnt(0)
	s_barrier
	s_and_saveexec_b64 s[0:1], vcc
	s_cbranch_execz .LBB854_349
; %bb.348:
	v_lshlrev_b32_e32 v33, 2, v0
	ds_read_b32 v34, v33
	v_and_b32_e32 v35, 7, v50
	v_cmp_ne_u32_e32 vcc, 0, v35
	s_waitcnt lgkmcnt(0)
	v_mov_b32_dpp v36, v34 row_shr:1 row_mask:0xf bank_mask:0xf
	v_cndmask_b32_e32 v36, 0, v36, vcc
	v_add_u32_e32 v34, v36, v34
	v_cmp_lt_u32_e32 vcc, 1, v35
	s_nop 0
	v_mov_b32_dpp v36, v34 row_shr:2 row_mask:0xf bank_mask:0xf
	v_cndmask_b32_e32 v36, 0, v36, vcc
	v_add_u32_e32 v34, v34, v36
	v_cmp_lt_u32_e32 vcc, 3, v35
	s_nop 0
	v_mov_b32_dpp v36, v34 row_shr:4 row_mask:0xf bank_mask:0xf
	v_cndmask_b32_e32 v35, 0, v36, vcc
	v_add_u32_e32 v34, v34, v35
	ds_write_b32 v33, v34
.LBB854_349:
	s_or_b64 exec, exec, s[0:1]
	v_cmp_gt_u32_e32 vcc, 64, v0
	v_cmp_lt_u32_e64 s[0:1], 63, v0
	s_waitcnt lgkmcnt(0)
	s_barrier
	s_waitcnt lgkmcnt(0)
                                        ; implicit-def: $vgpr42
	s_and_saveexec_b64 s[16:17], s[0:1]
	s_cbranch_execz .LBB854_351
; %bb.350:
	v_lshl_add_u32 v33, v51, 2, -4
	ds_read_b32 v42, v33
	s_waitcnt lgkmcnt(0)
	v_add_u32_e32 v32, v42, v32
.LBB854_351:
	s_or_b64 exec, exec, s[16:17]
	v_add_u32_e32 v33, -1, v50
	v_and_b32_e32 v34, 64, v50
	v_cmp_lt_i32_e64 s[0:1], v33, v34
	v_cmp_eq_u32_e64 s[16:17], 0, v50
	s_nop 0
	v_cndmask_b32_e64 v33, v33, v50, s[0:1]
	v_lshlrev_b32_e32 v33, 2, v33
	ds_bpermute_b32 v44, v33, v32
	s_and_saveexec_b64 s[0:1], vcc
	s_cbranch_execz .LBB854_374
; %bb.352:
	v_mov_b32_e32 v41, 0
	ds_read_b32 v32, v41 offset:28
	s_and_saveexec_b64 s[26:27], s[16:17]
	s_cbranch_execz .LBB854_354
; %bb.353:
	s_add_i32 s36, s33, 64
	s_mov_b32 s37, 0
	s_lshl_b64 s[36:37], s[36:37], 3
	s_add_u32 s36, s38, s36
	v_mov_b32_e32 v33, 1
	s_addc_u32 s37, s39, s37
	s_waitcnt lgkmcnt(0)
	global_store_dwordx2 v41, v[32:33], s[36:37] sc1
.LBB854_354:
	s_or_b64 exec, exec, s[26:27]
	v_xad_u32 v34, v50, -1, s33
	v_add_u32_e32 v40, 64, v34
	v_lshl_add_u64 v[36:37], v[40:41], 3, s[38:39]
	global_load_dwordx2 v[38:39], v[36:37], off sc1
	s_waitcnt vmcnt(0)
	v_cmp_eq_u16_sdwa s[36:37], v39, v41 src0_sel:BYTE_0 src1_sel:DWORD
	s_and_saveexec_b64 s[26:27], s[36:37]
	s_cbranch_execz .LBB854_360
; %bb.355:
	s_mov_b32 s40, 1
	s_mov_b64 s[36:37], 0
	v_mov_b32_e32 v33, 0
.LBB854_356:                            ; =>This Loop Header: Depth=1
                                        ;     Child Loop BB854_357 Depth 2
	s_max_u32 s41, s40, 1
.LBB854_357:                            ;   Parent Loop BB854_356 Depth=1
                                        ; =>  This Inner Loop Header: Depth=2
	s_add_i32 s41, s41, -1
	s_cmp_eq_u32 s41, 0
	s_sleep 1
	s_cbranch_scc0 .LBB854_357
; %bb.358:                              ;   in Loop: Header=BB854_356 Depth=1
	global_load_dwordx2 v[38:39], v[36:37], off sc1
	s_cmp_lt_u32 s40, 32
	s_cselect_b64 s[42:43], -1, 0
	s_cmp_lg_u64 s[42:43], 0
	s_addc_u32 s40, s40, 0
	s_waitcnt vmcnt(0)
	v_cmp_ne_u16_sdwa s[42:43], v39, v33 src0_sel:BYTE_0 src1_sel:DWORD
	s_or_b64 s[36:37], s[42:43], s[36:37]
	s_andn2_b64 exec, exec, s[36:37]
	s_cbranch_execnz .LBB854_356
; %bb.359:
	s_or_b64 exec, exec, s[36:37]
.LBB854_360:
	s_or_b64 exec, exec, s[26:27]
	v_and_b32_e32 v46, 63, v50
	v_mov_b32_e32 v33, 2
	v_cmp_ne_u32_e32 vcc, 63, v46
	v_cmp_eq_u16_sdwa s[26:27], v39, v33 src0_sel:BYTE_0 src1_sel:DWORD
	v_lshlrev_b64 v[36:37], v50, -1
	v_addc_co_u32_e32 v41, vcc, 0, v50, vcc
	v_and_b32_e32 v35, s27, v37
	v_lshlrev_b32_e32 v53, 2, v41
	v_or_b32_e32 v35, 0x80000000, v35
	ds_bpermute_b32 v41, v53, v38
	v_and_b32_e32 v40, s26, v36
	v_ffbl_b32_e32 v35, v35
	v_add_u32_e32 v35, 32, v35
	v_ffbl_b32_e32 v40, v40
	v_min_u32_e32 v35, v40, v35
	v_cmp_lt_u32_e32 vcc, v46, v35
	v_add_u32_e32 v55, 2, v46
	v_add_u32_e32 v57, 4, v46
	s_waitcnt lgkmcnt(0)
	v_cndmask_b32_e32 v40, 0, v41, vcc
	v_cmp_gt_u32_e32 vcc, 62, v46
	v_add_u32_e32 v38, v40, v38
	v_add_u32_e32 v59, 8, v46
	v_cndmask_b32_e64 v40, 0, 1, vcc
	v_lshlrev_b32_e32 v40, 1, v40
	v_add_lshl_u32 v54, v40, v50, 2
	ds_bpermute_b32 v40, v54, v38
	v_cmp_le_u32_e32 vcc, v55, v35
	v_add_u32_e32 v62, 16, v46
	v_add_u32_e32 v64, 32, v46
	s_waitcnt lgkmcnt(0)
	v_cndmask_b32_e32 v40, 0, v40, vcc
	v_cmp_gt_u32_e32 vcc, 60, v46
	v_add_u32_e32 v38, v38, v40
	s_nop 0
	v_cndmask_b32_e64 v40, 0, 1, vcc
	v_lshlrev_b32_e32 v40, 2, v40
	v_add_lshl_u32 v56, v40, v50, 2
	ds_bpermute_b32 v40, v56, v38
	v_cmp_le_u32_e32 vcc, v57, v35
	s_waitcnt lgkmcnt(0)
	s_nop 0
	v_cndmask_b32_e32 v40, 0, v40, vcc
	v_cmp_gt_u32_e32 vcc, 56, v46
	v_add_u32_e32 v38, v38, v40
	s_nop 0
	v_cndmask_b32_e64 v40, 0, 1, vcc
	v_lshlrev_b32_e32 v40, 3, v40
	v_add_lshl_u32 v58, v40, v50, 2
	ds_bpermute_b32 v40, v58, v38
	v_cmp_le_u32_e32 vcc, v59, v35
	s_waitcnt lgkmcnt(0)
	s_nop 0
	;; [unrolled: 11-line block ×4, first 2 shown]
	v_cndmask_b32_e32 v35, 0, v40, vcc
	v_add_u32_e32 v38, v38, v35
	v_mov_b32_e32 v35, 0
	s_branch .LBB854_362
.LBB854_361:                            ;   in Loop: Header=BB854_362 Depth=1
	s_or_b64 exec, exec, s[26:27]
	v_cmp_eq_u16_sdwa s[26:27], v39, v33 src0_sel:BYTE_0 src1_sel:DWORD
	ds_bpermute_b32 v65, v53, v38
	v_subrev_u32_e32 v34, 64, v34
	v_and_b32_e32 v40, s27, v37
	v_or_b32_e32 v40, 0x80000000, v40
	v_and_b32_e32 v41, s26, v36
	v_ffbl_b32_e32 v40, v40
	v_add_u32_e32 v40, 32, v40
	v_ffbl_b32_e32 v41, v41
	v_min_u32_e32 v40, v41, v40
	v_cmp_lt_u32_e32 vcc, v46, v40
	s_waitcnt lgkmcnt(0)
	s_nop 0
	v_cndmask_b32_e32 v41, 0, v65, vcc
	v_add_u32_e32 v38, v41, v38
	ds_bpermute_b32 v41, v54, v38
	v_cmp_le_u32_e32 vcc, v55, v40
	s_waitcnt lgkmcnt(0)
	s_nop 0
	v_cndmask_b32_e32 v41, 0, v41, vcc
	v_add_u32_e32 v38, v38, v41
	ds_bpermute_b32 v41, v56, v38
	v_cmp_le_u32_e32 vcc, v57, v40
	;; [unrolled: 6-line block ×5, first 2 shown]
	s_waitcnt lgkmcnt(0)
	s_nop 0
	v_cndmask_b32_e32 v40, 0, v41, vcc
	v_add3_u32 v38, v40, v60, v38
.LBB854_362:                            ; =>This Loop Header: Depth=1
                                        ;     Child Loop BB854_365 Depth 2
                                        ;       Child Loop BB854_366 Depth 3
	v_cmp_ne_u16_sdwa s[26:27], v39, v33 src0_sel:BYTE_0 src1_sel:DWORD
	v_mov_b32_e32 v60, v38
	s_nop 0
	v_cndmask_b32_e64 v39, 0, 1, s[26:27]
	;;#ASMSTART
	;;#ASMEND
	s_nop 0
	v_cmp_ne_u32_e32 vcc, 0, v39
	s_cmp_lg_u64 vcc, exec
	s_cbranch_scc1 .LBB854_369
; %bb.363:                              ;   in Loop: Header=BB854_362 Depth=1
	v_lshl_add_u64 v[40:41], v[34:35], 3, s[38:39]
	global_load_dwordx2 v[38:39], v[40:41], off sc1
	s_waitcnt vmcnt(0)
	v_cmp_eq_u16_sdwa s[36:37], v39, v35 src0_sel:BYTE_0 src1_sel:DWORD
	s_and_saveexec_b64 s[26:27], s[36:37]
	s_cbranch_execz .LBB854_361
; %bb.364:                              ;   in Loop: Header=BB854_362 Depth=1
	s_mov_b32 s40, 1
	s_mov_b64 s[36:37], 0
.LBB854_365:                            ;   Parent Loop BB854_362 Depth=1
                                        ; =>  This Loop Header: Depth=2
                                        ;       Child Loop BB854_366 Depth 3
	s_max_u32 s41, s40, 1
.LBB854_366:                            ;   Parent Loop BB854_362 Depth=1
                                        ;     Parent Loop BB854_365 Depth=2
                                        ; =>    This Inner Loop Header: Depth=3
	s_add_i32 s41, s41, -1
	s_cmp_eq_u32 s41, 0
	s_sleep 1
	s_cbranch_scc0 .LBB854_366
; %bb.367:                              ;   in Loop: Header=BB854_365 Depth=2
	global_load_dwordx2 v[38:39], v[40:41], off sc1
	s_cmp_lt_u32 s40, 32
	s_cselect_b64 s[42:43], -1, 0
	s_cmp_lg_u64 s[42:43], 0
	s_addc_u32 s40, s40, 0
	s_waitcnt vmcnt(0)
	v_cmp_ne_u16_sdwa s[42:43], v39, v35 src0_sel:BYTE_0 src1_sel:DWORD
	s_or_b64 s[36:37], s[42:43], s[36:37]
	s_andn2_b64 exec, exec, s[36:37]
	s_cbranch_execnz .LBB854_365
; %bb.368:                              ;   in Loop: Header=BB854_362 Depth=1
	s_or_b64 exec, exec, s[36:37]
	s_branch .LBB854_361
.LBB854_369:                            ;   in Loop: Header=BB854_362 Depth=1
                                        ; implicit-def: $vgpr38
                                        ; implicit-def: $vgpr39
	s_cbranch_execz .LBB854_362
; %bb.370:
	s_and_saveexec_b64 s[26:27], s[16:17]
	s_cbranch_execz .LBB854_372
; %bb.371:
	s_add_i32 s36, s33, 64
	s_mov_b32 s37, 0
	s_lshl_b64 s[36:37], s[36:37], 3
	s_add_u32 s36, s38, s36
	v_add_u32_e32 v34, v60, v32
	v_mov_b32_e32 v35, 2
	s_addc_u32 s37, s39, s37
	v_mov_b32_e32 v33, 0
	s_movk_i32 s33, 0x7000
	global_store_dwordx2 v33, v[34:35], s[36:37] sc1
	v_add_u32_e64 v33, s33, 0
	ds_write2_b32 v33, v32, v60 offset1:2
.LBB854_372:
	s_or_b64 exec, exec, s[26:27]
	s_and_b64 exec, exec, s[18:19]
	s_cbranch_execz .LBB854_374
; %bb.373:
	v_mov_b32_e32 v32, 0
	ds_write_b32 v32, v60 offset:28
.LBB854_374:
	s_or_b64 exec, exec, s[0:1]
	v_mov_b32_e32 v32, 0
	s_waitcnt lgkmcnt(0)
	s_barrier
	ds_read_b32 v32, v32 offset:28
	v_cndmask_b32_e64 v33, v44, v42, s[16:17]
	v_cndmask_b32_e64 v33, v33, 0, s[18:19]
	s_movk_i32 s0, 0x7000
	s_waitcnt lgkmcnt(0)
	v_add_u32_e32 v46, v32, v33
	v_add_u32_e64 v32, s0, 0
	v_add_u32_e32 v44, v46, v1
	s_barrier
	ds_read2_b32 v[32:33], v32 offset1:2
	v_add_u32_e32 v42, v44, v43
	v_add_u32_e32 v40, v42, v45
	;; [unrolled: 1-line block ×5, first 2 shown]
	s_waitcnt lgkmcnt(0)
	v_readfirstlane_b32 s26, v32
	v_readfirstlane_b32 s16, v33
	v_lshrrev_b64 v[32:33], 24, v[30:31]
	s_branch .LBB854_385
.LBB854_375:
                                        ; implicit-def: $vgpr34
                                        ; implicit-def: $vgpr36
                                        ; implicit-def: $vgpr38
                                        ; implicit-def: $vgpr40
                                        ; implicit-def: $vgpr42
                                        ; implicit-def: $vgpr44
                                        ; implicit-def: $vgpr46
                                        ; implicit-def: $sgpr16
                                        ; implicit-def: $sgpr26
	v_lshrrev_b64 v[32:33], 24, v[30:31]
	s_cbranch_execz .LBB854_385
; %bb.376:
	s_nop 0
	v_mov_b32_dpp v33, v52 row_shr:1 row_mask:0xf bank_mask:0xf
	v_cndmask_b32_e64 v33, v33, 0, s[14:15]
	v_add_u32_e32 v33, v33, v52
	s_nop 1
	v_mov_b32_dpp v34, v33 row_shr:2 row_mask:0xf bank_mask:0xf
	v_cndmask_b32_e64 v34, 0, v34, s[12:13]
	v_add_u32_e32 v33, v33, v34
	;; [unrolled: 4-line block ×4, first 2 shown]
	s_nop 1
	v_mov_b32_dpp v34, v33 row_bcast:15 row_mask:0xf bank_mask:0xf
	v_cndmask_b32_e64 v34, v34, 0, s[6:7]
	v_add_u32_e32 v33, v33, v34
	s_nop 1
	v_mov_b32_dpp v34, v33 row_bcast:31 row_mask:0xf bank_mask:0xf
	v_cndmask_b32_e64 v34, 0, v34, s[2:3]
	v_add_u32_e32 v33, v33, v34
	s_and_saveexec_b64 s[0:1], s[4:5]
	s_cbranch_execz .LBB854_378
; %bb.377:
	v_lshlrev_b32_e32 v34, 2, v51
	ds_write_b32 v34, v33
.LBB854_378:
	s_or_b64 exec, exec, s[0:1]
	v_cmp_gt_u32_e32 vcc, 8, v0
	s_waitcnt lgkmcnt(0)
	s_barrier
	s_and_saveexec_b64 s[0:1], vcc
	s_cbranch_execz .LBB854_380
; %bb.379:
	v_lshlrev_b32_e32 v34, 2, v0
	ds_read_b32 v35, v34
	v_and_b32_e32 v36, 7, v50
	v_cmp_ne_u32_e32 vcc, 0, v36
	s_waitcnt lgkmcnt(0)
	v_mov_b32_dpp v37, v35 row_shr:1 row_mask:0xf bank_mask:0xf
	v_cndmask_b32_e32 v37, 0, v37, vcc
	v_add_u32_e32 v35, v37, v35
	v_cmp_lt_u32_e32 vcc, 1, v36
	s_nop 0
	v_mov_b32_dpp v37, v35 row_shr:2 row_mask:0xf bank_mask:0xf
	v_cndmask_b32_e32 v37, 0, v37, vcc
	v_add_u32_e32 v35, v35, v37
	v_cmp_lt_u32_e32 vcc, 3, v36
	s_nop 0
	v_mov_b32_dpp v37, v35 row_shr:4 row_mask:0xf bank_mask:0xf
	v_cndmask_b32_e32 v36, 0, v37, vcc
	v_add_u32_e32 v35, v35, v36
	ds_write_b32 v34, v35
.LBB854_380:
	s_or_b64 exec, exec, s[0:1]
	v_cmp_lt_u32_e32 vcc, 63, v0
	v_mov_b32_e32 v35, 0
	v_mov_b32_e32 v34, 0
	s_waitcnt lgkmcnt(0)
	s_barrier
	s_and_saveexec_b64 s[0:1], vcc
	s_cbranch_execz .LBB854_382
; %bb.381:
	v_lshl_add_u32 v34, v51, 2, -4
	ds_read_b32 v34, v34
.LBB854_382:
	s_or_b64 exec, exec, s[0:1]
	v_add_u32_e32 v36, -1, v50
	v_and_b32_e32 v37, 64, v50
	v_cmp_lt_i32_e32 vcc, v36, v37
	s_waitcnt lgkmcnt(0)
	v_add_u32_e32 v33, v34, v33
	ds_read_b32 v35, v35 offset:28
	v_cndmask_b32_e32 v36, v36, v50, vcc
	v_lshlrev_b32_e32 v36, 2, v36
	ds_bpermute_b32 v33, v36, v33
	s_waitcnt lgkmcnt(1)
	v_readfirstlane_b32 s26, v35
	s_and_saveexec_b64 s[0:1], s[18:19]
	s_cbranch_execz .LBB854_384
; %bb.383:
	v_mov_b32_e32 v35, 0
	v_mov_b32_e32 v36, s26
	;; [unrolled: 1-line block ×3, first 2 shown]
	global_store_dwordx2 v35, v[36:37], s[38:39] offset:512 sc1
.LBB854_384:
	s_or_b64 exec, exec, s[0:1]
	v_cmp_eq_u32_e32 vcc, 0, v50
	s_mov_b32 s16, 0
	s_waitcnt lgkmcnt(0)
	v_cndmask_b32_e32 v33, v33, v34, vcc
	v_cndmask_b32_e64 v46, v33, 0, s[18:19]
	v_add_u32_e32 v44, v46, v1
	v_add_u32_e32 v42, v44, v43
	;; [unrolled: 1-line block ×6, first 2 shown]
	s_barrier
.LBB854_385:
	s_cmpk_lt_u32 s26, 0x201
	s_cselect_b64 s[2:3], -1, 0
	v_lshrrev_b32_e32 v33, 8, v30
	v_lshrrev_b32_e32 v1, 8, v31
	s_mov_b64 s[0:1], -1
	s_and_b64 vcc, exec, s[2:3]
	s_cbranch_vccz .LBB854_408
; %bb.386:
	s_add_i32 s4, s16, s26
	v_cmp_gt_u32_e32 vcc, s4, v46
	s_or_b64 s[6:7], s[34:35], vcc
	s_and_saveexec_b64 s[0:1], s[6:7]
	s_cbranch_execz .LBB854_389
; %bb.387:
	v_and_b32_e32 v35, 1, v30
	v_cmp_eq_u32_e32 vcc, 1, v35
	s_and_b64 exec, exec, vcc
	s_cbranch_execz .LBB854_389
; %bb.388:
	s_lshl_b64 s[6:7], s[22:23], 3
	s_add_u32 s6, s28, s6
	s_addc_u32 s7, s29, s7
	v_mov_b32_e32 v47, 0
	v_lshl_add_u64 v[48:49], v[46:47], 3, s[6:7]
	global_store_dwordx2 v[48:49], v[22:23], off
.LBB854_389:
	s_or_b64 exec, exec, s[0:1]
	v_cmp_gt_u32_e32 vcc, s4, v44
	s_or_b64 s[6:7], s[34:35], vcc
	s_and_saveexec_b64 s[0:1], s[6:7]
	s_cbranch_execz .LBB854_392
; %bb.390:
	v_and_b32_e32 v35, 1, v33
	v_cmp_eq_u32_e32 vcc, 1, v35
	s_and_b64 exec, exec, vcc
	s_cbranch_execz .LBB854_392
; %bb.391:
	s_lshl_b64 s[6:7], s[22:23], 3
	s_add_u32 s6, s28, s6
	s_addc_u32 s7, s29, s7
	v_mov_b32_e32 v45, 0
	v_lshl_add_u64 v[48:49], v[44:45], 3, s[6:7]
	global_store_dwordx2 v[48:49], v[24:25], off
.LBB854_392:
	s_or_b64 exec, exec, s[0:1]
	v_cmp_gt_u32_e32 vcc, s4, v42
	s_or_b64 s[6:7], s[34:35], vcc
	s_and_saveexec_b64 s[0:1], s[6:7]
	s_cbranch_execz .LBB854_395
; %bb.393:
	v_mov_b32_e32 v35, 1
	v_and_b32_sdwa v35, v35, v30 dst_sel:DWORD dst_unused:UNUSED_PAD src0_sel:DWORD src1_sel:WORD_1
	v_cmp_eq_u32_e32 vcc, 1, v35
	s_and_b64 exec, exec, vcc
	s_cbranch_execz .LBB854_395
; %bb.394:
	s_lshl_b64 s[6:7], s[22:23], 3
	s_add_u32 s6, s28, s6
	s_addc_u32 s7, s29, s7
	v_mov_b32_e32 v43, 0
	v_lshl_add_u64 v[48:49], v[42:43], 3, s[6:7]
	global_store_dwordx2 v[48:49], v[18:19], off
.LBB854_395:
	s_or_b64 exec, exec, s[0:1]
	v_cmp_gt_u32_e32 vcc, s4, v40
	s_or_b64 s[6:7], s[34:35], vcc
	s_and_saveexec_b64 s[0:1], s[6:7]
	s_cbranch_execz .LBB854_398
; %bb.396:
	v_and_b32_e32 v35, 1, v32
	v_cmp_eq_u32_e32 vcc, 1, v35
	s_and_b64 exec, exec, vcc
	s_cbranch_execz .LBB854_398
; %bb.397:
	s_lshl_b64 s[6:7], s[22:23], 3
	s_add_u32 s6, s28, s6
	s_addc_u32 s7, s29, s7
	v_mov_b32_e32 v41, 0
	v_lshl_add_u64 v[48:49], v[40:41], 3, s[6:7]
	global_store_dwordx2 v[48:49], v[20:21], off
.LBB854_398:
	s_or_b64 exec, exec, s[0:1]
	v_cmp_gt_u32_e32 vcc, s4, v38
	s_or_b64 s[6:7], s[34:35], vcc
	s_and_saveexec_b64 s[0:1], s[6:7]
	s_cbranch_execz .LBB854_401
; %bb.399:
	v_and_b32_e32 v35, 1, v31
	v_cmp_eq_u32_e32 vcc, 1, v35
	s_and_b64 exec, exec, vcc
	s_cbranch_execz .LBB854_401
; %bb.400:
	s_lshl_b64 s[6:7], s[22:23], 3
	s_add_u32 s6, s28, s6
	s_addc_u32 s7, s29, s7
	v_mov_b32_e32 v39, 0
	v_lshl_add_u64 v[48:49], v[38:39], 3, s[6:7]
	global_store_dwordx2 v[48:49], v[14:15], off
.LBB854_401:
	;; [unrolled: 18-line block ×3, first 2 shown]
	s_or_b64 exec, exec, s[0:1]
	v_cmp_gt_u32_e32 vcc, s4, v34
	s_or_b64 s[4:5], s[34:35], vcc
	s_and_saveexec_b64 s[0:1], s[4:5]
	s_cbranch_execz .LBB854_407
; %bb.405:
	v_mov_b32_e32 v35, 1
	v_and_b32_sdwa v35, v35, v31 dst_sel:DWORD dst_unused:UNUSED_PAD src0_sel:DWORD src1_sel:WORD_1
	v_cmp_eq_u32_e32 vcc, 1, v35
	s_and_b64 exec, exec, vcc
	s_cbranch_execz .LBB854_407
; %bb.406:
	s_lshl_b64 s[4:5], s[22:23], 3
	s_add_u32 s4, s28, s4
	s_addc_u32 s5, s29, s5
	v_mov_b32_e32 v35, 0
	v_lshl_add_u64 v[48:49], v[34:35], 3, s[4:5]
	global_store_dwordx2 v[48:49], v[28:29], off
.LBB854_407:
	s_or_b64 exec, exec, s[0:1]
	s_mov_b64 s[0:1], 0
.LBB854_408:
	v_and_b32_e32 v48, 1, v30
	s_and_b64 vcc, exec, s[0:1]
	v_cmp_eq_u32_e64 s[0:1], 1, v48
	s_cbranch_vccz .LBB854_427
; %bb.409:
	s_and_saveexec_b64 s[4:5], s[0:1]
	s_cbranch_execz .LBB854_411
; %bb.410:
	v_subrev_u32_e32 v35, s16, v46
	v_lshlrev_b32_e32 v35, 3, v35
	ds_write_b64 v35, v[22:23]
.LBB854_411:
	s_or_b64 exec, exec, s[4:5]
	v_and_b32_e32 v22, 1, v33
	v_cmp_eq_u32_e32 vcc, 1, v22
	s_and_saveexec_b64 s[0:1], vcc
	s_cbranch_execz .LBB854_413
; %bb.412:
	v_subrev_u32_e32 v22, s16, v44
	v_lshlrev_b32_e32 v22, 3, v22
	ds_write_b64 v22, v[24:25]
.LBB854_413:
	s_or_b64 exec, exec, s[0:1]
	v_mov_b32_e32 v22, 1
	v_and_b32_sdwa v22, v22, v30 dst_sel:DWORD dst_unused:UNUSED_PAD src0_sel:DWORD src1_sel:WORD_1
	v_cmp_eq_u32_e32 vcc, 1, v22
	s_and_saveexec_b64 s[0:1], vcc
	s_cbranch_execz .LBB854_415
; %bb.414:
	v_subrev_u32_e32 v22, s16, v42
	v_lshlrev_b32_e32 v22, 3, v22
	ds_write_b64 v22, v[18:19]
.LBB854_415:
	s_or_b64 exec, exec, s[0:1]
	v_and_b32_e32 v18, 1, v32
	v_cmp_eq_u32_e32 vcc, 1, v18
	s_and_saveexec_b64 s[0:1], vcc
	s_cbranch_execz .LBB854_417
; %bb.416:
	v_subrev_u32_e32 v18, s16, v40
	v_lshlrev_b32_e32 v18, 3, v18
	ds_write_b64 v18, v[20:21]
.LBB854_417:
	s_or_b64 exec, exec, s[0:1]
	v_and_b32_e32 v18, 1, v31
	;; [unrolled: 10-line block ×3, first 2 shown]
	v_cmp_eq_u32_e32 vcc, 1, v14
	s_and_saveexec_b64 s[0:1], vcc
	s_cbranch_execz .LBB854_421
; %bb.420:
	v_subrev_u32_e32 v14, s16, v36
	v_lshlrev_b32_e32 v14, 3, v14
	ds_write_b64 v14, v[16:17]
.LBB854_421:
	s_or_b64 exec, exec, s[0:1]
	v_mov_b32_e32 v14, 1
	v_and_b32_sdwa v14, v14, v31 dst_sel:DWORD dst_unused:UNUSED_PAD src0_sel:DWORD src1_sel:WORD_1
	v_cmp_eq_u32_e32 vcc, 1, v14
	s_and_saveexec_b64 s[0:1], vcc
	s_cbranch_execz .LBB854_423
; %bb.422:
	v_subrev_u32_e32 v14, s16, v34
	v_lshlrev_b32_e32 v14, 3, v14
	ds_write_b64 v14, v[28:29]
.LBB854_423:
	s_or_b64 exec, exec, s[0:1]
	v_cmp_gt_u32_e32 vcc, s26, v0
	s_waitcnt lgkmcnt(0)
	s_barrier
	s_and_saveexec_b64 s[0:1], vcc
	s_cbranch_execz .LBB854_426
; %bb.424:
	s_mov_b32 s17, 0
	s_lshl_b64 s[4:5], s[22:23], 3
	s_lshl_b64 s[6:7], s[16:17], 3
	s_add_u32 s4, s4, s6
	s_addc_u32 s5, s5, s7
	s_add_u32 s4, s28, s4
	v_lshlrev_b32_e32 v14, 3, v0
	v_mov_b32_e32 v15, 0
	s_addc_u32 s5, s29, s5
	v_lshl_add_u64 v[16:17], s[4:5], 0, v[14:15]
	s_mov_b64 s[4:5], 0
	s_mov_b64 s[6:7], 0x1000
	v_mov_b32_e32 v15, v0
.LBB854_425:                            ; =>This Inner Loop Header: Depth=1
	ds_read_b64 v[18:19], v14
	v_add_u32_e32 v15, 0x200, v15
	v_cmp_le_u32_e32 vcc, s26, v15
	v_add_u32_e32 v14, 0x1000, v14
	s_or_b64 s[4:5], vcc, s[4:5]
	s_waitcnt lgkmcnt(0)
	global_store_dwordx2 v[16:17], v[18:19], off
	v_lshl_add_u64 v[16:17], v[16:17], 0, s[6:7]
	s_andn2_b64 exec, exec, s[4:5]
	s_cbranch_execnz .LBB854_425
.LBB854_426:
	s_or_b64 exec, exec, s[0:1]
.LBB854_427:
	s_mov_b64 s[0:1], -1
	s_and_b64 vcc, exec, s[2:3]
	s_barrier
	s_cbranch_vccnz .LBB854_431
; %bb.428:
	s_and_b64 vcc, exec, s[0:1]
	s_cbranch_vccnz .LBB854_453
.LBB854_429:
	s_and_b64 s[0:1], s[18:19], s[24:25]
	s_and_saveexec_b64 s[2:3], s[0:1]
	s_cbranch_execnz .LBB854_471
.LBB854_430:
	s_endpgm
.LBB854_431:
	s_add_i32 s2, s16, s26
	v_cmp_gt_u32_e32 vcc, s2, v46
	s_or_b64 s[4:5], s[34:35], vcc
	s_and_saveexec_b64 s[0:1], s[4:5]
	s_cbranch_execz .LBB854_434
; %bb.432:
	v_cmp_eq_u32_e32 vcc, 1, v48
	s_and_b64 exec, exec, vcc
	s_cbranch_execz .LBB854_434
; %bb.433:
	s_lshl_b64 s[4:5], s[22:23], 3
	s_add_u32 s4, s30, s4
	s_addc_u32 s5, s31, s5
	v_mov_b32_e32 v47, 0
	v_lshl_add_u64 v[14:15], v[46:47], 3, s[4:5]
	global_store_dwordx2 v[14:15], v[10:11], off
.LBB854_434:
	s_or_b64 exec, exec, s[0:1]
	v_cmp_gt_u32_e32 vcc, s2, v44
	s_or_b64 s[4:5], s[34:35], vcc
	s_and_saveexec_b64 s[0:1], s[4:5]
	s_cbranch_execz .LBB854_437
; %bb.435:
	v_and_b32_e32 v14, 1, v33
	v_cmp_eq_u32_e32 vcc, 1, v14
	s_and_b64 exec, exec, vcc
	s_cbranch_execz .LBB854_437
; %bb.436:
	s_lshl_b64 s[4:5], s[22:23], 3
	s_add_u32 s4, s30, s4
	s_addc_u32 s5, s31, s5
	v_mov_b32_e32 v45, 0
	v_lshl_add_u64 v[14:15], v[44:45], 3, s[4:5]
	global_store_dwordx2 v[14:15], v[12:13], off
.LBB854_437:
	s_or_b64 exec, exec, s[0:1]
	v_cmp_gt_u32_e32 vcc, s2, v42
	s_or_b64 s[4:5], s[34:35], vcc
	s_and_saveexec_b64 s[0:1], s[4:5]
	s_cbranch_execz .LBB854_440
; %bb.438:
	v_mov_b32_e32 v14, 1
	v_and_b32_sdwa v14, v14, v30 dst_sel:DWORD dst_unused:UNUSED_PAD src0_sel:DWORD src1_sel:WORD_1
	v_cmp_eq_u32_e32 vcc, 1, v14
	s_and_b64 exec, exec, vcc
	s_cbranch_execz .LBB854_440
; %bb.439:
	s_lshl_b64 s[4:5], s[22:23], 3
	s_add_u32 s4, s30, s4
	s_addc_u32 s5, s31, s5
	v_mov_b32_e32 v43, 0
	v_lshl_add_u64 v[14:15], v[42:43], 3, s[4:5]
	global_store_dwordx2 v[14:15], v[6:7], off
.LBB854_440:
	s_or_b64 exec, exec, s[0:1]
	v_cmp_gt_u32_e32 vcc, s2, v40
	s_or_b64 s[4:5], s[34:35], vcc
	s_and_saveexec_b64 s[0:1], s[4:5]
	s_cbranch_execz .LBB854_443
; %bb.441:
	v_and_b32_e32 v14, 1, v32
	v_cmp_eq_u32_e32 vcc, 1, v14
	s_and_b64 exec, exec, vcc
	s_cbranch_execz .LBB854_443
; %bb.442:
	s_lshl_b64 s[4:5], s[22:23], 3
	s_add_u32 s4, s30, s4
	s_addc_u32 s5, s31, s5
	v_mov_b32_e32 v41, 0
	v_lshl_add_u64 v[14:15], v[40:41], 3, s[4:5]
	global_store_dwordx2 v[14:15], v[8:9], off
.LBB854_443:
	s_or_b64 exec, exec, s[0:1]
	v_cmp_gt_u32_e32 vcc, s2, v38
	s_or_b64 s[4:5], s[34:35], vcc
	s_and_saveexec_b64 s[0:1], s[4:5]
	s_cbranch_execz .LBB854_446
; %bb.444:
	v_and_b32_e32 v14, 1, v31
	v_cmp_eq_u32_e32 vcc, 1, v14
	s_and_b64 exec, exec, vcc
	s_cbranch_execz .LBB854_446
; %bb.445:
	s_lshl_b64 s[4:5], s[22:23], 3
	s_add_u32 s4, s30, s4
	s_addc_u32 s5, s31, s5
	v_mov_b32_e32 v39, 0
	v_lshl_add_u64 v[14:15], v[38:39], 3, s[4:5]
	global_store_dwordx2 v[14:15], v[2:3], off
.LBB854_446:
	s_or_b64 exec, exec, s[0:1]
	v_cmp_gt_u32_e32 vcc, s2, v36
	s_or_b64 s[4:5], s[34:35], vcc
	s_and_saveexec_b64 s[0:1], s[4:5]
	s_cbranch_execz .LBB854_449
; %bb.447:
	v_and_b32_e32 v14, 1, v1
	v_cmp_eq_u32_e32 vcc, 1, v14
	s_and_b64 exec, exec, vcc
	s_cbranch_execz .LBB854_449
; %bb.448:
	s_lshl_b64 s[4:5], s[22:23], 3
	s_add_u32 s4, s30, s4
	s_addc_u32 s5, s31, s5
	v_mov_b32_e32 v37, 0
	v_lshl_add_u64 v[14:15], v[36:37], 3, s[4:5]
	global_store_dwordx2 v[14:15], v[4:5], off
.LBB854_449:
	s_or_b64 exec, exec, s[0:1]
	v_cmp_gt_u32_e32 vcc, s2, v34
	s_or_b64 s[2:3], s[34:35], vcc
	s_and_saveexec_b64 s[0:1], s[2:3]
	s_cbranch_execz .LBB854_452
; %bb.450:
	v_mov_b32_e32 v14, 1
	v_and_b32_sdwa v14, v14, v31 dst_sel:DWORD dst_unused:UNUSED_PAD src0_sel:DWORD src1_sel:WORD_1
	v_cmp_eq_u32_e32 vcc, 1, v14
	s_and_b64 exec, exec, vcc
	s_cbranch_execz .LBB854_452
; %bb.451:
	s_lshl_b64 s[2:3], s[22:23], 3
	s_add_u32 s2, s30, s2
	s_addc_u32 s3, s31, s3
	v_mov_b32_e32 v35, 0
	v_lshl_add_u64 v[14:15], v[34:35], 3, s[2:3]
	global_store_dwordx2 v[14:15], v[26:27], off
.LBB854_452:
	s_or_b64 exec, exec, s[0:1]
	s_branch .LBB854_429
.LBB854_453:
	v_cmp_eq_u32_e32 vcc, 1, v48
	s_and_saveexec_b64 s[0:1], vcc
	s_cbranch_execz .LBB854_455
; %bb.454:
	v_subrev_u32_e32 v14, s16, v46
	v_lshlrev_b32_e32 v14, 3, v14
	ds_write_b64 v14, v[10:11]
.LBB854_455:
	s_or_b64 exec, exec, s[0:1]
	v_and_b32_e32 v10, 1, v33
	v_cmp_eq_u32_e32 vcc, 1, v10
	s_and_saveexec_b64 s[0:1], vcc
	s_cbranch_execz .LBB854_457
; %bb.456:
	v_subrev_u32_e32 v10, s16, v44
	v_lshlrev_b32_e32 v10, 3, v10
	ds_write_b64 v10, v[12:13]
.LBB854_457:
	s_or_b64 exec, exec, s[0:1]
	v_mov_b32_e32 v10, 1
	v_and_b32_sdwa v10, v10, v30 dst_sel:DWORD dst_unused:UNUSED_PAD src0_sel:DWORD src1_sel:WORD_1
	v_cmp_eq_u32_e32 vcc, 1, v10
	s_and_saveexec_b64 s[0:1], vcc
	s_cbranch_execz .LBB854_459
; %bb.458:
	v_subrev_u32_e32 v10, s16, v42
	v_lshlrev_b32_e32 v10, 3, v10
	ds_write_b64 v10, v[6:7]
.LBB854_459:
	s_or_b64 exec, exec, s[0:1]
	v_and_b32_e32 v6, 1, v32
	v_cmp_eq_u32_e32 vcc, 1, v6
	s_and_saveexec_b64 s[0:1], vcc
	s_cbranch_execz .LBB854_461
; %bb.460:
	v_subrev_u32_e32 v6, s16, v40
	v_lshlrev_b32_e32 v6, 3, v6
	ds_write_b64 v6, v[8:9]
.LBB854_461:
	s_or_b64 exec, exec, s[0:1]
	v_and_b32_e32 v6, 1, v31
	;; [unrolled: 10-line block ×3, first 2 shown]
	v_cmp_eq_u32_e32 vcc, 1, v1
	s_and_saveexec_b64 s[0:1], vcc
	s_cbranch_execz .LBB854_465
; %bb.464:
	v_subrev_u32_e32 v1, s16, v36
	v_lshlrev_b32_e32 v1, 3, v1
	ds_write_b64 v1, v[4:5]
.LBB854_465:
	s_or_b64 exec, exec, s[0:1]
	v_mov_b32_e32 v1, 1
	v_and_b32_sdwa v1, v1, v31 dst_sel:DWORD dst_unused:UNUSED_PAD src0_sel:DWORD src1_sel:WORD_1
	v_cmp_eq_u32_e32 vcc, 1, v1
	s_and_saveexec_b64 s[0:1], vcc
	s_cbranch_execz .LBB854_467
; %bb.466:
	v_subrev_u32_e32 v1, s16, v34
	v_lshlrev_b32_e32 v1, 3, v1
	ds_write_b64 v1, v[26:27]
.LBB854_467:
	s_or_b64 exec, exec, s[0:1]
	v_cmp_gt_u32_e32 vcc, s26, v0
	s_waitcnt lgkmcnt(0)
	s_barrier
	s_and_saveexec_b64 s[0:1], vcc
	s_cbranch_execz .LBB854_470
; %bb.468:
	s_mov_b32 s17, 0
	s_lshl_b64 s[2:3], s[22:23], 3
	s_lshl_b64 s[4:5], s[16:17], 3
	s_add_u32 s2, s2, s4
	s_addc_u32 s3, s3, s5
	s_add_u32 s2, s30, s2
	v_lshlrev_b32_e32 v2, 3, v0
	v_mov_b32_e32 v3, 0
	s_addc_u32 s3, s31, s3
	v_lshl_add_u64 v[4:5], s[2:3], 0, v[2:3]
	s_mov_b64 s[2:3], 0
	s_mov_b64 s[4:5], 0x1000
.LBB854_469:                            ; =>This Inner Loop Header: Depth=1
	ds_read_b64 v[6:7], v2
	v_add_u32_e32 v0, 0x200, v0
	v_cmp_le_u32_e32 vcc, s26, v0
	v_add_u32_e32 v2, 0x1000, v2
	s_or_b64 s[2:3], vcc, s[2:3]
	s_waitcnt lgkmcnt(0)
	global_store_dwordx2 v[4:5], v[6:7], off
	v_lshl_add_u64 v[4:5], v[4:5], 0, s[4:5]
	s_andn2_b64 exec, exec, s[2:3]
	s_cbranch_execnz .LBB854_469
.LBB854_470:
	s_or_b64 exec, exec, s[0:1]
	s_and_b64 s[0:1], s[18:19], s[24:25]
	s_and_saveexec_b64 s[2:3], s[0:1]
	s_cbranch_execz .LBB854_430
.LBB854_471:
	s_add_u32 s0, s22, s26
	s_addc_u32 s1, s23, 0
	s_add_u32 s0, s0, s16
	s_addc_u32 s1, s1, 0
	v_mov_b32_e32 v2, 0
	v_mov_b64_e32 v[0:1], s[0:1]
	global_store_dwordx2 v2, v[0:1], s[20:21]
	s_endpgm
	.section	.rodata,"a",@progbits
	.p2align	6, 0x0
	.amdhsa_kernel _ZN7rocprim17ROCPRIM_400000_NS6detail17trampoline_kernelINS0_14default_configENS1_25partition_config_selectorILNS1_17partition_subalgoE9EllbEEZZNS1_14partition_implILS5_9ELb0ES3_jPlS8_PNS0_10empty_typeENS0_5tupleIJS8_S9_EEENSB_IJS8_SA_EEENS0_18inequality_wrapperIZN2at6native12_GLOBAL__N_124unique_dim_cuda_templateIdEESt5tupleIJNSF_6TensorESK_SK_EERKSK_lbbbEUlllE0_EEPmJS9_EEE10hipError_tPvRmT3_T4_T5_T6_T7_T9_mT8_P12ihipStream_tbDpT10_ENKUlT_T0_E_clISt17integral_constantIbLb1EES1A_EEDaS15_S16_EUlS15_E_NS1_11comp_targetILNS1_3genE5ELNS1_11target_archE942ELNS1_3gpuE9ELNS1_3repE0EEENS1_30default_config_static_selectorELNS0_4arch9wavefront6targetE1EEEvT1_
		.amdhsa_group_segment_fixed_size 28684
		.amdhsa_private_segment_fixed_size 0
		.amdhsa_kernarg_size 136
		.amdhsa_user_sgpr_count 2
		.amdhsa_user_sgpr_dispatch_ptr 0
		.amdhsa_user_sgpr_queue_ptr 0
		.amdhsa_user_sgpr_kernarg_segment_ptr 1
		.amdhsa_user_sgpr_dispatch_id 0
		.amdhsa_user_sgpr_kernarg_preload_length 0
		.amdhsa_user_sgpr_kernarg_preload_offset 0
		.amdhsa_user_sgpr_private_segment_size 0
		.amdhsa_uses_dynamic_stack 0
		.amdhsa_enable_private_segment 0
		.amdhsa_system_sgpr_workgroup_id_x 1
		.amdhsa_system_sgpr_workgroup_id_y 0
		.amdhsa_system_sgpr_workgroup_id_z 0
		.amdhsa_system_sgpr_workgroup_info 0
		.amdhsa_system_vgpr_workitem_id 0
		.amdhsa_next_free_vgpr 66
		.amdhsa_next_free_sgpr 58
		.amdhsa_accum_offset 68
		.amdhsa_reserve_vcc 1
		.amdhsa_float_round_mode_32 0
		.amdhsa_float_round_mode_16_64 0
		.amdhsa_float_denorm_mode_32 3
		.amdhsa_float_denorm_mode_16_64 3
		.amdhsa_dx10_clamp 1
		.amdhsa_ieee_mode 1
		.amdhsa_fp16_overflow 0
		.amdhsa_tg_split 0
		.amdhsa_exception_fp_ieee_invalid_op 0
		.amdhsa_exception_fp_denorm_src 0
		.amdhsa_exception_fp_ieee_div_zero 0
		.amdhsa_exception_fp_ieee_overflow 0
		.amdhsa_exception_fp_ieee_underflow 0
		.amdhsa_exception_fp_ieee_inexact 0
		.amdhsa_exception_int_div_zero 0
	.end_amdhsa_kernel
	.section	.text._ZN7rocprim17ROCPRIM_400000_NS6detail17trampoline_kernelINS0_14default_configENS1_25partition_config_selectorILNS1_17partition_subalgoE9EllbEEZZNS1_14partition_implILS5_9ELb0ES3_jPlS8_PNS0_10empty_typeENS0_5tupleIJS8_S9_EEENSB_IJS8_SA_EEENS0_18inequality_wrapperIZN2at6native12_GLOBAL__N_124unique_dim_cuda_templateIdEESt5tupleIJNSF_6TensorESK_SK_EERKSK_lbbbEUlllE0_EEPmJS9_EEE10hipError_tPvRmT3_T4_T5_T6_T7_T9_mT8_P12ihipStream_tbDpT10_ENKUlT_T0_E_clISt17integral_constantIbLb1EES1A_EEDaS15_S16_EUlS15_E_NS1_11comp_targetILNS1_3genE5ELNS1_11target_archE942ELNS1_3gpuE9ELNS1_3repE0EEENS1_30default_config_static_selectorELNS0_4arch9wavefront6targetE1EEEvT1_,"axG",@progbits,_ZN7rocprim17ROCPRIM_400000_NS6detail17trampoline_kernelINS0_14default_configENS1_25partition_config_selectorILNS1_17partition_subalgoE9EllbEEZZNS1_14partition_implILS5_9ELb0ES3_jPlS8_PNS0_10empty_typeENS0_5tupleIJS8_S9_EEENSB_IJS8_SA_EEENS0_18inequality_wrapperIZN2at6native12_GLOBAL__N_124unique_dim_cuda_templateIdEESt5tupleIJNSF_6TensorESK_SK_EERKSK_lbbbEUlllE0_EEPmJS9_EEE10hipError_tPvRmT3_T4_T5_T6_T7_T9_mT8_P12ihipStream_tbDpT10_ENKUlT_T0_E_clISt17integral_constantIbLb1EES1A_EEDaS15_S16_EUlS15_E_NS1_11comp_targetILNS1_3genE5ELNS1_11target_archE942ELNS1_3gpuE9ELNS1_3repE0EEENS1_30default_config_static_selectorELNS0_4arch9wavefront6targetE1EEEvT1_,comdat
.Lfunc_end854:
	.size	_ZN7rocprim17ROCPRIM_400000_NS6detail17trampoline_kernelINS0_14default_configENS1_25partition_config_selectorILNS1_17partition_subalgoE9EllbEEZZNS1_14partition_implILS5_9ELb0ES3_jPlS8_PNS0_10empty_typeENS0_5tupleIJS8_S9_EEENSB_IJS8_SA_EEENS0_18inequality_wrapperIZN2at6native12_GLOBAL__N_124unique_dim_cuda_templateIdEESt5tupleIJNSF_6TensorESK_SK_EERKSK_lbbbEUlllE0_EEPmJS9_EEE10hipError_tPvRmT3_T4_T5_T6_T7_T9_mT8_P12ihipStream_tbDpT10_ENKUlT_T0_E_clISt17integral_constantIbLb1EES1A_EEDaS15_S16_EUlS15_E_NS1_11comp_targetILNS1_3genE5ELNS1_11target_archE942ELNS1_3gpuE9ELNS1_3repE0EEENS1_30default_config_static_selectorELNS0_4arch9wavefront6targetE1EEEvT1_, .Lfunc_end854-_ZN7rocprim17ROCPRIM_400000_NS6detail17trampoline_kernelINS0_14default_configENS1_25partition_config_selectorILNS1_17partition_subalgoE9EllbEEZZNS1_14partition_implILS5_9ELb0ES3_jPlS8_PNS0_10empty_typeENS0_5tupleIJS8_S9_EEENSB_IJS8_SA_EEENS0_18inequality_wrapperIZN2at6native12_GLOBAL__N_124unique_dim_cuda_templateIdEESt5tupleIJNSF_6TensorESK_SK_EERKSK_lbbbEUlllE0_EEPmJS9_EEE10hipError_tPvRmT3_T4_T5_T6_T7_T9_mT8_P12ihipStream_tbDpT10_ENKUlT_T0_E_clISt17integral_constantIbLb1EES1A_EEDaS15_S16_EUlS15_E_NS1_11comp_targetILNS1_3genE5ELNS1_11target_archE942ELNS1_3gpuE9ELNS1_3repE0EEENS1_30default_config_static_selectorELNS0_4arch9wavefront6targetE1EEEvT1_
                                        ; -- End function
	.section	.AMDGPU.csdata,"",@progbits
; Kernel info:
; codeLenInByte = 14564
; NumSgprs: 64
; NumVgprs: 66
; NumAgprs: 0
; TotalNumVgprs: 66
; ScratchSize: 0
; MemoryBound: 1
; FloatMode: 240
; IeeeMode: 1
; LDSByteSize: 28684 bytes/workgroup (compile time only)
; SGPRBlocks: 7
; VGPRBlocks: 8
; NumSGPRsForWavesPerEU: 64
; NumVGPRsForWavesPerEU: 66
; AccumOffset: 68
; Occupancy: 4
; WaveLimiterHint : 1
; COMPUTE_PGM_RSRC2:SCRATCH_EN: 0
; COMPUTE_PGM_RSRC2:USER_SGPR: 2
; COMPUTE_PGM_RSRC2:TRAP_HANDLER: 0
; COMPUTE_PGM_RSRC2:TGID_X_EN: 1
; COMPUTE_PGM_RSRC2:TGID_Y_EN: 0
; COMPUTE_PGM_RSRC2:TGID_Z_EN: 0
; COMPUTE_PGM_RSRC2:TIDIG_COMP_CNT: 0
; COMPUTE_PGM_RSRC3_GFX90A:ACCUM_OFFSET: 16
; COMPUTE_PGM_RSRC3_GFX90A:TG_SPLIT: 0
	.section	.text._ZN7rocprim17ROCPRIM_400000_NS6detail17trampoline_kernelINS0_14default_configENS1_25partition_config_selectorILNS1_17partition_subalgoE9EllbEEZZNS1_14partition_implILS5_9ELb0ES3_jPlS8_PNS0_10empty_typeENS0_5tupleIJS8_S9_EEENSB_IJS8_SA_EEENS0_18inequality_wrapperIZN2at6native12_GLOBAL__N_124unique_dim_cuda_templateIdEESt5tupleIJNSF_6TensorESK_SK_EERKSK_lbbbEUlllE0_EEPmJS9_EEE10hipError_tPvRmT3_T4_T5_T6_T7_T9_mT8_P12ihipStream_tbDpT10_ENKUlT_T0_E_clISt17integral_constantIbLb1EES1A_EEDaS15_S16_EUlS15_E_NS1_11comp_targetILNS1_3genE4ELNS1_11target_archE910ELNS1_3gpuE8ELNS1_3repE0EEENS1_30default_config_static_selectorELNS0_4arch9wavefront6targetE1EEEvT1_,"axG",@progbits,_ZN7rocprim17ROCPRIM_400000_NS6detail17trampoline_kernelINS0_14default_configENS1_25partition_config_selectorILNS1_17partition_subalgoE9EllbEEZZNS1_14partition_implILS5_9ELb0ES3_jPlS8_PNS0_10empty_typeENS0_5tupleIJS8_S9_EEENSB_IJS8_SA_EEENS0_18inequality_wrapperIZN2at6native12_GLOBAL__N_124unique_dim_cuda_templateIdEESt5tupleIJNSF_6TensorESK_SK_EERKSK_lbbbEUlllE0_EEPmJS9_EEE10hipError_tPvRmT3_T4_T5_T6_T7_T9_mT8_P12ihipStream_tbDpT10_ENKUlT_T0_E_clISt17integral_constantIbLb1EES1A_EEDaS15_S16_EUlS15_E_NS1_11comp_targetILNS1_3genE4ELNS1_11target_archE910ELNS1_3gpuE8ELNS1_3repE0EEENS1_30default_config_static_selectorELNS0_4arch9wavefront6targetE1EEEvT1_,comdat
	.globl	_ZN7rocprim17ROCPRIM_400000_NS6detail17trampoline_kernelINS0_14default_configENS1_25partition_config_selectorILNS1_17partition_subalgoE9EllbEEZZNS1_14partition_implILS5_9ELb0ES3_jPlS8_PNS0_10empty_typeENS0_5tupleIJS8_S9_EEENSB_IJS8_SA_EEENS0_18inequality_wrapperIZN2at6native12_GLOBAL__N_124unique_dim_cuda_templateIdEESt5tupleIJNSF_6TensorESK_SK_EERKSK_lbbbEUlllE0_EEPmJS9_EEE10hipError_tPvRmT3_T4_T5_T6_T7_T9_mT8_P12ihipStream_tbDpT10_ENKUlT_T0_E_clISt17integral_constantIbLb1EES1A_EEDaS15_S16_EUlS15_E_NS1_11comp_targetILNS1_3genE4ELNS1_11target_archE910ELNS1_3gpuE8ELNS1_3repE0EEENS1_30default_config_static_selectorELNS0_4arch9wavefront6targetE1EEEvT1_ ; -- Begin function _ZN7rocprim17ROCPRIM_400000_NS6detail17trampoline_kernelINS0_14default_configENS1_25partition_config_selectorILNS1_17partition_subalgoE9EllbEEZZNS1_14partition_implILS5_9ELb0ES3_jPlS8_PNS0_10empty_typeENS0_5tupleIJS8_S9_EEENSB_IJS8_SA_EEENS0_18inequality_wrapperIZN2at6native12_GLOBAL__N_124unique_dim_cuda_templateIdEESt5tupleIJNSF_6TensorESK_SK_EERKSK_lbbbEUlllE0_EEPmJS9_EEE10hipError_tPvRmT3_T4_T5_T6_T7_T9_mT8_P12ihipStream_tbDpT10_ENKUlT_T0_E_clISt17integral_constantIbLb1EES1A_EEDaS15_S16_EUlS15_E_NS1_11comp_targetILNS1_3genE4ELNS1_11target_archE910ELNS1_3gpuE8ELNS1_3repE0EEENS1_30default_config_static_selectorELNS0_4arch9wavefront6targetE1EEEvT1_
	.p2align	8
	.type	_ZN7rocprim17ROCPRIM_400000_NS6detail17trampoline_kernelINS0_14default_configENS1_25partition_config_selectorILNS1_17partition_subalgoE9EllbEEZZNS1_14partition_implILS5_9ELb0ES3_jPlS8_PNS0_10empty_typeENS0_5tupleIJS8_S9_EEENSB_IJS8_SA_EEENS0_18inequality_wrapperIZN2at6native12_GLOBAL__N_124unique_dim_cuda_templateIdEESt5tupleIJNSF_6TensorESK_SK_EERKSK_lbbbEUlllE0_EEPmJS9_EEE10hipError_tPvRmT3_T4_T5_T6_T7_T9_mT8_P12ihipStream_tbDpT10_ENKUlT_T0_E_clISt17integral_constantIbLb1EES1A_EEDaS15_S16_EUlS15_E_NS1_11comp_targetILNS1_3genE4ELNS1_11target_archE910ELNS1_3gpuE8ELNS1_3repE0EEENS1_30default_config_static_selectorELNS0_4arch9wavefront6targetE1EEEvT1_,@function
_ZN7rocprim17ROCPRIM_400000_NS6detail17trampoline_kernelINS0_14default_configENS1_25partition_config_selectorILNS1_17partition_subalgoE9EllbEEZZNS1_14partition_implILS5_9ELb0ES3_jPlS8_PNS0_10empty_typeENS0_5tupleIJS8_S9_EEENSB_IJS8_SA_EEENS0_18inequality_wrapperIZN2at6native12_GLOBAL__N_124unique_dim_cuda_templateIdEESt5tupleIJNSF_6TensorESK_SK_EERKSK_lbbbEUlllE0_EEPmJS9_EEE10hipError_tPvRmT3_T4_T5_T6_T7_T9_mT8_P12ihipStream_tbDpT10_ENKUlT_T0_E_clISt17integral_constantIbLb1EES1A_EEDaS15_S16_EUlS15_E_NS1_11comp_targetILNS1_3genE4ELNS1_11target_archE910ELNS1_3gpuE8ELNS1_3repE0EEENS1_30default_config_static_selectorELNS0_4arch9wavefront6targetE1EEEvT1_: ; @_ZN7rocprim17ROCPRIM_400000_NS6detail17trampoline_kernelINS0_14default_configENS1_25partition_config_selectorILNS1_17partition_subalgoE9EllbEEZZNS1_14partition_implILS5_9ELb0ES3_jPlS8_PNS0_10empty_typeENS0_5tupleIJS8_S9_EEENSB_IJS8_SA_EEENS0_18inequality_wrapperIZN2at6native12_GLOBAL__N_124unique_dim_cuda_templateIdEESt5tupleIJNSF_6TensorESK_SK_EERKSK_lbbbEUlllE0_EEPmJS9_EEE10hipError_tPvRmT3_T4_T5_T6_T7_T9_mT8_P12ihipStream_tbDpT10_ENKUlT_T0_E_clISt17integral_constantIbLb1EES1A_EEDaS15_S16_EUlS15_E_NS1_11comp_targetILNS1_3genE4ELNS1_11target_archE910ELNS1_3gpuE8ELNS1_3repE0EEENS1_30default_config_static_selectorELNS0_4arch9wavefront6targetE1EEEvT1_
; %bb.0:
	.section	.rodata,"a",@progbits
	.p2align	6, 0x0
	.amdhsa_kernel _ZN7rocprim17ROCPRIM_400000_NS6detail17trampoline_kernelINS0_14default_configENS1_25partition_config_selectorILNS1_17partition_subalgoE9EllbEEZZNS1_14partition_implILS5_9ELb0ES3_jPlS8_PNS0_10empty_typeENS0_5tupleIJS8_S9_EEENSB_IJS8_SA_EEENS0_18inequality_wrapperIZN2at6native12_GLOBAL__N_124unique_dim_cuda_templateIdEESt5tupleIJNSF_6TensorESK_SK_EERKSK_lbbbEUlllE0_EEPmJS9_EEE10hipError_tPvRmT3_T4_T5_T6_T7_T9_mT8_P12ihipStream_tbDpT10_ENKUlT_T0_E_clISt17integral_constantIbLb1EES1A_EEDaS15_S16_EUlS15_E_NS1_11comp_targetILNS1_3genE4ELNS1_11target_archE910ELNS1_3gpuE8ELNS1_3repE0EEENS1_30default_config_static_selectorELNS0_4arch9wavefront6targetE1EEEvT1_
		.amdhsa_group_segment_fixed_size 0
		.amdhsa_private_segment_fixed_size 0
		.amdhsa_kernarg_size 136
		.amdhsa_user_sgpr_count 2
		.amdhsa_user_sgpr_dispatch_ptr 0
		.amdhsa_user_sgpr_queue_ptr 0
		.amdhsa_user_sgpr_kernarg_segment_ptr 1
		.amdhsa_user_sgpr_dispatch_id 0
		.amdhsa_user_sgpr_kernarg_preload_length 0
		.amdhsa_user_sgpr_kernarg_preload_offset 0
		.amdhsa_user_sgpr_private_segment_size 0
		.amdhsa_uses_dynamic_stack 0
		.amdhsa_enable_private_segment 0
		.amdhsa_system_sgpr_workgroup_id_x 1
		.amdhsa_system_sgpr_workgroup_id_y 0
		.amdhsa_system_sgpr_workgroup_id_z 0
		.amdhsa_system_sgpr_workgroup_info 0
		.amdhsa_system_vgpr_workitem_id 0
		.amdhsa_next_free_vgpr 1
		.amdhsa_next_free_sgpr 0
		.amdhsa_accum_offset 4
		.amdhsa_reserve_vcc 0
		.amdhsa_float_round_mode_32 0
		.amdhsa_float_round_mode_16_64 0
		.amdhsa_float_denorm_mode_32 3
		.amdhsa_float_denorm_mode_16_64 3
		.amdhsa_dx10_clamp 1
		.amdhsa_ieee_mode 1
		.amdhsa_fp16_overflow 0
		.amdhsa_tg_split 0
		.amdhsa_exception_fp_ieee_invalid_op 0
		.amdhsa_exception_fp_denorm_src 0
		.amdhsa_exception_fp_ieee_div_zero 0
		.amdhsa_exception_fp_ieee_overflow 0
		.amdhsa_exception_fp_ieee_underflow 0
		.amdhsa_exception_fp_ieee_inexact 0
		.amdhsa_exception_int_div_zero 0
	.end_amdhsa_kernel
	.section	.text._ZN7rocprim17ROCPRIM_400000_NS6detail17trampoline_kernelINS0_14default_configENS1_25partition_config_selectorILNS1_17partition_subalgoE9EllbEEZZNS1_14partition_implILS5_9ELb0ES3_jPlS8_PNS0_10empty_typeENS0_5tupleIJS8_S9_EEENSB_IJS8_SA_EEENS0_18inequality_wrapperIZN2at6native12_GLOBAL__N_124unique_dim_cuda_templateIdEESt5tupleIJNSF_6TensorESK_SK_EERKSK_lbbbEUlllE0_EEPmJS9_EEE10hipError_tPvRmT3_T4_T5_T6_T7_T9_mT8_P12ihipStream_tbDpT10_ENKUlT_T0_E_clISt17integral_constantIbLb1EES1A_EEDaS15_S16_EUlS15_E_NS1_11comp_targetILNS1_3genE4ELNS1_11target_archE910ELNS1_3gpuE8ELNS1_3repE0EEENS1_30default_config_static_selectorELNS0_4arch9wavefront6targetE1EEEvT1_,"axG",@progbits,_ZN7rocprim17ROCPRIM_400000_NS6detail17trampoline_kernelINS0_14default_configENS1_25partition_config_selectorILNS1_17partition_subalgoE9EllbEEZZNS1_14partition_implILS5_9ELb0ES3_jPlS8_PNS0_10empty_typeENS0_5tupleIJS8_S9_EEENSB_IJS8_SA_EEENS0_18inequality_wrapperIZN2at6native12_GLOBAL__N_124unique_dim_cuda_templateIdEESt5tupleIJNSF_6TensorESK_SK_EERKSK_lbbbEUlllE0_EEPmJS9_EEE10hipError_tPvRmT3_T4_T5_T6_T7_T9_mT8_P12ihipStream_tbDpT10_ENKUlT_T0_E_clISt17integral_constantIbLb1EES1A_EEDaS15_S16_EUlS15_E_NS1_11comp_targetILNS1_3genE4ELNS1_11target_archE910ELNS1_3gpuE8ELNS1_3repE0EEENS1_30default_config_static_selectorELNS0_4arch9wavefront6targetE1EEEvT1_,comdat
.Lfunc_end855:
	.size	_ZN7rocprim17ROCPRIM_400000_NS6detail17trampoline_kernelINS0_14default_configENS1_25partition_config_selectorILNS1_17partition_subalgoE9EllbEEZZNS1_14partition_implILS5_9ELb0ES3_jPlS8_PNS0_10empty_typeENS0_5tupleIJS8_S9_EEENSB_IJS8_SA_EEENS0_18inequality_wrapperIZN2at6native12_GLOBAL__N_124unique_dim_cuda_templateIdEESt5tupleIJNSF_6TensorESK_SK_EERKSK_lbbbEUlllE0_EEPmJS9_EEE10hipError_tPvRmT3_T4_T5_T6_T7_T9_mT8_P12ihipStream_tbDpT10_ENKUlT_T0_E_clISt17integral_constantIbLb1EES1A_EEDaS15_S16_EUlS15_E_NS1_11comp_targetILNS1_3genE4ELNS1_11target_archE910ELNS1_3gpuE8ELNS1_3repE0EEENS1_30default_config_static_selectorELNS0_4arch9wavefront6targetE1EEEvT1_, .Lfunc_end855-_ZN7rocprim17ROCPRIM_400000_NS6detail17trampoline_kernelINS0_14default_configENS1_25partition_config_selectorILNS1_17partition_subalgoE9EllbEEZZNS1_14partition_implILS5_9ELb0ES3_jPlS8_PNS0_10empty_typeENS0_5tupleIJS8_S9_EEENSB_IJS8_SA_EEENS0_18inequality_wrapperIZN2at6native12_GLOBAL__N_124unique_dim_cuda_templateIdEESt5tupleIJNSF_6TensorESK_SK_EERKSK_lbbbEUlllE0_EEPmJS9_EEE10hipError_tPvRmT3_T4_T5_T6_T7_T9_mT8_P12ihipStream_tbDpT10_ENKUlT_T0_E_clISt17integral_constantIbLb1EES1A_EEDaS15_S16_EUlS15_E_NS1_11comp_targetILNS1_3genE4ELNS1_11target_archE910ELNS1_3gpuE8ELNS1_3repE0EEENS1_30default_config_static_selectorELNS0_4arch9wavefront6targetE1EEEvT1_
                                        ; -- End function
	.section	.AMDGPU.csdata,"",@progbits
; Kernel info:
; codeLenInByte = 0
; NumSgprs: 6
; NumVgprs: 0
; NumAgprs: 0
; TotalNumVgprs: 0
; ScratchSize: 0
; MemoryBound: 0
; FloatMode: 240
; IeeeMode: 1
; LDSByteSize: 0 bytes/workgroup (compile time only)
; SGPRBlocks: 0
; VGPRBlocks: 0
; NumSGPRsForWavesPerEU: 6
; NumVGPRsForWavesPerEU: 1
; AccumOffset: 4
; Occupancy: 8
; WaveLimiterHint : 0
; COMPUTE_PGM_RSRC2:SCRATCH_EN: 0
; COMPUTE_PGM_RSRC2:USER_SGPR: 2
; COMPUTE_PGM_RSRC2:TRAP_HANDLER: 0
; COMPUTE_PGM_RSRC2:TGID_X_EN: 1
; COMPUTE_PGM_RSRC2:TGID_Y_EN: 0
; COMPUTE_PGM_RSRC2:TGID_Z_EN: 0
; COMPUTE_PGM_RSRC2:TIDIG_COMP_CNT: 0
; COMPUTE_PGM_RSRC3_GFX90A:ACCUM_OFFSET: 0
; COMPUTE_PGM_RSRC3_GFX90A:TG_SPLIT: 0
	.section	.text._ZN7rocprim17ROCPRIM_400000_NS6detail17trampoline_kernelINS0_14default_configENS1_25partition_config_selectorILNS1_17partition_subalgoE9EllbEEZZNS1_14partition_implILS5_9ELb0ES3_jPlS8_PNS0_10empty_typeENS0_5tupleIJS8_S9_EEENSB_IJS8_SA_EEENS0_18inequality_wrapperIZN2at6native12_GLOBAL__N_124unique_dim_cuda_templateIdEESt5tupleIJNSF_6TensorESK_SK_EERKSK_lbbbEUlllE0_EEPmJS9_EEE10hipError_tPvRmT3_T4_T5_T6_T7_T9_mT8_P12ihipStream_tbDpT10_ENKUlT_T0_E_clISt17integral_constantIbLb1EES1A_EEDaS15_S16_EUlS15_E_NS1_11comp_targetILNS1_3genE3ELNS1_11target_archE908ELNS1_3gpuE7ELNS1_3repE0EEENS1_30default_config_static_selectorELNS0_4arch9wavefront6targetE1EEEvT1_,"axG",@progbits,_ZN7rocprim17ROCPRIM_400000_NS6detail17trampoline_kernelINS0_14default_configENS1_25partition_config_selectorILNS1_17partition_subalgoE9EllbEEZZNS1_14partition_implILS5_9ELb0ES3_jPlS8_PNS0_10empty_typeENS0_5tupleIJS8_S9_EEENSB_IJS8_SA_EEENS0_18inequality_wrapperIZN2at6native12_GLOBAL__N_124unique_dim_cuda_templateIdEESt5tupleIJNSF_6TensorESK_SK_EERKSK_lbbbEUlllE0_EEPmJS9_EEE10hipError_tPvRmT3_T4_T5_T6_T7_T9_mT8_P12ihipStream_tbDpT10_ENKUlT_T0_E_clISt17integral_constantIbLb1EES1A_EEDaS15_S16_EUlS15_E_NS1_11comp_targetILNS1_3genE3ELNS1_11target_archE908ELNS1_3gpuE7ELNS1_3repE0EEENS1_30default_config_static_selectorELNS0_4arch9wavefront6targetE1EEEvT1_,comdat
	.globl	_ZN7rocprim17ROCPRIM_400000_NS6detail17trampoline_kernelINS0_14default_configENS1_25partition_config_selectorILNS1_17partition_subalgoE9EllbEEZZNS1_14partition_implILS5_9ELb0ES3_jPlS8_PNS0_10empty_typeENS0_5tupleIJS8_S9_EEENSB_IJS8_SA_EEENS0_18inequality_wrapperIZN2at6native12_GLOBAL__N_124unique_dim_cuda_templateIdEESt5tupleIJNSF_6TensorESK_SK_EERKSK_lbbbEUlllE0_EEPmJS9_EEE10hipError_tPvRmT3_T4_T5_T6_T7_T9_mT8_P12ihipStream_tbDpT10_ENKUlT_T0_E_clISt17integral_constantIbLb1EES1A_EEDaS15_S16_EUlS15_E_NS1_11comp_targetILNS1_3genE3ELNS1_11target_archE908ELNS1_3gpuE7ELNS1_3repE0EEENS1_30default_config_static_selectorELNS0_4arch9wavefront6targetE1EEEvT1_ ; -- Begin function _ZN7rocprim17ROCPRIM_400000_NS6detail17trampoline_kernelINS0_14default_configENS1_25partition_config_selectorILNS1_17partition_subalgoE9EllbEEZZNS1_14partition_implILS5_9ELb0ES3_jPlS8_PNS0_10empty_typeENS0_5tupleIJS8_S9_EEENSB_IJS8_SA_EEENS0_18inequality_wrapperIZN2at6native12_GLOBAL__N_124unique_dim_cuda_templateIdEESt5tupleIJNSF_6TensorESK_SK_EERKSK_lbbbEUlllE0_EEPmJS9_EEE10hipError_tPvRmT3_T4_T5_T6_T7_T9_mT8_P12ihipStream_tbDpT10_ENKUlT_T0_E_clISt17integral_constantIbLb1EES1A_EEDaS15_S16_EUlS15_E_NS1_11comp_targetILNS1_3genE3ELNS1_11target_archE908ELNS1_3gpuE7ELNS1_3repE0EEENS1_30default_config_static_selectorELNS0_4arch9wavefront6targetE1EEEvT1_
	.p2align	8
	.type	_ZN7rocprim17ROCPRIM_400000_NS6detail17trampoline_kernelINS0_14default_configENS1_25partition_config_selectorILNS1_17partition_subalgoE9EllbEEZZNS1_14partition_implILS5_9ELb0ES3_jPlS8_PNS0_10empty_typeENS0_5tupleIJS8_S9_EEENSB_IJS8_SA_EEENS0_18inequality_wrapperIZN2at6native12_GLOBAL__N_124unique_dim_cuda_templateIdEESt5tupleIJNSF_6TensorESK_SK_EERKSK_lbbbEUlllE0_EEPmJS9_EEE10hipError_tPvRmT3_T4_T5_T6_T7_T9_mT8_P12ihipStream_tbDpT10_ENKUlT_T0_E_clISt17integral_constantIbLb1EES1A_EEDaS15_S16_EUlS15_E_NS1_11comp_targetILNS1_3genE3ELNS1_11target_archE908ELNS1_3gpuE7ELNS1_3repE0EEENS1_30default_config_static_selectorELNS0_4arch9wavefront6targetE1EEEvT1_,@function
_ZN7rocprim17ROCPRIM_400000_NS6detail17trampoline_kernelINS0_14default_configENS1_25partition_config_selectorILNS1_17partition_subalgoE9EllbEEZZNS1_14partition_implILS5_9ELb0ES3_jPlS8_PNS0_10empty_typeENS0_5tupleIJS8_S9_EEENSB_IJS8_SA_EEENS0_18inequality_wrapperIZN2at6native12_GLOBAL__N_124unique_dim_cuda_templateIdEESt5tupleIJNSF_6TensorESK_SK_EERKSK_lbbbEUlllE0_EEPmJS9_EEE10hipError_tPvRmT3_T4_T5_T6_T7_T9_mT8_P12ihipStream_tbDpT10_ENKUlT_T0_E_clISt17integral_constantIbLb1EES1A_EEDaS15_S16_EUlS15_E_NS1_11comp_targetILNS1_3genE3ELNS1_11target_archE908ELNS1_3gpuE7ELNS1_3repE0EEENS1_30default_config_static_selectorELNS0_4arch9wavefront6targetE1EEEvT1_: ; @_ZN7rocprim17ROCPRIM_400000_NS6detail17trampoline_kernelINS0_14default_configENS1_25partition_config_selectorILNS1_17partition_subalgoE9EllbEEZZNS1_14partition_implILS5_9ELb0ES3_jPlS8_PNS0_10empty_typeENS0_5tupleIJS8_S9_EEENSB_IJS8_SA_EEENS0_18inequality_wrapperIZN2at6native12_GLOBAL__N_124unique_dim_cuda_templateIdEESt5tupleIJNSF_6TensorESK_SK_EERKSK_lbbbEUlllE0_EEPmJS9_EEE10hipError_tPvRmT3_T4_T5_T6_T7_T9_mT8_P12ihipStream_tbDpT10_ENKUlT_T0_E_clISt17integral_constantIbLb1EES1A_EEDaS15_S16_EUlS15_E_NS1_11comp_targetILNS1_3genE3ELNS1_11target_archE908ELNS1_3gpuE7ELNS1_3repE0EEENS1_30default_config_static_selectorELNS0_4arch9wavefront6targetE1EEEvT1_
; %bb.0:
	.section	.rodata,"a",@progbits
	.p2align	6, 0x0
	.amdhsa_kernel _ZN7rocprim17ROCPRIM_400000_NS6detail17trampoline_kernelINS0_14default_configENS1_25partition_config_selectorILNS1_17partition_subalgoE9EllbEEZZNS1_14partition_implILS5_9ELb0ES3_jPlS8_PNS0_10empty_typeENS0_5tupleIJS8_S9_EEENSB_IJS8_SA_EEENS0_18inequality_wrapperIZN2at6native12_GLOBAL__N_124unique_dim_cuda_templateIdEESt5tupleIJNSF_6TensorESK_SK_EERKSK_lbbbEUlllE0_EEPmJS9_EEE10hipError_tPvRmT3_T4_T5_T6_T7_T9_mT8_P12ihipStream_tbDpT10_ENKUlT_T0_E_clISt17integral_constantIbLb1EES1A_EEDaS15_S16_EUlS15_E_NS1_11comp_targetILNS1_3genE3ELNS1_11target_archE908ELNS1_3gpuE7ELNS1_3repE0EEENS1_30default_config_static_selectorELNS0_4arch9wavefront6targetE1EEEvT1_
		.amdhsa_group_segment_fixed_size 0
		.amdhsa_private_segment_fixed_size 0
		.amdhsa_kernarg_size 136
		.amdhsa_user_sgpr_count 2
		.amdhsa_user_sgpr_dispatch_ptr 0
		.amdhsa_user_sgpr_queue_ptr 0
		.amdhsa_user_sgpr_kernarg_segment_ptr 1
		.amdhsa_user_sgpr_dispatch_id 0
		.amdhsa_user_sgpr_kernarg_preload_length 0
		.amdhsa_user_sgpr_kernarg_preload_offset 0
		.amdhsa_user_sgpr_private_segment_size 0
		.amdhsa_uses_dynamic_stack 0
		.amdhsa_enable_private_segment 0
		.amdhsa_system_sgpr_workgroup_id_x 1
		.amdhsa_system_sgpr_workgroup_id_y 0
		.amdhsa_system_sgpr_workgroup_id_z 0
		.amdhsa_system_sgpr_workgroup_info 0
		.amdhsa_system_vgpr_workitem_id 0
		.amdhsa_next_free_vgpr 1
		.amdhsa_next_free_sgpr 0
		.amdhsa_accum_offset 4
		.amdhsa_reserve_vcc 0
		.amdhsa_float_round_mode_32 0
		.amdhsa_float_round_mode_16_64 0
		.amdhsa_float_denorm_mode_32 3
		.amdhsa_float_denorm_mode_16_64 3
		.amdhsa_dx10_clamp 1
		.amdhsa_ieee_mode 1
		.amdhsa_fp16_overflow 0
		.amdhsa_tg_split 0
		.amdhsa_exception_fp_ieee_invalid_op 0
		.amdhsa_exception_fp_denorm_src 0
		.amdhsa_exception_fp_ieee_div_zero 0
		.amdhsa_exception_fp_ieee_overflow 0
		.amdhsa_exception_fp_ieee_underflow 0
		.amdhsa_exception_fp_ieee_inexact 0
		.amdhsa_exception_int_div_zero 0
	.end_amdhsa_kernel
	.section	.text._ZN7rocprim17ROCPRIM_400000_NS6detail17trampoline_kernelINS0_14default_configENS1_25partition_config_selectorILNS1_17partition_subalgoE9EllbEEZZNS1_14partition_implILS5_9ELb0ES3_jPlS8_PNS0_10empty_typeENS0_5tupleIJS8_S9_EEENSB_IJS8_SA_EEENS0_18inequality_wrapperIZN2at6native12_GLOBAL__N_124unique_dim_cuda_templateIdEESt5tupleIJNSF_6TensorESK_SK_EERKSK_lbbbEUlllE0_EEPmJS9_EEE10hipError_tPvRmT3_T4_T5_T6_T7_T9_mT8_P12ihipStream_tbDpT10_ENKUlT_T0_E_clISt17integral_constantIbLb1EES1A_EEDaS15_S16_EUlS15_E_NS1_11comp_targetILNS1_3genE3ELNS1_11target_archE908ELNS1_3gpuE7ELNS1_3repE0EEENS1_30default_config_static_selectorELNS0_4arch9wavefront6targetE1EEEvT1_,"axG",@progbits,_ZN7rocprim17ROCPRIM_400000_NS6detail17trampoline_kernelINS0_14default_configENS1_25partition_config_selectorILNS1_17partition_subalgoE9EllbEEZZNS1_14partition_implILS5_9ELb0ES3_jPlS8_PNS0_10empty_typeENS0_5tupleIJS8_S9_EEENSB_IJS8_SA_EEENS0_18inequality_wrapperIZN2at6native12_GLOBAL__N_124unique_dim_cuda_templateIdEESt5tupleIJNSF_6TensorESK_SK_EERKSK_lbbbEUlllE0_EEPmJS9_EEE10hipError_tPvRmT3_T4_T5_T6_T7_T9_mT8_P12ihipStream_tbDpT10_ENKUlT_T0_E_clISt17integral_constantIbLb1EES1A_EEDaS15_S16_EUlS15_E_NS1_11comp_targetILNS1_3genE3ELNS1_11target_archE908ELNS1_3gpuE7ELNS1_3repE0EEENS1_30default_config_static_selectorELNS0_4arch9wavefront6targetE1EEEvT1_,comdat
.Lfunc_end856:
	.size	_ZN7rocprim17ROCPRIM_400000_NS6detail17trampoline_kernelINS0_14default_configENS1_25partition_config_selectorILNS1_17partition_subalgoE9EllbEEZZNS1_14partition_implILS5_9ELb0ES3_jPlS8_PNS0_10empty_typeENS0_5tupleIJS8_S9_EEENSB_IJS8_SA_EEENS0_18inequality_wrapperIZN2at6native12_GLOBAL__N_124unique_dim_cuda_templateIdEESt5tupleIJNSF_6TensorESK_SK_EERKSK_lbbbEUlllE0_EEPmJS9_EEE10hipError_tPvRmT3_T4_T5_T6_T7_T9_mT8_P12ihipStream_tbDpT10_ENKUlT_T0_E_clISt17integral_constantIbLb1EES1A_EEDaS15_S16_EUlS15_E_NS1_11comp_targetILNS1_3genE3ELNS1_11target_archE908ELNS1_3gpuE7ELNS1_3repE0EEENS1_30default_config_static_selectorELNS0_4arch9wavefront6targetE1EEEvT1_, .Lfunc_end856-_ZN7rocprim17ROCPRIM_400000_NS6detail17trampoline_kernelINS0_14default_configENS1_25partition_config_selectorILNS1_17partition_subalgoE9EllbEEZZNS1_14partition_implILS5_9ELb0ES3_jPlS8_PNS0_10empty_typeENS0_5tupleIJS8_S9_EEENSB_IJS8_SA_EEENS0_18inequality_wrapperIZN2at6native12_GLOBAL__N_124unique_dim_cuda_templateIdEESt5tupleIJNSF_6TensorESK_SK_EERKSK_lbbbEUlllE0_EEPmJS9_EEE10hipError_tPvRmT3_T4_T5_T6_T7_T9_mT8_P12ihipStream_tbDpT10_ENKUlT_T0_E_clISt17integral_constantIbLb1EES1A_EEDaS15_S16_EUlS15_E_NS1_11comp_targetILNS1_3genE3ELNS1_11target_archE908ELNS1_3gpuE7ELNS1_3repE0EEENS1_30default_config_static_selectorELNS0_4arch9wavefront6targetE1EEEvT1_
                                        ; -- End function
	.section	.AMDGPU.csdata,"",@progbits
; Kernel info:
; codeLenInByte = 0
; NumSgprs: 6
; NumVgprs: 0
; NumAgprs: 0
; TotalNumVgprs: 0
; ScratchSize: 0
; MemoryBound: 0
; FloatMode: 240
; IeeeMode: 1
; LDSByteSize: 0 bytes/workgroup (compile time only)
; SGPRBlocks: 0
; VGPRBlocks: 0
; NumSGPRsForWavesPerEU: 6
; NumVGPRsForWavesPerEU: 1
; AccumOffset: 4
; Occupancy: 8
; WaveLimiterHint : 0
; COMPUTE_PGM_RSRC2:SCRATCH_EN: 0
; COMPUTE_PGM_RSRC2:USER_SGPR: 2
; COMPUTE_PGM_RSRC2:TRAP_HANDLER: 0
; COMPUTE_PGM_RSRC2:TGID_X_EN: 1
; COMPUTE_PGM_RSRC2:TGID_Y_EN: 0
; COMPUTE_PGM_RSRC2:TGID_Z_EN: 0
; COMPUTE_PGM_RSRC2:TIDIG_COMP_CNT: 0
; COMPUTE_PGM_RSRC3_GFX90A:ACCUM_OFFSET: 0
; COMPUTE_PGM_RSRC3_GFX90A:TG_SPLIT: 0
	.section	.text._ZN7rocprim17ROCPRIM_400000_NS6detail17trampoline_kernelINS0_14default_configENS1_25partition_config_selectorILNS1_17partition_subalgoE9EllbEEZZNS1_14partition_implILS5_9ELb0ES3_jPlS8_PNS0_10empty_typeENS0_5tupleIJS8_S9_EEENSB_IJS8_SA_EEENS0_18inequality_wrapperIZN2at6native12_GLOBAL__N_124unique_dim_cuda_templateIdEESt5tupleIJNSF_6TensorESK_SK_EERKSK_lbbbEUlllE0_EEPmJS9_EEE10hipError_tPvRmT3_T4_T5_T6_T7_T9_mT8_P12ihipStream_tbDpT10_ENKUlT_T0_E_clISt17integral_constantIbLb1EES1A_EEDaS15_S16_EUlS15_E_NS1_11comp_targetILNS1_3genE2ELNS1_11target_archE906ELNS1_3gpuE6ELNS1_3repE0EEENS1_30default_config_static_selectorELNS0_4arch9wavefront6targetE1EEEvT1_,"axG",@progbits,_ZN7rocprim17ROCPRIM_400000_NS6detail17trampoline_kernelINS0_14default_configENS1_25partition_config_selectorILNS1_17partition_subalgoE9EllbEEZZNS1_14partition_implILS5_9ELb0ES3_jPlS8_PNS0_10empty_typeENS0_5tupleIJS8_S9_EEENSB_IJS8_SA_EEENS0_18inequality_wrapperIZN2at6native12_GLOBAL__N_124unique_dim_cuda_templateIdEESt5tupleIJNSF_6TensorESK_SK_EERKSK_lbbbEUlllE0_EEPmJS9_EEE10hipError_tPvRmT3_T4_T5_T6_T7_T9_mT8_P12ihipStream_tbDpT10_ENKUlT_T0_E_clISt17integral_constantIbLb1EES1A_EEDaS15_S16_EUlS15_E_NS1_11comp_targetILNS1_3genE2ELNS1_11target_archE906ELNS1_3gpuE6ELNS1_3repE0EEENS1_30default_config_static_selectorELNS0_4arch9wavefront6targetE1EEEvT1_,comdat
	.globl	_ZN7rocprim17ROCPRIM_400000_NS6detail17trampoline_kernelINS0_14default_configENS1_25partition_config_selectorILNS1_17partition_subalgoE9EllbEEZZNS1_14partition_implILS5_9ELb0ES3_jPlS8_PNS0_10empty_typeENS0_5tupleIJS8_S9_EEENSB_IJS8_SA_EEENS0_18inequality_wrapperIZN2at6native12_GLOBAL__N_124unique_dim_cuda_templateIdEESt5tupleIJNSF_6TensorESK_SK_EERKSK_lbbbEUlllE0_EEPmJS9_EEE10hipError_tPvRmT3_T4_T5_T6_T7_T9_mT8_P12ihipStream_tbDpT10_ENKUlT_T0_E_clISt17integral_constantIbLb1EES1A_EEDaS15_S16_EUlS15_E_NS1_11comp_targetILNS1_3genE2ELNS1_11target_archE906ELNS1_3gpuE6ELNS1_3repE0EEENS1_30default_config_static_selectorELNS0_4arch9wavefront6targetE1EEEvT1_ ; -- Begin function _ZN7rocprim17ROCPRIM_400000_NS6detail17trampoline_kernelINS0_14default_configENS1_25partition_config_selectorILNS1_17partition_subalgoE9EllbEEZZNS1_14partition_implILS5_9ELb0ES3_jPlS8_PNS0_10empty_typeENS0_5tupleIJS8_S9_EEENSB_IJS8_SA_EEENS0_18inequality_wrapperIZN2at6native12_GLOBAL__N_124unique_dim_cuda_templateIdEESt5tupleIJNSF_6TensorESK_SK_EERKSK_lbbbEUlllE0_EEPmJS9_EEE10hipError_tPvRmT3_T4_T5_T6_T7_T9_mT8_P12ihipStream_tbDpT10_ENKUlT_T0_E_clISt17integral_constantIbLb1EES1A_EEDaS15_S16_EUlS15_E_NS1_11comp_targetILNS1_3genE2ELNS1_11target_archE906ELNS1_3gpuE6ELNS1_3repE0EEENS1_30default_config_static_selectorELNS0_4arch9wavefront6targetE1EEEvT1_
	.p2align	8
	.type	_ZN7rocprim17ROCPRIM_400000_NS6detail17trampoline_kernelINS0_14default_configENS1_25partition_config_selectorILNS1_17partition_subalgoE9EllbEEZZNS1_14partition_implILS5_9ELb0ES3_jPlS8_PNS0_10empty_typeENS0_5tupleIJS8_S9_EEENSB_IJS8_SA_EEENS0_18inequality_wrapperIZN2at6native12_GLOBAL__N_124unique_dim_cuda_templateIdEESt5tupleIJNSF_6TensorESK_SK_EERKSK_lbbbEUlllE0_EEPmJS9_EEE10hipError_tPvRmT3_T4_T5_T6_T7_T9_mT8_P12ihipStream_tbDpT10_ENKUlT_T0_E_clISt17integral_constantIbLb1EES1A_EEDaS15_S16_EUlS15_E_NS1_11comp_targetILNS1_3genE2ELNS1_11target_archE906ELNS1_3gpuE6ELNS1_3repE0EEENS1_30default_config_static_selectorELNS0_4arch9wavefront6targetE1EEEvT1_,@function
_ZN7rocprim17ROCPRIM_400000_NS6detail17trampoline_kernelINS0_14default_configENS1_25partition_config_selectorILNS1_17partition_subalgoE9EllbEEZZNS1_14partition_implILS5_9ELb0ES3_jPlS8_PNS0_10empty_typeENS0_5tupleIJS8_S9_EEENSB_IJS8_SA_EEENS0_18inequality_wrapperIZN2at6native12_GLOBAL__N_124unique_dim_cuda_templateIdEESt5tupleIJNSF_6TensorESK_SK_EERKSK_lbbbEUlllE0_EEPmJS9_EEE10hipError_tPvRmT3_T4_T5_T6_T7_T9_mT8_P12ihipStream_tbDpT10_ENKUlT_T0_E_clISt17integral_constantIbLb1EES1A_EEDaS15_S16_EUlS15_E_NS1_11comp_targetILNS1_3genE2ELNS1_11target_archE906ELNS1_3gpuE6ELNS1_3repE0EEENS1_30default_config_static_selectorELNS0_4arch9wavefront6targetE1EEEvT1_: ; @_ZN7rocprim17ROCPRIM_400000_NS6detail17trampoline_kernelINS0_14default_configENS1_25partition_config_selectorILNS1_17partition_subalgoE9EllbEEZZNS1_14partition_implILS5_9ELb0ES3_jPlS8_PNS0_10empty_typeENS0_5tupleIJS8_S9_EEENSB_IJS8_SA_EEENS0_18inequality_wrapperIZN2at6native12_GLOBAL__N_124unique_dim_cuda_templateIdEESt5tupleIJNSF_6TensorESK_SK_EERKSK_lbbbEUlllE0_EEPmJS9_EEE10hipError_tPvRmT3_T4_T5_T6_T7_T9_mT8_P12ihipStream_tbDpT10_ENKUlT_T0_E_clISt17integral_constantIbLb1EES1A_EEDaS15_S16_EUlS15_E_NS1_11comp_targetILNS1_3genE2ELNS1_11target_archE906ELNS1_3gpuE6ELNS1_3repE0EEENS1_30default_config_static_selectorELNS0_4arch9wavefront6targetE1EEEvT1_
; %bb.0:
	.section	.rodata,"a",@progbits
	.p2align	6, 0x0
	.amdhsa_kernel _ZN7rocprim17ROCPRIM_400000_NS6detail17trampoline_kernelINS0_14default_configENS1_25partition_config_selectorILNS1_17partition_subalgoE9EllbEEZZNS1_14partition_implILS5_9ELb0ES3_jPlS8_PNS0_10empty_typeENS0_5tupleIJS8_S9_EEENSB_IJS8_SA_EEENS0_18inequality_wrapperIZN2at6native12_GLOBAL__N_124unique_dim_cuda_templateIdEESt5tupleIJNSF_6TensorESK_SK_EERKSK_lbbbEUlllE0_EEPmJS9_EEE10hipError_tPvRmT3_T4_T5_T6_T7_T9_mT8_P12ihipStream_tbDpT10_ENKUlT_T0_E_clISt17integral_constantIbLb1EES1A_EEDaS15_S16_EUlS15_E_NS1_11comp_targetILNS1_3genE2ELNS1_11target_archE906ELNS1_3gpuE6ELNS1_3repE0EEENS1_30default_config_static_selectorELNS0_4arch9wavefront6targetE1EEEvT1_
		.amdhsa_group_segment_fixed_size 0
		.amdhsa_private_segment_fixed_size 0
		.amdhsa_kernarg_size 136
		.amdhsa_user_sgpr_count 2
		.amdhsa_user_sgpr_dispatch_ptr 0
		.amdhsa_user_sgpr_queue_ptr 0
		.amdhsa_user_sgpr_kernarg_segment_ptr 1
		.amdhsa_user_sgpr_dispatch_id 0
		.amdhsa_user_sgpr_kernarg_preload_length 0
		.amdhsa_user_sgpr_kernarg_preload_offset 0
		.amdhsa_user_sgpr_private_segment_size 0
		.amdhsa_uses_dynamic_stack 0
		.amdhsa_enable_private_segment 0
		.amdhsa_system_sgpr_workgroup_id_x 1
		.amdhsa_system_sgpr_workgroup_id_y 0
		.amdhsa_system_sgpr_workgroup_id_z 0
		.amdhsa_system_sgpr_workgroup_info 0
		.amdhsa_system_vgpr_workitem_id 0
		.amdhsa_next_free_vgpr 1
		.amdhsa_next_free_sgpr 0
		.amdhsa_accum_offset 4
		.amdhsa_reserve_vcc 0
		.amdhsa_float_round_mode_32 0
		.amdhsa_float_round_mode_16_64 0
		.amdhsa_float_denorm_mode_32 3
		.amdhsa_float_denorm_mode_16_64 3
		.amdhsa_dx10_clamp 1
		.amdhsa_ieee_mode 1
		.amdhsa_fp16_overflow 0
		.amdhsa_tg_split 0
		.amdhsa_exception_fp_ieee_invalid_op 0
		.amdhsa_exception_fp_denorm_src 0
		.amdhsa_exception_fp_ieee_div_zero 0
		.amdhsa_exception_fp_ieee_overflow 0
		.amdhsa_exception_fp_ieee_underflow 0
		.amdhsa_exception_fp_ieee_inexact 0
		.amdhsa_exception_int_div_zero 0
	.end_amdhsa_kernel
	.section	.text._ZN7rocprim17ROCPRIM_400000_NS6detail17trampoline_kernelINS0_14default_configENS1_25partition_config_selectorILNS1_17partition_subalgoE9EllbEEZZNS1_14partition_implILS5_9ELb0ES3_jPlS8_PNS0_10empty_typeENS0_5tupleIJS8_S9_EEENSB_IJS8_SA_EEENS0_18inequality_wrapperIZN2at6native12_GLOBAL__N_124unique_dim_cuda_templateIdEESt5tupleIJNSF_6TensorESK_SK_EERKSK_lbbbEUlllE0_EEPmJS9_EEE10hipError_tPvRmT3_T4_T5_T6_T7_T9_mT8_P12ihipStream_tbDpT10_ENKUlT_T0_E_clISt17integral_constantIbLb1EES1A_EEDaS15_S16_EUlS15_E_NS1_11comp_targetILNS1_3genE2ELNS1_11target_archE906ELNS1_3gpuE6ELNS1_3repE0EEENS1_30default_config_static_selectorELNS0_4arch9wavefront6targetE1EEEvT1_,"axG",@progbits,_ZN7rocprim17ROCPRIM_400000_NS6detail17trampoline_kernelINS0_14default_configENS1_25partition_config_selectorILNS1_17partition_subalgoE9EllbEEZZNS1_14partition_implILS5_9ELb0ES3_jPlS8_PNS0_10empty_typeENS0_5tupleIJS8_S9_EEENSB_IJS8_SA_EEENS0_18inequality_wrapperIZN2at6native12_GLOBAL__N_124unique_dim_cuda_templateIdEESt5tupleIJNSF_6TensorESK_SK_EERKSK_lbbbEUlllE0_EEPmJS9_EEE10hipError_tPvRmT3_T4_T5_T6_T7_T9_mT8_P12ihipStream_tbDpT10_ENKUlT_T0_E_clISt17integral_constantIbLb1EES1A_EEDaS15_S16_EUlS15_E_NS1_11comp_targetILNS1_3genE2ELNS1_11target_archE906ELNS1_3gpuE6ELNS1_3repE0EEENS1_30default_config_static_selectorELNS0_4arch9wavefront6targetE1EEEvT1_,comdat
.Lfunc_end857:
	.size	_ZN7rocprim17ROCPRIM_400000_NS6detail17trampoline_kernelINS0_14default_configENS1_25partition_config_selectorILNS1_17partition_subalgoE9EllbEEZZNS1_14partition_implILS5_9ELb0ES3_jPlS8_PNS0_10empty_typeENS0_5tupleIJS8_S9_EEENSB_IJS8_SA_EEENS0_18inequality_wrapperIZN2at6native12_GLOBAL__N_124unique_dim_cuda_templateIdEESt5tupleIJNSF_6TensorESK_SK_EERKSK_lbbbEUlllE0_EEPmJS9_EEE10hipError_tPvRmT3_T4_T5_T6_T7_T9_mT8_P12ihipStream_tbDpT10_ENKUlT_T0_E_clISt17integral_constantIbLb1EES1A_EEDaS15_S16_EUlS15_E_NS1_11comp_targetILNS1_3genE2ELNS1_11target_archE906ELNS1_3gpuE6ELNS1_3repE0EEENS1_30default_config_static_selectorELNS0_4arch9wavefront6targetE1EEEvT1_, .Lfunc_end857-_ZN7rocprim17ROCPRIM_400000_NS6detail17trampoline_kernelINS0_14default_configENS1_25partition_config_selectorILNS1_17partition_subalgoE9EllbEEZZNS1_14partition_implILS5_9ELb0ES3_jPlS8_PNS0_10empty_typeENS0_5tupleIJS8_S9_EEENSB_IJS8_SA_EEENS0_18inequality_wrapperIZN2at6native12_GLOBAL__N_124unique_dim_cuda_templateIdEESt5tupleIJNSF_6TensorESK_SK_EERKSK_lbbbEUlllE0_EEPmJS9_EEE10hipError_tPvRmT3_T4_T5_T6_T7_T9_mT8_P12ihipStream_tbDpT10_ENKUlT_T0_E_clISt17integral_constantIbLb1EES1A_EEDaS15_S16_EUlS15_E_NS1_11comp_targetILNS1_3genE2ELNS1_11target_archE906ELNS1_3gpuE6ELNS1_3repE0EEENS1_30default_config_static_selectorELNS0_4arch9wavefront6targetE1EEEvT1_
                                        ; -- End function
	.section	.AMDGPU.csdata,"",@progbits
; Kernel info:
; codeLenInByte = 0
; NumSgprs: 6
; NumVgprs: 0
; NumAgprs: 0
; TotalNumVgprs: 0
; ScratchSize: 0
; MemoryBound: 0
; FloatMode: 240
; IeeeMode: 1
; LDSByteSize: 0 bytes/workgroup (compile time only)
; SGPRBlocks: 0
; VGPRBlocks: 0
; NumSGPRsForWavesPerEU: 6
; NumVGPRsForWavesPerEU: 1
; AccumOffset: 4
; Occupancy: 8
; WaveLimiterHint : 0
; COMPUTE_PGM_RSRC2:SCRATCH_EN: 0
; COMPUTE_PGM_RSRC2:USER_SGPR: 2
; COMPUTE_PGM_RSRC2:TRAP_HANDLER: 0
; COMPUTE_PGM_RSRC2:TGID_X_EN: 1
; COMPUTE_PGM_RSRC2:TGID_Y_EN: 0
; COMPUTE_PGM_RSRC2:TGID_Z_EN: 0
; COMPUTE_PGM_RSRC2:TIDIG_COMP_CNT: 0
; COMPUTE_PGM_RSRC3_GFX90A:ACCUM_OFFSET: 0
; COMPUTE_PGM_RSRC3_GFX90A:TG_SPLIT: 0
	.section	.text._ZN7rocprim17ROCPRIM_400000_NS6detail17trampoline_kernelINS0_14default_configENS1_25partition_config_selectorILNS1_17partition_subalgoE9EllbEEZZNS1_14partition_implILS5_9ELb0ES3_jPlS8_PNS0_10empty_typeENS0_5tupleIJS8_S9_EEENSB_IJS8_SA_EEENS0_18inequality_wrapperIZN2at6native12_GLOBAL__N_124unique_dim_cuda_templateIdEESt5tupleIJNSF_6TensorESK_SK_EERKSK_lbbbEUlllE0_EEPmJS9_EEE10hipError_tPvRmT3_T4_T5_T6_T7_T9_mT8_P12ihipStream_tbDpT10_ENKUlT_T0_E_clISt17integral_constantIbLb1EES1A_EEDaS15_S16_EUlS15_E_NS1_11comp_targetILNS1_3genE10ELNS1_11target_archE1200ELNS1_3gpuE4ELNS1_3repE0EEENS1_30default_config_static_selectorELNS0_4arch9wavefront6targetE1EEEvT1_,"axG",@progbits,_ZN7rocprim17ROCPRIM_400000_NS6detail17trampoline_kernelINS0_14default_configENS1_25partition_config_selectorILNS1_17partition_subalgoE9EllbEEZZNS1_14partition_implILS5_9ELb0ES3_jPlS8_PNS0_10empty_typeENS0_5tupleIJS8_S9_EEENSB_IJS8_SA_EEENS0_18inequality_wrapperIZN2at6native12_GLOBAL__N_124unique_dim_cuda_templateIdEESt5tupleIJNSF_6TensorESK_SK_EERKSK_lbbbEUlllE0_EEPmJS9_EEE10hipError_tPvRmT3_T4_T5_T6_T7_T9_mT8_P12ihipStream_tbDpT10_ENKUlT_T0_E_clISt17integral_constantIbLb1EES1A_EEDaS15_S16_EUlS15_E_NS1_11comp_targetILNS1_3genE10ELNS1_11target_archE1200ELNS1_3gpuE4ELNS1_3repE0EEENS1_30default_config_static_selectorELNS0_4arch9wavefront6targetE1EEEvT1_,comdat
	.globl	_ZN7rocprim17ROCPRIM_400000_NS6detail17trampoline_kernelINS0_14default_configENS1_25partition_config_selectorILNS1_17partition_subalgoE9EllbEEZZNS1_14partition_implILS5_9ELb0ES3_jPlS8_PNS0_10empty_typeENS0_5tupleIJS8_S9_EEENSB_IJS8_SA_EEENS0_18inequality_wrapperIZN2at6native12_GLOBAL__N_124unique_dim_cuda_templateIdEESt5tupleIJNSF_6TensorESK_SK_EERKSK_lbbbEUlllE0_EEPmJS9_EEE10hipError_tPvRmT3_T4_T5_T6_T7_T9_mT8_P12ihipStream_tbDpT10_ENKUlT_T0_E_clISt17integral_constantIbLb1EES1A_EEDaS15_S16_EUlS15_E_NS1_11comp_targetILNS1_3genE10ELNS1_11target_archE1200ELNS1_3gpuE4ELNS1_3repE0EEENS1_30default_config_static_selectorELNS0_4arch9wavefront6targetE1EEEvT1_ ; -- Begin function _ZN7rocprim17ROCPRIM_400000_NS6detail17trampoline_kernelINS0_14default_configENS1_25partition_config_selectorILNS1_17partition_subalgoE9EllbEEZZNS1_14partition_implILS5_9ELb0ES3_jPlS8_PNS0_10empty_typeENS0_5tupleIJS8_S9_EEENSB_IJS8_SA_EEENS0_18inequality_wrapperIZN2at6native12_GLOBAL__N_124unique_dim_cuda_templateIdEESt5tupleIJNSF_6TensorESK_SK_EERKSK_lbbbEUlllE0_EEPmJS9_EEE10hipError_tPvRmT3_T4_T5_T6_T7_T9_mT8_P12ihipStream_tbDpT10_ENKUlT_T0_E_clISt17integral_constantIbLb1EES1A_EEDaS15_S16_EUlS15_E_NS1_11comp_targetILNS1_3genE10ELNS1_11target_archE1200ELNS1_3gpuE4ELNS1_3repE0EEENS1_30default_config_static_selectorELNS0_4arch9wavefront6targetE1EEEvT1_
	.p2align	8
	.type	_ZN7rocprim17ROCPRIM_400000_NS6detail17trampoline_kernelINS0_14default_configENS1_25partition_config_selectorILNS1_17partition_subalgoE9EllbEEZZNS1_14partition_implILS5_9ELb0ES3_jPlS8_PNS0_10empty_typeENS0_5tupleIJS8_S9_EEENSB_IJS8_SA_EEENS0_18inequality_wrapperIZN2at6native12_GLOBAL__N_124unique_dim_cuda_templateIdEESt5tupleIJNSF_6TensorESK_SK_EERKSK_lbbbEUlllE0_EEPmJS9_EEE10hipError_tPvRmT3_T4_T5_T6_T7_T9_mT8_P12ihipStream_tbDpT10_ENKUlT_T0_E_clISt17integral_constantIbLb1EES1A_EEDaS15_S16_EUlS15_E_NS1_11comp_targetILNS1_3genE10ELNS1_11target_archE1200ELNS1_3gpuE4ELNS1_3repE0EEENS1_30default_config_static_selectorELNS0_4arch9wavefront6targetE1EEEvT1_,@function
_ZN7rocprim17ROCPRIM_400000_NS6detail17trampoline_kernelINS0_14default_configENS1_25partition_config_selectorILNS1_17partition_subalgoE9EllbEEZZNS1_14partition_implILS5_9ELb0ES3_jPlS8_PNS0_10empty_typeENS0_5tupleIJS8_S9_EEENSB_IJS8_SA_EEENS0_18inequality_wrapperIZN2at6native12_GLOBAL__N_124unique_dim_cuda_templateIdEESt5tupleIJNSF_6TensorESK_SK_EERKSK_lbbbEUlllE0_EEPmJS9_EEE10hipError_tPvRmT3_T4_T5_T6_T7_T9_mT8_P12ihipStream_tbDpT10_ENKUlT_T0_E_clISt17integral_constantIbLb1EES1A_EEDaS15_S16_EUlS15_E_NS1_11comp_targetILNS1_3genE10ELNS1_11target_archE1200ELNS1_3gpuE4ELNS1_3repE0EEENS1_30default_config_static_selectorELNS0_4arch9wavefront6targetE1EEEvT1_: ; @_ZN7rocprim17ROCPRIM_400000_NS6detail17trampoline_kernelINS0_14default_configENS1_25partition_config_selectorILNS1_17partition_subalgoE9EllbEEZZNS1_14partition_implILS5_9ELb0ES3_jPlS8_PNS0_10empty_typeENS0_5tupleIJS8_S9_EEENSB_IJS8_SA_EEENS0_18inequality_wrapperIZN2at6native12_GLOBAL__N_124unique_dim_cuda_templateIdEESt5tupleIJNSF_6TensorESK_SK_EERKSK_lbbbEUlllE0_EEPmJS9_EEE10hipError_tPvRmT3_T4_T5_T6_T7_T9_mT8_P12ihipStream_tbDpT10_ENKUlT_T0_E_clISt17integral_constantIbLb1EES1A_EEDaS15_S16_EUlS15_E_NS1_11comp_targetILNS1_3genE10ELNS1_11target_archE1200ELNS1_3gpuE4ELNS1_3repE0EEENS1_30default_config_static_selectorELNS0_4arch9wavefront6targetE1EEEvT1_
; %bb.0:
	.section	.rodata,"a",@progbits
	.p2align	6, 0x0
	.amdhsa_kernel _ZN7rocprim17ROCPRIM_400000_NS6detail17trampoline_kernelINS0_14default_configENS1_25partition_config_selectorILNS1_17partition_subalgoE9EllbEEZZNS1_14partition_implILS5_9ELb0ES3_jPlS8_PNS0_10empty_typeENS0_5tupleIJS8_S9_EEENSB_IJS8_SA_EEENS0_18inequality_wrapperIZN2at6native12_GLOBAL__N_124unique_dim_cuda_templateIdEESt5tupleIJNSF_6TensorESK_SK_EERKSK_lbbbEUlllE0_EEPmJS9_EEE10hipError_tPvRmT3_T4_T5_T6_T7_T9_mT8_P12ihipStream_tbDpT10_ENKUlT_T0_E_clISt17integral_constantIbLb1EES1A_EEDaS15_S16_EUlS15_E_NS1_11comp_targetILNS1_3genE10ELNS1_11target_archE1200ELNS1_3gpuE4ELNS1_3repE0EEENS1_30default_config_static_selectorELNS0_4arch9wavefront6targetE1EEEvT1_
		.amdhsa_group_segment_fixed_size 0
		.amdhsa_private_segment_fixed_size 0
		.amdhsa_kernarg_size 136
		.amdhsa_user_sgpr_count 2
		.amdhsa_user_sgpr_dispatch_ptr 0
		.amdhsa_user_sgpr_queue_ptr 0
		.amdhsa_user_sgpr_kernarg_segment_ptr 1
		.amdhsa_user_sgpr_dispatch_id 0
		.amdhsa_user_sgpr_kernarg_preload_length 0
		.amdhsa_user_sgpr_kernarg_preload_offset 0
		.amdhsa_user_sgpr_private_segment_size 0
		.amdhsa_uses_dynamic_stack 0
		.amdhsa_enable_private_segment 0
		.amdhsa_system_sgpr_workgroup_id_x 1
		.amdhsa_system_sgpr_workgroup_id_y 0
		.amdhsa_system_sgpr_workgroup_id_z 0
		.amdhsa_system_sgpr_workgroup_info 0
		.amdhsa_system_vgpr_workitem_id 0
		.amdhsa_next_free_vgpr 1
		.amdhsa_next_free_sgpr 0
		.amdhsa_accum_offset 4
		.amdhsa_reserve_vcc 0
		.amdhsa_float_round_mode_32 0
		.amdhsa_float_round_mode_16_64 0
		.amdhsa_float_denorm_mode_32 3
		.amdhsa_float_denorm_mode_16_64 3
		.amdhsa_dx10_clamp 1
		.amdhsa_ieee_mode 1
		.amdhsa_fp16_overflow 0
		.amdhsa_tg_split 0
		.amdhsa_exception_fp_ieee_invalid_op 0
		.amdhsa_exception_fp_denorm_src 0
		.amdhsa_exception_fp_ieee_div_zero 0
		.amdhsa_exception_fp_ieee_overflow 0
		.amdhsa_exception_fp_ieee_underflow 0
		.amdhsa_exception_fp_ieee_inexact 0
		.amdhsa_exception_int_div_zero 0
	.end_amdhsa_kernel
	.section	.text._ZN7rocprim17ROCPRIM_400000_NS6detail17trampoline_kernelINS0_14default_configENS1_25partition_config_selectorILNS1_17partition_subalgoE9EllbEEZZNS1_14partition_implILS5_9ELb0ES3_jPlS8_PNS0_10empty_typeENS0_5tupleIJS8_S9_EEENSB_IJS8_SA_EEENS0_18inequality_wrapperIZN2at6native12_GLOBAL__N_124unique_dim_cuda_templateIdEESt5tupleIJNSF_6TensorESK_SK_EERKSK_lbbbEUlllE0_EEPmJS9_EEE10hipError_tPvRmT3_T4_T5_T6_T7_T9_mT8_P12ihipStream_tbDpT10_ENKUlT_T0_E_clISt17integral_constantIbLb1EES1A_EEDaS15_S16_EUlS15_E_NS1_11comp_targetILNS1_3genE10ELNS1_11target_archE1200ELNS1_3gpuE4ELNS1_3repE0EEENS1_30default_config_static_selectorELNS0_4arch9wavefront6targetE1EEEvT1_,"axG",@progbits,_ZN7rocprim17ROCPRIM_400000_NS6detail17trampoline_kernelINS0_14default_configENS1_25partition_config_selectorILNS1_17partition_subalgoE9EllbEEZZNS1_14partition_implILS5_9ELb0ES3_jPlS8_PNS0_10empty_typeENS0_5tupleIJS8_S9_EEENSB_IJS8_SA_EEENS0_18inequality_wrapperIZN2at6native12_GLOBAL__N_124unique_dim_cuda_templateIdEESt5tupleIJNSF_6TensorESK_SK_EERKSK_lbbbEUlllE0_EEPmJS9_EEE10hipError_tPvRmT3_T4_T5_T6_T7_T9_mT8_P12ihipStream_tbDpT10_ENKUlT_T0_E_clISt17integral_constantIbLb1EES1A_EEDaS15_S16_EUlS15_E_NS1_11comp_targetILNS1_3genE10ELNS1_11target_archE1200ELNS1_3gpuE4ELNS1_3repE0EEENS1_30default_config_static_selectorELNS0_4arch9wavefront6targetE1EEEvT1_,comdat
.Lfunc_end858:
	.size	_ZN7rocprim17ROCPRIM_400000_NS6detail17trampoline_kernelINS0_14default_configENS1_25partition_config_selectorILNS1_17partition_subalgoE9EllbEEZZNS1_14partition_implILS5_9ELb0ES3_jPlS8_PNS0_10empty_typeENS0_5tupleIJS8_S9_EEENSB_IJS8_SA_EEENS0_18inequality_wrapperIZN2at6native12_GLOBAL__N_124unique_dim_cuda_templateIdEESt5tupleIJNSF_6TensorESK_SK_EERKSK_lbbbEUlllE0_EEPmJS9_EEE10hipError_tPvRmT3_T4_T5_T6_T7_T9_mT8_P12ihipStream_tbDpT10_ENKUlT_T0_E_clISt17integral_constantIbLb1EES1A_EEDaS15_S16_EUlS15_E_NS1_11comp_targetILNS1_3genE10ELNS1_11target_archE1200ELNS1_3gpuE4ELNS1_3repE0EEENS1_30default_config_static_selectorELNS0_4arch9wavefront6targetE1EEEvT1_, .Lfunc_end858-_ZN7rocprim17ROCPRIM_400000_NS6detail17trampoline_kernelINS0_14default_configENS1_25partition_config_selectorILNS1_17partition_subalgoE9EllbEEZZNS1_14partition_implILS5_9ELb0ES3_jPlS8_PNS0_10empty_typeENS0_5tupleIJS8_S9_EEENSB_IJS8_SA_EEENS0_18inequality_wrapperIZN2at6native12_GLOBAL__N_124unique_dim_cuda_templateIdEESt5tupleIJNSF_6TensorESK_SK_EERKSK_lbbbEUlllE0_EEPmJS9_EEE10hipError_tPvRmT3_T4_T5_T6_T7_T9_mT8_P12ihipStream_tbDpT10_ENKUlT_T0_E_clISt17integral_constantIbLb1EES1A_EEDaS15_S16_EUlS15_E_NS1_11comp_targetILNS1_3genE10ELNS1_11target_archE1200ELNS1_3gpuE4ELNS1_3repE0EEENS1_30default_config_static_selectorELNS0_4arch9wavefront6targetE1EEEvT1_
                                        ; -- End function
	.section	.AMDGPU.csdata,"",@progbits
; Kernel info:
; codeLenInByte = 0
; NumSgprs: 6
; NumVgprs: 0
; NumAgprs: 0
; TotalNumVgprs: 0
; ScratchSize: 0
; MemoryBound: 0
; FloatMode: 240
; IeeeMode: 1
; LDSByteSize: 0 bytes/workgroup (compile time only)
; SGPRBlocks: 0
; VGPRBlocks: 0
; NumSGPRsForWavesPerEU: 6
; NumVGPRsForWavesPerEU: 1
; AccumOffset: 4
; Occupancy: 8
; WaveLimiterHint : 0
; COMPUTE_PGM_RSRC2:SCRATCH_EN: 0
; COMPUTE_PGM_RSRC2:USER_SGPR: 2
; COMPUTE_PGM_RSRC2:TRAP_HANDLER: 0
; COMPUTE_PGM_RSRC2:TGID_X_EN: 1
; COMPUTE_PGM_RSRC2:TGID_Y_EN: 0
; COMPUTE_PGM_RSRC2:TGID_Z_EN: 0
; COMPUTE_PGM_RSRC2:TIDIG_COMP_CNT: 0
; COMPUTE_PGM_RSRC3_GFX90A:ACCUM_OFFSET: 0
; COMPUTE_PGM_RSRC3_GFX90A:TG_SPLIT: 0
	.section	.text._ZN7rocprim17ROCPRIM_400000_NS6detail17trampoline_kernelINS0_14default_configENS1_25partition_config_selectorILNS1_17partition_subalgoE9EllbEEZZNS1_14partition_implILS5_9ELb0ES3_jPlS8_PNS0_10empty_typeENS0_5tupleIJS8_S9_EEENSB_IJS8_SA_EEENS0_18inequality_wrapperIZN2at6native12_GLOBAL__N_124unique_dim_cuda_templateIdEESt5tupleIJNSF_6TensorESK_SK_EERKSK_lbbbEUlllE0_EEPmJS9_EEE10hipError_tPvRmT3_T4_T5_T6_T7_T9_mT8_P12ihipStream_tbDpT10_ENKUlT_T0_E_clISt17integral_constantIbLb1EES1A_EEDaS15_S16_EUlS15_E_NS1_11comp_targetILNS1_3genE9ELNS1_11target_archE1100ELNS1_3gpuE3ELNS1_3repE0EEENS1_30default_config_static_selectorELNS0_4arch9wavefront6targetE1EEEvT1_,"axG",@progbits,_ZN7rocprim17ROCPRIM_400000_NS6detail17trampoline_kernelINS0_14default_configENS1_25partition_config_selectorILNS1_17partition_subalgoE9EllbEEZZNS1_14partition_implILS5_9ELb0ES3_jPlS8_PNS0_10empty_typeENS0_5tupleIJS8_S9_EEENSB_IJS8_SA_EEENS0_18inequality_wrapperIZN2at6native12_GLOBAL__N_124unique_dim_cuda_templateIdEESt5tupleIJNSF_6TensorESK_SK_EERKSK_lbbbEUlllE0_EEPmJS9_EEE10hipError_tPvRmT3_T4_T5_T6_T7_T9_mT8_P12ihipStream_tbDpT10_ENKUlT_T0_E_clISt17integral_constantIbLb1EES1A_EEDaS15_S16_EUlS15_E_NS1_11comp_targetILNS1_3genE9ELNS1_11target_archE1100ELNS1_3gpuE3ELNS1_3repE0EEENS1_30default_config_static_selectorELNS0_4arch9wavefront6targetE1EEEvT1_,comdat
	.globl	_ZN7rocprim17ROCPRIM_400000_NS6detail17trampoline_kernelINS0_14default_configENS1_25partition_config_selectorILNS1_17partition_subalgoE9EllbEEZZNS1_14partition_implILS5_9ELb0ES3_jPlS8_PNS0_10empty_typeENS0_5tupleIJS8_S9_EEENSB_IJS8_SA_EEENS0_18inequality_wrapperIZN2at6native12_GLOBAL__N_124unique_dim_cuda_templateIdEESt5tupleIJNSF_6TensorESK_SK_EERKSK_lbbbEUlllE0_EEPmJS9_EEE10hipError_tPvRmT3_T4_T5_T6_T7_T9_mT8_P12ihipStream_tbDpT10_ENKUlT_T0_E_clISt17integral_constantIbLb1EES1A_EEDaS15_S16_EUlS15_E_NS1_11comp_targetILNS1_3genE9ELNS1_11target_archE1100ELNS1_3gpuE3ELNS1_3repE0EEENS1_30default_config_static_selectorELNS0_4arch9wavefront6targetE1EEEvT1_ ; -- Begin function _ZN7rocprim17ROCPRIM_400000_NS6detail17trampoline_kernelINS0_14default_configENS1_25partition_config_selectorILNS1_17partition_subalgoE9EllbEEZZNS1_14partition_implILS5_9ELb0ES3_jPlS8_PNS0_10empty_typeENS0_5tupleIJS8_S9_EEENSB_IJS8_SA_EEENS0_18inequality_wrapperIZN2at6native12_GLOBAL__N_124unique_dim_cuda_templateIdEESt5tupleIJNSF_6TensorESK_SK_EERKSK_lbbbEUlllE0_EEPmJS9_EEE10hipError_tPvRmT3_T4_T5_T6_T7_T9_mT8_P12ihipStream_tbDpT10_ENKUlT_T0_E_clISt17integral_constantIbLb1EES1A_EEDaS15_S16_EUlS15_E_NS1_11comp_targetILNS1_3genE9ELNS1_11target_archE1100ELNS1_3gpuE3ELNS1_3repE0EEENS1_30default_config_static_selectorELNS0_4arch9wavefront6targetE1EEEvT1_
	.p2align	8
	.type	_ZN7rocprim17ROCPRIM_400000_NS6detail17trampoline_kernelINS0_14default_configENS1_25partition_config_selectorILNS1_17partition_subalgoE9EllbEEZZNS1_14partition_implILS5_9ELb0ES3_jPlS8_PNS0_10empty_typeENS0_5tupleIJS8_S9_EEENSB_IJS8_SA_EEENS0_18inequality_wrapperIZN2at6native12_GLOBAL__N_124unique_dim_cuda_templateIdEESt5tupleIJNSF_6TensorESK_SK_EERKSK_lbbbEUlllE0_EEPmJS9_EEE10hipError_tPvRmT3_T4_T5_T6_T7_T9_mT8_P12ihipStream_tbDpT10_ENKUlT_T0_E_clISt17integral_constantIbLb1EES1A_EEDaS15_S16_EUlS15_E_NS1_11comp_targetILNS1_3genE9ELNS1_11target_archE1100ELNS1_3gpuE3ELNS1_3repE0EEENS1_30default_config_static_selectorELNS0_4arch9wavefront6targetE1EEEvT1_,@function
_ZN7rocprim17ROCPRIM_400000_NS6detail17trampoline_kernelINS0_14default_configENS1_25partition_config_selectorILNS1_17partition_subalgoE9EllbEEZZNS1_14partition_implILS5_9ELb0ES3_jPlS8_PNS0_10empty_typeENS0_5tupleIJS8_S9_EEENSB_IJS8_SA_EEENS0_18inequality_wrapperIZN2at6native12_GLOBAL__N_124unique_dim_cuda_templateIdEESt5tupleIJNSF_6TensorESK_SK_EERKSK_lbbbEUlllE0_EEPmJS9_EEE10hipError_tPvRmT3_T4_T5_T6_T7_T9_mT8_P12ihipStream_tbDpT10_ENKUlT_T0_E_clISt17integral_constantIbLb1EES1A_EEDaS15_S16_EUlS15_E_NS1_11comp_targetILNS1_3genE9ELNS1_11target_archE1100ELNS1_3gpuE3ELNS1_3repE0EEENS1_30default_config_static_selectorELNS0_4arch9wavefront6targetE1EEEvT1_: ; @_ZN7rocprim17ROCPRIM_400000_NS6detail17trampoline_kernelINS0_14default_configENS1_25partition_config_selectorILNS1_17partition_subalgoE9EllbEEZZNS1_14partition_implILS5_9ELb0ES3_jPlS8_PNS0_10empty_typeENS0_5tupleIJS8_S9_EEENSB_IJS8_SA_EEENS0_18inequality_wrapperIZN2at6native12_GLOBAL__N_124unique_dim_cuda_templateIdEESt5tupleIJNSF_6TensorESK_SK_EERKSK_lbbbEUlllE0_EEPmJS9_EEE10hipError_tPvRmT3_T4_T5_T6_T7_T9_mT8_P12ihipStream_tbDpT10_ENKUlT_T0_E_clISt17integral_constantIbLb1EES1A_EEDaS15_S16_EUlS15_E_NS1_11comp_targetILNS1_3genE9ELNS1_11target_archE1100ELNS1_3gpuE3ELNS1_3repE0EEENS1_30default_config_static_selectorELNS0_4arch9wavefront6targetE1EEEvT1_
; %bb.0:
	.section	.rodata,"a",@progbits
	.p2align	6, 0x0
	.amdhsa_kernel _ZN7rocprim17ROCPRIM_400000_NS6detail17trampoline_kernelINS0_14default_configENS1_25partition_config_selectorILNS1_17partition_subalgoE9EllbEEZZNS1_14partition_implILS5_9ELb0ES3_jPlS8_PNS0_10empty_typeENS0_5tupleIJS8_S9_EEENSB_IJS8_SA_EEENS0_18inequality_wrapperIZN2at6native12_GLOBAL__N_124unique_dim_cuda_templateIdEESt5tupleIJNSF_6TensorESK_SK_EERKSK_lbbbEUlllE0_EEPmJS9_EEE10hipError_tPvRmT3_T4_T5_T6_T7_T9_mT8_P12ihipStream_tbDpT10_ENKUlT_T0_E_clISt17integral_constantIbLb1EES1A_EEDaS15_S16_EUlS15_E_NS1_11comp_targetILNS1_3genE9ELNS1_11target_archE1100ELNS1_3gpuE3ELNS1_3repE0EEENS1_30default_config_static_selectorELNS0_4arch9wavefront6targetE1EEEvT1_
		.amdhsa_group_segment_fixed_size 0
		.amdhsa_private_segment_fixed_size 0
		.amdhsa_kernarg_size 136
		.amdhsa_user_sgpr_count 2
		.amdhsa_user_sgpr_dispatch_ptr 0
		.amdhsa_user_sgpr_queue_ptr 0
		.amdhsa_user_sgpr_kernarg_segment_ptr 1
		.amdhsa_user_sgpr_dispatch_id 0
		.amdhsa_user_sgpr_kernarg_preload_length 0
		.amdhsa_user_sgpr_kernarg_preload_offset 0
		.amdhsa_user_sgpr_private_segment_size 0
		.amdhsa_uses_dynamic_stack 0
		.amdhsa_enable_private_segment 0
		.amdhsa_system_sgpr_workgroup_id_x 1
		.amdhsa_system_sgpr_workgroup_id_y 0
		.amdhsa_system_sgpr_workgroup_id_z 0
		.amdhsa_system_sgpr_workgroup_info 0
		.amdhsa_system_vgpr_workitem_id 0
		.amdhsa_next_free_vgpr 1
		.amdhsa_next_free_sgpr 0
		.amdhsa_accum_offset 4
		.amdhsa_reserve_vcc 0
		.amdhsa_float_round_mode_32 0
		.amdhsa_float_round_mode_16_64 0
		.amdhsa_float_denorm_mode_32 3
		.amdhsa_float_denorm_mode_16_64 3
		.amdhsa_dx10_clamp 1
		.amdhsa_ieee_mode 1
		.amdhsa_fp16_overflow 0
		.amdhsa_tg_split 0
		.amdhsa_exception_fp_ieee_invalid_op 0
		.amdhsa_exception_fp_denorm_src 0
		.amdhsa_exception_fp_ieee_div_zero 0
		.amdhsa_exception_fp_ieee_overflow 0
		.amdhsa_exception_fp_ieee_underflow 0
		.amdhsa_exception_fp_ieee_inexact 0
		.amdhsa_exception_int_div_zero 0
	.end_amdhsa_kernel
	.section	.text._ZN7rocprim17ROCPRIM_400000_NS6detail17trampoline_kernelINS0_14default_configENS1_25partition_config_selectorILNS1_17partition_subalgoE9EllbEEZZNS1_14partition_implILS5_9ELb0ES3_jPlS8_PNS0_10empty_typeENS0_5tupleIJS8_S9_EEENSB_IJS8_SA_EEENS0_18inequality_wrapperIZN2at6native12_GLOBAL__N_124unique_dim_cuda_templateIdEESt5tupleIJNSF_6TensorESK_SK_EERKSK_lbbbEUlllE0_EEPmJS9_EEE10hipError_tPvRmT3_T4_T5_T6_T7_T9_mT8_P12ihipStream_tbDpT10_ENKUlT_T0_E_clISt17integral_constantIbLb1EES1A_EEDaS15_S16_EUlS15_E_NS1_11comp_targetILNS1_3genE9ELNS1_11target_archE1100ELNS1_3gpuE3ELNS1_3repE0EEENS1_30default_config_static_selectorELNS0_4arch9wavefront6targetE1EEEvT1_,"axG",@progbits,_ZN7rocprim17ROCPRIM_400000_NS6detail17trampoline_kernelINS0_14default_configENS1_25partition_config_selectorILNS1_17partition_subalgoE9EllbEEZZNS1_14partition_implILS5_9ELb0ES3_jPlS8_PNS0_10empty_typeENS0_5tupleIJS8_S9_EEENSB_IJS8_SA_EEENS0_18inequality_wrapperIZN2at6native12_GLOBAL__N_124unique_dim_cuda_templateIdEESt5tupleIJNSF_6TensorESK_SK_EERKSK_lbbbEUlllE0_EEPmJS9_EEE10hipError_tPvRmT3_T4_T5_T6_T7_T9_mT8_P12ihipStream_tbDpT10_ENKUlT_T0_E_clISt17integral_constantIbLb1EES1A_EEDaS15_S16_EUlS15_E_NS1_11comp_targetILNS1_3genE9ELNS1_11target_archE1100ELNS1_3gpuE3ELNS1_3repE0EEENS1_30default_config_static_selectorELNS0_4arch9wavefront6targetE1EEEvT1_,comdat
.Lfunc_end859:
	.size	_ZN7rocprim17ROCPRIM_400000_NS6detail17trampoline_kernelINS0_14default_configENS1_25partition_config_selectorILNS1_17partition_subalgoE9EllbEEZZNS1_14partition_implILS5_9ELb0ES3_jPlS8_PNS0_10empty_typeENS0_5tupleIJS8_S9_EEENSB_IJS8_SA_EEENS0_18inequality_wrapperIZN2at6native12_GLOBAL__N_124unique_dim_cuda_templateIdEESt5tupleIJNSF_6TensorESK_SK_EERKSK_lbbbEUlllE0_EEPmJS9_EEE10hipError_tPvRmT3_T4_T5_T6_T7_T9_mT8_P12ihipStream_tbDpT10_ENKUlT_T0_E_clISt17integral_constantIbLb1EES1A_EEDaS15_S16_EUlS15_E_NS1_11comp_targetILNS1_3genE9ELNS1_11target_archE1100ELNS1_3gpuE3ELNS1_3repE0EEENS1_30default_config_static_selectorELNS0_4arch9wavefront6targetE1EEEvT1_, .Lfunc_end859-_ZN7rocprim17ROCPRIM_400000_NS6detail17trampoline_kernelINS0_14default_configENS1_25partition_config_selectorILNS1_17partition_subalgoE9EllbEEZZNS1_14partition_implILS5_9ELb0ES3_jPlS8_PNS0_10empty_typeENS0_5tupleIJS8_S9_EEENSB_IJS8_SA_EEENS0_18inequality_wrapperIZN2at6native12_GLOBAL__N_124unique_dim_cuda_templateIdEESt5tupleIJNSF_6TensorESK_SK_EERKSK_lbbbEUlllE0_EEPmJS9_EEE10hipError_tPvRmT3_T4_T5_T6_T7_T9_mT8_P12ihipStream_tbDpT10_ENKUlT_T0_E_clISt17integral_constantIbLb1EES1A_EEDaS15_S16_EUlS15_E_NS1_11comp_targetILNS1_3genE9ELNS1_11target_archE1100ELNS1_3gpuE3ELNS1_3repE0EEENS1_30default_config_static_selectorELNS0_4arch9wavefront6targetE1EEEvT1_
                                        ; -- End function
	.section	.AMDGPU.csdata,"",@progbits
; Kernel info:
; codeLenInByte = 0
; NumSgprs: 6
; NumVgprs: 0
; NumAgprs: 0
; TotalNumVgprs: 0
; ScratchSize: 0
; MemoryBound: 0
; FloatMode: 240
; IeeeMode: 1
; LDSByteSize: 0 bytes/workgroup (compile time only)
; SGPRBlocks: 0
; VGPRBlocks: 0
; NumSGPRsForWavesPerEU: 6
; NumVGPRsForWavesPerEU: 1
; AccumOffset: 4
; Occupancy: 8
; WaveLimiterHint : 0
; COMPUTE_PGM_RSRC2:SCRATCH_EN: 0
; COMPUTE_PGM_RSRC2:USER_SGPR: 2
; COMPUTE_PGM_RSRC2:TRAP_HANDLER: 0
; COMPUTE_PGM_RSRC2:TGID_X_EN: 1
; COMPUTE_PGM_RSRC2:TGID_Y_EN: 0
; COMPUTE_PGM_RSRC2:TGID_Z_EN: 0
; COMPUTE_PGM_RSRC2:TIDIG_COMP_CNT: 0
; COMPUTE_PGM_RSRC3_GFX90A:ACCUM_OFFSET: 0
; COMPUTE_PGM_RSRC3_GFX90A:TG_SPLIT: 0
	.section	.text._ZN7rocprim17ROCPRIM_400000_NS6detail17trampoline_kernelINS0_14default_configENS1_25partition_config_selectorILNS1_17partition_subalgoE9EllbEEZZNS1_14partition_implILS5_9ELb0ES3_jPlS8_PNS0_10empty_typeENS0_5tupleIJS8_S9_EEENSB_IJS8_SA_EEENS0_18inequality_wrapperIZN2at6native12_GLOBAL__N_124unique_dim_cuda_templateIdEESt5tupleIJNSF_6TensorESK_SK_EERKSK_lbbbEUlllE0_EEPmJS9_EEE10hipError_tPvRmT3_T4_T5_T6_T7_T9_mT8_P12ihipStream_tbDpT10_ENKUlT_T0_E_clISt17integral_constantIbLb1EES1A_EEDaS15_S16_EUlS15_E_NS1_11comp_targetILNS1_3genE8ELNS1_11target_archE1030ELNS1_3gpuE2ELNS1_3repE0EEENS1_30default_config_static_selectorELNS0_4arch9wavefront6targetE1EEEvT1_,"axG",@progbits,_ZN7rocprim17ROCPRIM_400000_NS6detail17trampoline_kernelINS0_14default_configENS1_25partition_config_selectorILNS1_17partition_subalgoE9EllbEEZZNS1_14partition_implILS5_9ELb0ES3_jPlS8_PNS0_10empty_typeENS0_5tupleIJS8_S9_EEENSB_IJS8_SA_EEENS0_18inequality_wrapperIZN2at6native12_GLOBAL__N_124unique_dim_cuda_templateIdEESt5tupleIJNSF_6TensorESK_SK_EERKSK_lbbbEUlllE0_EEPmJS9_EEE10hipError_tPvRmT3_T4_T5_T6_T7_T9_mT8_P12ihipStream_tbDpT10_ENKUlT_T0_E_clISt17integral_constantIbLb1EES1A_EEDaS15_S16_EUlS15_E_NS1_11comp_targetILNS1_3genE8ELNS1_11target_archE1030ELNS1_3gpuE2ELNS1_3repE0EEENS1_30default_config_static_selectorELNS0_4arch9wavefront6targetE1EEEvT1_,comdat
	.globl	_ZN7rocprim17ROCPRIM_400000_NS6detail17trampoline_kernelINS0_14default_configENS1_25partition_config_selectorILNS1_17partition_subalgoE9EllbEEZZNS1_14partition_implILS5_9ELb0ES3_jPlS8_PNS0_10empty_typeENS0_5tupleIJS8_S9_EEENSB_IJS8_SA_EEENS0_18inequality_wrapperIZN2at6native12_GLOBAL__N_124unique_dim_cuda_templateIdEESt5tupleIJNSF_6TensorESK_SK_EERKSK_lbbbEUlllE0_EEPmJS9_EEE10hipError_tPvRmT3_T4_T5_T6_T7_T9_mT8_P12ihipStream_tbDpT10_ENKUlT_T0_E_clISt17integral_constantIbLb1EES1A_EEDaS15_S16_EUlS15_E_NS1_11comp_targetILNS1_3genE8ELNS1_11target_archE1030ELNS1_3gpuE2ELNS1_3repE0EEENS1_30default_config_static_selectorELNS0_4arch9wavefront6targetE1EEEvT1_ ; -- Begin function _ZN7rocprim17ROCPRIM_400000_NS6detail17trampoline_kernelINS0_14default_configENS1_25partition_config_selectorILNS1_17partition_subalgoE9EllbEEZZNS1_14partition_implILS5_9ELb0ES3_jPlS8_PNS0_10empty_typeENS0_5tupleIJS8_S9_EEENSB_IJS8_SA_EEENS0_18inequality_wrapperIZN2at6native12_GLOBAL__N_124unique_dim_cuda_templateIdEESt5tupleIJNSF_6TensorESK_SK_EERKSK_lbbbEUlllE0_EEPmJS9_EEE10hipError_tPvRmT3_T4_T5_T6_T7_T9_mT8_P12ihipStream_tbDpT10_ENKUlT_T0_E_clISt17integral_constantIbLb1EES1A_EEDaS15_S16_EUlS15_E_NS1_11comp_targetILNS1_3genE8ELNS1_11target_archE1030ELNS1_3gpuE2ELNS1_3repE0EEENS1_30default_config_static_selectorELNS0_4arch9wavefront6targetE1EEEvT1_
	.p2align	8
	.type	_ZN7rocprim17ROCPRIM_400000_NS6detail17trampoline_kernelINS0_14default_configENS1_25partition_config_selectorILNS1_17partition_subalgoE9EllbEEZZNS1_14partition_implILS5_9ELb0ES3_jPlS8_PNS0_10empty_typeENS0_5tupleIJS8_S9_EEENSB_IJS8_SA_EEENS0_18inequality_wrapperIZN2at6native12_GLOBAL__N_124unique_dim_cuda_templateIdEESt5tupleIJNSF_6TensorESK_SK_EERKSK_lbbbEUlllE0_EEPmJS9_EEE10hipError_tPvRmT3_T4_T5_T6_T7_T9_mT8_P12ihipStream_tbDpT10_ENKUlT_T0_E_clISt17integral_constantIbLb1EES1A_EEDaS15_S16_EUlS15_E_NS1_11comp_targetILNS1_3genE8ELNS1_11target_archE1030ELNS1_3gpuE2ELNS1_3repE0EEENS1_30default_config_static_selectorELNS0_4arch9wavefront6targetE1EEEvT1_,@function
_ZN7rocprim17ROCPRIM_400000_NS6detail17trampoline_kernelINS0_14default_configENS1_25partition_config_selectorILNS1_17partition_subalgoE9EllbEEZZNS1_14partition_implILS5_9ELb0ES3_jPlS8_PNS0_10empty_typeENS0_5tupleIJS8_S9_EEENSB_IJS8_SA_EEENS0_18inequality_wrapperIZN2at6native12_GLOBAL__N_124unique_dim_cuda_templateIdEESt5tupleIJNSF_6TensorESK_SK_EERKSK_lbbbEUlllE0_EEPmJS9_EEE10hipError_tPvRmT3_T4_T5_T6_T7_T9_mT8_P12ihipStream_tbDpT10_ENKUlT_T0_E_clISt17integral_constantIbLb1EES1A_EEDaS15_S16_EUlS15_E_NS1_11comp_targetILNS1_3genE8ELNS1_11target_archE1030ELNS1_3gpuE2ELNS1_3repE0EEENS1_30default_config_static_selectorELNS0_4arch9wavefront6targetE1EEEvT1_: ; @_ZN7rocprim17ROCPRIM_400000_NS6detail17trampoline_kernelINS0_14default_configENS1_25partition_config_selectorILNS1_17partition_subalgoE9EllbEEZZNS1_14partition_implILS5_9ELb0ES3_jPlS8_PNS0_10empty_typeENS0_5tupleIJS8_S9_EEENSB_IJS8_SA_EEENS0_18inequality_wrapperIZN2at6native12_GLOBAL__N_124unique_dim_cuda_templateIdEESt5tupleIJNSF_6TensorESK_SK_EERKSK_lbbbEUlllE0_EEPmJS9_EEE10hipError_tPvRmT3_T4_T5_T6_T7_T9_mT8_P12ihipStream_tbDpT10_ENKUlT_T0_E_clISt17integral_constantIbLb1EES1A_EEDaS15_S16_EUlS15_E_NS1_11comp_targetILNS1_3genE8ELNS1_11target_archE1030ELNS1_3gpuE2ELNS1_3repE0EEENS1_30default_config_static_selectorELNS0_4arch9wavefront6targetE1EEEvT1_
; %bb.0:
	.section	.rodata,"a",@progbits
	.p2align	6, 0x0
	.amdhsa_kernel _ZN7rocprim17ROCPRIM_400000_NS6detail17trampoline_kernelINS0_14default_configENS1_25partition_config_selectorILNS1_17partition_subalgoE9EllbEEZZNS1_14partition_implILS5_9ELb0ES3_jPlS8_PNS0_10empty_typeENS0_5tupleIJS8_S9_EEENSB_IJS8_SA_EEENS0_18inequality_wrapperIZN2at6native12_GLOBAL__N_124unique_dim_cuda_templateIdEESt5tupleIJNSF_6TensorESK_SK_EERKSK_lbbbEUlllE0_EEPmJS9_EEE10hipError_tPvRmT3_T4_T5_T6_T7_T9_mT8_P12ihipStream_tbDpT10_ENKUlT_T0_E_clISt17integral_constantIbLb1EES1A_EEDaS15_S16_EUlS15_E_NS1_11comp_targetILNS1_3genE8ELNS1_11target_archE1030ELNS1_3gpuE2ELNS1_3repE0EEENS1_30default_config_static_selectorELNS0_4arch9wavefront6targetE1EEEvT1_
		.amdhsa_group_segment_fixed_size 0
		.amdhsa_private_segment_fixed_size 0
		.amdhsa_kernarg_size 136
		.amdhsa_user_sgpr_count 2
		.amdhsa_user_sgpr_dispatch_ptr 0
		.amdhsa_user_sgpr_queue_ptr 0
		.amdhsa_user_sgpr_kernarg_segment_ptr 1
		.amdhsa_user_sgpr_dispatch_id 0
		.amdhsa_user_sgpr_kernarg_preload_length 0
		.amdhsa_user_sgpr_kernarg_preload_offset 0
		.amdhsa_user_sgpr_private_segment_size 0
		.amdhsa_uses_dynamic_stack 0
		.amdhsa_enable_private_segment 0
		.amdhsa_system_sgpr_workgroup_id_x 1
		.amdhsa_system_sgpr_workgroup_id_y 0
		.amdhsa_system_sgpr_workgroup_id_z 0
		.amdhsa_system_sgpr_workgroup_info 0
		.amdhsa_system_vgpr_workitem_id 0
		.amdhsa_next_free_vgpr 1
		.amdhsa_next_free_sgpr 0
		.amdhsa_accum_offset 4
		.amdhsa_reserve_vcc 0
		.amdhsa_float_round_mode_32 0
		.amdhsa_float_round_mode_16_64 0
		.amdhsa_float_denorm_mode_32 3
		.amdhsa_float_denorm_mode_16_64 3
		.amdhsa_dx10_clamp 1
		.amdhsa_ieee_mode 1
		.amdhsa_fp16_overflow 0
		.amdhsa_tg_split 0
		.amdhsa_exception_fp_ieee_invalid_op 0
		.amdhsa_exception_fp_denorm_src 0
		.amdhsa_exception_fp_ieee_div_zero 0
		.amdhsa_exception_fp_ieee_overflow 0
		.amdhsa_exception_fp_ieee_underflow 0
		.amdhsa_exception_fp_ieee_inexact 0
		.amdhsa_exception_int_div_zero 0
	.end_amdhsa_kernel
	.section	.text._ZN7rocprim17ROCPRIM_400000_NS6detail17trampoline_kernelINS0_14default_configENS1_25partition_config_selectorILNS1_17partition_subalgoE9EllbEEZZNS1_14partition_implILS5_9ELb0ES3_jPlS8_PNS0_10empty_typeENS0_5tupleIJS8_S9_EEENSB_IJS8_SA_EEENS0_18inequality_wrapperIZN2at6native12_GLOBAL__N_124unique_dim_cuda_templateIdEESt5tupleIJNSF_6TensorESK_SK_EERKSK_lbbbEUlllE0_EEPmJS9_EEE10hipError_tPvRmT3_T4_T5_T6_T7_T9_mT8_P12ihipStream_tbDpT10_ENKUlT_T0_E_clISt17integral_constantIbLb1EES1A_EEDaS15_S16_EUlS15_E_NS1_11comp_targetILNS1_3genE8ELNS1_11target_archE1030ELNS1_3gpuE2ELNS1_3repE0EEENS1_30default_config_static_selectorELNS0_4arch9wavefront6targetE1EEEvT1_,"axG",@progbits,_ZN7rocprim17ROCPRIM_400000_NS6detail17trampoline_kernelINS0_14default_configENS1_25partition_config_selectorILNS1_17partition_subalgoE9EllbEEZZNS1_14partition_implILS5_9ELb0ES3_jPlS8_PNS0_10empty_typeENS0_5tupleIJS8_S9_EEENSB_IJS8_SA_EEENS0_18inequality_wrapperIZN2at6native12_GLOBAL__N_124unique_dim_cuda_templateIdEESt5tupleIJNSF_6TensorESK_SK_EERKSK_lbbbEUlllE0_EEPmJS9_EEE10hipError_tPvRmT3_T4_T5_T6_T7_T9_mT8_P12ihipStream_tbDpT10_ENKUlT_T0_E_clISt17integral_constantIbLb1EES1A_EEDaS15_S16_EUlS15_E_NS1_11comp_targetILNS1_3genE8ELNS1_11target_archE1030ELNS1_3gpuE2ELNS1_3repE0EEENS1_30default_config_static_selectorELNS0_4arch9wavefront6targetE1EEEvT1_,comdat
.Lfunc_end860:
	.size	_ZN7rocprim17ROCPRIM_400000_NS6detail17trampoline_kernelINS0_14default_configENS1_25partition_config_selectorILNS1_17partition_subalgoE9EllbEEZZNS1_14partition_implILS5_9ELb0ES3_jPlS8_PNS0_10empty_typeENS0_5tupleIJS8_S9_EEENSB_IJS8_SA_EEENS0_18inequality_wrapperIZN2at6native12_GLOBAL__N_124unique_dim_cuda_templateIdEESt5tupleIJNSF_6TensorESK_SK_EERKSK_lbbbEUlllE0_EEPmJS9_EEE10hipError_tPvRmT3_T4_T5_T6_T7_T9_mT8_P12ihipStream_tbDpT10_ENKUlT_T0_E_clISt17integral_constantIbLb1EES1A_EEDaS15_S16_EUlS15_E_NS1_11comp_targetILNS1_3genE8ELNS1_11target_archE1030ELNS1_3gpuE2ELNS1_3repE0EEENS1_30default_config_static_selectorELNS0_4arch9wavefront6targetE1EEEvT1_, .Lfunc_end860-_ZN7rocprim17ROCPRIM_400000_NS6detail17trampoline_kernelINS0_14default_configENS1_25partition_config_selectorILNS1_17partition_subalgoE9EllbEEZZNS1_14partition_implILS5_9ELb0ES3_jPlS8_PNS0_10empty_typeENS0_5tupleIJS8_S9_EEENSB_IJS8_SA_EEENS0_18inequality_wrapperIZN2at6native12_GLOBAL__N_124unique_dim_cuda_templateIdEESt5tupleIJNSF_6TensorESK_SK_EERKSK_lbbbEUlllE0_EEPmJS9_EEE10hipError_tPvRmT3_T4_T5_T6_T7_T9_mT8_P12ihipStream_tbDpT10_ENKUlT_T0_E_clISt17integral_constantIbLb1EES1A_EEDaS15_S16_EUlS15_E_NS1_11comp_targetILNS1_3genE8ELNS1_11target_archE1030ELNS1_3gpuE2ELNS1_3repE0EEENS1_30default_config_static_selectorELNS0_4arch9wavefront6targetE1EEEvT1_
                                        ; -- End function
	.section	.AMDGPU.csdata,"",@progbits
; Kernel info:
; codeLenInByte = 0
; NumSgprs: 6
; NumVgprs: 0
; NumAgprs: 0
; TotalNumVgprs: 0
; ScratchSize: 0
; MemoryBound: 0
; FloatMode: 240
; IeeeMode: 1
; LDSByteSize: 0 bytes/workgroup (compile time only)
; SGPRBlocks: 0
; VGPRBlocks: 0
; NumSGPRsForWavesPerEU: 6
; NumVGPRsForWavesPerEU: 1
; AccumOffset: 4
; Occupancy: 8
; WaveLimiterHint : 0
; COMPUTE_PGM_RSRC2:SCRATCH_EN: 0
; COMPUTE_PGM_RSRC2:USER_SGPR: 2
; COMPUTE_PGM_RSRC2:TRAP_HANDLER: 0
; COMPUTE_PGM_RSRC2:TGID_X_EN: 1
; COMPUTE_PGM_RSRC2:TGID_Y_EN: 0
; COMPUTE_PGM_RSRC2:TGID_Z_EN: 0
; COMPUTE_PGM_RSRC2:TIDIG_COMP_CNT: 0
; COMPUTE_PGM_RSRC3_GFX90A:ACCUM_OFFSET: 0
; COMPUTE_PGM_RSRC3_GFX90A:TG_SPLIT: 0
	.section	.text._ZN7rocprim17ROCPRIM_400000_NS6detail17trampoline_kernelINS0_14default_configENS1_25partition_config_selectorILNS1_17partition_subalgoE9EllbEEZZNS1_14partition_implILS5_9ELb0ES3_jPlS8_PNS0_10empty_typeENS0_5tupleIJS8_S9_EEENSB_IJS8_SA_EEENS0_18inequality_wrapperIZN2at6native12_GLOBAL__N_124unique_dim_cuda_templateIdEESt5tupleIJNSF_6TensorESK_SK_EERKSK_lbbbEUlllE0_EEPmJS9_EEE10hipError_tPvRmT3_T4_T5_T6_T7_T9_mT8_P12ihipStream_tbDpT10_ENKUlT_T0_E_clISt17integral_constantIbLb1EES19_IbLb0EEEEDaS15_S16_EUlS15_E_NS1_11comp_targetILNS1_3genE0ELNS1_11target_archE4294967295ELNS1_3gpuE0ELNS1_3repE0EEENS1_30default_config_static_selectorELNS0_4arch9wavefront6targetE1EEEvT1_,"axG",@progbits,_ZN7rocprim17ROCPRIM_400000_NS6detail17trampoline_kernelINS0_14default_configENS1_25partition_config_selectorILNS1_17partition_subalgoE9EllbEEZZNS1_14partition_implILS5_9ELb0ES3_jPlS8_PNS0_10empty_typeENS0_5tupleIJS8_S9_EEENSB_IJS8_SA_EEENS0_18inequality_wrapperIZN2at6native12_GLOBAL__N_124unique_dim_cuda_templateIdEESt5tupleIJNSF_6TensorESK_SK_EERKSK_lbbbEUlllE0_EEPmJS9_EEE10hipError_tPvRmT3_T4_T5_T6_T7_T9_mT8_P12ihipStream_tbDpT10_ENKUlT_T0_E_clISt17integral_constantIbLb1EES19_IbLb0EEEEDaS15_S16_EUlS15_E_NS1_11comp_targetILNS1_3genE0ELNS1_11target_archE4294967295ELNS1_3gpuE0ELNS1_3repE0EEENS1_30default_config_static_selectorELNS0_4arch9wavefront6targetE1EEEvT1_,comdat
	.globl	_ZN7rocprim17ROCPRIM_400000_NS6detail17trampoline_kernelINS0_14default_configENS1_25partition_config_selectorILNS1_17partition_subalgoE9EllbEEZZNS1_14partition_implILS5_9ELb0ES3_jPlS8_PNS0_10empty_typeENS0_5tupleIJS8_S9_EEENSB_IJS8_SA_EEENS0_18inequality_wrapperIZN2at6native12_GLOBAL__N_124unique_dim_cuda_templateIdEESt5tupleIJNSF_6TensorESK_SK_EERKSK_lbbbEUlllE0_EEPmJS9_EEE10hipError_tPvRmT3_T4_T5_T6_T7_T9_mT8_P12ihipStream_tbDpT10_ENKUlT_T0_E_clISt17integral_constantIbLb1EES19_IbLb0EEEEDaS15_S16_EUlS15_E_NS1_11comp_targetILNS1_3genE0ELNS1_11target_archE4294967295ELNS1_3gpuE0ELNS1_3repE0EEENS1_30default_config_static_selectorELNS0_4arch9wavefront6targetE1EEEvT1_ ; -- Begin function _ZN7rocprim17ROCPRIM_400000_NS6detail17trampoline_kernelINS0_14default_configENS1_25partition_config_selectorILNS1_17partition_subalgoE9EllbEEZZNS1_14partition_implILS5_9ELb0ES3_jPlS8_PNS0_10empty_typeENS0_5tupleIJS8_S9_EEENSB_IJS8_SA_EEENS0_18inequality_wrapperIZN2at6native12_GLOBAL__N_124unique_dim_cuda_templateIdEESt5tupleIJNSF_6TensorESK_SK_EERKSK_lbbbEUlllE0_EEPmJS9_EEE10hipError_tPvRmT3_T4_T5_T6_T7_T9_mT8_P12ihipStream_tbDpT10_ENKUlT_T0_E_clISt17integral_constantIbLb1EES19_IbLb0EEEEDaS15_S16_EUlS15_E_NS1_11comp_targetILNS1_3genE0ELNS1_11target_archE4294967295ELNS1_3gpuE0ELNS1_3repE0EEENS1_30default_config_static_selectorELNS0_4arch9wavefront6targetE1EEEvT1_
	.p2align	8
	.type	_ZN7rocprim17ROCPRIM_400000_NS6detail17trampoline_kernelINS0_14default_configENS1_25partition_config_selectorILNS1_17partition_subalgoE9EllbEEZZNS1_14partition_implILS5_9ELb0ES3_jPlS8_PNS0_10empty_typeENS0_5tupleIJS8_S9_EEENSB_IJS8_SA_EEENS0_18inequality_wrapperIZN2at6native12_GLOBAL__N_124unique_dim_cuda_templateIdEESt5tupleIJNSF_6TensorESK_SK_EERKSK_lbbbEUlllE0_EEPmJS9_EEE10hipError_tPvRmT3_T4_T5_T6_T7_T9_mT8_P12ihipStream_tbDpT10_ENKUlT_T0_E_clISt17integral_constantIbLb1EES19_IbLb0EEEEDaS15_S16_EUlS15_E_NS1_11comp_targetILNS1_3genE0ELNS1_11target_archE4294967295ELNS1_3gpuE0ELNS1_3repE0EEENS1_30default_config_static_selectorELNS0_4arch9wavefront6targetE1EEEvT1_,@function
_ZN7rocprim17ROCPRIM_400000_NS6detail17trampoline_kernelINS0_14default_configENS1_25partition_config_selectorILNS1_17partition_subalgoE9EllbEEZZNS1_14partition_implILS5_9ELb0ES3_jPlS8_PNS0_10empty_typeENS0_5tupleIJS8_S9_EEENSB_IJS8_SA_EEENS0_18inequality_wrapperIZN2at6native12_GLOBAL__N_124unique_dim_cuda_templateIdEESt5tupleIJNSF_6TensorESK_SK_EERKSK_lbbbEUlllE0_EEPmJS9_EEE10hipError_tPvRmT3_T4_T5_T6_T7_T9_mT8_P12ihipStream_tbDpT10_ENKUlT_T0_E_clISt17integral_constantIbLb1EES19_IbLb0EEEEDaS15_S16_EUlS15_E_NS1_11comp_targetILNS1_3genE0ELNS1_11target_archE4294967295ELNS1_3gpuE0ELNS1_3repE0EEENS1_30default_config_static_selectorELNS0_4arch9wavefront6targetE1EEEvT1_: ; @_ZN7rocprim17ROCPRIM_400000_NS6detail17trampoline_kernelINS0_14default_configENS1_25partition_config_selectorILNS1_17partition_subalgoE9EllbEEZZNS1_14partition_implILS5_9ELb0ES3_jPlS8_PNS0_10empty_typeENS0_5tupleIJS8_S9_EEENSB_IJS8_SA_EEENS0_18inequality_wrapperIZN2at6native12_GLOBAL__N_124unique_dim_cuda_templateIdEESt5tupleIJNSF_6TensorESK_SK_EERKSK_lbbbEUlllE0_EEPmJS9_EEE10hipError_tPvRmT3_T4_T5_T6_T7_T9_mT8_P12ihipStream_tbDpT10_ENKUlT_T0_E_clISt17integral_constantIbLb1EES19_IbLb0EEEEDaS15_S16_EUlS15_E_NS1_11comp_targetILNS1_3genE0ELNS1_11target_archE4294967295ELNS1_3gpuE0ELNS1_3repE0EEENS1_30default_config_static_selectorELNS0_4arch9wavefront6targetE1EEEvT1_
; %bb.0:
	.section	.rodata,"a",@progbits
	.p2align	6, 0x0
	.amdhsa_kernel _ZN7rocprim17ROCPRIM_400000_NS6detail17trampoline_kernelINS0_14default_configENS1_25partition_config_selectorILNS1_17partition_subalgoE9EllbEEZZNS1_14partition_implILS5_9ELb0ES3_jPlS8_PNS0_10empty_typeENS0_5tupleIJS8_S9_EEENSB_IJS8_SA_EEENS0_18inequality_wrapperIZN2at6native12_GLOBAL__N_124unique_dim_cuda_templateIdEESt5tupleIJNSF_6TensorESK_SK_EERKSK_lbbbEUlllE0_EEPmJS9_EEE10hipError_tPvRmT3_T4_T5_T6_T7_T9_mT8_P12ihipStream_tbDpT10_ENKUlT_T0_E_clISt17integral_constantIbLb1EES19_IbLb0EEEEDaS15_S16_EUlS15_E_NS1_11comp_targetILNS1_3genE0ELNS1_11target_archE4294967295ELNS1_3gpuE0ELNS1_3repE0EEENS1_30default_config_static_selectorELNS0_4arch9wavefront6targetE1EEEvT1_
		.amdhsa_group_segment_fixed_size 0
		.amdhsa_private_segment_fixed_size 0
		.amdhsa_kernarg_size 120
		.amdhsa_user_sgpr_count 2
		.amdhsa_user_sgpr_dispatch_ptr 0
		.amdhsa_user_sgpr_queue_ptr 0
		.amdhsa_user_sgpr_kernarg_segment_ptr 1
		.amdhsa_user_sgpr_dispatch_id 0
		.amdhsa_user_sgpr_kernarg_preload_length 0
		.amdhsa_user_sgpr_kernarg_preload_offset 0
		.amdhsa_user_sgpr_private_segment_size 0
		.amdhsa_uses_dynamic_stack 0
		.amdhsa_enable_private_segment 0
		.amdhsa_system_sgpr_workgroup_id_x 1
		.amdhsa_system_sgpr_workgroup_id_y 0
		.amdhsa_system_sgpr_workgroup_id_z 0
		.amdhsa_system_sgpr_workgroup_info 0
		.amdhsa_system_vgpr_workitem_id 0
		.amdhsa_next_free_vgpr 1
		.amdhsa_next_free_sgpr 0
		.amdhsa_accum_offset 4
		.amdhsa_reserve_vcc 0
		.amdhsa_float_round_mode_32 0
		.amdhsa_float_round_mode_16_64 0
		.amdhsa_float_denorm_mode_32 3
		.amdhsa_float_denorm_mode_16_64 3
		.amdhsa_dx10_clamp 1
		.amdhsa_ieee_mode 1
		.amdhsa_fp16_overflow 0
		.amdhsa_tg_split 0
		.amdhsa_exception_fp_ieee_invalid_op 0
		.amdhsa_exception_fp_denorm_src 0
		.amdhsa_exception_fp_ieee_div_zero 0
		.amdhsa_exception_fp_ieee_overflow 0
		.amdhsa_exception_fp_ieee_underflow 0
		.amdhsa_exception_fp_ieee_inexact 0
		.amdhsa_exception_int_div_zero 0
	.end_amdhsa_kernel
	.section	.text._ZN7rocprim17ROCPRIM_400000_NS6detail17trampoline_kernelINS0_14default_configENS1_25partition_config_selectorILNS1_17partition_subalgoE9EllbEEZZNS1_14partition_implILS5_9ELb0ES3_jPlS8_PNS0_10empty_typeENS0_5tupleIJS8_S9_EEENSB_IJS8_SA_EEENS0_18inequality_wrapperIZN2at6native12_GLOBAL__N_124unique_dim_cuda_templateIdEESt5tupleIJNSF_6TensorESK_SK_EERKSK_lbbbEUlllE0_EEPmJS9_EEE10hipError_tPvRmT3_T4_T5_T6_T7_T9_mT8_P12ihipStream_tbDpT10_ENKUlT_T0_E_clISt17integral_constantIbLb1EES19_IbLb0EEEEDaS15_S16_EUlS15_E_NS1_11comp_targetILNS1_3genE0ELNS1_11target_archE4294967295ELNS1_3gpuE0ELNS1_3repE0EEENS1_30default_config_static_selectorELNS0_4arch9wavefront6targetE1EEEvT1_,"axG",@progbits,_ZN7rocprim17ROCPRIM_400000_NS6detail17trampoline_kernelINS0_14default_configENS1_25partition_config_selectorILNS1_17partition_subalgoE9EllbEEZZNS1_14partition_implILS5_9ELb0ES3_jPlS8_PNS0_10empty_typeENS0_5tupleIJS8_S9_EEENSB_IJS8_SA_EEENS0_18inequality_wrapperIZN2at6native12_GLOBAL__N_124unique_dim_cuda_templateIdEESt5tupleIJNSF_6TensorESK_SK_EERKSK_lbbbEUlllE0_EEPmJS9_EEE10hipError_tPvRmT3_T4_T5_T6_T7_T9_mT8_P12ihipStream_tbDpT10_ENKUlT_T0_E_clISt17integral_constantIbLb1EES19_IbLb0EEEEDaS15_S16_EUlS15_E_NS1_11comp_targetILNS1_3genE0ELNS1_11target_archE4294967295ELNS1_3gpuE0ELNS1_3repE0EEENS1_30default_config_static_selectorELNS0_4arch9wavefront6targetE1EEEvT1_,comdat
.Lfunc_end861:
	.size	_ZN7rocprim17ROCPRIM_400000_NS6detail17trampoline_kernelINS0_14default_configENS1_25partition_config_selectorILNS1_17partition_subalgoE9EllbEEZZNS1_14partition_implILS5_9ELb0ES3_jPlS8_PNS0_10empty_typeENS0_5tupleIJS8_S9_EEENSB_IJS8_SA_EEENS0_18inequality_wrapperIZN2at6native12_GLOBAL__N_124unique_dim_cuda_templateIdEESt5tupleIJNSF_6TensorESK_SK_EERKSK_lbbbEUlllE0_EEPmJS9_EEE10hipError_tPvRmT3_T4_T5_T6_T7_T9_mT8_P12ihipStream_tbDpT10_ENKUlT_T0_E_clISt17integral_constantIbLb1EES19_IbLb0EEEEDaS15_S16_EUlS15_E_NS1_11comp_targetILNS1_3genE0ELNS1_11target_archE4294967295ELNS1_3gpuE0ELNS1_3repE0EEENS1_30default_config_static_selectorELNS0_4arch9wavefront6targetE1EEEvT1_, .Lfunc_end861-_ZN7rocprim17ROCPRIM_400000_NS6detail17trampoline_kernelINS0_14default_configENS1_25partition_config_selectorILNS1_17partition_subalgoE9EllbEEZZNS1_14partition_implILS5_9ELb0ES3_jPlS8_PNS0_10empty_typeENS0_5tupleIJS8_S9_EEENSB_IJS8_SA_EEENS0_18inequality_wrapperIZN2at6native12_GLOBAL__N_124unique_dim_cuda_templateIdEESt5tupleIJNSF_6TensorESK_SK_EERKSK_lbbbEUlllE0_EEPmJS9_EEE10hipError_tPvRmT3_T4_T5_T6_T7_T9_mT8_P12ihipStream_tbDpT10_ENKUlT_T0_E_clISt17integral_constantIbLb1EES19_IbLb0EEEEDaS15_S16_EUlS15_E_NS1_11comp_targetILNS1_3genE0ELNS1_11target_archE4294967295ELNS1_3gpuE0ELNS1_3repE0EEENS1_30default_config_static_selectorELNS0_4arch9wavefront6targetE1EEEvT1_
                                        ; -- End function
	.section	.AMDGPU.csdata,"",@progbits
; Kernel info:
; codeLenInByte = 0
; NumSgprs: 6
; NumVgprs: 0
; NumAgprs: 0
; TotalNumVgprs: 0
; ScratchSize: 0
; MemoryBound: 0
; FloatMode: 240
; IeeeMode: 1
; LDSByteSize: 0 bytes/workgroup (compile time only)
; SGPRBlocks: 0
; VGPRBlocks: 0
; NumSGPRsForWavesPerEU: 6
; NumVGPRsForWavesPerEU: 1
; AccumOffset: 4
; Occupancy: 8
; WaveLimiterHint : 0
; COMPUTE_PGM_RSRC2:SCRATCH_EN: 0
; COMPUTE_PGM_RSRC2:USER_SGPR: 2
; COMPUTE_PGM_RSRC2:TRAP_HANDLER: 0
; COMPUTE_PGM_RSRC2:TGID_X_EN: 1
; COMPUTE_PGM_RSRC2:TGID_Y_EN: 0
; COMPUTE_PGM_RSRC2:TGID_Z_EN: 0
; COMPUTE_PGM_RSRC2:TIDIG_COMP_CNT: 0
; COMPUTE_PGM_RSRC3_GFX90A:ACCUM_OFFSET: 0
; COMPUTE_PGM_RSRC3_GFX90A:TG_SPLIT: 0
	.section	.text._ZN7rocprim17ROCPRIM_400000_NS6detail17trampoline_kernelINS0_14default_configENS1_25partition_config_selectorILNS1_17partition_subalgoE9EllbEEZZNS1_14partition_implILS5_9ELb0ES3_jPlS8_PNS0_10empty_typeENS0_5tupleIJS8_S9_EEENSB_IJS8_SA_EEENS0_18inequality_wrapperIZN2at6native12_GLOBAL__N_124unique_dim_cuda_templateIdEESt5tupleIJNSF_6TensorESK_SK_EERKSK_lbbbEUlllE0_EEPmJS9_EEE10hipError_tPvRmT3_T4_T5_T6_T7_T9_mT8_P12ihipStream_tbDpT10_ENKUlT_T0_E_clISt17integral_constantIbLb1EES19_IbLb0EEEEDaS15_S16_EUlS15_E_NS1_11comp_targetILNS1_3genE5ELNS1_11target_archE942ELNS1_3gpuE9ELNS1_3repE0EEENS1_30default_config_static_selectorELNS0_4arch9wavefront6targetE1EEEvT1_,"axG",@progbits,_ZN7rocprim17ROCPRIM_400000_NS6detail17trampoline_kernelINS0_14default_configENS1_25partition_config_selectorILNS1_17partition_subalgoE9EllbEEZZNS1_14partition_implILS5_9ELb0ES3_jPlS8_PNS0_10empty_typeENS0_5tupleIJS8_S9_EEENSB_IJS8_SA_EEENS0_18inequality_wrapperIZN2at6native12_GLOBAL__N_124unique_dim_cuda_templateIdEESt5tupleIJNSF_6TensorESK_SK_EERKSK_lbbbEUlllE0_EEPmJS9_EEE10hipError_tPvRmT3_T4_T5_T6_T7_T9_mT8_P12ihipStream_tbDpT10_ENKUlT_T0_E_clISt17integral_constantIbLb1EES19_IbLb0EEEEDaS15_S16_EUlS15_E_NS1_11comp_targetILNS1_3genE5ELNS1_11target_archE942ELNS1_3gpuE9ELNS1_3repE0EEENS1_30default_config_static_selectorELNS0_4arch9wavefront6targetE1EEEvT1_,comdat
	.globl	_ZN7rocprim17ROCPRIM_400000_NS6detail17trampoline_kernelINS0_14default_configENS1_25partition_config_selectorILNS1_17partition_subalgoE9EllbEEZZNS1_14partition_implILS5_9ELb0ES3_jPlS8_PNS0_10empty_typeENS0_5tupleIJS8_S9_EEENSB_IJS8_SA_EEENS0_18inequality_wrapperIZN2at6native12_GLOBAL__N_124unique_dim_cuda_templateIdEESt5tupleIJNSF_6TensorESK_SK_EERKSK_lbbbEUlllE0_EEPmJS9_EEE10hipError_tPvRmT3_T4_T5_T6_T7_T9_mT8_P12ihipStream_tbDpT10_ENKUlT_T0_E_clISt17integral_constantIbLb1EES19_IbLb0EEEEDaS15_S16_EUlS15_E_NS1_11comp_targetILNS1_3genE5ELNS1_11target_archE942ELNS1_3gpuE9ELNS1_3repE0EEENS1_30default_config_static_selectorELNS0_4arch9wavefront6targetE1EEEvT1_ ; -- Begin function _ZN7rocprim17ROCPRIM_400000_NS6detail17trampoline_kernelINS0_14default_configENS1_25partition_config_selectorILNS1_17partition_subalgoE9EllbEEZZNS1_14partition_implILS5_9ELb0ES3_jPlS8_PNS0_10empty_typeENS0_5tupleIJS8_S9_EEENSB_IJS8_SA_EEENS0_18inequality_wrapperIZN2at6native12_GLOBAL__N_124unique_dim_cuda_templateIdEESt5tupleIJNSF_6TensorESK_SK_EERKSK_lbbbEUlllE0_EEPmJS9_EEE10hipError_tPvRmT3_T4_T5_T6_T7_T9_mT8_P12ihipStream_tbDpT10_ENKUlT_T0_E_clISt17integral_constantIbLb1EES19_IbLb0EEEEDaS15_S16_EUlS15_E_NS1_11comp_targetILNS1_3genE5ELNS1_11target_archE942ELNS1_3gpuE9ELNS1_3repE0EEENS1_30default_config_static_selectorELNS0_4arch9wavefront6targetE1EEEvT1_
	.p2align	8
	.type	_ZN7rocprim17ROCPRIM_400000_NS6detail17trampoline_kernelINS0_14default_configENS1_25partition_config_selectorILNS1_17partition_subalgoE9EllbEEZZNS1_14partition_implILS5_9ELb0ES3_jPlS8_PNS0_10empty_typeENS0_5tupleIJS8_S9_EEENSB_IJS8_SA_EEENS0_18inequality_wrapperIZN2at6native12_GLOBAL__N_124unique_dim_cuda_templateIdEESt5tupleIJNSF_6TensorESK_SK_EERKSK_lbbbEUlllE0_EEPmJS9_EEE10hipError_tPvRmT3_T4_T5_T6_T7_T9_mT8_P12ihipStream_tbDpT10_ENKUlT_T0_E_clISt17integral_constantIbLb1EES19_IbLb0EEEEDaS15_S16_EUlS15_E_NS1_11comp_targetILNS1_3genE5ELNS1_11target_archE942ELNS1_3gpuE9ELNS1_3repE0EEENS1_30default_config_static_selectorELNS0_4arch9wavefront6targetE1EEEvT1_,@function
_ZN7rocprim17ROCPRIM_400000_NS6detail17trampoline_kernelINS0_14default_configENS1_25partition_config_selectorILNS1_17partition_subalgoE9EllbEEZZNS1_14partition_implILS5_9ELb0ES3_jPlS8_PNS0_10empty_typeENS0_5tupleIJS8_S9_EEENSB_IJS8_SA_EEENS0_18inequality_wrapperIZN2at6native12_GLOBAL__N_124unique_dim_cuda_templateIdEESt5tupleIJNSF_6TensorESK_SK_EERKSK_lbbbEUlllE0_EEPmJS9_EEE10hipError_tPvRmT3_T4_T5_T6_T7_T9_mT8_P12ihipStream_tbDpT10_ENKUlT_T0_E_clISt17integral_constantIbLb1EES19_IbLb0EEEEDaS15_S16_EUlS15_E_NS1_11comp_targetILNS1_3genE5ELNS1_11target_archE942ELNS1_3gpuE9ELNS1_3repE0EEENS1_30default_config_static_selectorELNS0_4arch9wavefront6targetE1EEEvT1_: ; @_ZN7rocprim17ROCPRIM_400000_NS6detail17trampoline_kernelINS0_14default_configENS1_25partition_config_selectorILNS1_17partition_subalgoE9EllbEEZZNS1_14partition_implILS5_9ELb0ES3_jPlS8_PNS0_10empty_typeENS0_5tupleIJS8_S9_EEENSB_IJS8_SA_EEENS0_18inequality_wrapperIZN2at6native12_GLOBAL__N_124unique_dim_cuda_templateIdEESt5tupleIJNSF_6TensorESK_SK_EERKSK_lbbbEUlllE0_EEPmJS9_EEE10hipError_tPvRmT3_T4_T5_T6_T7_T9_mT8_P12ihipStream_tbDpT10_ENKUlT_T0_E_clISt17integral_constantIbLb1EES19_IbLb0EEEEDaS15_S16_EUlS15_E_NS1_11comp_targetILNS1_3genE5ELNS1_11target_archE942ELNS1_3gpuE9ELNS1_3repE0EEENS1_30default_config_static_selectorELNS0_4arch9wavefront6targetE1EEEvT1_
; %bb.0:
	s_load_dwordx8 s[20:27], s[0:1], 0x40
	s_load_dwordx4 s[4:7], s[0:1], 0x8
	s_load_dwordx2 s[10:11], s[0:1], 0x18
	s_load_dword s3, s[0:1], 0x70
	s_mul_i32 s12, s2, 0xe00
	s_waitcnt lgkmcnt(0)
	v_mov_b32_e32 v2, s24
	s_lshl_b64 s[14:15], s[6:7], 3
	s_add_u32 s18, s4, s14
	s_mul_i32 s4, s3, 0xe00
	s_addc_u32 s19, s5, s15
	s_add_i32 s8, s3, -1
	s_add_i32 s3, s4, s6
	s_sub_i32 s3, s24, s3
	s_addk_i32 s3, 0xe00
	s_add_u32 s4, s6, s4
	s_addc_u32 s5, s7, 0
	v_mov_b32_e32 v3, s25
	s_cmp_eq_u32 s2, s8
	s_load_dwordx2 s[22:23], s[22:23], 0x0
	v_cmp_ge_u64_e32 vcc, s[4:5], v[2:3]
	s_cselect_b64 s[24:25], -1, 0
	s_mov_b32 s13, 0
	s_and_b64 s[8:9], s[24:25], vcc
	s_xor_b64 s[34:35], s[8:9], -1
	s_lshl_b64 s[16:17], s[12:13], 3
	s_add_u32 s12, s18, s16
	s_mov_b64 s[4:5], -1
	s_addc_u32 s13, s19, s17
	s_and_b64 vcc, exec, s[34:35]
	s_cbranch_vccz .LBB862_2
; %bb.1:
	v_lshlrev_b32_e32 v2, 3, v0
	v_mov_b32_e32 v3, 0
	v_lshl_add_u64 v[4:5], s[12:13], 0, v[2:3]
	v_add_co_u32_e32 v8, vcc, 0x1000, v4
	global_load_dwordx2 v[6:7], v2, s[12:13]
	s_nop 0
	v_addc_co_u32_e32 v9, vcc, 0, v5, vcc
	v_add_co_u32_e32 v10, vcc, 0x2000, v4
	s_mov_b64 s[4:5], 0
	s_nop 0
	v_addc_co_u32_e32 v11, vcc, 0, v5, vcc
	v_add_co_u32_e32 v12, vcc, 0x3000, v4
	s_nop 1
	v_addc_co_u32_e32 v13, vcc, 0, v5, vcc
	v_add_co_u32_e32 v14, vcc, 0x4000, v4
	s_nop 1
	v_addc_co_u32_e32 v15, vcc, 0, v5, vcc
	global_load_dwordx2 v[16:17], v[8:9], off
	global_load_dwordx2 v[18:19], v[10:11], off
	;; [unrolled: 1-line block ×4, first 2 shown]
	v_add_co_u32_e32 v8, vcc, 0x5000, v4
	s_nop 1
	v_addc_co_u32_e32 v9, vcc, 0, v5, vcc
	v_add_co_u32_e32 v4, vcc, 0x6000, v4
	global_load_dwordx2 v[8:9], v[8:9], off
	s_nop 0
	v_addc_co_u32_e32 v5, vcc, 0, v5, vcc
	global_load_dwordx2 v[4:5], v[4:5], off
	s_waitcnt vmcnt(5)
	ds_write2st64_b64 v2, v[6:7], v[16:17] offset1:8
	s_waitcnt vmcnt(3)
	ds_write2st64_b64 v2, v[18:19], v[20:21] offset0:16 offset1:24
	s_waitcnt vmcnt(1)
	ds_write2st64_b64 v2, v[22:23], v[8:9] offset0:32 offset1:40
	s_waitcnt vmcnt(0)
	ds_write_b64 v2, v[4:5] offset:24576
	s_waitcnt lgkmcnt(0)
	s_barrier
.LBB862_2:
	s_load_dwordx4 s[28:31], s[0:1], 0x60
	s_andn2_b64 vcc, exec, s[4:5]
	v_cmp_gt_u32_e64 s[4:5], s3, v0
	s_cbranch_vccnz .LBB862_18
; %bb.3:
                                        ; implicit-def: $vgpr2_vgpr3_vgpr4_vgpr5_vgpr6_vgpr7_vgpr8_vgpr9_vgpr10_vgpr11_vgpr12_vgpr13_vgpr14_vgpr15_vgpr16_vgpr17
	s_and_saveexec_b64 s[18:19], s[4:5]
	s_cbranch_execz .LBB862_5
; %bb.4:
	v_lshlrev_b32_e32 v1, 3, v0
	global_load_dwordx2 v[2:3], v1, s[12:13]
.LBB862_5:
	s_or_b64 exec, exec, s[18:19]
	v_or_b32_e32 v1, 0x200, v0
	v_cmp_gt_u32_e32 vcc, s3, v1
	s_and_saveexec_b64 s[4:5], vcc
	s_cbranch_execz .LBB862_7
; %bb.6:
	v_lshlrev_b32_e32 v1, 3, v1
	global_load_dwordx2 v[4:5], v1, s[12:13]
.LBB862_7:
	s_or_b64 exec, exec, s[4:5]
	v_or_b32_e32 v1, 0x400, v0
	v_cmp_gt_u32_e32 vcc, s3, v1
	s_and_saveexec_b64 s[4:5], vcc
	;; [unrolled: 9-line block ×6, first 2 shown]
	s_cbranch_execz .LBB862_17
; %bb.16:
	v_lshlrev_b32_e32 v1, 3, v1
	global_load_dwordx2 v[14:15], v1, s[12:13]
.LBB862_17:
	s_or_b64 exec, exec, s[4:5]
	v_lshlrev_b32_e32 v1, 3, v0
	s_waitcnt vmcnt(0)
	ds_write2st64_b64 v1, v[2:3], v[4:5] offset1:8
	ds_write2st64_b64 v1, v[6:7], v[8:9] offset0:16 offset1:24
	ds_write2st64_b64 v1, v[10:11], v[12:13] offset0:32 offset1:40
	ds_write_b64 v1, v[14:15] offset:24576
	s_waitcnt lgkmcnt(0)
	s_barrier
.LBB862_18:
	v_mul_u32_u24_e32 v1, 7, v0
	v_lshlrev_b32_e32 v44, 3, v1
	s_waitcnt lgkmcnt(0)
	ds_read2_b64 v[22:25], v44 offset1:1
	ds_read2_b64 v[18:21], v44 offset0:2 offset1:3
	ds_read2_b64 v[14:17], v44 offset0:4 offset1:5
	ds_read_b64 v[28:29], v44 offset:48
	s_add_u32 s4, s10, s14
	s_addc_u32 s5, s11, s15
	s_add_u32 s4, s4, s16
	s_addc_u32 s5, s5, s17
	s_mov_b64 s[10:11], -1
	s_and_b64 vcc, exec, s[34:35]
	s_waitcnt lgkmcnt(0)
	s_barrier
	s_cbranch_vccz .LBB862_20
; %bb.19:
	v_lshlrev_b32_e32 v2, 3, v0
	v_mov_b32_e32 v3, 0
	v_lshl_add_u64 v[4:5], s[4:5], 0, v[2:3]
	v_add_co_u32_e32 v8, vcc, 0x1000, v4
	global_load_dwordx2 v[6:7], v2, s[4:5]
	s_nop 0
	v_addc_co_u32_e32 v9, vcc, 0, v5, vcc
	v_add_co_u32_e32 v10, vcc, 0x2000, v4
	s_mov_b64 s[10:11], 0
	s_nop 0
	v_addc_co_u32_e32 v11, vcc, 0, v5, vcc
	v_add_co_u32_e32 v12, vcc, 0x3000, v4
	s_nop 1
	v_addc_co_u32_e32 v13, vcc, 0, v5, vcc
	v_add_co_u32_e32 v26, vcc, 0x4000, v4
	s_nop 1
	v_addc_co_u32_e32 v27, vcc, 0, v5, vcc
	global_load_dwordx2 v[30:31], v[8:9], off
	global_load_dwordx2 v[32:33], v[10:11], off
	;; [unrolled: 1-line block ×4, first 2 shown]
	v_add_co_u32_e32 v8, vcc, 0x5000, v4
	s_nop 1
	v_addc_co_u32_e32 v9, vcc, 0, v5, vcc
	v_add_co_u32_e32 v4, vcc, 0x6000, v4
	global_load_dwordx2 v[8:9], v[8:9], off
	s_nop 0
	v_addc_co_u32_e32 v5, vcc, 0, v5, vcc
	global_load_dwordx2 v[4:5], v[4:5], off
	s_waitcnt vmcnt(5)
	ds_write2st64_b64 v2, v[6:7], v[30:31] offset1:8
	s_waitcnt vmcnt(3)
	ds_write2st64_b64 v2, v[32:33], v[34:35] offset0:16 offset1:24
	s_waitcnt vmcnt(1)
	ds_write2st64_b64 v2, v[36:37], v[8:9] offset0:32 offset1:40
	s_waitcnt vmcnt(0)
	ds_write_b64 v2, v[4:5] offset:24576
	s_waitcnt lgkmcnt(0)
	s_barrier
.LBB862_20:
	s_andn2_b64 vcc, exec, s[10:11]
	s_cbranch_vccnz .LBB862_36
; %bb.21:
	v_cmp_gt_u32_e32 vcc, s3, v0
                                        ; implicit-def: $vgpr2_vgpr3
	s_and_saveexec_b64 s[10:11], vcc
	s_cbranch_execz .LBB862_23
; %bb.22:
	v_lshlrev_b32_e32 v2, 3, v0
	global_load_dwordx2 v[2:3], v2, s[4:5]
.LBB862_23:
	s_or_b64 exec, exec, s[10:11]
	v_or_b32_e32 v6, 0x200, v0
	v_cmp_gt_u32_e32 vcc, s3, v6
                                        ; implicit-def: $vgpr4_vgpr5
	s_and_saveexec_b64 s[10:11], vcc
	s_cbranch_execz .LBB862_25
; %bb.24:
	v_lshlrev_b32_e32 v4, 3, v6
	global_load_dwordx2 v[4:5], v4, s[4:5]
.LBB862_25:
	s_or_b64 exec, exec, s[10:11]
	v_or_b32_e32 v8, 0x400, v0
	v_cmp_gt_u32_e32 vcc, s3, v8
                                        ; implicit-def: $vgpr6_vgpr7
	s_and_saveexec_b64 s[10:11], vcc
	s_cbranch_execz .LBB862_27
; %bb.26:
	v_lshlrev_b32_e32 v6, 3, v8
	global_load_dwordx2 v[6:7], v6, s[4:5]
.LBB862_27:
	s_or_b64 exec, exec, s[10:11]
	v_or_b32_e32 v10, 0x600, v0
	v_cmp_gt_u32_e32 vcc, s3, v10
                                        ; implicit-def: $vgpr8_vgpr9
	s_and_saveexec_b64 s[10:11], vcc
	s_cbranch_execz .LBB862_29
; %bb.28:
	v_lshlrev_b32_e32 v8, 3, v10
	global_load_dwordx2 v[8:9], v8, s[4:5]
.LBB862_29:
	s_or_b64 exec, exec, s[10:11]
	v_or_b32_e32 v12, 0x800, v0
	v_cmp_gt_u32_e32 vcc, s3, v12
                                        ; implicit-def: $vgpr10_vgpr11
	s_and_saveexec_b64 s[10:11], vcc
	s_cbranch_execz .LBB862_31
; %bb.30:
	v_lshlrev_b32_e32 v10, 3, v12
	global_load_dwordx2 v[10:11], v10, s[4:5]
.LBB862_31:
	s_or_b64 exec, exec, s[10:11]
	v_or_b32_e32 v26, 0xa00, v0
	v_cmp_gt_u32_e32 vcc, s3, v26
                                        ; implicit-def: $vgpr12_vgpr13
	s_and_saveexec_b64 s[10:11], vcc
	s_cbranch_execz .LBB862_33
; %bb.32:
	v_lshlrev_b32_e32 v12, 3, v26
	global_load_dwordx2 v[12:13], v12, s[4:5]
.LBB862_33:
	s_or_b64 exec, exec, s[10:11]
	v_or_b32_e32 v30, 0xc00, v0
	v_cmp_gt_u32_e32 vcc, s3, v30
                                        ; implicit-def: $vgpr26_vgpr27
	s_and_saveexec_b64 s[10:11], vcc
	s_cbranch_execz .LBB862_35
; %bb.34:
	v_lshlrev_b32_e32 v26, 3, v30
	global_load_dwordx2 v[26:27], v26, s[4:5]
.LBB862_35:
	s_or_b64 exec, exec, s[10:11]
	s_movk_i32 s4, 0xffd0
	v_mad_i32_i24 v30, v0, s4, v44
	s_waitcnt vmcnt(0)
	ds_write2st64_b64 v30, v[2:3], v[4:5] offset1:8
	ds_write2st64_b64 v30, v[6:7], v[8:9] offset0:16 offset1:24
	ds_write2st64_b64 v30, v[10:11], v[12:13] offset0:32 offset1:40
	ds_write_b64 v30, v[26:27] offset:24576
	s_waitcnt lgkmcnt(0)
	s_barrier
.LBB862_36:
	ds_read2_b64 v[10:13], v44 offset1:1
	ds_read2_b64 v[6:9], v44 offset0:2 offset1:3
	ds_read2_b64 v[2:5], v44 offset0:4 offset1:5
	ds_read_b64 v[26:27], v44 offset:48
	s_cmp_lg_u32 s2, 0
	s_cselect_b64 s[16:17], -1, 0
	s_cmp_lg_u64 s[6:7], 0
	s_cselect_b64 s[4:5], -1, 0
	s_or_b64 s[4:5], s[16:17], s[4:5]
	v_add_u32_e32 v41, 1, v1
	v_add_u32_e32 v38, 2, v1
	;; [unrolled: 1-line block ×6, first 2 shown]
	s_mov_b64 s[10:11], 0
	s_and_b64 vcc, exec, s[4:5]
	v_cmp_gt_i64_e64 s[4:5], s[26:27], 0
	s_waitcnt lgkmcnt(0)
	s_barrier
	s_cbranch_vccz .LBB862_45
; %bb.37:
	s_add_u32 s6, s12, -8
	s_addc_u32 s7, s13, -1
	s_load_dwordx2 s[6:7], s[6:7], 0x0
	v_cndmask_b32_e64 v30, 0, 1, s[4:5]
	v_lshlrev_b32_e32 v45, 3, v0
	s_and_b64 vcc, exec, s[34:35]
	v_cmp_ne_u32_e64 s[4:5], 1, v30
	ds_write_b64 v45, v[28:29]
	s_cbranch_vccz .LBB862_47
; %bb.38:
	v_mul_lo_u32 v32, v17, s26
	v_mul_lo_u32 v33, v16, s27
	v_mad_u64_u32 v[30:31], s[12:13], v16, s26, 0
	v_add3_u32 v31, v31, v33, v32
	s_and_b64 vcc, exec, s[4:5]
	v_lshl_add_u64 v[30:31], v[30:31], 3, s[28:29]
	s_cbranch_vccnz .LBB862_50
; %bb.39:
	v_mul_lo_u32 v34, v29, s26
	v_mul_lo_u32 v35, v28, s27
	v_mad_u64_u32 v[32:33], s[10:11], v28, s26, 0
	v_add3_u32 v33, v33, v35, v34
	v_lshl_add_u64 v[32:33], v[32:33], 3, s[28:29]
	global_load_dwordx2 v[34:35], v[30:31], off
	global_load_dwordx2 v[36:37], v[32:33], off
	s_mov_b64 s[10:11], -1
	s_waitcnt vmcnt(0)
	v_cmp_eq_f64_e32 vcc, v[34:35], v[36:37]
	s_and_saveexec_b64 s[12:13], vcc
	s_cbranch_execz .LBB862_49
; %bb.40:
	s_add_u32 s10, s26, -1
	v_lshl_add_u64 v[32:33], v[32:33], 0, 8
	v_lshl_add_u64 v[34:35], v[30:31], 0, 8
	s_addc_u32 s11, s27, -1
	s_mov_b64 s[14:15], 0
	s_mov_b64 s[36:37], 0
                                        ; implicit-def: $sgpr18_sgpr19
	s_branch .LBB862_43
.LBB862_41:                             ;   in Loop: Header=BB862_43 Depth=1
	global_load_dwordx2 v[36:37], v[34:35], off
	global_load_dwordx2 v[46:47], v[32:33], off
	s_add_u32 s36, s36, 1
	s_addc_u32 s37, s37, 0
	s_andn2_b64 s[18:19], s[18:19], exec
	v_lshl_add_u64 v[32:33], v[32:33], 0, 8
	v_lshl_add_u64 v[34:35], v[34:35], 0, 8
	s_waitcnt vmcnt(0)
	v_cmp_neq_f64_e32 vcc, v[36:37], v[46:47]
	s_and_b64 s[38:39], vcc, exec
	s_or_b64 s[18:19], s[18:19], s[38:39]
.LBB862_42:                             ;   in Loop: Header=BB862_43 Depth=1
	s_and_b64 s[38:39], exec, s[18:19]
	s_or_b64 s[14:15], s[38:39], s[14:15]
	v_mov_b64_e32 v[36:37], s[36:37]
	s_andn2_b64 exec, exec, s[14:15]
	s_cbranch_execz .LBB862_48
.LBB862_43:                             ; =>This Inner Loop Header: Depth=1
	s_or_b64 s[18:19], s[18:19], exec
	s_cmp_eq_u64 s[10:11], s[36:37]
	s_cbranch_scc0 .LBB862_41
; %bb.44:                               ;   in Loop: Header=BB862_43 Depth=1
                                        ; implicit-def: $vgpr32_vgpr33
                                        ; implicit-def: $vgpr34_vgpr35
	s_mov_b64 s[36:37], s[26:27]
	s_branch .LBB862_42
.LBB862_45:
                                        ; implicit-def: $sgpr18_sgpr19
                                        ; implicit-def: $vgpr48
                                        ; implicit-def: $vgpr47
                                        ; implicit-def: $vgpr46
                                        ; implicit-def: $vgpr34
	s_branch .LBB862_188
.LBB862_46:
                                        ; implicit-def: $vgpr30_vgpr31
	s_branch .LBB862_336
.LBB862_47:
                                        ; implicit-def: $sgpr18_sgpr19
                                        ; implicit-def: $vgpr48
                                        ; implicit-def: $vgpr47
                                        ; implicit-def: $vgpr46
                                        ; implicit-def: $vgpr34
	s_cbranch_execnz .LBB862_107
	s_branch .LBB862_187
.LBB862_48:
	s_or_b64 exec, exec, s[14:15]
	v_cmp_gt_i64_e32 vcc, s[26:27], v[36:37]
	s_orn2_b64 s[10:11], vcc, exec
.LBB862_49:
	s_or_b64 exec, exec, s[12:13]
.LBB862_50:
	v_mul_lo_u32 v34, v15, s26
	v_mul_lo_u32 v35, v14, s27
	v_mad_u64_u32 v[32:33], s[12:13], v14, s26, 0
	v_add3_u32 v33, v33, v35, v34
	s_mov_b64 s[12:13], 0
	s_and_b64 vcc, exec, s[4:5]
	v_lshl_add_u64 v[32:33], v[32:33], 3, s[28:29]
	s_mov_b64 s[14:15], 0
	s_cbranch_vccnz .LBB862_59
; %bb.51:
	global_load_dwordx2 v[34:35], v[32:33], off
	global_load_dwordx2 v[36:37], v[30:31], off
	s_mov_b64 s[14:15], -1
	s_waitcnt vmcnt(0)
	v_cmp_eq_f64_e32 vcc, v[34:35], v[36:37]
	s_and_saveexec_b64 s[18:19], vcc
	s_cbranch_execz .LBB862_58
; %bb.52:
	s_add_u32 s14, s26, -1
	v_lshl_add_u64 v[30:31], v[30:31], 0, 8
	v_lshl_add_u64 v[34:35], v[32:33], 0, 8
	s_addc_u32 s15, s27, -1
	s_mov_b64 s[36:37], 0
	s_mov_b64 s[40:41], 0
                                        ; implicit-def: $sgpr38_sgpr39
	s_branch .LBB862_55
.LBB862_53:                             ;   in Loop: Header=BB862_55 Depth=1
	global_load_dwordx2 v[36:37], v[34:35], off
	global_load_dwordx2 v[46:47], v[30:31], off
	s_add_u32 s40, s40, 1
	s_addc_u32 s41, s41, 0
	s_andn2_b64 s[38:39], s[38:39], exec
	v_lshl_add_u64 v[30:31], v[30:31], 0, 8
	v_lshl_add_u64 v[34:35], v[34:35], 0, 8
	s_waitcnt vmcnt(0)
	v_cmp_neq_f64_e32 vcc, v[36:37], v[46:47]
	s_and_b64 s[42:43], vcc, exec
	s_or_b64 s[38:39], s[38:39], s[42:43]
.LBB862_54:                             ;   in Loop: Header=BB862_55 Depth=1
	s_and_b64 s[42:43], exec, s[38:39]
	s_or_b64 s[36:37], s[42:43], s[36:37]
	v_mov_b64_e32 v[36:37], s[40:41]
	s_andn2_b64 exec, exec, s[36:37]
	s_cbranch_execz .LBB862_57
.LBB862_55:                             ; =>This Inner Loop Header: Depth=1
	s_or_b64 s[38:39], s[38:39], exec
	s_cmp_eq_u64 s[14:15], s[40:41]
	s_cbranch_scc0 .LBB862_53
; %bb.56:                               ;   in Loop: Header=BB862_55 Depth=1
                                        ; implicit-def: $vgpr30_vgpr31
                                        ; implicit-def: $vgpr34_vgpr35
	s_mov_b64 s[40:41], s[26:27]
	s_branch .LBB862_54
.LBB862_57:
	s_or_b64 exec, exec, s[36:37]
	v_cmp_gt_i64_e32 vcc, s[26:27], v[36:37]
	s_orn2_b64 s[14:15], vcc, exec
.LBB862_58:
	s_or_b64 exec, exec, s[18:19]
.LBB862_59:
	v_mul_lo_u32 v34, v21, s26
	v_mul_lo_u32 v35, v20, s27
	v_mad_u64_u32 v[30:31], s[18:19], v20, s26, 0
	v_add3_u32 v31, v31, v35, v34
	s_and_b64 vcc, exec, s[4:5]
	v_lshl_add_u64 v[30:31], v[30:31], 3, s[28:29]
	s_cbranch_vccnz .LBB862_68
; %bb.60:
	global_load_dwordx2 v[34:35], v[30:31], off
	global_load_dwordx2 v[36:37], v[32:33], off
	s_mov_b64 s[12:13], -1
	s_waitcnt vmcnt(0)
	v_cmp_eq_f64_e32 vcc, v[34:35], v[36:37]
	s_and_saveexec_b64 s[18:19], vcc
	s_cbranch_execz .LBB862_67
; %bb.61:
	s_add_u32 s12, s26, -1
	v_lshl_add_u64 v[32:33], v[32:33], 0, 8
	v_lshl_add_u64 v[34:35], v[30:31], 0, 8
	s_addc_u32 s13, s27, -1
	s_mov_b64 s[36:37], 0
	s_mov_b64 s[40:41], 0
                                        ; implicit-def: $sgpr38_sgpr39
	s_branch .LBB862_64
.LBB862_62:                             ;   in Loop: Header=BB862_64 Depth=1
	global_load_dwordx2 v[36:37], v[34:35], off
	global_load_dwordx2 v[46:47], v[32:33], off
	s_add_u32 s40, s40, 1
	s_addc_u32 s41, s41, 0
	s_andn2_b64 s[38:39], s[38:39], exec
	v_lshl_add_u64 v[32:33], v[32:33], 0, 8
	v_lshl_add_u64 v[34:35], v[34:35], 0, 8
	s_waitcnt vmcnt(0)
	v_cmp_neq_f64_e32 vcc, v[36:37], v[46:47]
	s_and_b64 s[42:43], vcc, exec
	s_or_b64 s[38:39], s[38:39], s[42:43]
.LBB862_63:                             ;   in Loop: Header=BB862_64 Depth=1
	s_and_b64 s[42:43], exec, s[38:39]
	s_or_b64 s[36:37], s[42:43], s[36:37]
	v_mov_b64_e32 v[36:37], s[40:41]
	s_andn2_b64 exec, exec, s[36:37]
	s_cbranch_execz .LBB862_66
.LBB862_64:                             ; =>This Inner Loop Header: Depth=1
	s_or_b64 s[38:39], s[38:39], exec
	s_cmp_eq_u64 s[12:13], s[40:41]
	s_cbranch_scc0 .LBB862_62
; %bb.65:                               ;   in Loop: Header=BB862_64 Depth=1
                                        ; implicit-def: $vgpr32_vgpr33
                                        ; implicit-def: $vgpr34_vgpr35
	s_mov_b64 s[40:41], s[26:27]
	s_branch .LBB862_63
.LBB862_66:
	s_or_b64 exec, exec, s[36:37]
	v_cmp_gt_i64_e32 vcc, s[26:27], v[36:37]
	s_orn2_b64 s[12:13], vcc, exec
.LBB862_67:
	s_or_b64 exec, exec, s[18:19]
.LBB862_68:
	v_mul_lo_u32 v34, v19, s26
	v_mul_lo_u32 v35, v18, s27
	v_mad_u64_u32 v[32:33], s[18:19], v18, s26, 0
	v_add3_u32 v33, v33, v35, v34
	s_mov_b64 s[18:19], 0
	s_and_b64 vcc, exec, s[4:5]
	v_lshl_add_u64 v[34:35], v[32:33], 3, s[28:29]
	s_mov_b64 s[36:37], 0
	s_cbranch_vccnz .LBB862_77
; %bb.69:
	global_load_dwordx2 v[32:33], v[34:35], off
	global_load_dwordx2 v[36:37], v[30:31], off
	s_mov_b64 s[36:37], -1
	s_waitcnt vmcnt(0)
	v_cmp_eq_f64_e32 vcc, v[32:33], v[36:37]
	s_and_saveexec_b64 s[38:39], vcc
	s_cbranch_execz .LBB862_76
; %bb.70:
	s_add_u32 s36, s26, -1
	v_lshl_add_u64 v[30:31], v[30:31], 0, 8
	v_lshl_add_u64 v[32:33], v[34:35], 0, 8
	s_addc_u32 s37, s27, -1
	s_mov_b64 s[40:41], 0
	s_mov_b64 s[44:45], 0
                                        ; implicit-def: $sgpr42_sgpr43
	s_branch .LBB862_73
.LBB862_71:                             ;   in Loop: Header=BB862_73 Depth=1
	global_load_dwordx2 v[36:37], v[32:33], off
	global_load_dwordx2 v[46:47], v[30:31], off
	s_add_u32 s44, s44, 1
	s_addc_u32 s45, s45, 0
	s_andn2_b64 s[42:43], s[42:43], exec
	v_lshl_add_u64 v[30:31], v[30:31], 0, 8
	v_lshl_add_u64 v[32:33], v[32:33], 0, 8
	s_waitcnt vmcnt(0)
	v_cmp_neq_f64_e32 vcc, v[36:37], v[46:47]
	s_and_b64 s[46:47], vcc, exec
	s_or_b64 s[42:43], s[42:43], s[46:47]
.LBB862_72:                             ;   in Loop: Header=BB862_73 Depth=1
	s_and_b64 s[46:47], exec, s[42:43]
	s_or_b64 s[40:41], s[46:47], s[40:41]
	v_mov_b64_e32 v[36:37], s[44:45]
	s_andn2_b64 exec, exec, s[40:41]
	s_cbranch_execz .LBB862_75
.LBB862_73:                             ; =>This Inner Loop Header: Depth=1
	s_or_b64 s[42:43], s[42:43], exec
	s_cmp_eq_u64 s[36:37], s[44:45]
	s_cbranch_scc0 .LBB862_71
; %bb.74:                               ;   in Loop: Header=BB862_73 Depth=1
                                        ; implicit-def: $vgpr30_vgpr31
                                        ; implicit-def: $vgpr32_vgpr33
	s_mov_b64 s[44:45], s[26:27]
	s_branch .LBB862_72
.LBB862_75:
	s_or_b64 exec, exec, s[40:41]
	v_cmp_gt_i64_e32 vcc, s[26:27], v[36:37]
	s_orn2_b64 s[36:37], vcc, exec
.LBB862_76:
	s_or_b64 exec, exec, s[38:39]
.LBB862_77:
	v_mul_lo_u32 v32, v25, s26
	v_mul_lo_u32 v33, v24, s27
	v_mad_u64_u32 v[30:31], s[38:39], v24, s26, 0
	v_add3_u32 v31, v31, v33, v32
	s_and_b64 vcc, exec, s[4:5]
	v_lshl_add_u64 v[32:33], v[30:31], 3, s[28:29]
	s_cbranch_vccnz .LBB862_86
; %bb.78:
	global_load_dwordx2 v[30:31], v[32:33], off
	global_load_dwordx2 v[36:37], v[34:35], off
	s_mov_b64 s[18:19], -1
	s_waitcnt vmcnt(0)
	v_cmp_eq_f64_e32 vcc, v[30:31], v[36:37]
	s_and_saveexec_b64 s[38:39], vcc
	s_cbranch_execz .LBB862_85
; %bb.79:
	s_add_u32 s18, s26, -1
	v_lshl_add_u64 v[30:31], v[34:35], 0, 8
	v_lshl_add_u64 v[34:35], v[32:33], 0, 8
	s_addc_u32 s19, s27, -1
	s_mov_b64 s[40:41], 0
	s_mov_b64 s[44:45], 0
                                        ; implicit-def: $sgpr42_sgpr43
	s_branch .LBB862_82
.LBB862_80:                             ;   in Loop: Header=BB862_82 Depth=1
	global_load_dwordx2 v[36:37], v[34:35], off
	global_load_dwordx2 v[46:47], v[30:31], off
	s_add_u32 s44, s44, 1
	s_addc_u32 s45, s45, 0
	s_andn2_b64 s[42:43], s[42:43], exec
	v_lshl_add_u64 v[30:31], v[30:31], 0, 8
	v_lshl_add_u64 v[34:35], v[34:35], 0, 8
	s_waitcnt vmcnt(0)
	v_cmp_neq_f64_e32 vcc, v[36:37], v[46:47]
	s_and_b64 s[46:47], vcc, exec
	s_or_b64 s[42:43], s[42:43], s[46:47]
.LBB862_81:                             ;   in Loop: Header=BB862_82 Depth=1
	s_and_b64 s[46:47], exec, s[42:43]
	s_or_b64 s[40:41], s[46:47], s[40:41]
	v_mov_b64_e32 v[36:37], s[44:45]
	s_andn2_b64 exec, exec, s[40:41]
	s_cbranch_execz .LBB862_84
.LBB862_82:                             ; =>This Inner Loop Header: Depth=1
	s_or_b64 s[42:43], s[42:43], exec
	s_cmp_eq_u64 s[18:19], s[44:45]
	s_cbranch_scc0 .LBB862_80
; %bb.83:                               ;   in Loop: Header=BB862_82 Depth=1
                                        ; implicit-def: $vgpr30_vgpr31
                                        ; implicit-def: $vgpr34_vgpr35
	s_mov_b64 s[44:45], s[26:27]
	s_branch .LBB862_81
.LBB862_84:
	s_or_b64 exec, exec, s[40:41]
	v_cmp_gt_i64_e32 vcc, s[26:27], v[36:37]
	s_orn2_b64 s[18:19], vcc, exec
.LBB862_85:
	s_or_b64 exec, exec, s[38:39]
.LBB862_86:
	v_mul_lo_u32 v34, v23, s26
	v_mul_lo_u32 v35, v22, s27
	v_mad_u64_u32 v[30:31], s[38:39], v22, s26, 0
	v_add3_u32 v31, v31, v35, v34
	s_mov_b64 s[40:41], 0
	s_and_b64 vcc, exec, s[4:5]
	v_lshl_add_u64 v[30:31], v[30:31], 3, s[28:29]
	s_cbranch_vccnz .LBB862_95
; %bb.87:
	global_load_dwordx2 v[34:35], v[30:31], off
	global_load_dwordx2 v[36:37], v[32:33], off
	s_mov_b64 s[40:41], -1
	s_waitcnt vmcnt(0)
	v_cmp_eq_f64_e32 vcc, v[34:35], v[36:37]
	s_and_saveexec_b64 s[38:39], vcc
	s_cbranch_execz .LBB862_94
; %bb.88:
	s_add_u32 s40, s26, -1
	v_lshl_add_u64 v[32:33], v[32:33], 0, 8
	v_lshl_add_u64 v[34:35], v[30:31], 0, 8
	s_addc_u32 s41, s27, -1
	s_mov_b64 s[42:43], 0
	s_mov_b64 s[46:47], 0
                                        ; implicit-def: $sgpr44_sgpr45
	s_branch .LBB862_91
.LBB862_89:                             ;   in Loop: Header=BB862_91 Depth=1
	global_load_dwordx2 v[36:37], v[34:35], off
	global_load_dwordx2 v[46:47], v[32:33], off
	s_add_u32 s46, s46, 1
	s_addc_u32 s47, s47, 0
	s_andn2_b64 s[44:45], s[44:45], exec
	v_lshl_add_u64 v[32:33], v[32:33], 0, 8
	v_lshl_add_u64 v[34:35], v[34:35], 0, 8
	s_waitcnt vmcnt(0)
	v_cmp_neq_f64_e32 vcc, v[36:37], v[46:47]
	s_and_b64 s[48:49], vcc, exec
	s_or_b64 s[44:45], s[44:45], s[48:49]
.LBB862_90:                             ;   in Loop: Header=BB862_91 Depth=1
	s_and_b64 s[48:49], exec, s[44:45]
	s_or_b64 s[42:43], s[48:49], s[42:43]
	v_mov_b64_e32 v[36:37], s[46:47]
	s_andn2_b64 exec, exec, s[42:43]
	s_cbranch_execz .LBB862_93
.LBB862_91:                             ; =>This Inner Loop Header: Depth=1
	s_or_b64 s[44:45], s[44:45], exec
	s_cmp_eq_u64 s[40:41], s[46:47]
	s_cbranch_scc0 .LBB862_89
; %bb.92:                               ;   in Loop: Header=BB862_91 Depth=1
                                        ; implicit-def: $vgpr32_vgpr33
                                        ; implicit-def: $vgpr34_vgpr35
	s_mov_b64 s[46:47], s[26:27]
	s_branch .LBB862_90
.LBB862_93:
	s_or_b64 exec, exec, s[42:43]
	v_cmp_gt_i64_e32 vcc, s[26:27], v[36:37]
	s_orn2_b64 s[40:41], vcc, exec
.LBB862_94:
	s_or_b64 exec, exec, s[38:39]
.LBB862_95:
	v_cmp_ne_u32_e32 vcc, 0, v0
	s_waitcnt lgkmcnt(0)
	v_mov_b64_e32 v[32:33], s[6:7]
	s_barrier
	s_and_saveexec_b64 s[38:39], vcc
	s_cbranch_execz .LBB862_97
; %bb.96:
	v_add_u32_e32 v32, -8, v45
	ds_read_b64 v[32:33], v32
.LBB862_97:
	s_or_b64 exec, exec, s[38:39]
	v_cndmask_b32_e64 v35, 0, 1, s[36:37]
	v_cndmask_b32_e64 v34, 0, 1, s[18:19]
	;; [unrolled: 1-line block ×3, first 2 shown]
	v_lshlrev_b16_e32 v35, 8, v35
	v_lshlrev_b16_e32 v36, 8, v36
	v_or_b32_sdwa v37, v34, v35 dst_sel:WORD_1 dst_unused:UNUSED_PAD src0_sel:DWORD src1_sel:DWORD
	s_mov_b64 s[36:37], 0
	s_and_b64 vcc, exec, s[4:5]
	s_mov_b64 s[18:19], 0
	s_cbranch_vccnz .LBB862_106
; %bb.98:
	s_waitcnt lgkmcnt(0)
	v_mul_lo_u32 v34, v33, s26
	v_mul_lo_u32 v35, v32, s27
	v_mad_u64_u32 v[32:33], s[18:19], v32, s26, 0
	v_add3_u32 v33, v33, v35, v34
	v_lshl_add_u64 v[32:33], v[32:33], 3, s[28:29]
	global_load_dwordx2 v[34:35], v[32:33], off
	global_load_dwordx2 v[46:47], v[30:31], off
	s_mov_b64 s[18:19], -1
	s_waitcnt vmcnt(0)
	v_cmp_eq_f64_e32 vcc, v[34:35], v[46:47]
	s_and_saveexec_b64 s[38:39], vcc
	s_cbranch_execz .LBB862_105
; %bb.99:
	s_add_u32 s18, s26, -1
	v_lshl_add_u64 v[30:31], v[30:31], 0, 8
	v_lshl_add_u64 v[32:33], v[32:33], 0, 8
	s_addc_u32 s19, s27, -1
	s_mov_b64 s[40:41], 0
	s_mov_b64 s[44:45], 0
                                        ; implicit-def: $sgpr42_sgpr43
	s_branch .LBB862_102
.LBB862_100:                            ;   in Loop: Header=BB862_102 Depth=1
	global_load_dwordx2 v[34:35], v[32:33], off
	global_load_dwordx2 v[46:47], v[30:31], off
	s_add_u32 s44, s44, 1
	s_addc_u32 s45, s45, 0
	s_andn2_b64 s[42:43], s[42:43], exec
	v_lshl_add_u64 v[30:31], v[30:31], 0, 8
	v_lshl_add_u64 v[32:33], v[32:33], 0, 8
	s_waitcnt vmcnt(0)
	v_cmp_neq_f64_e32 vcc, v[34:35], v[46:47]
	s_and_b64 s[46:47], vcc, exec
	s_or_b64 s[42:43], s[42:43], s[46:47]
.LBB862_101:                            ;   in Loop: Header=BB862_102 Depth=1
	s_and_b64 s[46:47], exec, s[42:43]
	s_or_b64 s[40:41], s[46:47], s[40:41]
	v_mov_b64_e32 v[34:35], s[44:45]
	s_andn2_b64 exec, exec, s[40:41]
	s_cbranch_execz .LBB862_104
.LBB862_102:                            ; =>This Inner Loop Header: Depth=1
	s_or_b64 s[42:43], s[42:43], exec
	s_cmp_eq_u64 s[18:19], s[44:45]
	s_cbranch_scc0 .LBB862_100
; %bb.103:                              ;   in Loop: Header=BB862_102 Depth=1
                                        ; implicit-def: $vgpr30_vgpr31
                                        ; implicit-def: $vgpr32_vgpr33
	s_mov_b64 s[44:45], s[26:27]
	s_branch .LBB862_101
.LBB862_104:
	s_or_b64 exec, exec, s[40:41]
	v_cmp_gt_i64_e32 vcc, s[26:27], v[34:35]
	s_orn2_b64 s[18:19], vcc, exec
.LBB862_105:
	s_or_b64 exec, exec, s[38:39]
.LBB862_106:
	v_cndmask_b32_e64 v46, 0, 1, s[12:13]
	v_cndmask_b32_e64 v47, 0, 1, s[14:15]
	v_cndmask_b32_e64 v48, 0, 1, s[10:11]
	v_or_b32_e32 v34, v36, v37
	s_and_b64 vcc, exec, s[36:37]
	s_cbranch_vccz .LBB862_187
.LBB862_107:
	v_cmp_gt_u32_e32 vcc, s3, v40
	s_mov_b64 s[12:13], 0
	s_mov_b64 s[10:11], 0
	s_and_saveexec_b64 s[14:15], vcc
	s_cbranch_execz .LBB862_118
; %bb.108:
	s_and_b64 vcc, exec, s[4:5]
	s_mov_b64 s[18:19], 0
	s_cbranch_vccnz .LBB862_117
; %bb.109:
	s_waitcnt lgkmcnt(0)
	v_mul_lo_u32 v32, v17, s26
	v_mul_lo_u32 v33, v16, s27
	v_mad_u64_u32 v[30:31], s[10:11], v16, s26, 0
	v_add3_u32 v31, v31, v33, v32
	v_mul_lo_u32 v32, v29, s26
	v_mul_lo_u32 v33, v28, s27
	v_mad_u64_u32 v[34:35], s[10:11], v28, s26, 0
	v_add3_u32 v35, v35, v33, v32
	v_lshl_add_u64 v[32:33], v[30:31], 3, s[28:29]
	v_lshl_add_u64 v[30:31], v[34:35], 3, s[28:29]
	global_load_dwordx2 v[34:35], v[32:33], off
	global_load_dwordx2 v[36:37], v[30:31], off
	s_mov_b64 s[18:19], -1
	s_waitcnt vmcnt(0)
	v_cmp_eq_f64_e32 vcc, v[34:35], v[36:37]
	s_and_saveexec_b64 s[10:11], vcc
	s_cbranch_execz .LBB862_116
; %bb.110:
	s_add_u32 s18, s26, -1
	v_lshl_add_u64 v[30:31], v[30:31], 0, 8
	v_lshl_add_u64 v[32:33], v[32:33], 0, 8
	s_addc_u32 s19, s27, -1
	s_mov_b64 s[36:37], 0
	s_mov_b64 s[40:41], 0
                                        ; implicit-def: $sgpr38_sgpr39
	s_branch .LBB862_113
.LBB862_111:                            ;   in Loop: Header=BB862_113 Depth=1
	global_load_dwordx2 v[34:35], v[32:33], off
	global_load_dwordx2 v[36:37], v[30:31], off
	s_add_u32 s40, s40, 1
	s_addc_u32 s41, s41, 0
	s_andn2_b64 s[38:39], s[38:39], exec
	v_lshl_add_u64 v[30:31], v[30:31], 0, 8
	v_lshl_add_u64 v[32:33], v[32:33], 0, 8
	s_waitcnt vmcnt(0)
	v_cmp_neq_f64_e32 vcc, v[34:35], v[36:37]
	s_and_b64 s[42:43], vcc, exec
	s_or_b64 s[38:39], s[38:39], s[42:43]
.LBB862_112:                            ;   in Loop: Header=BB862_113 Depth=1
	s_and_b64 s[42:43], exec, s[38:39]
	s_or_b64 s[36:37], s[42:43], s[36:37]
	v_mov_b64_e32 v[34:35], s[40:41]
	s_andn2_b64 exec, exec, s[36:37]
	s_cbranch_execz .LBB862_115
.LBB862_113:                            ; =>This Inner Loop Header: Depth=1
	s_or_b64 s[38:39], s[38:39], exec
	s_cmp_eq_u64 s[18:19], s[40:41]
	s_cbranch_scc0 .LBB862_111
; %bb.114:                              ;   in Loop: Header=BB862_113 Depth=1
                                        ; implicit-def: $vgpr30_vgpr31
                                        ; implicit-def: $vgpr32_vgpr33
	s_mov_b64 s[40:41], s[26:27]
	s_branch .LBB862_112
.LBB862_115:
	s_or_b64 exec, exec, s[36:37]
	v_cmp_gt_i64_e32 vcc, s[26:27], v[34:35]
	s_orn2_b64 s[18:19], vcc, exec
.LBB862_116:
	s_or_b64 exec, exec, s[10:11]
.LBB862_117:
	s_and_b64 s[10:11], s[18:19], exec
.LBB862_118:
	s_or_b64 exec, exec, s[14:15]
	v_cmp_gt_u32_e32 vcc, s3, v43
	s_and_saveexec_b64 s[14:15], vcc
	s_cbranch_execz .LBB862_129
; %bb.119:
	s_and_b64 vcc, exec, s[4:5]
	s_mov_b64 s[18:19], 0
	s_cbranch_vccnz .LBB862_128
; %bb.120:
	s_waitcnt lgkmcnt(0)
	v_mul_lo_u32 v32, v15, s26
	v_mul_lo_u32 v33, v14, s27
	v_mad_u64_u32 v[30:31], s[12:13], v14, s26, 0
	v_add3_u32 v31, v31, v33, v32
	v_mul_lo_u32 v32, v17, s26
	v_mul_lo_u32 v33, v16, s27
	v_mad_u64_u32 v[34:35], s[12:13], v16, s26, 0
	v_add3_u32 v35, v35, v33, v32
	v_lshl_add_u64 v[32:33], v[30:31], 3, s[28:29]
	v_lshl_add_u64 v[30:31], v[34:35], 3, s[28:29]
	global_load_dwordx2 v[34:35], v[32:33], off
	global_load_dwordx2 v[36:37], v[30:31], off
	s_mov_b64 s[18:19], -1
	s_waitcnt vmcnt(0)
	v_cmp_eq_f64_e32 vcc, v[34:35], v[36:37]
	s_and_saveexec_b64 s[12:13], vcc
	s_cbranch_execz .LBB862_127
; %bb.121:
	s_add_u32 s18, s26, -1
	v_lshl_add_u64 v[30:31], v[30:31], 0, 8
	v_lshl_add_u64 v[32:33], v[32:33], 0, 8
	s_addc_u32 s19, s27, -1
	s_mov_b64 s[36:37], 0
	s_mov_b64 s[40:41], 0
                                        ; implicit-def: $sgpr38_sgpr39
	s_branch .LBB862_124
.LBB862_122:                            ;   in Loop: Header=BB862_124 Depth=1
	global_load_dwordx2 v[34:35], v[32:33], off
	global_load_dwordx2 v[36:37], v[30:31], off
	s_add_u32 s40, s40, 1
	s_addc_u32 s41, s41, 0
	s_andn2_b64 s[38:39], s[38:39], exec
	v_lshl_add_u64 v[30:31], v[30:31], 0, 8
	v_lshl_add_u64 v[32:33], v[32:33], 0, 8
	s_waitcnt vmcnt(0)
	v_cmp_neq_f64_e32 vcc, v[34:35], v[36:37]
	s_and_b64 s[42:43], vcc, exec
	s_or_b64 s[38:39], s[38:39], s[42:43]
.LBB862_123:                            ;   in Loop: Header=BB862_124 Depth=1
	s_and_b64 s[42:43], exec, s[38:39]
	s_or_b64 s[36:37], s[42:43], s[36:37]
	v_mov_b64_e32 v[34:35], s[40:41]
	s_andn2_b64 exec, exec, s[36:37]
	s_cbranch_execz .LBB862_126
.LBB862_124:                            ; =>This Inner Loop Header: Depth=1
	s_or_b64 s[38:39], s[38:39], exec
	s_cmp_eq_u64 s[18:19], s[40:41]
	s_cbranch_scc0 .LBB862_122
; %bb.125:                              ;   in Loop: Header=BB862_124 Depth=1
                                        ; implicit-def: $vgpr30_vgpr31
                                        ; implicit-def: $vgpr32_vgpr33
	s_mov_b64 s[40:41], s[26:27]
	s_branch .LBB862_123
.LBB862_126:
	s_or_b64 exec, exec, s[36:37]
	v_cmp_gt_i64_e32 vcc, s[26:27], v[34:35]
	s_orn2_b64 s[18:19], vcc, exec
.LBB862_127:
	s_or_b64 exec, exec, s[12:13]
.LBB862_128:
	s_and_b64 s[12:13], s[18:19], exec
.LBB862_129:
	s_or_b64 exec, exec, s[14:15]
	v_cmp_gt_u32_e32 vcc, s3, v39
	s_mov_b64 s[18:19], 0
	s_mov_b64 s[14:15], 0
	s_and_saveexec_b64 s[36:37], vcc
	s_cbranch_execz .LBB862_140
; %bb.130:
	s_and_b64 vcc, exec, s[4:5]
	s_mov_b64 s[38:39], 0
	s_cbranch_vccnz .LBB862_139
; %bb.131:
	s_waitcnt lgkmcnt(0)
	v_mul_lo_u32 v32, v21, s26
	v_mul_lo_u32 v33, v20, s27
	v_mad_u64_u32 v[30:31], s[14:15], v20, s26, 0
	v_add3_u32 v31, v31, v33, v32
	v_mul_lo_u32 v32, v15, s26
	v_mul_lo_u32 v33, v14, s27
	v_mad_u64_u32 v[34:35], s[14:15], v14, s26, 0
	v_add3_u32 v35, v35, v33, v32
	v_lshl_add_u64 v[32:33], v[30:31], 3, s[28:29]
	v_lshl_add_u64 v[30:31], v[34:35], 3, s[28:29]
	global_load_dwordx2 v[34:35], v[32:33], off
	global_load_dwordx2 v[36:37], v[30:31], off
	s_mov_b64 s[38:39], -1
	s_waitcnt vmcnt(0)
	v_cmp_eq_f64_e32 vcc, v[34:35], v[36:37]
	s_and_saveexec_b64 s[14:15], vcc
	s_cbranch_execz .LBB862_138
; %bb.132:
	s_add_u32 s38, s26, -1
	v_lshl_add_u64 v[30:31], v[30:31], 0, 8
	v_lshl_add_u64 v[32:33], v[32:33], 0, 8
	s_addc_u32 s39, s27, -1
	s_mov_b64 s[40:41], 0
	s_mov_b64 s[44:45], 0
                                        ; implicit-def: $sgpr42_sgpr43
	s_branch .LBB862_135
.LBB862_133:                            ;   in Loop: Header=BB862_135 Depth=1
	global_load_dwordx2 v[34:35], v[32:33], off
	global_load_dwordx2 v[36:37], v[30:31], off
	s_add_u32 s44, s44, 1
	s_addc_u32 s45, s45, 0
	s_andn2_b64 s[42:43], s[42:43], exec
	v_lshl_add_u64 v[30:31], v[30:31], 0, 8
	v_lshl_add_u64 v[32:33], v[32:33], 0, 8
	s_waitcnt vmcnt(0)
	v_cmp_neq_f64_e32 vcc, v[34:35], v[36:37]
	s_and_b64 s[46:47], vcc, exec
	s_or_b64 s[42:43], s[42:43], s[46:47]
.LBB862_134:                            ;   in Loop: Header=BB862_135 Depth=1
	s_and_b64 s[46:47], exec, s[42:43]
	s_or_b64 s[40:41], s[46:47], s[40:41]
	v_mov_b64_e32 v[34:35], s[44:45]
	s_andn2_b64 exec, exec, s[40:41]
	s_cbranch_execz .LBB862_137
.LBB862_135:                            ; =>This Inner Loop Header: Depth=1
	s_or_b64 s[42:43], s[42:43], exec
	s_cmp_eq_u64 s[38:39], s[44:45]
	s_cbranch_scc0 .LBB862_133
; %bb.136:                              ;   in Loop: Header=BB862_135 Depth=1
                                        ; implicit-def: $vgpr30_vgpr31
                                        ; implicit-def: $vgpr32_vgpr33
	s_mov_b64 s[44:45], s[26:27]
	s_branch .LBB862_134
.LBB862_137:
	s_or_b64 exec, exec, s[40:41]
	v_cmp_gt_i64_e32 vcc, s[26:27], v[34:35]
	s_orn2_b64 s[38:39], vcc, exec
.LBB862_138:
	s_or_b64 exec, exec, s[14:15]
.LBB862_139:
	s_and_b64 s[14:15], s[38:39], exec
.LBB862_140:
	s_or_b64 exec, exec, s[36:37]
	v_cmp_gt_u32_e32 vcc, s3, v42
	s_and_saveexec_b64 s[36:37], vcc
	s_cbranch_execz .LBB862_151
; %bb.141:
	s_and_b64 vcc, exec, s[4:5]
	s_mov_b64 s[38:39], 0
	s_cbranch_vccnz .LBB862_150
; %bb.142:
	s_waitcnt lgkmcnt(0)
	v_mul_lo_u32 v32, v19, s26
	v_mul_lo_u32 v33, v18, s27
	v_mad_u64_u32 v[30:31], s[18:19], v18, s26, 0
	v_add3_u32 v31, v31, v33, v32
	v_mul_lo_u32 v32, v21, s26
	v_mul_lo_u32 v33, v20, s27
	v_mad_u64_u32 v[34:35], s[18:19], v20, s26, 0
	v_add3_u32 v35, v35, v33, v32
	v_lshl_add_u64 v[32:33], v[30:31], 3, s[28:29]
	v_lshl_add_u64 v[30:31], v[34:35], 3, s[28:29]
	global_load_dwordx2 v[34:35], v[32:33], off
	global_load_dwordx2 v[36:37], v[30:31], off
	s_mov_b64 s[38:39], -1
	s_waitcnt vmcnt(0)
	v_cmp_eq_f64_e32 vcc, v[34:35], v[36:37]
	s_and_saveexec_b64 s[18:19], vcc
	s_cbranch_execz .LBB862_149
; %bb.143:
	s_add_u32 s38, s26, -1
	v_lshl_add_u64 v[30:31], v[30:31], 0, 8
	v_lshl_add_u64 v[32:33], v[32:33], 0, 8
	s_addc_u32 s39, s27, -1
	s_mov_b64 s[40:41], 0
	s_mov_b64 s[44:45], 0
                                        ; implicit-def: $sgpr42_sgpr43
	s_branch .LBB862_146
.LBB862_144:                            ;   in Loop: Header=BB862_146 Depth=1
	global_load_dwordx2 v[34:35], v[32:33], off
	global_load_dwordx2 v[36:37], v[30:31], off
	s_add_u32 s44, s44, 1
	s_addc_u32 s45, s45, 0
	s_andn2_b64 s[42:43], s[42:43], exec
	v_lshl_add_u64 v[30:31], v[30:31], 0, 8
	v_lshl_add_u64 v[32:33], v[32:33], 0, 8
	s_waitcnt vmcnt(0)
	v_cmp_neq_f64_e32 vcc, v[34:35], v[36:37]
	s_and_b64 s[46:47], vcc, exec
	s_or_b64 s[42:43], s[42:43], s[46:47]
.LBB862_145:                            ;   in Loop: Header=BB862_146 Depth=1
	s_and_b64 s[46:47], exec, s[42:43]
	s_or_b64 s[40:41], s[46:47], s[40:41]
	v_mov_b64_e32 v[34:35], s[44:45]
	s_andn2_b64 exec, exec, s[40:41]
	s_cbranch_execz .LBB862_148
.LBB862_146:                            ; =>This Inner Loop Header: Depth=1
	s_or_b64 s[42:43], s[42:43], exec
	s_cmp_eq_u64 s[38:39], s[44:45]
	s_cbranch_scc0 .LBB862_144
; %bb.147:                              ;   in Loop: Header=BB862_146 Depth=1
                                        ; implicit-def: $vgpr30_vgpr31
                                        ; implicit-def: $vgpr32_vgpr33
	s_mov_b64 s[44:45], s[26:27]
	s_branch .LBB862_145
.LBB862_148:
	s_or_b64 exec, exec, s[40:41]
	v_cmp_gt_i64_e32 vcc, s[26:27], v[34:35]
	s_orn2_b64 s[38:39], vcc, exec
.LBB862_149:
	s_or_b64 exec, exec, s[18:19]
.LBB862_150:
	s_and_b64 s[18:19], s[38:39], exec
.LBB862_151:
	s_or_b64 exec, exec, s[36:37]
	v_cmp_gt_u32_e32 vcc, s3, v38
	s_mov_b64 s[36:37], 0
	s_mov_b64 s[38:39], 0
	s_and_saveexec_b64 s[40:41], vcc
	s_cbranch_execz .LBB862_162
; %bb.152:
	s_and_b64 vcc, exec, s[4:5]
	s_mov_b64 s[42:43], 0
	s_cbranch_vccnz .LBB862_161
; %bb.153:
	s_waitcnt lgkmcnt(0)
	v_mul_lo_u32 v32, v25, s26
	v_mul_lo_u32 v33, v24, s27
	v_mad_u64_u32 v[30:31], s[38:39], v24, s26, 0
	v_add3_u32 v31, v31, v33, v32
	v_mul_lo_u32 v32, v19, s26
	v_mul_lo_u32 v33, v18, s27
	v_mad_u64_u32 v[34:35], s[38:39], v18, s26, 0
	v_add3_u32 v35, v35, v33, v32
	v_lshl_add_u64 v[32:33], v[30:31], 3, s[28:29]
	v_lshl_add_u64 v[30:31], v[34:35], 3, s[28:29]
	global_load_dwordx2 v[34:35], v[32:33], off
	global_load_dwordx2 v[36:37], v[30:31], off
	s_mov_b64 s[42:43], -1
	s_waitcnt vmcnt(0)
	v_cmp_eq_f64_e32 vcc, v[34:35], v[36:37]
	s_and_saveexec_b64 s[38:39], vcc
	s_cbranch_execz .LBB862_160
; %bb.154:
	s_add_u32 s42, s26, -1
	v_lshl_add_u64 v[30:31], v[30:31], 0, 8
	v_lshl_add_u64 v[32:33], v[32:33], 0, 8
	s_addc_u32 s43, s27, -1
	s_mov_b64 s[44:45], 0
	s_mov_b64 s[48:49], 0
                                        ; implicit-def: $sgpr46_sgpr47
	s_branch .LBB862_157
.LBB862_155:                            ;   in Loop: Header=BB862_157 Depth=1
	global_load_dwordx2 v[34:35], v[32:33], off
	global_load_dwordx2 v[36:37], v[30:31], off
	s_add_u32 s48, s48, 1
	s_addc_u32 s49, s49, 0
	s_andn2_b64 s[46:47], s[46:47], exec
	v_lshl_add_u64 v[30:31], v[30:31], 0, 8
	v_lshl_add_u64 v[32:33], v[32:33], 0, 8
	s_waitcnt vmcnt(0)
	v_cmp_neq_f64_e32 vcc, v[34:35], v[36:37]
	s_and_b64 s[50:51], vcc, exec
	s_or_b64 s[46:47], s[46:47], s[50:51]
.LBB862_156:                            ;   in Loop: Header=BB862_157 Depth=1
	s_and_b64 s[50:51], exec, s[46:47]
	s_or_b64 s[44:45], s[50:51], s[44:45]
	v_mov_b64_e32 v[34:35], s[48:49]
	s_andn2_b64 exec, exec, s[44:45]
	s_cbranch_execz .LBB862_159
.LBB862_157:                            ; =>This Inner Loop Header: Depth=1
	s_or_b64 s[46:47], s[46:47], exec
	s_cmp_eq_u64 s[42:43], s[48:49]
	s_cbranch_scc0 .LBB862_155
; %bb.158:                              ;   in Loop: Header=BB862_157 Depth=1
                                        ; implicit-def: $vgpr30_vgpr31
                                        ; implicit-def: $vgpr32_vgpr33
	s_mov_b64 s[48:49], s[26:27]
	s_branch .LBB862_156
.LBB862_159:
	s_or_b64 exec, exec, s[44:45]
	v_cmp_gt_i64_e32 vcc, s[26:27], v[34:35]
	s_orn2_b64 s[42:43], vcc, exec
.LBB862_160:
	s_or_b64 exec, exec, s[38:39]
.LBB862_161:
	s_and_b64 s[38:39], s[42:43], exec
.LBB862_162:
	s_or_b64 exec, exec, s[40:41]
	v_cmp_gt_u32_e32 vcc, s3, v41
	s_and_saveexec_b64 s[40:41], vcc
	s_cbranch_execz .LBB862_173
; %bb.163:
	s_and_b64 vcc, exec, s[4:5]
	s_mov_b64 s[42:43], 0
	s_cbranch_vccnz .LBB862_172
; %bb.164:
	s_waitcnt lgkmcnt(0)
	v_mul_lo_u32 v32, v23, s26
	v_mul_lo_u32 v33, v22, s27
	v_mad_u64_u32 v[30:31], s[36:37], v22, s26, 0
	v_add3_u32 v31, v31, v33, v32
	v_mul_lo_u32 v32, v25, s26
	v_mul_lo_u32 v33, v24, s27
	v_mad_u64_u32 v[34:35], s[36:37], v24, s26, 0
	v_add3_u32 v35, v35, v33, v32
	v_lshl_add_u64 v[32:33], v[30:31], 3, s[28:29]
	v_lshl_add_u64 v[30:31], v[34:35], 3, s[28:29]
	global_load_dwordx2 v[34:35], v[32:33], off
	global_load_dwordx2 v[36:37], v[30:31], off
	s_mov_b64 s[42:43], -1
	s_waitcnt vmcnt(0)
	v_cmp_eq_f64_e32 vcc, v[34:35], v[36:37]
	s_and_saveexec_b64 s[36:37], vcc
	s_cbranch_execz .LBB862_171
; %bb.165:
	s_add_u32 s42, s26, -1
	v_lshl_add_u64 v[30:31], v[30:31], 0, 8
	v_lshl_add_u64 v[32:33], v[32:33], 0, 8
	s_addc_u32 s43, s27, -1
	s_mov_b64 s[44:45], 0
	s_mov_b64 s[48:49], 0
                                        ; implicit-def: $sgpr46_sgpr47
	s_branch .LBB862_168
.LBB862_166:                            ;   in Loop: Header=BB862_168 Depth=1
	global_load_dwordx2 v[34:35], v[32:33], off
	global_load_dwordx2 v[36:37], v[30:31], off
	s_add_u32 s48, s48, 1
	s_addc_u32 s49, s49, 0
	s_andn2_b64 s[46:47], s[46:47], exec
	v_lshl_add_u64 v[30:31], v[30:31], 0, 8
	v_lshl_add_u64 v[32:33], v[32:33], 0, 8
	s_waitcnt vmcnt(0)
	v_cmp_neq_f64_e32 vcc, v[34:35], v[36:37]
	s_and_b64 s[50:51], vcc, exec
	s_or_b64 s[46:47], s[46:47], s[50:51]
.LBB862_167:                            ;   in Loop: Header=BB862_168 Depth=1
	s_and_b64 s[50:51], exec, s[46:47]
	s_or_b64 s[44:45], s[50:51], s[44:45]
	v_mov_b64_e32 v[34:35], s[48:49]
	s_andn2_b64 exec, exec, s[44:45]
	s_cbranch_execz .LBB862_170
.LBB862_168:                            ; =>This Inner Loop Header: Depth=1
	s_or_b64 s[46:47], s[46:47], exec
	s_cmp_eq_u64 s[42:43], s[48:49]
	s_cbranch_scc0 .LBB862_166
; %bb.169:                              ;   in Loop: Header=BB862_168 Depth=1
                                        ; implicit-def: $vgpr30_vgpr31
                                        ; implicit-def: $vgpr32_vgpr33
	s_mov_b64 s[48:49], s[26:27]
	s_branch .LBB862_167
.LBB862_170:
	s_or_b64 exec, exec, s[44:45]
	v_cmp_gt_i64_e32 vcc, s[26:27], v[34:35]
	s_orn2_b64 s[42:43], vcc, exec
.LBB862_171:
	s_or_b64 exec, exec, s[36:37]
.LBB862_172:
	s_and_b64 s[36:37], s[42:43], exec
.LBB862_173:
	s_or_b64 exec, exec, s[40:41]
	v_cmp_ne_u32_e32 vcc, 0, v0
	s_waitcnt lgkmcnt(0)
	v_mov_b64_e32 v[30:31], s[6:7]
	s_barrier
	s_and_saveexec_b64 s[6:7], vcc
	s_cbranch_execz .LBB862_175
; %bb.174:
	v_add_u32_e32 v30, -8, v45
	ds_read_b64 v[30:31], v30
.LBB862_175:
	s_or_b64 exec, exec, s[6:7]
	v_cndmask_b32_e64 v33, 0, 1, s[18:19]
	v_cndmask_b32_e64 v32, 0, 1, s[38:39]
	;; [unrolled: 1-line block ×3, first 2 shown]
	v_lshlrev_b16_e32 v33, 8, v33
	v_cmp_gt_u32_e32 vcc, s3, v1
	v_lshlrev_b16_e32 v36, 8, v34
	v_or_b32_sdwa v37, v32, v33 dst_sel:WORD_1 dst_unused:UNUSED_PAD src0_sel:DWORD src1_sel:DWORD
	s_mov_b64 s[18:19], 0
	s_and_saveexec_b64 s[6:7], vcc
	s_cbranch_execz .LBB862_186
; %bb.176:
	s_and_b64 vcc, exec, s[4:5]
	s_cbranch_vccnz .LBB862_185
; %bb.177:
	s_waitcnt lgkmcnt(0)
	v_mul_lo_u32 v32, v31, s26
	v_mul_lo_u32 v33, v30, s27
	v_mad_u64_u32 v[30:31], s[4:5], v30, s26, 0
	v_add3_u32 v31, v31, v33, v32
	v_mul_lo_u32 v32, v23, s26
	v_mul_lo_u32 v33, v22, s27
	v_mad_u64_u32 v[34:35], s[4:5], v22, s26, 0
	v_add3_u32 v35, v35, v33, v32
	v_lshl_add_u64 v[32:33], v[30:31], 3, s[28:29]
	v_lshl_add_u64 v[30:31], v[34:35], 3, s[28:29]
	global_load_dwordx2 v[34:35], v[32:33], off
	global_load_dwordx2 v[46:47], v[30:31], off
	s_mov_b64 s[18:19], -1
	s_waitcnt vmcnt(0)
	v_cmp_eq_f64_e32 vcc, v[34:35], v[46:47]
	s_and_saveexec_b64 s[4:5], vcc
	s_cbranch_execz .LBB862_184
; %bb.178:
	s_add_u32 s18, s26, -1
	v_lshl_add_u64 v[30:31], v[30:31], 0, 8
	v_lshl_add_u64 v[32:33], v[32:33], 0, 8
	s_addc_u32 s19, s27, -1
	s_mov_b64 s[36:37], 0
	s_mov_b64 s[40:41], 0
                                        ; implicit-def: $sgpr38_sgpr39
	s_branch .LBB862_181
.LBB862_179:                            ;   in Loop: Header=BB862_181 Depth=1
	global_load_dwordx2 v[34:35], v[32:33], off
	global_load_dwordx2 v[46:47], v[30:31], off
	s_add_u32 s40, s40, 1
	s_addc_u32 s41, s41, 0
	s_andn2_b64 s[38:39], s[38:39], exec
	v_lshl_add_u64 v[30:31], v[30:31], 0, 8
	v_lshl_add_u64 v[32:33], v[32:33], 0, 8
	s_waitcnt vmcnt(0)
	v_cmp_neq_f64_e32 vcc, v[34:35], v[46:47]
	s_and_b64 s[42:43], vcc, exec
	s_or_b64 s[38:39], s[38:39], s[42:43]
.LBB862_180:                            ;   in Loop: Header=BB862_181 Depth=1
	s_and_b64 s[42:43], exec, s[38:39]
	s_or_b64 s[36:37], s[42:43], s[36:37]
	v_mov_b64_e32 v[34:35], s[40:41]
	s_andn2_b64 exec, exec, s[36:37]
	s_cbranch_execz .LBB862_183
.LBB862_181:                            ; =>This Inner Loop Header: Depth=1
	s_or_b64 s[38:39], s[38:39], exec
	s_cmp_eq_u64 s[18:19], s[40:41]
	s_cbranch_scc0 .LBB862_179
; %bb.182:                              ;   in Loop: Header=BB862_181 Depth=1
                                        ; implicit-def: $vgpr30_vgpr31
                                        ; implicit-def: $vgpr32_vgpr33
	s_mov_b64 s[40:41], s[26:27]
	s_branch .LBB862_180
.LBB862_183:
	s_or_b64 exec, exec, s[36:37]
	v_cmp_gt_i64_e32 vcc, s[26:27], v[34:35]
	s_orn2_b64 s[18:19], vcc, exec
.LBB862_184:
	s_or_b64 exec, exec, s[4:5]
.LBB862_185:
	s_and_b64 s[18:19], s[18:19], exec
.LBB862_186:
	s_or_b64 exec, exec, s[6:7]
	v_cndmask_b32_e64 v46, 0, 1, s[14:15]
	v_cndmask_b32_e64 v47, 0, 1, s[12:13]
	v_cndmask_b32_e64 v48, 0, 1, s[10:11]
	v_or_b32_e32 v34, v36, v37
.LBB862_187:
	s_mov_b64 s[10:11], -1
	s_cbranch_execnz .LBB862_46
.LBB862_188:
	s_movk_i32 s4, 0xffd0
	v_mad_i32_i24 v44, v0, s4, v44
	s_mov_b64 s[12:13], 0
	s_waitcnt lgkmcnt(0)
	v_cmp_gt_i64_e64 s[6:7], s[26:27], 0
	s_and_b64 vcc, exec, s[34:35]
	ds_write_b64 v44, v[28:29]
	s_cbranch_vccz .LBB862_196
; %bb.189:
	v_mul_lo_u32 v32, v17, s26
	v_mul_lo_u32 v33, v16, s27
	v_mad_u64_u32 v[30:31], s[4:5], v16, s26, 0
	v_add3_u32 v31, v31, v33, v32
	v_cndmask_b32_e64 v32, 0, 1, s[6:7]
	v_cmp_ne_u32_e64 s[4:5], 1, v32
	s_andn2_b64 vcc, exec, s[6:7]
	v_lshl_add_u64 v[30:31], v[30:31], 3, s[28:29]
	s_cbranch_vccnz .LBB862_199
; %bb.190:
	v_mul_lo_u32 v34, v29, s26
	v_mul_lo_u32 v35, v28, s27
	v_mad_u64_u32 v[32:33], s[12:13], v28, s26, 0
	v_add3_u32 v33, v33, v35, v34
	v_lshl_add_u64 v[32:33], v[32:33], 3, s[28:29]
	global_load_dwordx2 v[34:35], v[30:31], off
	global_load_dwordx2 v[36:37], v[32:33], off
	s_mov_b64 s[12:13], -1
	s_waitcnt vmcnt(0)
	v_cmp_eq_f64_e32 vcc, v[34:35], v[36:37]
	s_and_saveexec_b64 s[14:15], vcc
	s_cbranch_execz .LBB862_198
; %bb.191:
	s_add_u32 s12, s26, -1
	v_lshl_add_u64 v[32:33], v[32:33], 0, 8
	v_lshl_add_u64 v[34:35], v[30:31], 0, 8
	s_addc_u32 s13, s27, -1
	s_mov_b64 s[18:19], 0
	s_mov_b64 s[38:39], 0
                                        ; implicit-def: $sgpr36_sgpr37
	s_branch .LBB862_194
.LBB862_192:                            ;   in Loop: Header=BB862_194 Depth=1
	global_load_dwordx2 v[36:37], v[34:35], off
	global_load_dwordx2 v[46:47], v[32:33], off
	s_add_u32 s38, s38, 1
	s_addc_u32 s39, s39, 0
	s_andn2_b64 s[36:37], s[36:37], exec
	v_lshl_add_u64 v[32:33], v[32:33], 0, 8
	v_lshl_add_u64 v[34:35], v[34:35], 0, 8
	s_waitcnt vmcnt(0)
	v_cmp_neq_f64_e32 vcc, v[36:37], v[46:47]
	s_and_b64 s[40:41], vcc, exec
	s_or_b64 s[36:37], s[36:37], s[40:41]
.LBB862_193:                            ;   in Loop: Header=BB862_194 Depth=1
	s_and_b64 s[40:41], exec, s[36:37]
	s_or_b64 s[18:19], s[40:41], s[18:19]
	v_mov_b64_e32 v[36:37], s[38:39]
	s_andn2_b64 exec, exec, s[18:19]
	s_cbranch_execz .LBB862_197
.LBB862_194:                            ; =>This Inner Loop Header: Depth=1
	s_or_b64 s[36:37], s[36:37], exec
	s_cmp_eq_u64 s[12:13], s[38:39]
	s_cbranch_scc0 .LBB862_192
; %bb.195:                              ;   in Loop: Header=BB862_194 Depth=1
                                        ; implicit-def: $vgpr32_vgpr33
                                        ; implicit-def: $vgpr34_vgpr35
	s_mov_b64 s[38:39], s[26:27]
	s_branch .LBB862_193
.LBB862_196:
                                        ; implicit-def: $sgpr18_sgpr19
                                        ; implicit-def: $vgpr48
                                        ; implicit-def: $vgpr47
                                        ; implicit-def: $vgpr46
                                        ; implicit-def: $vgpr34
                                        ; implicit-def: $vgpr30_vgpr31
	s_cbranch_execnz .LBB862_256
	s_branch .LBB862_336
.LBB862_197:
	s_or_b64 exec, exec, s[18:19]
	v_cmp_gt_i64_e32 vcc, s[26:27], v[36:37]
	s_orn2_b64 s[12:13], vcc, exec
.LBB862_198:
	s_or_b64 exec, exec, s[14:15]
.LBB862_199:
	v_mul_lo_u32 v34, v15, s26
	v_mul_lo_u32 v35, v14, s27
	v_mad_u64_u32 v[32:33], s[14:15], v14, s26, 0
	v_add3_u32 v33, v33, v35, v34
	s_mov_b64 s[14:15], 0
	s_and_b64 vcc, exec, s[4:5]
	v_lshl_add_u64 v[32:33], v[32:33], 3, s[28:29]
	s_mov_b64 s[18:19], 0
	s_cbranch_vccnz .LBB862_208
; %bb.200:
	global_load_dwordx2 v[34:35], v[32:33], off
	global_load_dwordx2 v[36:37], v[30:31], off
	s_mov_b64 s[18:19], -1
	s_waitcnt vmcnt(0)
	v_cmp_eq_f64_e32 vcc, v[34:35], v[36:37]
	s_and_saveexec_b64 s[36:37], vcc
	s_cbranch_execz .LBB862_207
; %bb.201:
	s_add_u32 s18, s26, -1
	v_lshl_add_u64 v[30:31], v[30:31], 0, 8
	v_lshl_add_u64 v[34:35], v[32:33], 0, 8
	s_addc_u32 s19, s27, -1
	s_mov_b64 s[38:39], 0
	s_mov_b64 s[42:43], 0
                                        ; implicit-def: $sgpr40_sgpr41
	s_branch .LBB862_204
.LBB862_202:                            ;   in Loop: Header=BB862_204 Depth=1
	global_load_dwordx2 v[36:37], v[34:35], off
	global_load_dwordx2 v[46:47], v[30:31], off
	s_add_u32 s42, s42, 1
	s_addc_u32 s43, s43, 0
	s_andn2_b64 s[40:41], s[40:41], exec
	v_lshl_add_u64 v[30:31], v[30:31], 0, 8
	v_lshl_add_u64 v[34:35], v[34:35], 0, 8
	s_waitcnt vmcnt(0)
	v_cmp_neq_f64_e32 vcc, v[36:37], v[46:47]
	s_and_b64 s[44:45], vcc, exec
	s_or_b64 s[40:41], s[40:41], s[44:45]
.LBB862_203:                            ;   in Loop: Header=BB862_204 Depth=1
	s_and_b64 s[44:45], exec, s[40:41]
	s_or_b64 s[38:39], s[44:45], s[38:39]
	v_mov_b64_e32 v[36:37], s[42:43]
	s_andn2_b64 exec, exec, s[38:39]
	s_cbranch_execz .LBB862_206
.LBB862_204:                            ; =>This Inner Loop Header: Depth=1
	s_or_b64 s[40:41], s[40:41], exec
	s_cmp_eq_u64 s[18:19], s[42:43]
	s_cbranch_scc0 .LBB862_202
; %bb.205:                              ;   in Loop: Header=BB862_204 Depth=1
                                        ; implicit-def: $vgpr30_vgpr31
                                        ; implicit-def: $vgpr34_vgpr35
	s_mov_b64 s[42:43], s[26:27]
	s_branch .LBB862_203
.LBB862_206:
	s_or_b64 exec, exec, s[38:39]
	v_cmp_gt_i64_e32 vcc, s[26:27], v[36:37]
	s_orn2_b64 s[18:19], vcc, exec
.LBB862_207:
	s_or_b64 exec, exec, s[36:37]
.LBB862_208:
	v_mul_lo_u32 v34, v21, s26
	v_mul_lo_u32 v35, v20, s27
	v_mad_u64_u32 v[30:31], s[36:37], v20, s26, 0
	v_add3_u32 v31, v31, v35, v34
	s_and_b64 vcc, exec, s[4:5]
	v_lshl_add_u64 v[30:31], v[30:31], 3, s[28:29]
	s_cbranch_vccnz .LBB862_217
; %bb.209:
	global_load_dwordx2 v[34:35], v[30:31], off
	global_load_dwordx2 v[36:37], v[32:33], off
	s_mov_b64 s[14:15], -1
	s_waitcnt vmcnt(0)
	v_cmp_eq_f64_e32 vcc, v[34:35], v[36:37]
	s_and_saveexec_b64 s[36:37], vcc
	s_cbranch_execz .LBB862_216
; %bb.210:
	s_add_u32 s14, s26, -1
	v_lshl_add_u64 v[32:33], v[32:33], 0, 8
	v_lshl_add_u64 v[34:35], v[30:31], 0, 8
	s_addc_u32 s15, s27, -1
	s_mov_b64 s[38:39], 0
	s_mov_b64 s[42:43], 0
                                        ; implicit-def: $sgpr40_sgpr41
	s_branch .LBB862_213
.LBB862_211:                            ;   in Loop: Header=BB862_213 Depth=1
	global_load_dwordx2 v[36:37], v[34:35], off
	global_load_dwordx2 v[46:47], v[32:33], off
	s_add_u32 s42, s42, 1
	s_addc_u32 s43, s43, 0
	s_andn2_b64 s[40:41], s[40:41], exec
	v_lshl_add_u64 v[32:33], v[32:33], 0, 8
	v_lshl_add_u64 v[34:35], v[34:35], 0, 8
	s_waitcnt vmcnt(0)
	v_cmp_neq_f64_e32 vcc, v[36:37], v[46:47]
	s_and_b64 s[44:45], vcc, exec
	s_or_b64 s[40:41], s[40:41], s[44:45]
.LBB862_212:                            ;   in Loop: Header=BB862_213 Depth=1
	s_and_b64 s[44:45], exec, s[40:41]
	s_or_b64 s[38:39], s[44:45], s[38:39]
	v_mov_b64_e32 v[36:37], s[42:43]
	s_andn2_b64 exec, exec, s[38:39]
	s_cbranch_execz .LBB862_215
.LBB862_213:                            ; =>This Inner Loop Header: Depth=1
	s_or_b64 s[40:41], s[40:41], exec
	s_cmp_eq_u64 s[14:15], s[42:43]
	s_cbranch_scc0 .LBB862_211
; %bb.214:                              ;   in Loop: Header=BB862_213 Depth=1
                                        ; implicit-def: $vgpr32_vgpr33
                                        ; implicit-def: $vgpr34_vgpr35
	s_mov_b64 s[42:43], s[26:27]
	s_branch .LBB862_212
.LBB862_215:
	s_or_b64 exec, exec, s[38:39]
	v_cmp_gt_i64_e32 vcc, s[26:27], v[36:37]
	s_orn2_b64 s[14:15], vcc, exec
.LBB862_216:
	s_or_b64 exec, exec, s[36:37]
.LBB862_217:
	v_mul_lo_u32 v34, v19, s26
	v_mul_lo_u32 v35, v18, s27
	v_mad_u64_u32 v[32:33], s[36:37], v18, s26, 0
	v_add3_u32 v33, v33, v35, v34
	s_mov_b64 s[36:37], 0
	s_and_b64 vcc, exec, s[4:5]
	v_lshl_add_u64 v[32:33], v[32:33], 3, s[28:29]
	s_mov_b64 s[38:39], 0
	s_cbranch_vccnz .LBB862_226
; %bb.218:
	global_load_dwordx2 v[34:35], v[32:33], off
	global_load_dwordx2 v[36:37], v[30:31], off
	s_mov_b64 s[38:39], -1
	s_waitcnt vmcnt(0)
	v_cmp_eq_f64_e32 vcc, v[34:35], v[36:37]
	s_and_saveexec_b64 s[40:41], vcc
	s_cbranch_execz .LBB862_225
; %bb.219:
	s_add_u32 s38, s26, -1
	v_lshl_add_u64 v[30:31], v[30:31], 0, 8
	v_lshl_add_u64 v[34:35], v[32:33], 0, 8
	s_addc_u32 s39, s27, -1
	s_mov_b64 s[42:43], 0
	s_mov_b64 s[46:47], 0
                                        ; implicit-def: $sgpr44_sgpr45
	s_branch .LBB862_222
.LBB862_220:                            ;   in Loop: Header=BB862_222 Depth=1
	global_load_dwordx2 v[36:37], v[34:35], off
	global_load_dwordx2 v[46:47], v[30:31], off
	s_add_u32 s46, s46, 1
	s_addc_u32 s47, s47, 0
	s_andn2_b64 s[44:45], s[44:45], exec
	v_lshl_add_u64 v[30:31], v[30:31], 0, 8
	v_lshl_add_u64 v[34:35], v[34:35], 0, 8
	s_waitcnt vmcnt(0)
	v_cmp_neq_f64_e32 vcc, v[36:37], v[46:47]
	s_and_b64 s[48:49], vcc, exec
	s_or_b64 s[44:45], s[44:45], s[48:49]
.LBB862_221:                            ;   in Loop: Header=BB862_222 Depth=1
	s_and_b64 s[48:49], exec, s[44:45]
	s_or_b64 s[42:43], s[48:49], s[42:43]
	v_mov_b64_e32 v[36:37], s[46:47]
	s_andn2_b64 exec, exec, s[42:43]
	s_cbranch_execz .LBB862_224
.LBB862_222:                            ; =>This Inner Loop Header: Depth=1
	s_or_b64 s[44:45], s[44:45], exec
	s_cmp_eq_u64 s[38:39], s[46:47]
	s_cbranch_scc0 .LBB862_220
; %bb.223:                              ;   in Loop: Header=BB862_222 Depth=1
                                        ; implicit-def: $vgpr30_vgpr31
                                        ; implicit-def: $vgpr34_vgpr35
	s_mov_b64 s[46:47], s[26:27]
	s_branch .LBB862_221
.LBB862_224:
	s_or_b64 exec, exec, s[42:43]
	v_cmp_gt_i64_e32 vcc, s[26:27], v[36:37]
	s_orn2_b64 s[38:39], vcc, exec
.LBB862_225:
	s_or_b64 exec, exec, s[40:41]
.LBB862_226:
	v_mul_lo_u32 v34, v25, s26
	v_mul_lo_u32 v35, v24, s27
	v_mad_u64_u32 v[30:31], s[40:41], v24, s26, 0
	v_add3_u32 v31, v31, v35, v34
	s_and_b64 vcc, exec, s[4:5]
	v_lshl_add_u64 v[30:31], v[30:31], 3, s[28:29]
	s_cbranch_vccnz .LBB862_235
; %bb.227:
	global_load_dwordx2 v[34:35], v[30:31], off
	global_load_dwordx2 v[36:37], v[32:33], off
	s_mov_b64 s[36:37], -1
	s_waitcnt vmcnt(0)
	v_cmp_eq_f64_e32 vcc, v[34:35], v[36:37]
	s_and_saveexec_b64 s[40:41], vcc
	s_cbranch_execz .LBB862_234
; %bb.228:
	s_add_u32 s36, s26, -1
	v_lshl_add_u64 v[32:33], v[32:33], 0, 8
	v_lshl_add_u64 v[34:35], v[30:31], 0, 8
	s_addc_u32 s37, s27, -1
	s_mov_b64 s[42:43], 0
	s_mov_b64 s[46:47], 0
                                        ; implicit-def: $sgpr44_sgpr45
	s_branch .LBB862_231
.LBB862_229:                            ;   in Loop: Header=BB862_231 Depth=1
	global_load_dwordx2 v[36:37], v[34:35], off
	global_load_dwordx2 v[46:47], v[32:33], off
	s_add_u32 s46, s46, 1
	s_addc_u32 s47, s47, 0
	s_andn2_b64 s[44:45], s[44:45], exec
	v_lshl_add_u64 v[32:33], v[32:33], 0, 8
	v_lshl_add_u64 v[34:35], v[34:35], 0, 8
	s_waitcnt vmcnt(0)
	v_cmp_neq_f64_e32 vcc, v[36:37], v[46:47]
	s_and_b64 s[48:49], vcc, exec
	s_or_b64 s[44:45], s[44:45], s[48:49]
.LBB862_230:                            ;   in Loop: Header=BB862_231 Depth=1
	s_and_b64 s[48:49], exec, s[44:45]
	s_or_b64 s[42:43], s[48:49], s[42:43]
	v_mov_b64_e32 v[36:37], s[46:47]
	s_andn2_b64 exec, exec, s[42:43]
	s_cbranch_execz .LBB862_233
.LBB862_231:                            ; =>This Inner Loop Header: Depth=1
	s_or_b64 s[44:45], s[44:45], exec
	s_cmp_eq_u64 s[36:37], s[46:47]
	s_cbranch_scc0 .LBB862_229
; %bb.232:                              ;   in Loop: Header=BB862_231 Depth=1
                                        ; implicit-def: $vgpr32_vgpr33
                                        ; implicit-def: $vgpr34_vgpr35
	s_mov_b64 s[46:47], s[26:27]
	s_branch .LBB862_230
.LBB862_233:
	s_or_b64 exec, exec, s[42:43]
	v_cmp_gt_i64_e32 vcc, s[26:27], v[36:37]
	s_orn2_b64 s[36:37], vcc, exec
.LBB862_234:
	s_or_b64 exec, exec, s[40:41]
.LBB862_235:
	v_mul_lo_u32 v34, v23, s26
	v_mul_lo_u32 v35, v22, s27
	v_mad_u64_u32 v[32:33], s[40:41], v22, s26, 0
	v_add3_u32 v33, v33, v35, v34
	s_and_b64 vcc, exec, s[4:5]
	s_mov_b64 s[42:43], 0
	s_cbranch_vccnz .LBB862_244
; %bb.236:
	v_lshl_add_u64 v[34:35], v[32:33], 3, s[28:29]
	global_load_dwordx2 v[36:37], v[34:35], off
	global_load_dwordx2 v[46:47], v[30:31], off
	s_mov_b64 s[42:43], -1
	s_waitcnt vmcnt(0)
	v_cmp_eq_f64_e32 vcc, v[36:37], v[46:47]
	s_and_saveexec_b64 s[40:41], vcc
	s_cbranch_execz .LBB862_243
; %bb.237:
	s_add_u32 s42, s26, -1
	v_lshl_add_u64 v[30:31], v[30:31], 0, 8
	v_lshl_add_u64 v[34:35], v[34:35], 0, 8
	s_addc_u32 s43, s27, -1
	s_mov_b64 s[44:45], 0
	s_mov_b64 s[48:49], 0
                                        ; implicit-def: $sgpr46_sgpr47
	s_branch .LBB862_240
.LBB862_238:                            ;   in Loop: Header=BB862_240 Depth=1
	global_load_dwordx2 v[36:37], v[34:35], off
	global_load_dwordx2 v[46:47], v[30:31], off
	s_add_u32 s48, s48, 1
	s_addc_u32 s49, s49, 0
	s_andn2_b64 s[46:47], s[46:47], exec
	v_lshl_add_u64 v[30:31], v[30:31], 0, 8
	v_lshl_add_u64 v[34:35], v[34:35], 0, 8
	s_waitcnt vmcnt(0)
	v_cmp_neq_f64_e32 vcc, v[36:37], v[46:47]
	s_and_b64 s[50:51], vcc, exec
	s_or_b64 s[46:47], s[46:47], s[50:51]
.LBB862_239:                            ;   in Loop: Header=BB862_240 Depth=1
	s_and_b64 s[50:51], exec, s[46:47]
	s_or_b64 s[44:45], s[50:51], s[44:45]
	v_mov_b64_e32 v[36:37], s[48:49]
	s_andn2_b64 exec, exec, s[44:45]
	s_cbranch_execz .LBB862_242
.LBB862_240:                            ; =>This Inner Loop Header: Depth=1
	s_or_b64 s[46:47], s[46:47], exec
	s_cmp_eq_u64 s[42:43], s[48:49]
	s_cbranch_scc0 .LBB862_238
; %bb.241:                              ;   in Loop: Header=BB862_240 Depth=1
                                        ; implicit-def: $vgpr30_vgpr31
                                        ; implicit-def: $vgpr34_vgpr35
	s_mov_b64 s[48:49], s[26:27]
	s_branch .LBB862_239
.LBB862_242:
	s_or_b64 exec, exec, s[44:45]
	v_cmp_gt_i64_e32 vcc, s[26:27], v[36:37]
	s_orn2_b64 s[42:43], vcc, exec
.LBB862_243:
	s_or_b64 exec, exec, s[40:41]
.LBB862_244:
	v_cndmask_b32_e64 v31, 0, 1, s[38:39]
	v_cndmask_b32_e64 v30, 0, 1, s[36:37]
	;; [unrolled: 1-line block ×3, first 2 shown]
	v_lshlrev_b16_e32 v31, 8, v31
	v_cndmask_b32_e64 v46, 0, 1, s[14:15]
	v_cndmask_b32_e64 v34, 0, 1, s[42:43]
	v_or_b32_sdwa v30, v30, v31 dst_sel:WORD_1 dst_unused:UNUSED_PAD src0_sel:DWORD src1_sel:DWORD
	v_lshlrev_b16_e32 v31, 8, v47
	v_lshlrev_b16_e32 v34, 8, v34
	v_or_b32_e32 v31, v46, v31
	v_or_b32_e32 v34, 1, v34
	v_and_b32_e32 v31, 0xffff, v31
	v_cndmask_b32_e64 v48, 0, 1, s[12:13]
	v_or_b32_sdwa v30, v34, v30 dst_sel:DWORD dst_unused:UNUSED_PAD src0_sel:WORD_0 src1_sel:DWORD
	v_lshl_or_b32 v31, v48, 16, v31
	v_cmp_ne_u32_e32 vcc, 0, v0
	s_waitcnt lgkmcnt(0)
	s_barrier
	s_waitcnt lgkmcnt(0)
                                        ; implicit-def: $sgpr18_sgpr19
                                        ; implicit-def: $vgpr34
	s_and_saveexec_b64 s[12:13], vcc
	s_xor_b64 s[12:13], exec, s[12:13]
	s_cbranch_execz .LBB862_255
; %bb.245:
	s_mov_b32 s33, 0x3020104
	s_and_b64 vcc, exec, s[4:5]
	s_mov_b64 s[14:15], 0
	s_cbranch_vccnz .LBB862_254
; %bb.246:
	v_add_u32_e32 v31, -8, v44
	ds_read_b64 v[34:35], v31
	v_lshl_add_u64 v[32:33], v[32:33], 3, s[28:29]
	s_mov_b64 s[14:15], -1
	s_waitcnt lgkmcnt(0)
	v_mul_lo_u32 v31, v35, s26
	v_mul_lo_u32 v36, v34, s27
	v_mad_u64_u32 v[34:35], s[4:5], v34, s26, 0
	v_add3_u32 v35, v35, v36, v31
	v_lshl_add_u64 v[34:35], v[34:35], 3, s[28:29]
	global_load_dwordx2 v[36:37], v[34:35], off
	global_load_dwordx2 v[50:51], v[32:33], off
	s_waitcnt vmcnt(0)
	v_cmp_eq_f64_e32 vcc, v[36:37], v[50:51]
	s_and_saveexec_b64 s[4:5], vcc
	s_cbranch_execz .LBB862_253
; %bb.247:
	s_add_u32 s14, s26, -1
	v_lshl_add_u64 v[32:33], v[32:33], 0, 8
	v_lshl_add_u64 v[34:35], v[34:35], 0, 8
	s_addc_u32 s15, s27, -1
	s_mov_b64 s[18:19], 0
	s_mov_b64 s[38:39], 0
                                        ; implicit-def: $sgpr36_sgpr37
	s_branch .LBB862_250
.LBB862_248:                            ;   in Loop: Header=BB862_250 Depth=1
	global_load_dwordx2 v[36:37], v[34:35], off
	global_load_dwordx2 v[50:51], v[32:33], off
	s_add_u32 s38, s38, 1
	s_addc_u32 s39, s39, 0
	s_andn2_b64 s[36:37], s[36:37], exec
	v_lshl_add_u64 v[32:33], v[32:33], 0, 8
	v_lshl_add_u64 v[34:35], v[34:35], 0, 8
	s_waitcnt vmcnt(0)
	v_cmp_neq_f64_e32 vcc, v[36:37], v[50:51]
	s_and_b64 s[40:41], vcc, exec
	s_or_b64 s[36:37], s[36:37], s[40:41]
.LBB862_249:                            ;   in Loop: Header=BB862_250 Depth=1
	s_and_b64 s[40:41], exec, s[36:37]
	s_or_b64 s[18:19], s[40:41], s[18:19]
	v_mov_b64_e32 v[36:37], s[38:39]
	s_andn2_b64 exec, exec, s[18:19]
	s_cbranch_execz .LBB862_252
.LBB862_250:                            ; =>This Inner Loop Header: Depth=1
	s_or_b64 s[36:37], s[36:37], exec
	s_cmp_eq_u64 s[14:15], s[38:39]
	s_cbranch_scc0 .LBB862_248
; %bb.251:                              ;   in Loop: Header=BB862_250 Depth=1
                                        ; implicit-def: $vgpr32_vgpr33
                                        ; implicit-def: $vgpr34_vgpr35
	s_mov_b64 s[38:39], s[26:27]
	s_branch .LBB862_249
.LBB862_252:
	s_or_b64 exec, exec, s[18:19]
	v_cmp_gt_i64_e32 vcc, s[26:27], v[36:37]
	s_orn2_b64 s[14:15], vcc, exec
.LBB862_253:
	s_or_b64 exec, exec, s[4:5]
.LBB862_254:
	v_perm_b32 v34, v30, v30, s33
	s_and_b64 s[18:19], s[14:15], exec
	s_or_b64 s[10:11], s[10:11], exec
                                        ; implicit-def: $vgpr30_vgpr31
.LBB862_255:
	s_or_b64 exec, exec, s[12:13]
	s_branch .LBB862_336
.LBB862_256:
	v_cmp_gt_u32_e32 vcc, s3, v40
	s_mov_b64 s[12:13], 0
	s_mov_b64 s[4:5], 0
	s_and_saveexec_b64 s[14:15], vcc
	s_cbranch_execz .LBB862_267
; %bb.257:
	s_andn2_b64 vcc, exec, s[6:7]
	s_mov_b64 s[18:19], 0
	s_cbranch_vccnz .LBB862_266
; %bb.258:
	v_mul_lo_u32 v32, v17, s26
	v_mul_lo_u32 v33, v16, s27
	v_mad_u64_u32 v[30:31], s[4:5], v16, s26, 0
	v_add3_u32 v31, v31, v33, v32
	v_mul_lo_u32 v32, v29, s26
	v_mul_lo_u32 v33, v28, s27
	v_mad_u64_u32 v[34:35], s[4:5], v28, s26, 0
	v_add3_u32 v35, v35, v33, v32
	v_lshl_add_u64 v[32:33], v[30:31], 3, s[28:29]
	v_lshl_add_u64 v[30:31], v[34:35], 3, s[28:29]
	global_load_dwordx2 v[34:35], v[32:33], off
	global_load_dwordx2 v[36:37], v[30:31], off
	s_mov_b64 s[18:19], -1
	s_waitcnt vmcnt(0)
	v_cmp_eq_f64_e32 vcc, v[34:35], v[36:37]
	s_and_saveexec_b64 s[4:5], vcc
	s_cbranch_execz .LBB862_265
; %bb.259:
	s_add_u32 s18, s26, -1
	v_lshl_add_u64 v[30:31], v[30:31], 0, 8
	v_lshl_add_u64 v[32:33], v[32:33], 0, 8
	s_addc_u32 s19, s27, -1
	s_mov_b64 s[36:37], 0
	s_mov_b64 s[40:41], 0
                                        ; implicit-def: $sgpr38_sgpr39
	s_branch .LBB862_262
.LBB862_260:                            ;   in Loop: Header=BB862_262 Depth=1
	global_load_dwordx2 v[34:35], v[32:33], off
	global_load_dwordx2 v[36:37], v[30:31], off
	s_add_u32 s40, s40, 1
	s_addc_u32 s41, s41, 0
	s_andn2_b64 s[38:39], s[38:39], exec
	v_lshl_add_u64 v[30:31], v[30:31], 0, 8
	v_lshl_add_u64 v[32:33], v[32:33], 0, 8
	s_waitcnt vmcnt(0)
	v_cmp_neq_f64_e32 vcc, v[34:35], v[36:37]
	s_and_b64 s[42:43], vcc, exec
	s_or_b64 s[38:39], s[38:39], s[42:43]
.LBB862_261:                            ;   in Loop: Header=BB862_262 Depth=1
	s_and_b64 s[42:43], exec, s[38:39]
	s_or_b64 s[36:37], s[42:43], s[36:37]
	v_mov_b64_e32 v[34:35], s[40:41]
	s_andn2_b64 exec, exec, s[36:37]
	s_cbranch_execz .LBB862_264
.LBB862_262:                            ; =>This Inner Loop Header: Depth=1
	s_or_b64 s[38:39], s[38:39], exec
	s_cmp_eq_u64 s[18:19], s[40:41]
	s_cbranch_scc0 .LBB862_260
; %bb.263:                              ;   in Loop: Header=BB862_262 Depth=1
                                        ; implicit-def: $vgpr30_vgpr31
                                        ; implicit-def: $vgpr32_vgpr33
	s_mov_b64 s[40:41], s[26:27]
	s_branch .LBB862_261
.LBB862_264:
	s_or_b64 exec, exec, s[36:37]
	v_cmp_gt_i64_e32 vcc, s[26:27], v[34:35]
	s_orn2_b64 s[18:19], vcc, exec
.LBB862_265:
	s_or_b64 exec, exec, s[4:5]
.LBB862_266:
	s_and_b64 s[4:5], s[18:19], exec
.LBB862_267:
	s_or_b64 exec, exec, s[14:15]
	v_cmp_gt_u32_e32 vcc, s3, v43
	s_and_saveexec_b64 s[14:15], vcc
	s_cbranch_execz .LBB862_278
; %bb.268:
	s_andn2_b64 vcc, exec, s[6:7]
	s_mov_b64 s[18:19], 0
	s_cbranch_vccnz .LBB862_277
; %bb.269:
	v_mul_lo_u32 v32, v15, s26
	v_mul_lo_u32 v33, v14, s27
	v_mad_u64_u32 v[30:31], s[12:13], v14, s26, 0
	v_add3_u32 v31, v31, v33, v32
	v_mul_lo_u32 v32, v17, s26
	v_mul_lo_u32 v33, v16, s27
	v_mad_u64_u32 v[34:35], s[12:13], v16, s26, 0
	v_add3_u32 v35, v35, v33, v32
	v_lshl_add_u64 v[32:33], v[30:31], 3, s[28:29]
	v_lshl_add_u64 v[30:31], v[34:35], 3, s[28:29]
	global_load_dwordx2 v[34:35], v[32:33], off
	global_load_dwordx2 v[36:37], v[30:31], off
	s_mov_b64 s[18:19], -1
	s_waitcnt vmcnt(0)
	v_cmp_eq_f64_e32 vcc, v[34:35], v[36:37]
	s_and_saveexec_b64 s[12:13], vcc
	s_cbranch_execz .LBB862_276
; %bb.270:
	s_add_u32 s18, s26, -1
	v_lshl_add_u64 v[30:31], v[30:31], 0, 8
	v_lshl_add_u64 v[32:33], v[32:33], 0, 8
	s_addc_u32 s19, s27, -1
	s_mov_b64 s[36:37], 0
	s_mov_b64 s[40:41], 0
                                        ; implicit-def: $sgpr38_sgpr39
	s_branch .LBB862_273
.LBB862_271:                            ;   in Loop: Header=BB862_273 Depth=1
	global_load_dwordx2 v[34:35], v[32:33], off
	global_load_dwordx2 v[36:37], v[30:31], off
	s_add_u32 s40, s40, 1
	s_addc_u32 s41, s41, 0
	s_andn2_b64 s[38:39], s[38:39], exec
	v_lshl_add_u64 v[30:31], v[30:31], 0, 8
	v_lshl_add_u64 v[32:33], v[32:33], 0, 8
	s_waitcnt vmcnt(0)
	v_cmp_neq_f64_e32 vcc, v[34:35], v[36:37]
	s_and_b64 s[42:43], vcc, exec
	s_or_b64 s[38:39], s[38:39], s[42:43]
.LBB862_272:                            ;   in Loop: Header=BB862_273 Depth=1
	s_and_b64 s[42:43], exec, s[38:39]
	s_or_b64 s[36:37], s[42:43], s[36:37]
	v_mov_b64_e32 v[34:35], s[40:41]
	s_andn2_b64 exec, exec, s[36:37]
	s_cbranch_execz .LBB862_275
.LBB862_273:                            ; =>This Inner Loop Header: Depth=1
	s_or_b64 s[38:39], s[38:39], exec
	s_cmp_eq_u64 s[18:19], s[40:41]
	s_cbranch_scc0 .LBB862_271
; %bb.274:                              ;   in Loop: Header=BB862_273 Depth=1
                                        ; implicit-def: $vgpr30_vgpr31
                                        ; implicit-def: $vgpr32_vgpr33
	s_mov_b64 s[40:41], s[26:27]
	s_branch .LBB862_272
.LBB862_275:
	s_or_b64 exec, exec, s[36:37]
	v_cmp_gt_i64_e32 vcc, s[26:27], v[34:35]
	s_orn2_b64 s[18:19], vcc, exec
.LBB862_276:
	s_or_b64 exec, exec, s[12:13]
.LBB862_277:
	s_and_b64 s[12:13], s[18:19], exec
.LBB862_278:
	s_or_b64 exec, exec, s[14:15]
	v_cmp_gt_u32_e32 vcc, s3, v39
	s_mov_b64 s[18:19], 0
	s_mov_b64 s[14:15], 0
	s_and_saveexec_b64 s[36:37], vcc
	s_cbranch_execz .LBB862_289
; %bb.279:
	s_andn2_b64 vcc, exec, s[6:7]
	s_mov_b64 s[38:39], 0
	s_cbranch_vccnz .LBB862_288
; %bb.280:
	v_mul_lo_u32 v32, v21, s26
	v_mul_lo_u32 v33, v20, s27
	v_mad_u64_u32 v[30:31], s[14:15], v20, s26, 0
	v_add3_u32 v31, v31, v33, v32
	v_mul_lo_u32 v32, v15, s26
	v_mul_lo_u32 v33, v14, s27
	v_mad_u64_u32 v[34:35], s[14:15], v14, s26, 0
	v_add3_u32 v35, v35, v33, v32
	v_lshl_add_u64 v[32:33], v[30:31], 3, s[28:29]
	v_lshl_add_u64 v[30:31], v[34:35], 3, s[28:29]
	global_load_dwordx2 v[34:35], v[32:33], off
	global_load_dwordx2 v[36:37], v[30:31], off
	s_mov_b64 s[38:39], -1
	s_waitcnt vmcnt(0)
	v_cmp_eq_f64_e32 vcc, v[34:35], v[36:37]
	s_and_saveexec_b64 s[14:15], vcc
	s_cbranch_execz .LBB862_287
; %bb.281:
	s_add_u32 s38, s26, -1
	v_lshl_add_u64 v[30:31], v[30:31], 0, 8
	v_lshl_add_u64 v[32:33], v[32:33], 0, 8
	s_addc_u32 s39, s27, -1
	s_mov_b64 s[40:41], 0
	s_mov_b64 s[44:45], 0
                                        ; implicit-def: $sgpr42_sgpr43
	s_branch .LBB862_284
.LBB862_282:                            ;   in Loop: Header=BB862_284 Depth=1
	global_load_dwordx2 v[34:35], v[32:33], off
	global_load_dwordx2 v[36:37], v[30:31], off
	s_add_u32 s44, s44, 1
	s_addc_u32 s45, s45, 0
	s_andn2_b64 s[42:43], s[42:43], exec
	v_lshl_add_u64 v[30:31], v[30:31], 0, 8
	v_lshl_add_u64 v[32:33], v[32:33], 0, 8
	s_waitcnt vmcnt(0)
	v_cmp_neq_f64_e32 vcc, v[34:35], v[36:37]
	s_and_b64 s[46:47], vcc, exec
	s_or_b64 s[42:43], s[42:43], s[46:47]
.LBB862_283:                            ;   in Loop: Header=BB862_284 Depth=1
	s_and_b64 s[46:47], exec, s[42:43]
	s_or_b64 s[40:41], s[46:47], s[40:41]
	v_mov_b64_e32 v[34:35], s[44:45]
	s_andn2_b64 exec, exec, s[40:41]
	s_cbranch_execz .LBB862_286
.LBB862_284:                            ; =>This Inner Loop Header: Depth=1
	s_or_b64 s[42:43], s[42:43], exec
	s_cmp_eq_u64 s[38:39], s[44:45]
	s_cbranch_scc0 .LBB862_282
; %bb.285:                              ;   in Loop: Header=BB862_284 Depth=1
                                        ; implicit-def: $vgpr30_vgpr31
                                        ; implicit-def: $vgpr32_vgpr33
	s_mov_b64 s[44:45], s[26:27]
	s_branch .LBB862_283
.LBB862_286:
	s_or_b64 exec, exec, s[40:41]
	v_cmp_gt_i64_e32 vcc, s[26:27], v[34:35]
	s_orn2_b64 s[38:39], vcc, exec
.LBB862_287:
	s_or_b64 exec, exec, s[14:15]
.LBB862_288:
	s_and_b64 s[14:15], s[38:39], exec
.LBB862_289:
	s_or_b64 exec, exec, s[36:37]
	v_cmp_gt_u32_e32 vcc, s3, v42
	s_and_saveexec_b64 s[36:37], vcc
	s_cbranch_execz .LBB862_300
; %bb.290:
	s_andn2_b64 vcc, exec, s[6:7]
	s_mov_b64 s[38:39], 0
	s_cbranch_vccnz .LBB862_299
; %bb.291:
	v_mul_lo_u32 v32, v19, s26
	v_mul_lo_u32 v33, v18, s27
	v_mad_u64_u32 v[30:31], s[18:19], v18, s26, 0
	v_add3_u32 v31, v31, v33, v32
	v_mul_lo_u32 v32, v21, s26
	v_mul_lo_u32 v33, v20, s27
	v_mad_u64_u32 v[34:35], s[18:19], v20, s26, 0
	v_add3_u32 v35, v35, v33, v32
	v_lshl_add_u64 v[32:33], v[30:31], 3, s[28:29]
	v_lshl_add_u64 v[30:31], v[34:35], 3, s[28:29]
	global_load_dwordx2 v[34:35], v[32:33], off
	global_load_dwordx2 v[36:37], v[30:31], off
	s_mov_b64 s[38:39], -1
	s_waitcnt vmcnt(0)
	v_cmp_eq_f64_e32 vcc, v[34:35], v[36:37]
	s_and_saveexec_b64 s[18:19], vcc
	s_cbranch_execz .LBB862_298
; %bb.292:
	s_add_u32 s38, s26, -1
	v_lshl_add_u64 v[30:31], v[30:31], 0, 8
	v_lshl_add_u64 v[32:33], v[32:33], 0, 8
	s_addc_u32 s39, s27, -1
	s_mov_b64 s[40:41], 0
	s_mov_b64 s[44:45], 0
                                        ; implicit-def: $sgpr42_sgpr43
	s_branch .LBB862_295
.LBB862_293:                            ;   in Loop: Header=BB862_295 Depth=1
	global_load_dwordx2 v[34:35], v[32:33], off
	global_load_dwordx2 v[36:37], v[30:31], off
	s_add_u32 s44, s44, 1
	s_addc_u32 s45, s45, 0
	s_andn2_b64 s[42:43], s[42:43], exec
	v_lshl_add_u64 v[30:31], v[30:31], 0, 8
	v_lshl_add_u64 v[32:33], v[32:33], 0, 8
	s_waitcnt vmcnt(0)
	v_cmp_neq_f64_e32 vcc, v[34:35], v[36:37]
	s_and_b64 s[46:47], vcc, exec
	s_or_b64 s[42:43], s[42:43], s[46:47]
.LBB862_294:                            ;   in Loop: Header=BB862_295 Depth=1
	s_and_b64 s[46:47], exec, s[42:43]
	s_or_b64 s[40:41], s[46:47], s[40:41]
	v_mov_b64_e32 v[34:35], s[44:45]
	s_andn2_b64 exec, exec, s[40:41]
	s_cbranch_execz .LBB862_297
.LBB862_295:                            ; =>This Inner Loop Header: Depth=1
	s_or_b64 s[42:43], s[42:43], exec
	s_cmp_eq_u64 s[38:39], s[44:45]
	s_cbranch_scc0 .LBB862_293
; %bb.296:                              ;   in Loop: Header=BB862_295 Depth=1
                                        ; implicit-def: $vgpr30_vgpr31
                                        ; implicit-def: $vgpr32_vgpr33
	s_mov_b64 s[44:45], s[26:27]
	s_branch .LBB862_294
.LBB862_297:
	s_or_b64 exec, exec, s[40:41]
	v_cmp_gt_i64_e32 vcc, s[26:27], v[34:35]
	s_orn2_b64 s[38:39], vcc, exec
.LBB862_298:
	s_or_b64 exec, exec, s[18:19]
.LBB862_299:
	s_and_b64 s[18:19], s[38:39], exec
.LBB862_300:
	s_or_b64 exec, exec, s[36:37]
	v_cmp_gt_u32_e32 vcc, s3, v38
	s_mov_b64 s[36:37], 0
	s_mov_b64 s[38:39], 0
	s_and_saveexec_b64 s[40:41], vcc
	s_cbranch_execz .LBB862_311
; %bb.301:
	s_andn2_b64 vcc, exec, s[6:7]
	s_mov_b64 s[42:43], 0
	s_cbranch_vccnz .LBB862_310
; %bb.302:
	v_mul_lo_u32 v32, v25, s26
	v_mul_lo_u32 v33, v24, s27
	v_mad_u64_u32 v[30:31], s[38:39], v24, s26, 0
	v_add3_u32 v31, v31, v33, v32
	v_mul_lo_u32 v32, v19, s26
	v_mul_lo_u32 v33, v18, s27
	v_mad_u64_u32 v[34:35], s[38:39], v18, s26, 0
	v_add3_u32 v35, v35, v33, v32
	v_lshl_add_u64 v[32:33], v[30:31], 3, s[28:29]
	v_lshl_add_u64 v[30:31], v[34:35], 3, s[28:29]
	global_load_dwordx2 v[34:35], v[32:33], off
	global_load_dwordx2 v[36:37], v[30:31], off
	s_mov_b64 s[42:43], -1
	s_waitcnt vmcnt(0)
	v_cmp_eq_f64_e32 vcc, v[34:35], v[36:37]
	s_and_saveexec_b64 s[38:39], vcc
	s_cbranch_execz .LBB862_309
; %bb.303:
	s_add_u32 s42, s26, -1
	v_lshl_add_u64 v[30:31], v[30:31], 0, 8
	v_lshl_add_u64 v[32:33], v[32:33], 0, 8
	s_addc_u32 s43, s27, -1
	s_mov_b64 s[44:45], 0
	s_mov_b64 s[48:49], 0
                                        ; implicit-def: $sgpr46_sgpr47
	s_branch .LBB862_306
.LBB862_304:                            ;   in Loop: Header=BB862_306 Depth=1
	global_load_dwordx2 v[34:35], v[32:33], off
	global_load_dwordx2 v[36:37], v[30:31], off
	s_add_u32 s48, s48, 1
	s_addc_u32 s49, s49, 0
	s_andn2_b64 s[46:47], s[46:47], exec
	v_lshl_add_u64 v[30:31], v[30:31], 0, 8
	v_lshl_add_u64 v[32:33], v[32:33], 0, 8
	s_waitcnt vmcnt(0)
	v_cmp_neq_f64_e32 vcc, v[34:35], v[36:37]
	s_and_b64 s[50:51], vcc, exec
	s_or_b64 s[46:47], s[46:47], s[50:51]
.LBB862_305:                            ;   in Loop: Header=BB862_306 Depth=1
	s_and_b64 s[50:51], exec, s[46:47]
	s_or_b64 s[44:45], s[50:51], s[44:45]
	v_mov_b64_e32 v[34:35], s[48:49]
	s_andn2_b64 exec, exec, s[44:45]
	s_cbranch_execz .LBB862_308
.LBB862_306:                            ; =>This Inner Loop Header: Depth=1
	s_or_b64 s[46:47], s[46:47], exec
	s_cmp_eq_u64 s[42:43], s[48:49]
	s_cbranch_scc0 .LBB862_304
; %bb.307:                              ;   in Loop: Header=BB862_306 Depth=1
                                        ; implicit-def: $vgpr30_vgpr31
                                        ; implicit-def: $vgpr32_vgpr33
	s_mov_b64 s[48:49], s[26:27]
	s_branch .LBB862_305
.LBB862_308:
	s_or_b64 exec, exec, s[44:45]
	v_cmp_gt_i64_e32 vcc, s[26:27], v[34:35]
	s_orn2_b64 s[42:43], vcc, exec
.LBB862_309:
	s_or_b64 exec, exec, s[38:39]
.LBB862_310:
	s_and_b64 s[38:39], s[42:43], exec
.LBB862_311:
	s_or_b64 exec, exec, s[40:41]
	v_cmp_gt_u32_e32 vcc, s3, v41
	s_and_saveexec_b64 s[40:41], vcc
	s_cbranch_execz .LBB862_322
; %bb.312:
	s_andn2_b64 vcc, exec, s[6:7]
	s_mov_b64 s[42:43], 0
	s_cbranch_vccnz .LBB862_321
; %bb.313:
	v_mul_lo_u32 v32, v23, s26
	v_mul_lo_u32 v33, v22, s27
	v_mad_u64_u32 v[30:31], s[36:37], v22, s26, 0
	v_add3_u32 v31, v31, v33, v32
	v_mul_lo_u32 v32, v25, s26
	v_mul_lo_u32 v33, v24, s27
	v_mad_u64_u32 v[34:35], s[36:37], v24, s26, 0
	v_add3_u32 v35, v35, v33, v32
	v_lshl_add_u64 v[32:33], v[30:31], 3, s[28:29]
	v_lshl_add_u64 v[30:31], v[34:35], 3, s[28:29]
	global_load_dwordx2 v[34:35], v[32:33], off
	global_load_dwordx2 v[36:37], v[30:31], off
	s_mov_b64 s[42:43], -1
	s_waitcnt vmcnt(0)
	v_cmp_eq_f64_e32 vcc, v[34:35], v[36:37]
	s_and_saveexec_b64 s[36:37], vcc
	s_cbranch_execz .LBB862_320
; %bb.314:
	s_add_u32 s42, s26, -1
	v_lshl_add_u64 v[30:31], v[30:31], 0, 8
	v_lshl_add_u64 v[32:33], v[32:33], 0, 8
	s_addc_u32 s43, s27, -1
	s_mov_b64 s[44:45], 0
	s_mov_b64 s[48:49], 0
                                        ; implicit-def: $sgpr46_sgpr47
	s_branch .LBB862_317
.LBB862_315:                            ;   in Loop: Header=BB862_317 Depth=1
	global_load_dwordx2 v[34:35], v[32:33], off
	global_load_dwordx2 v[36:37], v[30:31], off
	s_add_u32 s48, s48, 1
	s_addc_u32 s49, s49, 0
	s_andn2_b64 s[46:47], s[46:47], exec
	v_lshl_add_u64 v[30:31], v[30:31], 0, 8
	v_lshl_add_u64 v[32:33], v[32:33], 0, 8
	s_waitcnt vmcnt(0)
	v_cmp_neq_f64_e32 vcc, v[34:35], v[36:37]
	s_and_b64 s[50:51], vcc, exec
	s_or_b64 s[46:47], s[46:47], s[50:51]
.LBB862_316:                            ;   in Loop: Header=BB862_317 Depth=1
	s_and_b64 s[50:51], exec, s[46:47]
	s_or_b64 s[44:45], s[50:51], s[44:45]
	v_mov_b64_e32 v[34:35], s[48:49]
	s_andn2_b64 exec, exec, s[44:45]
	s_cbranch_execz .LBB862_319
.LBB862_317:                            ; =>This Inner Loop Header: Depth=1
	s_or_b64 s[46:47], s[46:47], exec
	s_cmp_eq_u64 s[42:43], s[48:49]
	s_cbranch_scc0 .LBB862_315
; %bb.318:                              ;   in Loop: Header=BB862_317 Depth=1
                                        ; implicit-def: $vgpr30_vgpr31
                                        ; implicit-def: $vgpr32_vgpr33
	s_mov_b64 s[48:49], s[26:27]
	s_branch .LBB862_316
.LBB862_319:
	s_or_b64 exec, exec, s[44:45]
	v_cmp_gt_i64_e32 vcc, s[26:27], v[34:35]
	s_orn2_b64 s[42:43], vcc, exec
.LBB862_320:
	s_or_b64 exec, exec, s[36:37]
.LBB862_321:
	s_and_b64 s[36:37], s[42:43], exec
.LBB862_322:
	s_or_b64 exec, exec, s[40:41]
	v_cndmask_b32_e64 v31, 0, 1, s[18:19]
	v_cndmask_b32_e64 v30, 0, 1, s[38:39]
	;; [unrolled: 1-line block ×3, first 2 shown]
	v_lshlrev_b16_e32 v31, 8, v31
	v_cndmask_b32_e64 v46, 0, 1, s[14:15]
	v_cndmask_b32_e64 v32, 0, 1, s[36:37]
	v_or_b32_sdwa v30, v30, v31 dst_sel:WORD_1 dst_unused:UNUSED_PAD src0_sel:DWORD src1_sel:DWORD
	v_lshlrev_b16_e32 v31, 8, v47
	v_lshlrev_b16_e32 v32, 8, v32
	v_or_b32_e32 v31, v46, v31
	v_or_b32_e32 v32, 1, v32
	v_and_b32_e32 v31, 0xffff, v31
	v_cndmask_b32_e64 v48, 0, 1, s[4:5]
	v_or_b32_sdwa v30, v32, v30 dst_sel:DWORD dst_unused:UNUSED_PAD src0_sel:WORD_0 src1_sel:DWORD
	v_lshl_or_b32 v31, v48, 16, v31
	v_cmp_ne_u32_e32 vcc, 0, v0
	s_waitcnt lgkmcnt(0)
	s_barrier
	s_waitcnt lgkmcnt(0)
                                        ; implicit-def: $sgpr18_sgpr19
                                        ; implicit-def: $vgpr34
	s_and_saveexec_b64 s[4:5], vcc
	s_cbranch_execz .LBB862_335
; %bb.323:
	v_cmp_gt_u32_e32 vcc, s3, v1
	s_mov_b32 s33, 0x3020104
	s_mov_b64 s[14:15], 0
	s_and_saveexec_b64 s[12:13], vcc
	s_cbranch_execz .LBB862_334
; %bb.324:
	s_andn2_b64 vcc, exec, s[6:7]
	s_cbranch_vccnz .LBB862_333
; %bb.325:
	v_add_u32_e32 v31, -8, v44
	ds_read_b64 v[32:33], v31
	v_mul_lo_u32 v31, v23, s26
	v_mad_u64_u32 v[36:37], s[6:7], v22, s26, 0
	s_mov_b64 s[14:15], -1
	s_waitcnt lgkmcnt(0)
	v_mul_lo_u32 v34, v33, s26
	v_mul_lo_u32 v35, v32, s27
	v_mad_u64_u32 v[32:33], s[6:7], v32, s26, 0
	v_add3_u32 v33, v33, v35, v34
	v_mul_lo_u32 v34, v22, s27
	v_add3_u32 v37, v37, v34, v31
	v_lshl_add_u64 v[34:35], v[32:33], 3, s[28:29]
	v_lshl_add_u64 v[32:33], v[36:37], 3, s[28:29]
	global_load_dwordx2 v[36:37], v[34:35], off
	global_load_dwordx2 v[44:45], v[32:33], off
	s_waitcnt vmcnt(0)
	v_cmp_eq_f64_e32 vcc, v[36:37], v[44:45]
	s_and_saveexec_b64 s[6:7], vcc
	s_cbranch_execz .LBB862_332
; %bb.326:
	s_add_u32 s14, s26, -1
	v_lshl_add_u64 v[32:33], v[32:33], 0, 8
	v_lshl_add_u64 v[34:35], v[34:35], 0, 8
	s_addc_u32 s15, s27, -1
	s_mov_b64 s[18:19], 0
	s_mov_b64 s[36:37], 0
                                        ; implicit-def: $sgpr28_sgpr29
	s_branch .LBB862_329
.LBB862_327:                            ;   in Loop: Header=BB862_329 Depth=1
	global_load_dwordx2 v[36:37], v[34:35], off
	global_load_dwordx2 v[44:45], v[32:33], off
	s_add_u32 s36, s36, 1
	s_addc_u32 s37, s37, 0
	s_andn2_b64 s[28:29], s[28:29], exec
	v_lshl_add_u64 v[32:33], v[32:33], 0, 8
	v_lshl_add_u64 v[34:35], v[34:35], 0, 8
	s_waitcnt vmcnt(0)
	v_cmp_neq_f64_e32 vcc, v[36:37], v[44:45]
	s_and_b64 s[38:39], vcc, exec
	s_or_b64 s[28:29], s[28:29], s[38:39]
.LBB862_328:                            ;   in Loop: Header=BB862_329 Depth=1
	s_and_b64 s[38:39], exec, s[28:29]
	s_or_b64 s[18:19], s[38:39], s[18:19]
	v_mov_b64_e32 v[36:37], s[36:37]
	s_andn2_b64 exec, exec, s[18:19]
	s_cbranch_execz .LBB862_331
.LBB862_329:                            ; =>This Inner Loop Header: Depth=1
	s_or_b64 s[28:29], s[28:29], exec
	s_cmp_eq_u64 s[14:15], s[36:37]
	s_cbranch_scc0 .LBB862_327
; %bb.330:                              ;   in Loop: Header=BB862_329 Depth=1
                                        ; implicit-def: $vgpr32_vgpr33
                                        ; implicit-def: $vgpr34_vgpr35
	s_mov_b64 s[36:37], s[26:27]
	s_branch .LBB862_328
.LBB862_331:
	s_or_b64 exec, exec, s[18:19]
	v_cmp_gt_i64_e32 vcc, s[26:27], v[36:37]
	s_orn2_b64 s[14:15], vcc, exec
.LBB862_332:
	s_or_b64 exec, exec, s[6:7]
.LBB862_333:
	s_and_b64 s[14:15], s[14:15], exec
.LBB862_334:
	s_or_b64 exec, exec, s[12:13]
	v_perm_b32 v34, v30, v30, s33
	s_and_b64 s[18:19], s[14:15], exec
	s_or_b64 s[10:11], s[10:11], exec
                                        ; implicit-def: $vgpr30_vgpr31
.LBB862_335:
	s_or_b64 exec, exec, s[4:5]
.LBB862_336:
	s_and_saveexec_b64 s[4:5], s[10:11]
	s_cbranch_execz .LBB862_338
; %bb.337:
	s_waitcnt lgkmcnt(0)
	v_lshlrev_b16_e32 v31, 8, v47
	v_and_b32_e32 v32, 0xff, v48
	v_or_b32_sdwa v31, v46, v31 dst_sel:DWORD dst_unused:UNUSED_PAD src0_sel:BYTE_0 src1_sel:DWORD
	v_lshlrev_b32_e32 v32, 16, v32
	s_movk_i32 s6, 0xff
	v_or_b32_sdwa v31, v31, v32 dst_sel:DWORD dst_unused:UNUSED_PAD src0_sel:WORD_0 src1_sel:DWORD
	v_lshrrev_b32_e32 v32, 24, v34
	v_lshlrev_b16_e32 v32, 8, v32
	v_and_b32_sdwa v33, v34, s6 dst_sel:DWORD dst_unused:UNUSED_PAD src0_sel:WORD_1 src1_sel:DWORD
	v_or_b32_sdwa v32, v33, v32 dst_sel:WORD_1 dst_unused:UNUSED_PAD src0_sel:DWORD src1_sel:DWORD
	v_mov_b32_e32 v33, 8
	v_cndmask_b32_e64 v30, 0, 1, s[18:19]
	v_lshrrev_b32_sdwa v33, v33, v34 dst_sel:BYTE_1 dst_unused:UNUSED_PAD src0_sel:DWORD src1_sel:DWORD
	s_nop 0
	v_or_b32_e32 v30, v30, v33
	v_or_b32_sdwa v30, v30, v32 dst_sel:DWORD dst_unused:UNUSED_PAD src0_sel:WORD_0 src1_sel:DWORD
.LBB862_338:
	s_or_b64 exec, exec, s[4:5]
	s_andn2_b64 vcc, exec, s[8:9]
	s_cbranch_vccnz .LBB862_340
; %bb.339:
	s_waitcnt lgkmcnt(0)
	v_and_b32_e32 v32, 0xffff0000, v30
	v_cmp_gt_u32_e32 vcc, s3, v1
	s_mov_b32 s4, 0x40c0100
	s_nop 0
	v_cndmask_b32_e32 v1, v32, v30, vcc
	v_and_b32_e32 v1, 0xffff00ff, v1
	v_cmp_gt_u32_e32 vcc, s3, v41
	s_nop 1
	v_cndmask_b32_e32 v1, v1, v30, vcc
	v_lshrrev_b32_e32 v32, 24, v1
	v_perm_b32 v1, v32, v1, s4
	v_cmp_gt_u32_e32 vcc, s3, v38
	v_and_b32_e32 v32, 0xffffff00, v31
	s_nop 0
	v_cndmask_b32_e32 v1, v1, v30, vcc
	v_and_b32_e32 v1, 0xffffff, v1
	v_cmp_gt_u32_e32 vcc, s3, v42
	s_nop 1
	v_cndmask_b32_e32 v1, v1, v30, vcc
	v_cmp_gt_u32_e32 vcc, s3, v39
	s_nop 1
	v_cndmask_b32_e32 v32, v32, v31, vcc
	v_and_b32_e32 v32, 0xffff00ff, v32
	v_cndmask_b32_e32 v1, v1, v30, vcc
	v_cmp_gt_u32_e32 vcc, s3, v43
	s_nop 1
	v_cndmask_b32_e32 v32, v32, v31, vcc
	v_lshrrev_b32_e32 v33, 24, v32
	v_cndmask_b32_e32 v1, v1, v30, vcc
	v_perm_b32 v32, v33, v32, s4
	v_cmp_gt_u32_e32 vcc, s3, v40
	s_mov_b32 s3, 0x3020104
	s_nop 0
	v_cndmask_b32_e32 v1, v1, v30, vcc
	v_cndmask_b32_e32 v30, v32, v31, vcc
	v_mov_b32_e32 v31, 8
	v_lshrrev_b32_sdwa v31, v31, v30 dst_sel:BYTE_1 dst_unused:UNUSED_PAD src0_sel:DWORD src1_sel:DWORD
	s_nop 0
	v_or_b32_sdwa v31, v30, v31 dst_sel:DWORD dst_unused:UNUSED_PAD src0_sel:BYTE_0 src1_sel:DWORD
	v_and_b32_e32 v31, 0xffff, v31
	v_bfe_u32 v30, v30, 16, 8
	v_lshl_or_b32 v31, v30, 16, v31
	v_perm_b32 v30, v1, v1, s3
.LBB862_340:
	s_waitcnt lgkmcnt(0)
	v_and_b32_e32 v1, 0xff, v30
	v_bfe_u32 v43, v30, 8, 8
	v_bfe_u32 v45, v30, 16, 8
	v_alignbit_b32 v32, v31, v30, 24
	v_and_b32_e32 v47, 0xff, v32
	v_and_b32_e32 v48, 0xff, v31
	v_add3_u32 v33, v43, v1, v45
	v_bfe_u32 v49, v31, 8, 8
	v_bfe_u32 v32, v31, 16, 8
	v_add3_u32 v33, v33, v47, v48
	v_add3_u32 v52, v33, v49, v32
	v_mbcnt_lo_u32_b32 v32, -1, 0
	v_mbcnt_hi_u32_b32 v50, -1, v32
	v_and_b32_e32 v32, 15, v50
	v_cmp_eq_u32_e64 s[14:15], 0, v32
	v_cmp_lt_u32_e64 s[12:13], 1, v32
	v_cmp_lt_u32_e64 s[10:11], 3, v32
	;; [unrolled: 1-line block ×3, first 2 shown]
	v_and_b32_e32 v32, 16, v50
	v_cmp_eq_u32_e64 s[6:7], 0, v32
	v_or_b32_e32 v32, 63, v0
	v_cmp_lt_u32_e64 s[18:19], 31, v50
	v_lshrrev_b32_e32 v51, 6, v0
	v_cmp_eq_u32_e64 s[4:5], v32, v0
	s_and_b64 vcc, exec, s[16:17]
	s_barrier
	s_cbranch_vccz .LBB862_371
; %bb.341:
	v_mov_b32_dpp v32, v52 row_shr:1 row_mask:0xf bank_mask:0xf
	v_cndmask_b32_e64 v32, v32, 0, s[14:15]
	v_add_u32_e32 v32, v32, v52
	s_nop 1
	v_mov_b32_dpp v33, v32 row_shr:2 row_mask:0xf bank_mask:0xf
	v_cndmask_b32_e64 v33, 0, v33, s[12:13]
	v_add_u32_e32 v32, v32, v33
	s_nop 1
	;; [unrolled: 4-line block ×4, first 2 shown]
	v_mov_b32_dpp v33, v32 row_bcast:15 row_mask:0xf bank_mask:0xf
	v_cndmask_b32_e64 v33, v33, 0, s[6:7]
	v_add_u32_e32 v32, v32, v33
	s_nop 1
	v_mov_b32_dpp v33, v32 row_bcast:31 row_mask:0xf bank_mask:0xf
	v_cndmask_b32_e64 v33, 0, v33, s[18:19]
	v_add_u32_e32 v32, v32, v33
	s_and_saveexec_b64 s[16:17], s[4:5]
	s_cbranch_execz .LBB862_343
; %bb.342:
	v_lshlrev_b32_e32 v33, 2, v51
	ds_write_b32 v33, v32
.LBB862_343:
	s_or_b64 exec, exec, s[16:17]
	v_cmp_gt_u32_e32 vcc, 8, v0
	s_waitcnt lgkmcnt(0)
	s_barrier
	s_and_saveexec_b64 s[16:17], vcc
	s_cbranch_execz .LBB862_345
; %bb.344:
	v_lshlrev_b32_e32 v33, 2, v0
	ds_read_b32 v34, v33
	v_and_b32_e32 v35, 7, v50
	v_cmp_ne_u32_e32 vcc, 0, v35
	s_waitcnt lgkmcnt(0)
	v_mov_b32_dpp v36, v34 row_shr:1 row_mask:0xf bank_mask:0xf
	v_cndmask_b32_e32 v36, 0, v36, vcc
	v_add_u32_e32 v34, v36, v34
	v_cmp_lt_u32_e32 vcc, 1, v35
	s_nop 0
	v_mov_b32_dpp v36, v34 row_shr:2 row_mask:0xf bank_mask:0xf
	v_cndmask_b32_e32 v36, 0, v36, vcc
	v_add_u32_e32 v34, v34, v36
	v_cmp_lt_u32_e32 vcc, 3, v35
	s_nop 0
	v_mov_b32_dpp v36, v34 row_shr:4 row_mask:0xf bank_mask:0xf
	v_cndmask_b32_e32 v35, 0, v36, vcc
	v_add_u32_e32 v34, v34, v35
	ds_write_b32 v33, v34
.LBB862_345:
	s_or_b64 exec, exec, s[16:17]
	v_cmp_gt_u32_e32 vcc, 64, v0
	v_cmp_lt_u32_e64 s[16:17], 63, v0
	s_waitcnt lgkmcnt(0)
	s_barrier
	s_waitcnt lgkmcnt(0)
                                        ; implicit-def: $vgpr42
	s_and_saveexec_b64 s[26:27], s[16:17]
	s_cbranch_execz .LBB862_347
; %bb.346:
	v_lshl_add_u32 v33, v51, 2, -4
	ds_read_b32 v42, v33
	s_waitcnt lgkmcnt(0)
	v_add_u32_e32 v32, v42, v32
.LBB862_347:
	s_or_b64 exec, exec, s[26:27]
	v_add_u32_e32 v33, -1, v50
	v_and_b32_e32 v34, 64, v50
	v_cmp_lt_i32_e64 s[16:17], v33, v34
	s_nop 1
	v_cndmask_b32_e64 v33, v33, v50, s[16:17]
	v_lshlrev_b32_e32 v33, 2, v33
	ds_bpermute_b32 v44, v33, v32
	v_cmp_eq_u32_e64 s[16:17], 0, v50
	s_and_saveexec_b64 s[26:27], vcc
	s_cbranch_execz .LBB862_370
; %bb.348:
	v_mov_b32_e32 v41, 0
	ds_read_b32 v32, v41 offset:28
	s_and_saveexec_b64 s[28:29], s[16:17]
	s_cbranch_execz .LBB862_350
; %bb.349:
	s_add_i32 s36, s2, 64
	s_mov_b32 s37, 0
	s_lshl_b64 s[36:37], s[36:37], 3
	s_add_u32 s36, s30, s36
	v_mov_b32_e32 v33, 1
	s_addc_u32 s37, s31, s37
	s_waitcnt lgkmcnt(0)
	global_store_dwordx2 v41, v[32:33], s[36:37] sc1
.LBB862_350:
	s_or_b64 exec, exec, s[28:29]
	v_xad_u32 v34, v50, -1, s2
	v_add_u32_e32 v40, 64, v34
	v_lshl_add_u64 v[36:37], v[40:41], 3, s[30:31]
	global_load_dwordx2 v[38:39], v[36:37], off sc1
	s_waitcnt vmcnt(0)
	v_cmp_eq_u16_sdwa s[36:37], v39, v41 src0_sel:BYTE_0 src1_sel:DWORD
	s_and_saveexec_b64 s[28:29], s[36:37]
	s_cbranch_execz .LBB862_356
; %bb.351:
	s_mov_b32 s3, 1
	s_mov_b64 s[36:37], 0
	v_mov_b32_e32 v33, 0
.LBB862_352:                            ; =>This Loop Header: Depth=1
                                        ;     Child Loop BB862_353 Depth 2
	s_max_u32 s33, s3, 1
.LBB862_353:                            ;   Parent Loop BB862_352 Depth=1
                                        ; =>  This Inner Loop Header: Depth=2
	s_add_i32 s33, s33, -1
	s_cmp_eq_u32 s33, 0
	s_sleep 1
	s_cbranch_scc0 .LBB862_353
; %bb.354:                              ;   in Loop: Header=BB862_352 Depth=1
	global_load_dwordx2 v[38:39], v[36:37], off sc1
	s_cmp_lt_u32 s3, 32
	s_cselect_b64 s[38:39], -1, 0
	s_cmp_lg_u64 s[38:39], 0
	s_addc_u32 s3, s3, 0
	s_waitcnt vmcnt(0)
	v_cmp_ne_u16_sdwa s[38:39], v39, v33 src0_sel:BYTE_0 src1_sel:DWORD
	s_or_b64 s[36:37], s[38:39], s[36:37]
	s_andn2_b64 exec, exec, s[36:37]
	s_cbranch_execnz .LBB862_352
; %bb.355:
	s_or_b64 exec, exec, s[36:37]
.LBB862_356:
	s_or_b64 exec, exec, s[28:29]
	v_and_b32_e32 v46, 63, v50
	v_mov_b32_e32 v33, 2
	v_cmp_ne_u32_e32 vcc, 63, v46
	v_cmp_eq_u16_sdwa s[28:29], v39, v33 src0_sel:BYTE_0 src1_sel:DWORD
	v_lshlrev_b64 v[36:37], v50, -1
	v_addc_co_u32_e32 v41, vcc, 0, v50, vcc
	v_and_b32_e32 v35, s29, v37
	v_lshlrev_b32_e32 v53, 2, v41
	v_or_b32_e32 v35, 0x80000000, v35
	ds_bpermute_b32 v41, v53, v38
	v_and_b32_e32 v40, s28, v36
	v_ffbl_b32_e32 v35, v35
	v_add_u32_e32 v35, 32, v35
	v_ffbl_b32_e32 v40, v40
	v_min_u32_e32 v35, v40, v35
	v_cmp_lt_u32_e32 vcc, v46, v35
	v_add_u32_e32 v55, 2, v46
	v_add_u32_e32 v57, 4, v46
	s_waitcnt lgkmcnt(0)
	v_cndmask_b32_e32 v40, 0, v41, vcc
	v_cmp_gt_u32_e32 vcc, 62, v46
	v_add_u32_e32 v38, v40, v38
	v_add_u32_e32 v59, 8, v46
	v_cndmask_b32_e64 v40, 0, 1, vcc
	v_lshlrev_b32_e32 v40, 1, v40
	v_add_lshl_u32 v54, v40, v50, 2
	ds_bpermute_b32 v40, v54, v38
	v_cmp_le_u32_e32 vcc, v55, v35
	v_add_u32_e32 v62, 16, v46
	v_add_u32_e32 v64, 32, v46
	s_waitcnt lgkmcnt(0)
	v_cndmask_b32_e32 v40, 0, v40, vcc
	v_cmp_gt_u32_e32 vcc, 60, v46
	v_add_u32_e32 v38, v38, v40
	s_nop 0
	v_cndmask_b32_e64 v40, 0, 1, vcc
	v_lshlrev_b32_e32 v40, 2, v40
	v_add_lshl_u32 v56, v40, v50, 2
	ds_bpermute_b32 v40, v56, v38
	v_cmp_le_u32_e32 vcc, v57, v35
	s_waitcnt lgkmcnt(0)
	s_nop 0
	v_cndmask_b32_e32 v40, 0, v40, vcc
	v_cmp_gt_u32_e32 vcc, 56, v46
	v_add_u32_e32 v38, v38, v40
	s_nop 0
	v_cndmask_b32_e64 v40, 0, 1, vcc
	v_lshlrev_b32_e32 v40, 3, v40
	v_add_lshl_u32 v58, v40, v50, 2
	ds_bpermute_b32 v40, v58, v38
	v_cmp_le_u32_e32 vcc, v59, v35
	s_waitcnt lgkmcnt(0)
	s_nop 0
	;; [unrolled: 11-line block ×4, first 2 shown]
	v_cndmask_b32_e32 v35, 0, v40, vcc
	v_add_u32_e32 v38, v38, v35
	v_mov_b32_e32 v35, 0
	s_branch .LBB862_358
.LBB862_357:                            ;   in Loop: Header=BB862_358 Depth=1
	s_or_b64 exec, exec, s[28:29]
	v_cmp_eq_u16_sdwa s[28:29], v39, v33 src0_sel:BYTE_0 src1_sel:DWORD
	ds_bpermute_b32 v65, v53, v38
	v_subrev_u32_e32 v34, 64, v34
	v_and_b32_e32 v40, s29, v37
	v_or_b32_e32 v40, 0x80000000, v40
	v_and_b32_e32 v41, s28, v36
	v_ffbl_b32_e32 v40, v40
	v_add_u32_e32 v40, 32, v40
	v_ffbl_b32_e32 v41, v41
	v_min_u32_e32 v40, v41, v40
	v_cmp_lt_u32_e32 vcc, v46, v40
	s_waitcnt lgkmcnt(0)
	s_nop 0
	v_cndmask_b32_e32 v41, 0, v65, vcc
	v_add_u32_e32 v38, v41, v38
	ds_bpermute_b32 v41, v54, v38
	v_cmp_le_u32_e32 vcc, v55, v40
	s_waitcnt lgkmcnt(0)
	s_nop 0
	v_cndmask_b32_e32 v41, 0, v41, vcc
	v_add_u32_e32 v38, v38, v41
	ds_bpermute_b32 v41, v56, v38
	v_cmp_le_u32_e32 vcc, v57, v40
	;; [unrolled: 6-line block ×5, first 2 shown]
	s_waitcnt lgkmcnt(0)
	s_nop 0
	v_cndmask_b32_e32 v40, 0, v41, vcc
	v_add3_u32 v38, v40, v60, v38
.LBB862_358:                            ; =>This Loop Header: Depth=1
                                        ;     Child Loop BB862_361 Depth 2
                                        ;       Child Loop BB862_362 Depth 3
	v_cmp_ne_u16_sdwa s[28:29], v39, v33 src0_sel:BYTE_0 src1_sel:DWORD
	v_mov_b32_e32 v60, v38
	s_nop 0
	v_cndmask_b32_e64 v39, 0, 1, s[28:29]
	;;#ASMSTART
	;;#ASMEND
	s_nop 0
	v_cmp_ne_u32_e32 vcc, 0, v39
	s_cmp_lg_u64 vcc, exec
	s_cbranch_scc1 .LBB862_365
; %bb.359:                              ;   in Loop: Header=BB862_358 Depth=1
	v_lshl_add_u64 v[40:41], v[34:35], 3, s[30:31]
	global_load_dwordx2 v[38:39], v[40:41], off sc1
	s_waitcnt vmcnt(0)
	v_cmp_eq_u16_sdwa s[36:37], v39, v35 src0_sel:BYTE_0 src1_sel:DWORD
	s_and_saveexec_b64 s[28:29], s[36:37]
	s_cbranch_execz .LBB862_357
; %bb.360:                              ;   in Loop: Header=BB862_358 Depth=1
	s_mov_b32 s3, 1
	s_mov_b64 s[36:37], 0
.LBB862_361:                            ;   Parent Loop BB862_358 Depth=1
                                        ; =>  This Loop Header: Depth=2
                                        ;       Child Loop BB862_362 Depth 3
	s_max_u32 s33, s3, 1
.LBB862_362:                            ;   Parent Loop BB862_358 Depth=1
                                        ;     Parent Loop BB862_361 Depth=2
                                        ; =>    This Inner Loop Header: Depth=3
	s_add_i32 s33, s33, -1
	s_cmp_eq_u32 s33, 0
	s_sleep 1
	s_cbranch_scc0 .LBB862_362
; %bb.363:                              ;   in Loop: Header=BB862_361 Depth=2
	global_load_dwordx2 v[38:39], v[40:41], off sc1
	s_cmp_lt_u32 s3, 32
	s_cselect_b64 s[38:39], -1, 0
	s_cmp_lg_u64 s[38:39], 0
	s_addc_u32 s3, s3, 0
	s_waitcnt vmcnt(0)
	v_cmp_ne_u16_sdwa s[38:39], v39, v35 src0_sel:BYTE_0 src1_sel:DWORD
	s_or_b64 s[36:37], s[38:39], s[36:37]
	s_andn2_b64 exec, exec, s[36:37]
	s_cbranch_execnz .LBB862_361
; %bb.364:                              ;   in Loop: Header=BB862_358 Depth=1
	s_or_b64 exec, exec, s[36:37]
	s_branch .LBB862_357
.LBB862_365:                            ;   in Loop: Header=BB862_358 Depth=1
                                        ; implicit-def: $vgpr38
                                        ; implicit-def: $vgpr39
	s_cbranch_execz .LBB862_358
; %bb.366:
	s_and_saveexec_b64 s[28:29], s[16:17]
	s_cbranch_execz .LBB862_368
; %bb.367:
	s_add_i32 s2, s2, 64
	s_mov_b32 s3, 0
	s_lshl_b64 s[2:3], s[2:3], 3
	s_add_u32 s2, s30, s2
	v_add_u32_e32 v34, v60, v32
	v_mov_b32_e32 v35, 2
	s_addc_u32 s3, s31, s3
	v_mov_b32_e32 v33, 0
	global_store_dwordx2 v33, v[34:35], s[2:3] sc1
	s_movk_i32 s2, 0x7000
	v_add_u32_e64 v33, s2, 0
	ds_write2_b32 v33, v32, v60 offset1:2
.LBB862_368:
	s_or_b64 exec, exec, s[28:29]
	v_cmp_eq_u32_e32 vcc, 0, v0
	s_and_b64 exec, exec, vcc
	s_cbranch_execz .LBB862_370
; %bb.369:
	v_mov_b32_e32 v32, 0
	ds_write_b32 v32, v60 offset:28
.LBB862_370:
	s_or_b64 exec, exec, s[26:27]
	v_mov_b32_e32 v32, 0
	s_waitcnt lgkmcnt(0)
	s_barrier
	ds_read_b32 v32, v32 offset:28
	v_cndmask_b32_e64 v33, v44, v42, s[16:17]
	v_cmp_ne_u32_e32 vcc, 0, v0
	s_movk_i32 s2, 0x7000
	s_waitcnt lgkmcnt(0)
	v_cndmask_b32_e32 v33, 0, v33, vcc
	v_add_u32_e32 v46, v32, v33
	v_add_u32_e64 v32, s2, 0
	v_add_u32_e32 v44, v46, v1
	s_barrier
	ds_read2_b32 v[32:33], v32 offset1:2
	v_add_u32_e32 v42, v44, v43
	v_add_u32_e32 v40, v42, v45
	;; [unrolled: 1-line block ×5, first 2 shown]
	s_waitcnt lgkmcnt(0)
	v_readfirstlane_b32 s26, v32
	v_readfirstlane_b32 s16, v33
	v_lshrrev_b64 v[32:33], 24, v[30:31]
	s_branch .LBB862_381
.LBB862_371:
                                        ; implicit-def: $vgpr34
                                        ; implicit-def: $vgpr36
                                        ; implicit-def: $vgpr38
                                        ; implicit-def: $vgpr40
                                        ; implicit-def: $vgpr42
                                        ; implicit-def: $vgpr44
                                        ; implicit-def: $vgpr46
                                        ; implicit-def: $sgpr16
                                        ; implicit-def: $sgpr26
	v_lshrrev_b64 v[32:33], 24, v[30:31]
	s_cbranch_execz .LBB862_381
; %bb.372:
	s_nop 0
	v_mov_b32_dpp v33, v52 row_shr:1 row_mask:0xf bank_mask:0xf
	v_cndmask_b32_e64 v33, v33, 0, s[14:15]
	v_add_u32_e32 v33, v33, v52
	s_nop 1
	v_mov_b32_dpp v34, v33 row_shr:2 row_mask:0xf bank_mask:0xf
	v_cndmask_b32_e64 v34, 0, v34, s[12:13]
	v_add_u32_e32 v33, v33, v34
	;; [unrolled: 4-line block ×4, first 2 shown]
	s_nop 1
	v_mov_b32_dpp v34, v33 row_bcast:15 row_mask:0xf bank_mask:0xf
	v_cndmask_b32_e64 v34, v34, 0, s[6:7]
	v_add_u32_e32 v33, v33, v34
	s_nop 1
	v_mov_b32_dpp v34, v33 row_bcast:31 row_mask:0xf bank_mask:0xf
	v_cndmask_b32_e64 v34, 0, v34, s[18:19]
	v_add_u32_e32 v33, v33, v34
	s_and_saveexec_b64 s[2:3], s[4:5]
	s_cbranch_execz .LBB862_374
; %bb.373:
	v_lshlrev_b32_e32 v34, 2, v51
	ds_write_b32 v34, v33
.LBB862_374:
	s_or_b64 exec, exec, s[2:3]
	v_cmp_gt_u32_e32 vcc, 8, v0
	s_waitcnt lgkmcnt(0)
	s_barrier
	s_and_saveexec_b64 s[2:3], vcc
	s_cbranch_execz .LBB862_376
; %bb.375:
	v_lshlrev_b32_e32 v34, 2, v0
	ds_read_b32 v35, v34
	v_and_b32_e32 v36, 7, v50
	v_cmp_ne_u32_e32 vcc, 0, v36
	s_waitcnt lgkmcnt(0)
	v_mov_b32_dpp v37, v35 row_shr:1 row_mask:0xf bank_mask:0xf
	v_cndmask_b32_e32 v37, 0, v37, vcc
	v_add_u32_e32 v35, v37, v35
	v_cmp_lt_u32_e32 vcc, 1, v36
	s_nop 0
	v_mov_b32_dpp v37, v35 row_shr:2 row_mask:0xf bank_mask:0xf
	v_cndmask_b32_e32 v37, 0, v37, vcc
	v_add_u32_e32 v35, v35, v37
	v_cmp_lt_u32_e32 vcc, 3, v36
	s_nop 0
	v_mov_b32_dpp v37, v35 row_shr:4 row_mask:0xf bank_mask:0xf
	v_cndmask_b32_e32 v36, 0, v37, vcc
	v_add_u32_e32 v35, v35, v36
	ds_write_b32 v34, v35
.LBB862_376:
	s_or_b64 exec, exec, s[2:3]
	v_cmp_lt_u32_e32 vcc, 63, v0
	v_mov_b32_e32 v35, 0
	v_mov_b32_e32 v34, 0
	s_waitcnt lgkmcnt(0)
	s_barrier
	s_and_saveexec_b64 s[2:3], vcc
	s_cbranch_execz .LBB862_378
; %bb.377:
	v_lshl_add_u32 v34, v51, 2, -4
	ds_read_b32 v34, v34
.LBB862_378:
	s_or_b64 exec, exec, s[2:3]
	v_add_u32_e32 v36, -1, v50
	v_and_b32_e32 v37, 64, v50
	v_cmp_lt_i32_e32 vcc, v36, v37
	s_waitcnt lgkmcnt(0)
	v_add_u32_e32 v33, v34, v33
	ds_read_b32 v35, v35 offset:28
	v_cndmask_b32_e32 v36, v36, v50, vcc
	v_lshlrev_b32_e32 v36, 2, v36
	ds_bpermute_b32 v33, v36, v33
	s_mov_b32 s16, 0
	v_cmp_eq_u32_e32 vcc, 0, v0
	s_waitcnt lgkmcnt(1)
	v_readfirstlane_b32 s26, v35
	s_and_saveexec_b64 s[2:3], vcc
	s_cbranch_execz .LBB862_380
; %bb.379:
	v_mov_b32_e32 v35, 0
	v_mov_b32_e32 v36, s26
	;; [unrolled: 1-line block ×3, first 2 shown]
	global_store_dwordx2 v35, v[36:37], s[30:31] offset:512 sc1
.LBB862_380:
	s_or_b64 exec, exec, s[2:3]
	v_cmp_eq_u32_e64 s[2:3], 0, v50
	s_waitcnt lgkmcnt(0)
	s_barrier
	v_cndmask_b32_e64 v33, v33, v34, s[2:3]
	v_cndmask_b32_e64 v46, v33, 0, vcc
	v_add_u32_e32 v44, v46, v1
	v_add_u32_e32 v42, v44, v43
	;; [unrolled: 1-line block ×6, first 2 shown]
.LBB862_381:
	s_load_dwordx4 s[4:7], s[0:1], 0x28
	s_cmpk_lt_u32 s26, 0x201
	s_cselect_b64 s[2:3], -1, 0
	v_lshrrev_b32_e32 v33, 8, v30
	v_lshrrev_b32_e32 v1, 8, v31
	s_mov_b64 s[0:1], -1
	s_and_b64 vcc, exec, s[2:3]
	s_cbranch_vccz .LBB862_404
; %bb.382:
	s_add_i32 s8, s16, s26
	v_cmp_gt_u32_e32 vcc, s8, v46
	s_or_b64 s[10:11], s[34:35], vcc
	s_and_saveexec_b64 s[0:1], s[10:11]
	s_cbranch_execz .LBB862_385
; %bb.383:
	v_and_b32_e32 v35, 1, v30
	v_cmp_eq_u32_e32 vcc, 1, v35
	s_and_b64 exec, exec, vcc
	s_cbranch_execz .LBB862_385
; %bb.384:
	s_lshl_b64 s[10:11], s[22:23], 3
	s_waitcnt lgkmcnt(0)
	s_add_u32 s10, s4, s10
	s_addc_u32 s11, s5, s11
	v_mov_b32_e32 v47, 0
	v_lshl_add_u64 v[48:49], v[46:47], 3, s[10:11]
	global_store_dwordx2 v[48:49], v[22:23], off
.LBB862_385:
	s_or_b64 exec, exec, s[0:1]
	v_cmp_gt_u32_e32 vcc, s8, v44
	s_or_b64 s[10:11], s[34:35], vcc
	s_and_saveexec_b64 s[0:1], s[10:11]
	s_cbranch_execz .LBB862_388
; %bb.386:
	v_and_b32_e32 v35, 1, v33
	v_cmp_eq_u32_e32 vcc, 1, v35
	s_and_b64 exec, exec, vcc
	s_cbranch_execz .LBB862_388
; %bb.387:
	s_lshl_b64 s[10:11], s[22:23], 3
	s_waitcnt lgkmcnt(0)
	s_add_u32 s10, s4, s10
	s_addc_u32 s11, s5, s11
	v_mov_b32_e32 v45, 0
	v_lshl_add_u64 v[48:49], v[44:45], 3, s[10:11]
	global_store_dwordx2 v[48:49], v[24:25], off
.LBB862_388:
	s_or_b64 exec, exec, s[0:1]
	v_cmp_gt_u32_e32 vcc, s8, v42
	s_or_b64 s[10:11], s[34:35], vcc
	s_and_saveexec_b64 s[0:1], s[10:11]
	s_cbranch_execz .LBB862_391
; %bb.389:
	v_mov_b32_e32 v35, 1
	v_and_b32_sdwa v35, v35, v30 dst_sel:DWORD dst_unused:UNUSED_PAD src0_sel:DWORD src1_sel:WORD_1
	v_cmp_eq_u32_e32 vcc, 1, v35
	s_and_b64 exec, exec, vcc
	s_cbranch_execz .LBB862_391
; %bb.390:
	s_lshl_b64 s[10:11], s[22:23], 3
	s_waitcnt lgkmcnt(0)
	s_add_u32 s10, s4, s10
	s_addc_u32 s11, s5, s11
	v_mov_b32_e32 v43, 0
	v_lshl_add_u64 v[48:49], v[42:43], 3, s[10:11]
	global_store_dwordx2 v[48:49], v[18:19], off
.LBB862_391:
	s_or_b64 exec, exec, s[0:1]
	v_cmp_gt_u32_e32 vcc, s8, v40
	s_or_b64 s[10:11], s[34:35], vcc
	s_and_saveexec_b64 s[0:1], s[10:11]
	s_cbranch_execz .LBB862_394
; %bb.392:
	v_and_b32_e32 v35, 1, v32
	v_cmp_eq_u32_e32 vcc, 1, v35
	s_and_b64 exec, exec, vcc
	s_cbranch_execz .LBB862_394
; %bb.393:
	s_lshl_b64 s[10:11], s[22:23], 3
	s_waitcnt lgkmcnt(0)
	s_add_u32 s10, s4, s10
	s_addc_u32 s11, s5, s11
	v_mov_b32_e32 v41, 0
	v_lshl_add_u64 v[48:49], v[40:41], 3, s[10:11]
	global_store_dwordx2 v[48:49], v[20:21], off
.LBB862_394:
	s_or_b64 exec, exec, s[0:1]
	v_cmp_gt_u32_e32 vcc, s8, v38
	s_or_b64 s[10:11], s[34:35], vcc
	s_and_saveexec_b64 s[0:1], s[10:11]
	s_cbranch_execz .LBB862_397
; %bb.395:
	v_and_b32_e32 v35, 1, v31
	v_cmp_eq_u32_e32 vcc, 1, v35
	s_and_b64 exec, exec, vcc
	s_cbranch_execz .LBB862_397
; %bb.396:
	s_lshl_b64 s[10:11], s[22:23], 3
	s_waitcnt lgkmcnt(0)
	s_add_u32 s10, s4, s10
	s_addc_u32 s11, s5, s11
	v_mov_b32_e32 v39, 0
	v_lshl_add_u64 v[48:49], v[38:39], 3, s[10:11]
	global_store_dwordx2 v[48:49], v[14:15], off
.LBB862_397:
	s_or_b64 exec, exec, s[0:1]
	v_cmp_gt_u32_e32 vcc, s8, v36
	s_or_b64 s[10:11], s[34:35], vcc
	s_and_saveexec_b64 s[0:1], s[10:11]
	s_cbranch_execz .LBB862_400
; %bb.398:
	v_and_b32_e32 v35, 1, v1
	v_cmp_eq_u32_e32 vcc, 1, v35
	s_and_b64 exec, exec, vcc
	s_cbranch_execz .LBB862_400
; %bb.399:
	s_lshl_b64 s[10:11], s[22:23], 3
	s_waitcnt lgkmcnt(0)
	s_add_u32 s10, s4, s10
	s_addc_u32 s11, s5, s11
	v_mov_b32_e32 v37, 0
	v_lshl_add_u64 v[48:49], v[36:37], 3, s[10:11]
	global_store_dwordx2 v[48:49], v[16:17], off
.LBB862_400:
	s_or_b64 exec, exec, s[0:1]
	v_cmp_gt_u32_e32 vcc, s8, v34
	s_or_b64 s[8:9], s[34:35], vcc
	s_and_saveexec_b64 s[0:1], s[8:9]
	s_cbranch_execz .LBB862_403
; %bb.401:
	v_mov_b32_e32 v35, 1
	v_and_b32_sdwa v35, v35, v31 dst_sel:DWORD dst_unused:UNUSED_PAD src0_sel:DWORD src1_sel:WORD_1
	v_cmp_eq_u32_e32 vcc, 1, v35
	s_and_b64 exec, exec, vcc
	s_cbranch_execz .LBB862_403
; %bb.402:
	s_lshl_b64 s[8:9], s[22:23], 3
	s_waitcnt lgkmcnt(0)
	s_add_u32 s8, s4, s8
	s_addc_u32 s9, s5, s9
	v_mov_b32_e32 v35, 0
	v_lshl_add_u64 v[48:49], v[34:35], 3, s[8:9]
	global_store_dwordx2 v[48:49], v[28:29], off
.LBB862_403:
	s_or_b64 exec, exec, s[0:1]
	s_mov_b64 s[0:1], 0
.LBB862_404:
	v_and_b32_e32 v48, 1, v30
	s_and_b64 vcc, exec, s[0:1]
	v_cmp_eq_u32_e64 s[0:1], 1, v48
	s_cbranch_vccz .LBB862_423
; %bb.405:
	s_and_saveexec_b64 s[8:9], s[0:1]
	s_cbranch_execz .LBB862_407
; %bb.406:
	v_subrev_u32_e32 v35, s16, v46
	v_lshlrev_b32_e32 v35, 3, v35
	ds_write_b64 v35, v[22:23]
.LBB862_407:
	s_or_b64 exec, exec, s[8:9]
	v_and_b32_e32 v22, 1, v33
	v_cmp_eq_u32_e32 vcc, 1, v22
	s_and_saveexec_b64 s[0:1], vcc
	s_cbranch_execz .LBB862_409
; %bb.408:
	v_subrev_u32_e32 v22, s16, v44
	v_lshlrev_b32_e32 v22, 3, v22
	ds_write_b64 v22, v[24:25]
.LBB862_409:
	s_or_b64 exec, exec, s[0:1]
	v_mov_b32_e32 v22, 1
	v_and_b32_sdwa v22, v22, v30 dst_sel:DWORD dst_unused:UNUSED_PAD src0_sel:DWORD src1_sel:WORD_1
	v_cmp_eq_u32_e32 vcc, 1, v22
	s_and_saveexec_b64 s[0:1], vcc
	s_cbranch_execz .LBB862_411
; %bb.410:
	v_subrev_u32_e32 v22, s16, v42
	v_lshlrev_b32_e32 v22, 3, v22
	ds_write_b64 v22, v[18:19]
.LBB862_411:
	s_or_b64 exec, exec, s[0:1]
	v_and_b32_e32 v18, 1, v32
	v_cmp_eq_u32_e32 vcc, 1, v18
	s_and_saveexec_b64 s[0:1], vcc
	s_cbranch_execz .LBB862_413
; %bb.412:
	v_subrev_u32_e32 v18, s16, v40
	v_lshlrev_b32_e32 v18, 3, v18
	ds_write_b64 v18, v[20:21]
.LBB862_413:
	s_or_b64 exec, exec, s[0:1]
	v_and_b32_e32 v18, 1, v31
	;; [unrolled: 10-line block ×3, first 2 shown]
	v_cmp_eq_u32_e32 vcc, 1, v14
	s_and_saveexec_b64 s[0:1], vcc
	s_cbranch_execz .LBB862_417
; %bb.416:
	v_subrev_u32_e32 v14, s16, v36
	v_lshlrev_b32_e32 v14, 3, v14
	ds_write_b64 v14, v[16:17]
.LBB862_417:
	s_or_b64 exec, exec, s[0:1]
	v_mov_b32_e32 v14, 1
	v_and_b32_sdwa v14, v14, v31 dst_sel:DWORD dst_unused:UNUSED_PAD src0_sel:DWORD src1_sel:WORD_1
	v_cmp_eq_u32_e32 vcc, 1, v14
	s_and_saveexec_b64 s[0:1], vcc
	s_cbranch_execz .LBB862_419
; %bb.418:
	v_subrev_u32_e32 v14, s16, v34
	v_lshlrev_b32_e32 v14, 3, v14
	ds_write_b64 v14, v[28:29]
.LBB862_419:
	s_or_b64 exec, exec, s[0:1]
	v_cmp_gt_u32_e32 vcc, s26, v0
	s_waitcnt lgkmcnt(0)
	s_barrier
	s_and_saveexec_b64 s[0:1], vcc
	s_cbranch_execz .LBB862_422
; %bb.420:
	s_mov_b32 s17, 0
	s_lshl_b64 s[8:9], s[22:23], 3
	s_lshl_b64 s[10:11], s[16:17], 3
	s_add_u32 s8, s8, s10
	s_addc_u32 s9, s9, s11
	s_add_u32 s4, s4, s8
	v_lshlrev_b32_e32 v14, 3, v0
	v_mov_b32_e32 v15, 0
	s_addc_u32 s5, s5, s9
	v_lshl_add_u64 v[16:17], s[4:5], 0, v[14:15]
	s_mov_b64 s[4:5], 0
	s_mov_b64 s[8:9], 0x1000
	v_mov_b32_e32 v15, v0
.LBB862_421:                            ; =>This Inner Loop Header: Depth=1
	ds_read_b64 v[18:19], v14
	v_add_u32_e32 v15, 0x200, v15
	v_cmp_le_u32_e32 vcc, s26, v15
	v_add_u32_e32 v14, 0x1000, v14
	s_or_b64 s[4:5], vcc, s[4:5]
	s_waitcnt lgkmcnt(0)
	global_store_dwordx2 v[16:17], v[18:19], off
	v_lshl_add_u64 v[16:17], v[16:17], 0, s[8:9]
	s_andn2_b64 exec, exec, s[4:5]
	s_cbranch_execnz .LBB862_421
.LBB862_422:
	s_or_b64 exec, exec, s[0:1]
.LBB862_423:
	s_mov_b64 s[0:1], -1
	s_and_b64 vcc, exec, s[2:3]
	s_waitcnt lgkmcnt(0)
	s_barrier
	s_cbranch_vccnz .LBB862_427
; %bb.424:
	s_and_b64 vcc, exec, s[0:1]
	s_cbranch_vccnz .LBB862_449
.LBB862_425:
	v_cmp_eq_u32_e32 vcc, 0, v0
	s_and_b64 s[0:1], vcc, s[24:25]
	s_and_saveexec_b64 s[2:3], s[0:1]
	s_cbranch_execnz .LBB862_467
.LBB862_426:
	s_endpgm
.LBB862_427:
	s_add_i32 s2, s16, s26
	v_cmp_gt_u32_e32 vcc, s2, v46
	s_or_b64 s[4:5], s[34:35], vcc
	s_and_saveexec_b64 s[0:1], s[4:5]
	s_cbranch_execz .LBB862_430
; %bb.428:
	v_cmp_eq_u32_e32 vcc, 1, v48
	s_and_b64 exec, exec, vcc
	s_cbranch_execz .LBB862_430
; %bb.429:
	s_lshl_b64 s[4:5], s[22:23], 3
	s_add_u32 s4, s6, s4
	s_addc_u32 s5, s7, s5
	v_mov_b32_e32 v47, 0
	v_lshl_add_u64 v[14:15], v[46:47], 3, s[4:5]
	global_store_dwordx2 v[14:15], v[10:11], off
.LBB862_430:
	s_or_b64 exec, exec, s[0:1]
	v_cmp_gt_u32_e32 vcc, s2, v44
	s_or_b64 s[4:5], s[34:35], vcc
	s_and_saveexec_b64 s[0:1], s[4:5]
	s_cbranch_execz .LBB862_433
; %bb.431:
	v_and_b32_e32 v14, 1, v33
	v_cmp_eq_u32_e32 vcc, 1, v14
	s_and_b64 exec, exec, vcc
	s_cbranch_execz .LBB862_433
; %bb.432:
	s_lshl_b64 s[4:5], s[22:23], 3
	s_add_u32 s4, s6, s4
	s_addc_u32 s5, s7, s5
	v_mov_b32_e32 v45, 0
	v_lshl_add_u64 v[14:15], v[44:45], 3, s[4:5]
	global_store_dwordx2 v[14:15], v[12:13], off
.LBB862_433:
	s_or_b64 exec, exec, s[0:1]
	v_cmp_gt_u32_e32 vcc, s2, v42
	s_or_b64 s[4:5], s[34:35], vcc
	s_and_saveexec_b64 s[0:1], s[4:5]
	s_cbranch_execz .LBB862_436
; %bb.434:
	v_mov_b32_e32 v14, 1
	v_and_b32_sdwa v14, v14, v30 dst_sel:DWORD dst_unused:UNUSED_PAD src0_sel:DWORD src1_sel:WORD_1
	v_cmp_eq_u32_e32 vcc, 1, v14
	s_and_b64 exec, exec, vcc
	s_cbranch_execz .LBB862_436
; %bb.435:
	s_lshl_b64 s[4:5], s[22:23], 3
	s_add_u32 s4, s6, s4
	s_addc_u32 s5, s7, s5
	v_mov_b32_e32 v43, 0
	v_lshl_add_u64 v[14:15], v[42:43], 3, s[4:5]
	global_store_dwordx2 v[14:15], v[6:7], off
.LBB862_436:
	s_or_b64 exec, exec, s[0:1]
	v_cmp_gt_u32_e32 vcc, s2, v40
	s_or_b64 s[4:5], s[34:35], vcc
	s_and_saveexec_b64 s[0:1], s[4:5]
	s_cbranch_execz .LBB862_439
; %bb.437:
	v_and_b32_e32 v14, 1, v32
	v_cmp_eq_u32_e32 vcc, 1, v14
	s_and_b64 exec, exec, vcc
	s_cbranch_execz .LBB862_439
; %bb.438:
	s_lshl_b64 s[4:5], s[22:23], 3
	s_add_u32 s4, s6, s4
	s_addc_u32 s5, s7, s5
	v_mov_b32_e32 v41, 0
	v_lshl_add_u64 v[14:15], v[40:41], 3, s[4:5]
	global_store_dwordx2 v[14:15], v[8:9], off
.LBB862_439:
	s_or_b64 exec, exec, s[0:1]
	v_cmp_gt_u32_e32 vcc, s2, v38
	s_or_b64 s[4:5], s[34:35], vcc
	s_and_saveexec_b64 s[0:1], s[4:5]
	s_cbranch_execz .LBB862_442
; %bb.440:
	v_and_b32_e32 v14, 1, v31
	v_cmp_eq_u32_e32 vcc, 1, v14
	s_and_b64 exec, exec, vcc
	s_cbranch_execz .LBB862_442
; %bb.441:
	s_lshl_b64 s[4:5], s[22:23], 3
	s_add_u32 s4, s6, s4
	s_addc_u32 s5, s7, s5
	v_mov_b32_e32 v39, 0
	v_lshl_add_u64 v[14:15], v[38:39], 3, s[4:5]
	global_store_dwordx2 v[14:15], v[2:3], off
.LBB862_442:
	;; [unrolled: 18-line block ×3, first 2 shown]
	s_or_b64 exec, exec, s[0:1]
	v_cmp_gt_u32_e32 vcc, s2, v34
	s_or_b64 s[2:3], s[34:35], vcc
	s_and_saveexec_b64 s[0:1], s[2:3]
	s_cbranch_execz .LBB862_448
; %bb.446:
	v_mov_b32_e32 v14, 1
	v_and_b32_sdwa v14, v14, v31 dst_sel:DWORD dst_unused:UNUSED_PAD src0_sel:DWORD src1_sel:WORD_1
	v_cmp_eq_u32_e32 vcc, 1, v14
	s_and_b64 exec, exec, vcc
	s_cbranch_execz .LBB862_448
; %bb.447:
	s_lshl_b64 s[2:3], s[22:23], 3
	s_add_u32 s2, s6, s2
	s_addc_u32 s3, s7, s3
	v_mov_b32_e32 v35, 0
	v_lshl_add_u64 v[14:15], v[34:35], 3, s[2:3]
	global_store_dwordx2 v[14:15], v[26:27], off
.LBB862_448:
	s_or_b64 exec, exec, s[0:1]
	s_branch .LBB862_425
.LBB862_449:
	v_cmp_eq_u32_e32 vcc, 1, v48
	s_and_saveexec_b64 s[0:1], vcc
	s_cbranch_execz .LBB862_451
; %bb.450:
	v_subrev_u32_e32 v14, s16, v46
	v_lshlrev_b32_e32 v14, 3, v14
	ds_write_b64 v14, v[10:11]
.LBB862_451:
	s_or_b64 exec, exec, s[0:1]
	v_and_b32_e32 v10, 1, v33
	v_cmp_eq_u32_e32 vcc, 1, v10
	s_and_saveexec_b64 s[0:1], vcc
	s_cbranch_execz .LBB862_453
; %bb.452:
	v_subrev_u32_e32 v10, s16, v44
	v_lshlrev_b32_e32 v10, 3, v10
	ds_write_b64 v10, v[12:13]
.LBB862_453:
	s_or_b64 exec, exec, s[0:1]
	v_mov_b32_e32 v10, 1
	v_and_b32_sdwa v10, v10, v30 dst_sel:DWORD dst_unused:UNUSED_PAD src0_sel:DWORD src1_sel:WORD_1
	v_cmp_eq_u32_e32 vcc, 1, v10
	s_and_saveexec_b64 s[0:1], vcc
	s_cbranch_execz .LBB862_455
; %bb.454:
	v_subrev_u32_e32 v10, s16, v42
	v_lshlrev_b32_e32 v10, 3, v10
	ds_write_b64 v10, v[6:7]
.LBB862_455:
	s_or_b64 exec, exec, s[0:1]
	v_and_b32_e32 v6, 1, v32
	v_cmp_eq_u32_e32 vcc, 1, v6
	s_and_saveexec_b64 s[0:1], vcc
	s_cbranch_execz .LBB862_457
; %bb.456:
	v_subrev_u32_e32 v6, s16, v40
	v_lshlrev_b32_e32 v6, 3, v6
	ds_write_b64 v6, v[8:9]
.LBB862_457:
	s_or_b64 exec, exec, s[0:1]
	v_and_b32_e32 v6, 1, v31
	;; [unrolled: 10-line block ×3, first 2 shown]
	v_cmp_eq_u32_e32 vcc, 1, v1
	s_and_saveexec_b64 s[0:1], vcc
	s_cbranch_execz .LBB862_461
; %bb.460:
	v_subrev_u32_e32 v1, s16, v36
	v_lshlrev_b32_e32 v1, 3, v1
	ds_write_b64 v1, v[4:5]
.LBB862_461:
	s_or_b64 exec, exec, s[0:1]
	v_mov_b32_e32 v1, 1
	v_and_b32_sdwa v1, v1, v31 dst_sel:DWORD dst_unused:UNUSED_PAD src0_sel:DWORD src1_sel:WORD_1
	v_cmp_eq_u32_e32 vcc, 1, v1
	s_and_saveexec_b64 s[0:1], vcc
	s_cbranch_execz .LBB862_463
; %bb.462:
	v_subrev_u32_e32 v1, s16, v34
	v_lshlrev_b32_e32 v1, 3, v1
	ds_write_b64 v1, v[26:27]
.LBB862_463:
	s_or_b64 exec, exec, s[0:1]
	v_cmp_gt_u32_e32 vcc, s26, v0
	s_waitcnt lgkmcnt(0)
	s_barrier
	s_and_saveexec_b64 s[0:1], vcc
	s_cbranch_execz .LBB862_466
; %bb.464:
	s_mov_b32 s17, 0
	s_lshl_b64 s[2:3], s[22:23], 3
	s_lshl_b64 s[4:5], s[16:17], 3
	s_add_u32 s2, s2, s4
	s_addc_u32 s3, s3, s5
	s_add_u32 s2, s6, s2
	v_lshlrev_b32_e32 v2, 3, v0
	v_mov_b32_e32 v3, 0
	s_addc_u32 s3, s7, s3
	v_lshl_add_u64 v[4:5], s[2:3], 0, v[2:3]
	s_mov_b64 s[2:3], 0
	s_mov_b64 s[4:5], 0x1000
	v_mov_b32_e32 v1, v0
.LBB862_465:                            ; =>This Inner Loop Header: Depth=1
	ds_read_b64 v[6:7], v2
	v_add_u32_e32 v1, 0x200, v1
	v_cmp_le_u32_e32 vcc, s26, v1
	v_add_u32_e32 v2, 0x1000, v2
	s_or_b64 s[2:3], vcc, s[2:3]
	s_waitcnt lgkmcnt(0)
	global_store_dwordx2 v[4:5], v[6:7], off
	v_lshl_add_u64 v[4:5], v[4:5], 0, s[4:5]
	s_andn2_b64 exec, exec, s[2:3]
	s_cbranch_execnz .LBB862_465
.LBB862_466:
	s_or_b64 exec, exec, s[0:1]
	v_cmp_eq_u32_e32 vcc, 0, v0
	s_and_b64 s[0:1], vcc, s[24:25]
	s_and_saveexec_b64 s[2:3], s[0:1]
	s_cbranch_execz .LBB862_426
.LBB862_467:
	s_add_u32 s0, s22, s26
	s_addc_u32 s1, s23, 0
	s_add_u32 s0, s0, s16
	s_addc_u32 s1, s1, 0
	v_mov_b32_e32 v2, 0
	v_mov_b64_e32 v[0:1], s[0:1]
	global_store_dwordx2 v2, v[0:1], s[20:21]
	s_endpgm
	.section	.rodata,"a",@progbits
	.p2align	6, 0x0
	.amdhsa_kernel _ZN7rocprim17ROCPRIM_400000_NS6detail17trampoline_kernelINS0_14default_configENS1_25partition_config_selectorILNS1_17partition_subalgoE9EllbEEZZNS1_14partition_implILS5_9ELb0ES3_jPlS8_PNS0_10empty_typeENS0_5tupleIJS8_S9_EEENSB_IJS8_SA_EEENS0_18inequality_wrapperIZN2at6native12_GLOBAL__N_124unique_dim_cuda_templateIdEESt5tupleIJNSF_6TensorESK_SK_EERKSK_lbbbEUlllE0_EEPmJS9_EEE10hipError_tPvRmT3_T4_T5_T6_T7_T9_mT8_P12ihipStream_tbDpT10_ENKUlT_T0_E_clISt17integral_constantIbLb1EES19_IbLb0EEEEDaS15_S16_EUlS15_E_NS1_11comp_targetILNS1_3genE5ELNS1_11target_archE942ELNS1_3gpuE9ELNS1_3repE0EEENS1_30default_config_static_selectorELNS0_4arch9wavefront6targetE1EEEvT1_
		.amdhsa_group_segment_fixed_size 28684
		.amdhsa_private_segment_fixed_size 0
		.amdhsa_kernarg_size 120
		.amdhsa_user_sgpr_count 2
		.amdhsa_user_sgpr_dispatch_ptr 0
		.amdhsa_user_sgpr_queue_ptr 0
		.amdhsa_user_sgpr_kernarg_segment_ptr 1
		.amdhsa_user_sgpr_dispatch_id 0
		.amdhsa_user_sgpr_kernarg_preload_length 0
		.amdhsa_user_sgpr_kernarg_preload_offset 0
		.amdhsa_user_sgpr_private_segment_size 0
		.amdhsa_uses_dynamic_stack 0
		.amdhsa_enable_private_segment 0
		.amdhsa_system_sgpr_workgroup_id_x 1
		.amdhsa_system_sgpr_workgroup_id_y 0
		.amdhsa_system_sgpr_workgroup_id_z 0
		.amdhsa_system_sgpr_workgroup_info 0
		.amdhsa_system_vgpr_workitem_id 0
		.amdhsa_next_free_vgpr 66
		.amdhsa_next_free_sgpr 52
		.amdhsa_accum_offset 68
		.amdhsa_reserve_vcc 1
		.amdhsa_float_round_mode_32 0
		.amdhsa_float_round_mode_16_64 0
		.amdhsa_float_denorm_mode_32 3
		.amdhsa_float_denorm_mode_16_64 3
		.amdhsa_dx10_clamp 1
		.amdhsa_ieee_mode 1
		.amdhsa_fp16_overflow 0
		.amdhsa_tg_split 0
		.amdhsa_exception_fp_ieee_invalid_op 0
		.amdhsa_exception_fp_denorm_src 0
		.amdhsa_exception_fp_ieee_div_zero 0
		.amdhsa_exception_fp_ieee_overflow 0
		.amdhsa_exception_fp_ieee_underflow 0
		.amdhsa_exception_fp_ieee_inexact 0
		.amdhsa_exception_int_div_zero 0
	.end_amdhsa_kernel
	.section	.text._ZN7rocprim17ROCPRIM_400000_NS6detail17trampoline_kernelINS0_14default_configENS1_25partition_config_selectorILNS1_17partition_subalgoE9EllbEEZZNS1_14partition_implILS5_9ELb0ES3_jPlS8_PNS0_10empty_typeENS0_5tupleIJS8_S9_EEENSB_IJS8_SA_EEENS0_18inequality_wrapperIZN2at6native12_GLOBAL__N_124unique_dim_cuda_templateIdEESt5tupleIJNSF_6TensorESK_SK_EERKSK_lbbbEUlllE0_EEPmJS9_EEE10hipError_tPvRmT3_T4_T5_T6_T7_T9_mT8_P12ihipStream_tbDpT10_ENKUlT_T0_E_clISt17integral_constantIbLb1EES19_IbLb0EEEEDaS15_S16_EUlS15_E_NS1_11comp_targetILNS1_3genE5ELNS1_11target_archE942ELNS1_3gpuE9ELNS1_3repE0EEENS1_30default_config_static_selectorELNS0_4arch9wavefront6targetE1EEEvT1_,"axG",@progbits,_ZN7rocprim17ROCPRIM_400000_NS6detail17trampoline_kernelINS0_14default_configENS1_25partition_config_selectorILNS1_17partition_subalgoE9EllbEEZZNS1_14partition_implILS5_9ELb0ES3_jPlS8_PNS0_10empty_typeENS0_5tupleIJS8_S9_EEENSB_IJS8_SA_EEENS0_18inequality_wrapperIZN2at6native12_GLOBAL__N_124unique_dim_cuda_templateIdEESt5tupleIJNSF_6TensorESK_SK_EERKSK_lbbbEUlllE0_EEPmJS9_EEE10hipError_tPvRmT3_T4_T5_T6_T7_T9_mT8_P12ihipStream_tbDpT10_ENKUlT_T0_E_clISt17integral_constantIbLb1EES19_IbLb0EEEEDaS15_S16_EUlS15_E_NS1_11comp_targetILNS1_3genE5ELNS1_11target_archE942ELNS1_3gpuE9ELNS1_3repE0EEENS1_30default_config_static_selectorELNS0_4arch9wavefront6targetE1EEEvT1_,comdat
.Lfunc_end862:
	.size	_ZN7rocprim17ROCPRIM_400000_NS6detail17trampoline_kernelINS0_14default_configENS1_25partition_config_selectorILNS1_17partition_subalgoE9EllbEEZZNS1_14partition_implILS5_9ELb0ES3_jPlS8_PNS0_10empty_typeENS0_5tupleIJS8_S9_EEENSB_IJS8_SA_EEENS0_18inequality_wrapperIZN2at6native12_GLOBAL__N_124unique_dim_cuda_templateIdEESt5tupleIJNSF_6TensorESK_SK_EERKSK_lbbbEUlllE0_EEPmJS9_EEE10hipError_tPvRmT3_T4_T5_T6_T7_T9_mT8_P12ihipStream_tbDpT10_ENKUlT_T0_E_clISt17integral_constantIbLb1EES19_IbLb0EEEEDaS15_S16_EUlS15_E_NS1_11comp_targetILNS1_3genE5ELNS1_11target_archE942ELNS1_3gpuE9ELNS1_3repE0EEENS1_30default_config_static_selectorELNS0_4arch9wavefront6targetE1EEEvT1_, .Lfunc_end862-_ZN7rocprim17ROCPRIM_400000_NS6detail17trampoline_kernelINS0_14default_configENS1_25partition_config_selectorILNS1_17partition_subalgoE9EllbEEZZNS1_14partition_implILS5_9ELb0ES3_jPlS8_PNS0_10empty_typeENS0_5tupleIJS8_S9_EEENSB_IJS8_SA_EEENS0_18inequality_wrapperIZN2at6native12_GLOBAL__N_124unique_dim_cuda_templateIdEESt5tupleIJNSF_6TensorESK_SK_EERKSK_lbbbEUlllE0_EEPmJS9_EEE10hipError_tPvRmT3_T4_T5_T6_T7_T9_mT8_P12ihipStream_tbDpT10_ENKUlT_T0_E_clISt17integral_constantIbLb1EES19_IbLb0EEEEDaS15_S16_EUlS15_E_NS1_11comp_targetILNS1_3genE5ELNS1_11target_archE942ELNS1_3gpuE9ELNS1_3repE0EEENS1_30default_config_static_selectorELNS0_4arch9wavefront6targetE1EEEvT1_
                                        ; -- End function
	.section	.AMDGPU.csdata,"",@progbits
; Kernel info:
; codeLenInByte = 14472
; NumSgprs: 58
; NumVgprs: 66
; NumAgprs: 0
; TotalNumVgprs: 66
; ScratchSize: 0
; MemoryBound: 1
; FloatMode: 240
; IeeeMode: 1
; LDSByteSize: 28684 bytes/workgroup (compile time only)
; SGPRBlocks: 7
; VGPRBlocks: 8
; NumSGPRsForWavesPerEU: 58
; NumVGPRsForWavesPerEU: 66
; AccumOffset: 68
; Occupancy: 4
; WaveLimiterHint : 1
; COMPUTE_PGM_RSRC2:SCRATCH_EN: 0
; COMPUTE_PGM_RSRC2:USER_SGPR: 2
; COMPUTE_PGM_RSRC2:TRAP_HANDLER: 0
; COMPUTE_PGM_RSRC2:TGID_X_EN: 1
; COMPUTE_PGM_RSRC2:TGID_Y_EN: 0
; COMPUTE_PGM_RSRC2:TGID_Z_EN: 0
; COMPUTE_PGM_RSRC2:TIDIG_COMP_CNT: 0
; COMPUTE_PGM_RSRC3_GFX90A:ACCUM_OFFSET: 16
; COMPUTE_PGM_RSRC3_GFX90A:TG_SPLIT: 0
	.section	.text._ZN7rocprim17ROCPRIM_400000_NS6detail17trampoline_kernelINS0_14default_configENS1_25partition_config_selectorILNS1_17partition_subalgoE9EllbEEZZNS1_14partition_implILS5_9ELb0ES3_jPlS8_PNS0_10empty_typeENS0_5tupleIJS8_S9_EEENSB_IJS8_SA_EEENS0_18inequality_wrapperIZN2at6native12_GLOBAL__N_124unique_dim_cuda_templateIdEESt5tupleIJNSF_6TensorESK_SK_EERKSK_lbbbEUlllE0_EEPmJS9_EEE10hipError_tPvRmT3_T4_T5_T6_T7_T9_mT8_P12ihipStream_tbDpT10_ENKUlT_T0_E_clISt17integral_constantIbLb1EES19_IbLb0EEEEDaS15_S16_EUlS15_E_NS1_11comp_targetILNS1_3genE4ELNS1_11target_archE910ELNS1_3gpuE8ELNS1_3repE0EEENS1_30default_config_static_selectorELNS0_4arch9wavefront6targetE1EEEvT1_,"axG",@progbits,_ZN7rocprim17ROCPRIM_400000_NS6detail17trampoline_kernelINS0_14default_configENS1_25partition_config_selectorILNS1_17partition_subalgoE9EllbEEZZNS1_14partition_implILS5_9ELb0ES3_jPlS8_PNS0_10empty_typeENS0_5tupleIJS8_S9_EEENSB_IJS8_SA_EEENS0_18inequality_wrapperIZN2at6native12_GLOBAL__N_124unique_dim_cuda_templateIdEESt5tupleIJNSF_6TensorESK_SK_EERKSK_lbbbEUlllE0_EEPmJS9_EEE10hipError_tPvRmT3_T4_T5_T6_T7_T9_mT8_P12ihipStream_tbDpT10_ENKUlT_T0_E_clISt17integral_constantIbLb1EES19_IbLb0EEEEDaS15_S16_EUlS15_E_NS1_11comp_targetILNS1_3genE4ELNS1_11target_archE910ELNS1_3gpuE8ELNS1_3repE0EEENS1_30default_config_static_selectorELNS0_4arch9wavefront6targetE1EEEvT1_,comdat
	.globl	_ZN7rocprim17ROCPRIM_400000_NS6detail17trampoline_kernelINS0_14default_configENS1_25partition_config_selectorILNS1_17partition_subalgoE9EllbEEZZNS1_14partition_implILS5_9ELb0ES3_jPlS8_PNS0_10empty_typeENS0_5tupleIJS8_S9_EEENSB_IJS8_SA_EEENS0_18inequality_wrapperIZN2at6native12_GLOBAL__N_124unique_dim_cuda_templateIdEESt5tupleIJNSF_6TensorESK_SK_EERKSK_lbbbEUlllE0_EEPmJS9_EEE10hipError_tPvRmT3_T4_T5_T6_T7_T9_mT8_P12ihipStream_tbDpT10_ENKUlT_T0_E_clISt17integral_constantIbLb1EES19_IbLb0EEEEDaS15_S16_EUlS15_E_NS1_11comp_targetILNS1_3genE4ELNS1_11target_archE910ELNS1_3gpuE8ELNS1_3repE0EEENS1_30default_config_static_selectorELNS0_4arch9wavefront6targetE1EEEvT1_ ; -- Begin function _ZN7rocprim17ROCPRIM_400000_NS6detail17trampoline_kernelINS0_14default_configENS1_25partition_config_selectorILNS1_17partition_subalgoE9EllbEEZZNS1_14partition_implILS5_9ELb0ES3_jPlS8_PNS0_10empty_typeENS0_5tupleIJS8_S9_EEENSB_IJS8_SA_EEENS0_18inequality_wrapperIZN2at6native12_GLOBAL__N_124unique_dim_cuda_templateIdEESt5tupleIJNSF_6TensorESK_SK_EERKSK_lbbbEUlllE0_EEPmJS9_EEE10hipError_tPvRmT3_T4_T5_T6_T7_T9_mT8_P12ihipStream_tbDpT10_ENKUlT_T0_E_clISt17integral_constantIbLb1EES19_IbLb0EEEEDaS15_S16_EUlS15_E_NS1_11comp_targetILNS1_3genE4ELNS1_11target_archE910ELNS1_3gpuE8ELNS1_3repE0EEENS1_30default_config_static_selectorELNS0_4arch9wavefront6targetE1EEEvT1_
	.p2align	8
	.type	_ZN7rocprim17ROCPRIM_400000_NS6detail17trampoline_kernelINS0_14default_configENS1_25partition_config_selectorILNS1_17partition_subalgoE9EllbEEZZNS1_14partition_implILS5_9ELb0ES3_jPlS8_PNS0_10empty_typeENS0_5tupleIJS8_S9_EEENSB_IJS8_SA_EEENS0_18inequality_wrapperIZN2at6native12_GLOBAL__N_124unique_dim_cuda_templateIdEESt5tupleIJNSF_6TensorESK_SK_EERKSK_lbbbEUlllE0_EEPmJS9_EEE10hipError_tPvRmT3_T4_T5_T6_T7_T9_mT8_P12ihipStream_tbDpT10_ENKUlT_T0_E_clISt17integral_constantIbLb1EES19_IbLb0EEEEDaS15_S16_EUlS15_E_NS1_11comp_targetILNS1_3genE4ELNS1_11target_archE910ELNS1_3gpuE8ELNS1_3repE0EEENS1_30default_config_static_selectorELNS0_4arch9wavefront6targetE1EEEvT1_,@function
_ZN7rocprim17ROCPRIM_400000_NS6detail17trampoline_kernelINS0_14default_configENS1_25partition_config_selectorILNS1_17partition_subalgoE9EllbEEZZNS1_14partition_implILS5_9ELb0ES3_jPlS8_PNS0_10empty_typeENS0_5tupleIJS8_S9_EEENSB_IJS8_SA_EEENS0_18inequality_wrapperIZN2at6native12_GLOBAL__N_124unique_dim_cuda_templateIdEESt5tupleIJNSF_6TensorESK_SK_EERKSK_lbbbEUlllE0_EEPmJS9_EEE10hipError_tPvRmT3_T4_T5_T6_T7_T9_mT8_P12ihipStream_tbDpT10_ENKUlT_T0_E_clISt17integral_constantIbLb1EES19_IbLb0EEEEDaS15_S16_EUlS15_E_NS1_11comp_targetILNS1_3genE4ELNS1_11target_archE910ELNS1_3gpuE8ELNS1_3repE0EEENS1_30default_config_static_selectorELNS0_4arch9wavefront6targetE1EEEvT1_: ; @_ZN7rocprim17ROCPRIM_400000_NS6detail17trampoline_kernelINS0_14default_configENS1_25partition_config_selectorILNS1_17partition_subalgoE9EllbEEZZNS1_14partition_implILS5_9ELb0ES3_jPlS8_PNS0_10empty_typeENS0_5tupleIJS8_S9_EEENSB_IJS8_SA_EEENS0_18inequality_wrapperIZN2at6native12_GLOBAL__N_124unique_dim_cuda_templateIdEESt5tupleIJNSF_6TensorESK_SK_EERKSK_lbbbEUlllE0_EEPmJS9_EEE10hipError_tPvRmT3_T4_T5_T6_T7_T9_mT8_P12ihipStream_tbDpT10_ENKUlT_T0_E_clISt17integral_constantIbLb1EES19_IbLb0EEEEDaS15_S16_EUlS15_E_NS1_11comp_targetILNS1_3genE4ELNS1_11target_archE910ELNS1_3gpuE8ELNS1_3repE0EEENS1_30default_config_static_selectorELNS0_4arch9wavefront6targetE1EEEvT1_
; %bb.0:
	.section	.rodata,"a",@progbits
	.p2align	6, 0x0
	.amdhsa_kernel _ZN7rocprim17ROCPRIM_400000_NS6detail17trampoline_kernelINS0_14default_configENS1_25partition_config_selectorILNS1_17partition_subalgoE9EllbEEZZNS1_14partition_implILS5_9ELb0ES3_jPlS8_PNS0_10empty_typeENS0_5tupleIJS8_S9_EEENSB_IJS8_SA_EEENS0_18inequality_wrapperIZN2at6native12_GLOBAL__N_124unique_dim_cuda_templateIdEESt5tupleIJNSF_6TensorESK_SK_EERKSK_lbbbEUlllE0_EEPmJS9_EEE10hipError_tPvRmT3_T4_T5_T6_T7_T9_mT8_P12ihipStream_tbDpT10_ENKUlT_T0_E_clISt17integral_constantIbLb1EES19_IbLb0EEEEDaS15_S16_EUlS15_E_NS1_11comp_targetILNS1_3genE4ELNS1_11target_archE910ELNS1_3gpuE8ELNS1_3repE0EEENS1_30default_config_static_selectorELNS0_4arch9wavefront6targetE1EEEvT1_
		.amdhsa_group_segment_fixed_size 0
		.amdhsa_private_segment_fixed_size 0
		.amdhsa_kernarg_size 120
		.amdhsa_user_sgpr_count 2
		.amdhsa_user_sgpr_dispatch_ptr 0
		.amdhsa_user_sgpr_queue_ptr 0
		.amdhsa_user_sgpr_kernarg_segment_ptr 1
		.amdhsa_user_sgpr_dispatch_id 0
		.amdhsa_user_sgpr_kernarg_preload_length 0
		.amdhsa_user_sgpr_kernarg_preload_offset 0
		.amdhsa_user_sgpr_private_segment_size 0
		.amdhsa_uses_dynamic_stack 0
		.amdhsa_enable_private_segment 0
		.amdhsa_system_sgpr_workgroup_id_x 1
		.amdhsa_system_sgpr_workgroup_id_y 0
		.amdhsa_system_sgpr_workgroup_id_z 0
		.amdhsa_system_sgpr_workgroup_info 0
		.amdhsa_system_vgpr_workitem_id 0
		.amdhsa_next_free_vgpr 1
		.amdhsa_next_free_sgpr 0
		.amdhsa_accum_offset 4
		.amdhsa_reserve_vcc 0
		.amdhsa_float_round_mode_32 0
		.amdhsa_float_round_mode_16_64 0
		.amdhsa_float_denorm_mode_32 3
		.amdhsa_float_denorm_mode_16_64 3
		.amdhsa_dx10_clamp 1
		.amdhsa_ieee_mode 1
		.amdhsa_fp16_overflow 0
		.amdhsa_tg_split 0
		.amdhsa_exception_fp_ieee_invalid_op 0
		.amdhsa_exception_fp_denorm_src 0
		.amdhsa_exception_fp_ieee_div_zero 0
		.amdhsa_exception_fp_ieee_overflow 0
		.amdhsa_exception_fp_ieee_underflow 0
		.amdhsa_exception_fp_ieee_inexact 0
		.amdhsa_exception_int_div_zero 0
	.end_amdhsa_kernel
	.section	.text._ZN7rocprim17ROCPRIM_400000_NS6detail17trampoline_kernelINS0_14default_configENS1_25partition_config_selectorILNS1_17partition_subalgoE9EllbEEZZNS1_14partition_implILS5_9ELb0ES3_jPlS8_PNS0_10empty_typeENS0_5tupleIJS8_S9_EEENSB_IJS8_SA_EEENS0_18inequality_wrapperIZN2at6native12_GLOBAL__N_124unique_dim_cuda_templateIdEESt5tupleIJNSF_6TensorESK_SK_EERKSK_lbbbEUlllE0_EEPmJS9_EEE10hipError_tPvRmT3_T4_T5_T6_T7_T9_mT8_P12ihipStream_tbDpT10_ENKUlT_T0_E_clISt17integral_constantIbLb1EES19_IbLb0EEEEDaS15_S16_EUlS15_E_NS1_11comp_targetILNS1_3genE4ELNS1_11target_archE910ELNS1_3gpuE8ELNS1_3repE0EEENS1_30default_config_static_selectorELNS0_4arch9wavefront6targetE1EEEvT1_,"axG",@progbits,_ZN7rocprim17ROCPRIM_400000_NS6detail17trampoline_kernelINS0_14default_configENS1_25partition_config_selectorILNS1_17partition_subalgoE9EllbEEZZNS1_14partition_implILS5_9ELb0ES3_jPlS8_PNS0_10empty_typeENS0_5tupleIJS8_S9_EEENSB_IJS8_SA_EEENS0_18inequality_wrapperIZN2at6native12_GLOBAL__N_124unique_dim_cuda_templateIdEESt5tupleIJNSF_6TensorESK_SK_EERKSK_lbbbEUlllE0_EEPmJS9_EEE10hipError_tPvRmT3_T4_T5_T6_T7_T9_mT8_P12ihipStream_tbDpT10_ENKUlT_T0_E_clISt17integral_constantIbLb1EES19_IbLb0EEEEDaS15_S16_EUlS15_E_NS1_11comp_targetILNS1_3genE4ELNS1_11target_archE910ELNS1_3gpuE8ELNS1_3repE0EEENS1_30default_config_static_selectorELNS0_4arch9wavefront6targetE1EEEvT1_,comdat
.Lfunc_end863:
	.size	_ZN7rocprim17ROCPRIM_400000_NS6detail17trampoline_kernelINS0_14default_configENS1_25partition_config_selectorILNS1_17partition_subalgoE9EllbEEZZNS1_14partition_implILS5_9ELb0ES3_jPlS8_PNS0_10empty_typeENS0_5tupleIJS8_S9_EEENSB_IJS8_SA_EEENS0_18inequality_wrapperIZN2at6native12_GLOBAL__N_124unique_dim_cuda_templateIdEESt5tupleIJNSF_6TensorESK_SK_EERKSK_lbbbEUlllE0_EEPmJS9_EEE10hipError_tPvRmT3_T4_T5_T6_T7_T9_mT8_P12ihipStream_tbDpT10_ENKUlT_T0_E_clISt17integral_constantIbLb1EES19_IbLb0EEEEDaS15_S16_EUlS15_E_NS1_11comp_targetILNS1_3genE4ELNS1_11target_archE910ELNS1_3gpuE8ELNS1_3repE0EEENS1_30default_config_static_selectorELNS0_4arch9wavefront6targetE1EEEvT1_, .Lfunc_end863-_ZN7rocprim17ROCPRIM_400000_NS6detail17trampoline_kernelINS0_14default_configENS1_25partition_config_selectorILNS1_17partition_subalgoE9EllbEEZZNS1_14partition_implILS5_9ELb0ES3_jPlS8_PNS0_10empty_typeENS0_5tupleIJS8_S9_EEENSB_IJS8_SA_EEENS0_18inequality_wrapperIZN2at6native12_GLOBAL__N_124unique_dim_cuda_templateIdEESt5tupleIJNSF_6TensorESK_SK_EERKSK_lbbbEUlllE0_EEPmJS9_EEE10hipError_tPvRmT3_T4_T5_T6_T7_T9_mT8_P12ihipStream_tbDpT10_ENKUlT_T0_E_clISt17integral_constantIbLb1EES19_IbLb0EEEEDaS15_S16_EUlS15_E_NS1_11comp_targetILNS1_3genE4ELNS1_11target_archE910ELNS1_3gpuE8ELNS1_3repE0EEENS1_30default_config_static_selectorELNS0_4arch9wavefront6targetE1EEEvT1_
                                        ; -- End function
	.section	.AMDGPU.csdata,"",@progbits
; Kernel info:
; codeLenInByte = 0
; NumSgprs: 6
; NumVgprs: 0
; NumAgprs: 0
; TotalNumVgprs: 0
; ScratchSize: 0
; MemoryBound: 0
; FloatMode: 240
; IeeeMode: 1
; LDSByteSize: 0 bytes/workgroup (compile time only)
; SGPRBlocks: 0
; VGPRBlocks: 0
; NumSGPRsForWavesPerEU: 6
; NumVGPRsForWavesPerEU: 1
; AccumOffset: 4
; Occupancy: 8
; WaveLimiterHint : 0
; COMPUTE_PGM_RSRC2:SCRATCH_EN: 0
; COMPUTE_PGM_RSRC2:USER_SGPR: 2
; COMPUTE_PGM_RSRC2:TRAP_HANDLER: 0
; COMPUTE_PGM_RSRC2:TGID_X_EN: 1
; COMPUTE_PGM_RSRC2:TGID_Y_EN: 0
; COMPUTE_PGM_RSRC2:TGID_Z_EN: 0
; COMPUTE_PGM_RSRC2:TIDIG_COMP_CNT: 0
; COMPUTE_PGM_RSRC3_GFX90A:ACCUM_OFFSET: 0
; COMPUTE_PGM_RSRC3_GFX90A:TG_SPLIT: 0
	.section	.text._ZN7rocprim17ROCPRIM_400000_NS6detail17trampoline_kernelINS0_14default_configENS1_25partition_config_selectorILNS1_17partition_subalgoE9EllbEEZZNS1_14partition_implILS5_9ELb0ES3_jPlS8_PNS0_10empty_typeENS0_5tupleIJS8_S9_EEENSB_IJS8_SA_EEENS0_18inequality_wrapperIZN2at6native12_GLOBAL__N_124unique_dim_cuda_templateIdEESt5tupleIJNSF_6TensorESK_SK_EERKSK_lbbbEUlllE0_EEPmJS9_EEE10hipError_tPvRmT3_T4_T5_T6_T7_T9_mT8_P12ihipStream_tbDpT10_ENKUlT_T0_E_clISt17integral_constantIbLb1EES19_IbLb0EEEEDaS15_S16_EUlS15_E_NS1_11comp_targetILNS1_3genE3ELNS1_11target_archE908ELNS1_3gpuE7ELNS1_3repE0EEENS1_30default_config_static_selectorELNS0_4arch9wavefront6targetE1EEEvT1_,"axG",@progbits,_ZN7rocprim17ROCPRIM_400000_NS6detail17trampoline_kernelINS0_14default_configENS1_25partition_config_selectorILNS1_17partition_subalgoE9EllbEEZZNS1_14partition_implILS5_9ELb0ES3_jPlS8_PNS0_10empty_typeENS0_5tupleIJS8_S9_EEENSB_IJS8_SA_EEENS0_18inequality_wrapperIZN2at6native12_GLOBAL__N_124unique_dim_cuda_templateIdEESt5tupleIJNSF_6TensorESK_SK_EERKSK_lbbbEUlllE0_EEPmJS9_EEE10hipError_tPvRmT3_T4_T5_T6_T7_T9_mT8_P12ihipStream_tbDpT10_ENKUlT_T0_E_clISt17integral_constantIbLb1EES19_IbLb0EEEEDaS15_S16_EUlS15_E_NS1_11comp_targetILNS1_3genE3ELNS1_11target_archE908ELNS1_3gpuE7ELNS1_3repE0EEENS1_30default_config_static_selectorELNS0_4arch9wavefront6targetE1EEEvT1_,comdat
	.globl	_ZN7rocprim17ROCPRIM_400000_NS6detail17trampoline_kernelINS0_14default_configENS1_25partition_config_selectorILNS1_17partition_subalgoE9EllbEEZZNS1_14partition_implILS5_9ELb0ES3_jPlS8_PNS0_10empty_typeENS0_5tupleIJS8_S9_EEENSB_IJS8_SA_EEENS0_18inequality_wrapperIZN2at6native12_GLOBAL__N_124unique_dim_cuda_templateIdEESt5tupleIJNSF_6TensorESK_SK_EERKSK_lbbbEUlllE0_EEPmJS9_EEE10hipError_tPvRmT3_T4_T5_T6_T7_T9_mT8_P12ihipStream_tbDpT10_ENKUlT_T0_E_clISt17integral_constantIbLb1EES19_IbLb0EEEEDaS15_S16_EUlS15_E_NS1_11comp_targetILNS1_3genE3ELNS1_11target_archE908ELNS1_3gpuE7ELNS1_3repE0EEENS1_30default_config_static_selectorELNS0_4arch9wavefront6targetE1EEEvT1_ ; -- Begin function _ZN7rocprim17ROCPRIM_400000_NS6detail17trampoline_kernelINS0_14default_configENS1_25partition_config_selectorILNS1_17partition_subalgoE9EllbEEZZNS1_14partition_implILS5_9ELb0ES3_jPlS8_PNS0_10empty_typeENS0_5tupleIJS8_S9_EEENSB_IJS8_SA_EEENS0_18inequality_wrapperIZN2at6native12_GLOBAL__N_124unique_dim_cuda_templateIdEESt5tupleIJNSF_6TensorESK_SK_EERKSK_lbbbEUlllE0_EEPmJS9_EEE10hipError_tPvRmT3_T4_T5_T6_T7_T9_mT8_P12ihipStream_tbDpT10_ENKUlT_T0_E_clISt17integral_constantIbLb1EES19_IbLb0EEEEDaS15_S16_EUlS15_E_NS1_11comp_targetILNS1_3genE3ELNS1_11target_archE908ELNS1_3gpuE7ELNS1_3repE0EEENS1_30default_config_static_selectorELNS0_4arch9wavefront6targetE1EEEvT1_
	.p2align	8
	.type	_ZN7rocprim17ROCPRIM_400000_NS6detail17trampoline_kernelINS0_14default_configENS1_25partition_config_selectorILNS1_17partition_subalgoE9EllbEEZZNS1_14partition_implILS5_9ELb0ES3_jPlS8_PNS0_10empty_typeENS0_5tupleIJS8_S9_EEENSB_IJS8_SA_EEENS0_18inequality_wrapperIZN2at6native12_GLOBAL__N_124unique_dim_cuda_templateIdEESt5tupleIJNSF_6TensorESK_SK_EERKSK_lbbbEUlllE0_EEPmJS9_EEE10hipError_tPvRmT3_T4_T5_T6_T7_T9_mT8_P12ihipStream_tbDpT10_ENKUlT_T0_E_clISt17integral_constantIbLb1EES19_IbLb0EEEEDaS15_S16_EUlS15_E_NS1_11comp_targetILNS1_3genE3ELNS1_11target_archE908ELNS1_3gpuE7ELNS1_3repE0EEENS1_30default_config_static_selectorELNS0_4arch9wavefront6targetE1EEEvT1_,@function
_ZN7rocprim17ROCPRIM_400000_NS6detail17trampoline_kernelINS0_14default_configENS1_25partition_config_selectorILNS1_17partition_subalgoE9EllbEEZZNS1_14partition_implILS5_9ELb0ES3_jPlS8_PNS0_10empty_typeENS0_5tupleIJS8_S9_EEENSB_IJS8_SA_EEENS0_18inequality_wrapperIZN2at6native12_GLOBAL__N_124unique_dim_cuda_templateIdEESt5tupleIJNSF_6TensorESK_SK_EERKSK_lbbbEUlllE0_EEPmJS9_EEE10hipError_tPvRmT3_T4_T5_T6_T7_T9_mT8_P12ihipStream_tbDpT10_ENKUlT_T0_E_clISt17integral_constantIbLb1EES19_IbLb0EEEEDaS15_S16_EUlS15_E_NS1_11comp_targetILNS1_3genE3ELNS1_11target_archE908ELNS1_3gpuE7ELNS1_3repE0EEENS1_30default_config_static_selectorELNS0_4arch9wavefront6targetE1EEEvT1_: ; @_ZN7rocprim17ROCPRIM_400000_NS6detail17trampoline_kernelINS0_14default_configENS1_25partition_config_selectorILNS1_17partition_subalgoE9EllbEEZZNS1_14partition_implILS5_9ELb0ES3_jPlS8_PNS0_10empty_typeENS0_5tupleIJS8_S9_EEENSB_IJS8_SA_EEENS0_18inequality_wrapperIZN2at6native12_GLOBAL__N_124unique_dim_cuda_templateIdEESt5tupleIJNSF_6TensorESK_SK_EERKSK_lbbbEUlllE0_EEPmJS9_EEE10hipError_tPvRmT3_T4_T5_T6_T7_T9_mT8_P12ihipStream_tbDpT10_ENKUlT_T0_E_clISt17integral_constantIbLb1EES19_IbLb0EEEEDaS15_S16_EUlS15_E_NS1_11comp_targetILNS1_3genE3ELNS1_11target_archE908ELNS1_3gpuE7ELNS1_3repE0EEENS1_30default_config_static_selectorELNS0_4arch9wavefront6targetE1EEEvT1_
; %bb.0:
	.section	.rodata,"a",@progbits
	.p2align	6, 0x0
	.amdhsa_kernel _ZN7rocprim17ROCPRIM_400000_NS6detail17trampoline_kernelINS0_14default_configENS1_25partition_config_selectorILNS1_17partition_subalgoE9EllbEEZZNS1_14partition_implILS5_9ELb0ES3_jPlS8_PNS0_10empty_typeENS0_5tupleIJS8_S9_EEENSB_IJS8_SA_EEENS0_18inequality_wrapperIZN2at6native12_GLOBAL__N_124unique_dim_cuda_templateIdEESt5tupleIJNSF_6TensorESK_SK_EERKSK_lbbbEUlllE0_EEPmJS9_EEE10hipError_tPvRmT3_T4_T5_T6_T7_T9_mT8_P12ihipStream_tbDpT10_ENKUlT_T0_E_clISt17integral_constantIbLb1EES19_IbLb0EEEEDaS15_S16_EUlS15_E_NS1_11comp_targetILNS1_3genE3ELNS1_11target_archE908ELNS1_3gpuE7ELNS1_3repE0EEENS1_30default_config_static_selectorELNS0_4arch9wavefront6targetE1EEEvT1_
		.amdhsa_group_segment_fixed_size 0
		.amdhsa_private_segment_fixed_size 0
		.amdhsa_kernarg_size 120
		.amdhsa_user_sgpr_count 2
		.amdhsa_user_sgpr_dispatch_ptr 0
		.amdhsa_user_sgpr_queue_ptr 0
		.amdhsa_user_sgpr_kernarg_segment_ptr 1
		.amdhsa_user_sgpr_dispatch_id 0
		.amdhsa_user_sgpr_kernarg_preload_length 0
		.amdhsa_user_sgpr_kernarg_preload_offset 0
		.amdhsa_user_sgpr_private_segment_size 0
		.amdhsa_uses_dynamic_stack 0
		.amdhsa_enable_private_segment 0
		.amdhsa_system_sgpr_workgroup_id_x 1
		.amdhsa_system_sgpr_workgroup_id_y 0
		.amdhsa_system_sgpr_workgroup_id_z 0
		.amdhsa_system_sgpr_workgroup_info 0
		.amdhsa_system_vgpr_workitem_id 0
		.amdhsa_next_free_vgpr 1
		.amdhsa_next_free_sgpr 0
		.amdhsa_accum_offset 4
		.amdhsa_reserve_vcc 0
		.amdhsa_float_round_mode_32 0
		.amdhsa_float_round_mode_16_64 0
		.amdhsa_float_denorm_mode_32 3
		.amdhsa_float_denorm_mode_16_64 3
		.amdhsa_dx10_clamp 1
		.amdhsa_ieee_mode 1
		.amdhsa_fp16_overflow 0
		.amdhsa_tg_split 0
		.amdhsa_exception_fp_ieee_invalid_op 0
		.amdhsa_exception_fp_denorm_src 0
		.amdhsa_exception_fp_ieee_div_zero 0
		.amdhsa_exception_fp_ieee_overflow 0
		.amdhsa_exception_fp_ieee_underflow 0
		.amdhsa_exception_fp_ieee_inexact 0
		.amdhsa_exception_int_div_zero 0
	.end_amdhsa_kernel
	.section	.text._ZN7rocprim17ROCPRIM_400000_NS6detail17trampoline_kernelINS0_14default_configENS1_25partition_config_selectorILNS1_17partition_subalgoE9EllbEEZZNS1_14partition_implILS5_9ELb0ES3_jPlS8_PNS0_10empty_typeENS0_5tupleIJS8_S9_EEENSB_IJS8_SA_EEENS0_18inequality_wrapperIZN2at6native12_GLOBAL__N_124unique_dim_cuda_templateIdEESt5tupleIJNSF_6TensorESK_SK_EERKSK_lbbbEUlllE0_EEPmJS9_EEE10hipError_tPvRmT3_T4_T5_T6_T7_T9_mT8_P12ihipStream_tbDpT10_ENKUlT_T0_E_clISt17integral_constantIbLb1EES19_IbLb0EEEEDaS15_S16_EUlS15_E_NS1_11comp_targetILNS1_3genE3ELNS1_11target_archE908ELNS1_3gpuE7ELNS1_3repE0EEENS1_30default_config_static_selectorELNS0_4arch9wavefront6targetE1EEEvT1_,"axG",@progbits,_ZN7rocprim17ROCPRIM_400000_NS6detail17trampoline_kernelINS0_14default_configENS1_25partition_config_selectorILNS1_17partition_subalgoE9EllbEEZZNS1_14partition_implILS5_9ELb0ES3_jPlS8_PNS0_10empty_typeENS0_5tupleIJS8_S9_EEENSB_IJS8_SA_EEENS0_18inequality_wrapperIZN2at6native12_GLOBAL__N_124unique_dim_cuda_templateIdEESt5tupleIJNSF_6TensorESK_SK_EERKSK_lbbbEUlllE0_EEPmJS9_EEE10hipError_tPvRmT3_T4_T5_T6_T7_T9_mT8_P12ihipStream_tbDpT10_ENKUlT_T0_E_clISt17integral_constantIbLb1EES19_IbLb0EEEEDaS15_S16_EUlS15_E_NS1_11comp_targetILNS1_3genE3ELNS1_11target_archE908ELNS1_3gpuE7ELNS1_3repE0EEENS1_30default_config_static_selectorELNS0_4arch9wavefront6targetE1EEEvT1_,comdat
.Lfunc_end864:
	.size	_ZN7rocprim17ROCPRIM_400000_NS6detail17trampoline_kernelINS0_14default_configENS1_25partition_config_selectorILNS1_17partition_subalgoE9EllbEEZZNS1_14partition_implILS5_9ELb0ES3_jPlS8_PNS0_10empty_typeENS0_5tupleIJS8_S9_EEENSB_IJS8_SA_EEENS0_18inequality_wrapperIZN2at6native12_GLOBAL__N_124unique_dim_cuda_templateIdEESt5tupleIJNSF_6TensorESK_SK_EERKSK_lbbbEUlllE0_EEPmJS9_EEE10hipError_tPvRmT3_T4_T5_T6_T7_T9_mT8_P12ihipStream_tbDpT10_ENKUlT_T0_E_clISt17integral_constantIbLb1EES19_IbLb0EEEEDaS15_S16_EUlS15_E_NS1_11comp_targetILNS1_3genE3ELNS1_11target_archE908ELNS1_3gpuE7ELNS1_3repE0EEENS1_30default_config_static_selectorELNS0_4arch9wavefront6targetE1EEEvT1_, .Lfunc_end864-_ZN7rocprim17ROCPRIM_400000_NS6detail17trampoline_kernelINS0_14default_configENS1_25partition_config_selectorILNS1_17partition_subalgoE9EllbEEZZNS1_14partition_implILS5_9ELb0ES3_jPlS8_PNS0_10empty_typeENS0_5tupleIJS8_S9_EEENSB_IJS8_SA_EEENS0_18inequality_wrapperIZN2at6native12_GLOBAL__N_124unique_dim_cuda_templateIdEESt5tupleIJNSF_6TensorESK_SK_EERKSK_lbbbEUlllE0_EEPmJS9_EEE10hipError_tPvRmT3_T4_T5_T6_T7_T9_mT8_P12ihipStream_tbDpT10_ENKUlT_T0_E_clISt17integral_constantIbLb1EES19_IbLb0EEEEDaS15_S16_EUlS15_E_NS1_11comp_targetILNS1_3genE3ELNS1_11target_archE908ELNS1_3gpuE7ELNS1_3repE0EEENS1_30default_config_static_selectorELNS0_4arch9wavefront6targetE1EEEvT1_
                                        ; -- End function
	.section	.AMDGPU.csdata,"",@progbits
; Kernel info:
; codeLenInByte = 0
; NumSgprs: 6
; NumVgprs: 0
; NumAgprs: 0
; TotalNumVgprs: 0
; ScratchSize: 0
; MemoryBound: 0
; FloatMode: 240
; IeeeMode: 1
; LDSByteSize: 0 bytes/workgroup (compile time only)
; SGPRBlocks: 0
; VGPRBlocks: 0
; NumSGPRsForWavesPerEU: 6
; NumVGPRsForWavesPerEU: 1
; AccumOffset: 4
; Occupancy: 8
; WaveLimiterHint : 0
; COMPUTE_PGM_RSRC2:SCRATCH_EN: 0
; COMPUTE_PGM_RSRC2:USER_SGPR: 2
; COMPUTE_PGM_RSRC2:TRAP_HANDLER: 0
; COMPUTE_PGM_RSRC2:TGID_X_EN: 1
; COMPUTE_PGM_RSRC2:TGID_Y_EN: 0
; COMPUTE_PGM_RSRC2:TGID_Z_EN: 0
; COMPUTE_PGM_RSRC2:TIDIG_COMP_CNT: 0
; COMPUTE_PGM_RSRC3_GFX90A:ACCUM_OFFSET: 0
; COMPUTE_PGM_RSRC3_GFX90A:TG_SPLIT: 0
	.section	.text._ZN7rocprim17ROCPRIM_400000_NS6detail17trampoline_kernelINS0_14default_configENS1_25partition_config_selectorILNS1_17partition_subalgoE9EllbEEZZNS1_14partition_implILS5_9ELb0ES3_jPlS8_PNS0_10empty_typeENS0_5tupleIJS8_S9_EEENSB_IJS8_SA_EEENS0_18inequality_wrapperIZN2at6native12_GLOBAL__N_124unique_dim_cuda_templateIdEESt5tupleIJNSF_6TensorESK_SK_EERKSK_lbbbEUlllE0_EEPmJS9_EEE10hipError_tPvRmT3_T4_T5_T6_T7_T9_mT8_P12ihipStream_tbDpT10_ENKUlT_T0_E_clISt17integral_constantIbLb1EES19_IbLb0EEEEDaS15_S16_EUlS15_E_NS1_11comp_targetILNS1_3genE2ELNS1_11target_archE906ELNS1_3gpuE6ELNS1_3repE0EEENS1_30default_config_static_selectorELNS0_4arch9wavefront6targetE1EEEvT1_,"axG",@progbits,_ZN7rocprim17ROCPRIM_400000_NS6detail17trampoline_kernelINS0_14default_configENS1_25partition_config_selectorILNS1_17partition_subalgoE9EllbEEZZNS1_14partition_implILS5_9ELb0ES3_jPlS8_PNS0_10empty_typeENS0_5tupleIJS8_S9_EEENSB_IJS8_SA_EEENS0_18inequality_wrapperIZN2at6native12_GLOBAL__N_124unique_dim_cuda_templateIdEESt5tupleIJNSF_6TensorESK_SK_EERKSK_lbbbEUlllE0_EEPmJS9_EEE10hipError_tPvRmT3_T4_T5_T6_T7_T9_mT8_P12ihipStream_tbDpT10_ENKUlT_T0_E_clISt17integral_constantIbLb1EES19_IbLb0EEEEDaS15_S16_EUlS15_E_NS1_11comp_targetILNS1_3genE2ELNS1_11target_archE906ELNS1_3gpuE6ELNS1_3repE0EEENS1_30default_config_static_selectorELNS0_4arch9wavefront6targetE1EEEvT1_,comdat
	.globl	_ZN7rocprim17ROCPRIM_400000_NS6detail17trampoline_kernelINS0_14default_configENS1_25partition_config_selectorILNS1_17partition_subalgoE9EllbEEZZNS1_14partition_implILS5_9ELb0ES3_jPlS8_PNS0_10empty_typeENS0_5tupleIJS8_S9_EEENSB_IJS8_SA_EEENS0_18inequality_wrapperIZN2at6native12_GLOBAL__N_124unique_dim_cuda_templateIdEESt5tupleIJNSF_6TensorESK_SK_EERKSK_lbbbEUlllE0_EEPmJS9_EEE10hipError_tPvRmT3_T4_T5_T6_T7_T9_mT8_P12ihipStream_tbDpT10_ENKUlT_T0_E_clISt17integral_constantIbLb1EES19_IbLb0EEEEDaS15_S16_EUlS15_E_NS1_11comp_targetILNS1_3genE2ELNS1_11target_archE906ELNS1_3gpuE6ELNS1_3repE0EEENS1_30default_config_static_selectorELNS0_4arch9wavefront6targetE1EEEvT1_ ; -- Begin function _ZN7rocprim17ROCPRIM_400000_NS6detail17trampoline_kernelINS0_14default_configENS1_25partition_config_selectorILNS1_17partition_subalgoE9EllbEEZZNS1_14partition_implILS5_9ELb0ES3_jPlS8_PNS0_10empty_typeENS0_5tupleIJS8_S9_EEENSB_IJS8_SA_EEENS0_18inequality_wrapperIZN2at6native12_GLOBAL__N_124unique_dim_cuda_templateIdEESt5tupleIJNSF_6TensorESK_SK_EERKSK_lbbbEUlllE0_EEPmJS9_EEE10hipError_tPvRmT3_T4_T5_T6_T7_T9_mT8_P12ihipStream_tbDpT10_ENKUlT_T0_E_clISt17integral_constantIbLb1EES19_IbLb0EEEEDaS15_S16_EUlS15_E_NS1_11comp_targetILNS1_3genE2ELNS1_11target_archE906ELNS1_3gpuE6ELNS1_3repE0EEENS1_30default_config_static_selectorELNS0_4arch9wavefront6targetE1EEEvT1_
	.p2align	8
	.type	_ZN7rocprim17ROCPRIM_400000_NS6detail17trampoline_kernelINS0_14default_configENS1_25partition_config_selectorILNS1_17partition_subalgoE9EllbEEZZNS1_14partition_implILS5_9ELb0ES3_jPlS8_PNS0_10empty_typeENS0_5tupleIJS8_S9_EEENSB_IJS8_SA_EEENS0_18inequality_wrapperIZN2at6native12_GLOBAL__N_124unique_dim_cuda_templateIdEESt5tupleIJNSF_6TensorESK_SK_EERKSK_lbbbEUlllE0_EEPmJS9_EEE10hipError_tPvRmT3_T4_T5_T6_T7_T9_mT8_P12ihipStream_tbDpT10_ENKUlT_T0_E_clISt17integral_constantIbLb1EES19_IbLb0EEEEDaS15_S16_EUlS15_E_NS1_11comp_targetILNS1_3genE2ELNS1_11target_archE906ELNS1_3gpuE6ELNS1_3repE0EEENS1_30default_config_static_selectorELNS0_4arch9wavefront6targetE1EEEvT1_,@function
_ZN7rocprim17ROCPRIM_400000_NS6detail17trampoline_kernelINS0_14default_configENS1_25partition_config_selectorILNS1_17partition_subalgoE9EllbEEZZNS1_14partition_implILS5_9ELb0ES3_jPlS8_PNS0_10empty_typeENS0_5tupleIJS8_S9_EEENSB_IJS8_SA_EEENS0_18inequality_wrapperIZN2at6native12_GLOBAL__N_124unique_dim_cuda_templateIdEESt5tupleIJNSF_6TensorESK_SK_EERKSK_lbbbEUlllE0_EEPmJS9_EEE10hipError_tPvRmT3_T4_T5_T6_T7_T9_mT8_P12ihipStream_tbDpT10_ENKUlT_T0_E_clISt17integral_constantIbLb1EES19_IbLb0EEEEDaS15_S16_EUlS15_E_NS1_11comp_targetILNS1_3genE2ELNS1_11target_archE906ELNS1_3gpuE6ELNS1_3repE0EEENS1_30default_config_static_selectorELNS0_4arch9wavefront6targetE1EEEvT1_: ; @_ZN7rocprim17ROCPRIM_400000_NS6detail17trampoline_kernelINS0_14default_configENS1_25partition_config_selectorILNS1_17partition_subalgoE9EllbEEZZNS1_14partition_implILS5_9ELb0ES3_jPlS8_PNS0_10empty_typeENS0_5tupleIJS8_S9_EEENSB_IJS8_SA_EEENS0_18inequality_wrapperIZN2at6native12_GLOBAL__N_124unique_dim_cuda_templateIdEESt5tupleIJNSF_6TensorESK_SK_EERKSK_lbbbEUlllE0_EEPmJS9_EEE10hipError_tPvRmT3_T4_T5_T6_T7_T9_mT8_P12ihipStream_tbDpT10_ENKUlT_T0_E_clISt17integral_constantIbLb1EES19_IbLb0EEEEDaS15_S16_EUlS15_E_NS1_11comp_targetILNS1_3genE2ELNS1_11target_archE906ELNS1_3gpuE6ELNS1_3repE0EEENS1_30default_config_static_selectorELNS0_4arch9wavefront6targetE1EEEvT1_
; %bb.0:
	.section	.rodata,"a",@progbits
	.p2align	6, 0x0
	.amdhsa_kernel _ZN7rocprim17ROCPRIM_400000_NS6detail17trampoline_kernelINS0_14default_configENS1_25partition_config_selectorILNS1_17partition_subalgoE9EllbEEZZNS1_14partition_implILS5_9ELb0ES3_jPlS8_PNS0_10empty_typeENS0_5tupleIJS8_S9_EEENSB_IJS8_SA_EEENS0_18inequality_wrapperIZN2at6native12_GLOBAL__N_124unique_dim_cuda_templateIdEESt5tupleIJNSF_6TensorESK_SK_EERKSK_lbbbEUlllE0_EEPmJS9_EEE10hipError_tPvRmT3_T4_T5_T6_T7_T9_mT8_P12ihipStream_tbDpT10_ENKUlT_T0_E_clISt17integral_constantIbLb1EES19_IbLb0EEEEDaS15_S16_EUlS15_E_NS1_11comp_targetILNS1_3genE2ELNS1_11target_archE906ELNS1_3gpuE6ELNS1_3repE0EEENS1_30default_config_static_selectorELNS0_4arch9wavefront6targetE1EEEvT1_
		.amdhsa_group_segment_fixed_size 0
		.amdhsa_private_segment_fixed_size 0
		.amdhsa_kernarg_size 120
		.amdhsa_user_sgpr_count 2
		.amdhsa_user_sgpr_dispatch_ptr 0
		.amdhsa_user_sgpr_queue_ptr 0
		.amdhsa_user_sgpr_kernarg_segment_ptr 1
		.amdhsa_user_sgpr_dispatch_id 0
		.amdhsa_user_sgpr_kernarg_preload_length 0
		.amdhsa_user_sgpr_kernarg_preload_offset 0
		.amdhsa_user_sgpr_private_segment_size 0
		.amdhsa_uses_dynamic_stack 0
		.amdhsa_enable_private_segment 0
		.amdhsa_system_sgpr_workgroup_id_x 1
		.amdhsa_system_sgpr_workgroup_id_y 0
		.amdhsa_system_sgpr_workgroup_id_z 0
		.amdhsa_system_sgpr_workgroup_info 0
		.amdhsa_system_vgpr_workitem_id 0
		.amdhsa_next_free_vgpr 1
		.amdhsa_next_free_sgpr 0
		.amdhsa_accum_offset 4
		.amdhsa_reserve_vcc 0
		.amdhsa_float_round_mode_32 0
		.amdhsa_float_round_mode_16_64 0
		.amdhsa_float_denorm_mode_32 3
		.amdhsa_float_denorm_mode_16_64 3
		.amdhsa_dx10_clamp 1
		.amdhsa_ieee_mode 1
		.amdhsa_fp16_overflow 0
		.amdhsa_tg_split 0
		.amdhsa_exception_fp_ieee_invalid_op 0
		.amdhsa_exception_fp_denorm_src 0
		.amdhsa_exception_fp_ieee_div_zero 0
		.amdhsa_exception_fp_ieee_overflow 0
		.amdhsa_exception_fp_ieee_underflow 0
		.amdhsa_exception_fp_ieee_inexact 0
		.amdhsa_exception_int_div_zero 0
	.end_amdhsa_kernel
	.section	.text._ZN7rocprim17ROCPRIM_400000_NS6detail17trampoline_kernelINS0_14default_configENS1_25partition_config_selectorILNS1_17partition_subalgoE9EllbEEZZNS1_14partition_implILS5_9ELb0ES3_jPlS8_PNS0_10empty_typeENS0_5tupleIJS8_S9_EEENSB_IJS8_SA_EEENS0_18inequality_wrapperIZN2at6native12_GLOBAL__N_124unique_dim_cuda_templateIdEESt5tupleIJNSF_6TensorESK_SK_EERKSK_lbbbEUlllE0_EEPmJS9_EEE10hipError_tPvRmT3_T4_T5_T6_T7_T9_mT8_P12ihipStream_tbDpT10_ENKUlT_T0_E_clISt17integral_constantIbLb1EES19_IbLb0EEEEDaS15_S16_EUlS15_E_NS1_11comp_targetILNS1_3genE2ELNS1_11target_archE906ELNS1_3gpuE6ELNS1_3repE0EEENS1_30default_config_static_selectorELNS0_4arch9wavefront6targetE1EEEvT1_,"axG",@progbits,_ZN7rocprim17ROCPRIM_400000_NS6detail17trampoline_kernelINS0_14default_configENS1_25partition_config_selectorILNS1_17partition_subalgoE9EllbEEZZNS1_14partition_implILS5_9ELb0ES3_jPlS8_PNS0_10empty_typeENS0_5tupleIJS8_S9_EEENSB_IJS8_SA_EEENS0_18inequality_wrapperIZN2at6native12_GLOBAL__N_124unique_dim_cuda_templateIdEESt5tupleIJNSF_6TensorESK_SK_EERKSK_lbbbEUlllE0_EEPmJS9_EEE10hipError_tPvRmT3_T4_T5_T6_T7_T9_mT8_P12ihipStream_tbDpT10_ENKUlT_T0_E_clISt17integral_constantIbLb1EES19_IbLb0EEEEDaS15_S16_EUlS15_E_NS1_11comp_targetILNS1_3genE2ELNS1_11target_archE906ELNS1_3gpuE6ELNS1_3repE0EEENS1_30default_config_static_selectorELNS0_4arch9wavefront6targetE1EEEvT1_,comdat
.Lfunc_end865:
	.size	_ZN7rocprim17ROCPRIM_400000_NS6detail17trampoline_kernelINS0_14default_configENS1_25partition_config_selectorILNS1_17partition_subalgoE9EllbEEZZNS1_14partition_implILS5_9ELb0ES3_jPlS8_PNS0_10empty_typeENS0_5tupleIJS8_S9_EEENSB_IJS8_SA_EEENS0_18inequality_wrapperIZN2at6native12_GLOBAL__N_124unique_dim_cuda_templateIdEESt5tupleIJNSF_6TensorESK_SK_EERKSK_lbbbEUlllE0_EEPmJS9_EEE10hipError_tPvRmT3_T4_T5_T6_T7_T9_mT8_P12ihipStream_tbDpT10_ENKUlT_T0_E_clISt17integral_constantIbLb1EES19_IbLb0EEEEDaS15_S16_EUlS15_E_NS1_11comp_targetILNS1_3genE2ELNS1_11target_archE906ELNS1_3gpuE6ELNS1_3repE0EEENS1_30default_config_static_selectorELNS0_4arch9wavefront6targetE1EEEvT1_, .Lfunc_end865-_ZN7rocprim17ROCPRIM_400000_NS6detail17trampoline_kernelINS0_14default_configENS1_25partition_config_selectorILNS1_17partition_subalgoE9EllbEEZZNS1_14partition_implILS5_9ELb0ES3_jPlS8_PNS0_10empty_typeENS0_5tupleIJS8_S9_EEENSB_IJS8_SA_EEENS0_18inequality_wrapperIZN2at6native12_GLOBAL__N_124unique_dim_cuda_templateIdEESt5tupleIJNSF_6TensorESK_SK_EERKSK_lbbbEUlllE0_EEPmJS9_EEE10hipError_tPvRmT3_T4_T5_T6_T7_T9_mT8_P12ihipStream_tbDpT10_ENKUlT_T0_E_clISt17integral_constantIbLb1EES19_IbLb0EEEEDaS15_S16_EUlS15_E_NS1_11comp_targetILNS1_3genE2ELNS1_11target_archE906ELNS1_3gpuE6ELNS1_3repE0EEENS1_30default_config_static_selectorELNS0_4arch9wavefront6targetE1EEEvT1_
                                        ; -- End function
	.section	.AMDGPU.csdata,"",@progbits
; Kernel info:
; codeLenInByte = 0
; NumSgprs: 6
; NumVgprs: 0
; NumAgprs: 0
; TotalNumVgprs: 0
; ScratchSize: 0
; MemoryBound: 0
; FloatMode: 240
; IeeeMode: 1
; LDSByteSize: 0 bytes/workgroup (compile time only)
; SGPRBlocks: 0
; VGPRBlocks: 0
; NumSGPRsForWavesPerEU: 6
; NumVGPRsForWavesPerEU: 1
; AccumOffset: 4
; Occupancy: 8
; WaveLimiterHint : 0
; COMPUTE_PGM_RSRC2:SCRATCH_EN: 0
; COMPUTE_PGM_RSRC2:USER_SGPR: 2
; COMPUTE_PGM_RSRC2:TRAP_HANDLER: 0
; COMPUTE_PGM_RSRC2:TGID_X_EN: 1
; COMPUTE_PGM_RSRC2:TGID_Y_EN: 0
; COMPUTE_PGM_RSRC2:TGID_Z_EN: 0
; COMPUTE_PGM_RSRC2:TIDIG_COMP_CNT: 0
; COMPUTE_PGM_RSRC3_GFX90A:ACCUM_OFFSET: 0
; COMPUTE_PGM_RSRC3_GFX90A:TG_SPLIT: 0
	.section	.text._ZN7rocprim17ROCPRIM_400000_NS6detail17trampoline_kernelINS0_14default_configENS1_25partition_config_selectorILNS1_17partition_subalgoE9EllbEEZZNS1_14partition_implILS5_9ELb0ES3_jPlS8_PNS0_10empty_typeENS0_5tupleIJS8_S9_EEENSB_IJS8_SA_EEENS0_18inequality_wrapperIZN2at6native12_GLOBAL__N_124unique_dim_cuda_templateIdEESt5tupleIJNSF_6TensorESK_SK_EERKSK_lbbbEUlllE0_EEPmJS9_EEE10hipError_tPvRmT3_T4_T5_T6_T7_T9_mT8_P12ihipStream_tbDpT10_ENKUlT_T0_E_clISt17integral_constantIbLb1EES19_IbLb0EEEEDaS15_S16_EUlS15_E_NS1_11comp_targetILNS1_3genE10ELNS1_11target_archE1200ELNS1_3gpuE4ELNS1_3repE0EEENS1_30default_config_static_selectorELNS0_4arch9wavefront6targetE1EEEvT1_,"axG",@progbits,_ZN7rocprim17ROCPRIM_400000_NS6detail17trampoline_kernelINS0_14default_configENS1_25partition_config_selectorILNS1_17partition_subalgoE9EllbEEZZNS1_14partition_implILS5_9ELb0ES3_jPlS8_PNS0_10empty_typeENS0_5tupleIJS8_S9_EEENSB_IJS8_SA_EEENS0_18inequality_wrapperIZN2at6native12_GLOBAL__N_124unique_dim_cuda_templateIdEESt5tupleIJNSF_6TensorESK_SK_EERKSK_lbbbEUlllE0_EEPmJS9_EEE10hipError_tPvRmT3_T4_T5_T6_T7_T9_mT8_P12ihipStream_tbDpT10_ENKUlT_T0_E_clISt17integral_constantIbLb1EES19_IbLb0EEEEDaS15_S16_EUlS15_E_NS1_11comp_targetILNS1_3genE10ELNS1_11target_archE1200ELNS1_3gpuE4ELNS1_3repE0EEENS1_30default_config_static_selectorELNS0_4arch9wavefront6targetE1EEEvT1_,comdat
	.globl	_ZN7rocprim17ROCPRIM_400000_NS6detail17trampoline_kernelINS0_14default_configENS1_25partition_config_selectorILNS1_17partition_subalgoE9EllbEEZZNS1_14partition_implILS5_9ELb0ES3_jPlS8_PNS0_10empty_typeENS0_5tupleIJS8_S9_EEENSB_IJS8_SA_EEENS0_18inequality_wrapperIZN2at6native12_GLOBAL__N_124unique_dim_cuda_templateIdEESt5tupleIJNSF_6TensorESK_SK_EERKSK_lbbbEUlllE0_EEPmJS9_EEE10hipError_tPvRmT3_T4_T5_T6_T7_T9_mT8_P12ihipStream_tbDpT10_ENKUlT_T0_E_clISt17integral_constantIbLb1EES19_IbLb0EEEEDaS15_S16_EUlS15_E_NS1_11comp_targetILNS1_3genE10ELNS1_11target_archE1200ELNS1_3gpuE4ELNS1_3repE0EEENS1_30default_config_static_selectorELNS0_4arch9wavefront6targetE1EEEvT1_ ; -- Begin function _ZN7rocprim17ROCPRIM_400000_NS6detail17trampoline_kernelINS0_14default_configENS1_25partition_config_selectorILNS1_17partition_subalgoE9EllbEEZZNS1_14partition_implILS5_9ELb0ES3_jPlS8_PNS0_10empty_typeENS0_5tupleIJS8_S9_EEENSB_IJS8_SA_EEENS0_18inequality_wrapperIZN2at6native12_GLOBAL__N_124unique_dim_cuda_templateIdEESt5tupleIJNSF_6TensorESK_SK_EERKSK_lbbbEUlllE0_EEPmJS9_EEE10hipError_tPvRmT3_T4_T5_T6_T7_T9_mT8_P12ihipStream_tbDpT10_ENKUlT_T0_E_clISt17integral_constantIbLb1EES19_IbLb0EEEEDaS15_S16_EUlS15_E_NS1_11comp_targetILNS1_3genE10ELNS1_11target_archE1200ELNS1_3gpuE4ELNS1_3repE0EEENS1_30default_config_static_selectorELNS0_4arch9wavefront6targetE1EEEvT1_
	.p2align	8
	.type	_ZN7rocprim17ROCPRIM_400000_NS6detail17trampoline_kernelINS0_14default_configENS1_25partition_config_selectorILNS1_17partition_subalgoE9EllbEEZZNS1_14partition_implILS5_9ELb0ES3_jPlS8_PNS0_10empty_typeENS0_5tupleIJS8_S9_EEENSB_IJS8_SA_EEENS0_18inequality_wrapperIZN2at6native12_GLOBAL__N_124unique_dim_cuda_templateIdEESt5tupleIJNSF_6TensorESK_SK_EERKSK_lbbbEUlllE0_EEPmJS9_EEE10hipError_tPvRmT3_T4_T5_T6_T7_T9_mT8_P12ihipStream_tbDpT10_ENKUlT_T0_E_clISt17integral_constantIbLb1EES19_IbLb0EEEEDaS15_S16_EUlS15_E_NS1_11comp_targetILNS1_3genE10ELNS1_11target_archE1200ELNS1_3gpuE4ELNS1_3repE0EEENS1_30default_config_static_selectorELNS0_4arch9wavefront6targetE1EEEvT1_,@function
_ZN7rocprim17ROCPRIM_400000_NS6detail17trampoline_kernelINS0_14default_configENS1_25partition_config_selectorILNS1_17partition_subalgoE9EllbEEZZNS1_14partition_implILS5_9ELb0ES3_jPlS8_PNS0_10empty_typeENS0_5tupleIJS8_S9_EEENSB_IJS8_SA_EEENS0_18inequality_wrapperIZN2at6native12_GLOBAL__N_124unique_dim_cuda_templateIdEESt5tupleIJNSF_6TensorESK_SK_EERKSK_lbbbEUlllE0_EEPmJS9_EEE10hipError_tPvRmT3_T4_T5_T6_T7_T9_mT8_P12ihipStream_tbDpT10_ENKUlT_T0_E_clISt17integral_constantIbLb1EES19_IbLb0EEEEDaS15_S16_EUlS15_E_NS1_11comp_targetILNS1_3genE10ELNS1_11target_archE1200ELNS1_3gpuE4ELNS1_3repE0EEENS1_30default_config_static_selectorELNS0_4arch9wavefront6targetE1EEEvT1_: ; @_ZN7rocprim17ROCPRIM_400000_NS6detail17trampoline_kernelINS0_14default_configENS1_25partition_config_selectorILNS1_17partition_subalgoE9EllbEEZZNS1_14partition_implILS5_9ELb0ES3_jPlS8_PNS0_10empty_typeENS0_5tupleIJS8_S9_EEENSB_IJS8_SA_EEENS0_18inequality_wrapperIZN2at6native12_GLOBAL__N_124unique_dim_cuda_templateIdEESt5tupleIJNSF_6TensorESK_SK_EERKSK_lbbbEUlllE0_EEPmJS9_EEE10hipError_tPvRmT3_T4_T5_T6_T7_T9_mT8_P12ihipStream_tbDpT10_ENKUlT_T0_E_clISt17integral_constantIbLb1EES19_IbLb0EEEEDaS15_S16_EUlS15_E_NS1_11comp_targetILNS1_3genE10ELNS1_11target_archE1200ELNS1_3gpuE4ELNS1_3repE0EEENS1_30default_config_static_selectorELNS0_4arch9wavefront6targetE1EEEvT1_
; %bb.0:
	.section	.rodata,"a",@progbits
	.p2align	6, 0x0
	.amdhsa_kernel _ZN7rocprim17ROCPRIM_400000_NS6detail17trampoline_kernelINS0_14default_configENS1_25partition_config_selectorILNS1_17partition_subalgoE9EllbEEZZNS1_14partition_implILS5_9ELb0ES3_jPlS8_PNS0_10empty_typeENS0_5tupleIJS8_S9_EEENSB_IJS8_SA_EEENS0_18inequality_wrapperIZN2at6native12_GLOBAL__N_124unique_dim_cuda_templateIdEESt5tupleIJNSF_6TensorESK_SK_EERKSK_lbbbEUlllE0_EEPmJS9_EEE10hipError_tPvRmT3_T4_T5_T6_T7_T9_mT8_P12ihipStream_tbDpT10_ENKUlT_T0_E_clISt17integral_constantIbLb1EES19_IbLb0EEEEDaS15_S16_EUlS15_E_NS1_11comp_targetILNS1_3genE10ELNS1_11target_archE1200ELNS1_3gpuE4ELNS1_3repE0EEENS1_30default_config_static_selectorELNS0_4arch9wavefront6targetE1EEEvT1_
		.amdhsa_group_segment_fixed_size 0
		.amdhsa_private_segment_fixed_size 0
		.amdhsa_kernarg_size 120
		.amdhsa_user_sgpr_count 2
		.amdhsa_user_sgpr_dispatch_ptr 0
		.amdhsa_user_sgpr_queue_ptr 0
		.amdhsa_user_sgpr_kernarg_segment_ptr 1
		.amdhsa_user_sgpr_dispatch_id 0
		.amdhsa_user_sgpr_kernarg_preload_length 0
		.amdhsa_user_sgpr_kernarg_preload_offset 0
		.amdhsa_user_sgpr_private_segment_size 0
		.amdhsa_uses_dynamic_stack 0
		.amdhsa_enable_private_segment 0
		.amdhsa_system_sgpr_workgroup_id_x 1
		.amdhsa_system_sgpr_workgroup_id_y 0
		.amdhsa_system_sgpr_workgroup_id_z 0
		.amdhsa_system_sgpr_workgroup_info 0
		.amdhsa_system_vgpr_workitem_id 0
		.amdhsa_next_free_vgpr 1
		.amdhsa_next_free_sgpr 0
		.amdhsa_accum_offset 4
		.amdhsa_reserve_vcc 0
		.amdhsa_float_round_mode_32 0
		.amdhsa_float_round_mode_16_64 0
		.amdhsa_float_denorm_mode_32 3
		.amdhsa_float_denorm_mode_16_64 3
		.amdhsa_dx10_clamp 1
		.amdhsa_ieee_mode 1
		.amdhsa_fp16_overflow 0
		.amdhsa_tg_split 0
		.amdhsa_exception_fp_ieee_invalid_op 0
		.amdhsa_exception_fp_denorm_src 0
		.amdhsa_exception_fp_ieee_div_zero 0
		.amdhsa_exception_fp_ieee_overflow 0
		.amdhsa_exception_fp_ieee_underflow 0
		.amdhsa_exception_fp_ieee_inexact 0
		.amdhsa_exception_int_div_zero 0
	.end_amdhsa_kernel
	.section	.text._ZN7rocprim17ROCPRIM_400000_NS6detail17trampoline_kernelINS0_14default_configENS1_25partition_config_selectorILNS1_17partition_subalgoE9EllbEEZZNS1_14partition_implILS5_9ELb0ES3_jPlS8_PNS0_10empty_typeENS0_5tupleIJS8_S9_EEENSB_IJS8_SA_EEENS0_18inequality_wrapperIZN2at6native12_GLOBAL__N_124unique_dim_cuda_templateIdEESt5tupleIJNSF_6TensorESK_SK_EERKSK_lbbbEUlllE0_EEPmJS9_EEE10hipError_tPvRmT3_T4_T5_T6_T7_T9_mT8_P12ihipStream_tbDpT10_ENKUlT_T0_E_clISt17integral_constantIbLb1EES19_IbLb0EEEEDaS15_S16_EUlS15_E_NS1_11comp_targetILNS1_3genE10ELNS1_11target_archE1200ELNS1_3gpuE4ELNS1_3repE0EEENS1_30default_config_static_selectorELNS0_4arch9wavefront6targetE1EEEvT1_,"axG",@progbits,_ZN7rocprim17ROCPRIM_400000_NS6detail17trampoline_kernelINS0_14default_configENS1_25partition_config_selectorILNS1_17partition_subalgoE9EllbEEZZNS1_14partition_implILS5_9ELb0ES3_jPlS8_PNS0_10empty_typeENS0_5tupleIJS8_S9_EEENSB_IJS8_SA_EEENS0_18inequality_wrapperIZN2at6native12_GLOBAL__N_124unique_dim_cuda_templateIdEESt5tupleIJNSF_6TensorESK_SK_EERKSK_lbbbEUlllE0_EEPmJS9_EEE10hipError_tPvRmT3_T4_T5_T6_T7_T9_mT8_P12ihipStream_tbDpT10_ENKUlT_T0_E_clISt17integral_constantIbLb1EES19_IbLb0EEEEDaS15_S16_EUlS15_E_NS1_11comp_targetILNS1_3genE10ELNS1_11target_archE1200ELNS1_3gpuE4ELNS1_3repE0EEENS1_30default_config_static_selectorELNS0_4arch9wavefront6targetE1EEEvT1_,comdat
.Lfunc_end866:
	.size	_ZN7rocprim17ROCPRIM_400000_NS6detail17trampoline_kernelINS0_14default_configENS1_25partition_config_selectorILNS1_17partition_subalgoE9EllbEEZZNS1_14partition_implILS5_9ELb0ES3_jPlS8_PNS0_10empty_typeENS0_5tupleIJS8_S9_EEENSB_IJS8_SA_EEENS0_18inequality_wrapperIZN2at6native12_GLOBAL__N_124unique_dim_cuda_templateIdEESt5tupleIJNSF_6TensorESK_SK_EERKSK_lbbbEUlllE0_EEPmJS9_EEE10hipError_tPvRmT3_T4_T5_T6_T7_T9_mT8_P12ihipStream_tbDpT10_ENKUlT_T0_E_clISt17integral_constantIbLb1EES19_IbLb0EEEEDaS15_S16_EUlS15_E_NS1_11comp_targetILNS1_3genE10ELNS1_11target_archE1200ELNS1_3gpuE4ELNS1_3repE0EEENS1_30default_config_static_selectorELNS0_4arch9wavefront6targetE1EEEvT1_, .Lfunc_end866-_ZN7rocprim17ROCPRIM_400000_NS6detail17trampoline_kernelINS0_14default_configENS1_25partition_config_selectorILNS1_17partition_subalgoE9EllbEEZZNS1_14partition_implILS5_9ELb0ES3_jPlS8_PNS0_10empty_typeENS0_5tupleIJS8_S9_EEENSB_IJS8_SA_EEENS0_18inequality_wrapperIZN2at6native12_GLOBAL__N_124unique_dim_cuda_templateIdEESt5tupleIJNSF_6TensorESK_SK_EERKSK_lbbbEUlllE0_EEPmJS9_EEE10hipError_tPvRmT3_T4_T5_T6_T7_T9_mT8_P12ihipStream_tbDpT10_ENKUlT_T0_E_clISt17integral_constantIbLb1EES19_IbLb0EEEEDaS15_S16_EUlS15_E_NS1_11comp_targetILNS1_3genE10ELNS1_11target_archE1200ELNS1_3gpuE4ELNS1_3repE0EEENS1_30default_config_static_selectorELNS0_4arch9wavefront6targetE1EEEvT1_
                                        ; -- End function
	.section	.AMDGPU.csdata,"",@progbits
; Kernel info:
; codeLenInByte = 0
; NumSgprs: 6
; NumVgprs: 0
; NumAgprs: 0
; TotalNumVgprs: 0
; ScratchSize: 0
; MemoryBound: 0
; FloatMode: 240
; IeeeMode: 1
; LDSByteSize: 0 bytes/workgroup (compile time only)
; SGPRBlocks: 0
; VGPRBlocks: 0
; NumSGPRsForWavesPerEU: 6
; NumVGPRsForWavesPerEU: 1
; AccumOffset: 4
; Occupancy: 8
; WaveLimiterHint : 0
; COMPUTE_PGM_RSRC2:SCRATCH_EN: 0
; COMPUTE_PGM_RSRC2:USER_SGPR: 2
; COMPUTE_PGM_RSRC2:TRAP_HANDLER: 0
; COMPUTE_PGM_RSRC2:TGID_X_EN: 1
; COMPUTE_PGM_RSRC2:TGID_Y_EN: 0
; COMPUTE_PGM_RSRC2:TGID_Z_EN: 0
; COMPUTE_PGM_RSRC2:TIDIG_COMP_CNT: 0
; COMPUTE_PGM_RSRC3_GFX90A:ACCUM_OFFSET: 0
; COMPUTE_PGM_RSRC3_GFX90A:TG_SPLIT: 0
	.section	.text._ZN7rocprim17ROCPRIM_400000_NS6detail17trampoline_kernelINS0_14default_configENS1_25partition_config_selectorILNS1_17partition_subalgoE9EllbEEZZNS1_14partition_implILS5_9ELb0ES3_jPlS8_PNS0_10empty_typeENS0_5tupleIJS8_S9_EEENSB_IJS8_SA_EEENS0_18inequality_wrapperIZN2at6native12_GLOBAL__N_124unique_dim_cuda_templateIdEESt5tupleIJNSF_6TensorESK_SK_EERKSK_lbbbEUlllE0_EEPmJS9_EEE10hipError_tPvRmT3_T4_T5_T6_T7_T9_mT8_P12ihipStream_tbDpT10_ENKUlT_T0_E_clISt17integral_constantIbLb1EES19_IbLb0EEEEDaS15_S16_EUlS15_E_NS1_11comp_targetILNS1_3genE9ELNS1_11target_archE1100ELNS1_3gpuE3ELNS1_3repE0EEENS1_30default_config_static_selectorELNS0_4arch9wavefront6targetE1EEEvT1_,"axG",@progbits,_ZN7rocprim17ROCPRIM_400000_NS6detail17trampoline_kernelINS0_14default_configENS1_25partition_config_selectorILNS1_17partition_subalgoE9EllbEEZZNS1_14partition_implILS5_9ELb0ES3_jPlS8_PNS0_10empty_typeENS0_5tupleIJS8_S9_EEENSB_IJS8_SA_EEENS0_18inequality_wrapperIZN2at6native12_GLOBAL__N_124unique_dim_cuda_templateIdEESt5tupleIJNSF_6TensorESK_SK_EERKSK_lbbbEUlllE0_EEPmJS9_EEE10hipError_tPvRmT3_T4_T5_T6_T7_T9_mT8_P12ihipStream_tbDpT10_ENKUlT_T0_E_clISt17integral_constantIbLb1EES19_IbLb0EEEEDaS15_S16_EUlS15_E_NS1_11comp_targetILNS1_3genE9ELNS1_11target_archE1100ELNS1_3gpuE3ELNS1_3repE0EEENS1_30default_config_static_selectorELNS0_4arch9wavefront6targetE1EEEvT1_,comdat
	.globl	_ZN7rocprim17ROCPRIM_400000_NS6detail17trampoline_kernelINS0_14default_configENS1_25partition_config_selectorILNS1_17partition_subalgoE9EllbEEZZNS1_14partition_implILS5_9ELb0ES3_jPlS8_PNS0_10empty_typeENS0_5tupleIJS8_S9_EEENSB_IJS8_SA_EEENS0_18inequality_wrapperIZN2at6native12_GLOBAL__N_124unique_dim_cuda_templateIdEESt5tupleIJNSF_6TensorESK_SK_EERKSK_lbbbEUlllE0_EEPmJS9_EEE10hipError_tPvRmT3_T4_T5_T6_T7_T9_mT8_P12ihipStream_tbDpT10_ENKUlT_T0_E_clISt17integral_constantIbLb1EES19_IbLb0EEEEDaS15_S16_EUlS15_E_NS1_11comp_targetILNS1_3genE9ELNS1_11target_archE1100ELNS1_3gpuE3ELNS1_3repE0EEENS1_30default_config_static_selectorELNS0_4arch9wavefront6targetE1EEEvT1_ ; -- Begin function _ZN7rocprim17ROCPRIM_400000_NS6detail17trampoline_kernelINS0_14default_configENS1_25partition_config_selectorILNS1_17partition_subalgoE9EllbEEZZNS1_14partition_implILS5_9ELb0ES3_jPlS8_PNS0_10empty_typeENS0_5tupleIJS8_S9_EEENSB_IJS8_SA_EEENS0_18inequality_wrapperIZN2at6native12_GLOBAL__N_124unique_dim_cuda_templateIdEESt5tupleIJNSF_6TensorESK_SK_EERKSK_lbbbEUlllE0_EEPmJS9_EEE10hipError_tPvRmT3_T4_T5_T6_T7_T9_mT8_P12ihipStream_tbDpT10_ENKUlT_T0_E_clISt17integral_constantIbLb1EES19_IbLb0EEEEDaS15_S16_EUlS15_E_NS1_11comp_targetILNS1_3genE9ELNS1_11target_archE1100ELNS1_3gpuE3ELNS1_3repE0EEENS1_30default_config_static_selectorELNS0_4arch9wavefront6targetE1EEEvT1_
	.p2align	8
	.type	_ZN7rocprim17ROCPRIM_400000_NS6detail17trampoline_kernelINS0_14default_configENS1_25partition_config_selectorILNS1_17partition_subalgoE9EllbEEZZNS1_14partition_implILS5_9ELb0ES3_jPlS8_PNS0_10empty_typeENS0_5tupleIJS8_S9_EEENSB_IJS8_SA_EEENS0_18inequality_wrapperIZN2at6native12_GLOBAL__N_124unique_dim_cuda_templateIdEESt5tupleIJNSF_6TensorESK_SK_EERKSK_lbbbEUlllE0_EEPmJS9_EEE10hipError_tPvRmT3_T4_T5_T6_T7_T9_mT8_P12ihipStream_tbDpT10_ENKUlT_T0_E_clISt17integral_constantIbLb1EES19_IbLb0EEEEDaS15_S16_EUlS15_E_NS1_11comp_targetILNS1_3genE9ELNS1_11target_archE1100ELNS1_3gpuE3ELNS1_3repE0EEENS1_30default_config_static_selectorELNS0_4arch9wavefront6targetE1EEEvT1_,@function
_ZN7rocprim17ROCPRIM_400000_NS6detail17trampoline_kernelINS0_14default_configENS1_25partition_config_selectorILNS1_17partition_subalgoE9EllbEEZZNS1_14partition_implILS5_9ELb0ES3_jPlS8_PNS0_10empty_typeENS0_5tupleIJS8_S9_EEENSB_IJS8_SA_EEENS0_18inequality_wrapperIZN2at6native12_GLOBAL__N_124unique_dim_cuda_templateIdEESt5tupleIJNSF_6TensorESK_SK_EERKSK_lbbbEUlllE0_EEPmJS9_EEE10hipError_tPvRmT3_T4_T5_T6_T7_T9_mT8_P12ihipStream_tbDpT10_ENKUlT_T0_E_clISt17integral_constantIbLb1EES19_IbLb0EEEEDaS15_S16_EUlS15_E_NS1_11comp_targetILNS1_3genE9ELNS1_11target_archE1100ELNS1_3gpuE3ELNS1_3repE0EEENS1_30default_config_static_selectorELNS0_4arch9wavefront6targetE1EEEvT1_: ; @_ZN7rocprim17ROCPRIM_400000_NS6detail17trampoline_kernelINS0_14default_configENS1_25partition_config_selectorILNS1_17partition_subalgoE9EllbEEZZNS1_14partition_implILS5_9ELb0ES3_jPlS8_PNS0_10empty_typeENS0_5tupleIJS8_S9_EEENSB_IJS8_SA_EEENS0_18inequality_wrapperIZN2at6native12_GLOBAL__N_124unique_dim_cuda_templateIdEESt5tupleIJNSF_6TensorESK_SK_EERKSK_lbbbEUlllE0_EEPmJS9_EEE10hipError_tPvRmT3_T4_T5_T6_T7_T9_mT8_P12ihipStream_tbDpT10_ENKUlT_T0_E_clISt17integral_constantIbLb1EES19_IbLb0EEEEDaS15_S16_EUlS15_E_NS1_11comp_targetILNS1_3genE9ELNS1_11target_archE1100ELNS1_3gpuE3ELNS1_3repE0EEENS1_30default_config_static_selectorELNS0_4arch9wavefront6targetE1EEEvT1_
; %bb.0:
	.section	.rodata,"a",@progbits
	.p2align	6, 0x0
	.amdhsa_kernel _ZN7rocprim17ROCPRIM_400000_NS6detail17trampoline_kernelINS0_14default_configENS1_25partition_config_selectorILNS1_17partition_subalgoE9EllbEEZZNS1_14partition_implILS5_9ELb0ES3_jPlS8_PNS0_10empty_typeENS0_5tupleIJS8_S9_EEENSB_IJS8_SA_EEENS0_18inequality_wrapperIZN2at6native12_GLOBAL__N_124unique_dim_cuda_templateIdEESt5tupleIJNSF_6TensorESK_SK_EERKSK_lbbbEUlllE0_EEPmJS9_EEE10hipError_tPvRmT3_T4_T5_T6_T7_T9_mT8_P12ihipStream_tbDpT10_ENKUlT_T0_E_clISt17integral_constantIbLb1EES19_IbLb0EEEEDaS15_S16_EUlS15_E_NS1_11comp_targetILNS1_3genE9ELNS1_11target_archE1100ELNS1_3gpuE3ELNS1_3repE0EEENS1_30default_config_static_selectorELNS0_4arch9wavefront6targetE1EEEvT1_
		.amdhsa_group_segment_fixed_size 0
		.amdhsa_private_segment_fixed_size 0
		.amdhsa_kernarg_size 120
		.amdhsa_user_sgpr_count 2
		.amdhsa_user_sgpr_dispatch_ptr 0
		.amdhsa_user_sgpr_queue_ptr 0
		.amdhsa_user_sgpr_kernarg_segment_ptr 1
		.amdhsa_user_sgpr_dispatch_id 0
		.amdhsa_user_sgpr_kernarg_preload_length 0
		.amdhsa_user_sgpr_kernarg_preload_offset 0
		.amdhsa_user_sgpr_private_segment_size 0
		.amdhsa_uses_dynamic_stack 0
		.amdhsa_enable_private_segment 0
		.amdhsa_system_sgpr_workgroup_id_x 1
		.amdhsa_system_sgpr_workgroup_id_y 0
		.amdhsa_system_sgpr_workgroup_id_z 0
		.amdhsa_system_sgpr_workgroup_info 0
		.amdhsa_system_vgpr_workitem_id 0
		.amdhsa_next_free_vgpr 1
		.amdhsa_next_free_sgpr 0
		.amdhsa_accum_offset 4
		.amdhsa_reserve_vcc 0
		.amdhsa_float_round_mode_32 0
		.amdhsa_float_round_mode_16_64 0
		.amdhsa_float_denorm_mode_32 3
		.amdhsa_float_denorm_mode_16_64 3
		.amdhsa_dx10_clamp 1
		.amdhsa_ieee_mode 1
		.amdhsa_fp16_overflow 0
		.amdhsa_tg_split 0
		.amdhsa_exception_fp_ieee_invalid_op 0
		.amdhsa_exception_fp_denorm_src 0
		.amdhsa_exception_fp_ieee_div_zero 0
		.amdhsa_exception_fp_ieee_overflow 0
		.amdhsa_exception_fp_ieee_underflow 0
		.amdhsa_exception_fp_ieee_inexact 0
		.amdhsa_exception_int_div_zero 0
	.end_amdhsa_kernel
	.section	.text._ZN7rocprim17ROCPRIM_400000_NS6detail17trampoline_kernelINS0_14default_configENS1_25partition_config_selectorILNS1_17partition_subalgoE9EllbEEZZNS1_14partition_implILS5_9ELb0ES3_jPlS8_PNS0_10empty_typeENS0_5tupleIJS8_S9_EEENSB_IJS8_SA_EEENS0_18inequality_wrapperIZN2at6native12_GLOBAL__N_124unique_dim_cuda_templateIdEESt5tupleIJNSF_6TensorESK_SK_EERKSK_lbbbEUlllE0_EEPmJS9_EEE10hipError_tPvRmT3_T4_T5_T6_T7_T9_mT8_P12ihipStream_tbDpT10_ENKUlT_T0_E_clISt17integral_constantIbLb1EES19_IbLb0EEEEDaS15_S16_EUlS15_E_NS1_11comp_targetILNS1_3genE9ELNS1_11target_archE1100ELNS1_3gpuE3ELNS1_3repE0EEENS1_30default_config_static_selectorELNS0_4arch9wavefront6targetE1EEEvT1_,"axG",@progbits,_ZN7rocprim17ROCPRIM_400000_NS6detail17trampoline_kernelINS0_14default_configENS1_25partition_config_selectorILNS1_17partition_subalgoE9EllbEEZZNS1_14partition_implILS5_9ELb0ES3_jPlS8_PNS0_10empty_typeENS0_5tupleIJS8_S9_EEENSB_IJS8_SA_EEENS0_18inequality_wrapperIZN2at6native12_GLOBAL__N_124unique_dim_cuda_templateIdEESt5tupleIJNSF_6TensorESK_SK_EERKSK_lbbbEUlllE0_EEPmJS9_EEE10hipError_tPvRmT3_T4_T5_T6_T7_T9_mT8_P12ihipStream_tbDpT10_ENKUlT_T0_E_clISt17integral_constantIbLb1EES19_IbLb0EEEEDaS15_S16_EUlS15_E_NS1_11comp_targetILNS1_3genE9ELNS1_11target_archE1100ELNS1_3gpuE3ELNS1_3repE0EEENS1_30default_config_static_selectorELNS0_4arch9wavefront6targetE1EEEvT1_,comdat
.Lfunc_end867:
	.size	_ZN7rocprim17ROCPRIM_400000_NS6detail17trampoline_kernelINS0_14default_configENS1_25partition_config_selectorILNS1_17partition_subalgoE9EllbEEZZNS1_14partition_implILS5_9ELb0ES3_jPlS8_PNS0_10empty_typeENS0_5tupleIJS8_S9_EEENSB_IJS8_SA_EEENS0_18inequality_wrapperIZN2at6native12_GLOBAL__N_124unique_dim_cuda_templateIdEESt5tupleIJNSF_6TensorESK_SK_EERKSK_lbbbEUlllE0_EEPmJS9_EEE10hipError_tPvRmT3_T4_T5_T6_T7_T9_mT8_P12ihipStream_tbDpT10_ENKUlT_T0_E_clISt17integral_constantIbLb1EES19_IbLb0EEEEDaS15_S16_EUlS15_E_NS1_11comp_targetILNS1_3genE9ELNS1_11target_archE1100ELNS1_3gpuE3ELNS1_3repE0EEENS1_30default_config_static_selectorELNS0_4arch9wavefront6targetE1EEEvT1_, .Lfunc_end867-_ZN7rocprim17ROCPRIM_400000_NS6detail17trampoline_kernelINS0_14default_configENS1_25partition_config_selectorILNS1_17partition_subalgoE9EllbEEZZNS1_14partition_implILS5_9ELb0ES3_jPlS8_PNS0_10empty_typeENS0_5tupleIJS8_S9_EEENSB_IJS8_SA_EEENS0_18inequality_wrapperIZN2at6native12_GLOBAL__N_124unique_dim_cuda_templateIdEESt5tupleIJNSF_6TensorESK_SK_EERKSK_lbbbEUlllE0_EEPmJS9_EEE10hipError_tPvRmT3_T4_T5_T6_T7_T9_mT8_P12ihipStream_tbDpT10_ENKUlT_T0_E_clISt17integral_constantIbLb1EES19_IbLb0EEEEDaS15_S16_EUlS15_E_NS1_11comp_targetILNS1_3genE9ELNS1_11target_archE1100ELNS1_3gpuE3ELNS1_3repE0EEENS1_30default_config_static_selectorELNS0_4arch9wavefront6targetE1EEEvT1_
                                        ; -- End function
	.section	.AMDGPU.csdata,"",@progbits
; Kernel info:
; codeLenInByte = 0
; NumSgprs: 6
; NumVgprs: 0
; NumAgprs: 0
; TotalNumVgprs: 0
; ScratchSize: 0
; MemoryBound: 0
; FloatMode: 240
; IeeeMode: 1
; LDSByteSize: 0 bytes/workgroup (compile time only)
; SGPRBlocks: 0
; VGPRBlocks: 0
; NumSGPRsForWavesPerEU: 6
; NumVGPRsForWavesPerEU: 1
; AccumOffset: 4
; Occupancy: 8
; WaveLimiterHint : 0
; COMPUTE_PGM_RSRC2:SCRATCH_EN: 0
; COMPUTE_PGM_RSRC2:USER_SGPR: 2
; COMPUTE_PGM_RSRC2:TRAP_HANDLER: 0
; COMPUTE_PGM_RSRC2:TGID_X_EN: 1
; COMPUTE_PGM_RSRC2:TGID_Y_EN: 0
; COMPUTE_PGM_RSRC2:TGID_Z_EN: 0
; COMPUTE_PGM_RSRC2:TIDIG_COMP_CNT: 0
; COMPUTE_PGM_RSRC3_GFX90A:ACCUM_OFFSET: 0
; COMPUTE_PGM_RSRC3_GFX90A:TG_SPLIT: 0
	.section	.text._ZN7rocprim17ROCPRIM_400000_NS6detail17trampoline_kernelINS0_14default_configENS1_25partition_config_selectorILNS1_17partition_subalgoE9EllbEEZZNS1_14partition_implILS5_9ELb0ES3_jPlS8_PNS0_10empty_typeENS0_5tupleIJS8_S9_EEENSB_IJS8_SA_EEENS0_18inequality_wrapperIZN2at6native12_GLOBAL__N_124unique_dim_cuda_templateIdEESt5tupleIJNSF_6TensorESK_SK_EERKSK_lbbbEUlllE0_EEPmJS9_EEE10hipError_tPvRmT3_T4_T5_T6_T7_T9_mT8_P12ihipStream_tbDpT10_ENKUlT_T0_E_clISt17integral_constantIbLb1EES19_IbLb0EEEEDaS15_S16_EUlS15_E_NS1_11comp_targetILNS1_3genE8ELNS1_11target_archE1030ELNS1_3gpuE2ELNS1_3repE0EEENS1_30default_config_static_selectorELNS0_4arch9wavefront6targetE1EEEvT1_,"axG",@progbits,_ZN7rocprim17ROCPRIM_400000_NS6detail17trampoline_kernelINS0_14default_configENS1_25partition_config_selectorILNS1_17partition_subalgoE9EllbEEZZNS1_14partition_implILS5_9ELb0ES3_jPlS8_PNS0_10empty_typeENS0_5tupleIJS8_S9_EEENSB_IJS8_SA_EEENS0_18inequality_wrapperIZN2at6native12_GLOBAL__N_124unique_dim_cuda_templateIdEESt5tupleIJNSF_6TensorESK_SK_EERKSK_lbbbEUlllE0_EEPmJS9_EEE10hipError_tPvRmT3_T4_T5_T6_T7_T9_mT8_P12ihipStream_tbDpT10_ENKUlT_T0_E_clISt17integral_constantIbLb1EES19_IbLb0EEEEDaS15_S16_EUlS15_E_NS1_11comp_targetILNS1_3genE8ELNS1_11target_archE1030ELNS1_3gpuE2ELNS1_3repE0EEENS1_30default_config_static_selectorELNS0_4arch9wavefront6targetE1EEEvT1_,comdat
	.globl	_ZN7rocprim17ROCPRIM_400000_NS6detail17trampoline_kernelINS0_14default_configENS1_25partition_config_selectorILNS1_17partition_subalgoE9EllbEEZZNS1_14partition_implILS5_9ELb0ES3_jPlS8_PNS0_10empty_typeENS0_5tupleIJS8_S9_EEENSB_IJS8_SA_EEENS0_18inequality_wrapperIZN2at6native12_GLOBAL__N_124unique_dim_cuda_templateIdEESt5tupleIJNSF_6TensorESK_SK_EERKSK_lbbbEUlllE0_EEPmJS9_EEE10hipError_tPvRmT3_T4_T5_T6_T7_T9_mT8_P12ihipStream_tbDpT10_ENKUlT_T0_E_clISt17integral_constantIbLb1EES19_IbLb0EEEEDaS15_S16_EUlS15_E_NS1_11comp_targetILNS1_3genE8ELNS1_11target_archE1030ELNS1_3gpuE2ELNS1_3repE0EEENS1_30default_config_static_selectorELNS0_4arch9wavefront6targetE1EEEvT1_ ; -- Begin function _ZN7rocprim17ROCPRIM_400000_NS6detail17trampoline_kernelINS0_14default_configENS1_25partition_config_selectorILNS1_17partition_subalgoE9EllbEEZZNS1_14partition_implILS5_9ELb0ES3_jPlS8_PNS0_10empty_typeENS0_5tupleIJS8_S9_EEENSB_IJS8_SA_EEENS0_18inequality_wrapperIZN2at6native12_GLOBAL__N_124unique_dim_cuda_templateIdEESt5tupleIJNSF_6TensorESK_SK_EERKSK_lbbbEUlllE0_EEPmJS9_EEE10hipError_tPvRmT3_T4_T5_T6_T7_T9_mT8_P12ihipStream_tbDpT10_ENKUlT_T0_E_clISt17integral_constantIbLb1EES19_IbLb0EEEEDaS15_S16_EUlS15_E_NS1_11comp_targetILNS1_3genE8ELNS1_11target_archE1030ELNS1_3gpuE2ELNS1_3repE0EEENS1_30default_config_static_selectorELNS0_4arch9wavefront6targetE1EEEvT1_
	.p2align	8
	.type	_ZN7rocprim17ROCPRIM_400000_NS6detail17trampoline_kernelINS0_14default_configENS1_25partition_config_selectorILNS1_17partition_subalgoE9EllbEEZZNS1_14partition_implILS5_9ELb0ES3_jPlS8_PNS0_10empty_typeENS0_5tupleIJS8_S9_EEENSB_IJS8_SA_EEENS0_18inequality_wrapperIZN2at6native12_GLOBAL__N_124unique_dim_cuda_templateIdEESt5tupleIJNSF_6TensorESK_SK_EERKSK_lbbbEUlllE0_EEPmJS9_EEE10hipError_tPvRmT3_T4_T5_T6_T7_T9_mT8_P12ihipStream_tbDpT10_ENKUlT_T0_E_clISt17integral_constantIbLb1EES19_IbLb0EEEEDaS15_S16_EUlS15_E_NS1_11comp_targetILNS1_3genE8ELNS1_11target_archE1030ELNS1_3gpuE2ELNS1_3repE0EEENS1_30default_config_static_selectorELNS0_4arch9wavefront6targetE1EEEvT1_,@function
_ZN7rocprim17ROCPRIM_400000_NS6detail17trampoline_kernelINS0_14default_configENS1_25partition_config_selectorILNS1_17partition_subalgoE9EllbEEZZNS1_14partition_implILS5_9ELb0ES3_jPlS8_PNS0_10empty_typeENS0_5tupleIJS8_S9_EEENSB_IJS8_SA_EEENS0_18inequality_wrapperIZN2at6native12_GLOBAL__N_124unique_dim_cuda_templateIdEESt5tupleIJNSF_6TensorESK_SK_EERKSK_lbbbEUlllE0_EEPmJS9_EEE10hipError_tPvRmT3_T4_T5_T6_T7_T9_mT8_P12ihipStream_tbDpT10_ENKUlT_T0_E_clISt17integral_constantIbLb1EES19_IbLb0EEEEDaS15_S16_EUlS15_E_NS1_11comp_targetILNS1_3genE8ELNS1_11target_archE1030ELNS1_3gpuE2ELNS1_3repE0EEENS1_30default_config_static_selectorELNS0_4arch9wavefront6targetE1EEEvT1_: ; @_ZN7rocprim17ROCPRIM_400000_NS6detail17trampoline_kernelINS0_14default_configENS1_25partition_config_selectorILNS1_17partition_subalgoE9EllbEEZZNS1_14partition_implILS5_9ELb0ES3_jPlS8_PNS0_10empty_typeENS0_5tupleIJS8_S9_EEENSB_IJS8_SA_EEENS0_18inequality_wrapperIZN2at6native12_GLOBAL__N_124unique_dim_cuda_templateIdEESt5tupleIJNSF_6TensorESK_SK_EERKSK_lbbbEUlllE0_EEPmJS9_EEE10hipError_tPvRmT3_T4_T5_T6_T7_T9_mT8_P12ihipStream_tbDpT10_ENKUlT_T0_E_clISt17integral_constantIbLb1EES19_IbLb0EEEEDaS15_S16_EUlS15_E_NS1_11comp_targetILNS1_3genE8ELNS1_11target_archE1030ELNS1_3gpuE2ELNS1_3repE0EEENS1_30default_config_static_selectorELNS0_4arch9wavefront6targetE1EEEvT1_
; %bb.0:
	.section	.rodata,"a",@progbits
	.p2align	6, 0x0
	.amdhsa_kernel _ZN7rocprim17ROCPRIM_400000_NS6detail17trampoline_kernelINS0_14default_configENS1_25partition_config_selectorILNS1_17partition_subalgoE9EllbEEZZNS1_14partition_implILS5_9ELb0ES3_jPlS8_PNS0_10empty_typeENS0_5tupleIJS8_S9_EEENSB_IJS8_SA_EEENS0_18inequality_wrapperIZN2at6native12_GLOBAL__N_124unique_dim_cuda_templateIdEESt5tupleIJNSF_6TensorESK_SK_EERKSK_lbbbEUlllE0_EEPmJS9_EEE10hipError_tPvRmT3_T4_T5_T6_T7_T9_mT8_P12ihipStream_tbDpT10_ENKUlT_T0_E_clISt17integral_constantIbLb1EES19_IbLb0EEEEDaS15_S16_EUlS15_E_NS1_11comp_targetILNS1_3genE8ELNS1_11target_archE1030ELNS1_3gpuE2ELNS1_3repE0EEENS1_30default_config_static_selectorELNS0_4arch9wavefront6targetE1EEEvT1_
		.amdhsa_group_segment_fixed_size 0
		.amdhsa_private_segment_fixed_size 0
		.amdhsa_kernarg_size 120
		.amdhsa_user_sgpr_count 2
		.amdhsa_user_sgpr_dispatch_ptr 0
		.amdhsa_user_sgpr_queue_ptr 0
		.amdhsa_user_sgpr_kernarg_segment_ptr 1
		.amdhsa_user_sgpr_dispatch_id 0
		.amdhsa_user_sgpr_kernarg_preload_length 0
		.amdhsa_user_sgpr_kernarg_preload_offset 0
		.amdhsa_user_sgpr_private_segment_size 0
		.amdhsa_uses_dynamic_stack 0
		.amdhsa_enable_private_segment 0
		.amdhsa_system_sgpr_workgroup_id_x 1
		.amdhsa_system_sgpr_workgroup_id_y 0
		.amdhsa_system_sgpr_workgroup_id_z 0
		.amdhsa_system_sgpr_workgroup_info 0
		.amdhsa_system_vgpr_workitem_id 0
		.amdhsa_next_free_vgpr 1
		.amdhsa_next_free_sgpr 0
		.amdhsa_accum_offset 4
		.amdhsa_reserve_vcc 0
		.amdhsa_float_round_mode_32 0
		.amdhsa_float_round_mode_16_64 0
		.amdhsa_float_denorm_mode_32 3
		.amdhsa_float_denorm_mode_16_64 3
		.amdhsa_dx10_clamp 1
		.amdhsa_ieee_mode 1
		.amdhsa_fp16_overflow 0
		.amdhsa_tg_split 0
		.amdhsa_exception_fp_ieee_invalid_op 0
		.amdhsa_exception_fp_denorm_src 0
		.amdhsa_exception_fp_ieee_div_zero 0
		.amdhsa_exception_fp_ieee_overflow 0
		.amdhsa_exception_fp_ieee_underflow 0
		.amdhsa_exception_fp_ieee_inexact 0
		.amdhsa_exception_int_div_zero 0
	.end_amdhsa_kernel
	.section	.text._ZN7rocprim17ROCPRIM_400000_NS6detail17trampoline_kernelINS0_14default_configENS1_25partition_config_selectorILNS1_17partition_subalgoE9EllbEEZZNS1_14partition_implILS5_9ELb0ES3_jPlS8_PNS0_10empty_typeENS0_5tupleIJS8_S9_EEENSB_IJS8_SA_EEENS0_18inequality_wrapperIZN2at6native12_GLOBAL__N_124unique_dim_cuda_templateIdEESt5tupleIJNSF_6TensorESK_SK_EERKSK_lbbbEUlllE0_EEPmJS9_EEE10hipError_tPvRmT3_T4_T5_T6_T7_T9_mT8_P12ihipStream_tbDpT10_ENKUlT_T0_E_clISt17integral_constantIbLb1EES19_IbLb0EEEEDaS15_S16_EUlS15_E_NS1_11comp_targetILNS1_3genE8ELNS1_11target_archE1030ELNS1_3gpuE2ELNS1_3repE0EEENS1_30default_config_static_selectorELNS0_4arch9wavefront6targetE1EEEvT1_,"axG",@progbits,_ZN7rocprim17ROCPRIM_400000_NS6detail17trampoline_kernelINS0_14default_configENS1_25partition_config_selectorILNS1_17partition_subalgoE9EllbEEZZNS1_14partition_implILS5_9ELb0ES3_jPlS8_PNS0_10empty_typeENS0_5tupleIJS8_S9_EEENSB_IJS8_SA_EEENS0_18inequality_wrapperIZN2at6native12_GLOBAL__N_124unique_dim_cuda_templateIdEESt5tupleIJNSF_6TensorESK_SK_EERKSK_lbbbEUlllE0_EEPmJS9_EEE10hipError_tPvRmT3_T4_T5_T6_T7_T9_mT8_P12ihipStream_tbDpT10_ENKUlT_T0_E_clISt17integral_constantIbLb1EES19_IbLb0EEEEDaS15_S16_EUlS15_E_NS1_11comp_targetILNS1_3genE8ELNS1_11target_archE1030ELNS1_3gpuE2ELNS1_3repE0EEENS1_30default_config_static_selectorELNS0_4arch9wavefront6targetE1EEEvT1_,comdat
.Lfunc_end868:
	.size	_ZN7rocprim17ROCPRIM_400000_NS6detail17trampoline_kernelINS0_14default_configENS1_25partition_config_selectorILNS1_17partition_subalgoE9EllbEEZZNS1_14partition_implILS5_9ELb0ES3_jPlS8_PNS0_10empty_typeENS0_5tupleIJS8_S9_EEENSB_IJS8_SA_EEENS0_18inequality_wrapperIZN2at6native12_GLOBAL__N_124unique_dim_cuda_templateIdEESt5tupleIJNSF_6TensorESK_SK_EERKSK_lbbbEUlllE0_EEPmJS9_EEE10hipError_tPvRmT3_T4_T5_T6_T7_T9_mT8_P12ihipStream_tbDpT10_ENKUlT_T0_E_clISt17integral_constantIbLb1EES19_IbLb0EEEEDaS15_S16_EUlS15_E_NS1_11comp_targetILNS1_3genE8ELNS1_11target_archE1030ELNS1_3gpuE2ELNS1_3repE0EEENS1_30default_config_static_selectorELNS0_4arch9wavefront6targetE1EEEvT1_, .Lfunc_end868-_ZN7rocprim17ROCPRIM_400000_NS6detail17trampoline_kernelINS0_14default_configENS1_25partition_config_selectorILNS1_17partition_subalgoE9EllbEEZZNS1_14partition_implILS5_9ELb0ES3_jPlS8_PNS0_10empty_typeENS0_5tupleIJS8_S9_EEENSB_IJS8_SA_EEENS0_18inequality_wrapperIZN2at6native12_GLOBAL__N_124unique_dim_cuda_templateIdEESt5tupleIJNSF_6TensorESK_SK_EERKSK_lbbbEUlllE0_EEPmJS9_EEE10hipError_tPvRmT3_T4_T5_T6_T7_T9_mT8_P12ihipStream_tbDpT10_ENKUlT_T0_E_clISt17integral_constantIbLb1EES19_IbLb0EEEEDaS15_S16_EUlS15_E_NS1_11comp_targetILNS1_3genE8ELNS1_11target_archE1030ELNS1_3gpuE2ELNS1_3repE0EEENS1_30default_config_static_selectorELNS0_4arch9wavefront6targetE1EEEvT1_
                                        ; -- End function
	.section	.AMDGPU.csdata,"",@progbits
; Kernel info:
; codeLenInByte = 0
; NumSgprs: 6
; NumVgprs: 0
; NumAgprs: 0
; TotalNumVgprs: 0
; ScratchSize: 0
; MemoryBound: 0
; FloatMode: 240
; IeeeMode: 1
; LDSByteSize: 0 bytes/workgroup (compile time only)
; SGPRBlocks: 0
; VGPRBlocks: 0
; NumSGPRsForWavesPerEU: 6
; NumVGPRsForWavesPerEU: 1
; AccumOffset: 4
; Occupancy: 8
; WaveLimiterHint : 0
; COMPUTE_PGM_RSRC2:SCRATCH_EN: 0
; COMPUTE_PGM_RSRC2:USER_SGPR: 2
; COMPUTE_PGM_RSRC2:TRAP_HANDLER: 0
; COMPUTE_PGM_RSRC2:TGID_X_EN: 1
; COMPUTE_PGM_RSRC2:TGID_Y_EN: 0
; COMPUTE_PGM_RSRC2:TGID_Z_EN: 0
; COMPUTE_PGM_RSRC2:TIDIG_COMP_CNT: 0
; COMPUTE_PGM_RSRC3_GFX90A:ACCUM_OFFSET: 0
; COMPUTE_PGM_RSRC3_GFX90A:TG_SPLIT: 0
	.section	.text._ZN7rocprim17ROCPRIM_400000_NS6detail17trampoline_kernelINS0_14default_configENS1_25partition_config_selectorILNS1_17partition_subalgoE9EllbEEZZNS1_14partition_implILS5_9ELb0ES3_jPlS8_PNS0_10empty_typeENS0_5tupleIJS8_S9_EEENSB_IJS8_SA_EEENS0_18inequality_wrapperIZN2at6native12_GLOBAL__N_124unique_dim_cuda_templateIdEESt5tupleIJNSF_6TensorESK_SK_EERKSK_lbbbEUlllE0_EEPmJS9_EEE10hipError_tPvRmT3_T4_T5_T6_T7_T9_mT8_P12ihipStream_tbDpT10_ENKUlT_T0_E_clISt17integral_constantIbLb0EES19_IbLb1EEEEDaS15_S16_EUlS15_E_NS1_11comp_targetILNS1_3genE0ELNS1_11target_archE4294967295ELNS1_3gpuE0ELNS1_3repE0EEENS1_30default_config_static_selectorELNS0_4arch9wavefront6targetE1EEEvT1_,"axG",@progbits,_ZN7rocprim17ROCPRIM_400000_NS6detail17trampoline_kernelINS0_14default_configENS1_25partition_config_selectorILNS1_17partition_subalgoE9EllbEEZZNS1_14partition_implILS5_9ELb0ES3_jPlS8_PNS0_10empty_typeENS0_5tupleIJS8_S9_EEENSB_IJS8_SA_EEENS0_18inequality_wrapperIZN2at6native12_GLOBAL__N_124unique_dim_cuda_templateIdEESt5tupleIJNSF_6TensorESK_SK_EERKSK_lbbbEUlllE0_EEPmJS9_EEE10hipError_tPvRmT3_T4_T5_T6_T7_T9_mT8_P12ihipStream_tbDpT10_ENKUlT_T0_E_clISt17integral_constantIbLb0EES19_IbLb1EEEEDaS15_S16_EUlS15_E_NS1_11comp_targetILNS1_3genE0ELNS1_11target_archE4294967295ELNS1_3gpuE0ELNS1_3repE0EEENS1_30default_config_static_selectorELNS0_4arch9wavefront6targetE1EEEvT1_,comdat
	.globl	_ZN7rocprim17ROCPRIM_400000_NS6detail17trampoline_kernelINS0_14default_configENS1_25partition_config_selectorILNS1_17partition_subalgoE9EllbEEZZNS1_14partition_implILS5_9ELb0ES3_jPlS8_PNS0_10empty_typeENS0_5tupleIJS8_S9_EEENSB_IJS8_SA_EEENS0_18inequality_wrapperIZN2at6native12_GLOBAL__N_124unique_dim_cuda_templateIdEESt5tupleIJNSF_6TensorESK_SK_EERKSK_lbbbEUlllE0_EEPmJS9_EEE10hipError_tPvRmT3_T4_T5_T6_T7_T9_mT8_P12ihipStream_tbDpT10_ENKUlT_T0_E_clISt17integral_constantIbLb0EES19_IbLb1EEEEDaS15_S16_EUlS15_E_NS1_11comp_targetILNS1_3genE0ELNS1_11target_archE4294967295ELNS1_3gpuE0ELNS1_3repE0EEENS1_30default_config_static_selectorELNS0_4arch9wavefront6targetE1EEEvT1_ ; -- Begin function _ZN7rocprim17ROCPRIM_400000_NS6detail17trampoline_kernelINS0_14default_configENS1_25partition_config_selectorILNS1_17partition_subalgoE9EllbEEZZNS1_14partition_implILS5_9ELb0ES3_jPlS8_PNS0_10empty_typeENS0_5tupleIJS8_S9_EEENSB_IJS8_SA_EEENS0_18inequality_wrapperIZN2at6native12_GLOBAL__N_124unique_dim_cuda_templateIdEESt5tupleIJNSF_6TensorESK_SK_EERKSK_lbbbEUlllE0_EEPmJS9_EEE10hipError_tPvRmT3_T4_T5_T6_T7_T9_mT8_P12ihipStream_tbDpT10_ENKUlT_T0_E_clISt17integral_constantIbLb0EES19_IbLb1EEEEDaS15_S16_EUlS15_E_NS1_11comp_targetILNS1_3genE0ELNS1_11target_archE4294967295ELNS1_3gpuE0ELNS1_3repE0EEENS1_30default_config_static_selectorELNS0_4arch9wavefront6targetE1EEEvT1_
	.p2align	8
	.type	_ZN7rocprim17ROCPRIM_400000_NS6detail17trampoline_kernelINS0_14default_configENS1_25partition_config_selectorILNS1_17partition_subalgoE9EllbEEZZNS1_14partition_implILS5_9ELb0ES3_jPlS8_PNS0_10empty_typeENS0_5tupleIJS8_S9_EEENSB_IJS8_SA_EEENS0_18inequality_wrapperIZN2at6native12_GLOBAL__N_124unique_dim_cuda_templateIdEESt5tupleIJNSF_6TensorESK_SK_EERKSK_lbbbEUlllE0_EEPmJS9_EEE10hipError_tPvRmT3_T4_T5_T6_T7_T9_mT8_P12ihipStream_tbDpT10_ENKUlT_T0_E_clISt17integral_constantIbLb0EES19_IbLb1EEEEDaS15_S16_EUlS15_E_NS1_11comp_targetILNS1_3genE0ELNS1_11target_archE4294967295ELNS1_3gpuE0ELNS1_3repE0EEENS1_30default_config_static_selectorELNS0_4arch9wavefront6targetE1EEEvT1_,@function
_ZN7rocprim17ROCPRIM_400000_NS6detail17trampoline_kernelINS0_14default_configENS1_25partition_config_selectorILNS1_17partition_subalgoE9EllbEEZZNS1_14partition_implILS5_9ELb0ES3_jPlS8_PNS0_10empty_typeENS0_5tupleIJS8_S9_EEENSB_IJS8_SA_EEENS0_18inequality_wrapperIZN2at6native12_GLOBAL__N_124unique_dim_cuda_templateIdEESt5tupleIJNSF_6TensorESK_SK_EERKSK_lbbbEUlllE0_EEPmJS9_EEE10hipError_tPvRmT3_T4_T5_T6_T7_T9_mT8_P12ihipStream_tbDpT10_ENKUlT_T0_E_clISt17integral_constantIbLb0EES19_IbLb1EEEEDaS15_S16_EUlS15_E_NS1_11comp_targetILNS1_3genE0ELNS1_11target_archE4294967295ELNS1_3gpuE0ELNS1_3repE0EEENS1_30default_config_static_selectorELNS0_4arch9wavefront6targetE1EEEvT1_: ; @_ZN7rocprim17ROCPRIM_400000_NS6detail17trampoline_kernelINS0_14default_configENS1_25partition_config_selectorILNS1_17partition_subalgoE9EllbEEZZNS1_14partition_implILS5_9ELb0ES3_jPlS8_PNS0_10empty_typeENS0_5tupleIJS8_S9_EEENSB_IJS8_SA_EEENS0_18inequality_wrapperIZN2at6native12_GLOBAL__N_124unique_dim_cuda_templateIdEESt5tupleIJNSF_6TensorESK_SK_EERKSK_lbbbEUlllE0_EEPmJS9_EEE10hipError_tPvRmT3_T4_T5_T6_T7_T9_mT8_P12ihipStream_tbDpT10_ENKUlT_T0_E_clISt17integral_constantIbLb0EES19_IbLb1EEEEDaS15_S16_EUlS15_E_NS1_11comp_targetILNS1_3genE0ELNS1_11target_archE4294967295ELNS1_3gpuE0ELNS1_3repE0EEENS1_30default_config_static_selectorELNS0_4arch9wavefront6targetE1EEEvT1_
; %bb.0:
	.section	.rodata,"a",@progbits
	.p2align	6, 0x0
	.amdhsa_kernel _ZN7rocprim17ROCPRIM_400000_NS6detail17trampoline_kernelINS0_14default_configENS1_25partition_config_selectorILNS1_17partition_subalgoE9EllbEEZZNS1_14partition_implILS5_9ELb0ES3_jPlS8_PNS0_10empty_typeENS0_5tupleIJS8_S9_EEENSB_IJS8_SA_EEENS0_18inequality_wrapperIZN2at6native12_GLOBAL__N_124unique_dim_cuda_templateIdEESt5tupleIJNSF_6TensorESK_SK_EERKSK_lbbbEUlllE0_EEPmJS9_EEE10hipError_tPvRmT3_T4_T5_T6_T7_T9_mT8_P12ihipStream_tbDpT10_ENKUlT_T0_E_clISt17integral_constantIbLb0EES19_IbLb1EEEEDaS15_S16_EUlS15_E_NS1_11comp_targetILNS1_3genE0ELNS1_11target_archE4294967295ELNS1_3gpuE0ELNS1_3repE0EEENS1_30default_config_static_selectorELNS0_4arch9wavefront6targetE1EEEvT1_
		.amdhsa_group_segment_fixed_size 0
		.amdhsa_private_segment_fixed_size 0
		.amdhsa_kernarg_size 136
		.amdhsa_user_sgpr_count 2
		.amdhsa_user_sgpr_dispatch_ptr 0
		.amdhsa_user_sgpr_queue_ptr 0
		.amdhsa_user_sgpr_kernarg_segment_ptr 1
		.amdhsa_user_sgpr_dispatch_id 0
		.amdhsa_user_sgpr_kernarg_preload_length 0
		.amdhsa_user_sgpr_kernarg_preload_offset 0
		.amdhsa_user_sgpr_private_segment_size 0
		.amdhsa_uses_dynamic_stack 0
		.amdhsa_enable_private_segment 0
		.amdhsa_system_sgpr_workgroup_id_x 1
		.amdhsa_system_sgpr_workgroup_id_y 0
		.amdhsa_system_sgpr_workgroup_id_z 0
		.amdhsa_system_sgpr_workgroup_info 0
		.amdhsa_system_vgpr_workitem_id 0
		.amdhsa_next_free_vgpr 1
		.amdhsa_next_free_sgpr 0
		.amdhsa_accum_offset 4
		.amdhsa_reserve_vcc 0
		.amdhsa_float_round_mode_32 0
		.amdhsa_float_round_mode_16_64 0
		.amdhsa_float_denorm_mode_32 3
		.amdhsa_float_denorm_mode_16_64 3
		.amdhsa_dx10_clamp 1
		.amdhsa_ieee_mode 1
		.amdhsa_fp16_overflow 0
		.amdhsa_tg_split 0
		.amdhsa_exception_fp_ieee_invalid_op 0
		.amdhsa_exception_fp_denorm_src 0
		.amdhsa_exception_fp_ieee_div_zero 0
		.amdhsa_exception_fp_ieee_overflow 0
		.amdhsa_exception_fp_ieee_underflow 0
		.amdhsa_exception_fp_ieee_inexact 0
		.amdhsa_exception_int_div_zero 0
	.end_amdhsa_kernel
	.section	.text._ZN7rocprim17ROCPRIM_400000_NS6detail17trampoline_kernelINS0_14default_configENS1_25partition_config_selectorILNS1_17partition_subalgoE9EllbEEZZNS1_14partition_implILS5_9ELb0ES3_jPlS8_PNS0_10empty_typeENS0_5tupleIJS8_S9_EEENSB_IJS8_SA_EEENS0_18inequality_wrapperIZN2at6native12_GLOBAL__N_124unique_dim_cuda_templateIdEESt5tupleIJNSF_6TensorESK_SK_EERKSK_lbbbEUlllE0_EEPmJS9_EEE10hipError_tPvRmT3_T4_T5_T6_T7_T9_mT8_P12ihipStream_tbDpT10_ENKUlT_T0_E_clISt17integral_constantIbLb0EES19_IbLb1EEEEDaS15_S16_EUlS15_E_NS1_11comp_targetILNS1_3genE0ELNS1_11target_archE4294967295ELNS1_3gpuE0ELNS1_3repE0EEENS1_30default_config_static_selectorELNS0_4arch9wavefront6targetE1EEEvT1_,"axG",@progbits,_ZN7rocprim17ROCPRIM_400000_NS6detail17trampoline_kernelINS0_14default_configENS1_25partition_config_selectorILNS1_17partition_subalgoE9EllbEEZZNS1_14partition_implILS5_9ELb0ES3_jPlS8_PNS0_10empty_typeENS0_5tupleIJS8_S9_EEENSB_IJS8_SA_EEENS0_18inequality_wrapperIZN2at6native12_GLOBAL__N_124unique_dim_cuda_templateIdEESt5tupleIJNSF_6TensorESK_SK_EERKSK_lbbbEUlllE0_EEPmJS9_EEE10hipError_tPvRmT3_T4_T5_T6_T7_T9_mT8_P12ihipStream_tbDpT10_ENKUlT_T0_E_clISt17integral_constantIbLb0EES19_IbLb1EEEEDaS15_S16_EUlS15_E_NS1_11comp_targetILNS1_3genE0ELNS1_11target_archE4294967295ELNS1_3gpuE0ELNS1_3repE0EEENS1_30default_config_static_selectorELNS0_4arch9wavefront6targetE1EEEvT1_,comdat
.Lfunc_end869:
	.size	_ZN7rocprim17ROCPRIM_400000_NS6detail17trampoline_kernelINS0_14default_configENS1_25partition_config_selectorILNS1_17partition_subalgoE9EllbEEZZNS1_14partition_implILS5_9ELb0ES3_jPlS8_PNS0_10empty_typeENS0_5tupleIJS8_S9_EEENSB_IJS8_SA_EEENS0_18inequality_wrapperIZN2at6native12_GLOBAL__N_124unique_dim_cuda_templateIdEESt5tupleIJNSF_6TensorESK_SK_EERKSK_lbbbEUlllE0_EEPmJS9_EEE10hipError_tPvRmT3_T4_T5_T6_T7_T9_mT8_P12ihipStream_tbDpT10_ENKUlT_T0_E_clISt17integral_constantIbLb0EES19_IbLb1EEEEDaS15_S16_EUlS15_E_NS1_11comp_targetILNS1_3genE0ELNS1_11target_archE4294967295ELNS1_3gpuE0ELNS1_3repE0EEENS1_30default_config_static_selectorELNS0_4arch9wavefront6targetE1EEEvT1_, .Lfunc_end869-_ZN7rocprim17ROCPRIM_400000_NS6detail17trampoline_kernelINS0_14default_configENS1_25partition_config_selectorILNS1_17partition_subalgoE9EllbEEZZNS1_14partition_implILS5_9ELb0ES3_jPlS8_PNS0_10empty_typeENS0_5tupleIJS8_S9_EEENSB_IJS8_SA_EEENS0_18inequality_wrapperIZN2at6native12_GLOBAL__N_124unique_dim_cuda_templateIdEESt5tupleIJNSF_6TensorESK_SK_EERKSK_lbbbEUlllE0_EEPmJS9_EEE10hipError_tPvRmT3_T4_T5_T6_T7_T9_mT8_P12ihipStream_tbDpT10_ENKUlT_T0_E_clISt17integral_constantIbLb0EES19_IbLb1EEEEDaS15_S16_EUlS15_E_NS1_11comp_targetILNS1_3genE0ELNS1_11target_archE4294967295ELNS1_3gpuE0ELNS1_3repE0EEENS1_30default_config_static_selectorELNS0_4arch9wavefront6targetE1EEEvT1_
                                        ; -- End function
	.section	.AMDGPU.csdata,"",@progbits
; Kernel info:
; codeLenInByte = 0
; NumSgprs: 6
; NumVgprs: 0
; NumAgprs: 0
; TotalNumVgprs: 0
; ScratchSize: 0
; MemoryBound: 0
; FloatMode: 240
; IeeeMode: 1
; LDSByteSize: 0 bytes/workgroup (compile time only)
; SGPRBlocks: 0
; VGPRBlocks: 0
; NumSGPRsForWavesPerEU: 6
; NumVGPRsForWavesPerEU: 1
; AccumOffset: 4
; Occupancy: 8
; WaveLimiterHint : 0
; COMPUTE_PGM_RSRC2:SCRATCH_EN: 0
; COMPUTE_PGM_RSRC2:USER_SGPR: 2
; COMPUTE_PGM_RSRC2:TRAP_HANDLER: 0
; COMPUTE_PGM_RSRC2:TGID_X_EN: 1
; COMPUTE_PGM_RSRC2:TGID_Y_EN: 0
; COMPUTE_PGM_RSRC2:TGID_Z_EN: 0
; COMPUTE_PGM_RSRC2:TIDIG_COMP_CNT: 0
; COMPUTE_PGM_RSRC3_GFX90A:ACCUM_OFFSET: 0
; COMPUTE_PGM_RSRC3_GFX90A:TG_SPLIT: 0
	.section	.text._ZN7rocprim17ROCPRIM_400000_NS6detail17trampoline_kernelINS0_14default_configENS1_25partition_config_selectorILNS1_17partition_subalgoE9EllbEEZZNS1_14partition_implILS5_9ELb0ES3_jPlS8_PNS0_10empty_typeENS0_5tupleIJS8_S9_EEENSB_IJS8_SA_EEENS0_18inequality_wrapperIZN2at6native12_GLOBAL__N_124unique_dim_cuda_templateIdEESt5tupleIJNSF_6TensorESK_SK_EERKSK_lbbbEUlllE0_EEPmJS9_EEE10hipError_tPvRmT3_T4_T5_T6_T7_T9_mT8_P12ihipStream_tbDpT10_ENKUlT_T0_E_clISt17integral_constantIbLb0EES19_IbLb1EEEEDaS15_S16_EUlS15_E_NS1_11comp_targetILNS1_3genE5ELNS1_11target_archE942ELNS1_3gpuE9ELNS1_3repE0EEENS1_30default_config_static_selectorELNS0_4arch9wavefront6targetE1EEEvT1_,"axG",@progbits,_ZN7rocprim17ROCPRIM_400000_NS6detail17trampoline_kernelINS0_14default_configENS1_25partition_config_selectorILNS1_17partition_subalgoE9EllbEEZZNS1_14partition_implILS5_9ELb0ES3_jPlS8_PNS0_10empty_typeENS0_5tupleIJS8_S9_EEENSB_IJS8_SA_EEENS0_18inequality_wrapperIZN2at6native12_GLOBAL__N_124unique_dim_cuda_templateIdEESt5tupleIJNSF_6TensorESK_SK_EERKSK_lbbbEUlllE0_EEPmJS9_EEE10hipError_tPvRmT3_T4_T5_T6_T7_T9_mT8_P12ihipStream_tbDpT10_ENKUlT_T0_E_clISt17integral_constantIbLb0EES19_IbLb1EEEEDaS15_S16_EUlS15_E_NS1_11comp_targetILNS1_3genE5ELNS1_11target_archE942ELNS1_3gpuE9ELNS1_3repE0EEENS1_30default_config_static_selectorELNS0_4arch9wavefront6targetE1EEEvT1_,comdat
	.globl	_ZN7rocprim17ROCPRIM_400000_NS6detail17trampoline_kernelINS0_14default_configENS1_25partition_config_selectorILNS1_17partition_subalgoE9EllbEEZZNS1_14partition_implILS5_9ELb0ES3_jPlS8_PNS0_10empty_typeENS0_5tupleIJS8_S9_EEENSB_IJS8_SA_EEENS0_18inequality_wrapperIZN2at6native12_GLOBAL__N_124unique_dim_cuda_templateIdEESt5tupleIJNSF_6TensorESK_SK_EERKSK_lbbbEUlllE0_EEPmJS9_EEE10hipError_tPvRmT3_T4_T5_T6_T7_T9_mT8_P12ihipStream_tbDpT10_ENKUlT_T0_E_clISt17integral_constantIbLb0EES19_IbLb1EEEEDaS15_S16_EUlS15_E_NS1_11comp_targetILNS1_3genE5ELNS1_11target_archE942ELNS1_3gpuE9ELNS1_3repE0EEENS1_30default_config_static_selectorELNS0_4arch9wavefront6targetE1EEEvT1_ ; -- Begin function _ZN7rocprim17ROCPRIM_400000_NS6detail17trampoline_kernelINS0_14default_configENS1_25partition_config_selectorILNS1_17partition_subalgoE9EllbEEZZNS1_14partition_implILS5_9ELb0ES3_jPlS8_PNS0_10empty_typeENS0_5tupleIJS8_S9_EEENSB_IJS8_SA_EEENS0_18inequality_wrapperIZN2at6native12_GLOBAL__N_124unique_dim_cuda_templateIdEESt5tupleIJNSF_6TensorESK_SK_EERKSK_lbbbEUlllE0_EEPmJS9_EEE10hipError_tPvRmT3_T4_T5_T6_T7_T9_mT8_P12ihipStream_tbDpT10_ENKUlT_T0_E_clISt17integral_constantIbLb0EES19_IbLb1EEEEDaS15_S16_EUlS15_E_NS1_11comp_targetILNS1_3genE5ELNS1_11target_archE942ELNS1_3gpuE9ELNS1_3repE0EEENS1_30default_config_static_selectorELNS0_4arch9wavefront6targetE1EEEvT1_
	.p2align	8
	.type	_ZN7rocprim17ROCPRIM_400000_NS6detail17trampoline_kernelINS0_14default_configENS1_25partition_config_selectorILNS1_17partition_subalgoE9EllbEEZZNS1_14partition_implILS5_9ELb0ES3_jPlS8_PNS0_10empty_typeENS0_5tupleIJS8_S9_EEENSB_IJS8_SA_EEENS0_18inequality_wrapperIZN2at6native12_GLOBAL__N_124unique_dim_cuda_templateIdEESt5tupleIJNSF_6TensorESK_SK_EERKSK_lbbbEUlllE0_EEPmJS9_EEE10hipError_tPvRmT3_T4_T5_T6_T7_T9_mT8_P12ihipStream_tbDpT10_ENKUlT_T0_E_clISt17integral_constantIbLb0EES19_IbLb1EEEEDaS15_S16_EUlS15_E_NS1_11comp_targetILNS1_3genE5ELNS1_11target_archE942ELNS1_3gpuE9ELNS1_3repE0EEENS1_30default_config_static_selectorELNS0_4arch9wavefront6targetE1EEEvT1_,@function
_ZN7rocprim17ROCPRIM_400000_NS6detail17trampoline_kernelINS0_14default_configENS1_25partition_config_selectorILNS1_17partition_subalgoE9EllbEEZZNS1_14partition_implILS5_9ELb0ES3_jPlS8_PNS0_10empty_typeENS0_5tupleIJS8_S9_EEENSB_IJS8_SA_EEENS0_18inequality_wrapperIZN2at6native12_GLOBAL__N_124unique_dim_cuda_templateIdEESt5tupleIJNSF_6TensorESK_SK_EERKSK_lbbbEUlllE0_EEPmJS9_EEE10hipError_tPvRmT3_T4_T5_T6_T7_T9_mT8_P12ihipStream_tbDpT10_ENKUlT_T0_E_clISt17integral_constantIbLb0EES19_IbLb1EEEEDaS15_S16_EUlS15_E_NS1_11comp_targetILNS1_3genE5ELNS1_11target_archE942ELNS1_3gpuE9ELNS1_3repE0EEENS1_30default_config_static_selectorELNS0_4arch9wavefront6targetE1EEEvT1_: ; @_ZN7rocprim17ROCPRIM_400000_NS6detail17trampoline_kernelINS0_14default_configENS1_25partition_config_selectorILNS1_17partition_subalgoE9EllbEEZZNS1_14partition_implILS5_9ELb0ES3_jPlS8_PNS0_10empty_typeENS0_5tupleIJS8_S9_EEENSB_IJS8_SA_EEENS0_18inequality_wrapperIZN2at6native12_GLOBAL__N_124unique_dim_cuda_templateIdEESt5tupleIJNSF_6TensorESK_SK_EERKSK_lbbbEUlllE0_EEPmJS9_EEE10hipError_tPvRmT3_T4_T5_T6_T7_T9_mT8_P12ihipStream_tbDpT10_ENKUlT_T0_E_clISt17integral_constantIbLb0EES19_IbLb1EEEEDaS15_S16_EUlS15_E_NS1_11comp_targetILNS1_3genE5ELNS1_11target_archE942ELNS1_3gpuE9ELNS1_3repE0EEENS1_30default_config_static_selectorELNS0_4arch9wavefront6targetE1EEEvT1_
; %bb.0:
	s_load_dwordx4 s[4:7], s[0:1], 0x8
	s_load_dwordx2 s[10:11], s[0:1], 0x18
	s_load_dwordx8 s[20:27], s[0:1], 0x40
	s_load_dwordx4 s[36:39], s[0:1], 0x60
	v_cmp_ne_u32_e64 s[2:3], 0, v0
	v_cmp_eq_u32_e64 s[18:19], 0, v0
	s_and_saveexec_b64 s[8:9], s[18:19]
	s_cbranch_execz .LBB870_4
; %bb.1:
	s_mov_b64 s[14:15], exec
	v_mbcnt_lo_u32_b32 v1, s14, 0
	v_mbcnt_hi_u32_b32 v1, s15, v1
	v_cmp_eq_u32_e32 vcc, 0, v1
                                        ; implicit-def: $vgpr2
	s_and_saveexec_b64 s[12:13], vcc
	s_cbranch_execz .LBB870_3
; %bb.2:
	s_load_dwordx2 s[16:17], s[0:1], 0x78
	s_bcnt1_i32_b64 s14, s[14:15]
	v_mov_b32_e32 v2, 0
	v_mov_b32_e32 v3, s14
	s_waitcnt lgkmcnt(0)
	global_atomic_add v2, v2, v3, s[16:17] sc0
.LBB870_3:
	s_or_b64 exec, exec, s[12:13]
	s_waitcnt vmcnt(0)
	v_readfirstlane_b32 s12, v2
	v_mov_b32_e32 v2, 0
	s_nop 0
	v_add_u32_e32 v1, s12, v1
	ds_write_b32 v2, v1
.LBB870_4:
	s_or_b64 exec, exec, s[8:9]
	v_mov_b32_e32 v3, 0
	s_load_dwordx4 s[28:31], s[0:1], 0x28
	s_load_dword s8, s[0:1], 0x70
	s_waitcnt lgkmcnt(0)
	s_barrier
	ds_read_b32 v1, v3
	s_waitcnt lgkmcnt(0)
	s_barrier
	global_load_dwordx2 v[4:5], v3, s[22:23]
	s_lshl_b64 s[12:13], s[6:7], 3
	s_mul_i32 s14, s8, 0xe00
	s_add_u32 s16, s4, s12
	s_addc_u32 s17, s5, s13
	s_add_i32 s4, s14, s6
	s_sub_i32 s54, s24, s4
	s_add_i32 s15, s8, -1
	s_addk_i32 s54, 0xe00
	s_add_u32 s4, s6, s14
	v_readfirstlane_b32 s33, v1
	s_addc_u32 s5, s7, 0
	v_mov_b32_e32 v6, s24
	v_mov_b32_e32 v7, s25
	s_cmp_eq_u32 s33, s15
	s_mov_b32 s9, 0
	s_mul_i32 s8, s33, 0xe00
	v_cmp_ge_u64_e32 vcc, s[4:5], v[6:7]
	s_cselect_b64 s[24:25], -1, 0
	s_lshl_b64 s[14:15], s[8:9], 3
	s_and_b64 s[8:9], vcc, s[24:25]
	s_xor_b64 s[34:35], s[8:9], -1
	s_add_u32 s4, s16, s14
	s_mov_b64 s[0:1], -1
	s_addc_u32 s5, s17, s15
	s_and_b64 vcc, exec, s[34:35]
	s_waitcnt vmcnt(0)
	v_readfirstlane_b32 s22, v4
	v_readfirstlane_b32 s23, v5
	s_cbranch_vccz .LBB870_6
; %bb.5:
	v_lshlrev_b32_e32 v2, 3, v0
	v_lshl_add_u64 v[4:5], s[4:5], 0, v[2:3]
	v_add_co_u32_e32 v8, vcc, 0x1000, v4
	global_load_dwordx2 v[6:7], v2, s[4:5]
	s_nop 0
	v_addc_co_u32_e32 v9, vcc, 0, v5, vcc
	v_add_co_u32_e32 v10, vcc, 0x2000, v4
	s_mov_b64 s[0:1], 0
	s_nop 0
	v_addc_co_u32_e32 v11, vcc, 0, v5, vcc
	v_add_co_u32_e32 v12, vcc, 0x3000, v4
	s_nop 1
	v_addc_co_u32_e32 v13, vcc, 0, v5, vcc
	v_add_co_u32_e32 v14, vcc, 0x4000, v4
	s_nop 1
	v_addc_co_u32_e32 v15, vcc, 0, v5, vcc
	global_load_dwordx2 v[16:17], v[8:9], off
	global_load_dwordx2 v[18:19], v[10:11], off
	;; [unrolled: 1-line block ×4, first 2 shown]
	v_add_co_u32_e32 v8, vcc, 0x5000, v4
	s_nop 1
	v_addc_co_u32_e32 v9, vcc, 0, v5, vcc
	v_add_co_u32_e32 v4, vcc, 0x6000, v4
	global_load_dwordx2 v[8:9], v[8:9], off
	s_nop 0
	v_addc_co_u32_e32 v5, vcc, 0, v5, vcc
	global_load_dwordx2 v[4:5], v[4:5], off
	s_waitcnt vmcnt(5)
	ds_write2st64_b64 v2, v[6:7], v[16:17] offset1:8
	s_waitcnt vmcnt(3)
	ds_write2st64_b64 v2, v[18:19], v[20:21] offset0:16 offset1:24
	s_waitcnt vmcnt(1)
	ds_write2st64_b64 v2, v[22:23], v[8:9] offset0:32 offset1:40
	s_waitcnt vmcnt(0)
	ds_write_b64 v2, v[4:5] offset:24576
	s_waitcnt lgkmcnt(0)
	s_barrier
.LBB870_6:
	s_andn2_b64 vcc, exec, s[0:1]
	v_cmp_gt_u32_e64 s[0:1], s54, v0
	s_cbranch_vccnz .LBB870_22
; %bb.7:
                                        ; implicit-def: $vgpr2_vgpr3_vgpr4_vgpr5_vgpr6_vgpr7_vgpr8_vgpr9_vgpr10_vgpr11_vgpr12_vgpr13_vgpr14_vgpr15_vgpr16_vgpr17
	s_and_saveexec_b64 s[16:17], s[0:1]
	s_cbranch_execz .LBB870_9
; %bb.8:
	v_lshlrev_b32_e32 v1, 3, v0
	global_load_dwordx2 v[2:3], v1, s[4:5]
.LBB870_9:
	s_or_b64 exec, exec, s[16:17]
	v_or_b32_e32 v1, 0x200, v0
	v_cmp_gt_u32_e32 vcc, s54, v1
	s_and_saveexec_b64 s[0:1], vcc
	s_cbranch_execz .LBB870_11
; %bb.10:
	v_lshlrev_b32_e32 v1, 3, v1
	global_load_dwordx2 v[4:5], v1, s[4:5]
.LBB870_11:
	s_or_b64 exec, exec, s[0:1]
	v_or_b32_e32 v1, 0x400, v0
	v_cmp_gt_u32_e32 vcc, s54, v1
	s_and_saveexec_b64 s[0:1], vcc
	;; [unrolled: 9-line block ×6, first 2 shown]
	s_cbranch_execz .LBB870_21
; %bb.20:
	v_lshlrev_b32_e32 v1, 3, v1
	global_load_dwordx2 v[14:15], v1, s[4:5]
.LBB870_21:
	s_or_b64 exec, exec, s[0:1]
	v_lshlrev_b32_e32 v1, 3, v0
	s_waitcnt vmcnt(0)
	ds_write2st64_b64 v1, v[2:3], v[4:5] offset1:8
	ds_write2st64_b64 v1, v[6:7], v[8:9] offset0:16 offset1:24
	ds_write2st64_b64 v1, v[10:11], v[12:13] offset0:32 offset1:40
	ds_write_b64 v1, v[14:15] offset:24576
	s_waitcnt lgkmcnt(0)
	s_barrier
.LBB870_22:
	v_mul_u32_u24_e32 v1, 7, v0
	v_lshlrev_b32_e32 v46, 3, v1
	ds_read2_b64 v[22:25], v46 offset1:1
	ds_read2_b64 v[18:21], v46 offset0:2 offset1:3
	ds_read2_b64 v[14:17], v46 offset0:4 offset1:5
	ds_read_b64 v[28:29], v46 offset:48
	s_add_u32 s0, s10, s12
	s_addc_u32 s1, s11, s13
	s_add_u32 s0, s0, s14
	s_addc_u32 s1, s1, s15
	s_mov_b64 s[10:11], -1
	s_and_b64 vcc, exec, s[34:35]
	s_waitcnt lgkmcnt(0)
	s_barrier
	s_cbranch_vccz .LBB870_24
; %bb.23:
	v_lshlrev_b32_e32 v2, 3, v0
	v_mov_b32_e32 v3, 0
	v_lshl_add_u64 v[4:5], s[0:1], 0, v[2:3]
	v_add_co_u32_e32 v8, vcc, 0x1000, v4
	global_load_dwordx2 v[6:7], v2, s[0:1]
	s_nop 0
	v_addc_co_u32_e32 v9, vcc, 0, v5, vcc
	v_add_co_u32_e32 v10, vcc, 0x2000, v4
	s_mov_b64 s[10:11], 0
	s_nop 0
	v_addc_co_u32_e32 v11, vcc, 0, v5, vcc
	v_add_co_u32_e32 v12, vcc, 0x3000, v4
	s_nop 1
	v_addc_co_u32_e32 v13, vcc, 0, v5, vcc
	v_add_co_u32_e32 v26, vcc, 0x4000, v4
	s_nop 1
	v_addc_co_u32_e32 v27, vcc, 0, v5, vcc
	global_load_dwordx2 v[30:31], v[8:9], off
	global_load_dwordx2 v[32:33], v[10:11], off
	;; [unrolled: 1-line block ×4, first 2 shown]
	v_add_co_u32_e32 v8, vcc, 0x5000, v4
	s_nop 1
	v_addc_co_u32_e32 v9, vcc, 0, v5, vcc
	v_add_co_u32_e32 v4, vcc, 0x6000, v4
	global_load_dwordx2 v[8:9], v[8:9], off
	s_nop 0
	v_addc_co_u32_e32 v5, vcc, 0, v5, vcc
	global_load_dwordx2 v[4:5], v[4:5], off
	s_waitcnt vmcnt(5)
	ds_write2st64_b64 v2, v[6:7], v[30:31] offset1:8
	s_waitcnt vmcnt(3)
	ds_write2st64_b64 v2, v[32:33], v[34:35] offset0:16 offset1:24
	s_waitcnt vmcnt(1)
	ds_write2st64_b64 v2, v[36:37], v[8:9] offset0:32 offset1:40
	s_waitcnt vmcnt(0)
	ds_write_b64 v2, v[4:5] offset:24576
	s_waitcnt lgkmcnt(0)
	s_barrier
.LBB870_24:
	s_andn2_b64 vcc, exec, s[10:11]
	s_cbranch_vccnz .LBB870_40
; %bb.25:
	v_cmp_gt_u32_e32 vcc, s54, v0
                                        ; implicit-def: $vgpr2_vgpr3
	s_and_saveexec_b64 s[10:11], vcc
	s_cbranch_execz .LBB870_27
; %bb.26:
	v_lshlrev_b32_e32 v2, 3, v0
	global_load_dwordx2 v[2:3], v2, s[0:1]
.LBB870_27:
	s_or_b64 exec, exec, s[10:11]
	v_or_b32_e32 v6, 0x200, v0
	v_cmp_gt_u32_e32 vcc, s54, v6
                                        ; implicit-def: $vgpr4_vgpr5
	s_and_saveexec_b64 s[10:11], vcc
	s_cbranch_execz .LBB870_29
; %bb.28:
	v_lshlrev_b32_e32 v4, 3, v6
	global_load_dwordx2 v[4:5], v4, s[0:1]
.LBB870_29:
	s_or_b64 exec, exec, s[10:11]
	v_or_b32_e32 v8, 0x400, v0
	v_cmp_gt_u32_e32 vcc, s54, v8
                                        ; implicit-def: $vgpr6_vgpr7
	s_and_saveexec_b64 s[10:11], vcc
	s_cbranch_execz .LBB870_31
; %bb.30:
	v_lshlrev_b32_e32 v6, 3, v8
	global_load_dwordx2 v[6:7], v6, s[0:1]
.LBB870_31:
	s_or_b64 exec, exec, s[10:11]
	v_or_b32_e32 v10, 0x600, v0
	v_cmp_gt_u32_e32 vcc, s54, v10
                                        ; implicit-def: $vgpr8_vgpr9
	s_and_saveexec_b64 s[10:11], vcc
	s_cbranch_execz .LBB870_33
; %bb.32:
	v_lshlrev_b32_e32 v8, 3, v10
	global_load_dwordx2 v[8:9], v8, s[0:1]
.LBB870_33:
	s_or_b64 exec, exec, s[10:11]
	v_or_b32_e32 v12, 0x800, v0
	v_cmp_gt_u32_e32 vcc, s54, v12
                                        ; implicit-def: $vgpr10_vgpr11
	s_and_saveexec_b64 s[10:11], vcc
	s_cbranch_execz .LBB870_35
; %bb.34:
	v_lshlrev_b32_e32 v10, 3, v12
	global_load_dwordx2 v[10:11], v10, s[0:1]
.LBB870_35:
	s_or_b64 exec, exec, s[10:11]
	v_or_b32_e32 v26, 0xa00, v0
	v_cmp_gt_u32_e32 vcc, s54, v26
                                        ; implicit-def: $vgpr12_vgpr13
	s_and_saveexec_b64 s[10:11], vcc
	s_cbranch_execz .LBB870_37
; %bb.36:
	v_lshlrev_b32_e32 v12, 3, v26
	global_load_dwordx2 v[12:13], v12, s[0:1]
.LBB870_37:
	s_or_b64 exec, exec, s[10:11]
	v_or_b32_e32 v30, 0xc00, v0
	v_cmp_gt_u32_e32 vcc, s54, v30
                                        ; implicit-def: $vgpr26_vgpr27
	s_and_saveexec_b64 s[10:11], vcc
	s_cbranch_execz .LBB870_39
; %bb.38:
	v_lshlrev_b32_e32 v26, 3, v30
	global_load_dwordx2 v[26:27], v26, s[0:1]
.LBB870_39:
	s_or_b64 exec, exec, s[10:11]
	s_movk_i32 s0, 0xffd0
	v_mad_i32_i24 v30, v0, s0, v46
	s_waitcnt vmcnt(0)
	ds_write2st64_b64 v30, v[2:3], v[4:5] offset1:8
	ds_write2st64_b64 v30, v[6:7], v[8:9] offset0:16 offset1:24
	ds_write2st64_b64 v30, v[10:11], v[12:13] offset0:32 offset1:40
	ds_write_b64 v30, v[26:27] offset:24576
	s_waitcnt lgkmcnt(0)
	s_barrier
.LBB870_40:
	ds_read2_b64 v[10:13], v46 offset1:1
	ds_read2_b64 v[6:9], v46 offset0:2 offset1:3
	ds_read2_b64 v[2:5], v46 offset0:4 offset1:5
	ds_read_b64 v[26:27], v46 offset:48
	s_cmp_lg_u32 s33, 0
	s_cselect_b64 s[0:1], -1, 0
	s_cmp_lg_u64 s[6:7], 0
	s_cselect_b64 s[6:7], -1, 0
	s_or_b64 s[6:7], s[6:7], s[0:1]
	v_add_u32_e32 v43, 1, v1
	v_add_u32_e32 v40, 2, v1
	;; [unrolled: 1-line block ×6, first 2 shown]
	s_mov_b64 s[10:11], 0
	s_and_b64 vcc, exec, s[6:7]
	v_cmp_gt_i64_e64 s[12:13], s[26:27], 0
	s_waitcnt lgkmcnt(0)
	s_barrier
	s_cbranch_vccz .LBB870_49
; %bb.41:
	v_mov_b32_e32 v30, 0
	global_load_dwordx2 v[30:31], v30, s[4:5] offset:-8
	v_cndmask_b32_e64 v32, 0, 1, s[12:13]
	v_lshlrev_b32_e32 v47, 3, v0
	s_mov_b64 s[6:7], 0
	s_and_b64 vcc, exec, s[34:35]
	v_cmp_ne_u32_e64 s[4:5], 1, v32
	ds_write_b64 v47, v[28:29]
	s_cbranch_vccz .LBB870_51
; %bb.42:
	v_mul_lo_u32 v34, v17, s26
	v_mul_lo_u32 v35, v16, s27
	v_mad_u64_u32 v[32:33], s[10:11], v16, s26, 0
	v_add3_u32 v33, v33, v35, v34
	s_and_b64 vcc, exec, s[4:5]
	v_lshl_add_u64 v[32:33], v[32:33], 3, s[36:37]
	s_cbranch_vccnz .LBB870_54
; %bb.43:
	v_mul_lo_u32 v36, v29, s26
	v_mul_lo_u32 v37, v28, s27
	v_mad_u64_u32 v[34:35], s[6:7], v28, s26, 0
	v_add3_u32 v35, v35, v37, v36
	v_lshl_add_u64 v[34:35], v[34:35], 3, s[36:37]
	global_load_dwordx2 v[36:37], v[32:33], off
	global_load_dwordx2 v[38:39], v[34:35], off
	s_mov_b64 s[6:7], -1
	s_waitcnt vmcnt(0)
	v_cmp_eq_f64_e32 vcc, v[36:37], v[38:39]
	s_and_saveexec_b64 s[10:11], vcc
	s_cbranch_execz .LBB870_53
; %bb.44:
	s_add_u32 s6, s26, -1
	v_lshl_add_u64 v[34:35], v[34:35], 0, 8
	v_lshl_add_u64 v[36:37], v[32:33], 0, 8
	s_addc_u32 s7, s27, -1
	s_mov_b64 s[12:13], 0
	s_mov_b64 s[16:17], 0
                                        ; implicit-def: $sgpr14_sgpr15
	s_branch .LBB870_47
.LBB870_45:                             ;   in Loop: Header=BB870_47 Depth=1
	global_load_dwordx2 v[38:39], v[36:37], off
	global_load_dwordx2 v[48:49], v[34:35], off
	s_add_u32 s16, s16, 1
	s_addc_u32 s17, s17, 0
	s_andn2_b64 s[14:15], s[14:15], exec
	v_lshl_add_u64 v[34:35], v[34:35], 0, 8
	v_lshl_add_u64 v[36:37], v[36:37], 0, 8
	s_waitcnt vmcnt(0)
	v_cmp_neq_f64_e32 vcc, v[38:39], v[48:49]
	s_and_b64 s[40:41], vcc, exec
	s_or_b64 s[14:15], s[14:15], s[40:41]
.LBB870_46:                             ;   in Loop: Header=BB870_47 Depth=1
	s_and_b64 s[40:41], exec, s[14:15]
	s_or_b64 s[12:13], s[40:41], s[12:13]
	v_mov_b64_e32 v[38:39], s[16:17]
	s_andn2_b64 exec, exec, s[12:13]
	s_cbranch_execz .LBB870_52
.LBB870_47:                             ; =>This Inner Loop Header: Depth=1
	s_or_b64 s[14:15], s[14:15], exec
	s_cmp_eq_u64 s[6:7], s[16:17]
	s_cbranch_scc0 .LBB870_45
; %bb.48:                               ;   in Loop: Header=BB870_47 Depth=1
                                        ; implicit-def: $vgpr34_vgpr35
                                        ; implicit-def: $vgpr36_vgpr37
	s_mov_b64 s[16:17], s[26:27]
	s_branch .LBB870_46
.LBB870_49:
                                        ; implicit-def: $sgpr14_sgpr15
                                        ; implicit-def: $vgpr49
                                        ; implicit-def: $vgpr48
                                        ; implicit-def: $vgpr39
                                        ; implicit-def: $vgpr34
	s_branch .LBB870_192
.LBB870_50:
                                        ; implicit-def: $vgpr30_vgpr31
	s_branch .LBB870_340
.LBB870_51:
                                        ; implicit-def: $sgpr14_sgpr15
                                        ; implicit-def: $vgpr49
                                        ; implicit-def: $vgpr48
                                        ; implicit-def: $vgpr39
                                        ; implicit-def: $vgpr34
	s_cbranch_execnz .LBB870_111
	s_branch .LBB870_191
.LBB870_52:
	s_or_b64 exec, exec, s[12:13]
	v_cmp_gt_i64_e32 vcc, s[26:27], v[38:39]
	s_orn2_b64 s[6:7], vcc, exec
.LBB870_53:
	s_or_b64 exec, exec, s[10:11]
.LBB870_54:
	v_mul_lo_u32 v36, v15, s26
	v_mul_lo_u32 v37, v14, s27
	v_mad_u64_u32 v[34:35], s[10:11], v14, s26, 0
	v_add3_u32 v35, v35, v37, v36
	s_mov_b64 s[10:11], 0
	s_and_b64 vcc, exec, s[4:5]
	v_lshl_add_u64 v[34:35], v[34:35], 3, s[36:37]
	s_mov_b64 s[12:13], 0
	s_cbranch_vccnz .LBB870_63
; %bb.55:
	global_load_dwordx2 v[36:37], v[34:35], off
	global_load_dwordx2 v[38:39], v[32:33], off
	s_mov_b64 s[12:13], -1
	s_waitcnt vmcnt(0)
	v_cmp_eq_f64_e32 vcc, v[36:37], v[38:39]
	s_and_saveexec_b64 s[14:15], vcc
	s_cbranch_execz .LBB870_62
; %bb.56:
	s_add_u32 s12, s26, -1
	v_lshl_add_u64 v[32:33], v[32:33], 0, 8
	v_lshl_add_u64 v[36:37], v[34:35], 0, 8
	s_addc_u32 s13, s27, -1
	s_mov_b64 s[16:17], 0
	s_mov_b64 s[42:43], 0
                                        ; implicit-def: $sgpr40_sgpr41
	s_branch .LBB870_59
.LBB870_57:                             ;   in Loop: Header=BB870_59 Depth=1
	global_load_dwordx2 v[38:39], v[36:37], off
	global_load_dwordx2 v[48:49], v[32:33], off
	s_add_u32 s42, s42, 1
	s_addc_u32 s43, s43, 0
	s_andn2_b64 s[40:41], s[40:41], exec
	v_lshl_add_u64 v[32:33], v[32:33], 0, 8
	v_lshl_add_u64 v[36:37], v[36:37], 0, 8
	s_waitcnt vmcnt(0)
	v_cmp_neq_f64_e32 vcc, v[38:39], v[48:49]
	s_and_b64 s[44:45], vcc, exec
	s_or_b64 s[40:41], s[40:41], s[44:45]
.LBB870_58:                             ;   in Loop: Header=BB870_59 Depth=1
	s_and_b64 s[44:45], exec, s[40:41]
	s_or_b64 s[16:17], s[44:45], s[16:17]
	v_mov_b64_e32 v[38:39], s[42:43]
	s_andn2_b64 exec, exec, s[16:17]
	s_cbranch_execz .LBB870_61
.LBB870_59:                             ; =>This Inner Loop Header: Depth=1
	s_or_b64 s[40:41], s[40:41], exec
	s_cmp_eq_u64 s[12:13], s[42:43]
	s_cbranch_scc0 .LBB870_57
; %bb.60:                               ;   in Loop: Header=BB870_59 Depth=1
                                        ; implicit-def: $vgpr32_vgpr33
                                        ; implicit-def: $vgpr36_vgpr37
	s_mov_b64 s[42:43], s[26:27]
	s_branch .LBB870_58
.LBB870_61:
	s_or_b64 exec, exec, s[16:17]
	v_cmp_gt_i64_e32 vcc, s[26:27], v[38:39]
	s_orn2_b64 s[12:13], vcc, exec
.LBB870_62:
	s_or_b64 exec, exec, s[14:15]
.LBB870_63:
	v_mul_lo_u32 v36, v21, s26
	v_mul_lo_u32 v37, v20, s27
	v_mad_u64_u32 v[32:33], s[14:15], v20, s26, 0
	v_add3_u32 v33, v33, v37, v36
	s_and_b64 vcc, exec, s[4:5]
	v_lshl_add_u64 v[32:33], v[32:33], 3, s[36:37]
	s_cbranch_vccnz .LBB870_72
; %bb.64:
	global_load_dwordx2 v[36:37], v[32:33], off
	global_load_dwordx2 v[38:39], v[34:35], off
	s_mov_b64 s[10:11], -1
	s_waitcnt vmcnt(0)
	v_cmp_eq_f64_e32 vcc, v[36:37], v[38:39]
	s_and_saveexec_b64 s[14:15], vcc
	s_cbranch_execz .LBB870_71
; %bb.65:
	s_add_u32 s10, s26, -1
	v_lshl_add_u64 v[34:35], v[34:35], 0, 8
	v_lshl_add_u64 v[36:37], v[32:33], 0, 8
	s_addc_u32 s11, s27, -1
	s_mov_b64 s[16:17], 0
	s_mov_b64 s[42:43], 0
                                        ; implicit-def: $sgpr40_sgpr41
	s_branch .LBB870_68
.LBB870_66:                             ;   in Loop: Header=BB870_68 Depth=1
	global_load_dwordx2 v[38:39], v[36:37], off
	global_load_dwordx2 v[48:49], v[34:35], off
	s_add_u32 s42, s42, 1
	s_addc_u32 s43, s43, 0
	s_andn2_b64 s[40:41], s[40:41], exec
	v_lshl_add_u64 v[34:35], v[34:35], 0, 8
	v_lshl_add_u64 v[36:37], v[36:37], 0, 8
	s_waitcnt vmcnt(0)
	v_cmp_neq_f64_e32 vcc, v[38:39], v[48:49]
	s_and_b64 s[44:45], vcc, exec
	s_or_b64 s[40:41], s[40:41], s[44:45]
.LBB870_67:                             ;   in Loop: Header=BB870_68 Depth=1
	s_and_b64 s[44:45], exec, s[40:41]
	s_or_b64 s[16:17], s[44:45], s[16:17]
	v_mov_b64_e32 v[38:39], s[42:43]
	s_andn2_b64 exec, exec, s[16:17]
	s_cbranch_execz .LBB870_70
.LBB870_68:                             ; =>This Inner Loop Header: Depth=1
	s_or_b64 s[40:41], s[40:41], exec
	s_cmp_eq_u64 s[10:11], s[42:43]
	s_cbranch_scc0 .LBB870_66
; %bb.69:                               ;   in Loop: Header=BB870_68 Depth=1
                                        ; implicit-def: $vgpr34_vgpr35
                                        ; implicit-def: $vgpr36_vgpr37
	s_mov_b64 s[42:43], s[26:27]
	s_branch .LBB870_67
.LBB870_70:
	s_or_b64 exec, exec, s[16:17]
	v_cmp_gt_i64_e32 vcc, s[26:27], v[38:39]
	s_orn2_b64 s[10:11], vcc, exec
.LBB870_71:
	s_or_b64 exec, exec, s[14:15]
.LBB870_72:
	v_mul_lo_u32 v36, v19, s26
	v_mul_lo_u32 v37, v18, s27
	v_mad_u64_u32 v[34:35], s[14:15], v18, s26, 0
	v_add3_u32 v35, v35, v37, v36
	s_mov_b64 s[14:15], 0
	s_and_b64 vcc, exec, s[4:5]
	v_lshl_add_u64 v[36:37], v[34:35], 3, s[36:37]
	s_mov_b64 s[16:17], 0
	s_cbranch_vccnz .LBB870_81
; %bb.73:
	global_load_dwordx2 v[34:35], v[36:37], off
	global_load_dwordx2 v[38:39], v[32:33], off
	s_mov_b64 s[16:17], -1
	s_waitcnt vmcnt(0)
	v_cmp_eq_f64_e32 vcc, v[34:35], v[38:39]
	s_and_saveexec_b64 s[40:41], vcc
	s_cbranch_execz .LBB870_80
; %bb.74:
	s_add_u32 s16, s26, -1
	v_lshl_add_u64 v[32:33], v[32:33], 0, 8
	v_lshl_add_u64 v[34:35], v[36:37], 0, 8
	s_addc_u32 s17, s27, -1
	s_mov_b64 s[42:43], 0
	s_mov_b64 s[46:47], 0
                                        ; implicit-def: $sgpr44_sgpr45
	s_branch .LBB870_77
.LBB870_75:                             ;   in Loop: Header=BB870_77 Depth=1
	global_load_dwordx2 v[38:39], v[34:35], off
	global_load_dwordx2 v[48:49], v[32:33], off
	s_add_u32 s46, s46, 1
	s_addc_u32 s47, s47, 0
	s_andn2_b64 s[44:45], s[44:45], exec
	v_lshl_add_u64 v[32:33], v[32:33], 0, 8
	v_lshl_add_u64 v[34:35], v[34:35], 0, 8
	s_waitcnt vmcnt(0)
	v_cmp_neq_f64_e32 vcc, v[38:39], v[48:49]
	s_and_b64 s[48:49], vcc, exec
	s_or_b64 s[44:45], s[44:45], s[48:49]
.LBB870_76:                             ;   in Loop: Header=BB870_77 Depth=1
	s_and_b64 s[48:49], exec, s[44:45]
	s_or_b64 s[42:43], s[48:49], s[42:43]
	v_mov_b64_e32 v[38:39], s[46:47]
	s_andn2_b64 exec, exec, s[42:43]
	s_cbranch_execz .LBB870_79
.LBB870_77:                             ; =>This Inner Loop Header: Depth=1
	s_or_b64 s[44:45], s[44:45], exec
	s_cmp_eq_u64 s[16:17], s[46:47]
	s_cbranch_scc0 .LBB870_75
; %bb.78:                               ;   in Loop: Header=BB870_77 Depth=1
                                        ; implicit-def: $vgpr32_vgpr33
                                        ; implicit-def: $vgpr34_vgpr35
	s_mov_b64 s[46:47], s[26:27]
	s_branch .LBB870_76
.LBB870_79:
	s_or_b64 exec, exec, s[42:43]
	v_cmp_gt_i64_e32 vcc, s[26:27], v[38:39]
	s_orn2_b64 s[16:17], vcc, exec
.LBB870_80:
	s_or_b64 exec, exec, s[40:41]
.LBB870_81:
	v_mul_lo_u32 v34, v25, s26
	v_mul_lo_u32 v35, v24, s27
	v_mad_u64_u32 v[32:33], s[40:41], v24, s26, 0
	v_add3_u32 v33, v33, v35, v34
	s_and_b64 vcc, exec, s[4:5]
	v_lshl_add_u64 v[34:35], v[32:33], 3, s[36:37]
	s_cbranch_vccnz .LBB870_90
; %bb.82:
	global_load_dwordx2 v[32:33], v[34:35], off
	global_load_dwordx2 v[38:39], v[36:37], off
	s_mov_b64 s[14:15], -1
	s_waitcnt vmcnt(0)
	v_cmp_eq_f64_e32 vcc, v[32:33], v[38:39]
	s_and_saveexec_b64 s[40:41], vcc
	s_cbranch_execz .LBB870_89
; %bb.83:
	s_add_u32 s14, s26, -1
	v_lshl_add_u64 v[32:33], v[36:37], 0, 8
	v_lshl_add_u64 v[36:37], v[34:35], 0, 8
	s_addc_u32 s15, s27, -1
	s_mov_b64 s[42:43], 0
	s_mov_b64 s[46:47], 0
                                        ; implicit-def: $sgpr44_sgpr45
	s_branch .LBB870_86
.LBB870_84:                             ;   in Loop: Header=BB870_86 Depth=1
	global_load_dwordx2 v[38:39], v[36:37], off
	global_load_dwordx2 v[48:49], v[32:33], off
	s_add_u32 s46, s46, 1
	s_addc_u32 s47, s47, 0
	s_andn2_b64 s[44:45], s[44:45], exec
	v_lshl_add_u64 v[32:33], v[32:33], 0, 8
	v_lshl_add_u64 v[36:37], v[36:37], 0, 8
	s_waitcnt vmcnt(0)
	v_cmp_neq_f64_e32 vcc, v[38:39], v[48:49]
	s_and_b64 s[48:49], vcc, exec
	s_or_b64 s[44:45], s[44:45], s[48:49]
.LBB870_85:                             ;   in Loop: Header=BB870_86 Depth=1
	s_and_b64 s[48:49], exec, s[44:45]
	s_or_b64 s[42:43], s[48:49], s[42:43]
	v_mov_b64_e32 v[38:39], s[46:47]
	s_andn2_b64 exec, exec, s[42:43]
	s_cbranch_execz .LBB870_88
.LBB870_86:                             ; =>This Inner Loop Header: Depth=1
	s_or_b64 s[44:45], s[44:45], exec
	s_cmp_eq_u64 s[14:15], s[46:47]
	s_cbranch_scc0 .LBB870_84
; %bb.87:                               ;   in Loop: Header=BB870_86 Depth=1
                                        ; implicit-def: $vgpr32_vgpr33
                                        ; implicit-def: $vgpr36_vgpr37
	s_mov_b64 s[46:47], s[26:27]
	s_branch .LBB870_85
.LBB870_88:
	s_or_b64 exec, exec, s[42:43]
	v_cmp_gt_i64_e32 vcc, s[26:27], v[38:39]
	s_orn2_b64 s[14:15], vcc, exec
.LBB870_89:
	s_or_b64 exec, exec, s[40:41]
.LBB870_90:
	v_mul_lo_u32 v36, v23, s26
	v_mul_lo_u32 v37, v22, s27
	v_mad_u64_u32 v[32:33], s[40:41], v22, s26, 0
	v_add3_u32 v33, v33, v37, v36
	s_mov_b64 s[42:43], 0
	s_and_b64 vcc, exec, s[4:5]
	v_lshl_add_u64 v[32:33], v[32:33], 3, s[36:37]
	s_cbranch_vccnz .LBB870_99
; %bb.91:
	global_load_dwordx2 v[36:37], v[32:33], off
	global_load_dwordx2 v[38:39], v[34:35], off
	s_mov_b64 s[42:43], -1
	s_waitcnt vmcnt(0)
	v_cmp_eq_f64_e32 vcc, v[36:37], v[38:39]
	s_and_saveexec_b64 s[40:41], vcc
	s_cbranch_execz .LBB870_98
; %bb.92:
	s_add_u32 s42, s26, -1
	v_lshl_add_u64 v[34:35], v[34:35], 0, 8
	v_lshl_add_u64 v[36:37], v[32:33], 0, 8
	s_addc_u32 s43, s27, -1
	s_mov_b64 s[44:45], 0
	s_mov_b64 s[48:49], 0
                                        ; implicit-def: $sgpr46_sgpr47
	s_branch .LBB870_95
.LBB870_93:                             ;   in Loop: Header=BB870_95 Depth=1
	global_load_dwordx2 v[38:39], v[36:37], off
	global_load_dwordx2 v[48:49], v[34:35], off
	s_add_u32 s48, s48, 1
	s_addc_u32 s49, s49, 0
	s_andn2_b64 s[46:47], s[46:47], exec
	v_lshl_add_u64 v[34:35], v[34:35], 0, 8
	v_lshl_add_u64 v[36:37], v[36:37], 0, 8
	s_waitcnt vmcnt(0)
	v_cmp_neq_f64_e32 vcc, v[38:39], v[48:49]
	s_and_b64 s[50:51], vcc, exec
	s_or_b64 s[46:47], s[46:47], s[50:51]
.LBB870_94:                             ;   in Loop: Header=BB870_95 Depth=1
	s_and_b64 s[50:51], exec, s[46:47]
	s_or_b64 s[44:45], s[50:51], s[44:45]
	v_mov_b64_e32 v[38:39], s[48:49]
	s_andn2_b64 exec, exec, s[44:45]
	s_cbranch_execz .LBB870_97
.LBB870_95:                             ; =>This Inner Loop Header: Depth=1
	s_or_b64 s[46:47], s[46:47], exec
	s_cmp_eq_u64 s[42:43], s[48:49]
	s_cbranch_scc0 .LBB870_93
; %bb.96:                               ;   in Loop: Header=BB870_95 Depth=1
                                        ; implicit-def: $vgpr34_vgpr35
                                        ; implicit-def: $vgpr36_vgpr37
	s_mov_b64 s[48:49], s[26:27]
	s_branch .LBB870_94
.LBB870_97:
	s_or_b64 exec, exec, s[44:45]
	v_cmp_gt_i64_e32 vcc, s[26:27], v[38:39]
	s_orn2_b64 s[42:43], vcc, exec
.LBB870_98:
	s_or_b64 exec, exec, s[40:41]
.LBB870_99:
	s_waitcnt vmcnt(0)
	v_mov_b64_e32 v[34:35], v[30:31]
	s_waitcnt lgkmcnt(0)
	s_barrier
	s_and_saveexec_b64 s[40:41], s[2:3]
	s_cbranch_execz .LBB870_101
; %bb.100:
	v_add_u32_e32 v34, -8, v47
	ds_read_b64 v[34:35], v34
.LBB870_101:
	s_or_b64 exec, exec, s[40:41]
	v_cndmask_b32_e64 v37, 0, 1, s[16:17]
	v_cndmask_b32_e64 v36, 0, 1, s[14:15]
	;; [unrolled: 1-line block ×3, first 2 shown]
	v_lshlrev_b16_e32 v37, 8, v37
	v_lshlrev_b16_e32 v38, 8, v38
	v_or_b32_sdwa v50, v36, v37 dst_sel:WORD_1 dst_unused:UNUSED_PAD src0_sel:DWORD src1_sel:DWORD
	s_mov_b64 s[16:17], 0
	s_and_b64 vcc, exec, s[4:5]
	s_mov_b64 s[14:15], 0
	s_cbranch_vccnz .LBB870_110
; %bb.102:
	s_waitcnt lgkmcnt(0)
	v_mul_lo_u32 v36, v35, s26
	v_mul_lo_u32 v37, v34, s27
	v_mad_u64_u32 v[34:35], s[14:15], v34, s26, 0
	v_add3_u32 v35, v35, v37, v36
	v_lshl_add_u64 v[34:35], v[34:35], 3, s[36:37]
	global_load_dwordx2 v[36:37], v[34:35], off
	global_load_dwordx2 v[48:49], v[32:33], off
	s_mov_b64 s[14:15], -1
	s_waitcnt vmcnt(0)
	v_cmp_eq_f64_e32 vcc, v[36:37], v[48:49]
	s_and_saveexec_b64 s[40:41], vcc
	s_cbranch_execz .LBB870_109
; %bb.103:
	s_add_u32 s14, s26, -1
	v_lshl_add_u64 v[32:33], v[32:33], 0, 8
	v_lshl_add_u64 v[34:35], v[34:35], 0, 8
	s_addc_u32 s15, s27, -1
	s_mov_b64 s[42:43], 0
	s_mov_b64 s[46:47], 0
                                        ; implicit-def: $sgpr44_sgpr45
	s_branch .LBB870_106
.LBB870_104:                            ;   in Loop: Header=BB870_106 Depth=1
	global_load_dwordx2 v[36:37], v[34:35], off
	global_load_dwordx2 v[48:49], v[32:33], off
	s_add_u32 s46, s46, 1
	s_addc_u32 s47, s47, 0
	s_andn2_b64 s[44:45], s[44:45], exec
	v_lshl_add_u64 v[32:33], v[32:33], 0, 8
	v_lshl_add_u64 v[34:35], v[34:35], 0, 8
	s_waitcnt vmcnt(0)
	v_cmp_neq_f64_e32 vcc, v[36:37], v[48:49]
	s_and_b64 s[48:49], vcc, exec
	s_or_b64 s[44:45], s[44:45], s[48:49]
.LBB870_105:                            ;   in Loop: Header=BB870_106 Depth=1
	s_and_b64 s[48:49], exec, s[44:45]
	s_or_b64 s[42:43], s[48:49], s[42:43]
	v_mov_b64_e32 v[36:37], s[46:47]
	s_andn2_b64 exec, exec, s[42:43]
	s_cbranch_execz .LBB870_108
.LBB870_106:                            ; =>This Inner Loop Header: Depth=1
	s_or_b64 s[44:45], s[44:45], exec
	s_cmp_eq_u64 s[14:15], s[46:47]
	s_cbranch_scc0 .LBB870_104
; %bb.107:                              ;   in Loop: Header=BB870_106 Depth=1
                                        ; implicit-def: $vgpr32_vgpr33
                                        ; implicit-def: $vgpr34_vgpr35
	s_mov_b64 s[46:47], s[26:27]
	s_branch .LBB870_105
.LBB870_108:
	s_or_b64 exec, exec, s[42:43]
	v_cmp_gt_i64_e32 vcc, s[26:27], v[36:37]
	s_orn2_b64 s[14:15], vcc, exec
.LBB870_109:
	s_or_b64 exec, exec, s[40:41]
.LBB870_110:
	v_cndmask_b32_e64 v39, 0, 1, s[10:11]
	v_cndmask_b32_e64 v48, 0, 1, s[12:13]
	;; [unrolled: 1-line block ×3, first 2 shown]
	s_waitcnt lgkmcnt(0)
	v_or_b32_e32 v34, v38, v50
	s_and_b64 vcc, exec, s[16:17]
	s_cbranch_vccz .LBB870_191
.LBB870_111:
	v_cmp_gt_u32_e32 vcc, s54, v42
	s_mov_b64 s[10:11], 0
	s_mov_b64 s[6:7], 0
	s_and_saveexec_b64 s[12:13], vcc
	s_cbranch_execz .LBB870_122
; %bb.112:
	s_and_b64 vcc, exec, s[4:5]
	s_mov_b64 s[14:15], 0
	s_cbranch_vccnz .LBB870_121
; %bb.113:
	v_mul_lo_u32 v34, v17, s26
	v_mul_lo_u32 v35, v16, s27
	v_mad_u64_u32 v[32:33], s[6:7], v16, s26, 0
	v_add3_u32 v33, v33, v35, v34
	v_mul_lo_u32 v34, v29, s26
	v_mul_lo_u32 v35, v28, s27
	v_mad_u64_u32 v[36:37], s[6:7], v28, s26, 0
	v_add3_u32 v37, v37, v35, v34
	v_lshl_add_u64 v[34:35], v[32:33], 3, s[36:37]
	v_lshl_add_u64 v[32:33], v[36:37], 3, s[36:37]
	global_load_dwordx2 v[36:37], v[34:35], off
	global_load_dwordx2 v[38:39], v[32:33], off
	s_mov_b64 s[14:15], -1
	s_waitcnt vmcnt(0)
	v_cmp_eq_f64_e32 vcc, v[36:37], v[38:39]
	s_and_saveexec_b64 s[6:7], vcc
	s_cbranch_execz .LBB870_120
; %bb.114:
	s_add_u32 s14, s26, -1
	v_lshl_add_u64 v[32:33], v[32:33], 0, 8
	v_lshl_add_u64 v[34:35], v[34:35], 0, 8
	s_addc_u32 s15, s27, -1
	s_mov_b64 s[16:17], 0
	s_mov_b64 s[42:43], 0
                                        ; implicit-def: $sgpr40_sgpr41
	s_branch .LBB870_117
.LBB870_115:                            ;   in Loop: Header=BB870_117 Depth=1
	global_load_dwordx2 v[36:37], v[34:35], off
	global_load_dwordx2 v[38:39], v[32:33], off
	s_add_u32 s42, s42, 1
	s_addc_u32 s43, s43, 0
	s_andn2_b64 s[40:41], s[40:41], exec
	v_lshl_add_u64 v[32:33], v[32:33], 0, 8
	v_lshl_add_u64 v[34:35], v[34:35], 0, 8
	s_waitcnt vmcnt(0)
	v_cmp_neq_f64_e32 vcc, v[36:37], v[38:39]
	s_and_b64 s[44:45], vcc, exec
	s_or_b64 s[40:41], s[40:41], s[44:45]
.LBB870_116:                            ;   in Loop: Header=BB870_117 Depth=1
	s_and_b64 s[44:45], exec, s[40:41]
	s_or_b64 s[16:17], s[44:45], s[16:17]
	v_mov_b64_e32 v[36:37], s[42:43]
	s_andn2_b64 exec, exec, s[16:17]
	s_cbranch_execz .LBB870_119
.LBB870_117:                            ; =>This Inner Loop Header: Depth=1
	s_or_b64 s[40:41], s[40:41], exec
	s_cmp_eq_u64 s[14:15], s[42:43]
	s_cbranch_scc0 .LBB870_115
; %bb.118:                              ;   in Loop: Header=BB870_117 Depth=1
                                        ; implicit-def: $vgpr32_vgpr33
                                        ; implicit-def: $vgpr34_vgpr35
	s_mov_b64 s[42:43], s[26:27]
	s_branch .LBB870_116
.LBB870_119:
	s_or_b64 exec, exec, s[16:17]
	v_cmp_gt_i64_e32 vcc, s[26:27], v[36:37]
	s_orn2_b64 s[14:15], vcc, exec
.LBB870_120:
	s_or_b64 exec, exec, s[6:7]
.LBB870_121:
	s_and_b64 s[6:7], s[14:15], exec
.LBB870_122:
	s_or_b64 exec, exec, s[12:13]
	v_cmp_gt_u32_e32 vcc, s54, v45
	s_and_saveexec_b64 s[12:13], vcc
	s_cbranch_execz .LBB870_133
; %bb.123:
	s_and_b64 vcc, exec, s[4:5]
	s_mov_b64 s[14:15], 0
	s_cbranch_vccnz .LBB870_132
; %bb.124:
	v_mul_lo_u32 v34, v15, s26
	v_mul_lo_u32 v35, v14, s27
	v_mad_u64_u32 v[32:33], s[10:11], v14, s26, 0
	v_add3_u32 v33, v33, v35, v34
	v_mul_lo_u32 v34, v17, s26
	v_mul_lo_u32 v35, v16, s27
	v_mad_u64_u32 v[36:37], s[10:11], v16, s26, 0
	v_add3_u32 v37, v37, v35, v34
	v_lshl_add_u64 v[34:35], v[32:33], 3, s[36:37]
	v_lshl_add_u64 v[32:33], v[36:37], 3, s[36:37]
	global_load_dwordx2 v[36:37], v[34:35], off
	global_load_dwordx2 v[38:39], v[32:33], off
	s_mov_b64 s[14:15], -1
	s_waitcnt vmcnt(0)
	v_cmp_eq_f64_e32 vcc, v[36:37], v[38:39]
	s_and_saveexec_b64 s[10:11], vcc
	s_cbranch_execz .LBB870_131
; %bb.125:
	s_add_u32 s14, s26, -1
	v_lshl_add_u64 v[32:33], v[32:33], 0, 8
	v_lshl_add_u64 v[34:35], v[34:35], 0, 8
	s_addc_u32 s15, s27, -1
	s_mov_b64 s[16:17], 0
	s_mov_b64 s[42:43], 0
                                        ; implicit-def: $sgpr40_sgpr41
	s_branch .LBB870_128
.LBB870_126:                            ;   in Loop: Header=BB870_128 Depth=1
	global_load_dwordx2 v[36:37], v[34:35], off
	global_load_dwordx2 v[38:39], v[32:33], off
	s_add_u32 s42, s42, 1
	s_addc_u32 s43, s43, 0
	s_andn2_b64 s[40:41], s[40:41], exec
	v_lshl_add_u64 v[32:33], v[32:33], 0, 8
	v_lshl_add_u64 v[34:35], v[34:35], 0, 8
	s_waitcnt vmcnt(0)
	v_cmp_neq_f64_e32 vcc, v[36:37], v[38:39]
	s_and_b64 s[44:45], vcc, exec
	s_or_b64 s[40:41], s[40:41], s[44:45]
.LBB870_127:                            ;   in Loop: Header=BB870_128 Depth=1
	s_and_b64 s[44:45], exec, s[40:41]
	s_or_b64 s[16:17], s[44:45], s[16:17]
	v_mov_b64_e32 v[36:37], s[42:43]
	s_andn2_b64 exec, exec, s[16:17]
	s_cbranch_execz .LBB870_130
.LBB870_128:                            ; =>This Inner Loop Header: Depth=1
	s_or_b64 s[40:41], s[40:41], exec
	s_cmp_eq_u64 s[14:15], s[42:43]
	s_cbranch_scc0 .LBB870_126
; %bb.129:                              ;   in Loop: Header=BB870_128 Depth=1
                                        ; implicit-def: $vgpr32_vgpr33
                                        ; implicit-def: $vgpr34_vgpr35
	s_mov_b64 s[42:43], s[26:27]
	s_branch .LBB870_127
.LBB870_130:
	s_or_b64 exec, exec, s[16:17]
	v_cmp_gt_i64_e32 vcc, s[26:27], v[36:37]
	s_orn2_b64 s[14:15], vcc, exec
.LBB870_131:
	s_or_b64 exec, exec, s[10:11]
.LBB870_132:
	s_and_b64 s[10:11], s[14:15], exec
.LBB870_133:
	s_or_b64 exec, exec, s[12:13]
	v_cmp_gt_u32_e32 vcc, s54, v41
	s_mov_b64 s[14:15], 0
	s_mov_b64 s[12:13], 0
	s_and_saveexec_b64 s[16:17], vcc
	s_cbranch_execz .LBB870_144
; %bb.134:
	s_and_b64 vcc, exec, s[4:5]
	s_mov_b64 s[40:41], 0
	s_cbranch_vccnz .LBB870_143
; %bb.135:
	v_mul_lo_u32 v34, v21, s26
	v_mul_lo_u32 v35, v20, s27
	v_mad_u64_u32 v[32:33], s[12:13], v20, s26, 0
	v_add3_u32 v33, v33, v35, v34
	v_mul_lo_u32 v34, v15, s26
	v_mul_lo_u32 v35, v14, s27
	v_mad_u64_u32 v[36:37], s[12:13], v14, s26, 0
	v_add3_u32 v37, v37, v35, v34
	v_lshl_add_u64 v[34:35], v[32:33], 3, s[36:37]
	v_lshl_add_u64 v[32:33], v[36:37], 3, s[36:37]
	global_load_dwordx2 v[36:37], v[34:35], off
	global_load_dwordx2 v[38:39], v[32:33], off
	s_mov_b64 s[40:41], -1
	s_waitcnt vmcnt(0)
	v_cmp_eq_f64_e32 vcc, v[36:37], v[38:39]
	s_and_saveexec_b64 s[12:13], vcc
	s_cbranch_execz .LBB870_142
; %bb.136:
	s_add_u32 s40, s26, -1
	v_lshl_add_u64 v[32:33], v[32:33], 0, 8
	v_lshl_add_u64 v[34:35], v[34:35], 0, 8
	s_addc_u32 s41, s27, -1
	s_mov_b64 s[42:43], 0
	s_mov_b64 s[46:47], 0
                                        ; implicit-def: $sgpr44_sgpr45
	s_branch .LBB870_139
.LBB870_137:                            ;   in Loop: Header=BB870_139 Depth=1
	global_load_dwordx2 v[36:37], v[34:35], off
	global_load_dwordx2 v[38:39], v[32:33], off
	s_add_u32 s46, s46, 1
	s_addc_u32 s47, s47, 0
	s_andn2_b64 s[44:45], s[44:45], exec
	v_lshl_add_u64 v[32:33], v[32:33], 0, 8
	v_lshl_add_u64 v[34:35], v[34:35], 0, 8
	s_waitcnt vmcnt(0)
	v_cmp_neq_f64_e32 vcc, v[36:37], v[38:39]
	s_and_b64 s[48:49], vcc, exec
	s_or_b64 s[44:45], s[44:45], s[48:49]
.LBB870_138:                            ;   in Loop: Header=BB870_139 Depth=1
	s_and_b64 s[48:49], exec, s[44:45]
	s_or_b64 s[42:43], s[48:49], s[42:43]
	v_mov_b64_e32 v[36:37], s[46:47]
	s_andn2_b64 exec, exec, s[42:43]
	s_cbranch_execz .LBB870_141
.LBB870_139:                            ; =>This Inner Loop Header: Depth=1
	s_or_b64 s[44:45], s[44:45], exec
	s_cmp_eq_u64 s[40:41], s[46:47]
	s_cbranch_scc0 .LBB870_137
; %bb.140:                              ;   in Loop: Header=BB870_139 Depth=1
                                        ; implicit-def: $vgpr32_vgpr33
                                        ; implicit-def: $vgpr34_vgpr35
	s_mov_b64 s[46:47], s[26:27]
	s_branch .LBB870_138
.LBB870_141:
	s_or_b64 exec, exec, s[42:43]
	v_cmp_gt_i64_e32 vcc, s[26:27], v[36:37]
	s_orn2_b64 s[40:41], vcc, exec
.LBB870_142:
	s_or_b64 exec, exec, s[12:13]
.LBB870_143:
	s_and_b64 s[12:13], s[40:41], exec
.LBB870_144:
	s_or_b64 exec, exec, s[16:17]
	v_cmp_gt_u32_e32 vcc, s54, v44
	s_and_saveexec_b64 s[16:17], vcc
	s_cbranch_execz .LBB870_155
; %bb.145:
	s_and_b64 vcc, exec, s[4:5]
	s_mov_b64 s[40:41], 0
	s_cbranch_vccnz .LBB870_154
; %bb.146:
	v_mul_lo_u32 v34, v19, s26
	v_mul_lo_u32 v35, v18, s27
	v_mad_u64_u32 v[32:33], s[14:15], v18, s26, 0
	v_add3_u32 v33, v33, v35, v34
	v_mul_lo_u32 v34, v21, s26
	v_mul_lo_u32 v35, v20, s27
	v_mad_u64_u32 v[36:37], s[14:15], v20, s26, 0
	v_add3_u32 v37, v37, v35, v34
	v_lshl_add_u64 v[34:35], v[32:33], 3, s[36:37]
	v_lshl_add_u64 v[32:33], v[36:37], 3, s[36:37]
	global_load_dwordx2 v[36:37], v[34:35], off
	global_load_dwordx2 v[38:39], v[32:33], off
	s_mov_b64 s[40:41], -1
	s_waitcnt vmcnt(0)
	v_cmp_eq_f64_e32 vcc, v[36:37], v[38:39]
	s_and_saveexec_b64 s[14:15], vcc
	s_cbranch_execz .LBB870_153
; %bb.147:
	s_add_u32 s40, s26, -1
	v_lshl_add_u64 v[32:33], v[32:33], 0, 8
	v_lshl_add_u64 v[34:35], v[34:35], 0, 8
	s_addc_u32 s41, s27, -1
	s_mov_b64 s[42:43], 0
	s_mov_b64 s[46:47], 0
                                        ; implicit-def: $sgpr44_sgpr45
	s_branch .LBB870_150
.LBB870_148:                            ;   in Loop: Header=BB870_150 Depth=1
	global_load_dwordx2 v[36:37], v[34:35], off
	global_load_dwordx2 v[38:39], v[32:33], off
	s_add_u32 s46, s46, 1
	s_addc_u32 s47, s47, 0
	s_andn2_b64 s[44:45], s[44:45], exec
	v_lshl_add_u64 v[32:33], v[32:33], 0, 8
	v_lshl_add_u64 v[34:35], v[34:35], 0, 8
	s_waitcnt vmcnt(0)
	v_cmp_neq_f64_e32 vcc, v[36:37], v[38:39]
	s_and_b64 s[48:49], vcc, exec
	s_or_b64 s[44:45], s[44:45], s[48:49]
.LBB870_149:                            ;   in Loop: Header=BB870_150 Depth=1
	s_and_b64 s[48:49], exec, s[44:45]
	s_or_b64 s[42:43], s[48:49], s[42:43]
	v_mov_b64_e32 v[36:37], s[46:47]
	s_andn2_b64 exec, exec, s[42:43]
	s_cbranch_execz .LBB870_152
.LBB870_150:                            ; =>This Inner Loop Header: Depth=1
	s_or_b64 s[44:45], s[44:45], exec
	s_cmp_eq_u64 s[40:41], s[46:47]
	s_cbranch_scc0 .LBB870_148
; %bb.151:                              ;   in Loop: Header=BB870_150 Depth=1
                                        ; implicit-def: $vgpr32_vgpr33
                                        ; implicit-def: $vgpr34_vgpr35
	s_mov_b64 s[46:47], s[26:27]
	s_branch .LBB870_149
.LBB870_152:
	s_or_b64 exec, exec, s[42:43]
	v_cmp_gt_i64_e32 vcc, s[26:27], v[36:37]
	s_orn2_b64 s[40:41], vcc, exec
.LBB870_153:
	s_or_b64 exec, exec, s[14:15]
.LBB870_154:
	s_and_b64 s[14:15], s[40:41], exec
.LBB870_155:
	s_or_b64 exec, exec, s[16:17]
	v_cmp_gt_u32_e32 vcc, s54, v40
	s_mov_b64 s[16:17], 0
	s_mov_b64 s[40:41], 0
	s_and_saveexec_b64 s[42:43], vcc
	s_cbranch_execz .LBB870_166
; %bb.156:
	s_and_b64 vcc, exec, s[4:5]
	s_mov_b64 s[44:45], 0
	s_cbranch_vccnz .LBB870_165
; %bb.157:
	v_mul_lo_u32 v34, v25, s26
	v_mul_lo_u32 v35, v24, s27
	v_mad_u64_u32 v[32:33], s[40:41], v24, s26, 0
	v_add3_u32 v33, v33, v35, v34
	v_mul_lo_u32 v34, v19, s26
	v_mul_lo_u32 v35, v18, s27
	v_mad_u64_u32 v[36:37], s[40:41], v18, s26, 0
	v_add3_u32 v37, v37, v35, v34
	v_lshl_add_u64 v[34:35], v[32:33], 3, s[36:37]
	v_lshl_add_u64 v[32:33], v[36:37], 3, s[36:37]
	global_load_dwordx2 v[36:37], v[34:35], off
	global_load_dwordx2 v[38:39], v[32:33], off
	s_mov_b64 s[44:45], -1
	s_waitcnt vmcnt(0)
	v_cmp_eq_f64_e32 vcc, v[36:37], v[38:39]
	s_and_saveexec_b64 s[40:41], vcc
	s_cbranch_execz .LBB870_164
; %bb.158:
	s_add_u32 s44, s26, -1
	v_lshl_add_u64 v[32:33], v[32:33], 0, 8
	v_lshl_add_u64 v[34:35], v[34:35], 0, 8
	s_addc_u32 s45, s27, -1
	s_mov_b64 s[46:47], 0
	s_mov_b64 s[50:51], 0
                                        ; implicit-def: $sgpr48_sgpr49
	s_branch .LBB870_161
.LBB870_159:                            ;   in Loop: Header=BB870_161 Depth=1
	global_load_dwordx2 v[36:37], v[34:35], off
	global_load_dwordx2 v[38:39], v[32:33], off
	s_add_u32 s50, s50, 1
	s_addc_u32 s51, s51, 0
	s_andn2_b64 s[48:49], s[48:49], exec
	v_lshl_add_u64 v[32:33], v[32:33], 0, 8
	v_lshl_add_u64 v[34:35], v[34:35], 0, 8
	s_waitcnt vmcnt(0)
	v_cmp_neq_f64_e32 vcc, v[36:37], v[38:39]
	s_and_b64 s[52:53], vcc, exec
	s_or_b64 s[48:49], s[48:49], s[52:53]
.LBB870_160:                            ;   in Loop: Header=BB870_161 Depth=1
	s_and_b64 s[52:53], exec, s[48:49]
	s_or_b64 s[46:47], s[52:53], s[46:47]
	v_mov_b64_e32 v[36:37], s[50:51]
	s_andn2_b64 exec, exec, s[46:47]
	s_cbranch_execz .LBB870_163
.LBB870_161:                            ; =>This Inner Loop Header: Depth=1
	s_or_b64 s[48:49], s[48:49], exec
	s_cmp_eq_u64 s[44:45], s[50:51]
	s_cbranch_scc0 .LBB870_159
; %bb.162:                              ;   in Loop: Header=BB870_161 Depth=1
                                        ; implicit-def: $vgpr32_vgpr33
                                        ; implicit-def: $vgpr34_vgpr35
	s_mov_b64 s[50:51], s[26:27]
	s_branch .LBB870_160
.LBB870_163:
	s_or_b64 exec, exec, s[46:47]
	v_cmp_gt_i64_e32 vcc, s[26:27], v[36:37]
	s_orn2_b64 s[44:45], vcc, exec
.LBB870_164:
	s_or_b64 exec, exec, s[40:41]
.LBB870_165:
	s_and_b64 s[40:41], s[44:45], exec
.LBB870_166:
	s_or_b64 exec, exec, s[42:43]
	v_cmp_gt_u32_e32 vcc, s54, v43
	s_and_saveexec_b64 s[42:43], vcc
	s_cbranch_execz .LBB870_177
; %bb.167:
	s_and_b64 vcc, exec, s[4:5]
	s_mov_b64 s[44:45], 0
	s_cbranch_vccnz .LBB870_176
; %bb.168:
	v_mul_lo_u32 v34, v23, s26
	v_mul_lo_u32 v35, v22, s27
	v_mad_u64_u32 v[32:33], s[16:17], v22, s26, 0
	v_add3_u32 v33, v33, v35, v34
	v_mul_lo_u32 v34, v25, s26
	v_mul_lo_u32 v35, v24, s27
	v_mad_u64_u32 v[36:37], s[16:17], v24, s26, 0
	v_add3_u32 v37, v37, v35, v34
	v_lshl_add_u64 v[34:35], v[32:33], 3, s[36:37]
	v_lshl_add_u64 v[32:33], v[36:37], 3, s[36:37]
	global_load_dwordx2 v[36:37], v[34:35], off
	global_load_dwordx2 v[38:39], v[32:33], off
	s_mov_b64 s[44:45], -1
	s_waitcnt vmcnt(0)
	v_cmp_eq_f64_e32 vcc, v[36:37], v[38:39]
	s_and_saveexec_b64 s[16:17], vcc
	s_cbranch_execz .LBB870_175
; %bb.169:
	s_add_u32 s44, s26, -1
	v_lshl_add_u64 v[32:33], v[32:33], 0, 8
	v_lshl_add_u64 v[34:35], v[34:35], 0, 8
	s_addc_u32 s45, s27, -1
	s_mov_b64 s[46:47], 0
	s_mov_b64 s[50:51], 0
                                        ; implicit-def: $sgpr48_sgpr49
	s_branch .LBB870_172
.LBB870_170:                            ;   in Loop: Header=BB870_172 Depth=1
	global_load_dwordx2 v[36:37], v[34:35], off
	global_load_dwordx2 v[38:39], v[32:33], off
	s_add_u32 s50, s50, 1
	s_addc_u32 s51, s51, 0
	s_andn2_b64 s[48:49], s[48:49], exec
	v_lshl_add_u64 v[32:33], v[32:33], 0, 8
	v_lshl_add_u64 v[34:35], v[34:35], 0, 8
	s_waitcnt vmcnt(0)
	v_cmp_neq_f64_e32 vcc, v[36:37], v[38:39]
	s_and_b64 s[52:53], vcc, exec
	s_or_b64 s[48:49], s[48:49], s[52:53]
.LBB870_171:                            ;   in Loop: Header=BB870_172 Depth=1
	s_and_b64 s[52:53], exec, s[48:49]
	s_or_b64 s[46:47], s[52:53], s[46:47]
	v_mov_b64_e32 v[36:37], s[50:51]
	s_andn2_b64 exec, exec, s[46:47]
	s_cbranch_execz .LBB870_174
.LBB870_172:                            ; =>This Inner Loop Header: Depth=1
	s_or_b64 s[48:49], s[48:49], exec
	s_cmp_eq_u64 s[44:45], s[50:51]
	s_cbranch_scc0 .LBB870_170
; %bb.173:                              ;   in Loop: Header=BB870_172 Depth=1
                                        ; implicit-def: $vgpr32_vgpr33
                                        ; implicit-def: $vgpr34_vgpr35
	s_mov_b64 s[50:51], s[26:27]
	s_branch .LBB870_171
.LBB870_174:
	s_or_b64 exec, exec, s[46:47]
	v_cmp_gt_i64_e32 vcc, s[26:27], v[36:37]
	s_orn2_b64 s[44:45], vcc, exec
.LBB870_175:
	s_or_b64 exec, exec, s[16:17]
.LBB870_176:
	s_and_b64 s[16:17], s[44:45], exec
.LBB870_177:
	s_or_b64 exec, exec, s[42:43]
	s_waitcnt lgkmcnt(0)
	s_barrier
	s_and_saveexec_b64 s[42:43], s[2:3]
	s_cbranch_execz .LBB870_179
; %bb.178:
	s_waitcnt vmcnt(0)
	v_add_u32_e32 v30, -8, v47
	ds_read_b64 v[30:31], v30
.LBB870_179:
	s_or_b64 exec, exec, s[42:43]
	v_cndmask_b32_e64 v33, 0, 1, s[14:15]
	v_cndmask_b32_e64 v32, 0, 1, s[40:41]
	v_cndmask_b32_e64 v34, 0, 1, s[16:17]
	v_lshlrev_b16_e32 v33, 8, v33
	v_cmp_gt_u32_e32 vcc, s54, v1
	v_lshlrev_b16_e32 v36, 8, v34
	v_or_b32_sdwa v37, v32, v33 dst_sel:WORD_1 dst_unused:UNUSED_PAD src0_sel:DWORD src1_sel:DWORD
	s_mov_b64 s[14:15], 0
	s_and_saveexec_b64 s[16:17], vcc
	s_cbranch_execz .LBB870_190
; %bb.180:
	s_and_b64 vcc, exec, s[4:5]
	s_cbranch_vccnz .LBB870_189
; %bb.181:
	s_waitcnt vmcnt(0) lgkmcnt(0)
	v_mul_lo_u32 v32, v31, s26
	v_mul_lo_u32 v33, v30, s27
	v_mad_u64_u32 v[30:31], s[4:5], v30, s26, 0
	v_add3_u32 v31, v31, v33, v32
	v_mul_lo_u32 v32, v23, s26
	v_mul_lo_u32 v33, v22, s27
	v_mad_u64_u32 v[34:35], s[4:5], v22, s26, 0
	v_add3_u32 v35, v35, v33, v32
	v_lshl_add_u64 v[32:33], v[30:31], 3, s[36:37]
	v_lshl_add_u64 v[30:31], v[34:35], 3, s[36:37]
	global_load_dwordx2 v[34:35], v[32:33], off
	global_load_dwordx2 v[38:39], v[30:31], off
	s_mov_b64 s[14:15], -1
	s_waitcnt vmcnt(0)
	v_cmp_eq_f64_e32 vcc, v[34:35], v[38:39]
	s_and_saveexec_b64 s[4:5], vcc
	s_cbranch_execz .LBB870_188
; %bb.182:
	s_add_u32 s14, s26, -1
	v_lshl_add_u64 v[30:31], v[30:31], 0, 8
	v_lshl_add_u64 v[32:33], v[32:33], 0, 8
	s_addc_u32 s15, s27, -1
	s_mov_b64 s[40:41], 0
	s_mov_b64 s[44:45], 0
                                        ; implicit-def: $sgpr42_sgpr43
	s_branch .LBB870_185
.LBB870_183:                            ;   in Loop: Header=BB870_185 Depth=1
	global_load_dwordx2 v[34:35], v[32:33], off
	global_load_dwordx2 v[38:39], v[30:31], off
	s_add_u32 s44, s44, 1
	s_addc_u32 s45, s45, 0
	s_andn2_b64 s[42:43], s[42:43], exec
	v_lshl_add_u64 v[30:31], v[30:31], 0, 8
	v_lshl_add_u64 v[32:33], v[32:33], 0, 8
	s_waitcnt vmcnt(0)
	v_cmp_neq_f64_e32 vcc, v[34:35], v[38:39]
	s_and_b64 s[46:47], vcc, exec
	s_or_b64 s[42:43], s[42:43], s[46:47]
.LBB870_184:                            ;   in Loop: Header=BB870_185 Depth=1
	s_and_b64 s[46:47], exec, s[42:43]
	s_or_b64 s[40:41], s[46:47], s[40:41]
	v_mov_b64_e32 v[34:35], s[44:45]
	s_andn2_b64 exec, exec, s[40:41]
	s_cbranch_execz .LBB870_187
.LBB870_185:                            ; =>This Inner Loop Header: Depth=1
	s_or_b64 s[42:43], s[42:43], exec
	s_cmp_eq_u64 s[14:15], s[44:45]
	s_cbranch_scc0 .LBB870_183
; %bb.186:                              ;   in Loop: Header=BB870_185 Depth=1
                                        ; implicit-def: $vgpr30_vgpr31
                                        ; implicit-def: $vgpr32_vgpr33
	s_mov_b64 s[44:45], s[26:27]
	s_branch .LBB870_184
.LBB870_187:
	s_or_b64 exec, exec, s[40:41]
	v_cmp_gt_i64_e32 vcc, s[26:27], v[34:35]
	s_orn2_b64 s[14:15], vcc, exec
.LBB870_188:
	s_or_b64 exec, exec, s[4:5]
.LBB870_189:
	s_and_b64 s[14:15], s[14:15], exec
.LBB870_190:
	s_or_b64 exec, exec, s[16:17]
	v_cndmask_b32_e64 v39, 0, 1, s[12:13]
	v_cndmask_b32_e64 v48, 0, 1, s[10:11]
	;; [unrolled: 1-line block ×3, first 2 shown]
	v_or_b32_e32 v34, v36, v37
.LBB870_191:
	s_mov_b64 s[10:11], -1
	s_cbranch_execnz .LBB870_50
.LBB870_192:
	s_movk_i32 s4, 0xffd0
	v_mad_i32_i24 v38, v0, s4, v46
	s_mov_b64 s[12:13], 0
	v_cmp_gt_i64_e64 s[6:7], s[26:27], 0
	s_and_b64 vcc, exec, s[34:35]
	ds_write_b64 v38, v[28:29]
	s_cbranch_vccz .LBB870_200
; %bb.193:
	v_mul_lo_u32 v32, v17, s26
	v_mul_lo_u32 v33, v16, s27
	s_waitcnt vmcnt(0) lgkmcnt(1)
	v_mad_u64_u32 v[30:31], s[4:5], v16, s26, 0
	v_add3_u32 v31, v31, v33, v32
	v_cndmask_b32_e64 v32, 0, 1, s[6:7]
	v_cmp_ne_u32_e64 s[4:5], 1, v32
	s_andn2_b64 vcc, exec, s[6:7]
	v_lshl_add_u64 v[30:31], v[30:31], 3, s[36:37]
	s_cbranch_vccnz .LBB870_203
; %bb.194:
	v_mul_lo_u32 v34, v29, s26
	v_mul_lo_u32 v35, v28, s27
	v_mad_u64_u32 v[32:33], s[12:13], v28, s26, 0
	v_add3_u32 v33, v33, v35, v34
	v_lshl_add_u64 v[32:33], v[32:33], 3, s[36:37]
	global_load_dwordx2 v[34:35], v[30:31], off
	global_load_dwordx2 v[36:37], v[32:33], off
	s_mov_b64 s[12:13], -1
	s_waitcnt vmcnt(0)
	v_cmp_eq_f64_e32 vcc, v[34:35], v[36:37]
	s_and_saveexec_b64 s[14:15], vcc
	s_cbranch_execz .LBB870_202
; %bb.195:
	s_add_u32 s12, s26, -1
	v_lshl_add_u64 v[32:33], v[32:33], 0, 8
	v_lshl_add_u64 v[34:35], v[30:31], 0, 8
	s_addc_u32 s13, s27, -1
	s_mov_b64 s[16:17], 0
	s_mov_b64 s[42:43], 0
                                        ; implicit-def: $sgpr40_sgpr41
	s_branch .LBB870_198
.LBB870_196:                            ;   in Loop: Header=BB870_198 Depth=1
	global_load_dwordx2 v[36:37], v[34:35], off
	global_load_dwordx2 v[46:47], v[32:33], off
	s_add_u32 s42, s42, 1
	s_addc_u32 s43, s43, 0
	s_andn2_b64 s[40:41], s[40:41], exec
	v_lshl_add_u64 v[32:33], v[32:33], 0, 8
	v_lshl_add_u64 v[34:35], v[34:35], 0, 8
	s_waitcnt vmcnt(0)
	v_cmp_neq_f64_e32 vcc, v[36:37], v[46:47]
	s_and_b64 s[44:45], vcc, exec
	s_or_b64 s[40:41], s[40:41], s[44:45]
.LBB870_197:                            ;   in Loop: Header=BB870_198 Depth=1
	s_and_b64 s[44:45], exec, s[40:41]
	s_or_b64 s[16:17], s[44:45], s[16:17]
	v_mov_b64_e32 v[36:37], s[42:43]
	s_andn2_b64 exec, exec, s[16:17]
	s_cbranch_execz .LBB870_201
.LBB870_198:                            ; =>This Inner Loop Header: Depth=1
	s_or_b64 s[40:41], s[40:41], exec
	s_cmp_eq_u64 s[12:13], s[42:43]
	s_cbranch_scc0 .LBB870_196
; %bb.199:                              ;   in Loop: Header=BB870_198 Depth=1
                                        ; implicit-def: $vgpr32_vgpr33
                                        ; implicit-def: $vgpr34_vgpr35
	s_mov_b64 s[42:43], s[26:27]
	s_branch .LBB870_197
.LBB870_200:
                                        ; implicit-def: $sgpr14_sgpr15
                                        ; implicit-def: $vgpr49
                                        ; implicit-def: $vgpr48
                                        ; implicit-def: $vgpr39
                                        ; implicit-def: $vgpr34
                                        ; implicit-def: $vgpr30_vgpr31
	s_cbranch_execnz .LBB870_260
	s_branch .LBB870_340
.LBB870_201:
	s_or_b64 exec, exec, s[16:17]
	v_cmp_gt_i64_e32 vcc, s[26:27], v[36:37]
	s_orn2_b64 s[12:13], vcc, exec
.LBB870_202:
	s_or_b64 exec, exec, s[14:15]
.LBB870_203:
	v_mul_lo_u32 v34, v15, s26
	v_mul_lo_u32 v35, v14, s27
	v_mad_u64_u32 v[32:33], s[14:15], v14, s26, 0
	v_add3_u32 v33, v33, v35, v34
	s_mov_b64 s[14:15], 0
	s_and_b64 vcc, exec, s[4:5]
	v_lshl_add_u64 v[32:33], v[32:33], 3, s[36:37]
	s_mov_b64 s[16:17], 0
	s_cbranch_vccnz .LBB870_212
; %bb.204:
	global_load_dwordx2 v[34:35], v[32:33], off
	global_load_dwordx2 v[36:37], v[30:31], off
	s_mov_b64 s[16:17], -1
	s_waitcnt vmcnt(0)
	v_cmp_eq_f64_e32 vcc, v[34:35], v[36:37]
	s_and_saveexec_b64 s[40:41], vcc
	s_cbranch_execz .LBB870_211
; %bb.205:
	s_add_u32 s16, s26, -1
	v_lshl_add_u64 v[30:31], v[30:31], 0, 8
	v_lshl_add_u64 v[34:35], v[32:33], 0, 8
	s_addc_u32 s17, s27, -1
	s_mov_b64 s[42:43], 0
	s_mov_b64 s[46:47], 0
                                        ; implicit-def: $sgpr44_sgpr45
	s_branch .LBB870_208
.LBB870_206:                            ;   in Loop: Header=BB870_208 Depth=1
	global_load_dwordx2 v[36:37], v[34:35], off
	global_load_dwordx2 v[46:47], v[30:31], off
	s_add_u32 s46, s46, 1
	s_addc_u32 s47, s47, 0
	s_andn2_b64 s[44:45], s[44:45], exec
	v_lshl_add_u64 v[30:31], v[30:31], 0, 8
	v_lshl_add_u64 v[34:35], v[34:35], 0, 8
	s_waitcnt vmcnt(0)
	v_cmp_neq_f64_e32 vcc, v[36:37], v[46:47]
	s_and_b64 s[48:49], vcc, exec
	s_or_b64 s[44:45], s[44:45], s[48:49]
.LBB870_207:                            ;   in Loop: Header=BB870_208 Depth=1
	s_and_b64 s[48:49], exec, s[44:45]
	s_or_b64 s[42:43], s[48:49], s[42:43]
	v_mov_b64_e32 v[36:37], s[46:47]
	s_andn2_b64 exec, exec, s[42:43]
	s_cbranch_execz .LBB870_210
.LBB870_208:                            ; =>This Inner Loop Header: Depth=1
	s_or_b64 s[44:45], s[44:45], exec
	s_cmp_eq_u64 s[16:17], s[46:47]
	s_cbranch_scc0 .LBB870_206
; %bb.209:                              ;   in Loop: Header=BB870_208 Depth=1
                                        ; implicit-def: $vgpr30_vgpr31
                                        ; implicit-def: $vgpr34_vgpr35
	s_mov_b64 s[46:47], s[26:27]
	s_branch .LBB870_207
.LBB870_210:
	s_or_b64 exec, exec, s[42:43]
	v_cmp_gt_i64_e32 vcc, s[26:27], v[36:37]
	s_orn2_b64 s[16:17], vcc, exec
.LBB870_211:
	s_or_b64 exec, exec, s[40:41]
.LBB870_212:
	v_mul_lo_u32 v34, v21, s26
	v_mul_lo_u32 v35, v20, s27
	v_mad_u64_u32 v[30:31], s[40:41], v20, s26, 0
	v_add3_u32 v31, v31, v35, v34
	s_and_b64 vcc, exec, s[4:5]
	v_lshl_add_u64 v[30:31], v[30:31], 3, s[36:37]
	s_cbranch_vccnz .LBB870_221
; %bb.213:
	global_load_dwordx2 v[34:35], v[30:31], off
	global_load_dwordx2 v[36:37], v[32:33], off
	s_mov_b64 s[14:15], -1
	s_waitcnt vmcnt(0)
	v_cmp_eq_f64_e32 vcc, v[34:35], v[36:37]
	s_and_saveexec_b64 s[40:41], vcc
	s_cbranch_execz .LBB870_220
; %bb.214:
	s_add_u32 s14, s26, -1
	v_lshl_add_u64 v[32:33], v[32:33], 0, 8
	v_lshl_add_u64 v[34:35], v[30:31], 0, 8
	s_addc_u32 s15, s27, -1
	s_mov_b64 s[42:43], 0
	s_mov_b64 s[46:47], 0
                                        ; implicit-def: $sgpr44_sgpr45
	s_branch .LBB870_217
.LBB870_215:                            ;   in Loop: Header=BB870_217 Depth=1
	global_load_dwordx2 v[36:37], v[34:35], off
	global_load_dwordx2 v[46:47], v[32:33], off
	s_add_u32 s46, s46, 1
	s_addc_u32 s47, s47, 0
	s_andn2_b64 s[44:45], s[44:45], exec
	v_lshl_add_u64 v[32:33], v[32:33], 0, 8
	v_lshl_add_u64 v[34:35], v[34:35], 0, 8
	s_waitcnt vmcnt(0)
	v_cmp_neq_f64_e32 vcc, v[36:37], v[46:47]
	s_and_b64 s[48:49], vcc, exec
	s_or_b64 s[44:45], s[44:45], s[48:49]
.LBB870_216:                            ;   in Loop: Header=BB870_217 Depth=1
	s_and_b64 s[48:49], exec, s[44:45]
	s_or_b64 s[42:43], s[48:49], s[42:43]
	v_mov_b64_e32 v[36:37], s[46:47]
	s_andn2_b64 exec, exec, s[42:43]
	s_cbranch_execz .LBB870_219
.LBB870_217:                            ; =>This Inner Loop Header: Depth=1
	s_or_b64 s[44:45], s[44:45], exec
	s_cmp_eq_u64 s[14:15], s[46:47]
	s_cbranch_scc0 .LBB870_215
; %bb.218:                              ;   in Loop: Header=BB870_217 Depth=1
                                        ; implicit-def: $vgpr32_vgpr33
                                        ; implicit-def: $vgpr34_vgpr35
	s_mov_b64 s[46:47], s[26:27]
	s_branch .LBB870_216
.LBB870_219:
	s_or_b64 exec, exec, s[42:43]
	v_cmp_gt_i64_e32 vcc, s[26:27], v[36:37]
	s_orn2_b64 s[14:15], vcc, exec
.LBB870_220:
	s_or_b64 exec, exec, s[40:41]
.LBB870_221:
	v_mul_lo_u32 v34, v19, s26
	v_mul_lo_u32 v35, v18, s27
	v_mad_u64_u32 v[32:33], s[40:41], v18, s26, 0
	v_add3_u32 v33, v33, v35, v34
	s_mov_b64 s[40:41], 0
	s_and_b64 vcc, exec, s[4:5]
	v_lshl_add_u64 v[32:33], v[32:33], 3, s[36:37]
	s_mov_b64 s[42:43], 0
	s_cbranch_vccnz .LBB870_230
; %bb.222:
	global_load_dwordx2 v[34:35], v[32:33], off
	global_load_dwordx2 v[36:37], v[30:31], off
	s_mov_b64 s[42:43], -1
	s_waitcnt vmcnt(0)
	v_cmp_eq_f64_e32 vcc, v[34:35], v[36:37]
	s_and_saveexec_b64 s[44:45], vcc
	s_cbranch_execz .LBB870_229
; %bb.223:
	s_add_u32 s42, s26, -1
	v_lshl_add_u64 v[30:31], v[30:31], 0, 8
	v_lshl_add_u64 v[34:35], v[32:33], 0, 8
	s_addc_u32 s43, s27, -1
	s_mov_b64 s[46:47], 0
	s_mov_b64 s[50:51], 0
                                        ; implicit-def: $sgpr48_sgpr49
	s_branch .LBB870_226
.LBB870_224:                            ;   in Loop: Header=BB870_226 Depth=1
	global_load_dwordx2 v[36:37], v[34:35], off
	global_load_dwordx2 v[46:47], v[30:31], off
	s_add_u32 s50, s50, 1
	s_addc_u32 s51, s51, 0
	s_andn2_b64 s[48:49], s[48:49], exec
	v_lshl_add_u64 v[30:31], v[30:31], 0, 8
	v_lshl_add_u64 v[34:35], v[34:35], 0, 8
	s_waitcnt vmcnt(0)
	v_cmp_neq_f64_e32 vcc, v[36:37], v[46:47]
	s_and_b64 s[52:53], vcc, exec
	s_or_b64 s[48:49], s[48:49], s[52:53]
.LBB870_225:                            ;   in Loop: Header=BB870_226 Depth=1
	s_and_b64 s[52:53], exec, s[48:49]
	s_or_b64 s[46:47], s[52:53], s[46:47]
	v_mov_b64_e32 v[36:37], s[50:51]
	s_andn2_b64 exec, exec, s[46:47]
	s_cbranch_execz .LBB870_228
.LBB870_226:                            ; =>This Inner Loop Header: Depth=1
	s_or_b64 s[48:49], s[48:49], exec
	s_cmp_eq_u64 s[42:43], s[50:51]
	s_cbranch_scc0 .LBB870_224
; %bb.227:                              ;   in Loop: Header=BB870_226 Depth=1
                                        ; implicit-def: $vgpr30_vgpr31
                                        ; implicit-def: $vgpr34_vgpr35
	s_mov_b64 s[50:51], s[26:27]
	s_branch .LBB870_225
.LBB870_228:
	s_or_b64 exec, exec, s[46:47]
	v_cmp_gt_i64_e32 vcc, s[26:27], v[36:37]
	s_orn2_b64 s[42:43], vcc, exec
.LBB870_229:
	s_or_b64 exec, exec, s[44:45]
.LBB870_230:
	v_mul_lo_u32 v34, v25, s26
	v_mul_lo_u32 v35, v24, s27
	v_mad_u64_u32 v[30:31], s[44:45], v24, s26, 0
	v_add3_u32 v31, v31, v35, v34
	s_and_b64 vcc, exec, s[4:5]
	v_lshl_add_u64 v[30:31], v[30:31], 3, s[36:37]
	s_cbranch_vccnz .LBB870_239
; %bb.231:
	global_load_dwordx2 v[34:35], v[30:31], off
	global_load_dwordx2 v[36:37], v[32:33], off
	s_mov_b64 s[40:41], -1
	s_waitcnt vmcnt(0)
	v_cmp_eq_f64_e32 vcc, v[34:35], v[36:37]
	s_and_saveexec_b64 s[44:45], vcc
	s_cbranch_execz .LBB870_238
; %bb.232:
	s_add_u32 s40, s26, -1
	v_lshl_add_u64 v[32:33], v[32:33], 0, 8
	v_lshl_add_u64 v[34:35], v[30:31], 0, 8
	s_addc_u32 s41, s27, -1
	s_mov_b64 s[46:47], 0
	s_mov_b64 s[50:51], 0
                                        ; implicit-def: $sgpr48_sgpr49
	s_branch .LBB870_235
.LBB870_233:                            ;   in Loop: Header=BB870_235 Depth=1
	global_load_dwordx2 v[36:37], v[34:35], off
	global_load_dwordx2 v[46:47], v[32:33], off
	s_add_u32 s50, s50, 1
	s_addc_u32 s51, s51, 0
	s_andn2_b64 s[48:49], s[48:49], exec
	v_lshl_add_u64 v[32:33], v[32:33], 0, 8
	v_lshl_add_u64 v[34:35], v[34:35], 0, 8
	s_waitcnt vmcnt(0)
	v_cmp_neq_f64_e32 vcc, v[36:37], v[46:47]
	s_and_b64 s[52:53], vcc, exec
	s_or_b64 s[48:49], s[48:49], s[52:53]
.LBB870_234:                            ;   in Loop: Header=BB870_235 Depth=1
	s_and_b64 s[52:53], exec, s[48:49]
	s_or_b64 s[46:47], s[52:53], s[46:47]
	v_mov_b64_e32 v[36:37], s[50:51]
	s_andn2_b64 exec, exec, s[46:47]
	s_cbranch_execz .LBB870_237
.LBB870_235:                            ; =>This Inner Loop Header: Depth=1
	s_or_b64 s[48:49], s[48:49], exec
	s_cmp_eq_u64 s[40:41], s[50:51]
	s_cbranch_scc0 .LBB870_233
; %bb.236:                              ;   in Loop: Header=BB870_235 Depth=1
                                        ; implicit-def: $vgpr32_vgpr33
                                        ; implicit-def: $vgpr34_vgpr35
	s_mov_b64 s[50:51], s[26:27]
	s_branch .LBB870_234
.LBB870_237:
	s_or_b64 exec, exec, s[46:47]
	v_cmp_gt_i64_e32 vcc, s[26:27], v[36:37]
	s_orn2_b64 s[40:41], vcc, exec
.LBB870_238:
	s_or_b64 exec, exec, s[44:45]
.LBB870_239:
	v_mul_lo_u32 v34, v23, s26
	v_mul_lo_u32 v35, v22, s27
	v_mad_u64_u32 v[32:33], s[44:45], v22, s26, 0
	v_add3_u32 v33, v33, v35, v34
	s_and_b64 vcc, exec, s[4:5]
	s_mov_b64 s[46:47], 0
	s_cbranch_vccnz .LBB870_248
; %bb.240:
	v_lshl_add_u64 v[34:35], v[32:33], 3, s[36:37]
	global_load_dwordx2 v[36:37], v[34:35], off
	global_load_dwordx2 v[46:47], v[30:31], off
	s_mov_b64 s[46:47], -1
	s_waitcnt vmcnt(0)
	v_cmp_eq_f64_e32 vcc, v[36:37], v[46:47]
	s_and_saveexec_b64 s[44:45], vcc
	s_cbranch_execz .LBB870_247
; %bb.241:
	s_add_u32 s46, s26, -1
	v_lshl_add_u64 v[30:31], v[30:31], 0, 8
	v_lshl_add_u64 v[34:35], v[34:35], 0, 8
	s_addc_u32 s47, s27, -1
	s_mov_b64 s[48:49], 0
	s_mov_b64 s[52:53], 0
                                        ; implicit-def: $sgpr50_sgpr51
	s_branch .LBB870_244
.LBB870_242:                            ;   in Loop: Header=BB870_244 Depth=1
	global_load_dwordx2 v[36:37], v[34:35], off
	global_load_dwordx2 v[46:47], v[30:31], off
	s_add_u32 s52, s52, 1
	s_addc_u32 s53, s53, 0
	s_andn2_b64 s[50:51], s[50:51], exec
	v_lshl_add_u64 v[30:31], v[30:31], 0, 8
	v_lshl_add_u64 v[34:35], v[34:35], 0, 8
	s_waitcnt vmcnt(0)
	v_cmp_neq_f64_e32 vcc, v[36:37], v[46:47]
	s_and_b64 s[56:57], vcc, exec
	s_or_b64 s[50:51], s[50:51], s[56:57]
.LBB870_243:                            ;   in Loop: Header=BB870_244 Depth=1
	s_and_b64 s[56:57], exec, s[50:51]
	s_or_b64 s[48:49], s[56:57], s[48:49]
	v_mov_b64_e32 v[36:37], s[52:53]
	s_andn2_b64 exec, exec, s[48:49]
	s_cbranch_execz .LBB870_246
.LBB870_244:                            ; =>This Inner Loop Header: Depth=1
	s_or_b64 s[50:51], s[50:51], exec
	s_cmp_eq_u64 s[46:47], s[52:53]
	s_cbranch_scc0 .LBB870_242
; %bb.245:                              ;   in Loop: Header=BB870_244 Depth=1
                                        ; implicit-def: $vgpr30_vgpr31
                                        ; implicit-def: $vgpr34_vgpr35
	s_mov_b64 s[52:53], s[26:27]
	s_branch .LBB870_243
.LBB870_246:
	s_or_b64 exec, exec, s[48:49]
	v_cmp_gt_i64_e32 vcc, s[26:27], v[36:37]
	s_orn2_b64 s[46:47], vcc, exec
.LBB870_247:
	s_or_b64 exec, exec, s[44:45]
.LBB870_248:
	v_cndmask_b32_e64 v31, 0, 1, s[42:43]
	v_cndmask_b32_e64 v30, 0, 1, s[40:41]
	v_cndmask_b32_e64 v48, 0, 1, s[16:17]
	v_lshlrev_b16_e32 v31, 8, v31
	v_cndmask_b32_e64 v39, 0, 1, s[14:15]
	v_cndmask_b32_e64 v34, 0, 1, s[46:47]
	v_or_b32_sdwa v30, v30, v31 dst_sel:WORD_1 dst_unused:UNUSED_PAD src0_sel:DWORD src1_sel:DWORD
	v_lshlrev_b16_e32 v31, 8, v48
	v_lshlrev_b16_e32 v34, 8, v34
	v_or_b32_e32 v31, v39, v31
	v_or_b32_e32 v34, 1, v34
	v_and_b32_e32 v31, 0xffff, v31
	v_cndmask_b32_e64 v49, 0, 1, s[12:13]
	v_or_b32_sdwa v30, v34, v30 dst_sel:DWORD dst_unused:UNUSED_PAD src0_sel:WORD_0 src1_sel:DWORD
	v_lshl_or_b32 v31, v49, 16, v31
	s_waitcnt lgkmcnt(0)
	s_barrier
	s_waitcnt lgkmcnt(0)
                                        ; implicit-def: $sgpr14_sgpr15
                                        ; implicit-def: $vgpr34
	s_and_saveexec_b64 s[12:13], s[2:3]
	s_xor_b64 s[12:13], exec, s[12:13]
	s_cbranch_execz .LBB870_259
; %bb.249:
	s_mov_b32 s44, 0x3020104
	s_and_b64 vcc, exec, s[4:5]
	s_mov_b64 s[14:15], 0
	s_cbranch_vccnz .LBB870_258
; %bb.250:
	v_add_u32_e32 v31, -8, v38
	ds_read_b64 v[34:35], v31
	v_lshl_add_u64 v[32:33], v[32:33], 3, s[36:37]
	s_mov_b64 s[14:15], -1
	s_waitcnt lgkmcnt(0)
	v_mul_lo_u32 v31, v35, s26
	v_mul_lo_u32 v36, v34, s27
	v_mad_u64_u32 v[34:35], s[4:5], v34, s26, 0
	v_add3_u32 v35, v35, v36, v31
	v_lshl_add_u64 v[34:35], v[34:35], 3, s[36:37]
	global_load_dwordx2 v[36:37], v[34:35], off
	global_load_dwordx2 v[46:47], v[32:33], off
	s_waitcnt vmcnt(0)
	v_cmp_eq_f64_e32 vcc, v[36:37], v[46:47]
	s_and_saveexec_b64 s[4:5], vcc
	s_cbranch_execz .LBB870_257
; %bb.251:
	s_add_u32 s14, s26, -1
	v_lshl_add_u64 v[32:33], v[32:33], 0, 8
	v_lshl_add_u64 v[34:35], v[34:35], 0, 8
	s_addc_u32 s15, s27, -1
	s_mov_b64 s[16:17], 0
	s_mov_b64 s[42:43], 0
                                        ; implicit-def: $sgpr40_sgpr41
	s_branch .LBB870_254
.LBB870_252:                            ;   in Loop: Header=BB870_254 Depth=1
	global_load_dwordx2 v[36:37], v[34:35], off
	global_load_dwordx2 v[46:47], v[32:33], off
	s_add_u32 s42, s42, 1
	s_addc_u32 s43, s43, 0
	s_andn2_b64 s[40:41], s[40:41], exec
	v_lshl_add_u64 v[32:33], v[32:33], 0, 8
	v_lshl_add_u64 v[34:35], v[34:35], 0, 8
	s_waitcnt vmcnt(0)
	v_cmp_neq_f64_e32 vcc, v[36:37], v[46:47]
	s_and_b64 s[46:47], vcc, exec
	s_or_b64 s[40:41], s[40:41], s[46:47]
.LBB870_253:                            ;   in Loop: Header=BB870_254 Depth=1
	s_and_b64 s[46:47], exec, s[40:41]
	s_or_b64 s[16:17], s[46:47], s[16:17]
	v_mov_b64_e32 v[36:37], s[42:43]
	s_andn2_b64 exec, exec, s[16:17]
	s_cbranch_execz .LBB870_256
.LBB870_254:                            ; =>This Inner Loop Header: Depth=1
	s_or_b64 s[40:41], s[40:41], exec
	s_cmp_eq_u64 s[14:15], s[42:43]
	s_cbranch_scc0 .LBB870_252
; %bb.255:                              ;   in Loop: Header=BB870_254 Depth=1
                                        ; implicit-def: $vgpr32_vgpr33
                                        ; implicit-def: $vgpr34_vgpr35
	s_mov_b64 s[42:43], s[26:27]
	s_branch .LBB870_253
.LBB870_256:
	s_or_b64 exec, exec, s[16:17]
	v_cmp_gt_i64_e32 vcc, s[26:27], v[36:37]
	s_orn2_b64 s[14:15], vcc, exec
.LBB870_257:
	s_or_b64 exec, exec, s[4:5]
.LBB870_258:
	v_perm_b32 v34, v30, v30, s44
	s_and_b64 s[14:15], s[14:15], exec
	s_or_b64 s[10:11], s[10:11], exec
                                        ; implicit-def: $vgpr30_vgpr31
.LBB870_259:
	s_or_b64 exec, exec, s[12:13]
	s_branch .LBB870_340
.LBB870_260:
	v_cmp_gt_u32_e32 vcc, s54, v42
	s_mov_b64 s[12:13], 0
	s_mov_b64 s[4:5], 0
	s_and_saveexec_b64 s[14:15], vcc
	s_cbranch_execz .LBB870_271
; %bb.261:
	s_andn2_b64 vcc, exec, s[6:7]
	s_mov_b64 s[16:17], 0
	s_cbranch_vccnz .LBB870_270
; %bb.262:
	v_mul_lo_u32 v32, v17, s26
	v_mul_lo_u32 v33, v16, s27
	s_waitcnt vmcnt(0) lgkmcnt(1)
	v_mad_u64_u32 v[30:31], s[4:5], v16, s26, 0
	v_add3_u32 v31, v31, v33, v32
	v_mul_lo_u32 v32, v29, s26
	v_mul_lo_u32 v33, v28, s27
	v_mad_u64_u32 v[34:35], s[4:5], v28, s26, 0
	v_add3_u32 v35, v35, v33, v32
	v_lshl_add_u64 v[32:33], v[30:31], 3, s[36:37]
	v_lshl_add_u64 v[30:31], v[34:35], 3, s[36:37]
	global_load_dwordx2 v[34:35], v[32:33], off
	global_load_dwordx2 v[36:37], v[30:31], off
	s_mov_b64 s[16:17], -1
	s_waitcnt vmcnt(0)
	v_cmp_eq_f64_e32 vcc, v[34:35], v[36:37]
	s_and_saveexec_b64 s[4:5], vcc
	s_cbranch_execz .LBB870_269
; %bb.263:
	s_add_u32 s16, s26, -1
	v_lshl_add_u64 v[30:31], v[30:31], 0, 8
	v_lshl_add_u64 v[32:33], v[32:33], 0, 8
	s_addc_u32 s17, s27, -1
	s_mov_b64 s[40:41], 0
	s_mov_b64 s[44:45], 0
                                        ; implicit-def: $sgpr42_sgpr43
	s_branch .LBB870_266
.LBB870_264:                            ;   in Loop: Header=BB870_266 Depth=1
	global_load_dwordx2 v[34:35], v[32:33], off
	global_load_dwordx2 v[36:37], v[30:31], off
	s_add_u32 s44, s44, 1
	s_addc_u32 s45, s45, 0
	s_andn2_b64 s[42:43], s[42:43], exec
	v_lshl_add_u64 v[30:31], v[30:31], 0, 8
	v_lshl_add_u64 v[32:33], v[32:33], 0, 8
	s_waitcnt vmcnt(0)
	v_cmp_neq_f64_e32 vcc, v[34:35], v[36:37]
	s_and_b64 s[46:47], vcc, exec
	s_or_b64 s[42:43], s[42:43], s[46:47]
.LBB870_265:                            ;   in Loop: Header=BB870_266 Depth=1
	s_and_b64 s[46:47], exec, s[42:43]
	s_or_b64 s[40:41], s[46:47], s[40:41]
	v_mov_b64_e32 v[34:35], s[44:45]
	s_andn2_b64 exec, exec, s[40:41]
	s_cbranch_execz .LBB870_268
.LBB870_266:                            ; =>This Inner Loop Header: Depth=1
	s_or_b64 s[42:43], s[42:43], exec
	s_cmp_eq_u64 s[16:17], s[44:45]
	s_cbranch_scc0 .LBB870_264
; %bb.267:                              ;   in Loop: Header=BB870_266 Depth=1
                                        ; implicit-def: $vgpr30_vgpr31
                                        ; implicit-def: $vgpr32_vgpr33
	s_mov_b64 s[44:45], s[26:27]
	s_branch .LBB870_265
.LBB870_268:
	s_or_b64 exec, exec, s[40:41]
	v_cmp_gt_i64_e32 vcc, s[26:27], v[34:35]
	s_orn2_b64 s[16:17], vcc, exec
.LBB870_269:
	s_or_b64 exec, exec, s[4:5]
.LBB870_270:
	s_and_b64 s[4:5], s[16:17], exec
.LBB870_271:
	s_or_b64 exec, exec, s[14:15]
	v_cmp_gt_u32_e32 vcc, s54, v45
	s_and_saveexec_b64 s[14:15], vcc
	s_cbranch_execz .LBB870_282
; %bb.272:
	s_andn2_b64 vcc, exec, s[6:7]
	s_mov_b64 s[16:17], 0
	s_cbranch_vccnz .LBB870_281
; %bb.273:
	v_mul_lo_u32 v32, v15, s26
	v_mul_lo_u32 v33, v14, s27
	s_waitcnt vmcnt(0) lgkmcnt(1)
	v_mad_u64_u32 v[30:31], s[12:13], v14, s26, 0
	v_add3_u32 v31, v31, v33, v32
	v_mul_lo_u32 v32, v17, s26
	v_mul_lo_u32 v33, v16, s27
	v_mad_u64_u32 v[34:35], s[12:13], v16, s26, 0
	v_add3_u32 v35, v35, v33, v32
	v_lshl_add_u64 v[32:33], v[30:31], 3, s[36:37]
	v_lshl_add_u64 v[30:31], v[34:35], 3, s[36:37]
	global_load_dwordx2 v[34:35], v[32:33], off
	global_load_dwordx2 v[36:37], v[30:31], off
	s_mov_b64 s[16:17], -1
	s_waitcnt vmcnt(0)
	v_cmp_eq_f64_e32 vcc, v[34:35], v[36:37]
	s_and_saveexec_b64 s[12:13], vcc
	s_cbranch_execz .LBB870_280
; %bb.274:
	s_add_u32 s16, s26, -1
	v_lshl_add_u64 v[30:31], v[30:31], 0, 8
	v_lshl_add_u64 v[32:33], v[32:33], 0, 8
	s_addc_u32 s17, s27, -1
	s_mov_b64 s[40:41], 0
	s_mov_b64 s[44:45], 0
                                        ; implicit-def: $sgpr42_sgpr43
	s_branch .LBB870_277
.LBB870_275:                            ;   in Loop: Header=BB870_277 Depth=1
	global_load_dwordx2 v[34:35], v[32:33], off
	global_load_dwordx2 v[36:37], v[30:31], off
	s_add_u32 s44, s44, 1
	s_addc_u32 s45, s45, 0
	s_andn2_b64 s[42:43], s[42:43], exec
	v_lshl_add_u64 v[30:31], v[30:31], 0, 8
	v_lshl_add_u64 v[32:33], v[32:33], 0, 8
	s_waitcnt vmcnt(0)
	v_cmp_neq_f64_e32 vcc, v[34:35], v[36:37]
	s_and_b64 s[46:47], vcc, exec
	s_or_b64 s[42:43], s[42:43], s[46:47]
.LBB870_276:                            ;   in Loop: Header=BB870_277 Depth=1
	s_and_b64 s[46:47], exec, s[42:43]
	s_or_b64 s[40:41], s[46:47], s[40:41]
	v_mov_b64_e32 v[34:35], s[44:45]
	s_andn2_b64 exec, exec, s[40:41]
	s_cbranch_execz .LBB870_279
.LBB870_277:                            ; =>This Inner Loop Header: Depth=1
	s_or_b64 s[42:43], s[42:43], exec
	s_cmp_eq_u64 s[16:17], s[44:45]
	s_cbranch_scc0 .LBB870_275
; %bb.278:                              ;   in Loop: Header=BB870_277 Depth=1
                                        ; implicit-def: $vgpr30_vgpr31
                                        ; implicit-def: $vgpr32_vgpr33
	s_mov_b64 s[44:45], s[26:27]
	s_branch .LBB870_276
.LBB870_279:
	s_or_b64 exec, exec, s[40:41]
	v_cmp_gt_i64_e32 vcc, s[26:27], v[34:35]
	s_orn2_b64 s[16:17], vcc, exec
.LBB870_280:
	s_or_b64 exec, exec, s[12:13]
.LBB870_281:
	s_and_b64 s[12:13], s[16:17], exec
.LBB870_282:
	s_or_b64 exec, exec, s[14:15]
	v_cmp_gt_u32_e32 vcc, s54, v41
	s_mov_b64 s[16:17], 0
	s_mov_b64 s[14:15], 0
	s_and_saveexec_b64 s[40:41], vcc
	s_cbranch_execz .LBB870_293
; %bb.283:
	s_andn2_b64 vcc, exec, s[6:7]
	s_mov_b64 s[42:43], 0
	s_cbranch_vccnz .LBB870_292
; %bb.284:
	v_mul_lo_u32 v32, v21, s26
	v_mul_lo_u32 v33, v20, s27
	s_waitcnt vmcnt(0) lgkmcnt(1)
	v_mad_u64_u32 v[30:31], s[14:15], v20, s26, 0
	v_add3_u32 v31, v31, v33, v32
	v_mul_lo_u32 v32, v15, s26
	v_mul_lo_u32 v33, v14, s27
	v_mad_u64_u32 v[34:35], s[14:15], v14, s26, 0
	v_add3_u32 v35, v35, v33, v32
	v_lshl_add_u64 v[32:33], v[30:31], 3, s[36:37]
	v_lshl_add_u64 v[30:31], v[34:35], 3, s[36:37]
	global_load_dwordx2 v[34:35], v[32:33], off
	global_load_dwordx2 v[36:37], v[30:31], off
	s_mov_b64 s[42:43], -1
	s_waitcnt vmcnt(0)
	v_cmp_eq_f64_e32 vcc, v[34:35], v[36:37]
	s_and_saveexec_b64 s[14:15], vcc
	s_cbranch_execz .LBB870_291
; %bb.285:
	s_add_u32 s42, s26, -1
	v_lshl_add_u64 v[30:31], v[30:31], 0, 8
	v_lshl_add_u64 v[32:33], v[32:33], 0, 8
	s_addc_u32 s43, s27, -1
	s_mov_b64 s[44:45], 0
	s_mov_b64 s[48:49], 0
                                        ; implicit-def: $sgpr46_sgpr47
	s_branch .LBB870_288
.LBB870_286:                            ;   in Loop: Header=BB870_288 Depth=1
	global_load_dwordx2 v[34:35], v[32:33], off
	global_load_dwordx2 v[36:37], v[30:31], off
	s_add_u32 s48, s48, 1
	s_addc_u32 s49, s49, 0
	s_andn2_b64 s[46:47], s[46:47], exec
	v_lshl_add_u64 v[30:31], v[30:31], 0, 8
	v_lshl_add_u64 v[32:33], v[32:33], 0, 8
	s_waitcnt vmcnt(0)
	v_cmp_neq_f64_e32 vcc, v[34:35], v[36:37]
	s_and_b64 s[50:51], vcc, exec
	s_or_b64 s[46:47], s[46:47], s[50:51]
.LBB870_287:                            ;   in Loop: Header=BB870_288 Depth=1
	s_and_b64 s[50:51], exec, s[46:47]
	s_or_b64 s[44:45], s[50:51], s[44:45]
	v_mov_b64_e32 v[34:35], s[48:49]
	s_andn2_b64 exec, exec, s[44:45]
	s_cbranch_execz .LBB870_290
.LBB870_288:                            ; =>This Inner Loop Header: Depth=1
	s_or_b64 s[46:47], s[46:47], exec
	s_cmp_eq_u64 s[42:43], s[48:49]
	s_cbranch_scc0 .LBB870_286
; %bb.289:                              ;   in Loop: Header=BB870_288 Depth=1
                                        ; implicit-def: $vgpr30_vgpr31
                                        ; implicit-def: $vgpr32_vgpr33
	s_mov_b64 s[48:49], s[26:27]
	s_branch .LBB870_287
.LBB870_290:
	s_or_b64 exec, exec, s[44:45]
	v_cmp_gt_i64_e32 vcc, s[26:27], v[34:35]
	s_orn2_b64 s[42:43], vcc, exec
.LBB870_291:
	s_or_b64 exec, exec, s[14:15]
.LBB870_292:
	s_and_b64 s[14:15], s[42:43], exec
.LBB870_293:
	s_or_b64 exec, exec, s[40:41]
	v_cmp_gt_u32_e32 vcc, s54, v44
	s_and_saveexec_b64 s[40:41], vcc
	s_cbranch_execz .LBB870_304
; %bb.294:
	s_andn2_b64 vcc, exec, s[6:7]
	s_mov_b64 s[42:43], 0
	s_cbranch_vccnz .LBB870_303
; %bb.295:
	v_mul_lo_u32 v32, v19, s26
	v_mul_lo_u32 v33, v18, s27
	s_waitcnt vmcnt(0) lgkmcnt(1)
	v_mad_u64_u32 v[30:31], s[16:17], v18, s26, 0
	v_add3_u32 v31, v31, v33, v32
	v_mul_lo_u32 v32, v21, s26
	v_mul_lo_u32 v33, v20, s27
	v_mad_u64_u32 v[34:35], s[16:17], v20, s26, 0
	v_add3_u32 v35, v35, v33, v32
	v_lshl_add_u64 v[32:33], v[30:31], 3, s[36:37]
	v_lshl_add_u64 v[30:31], v[34:35], 3, s[36:37]
	global_load_dwordx2 v[34:35], v[32:33], off
	global_load_dwordx2 v[36:37], v[30:31], off
	s_mov_b64 s[42:43], -1
	s_waitcnt vmcnt(0)
	v_cmp_eq_f64_e32 vcc, v[34:35], v[36:37]
	s_and_saveexec_b64 s[16:17], vcc
	s_cbranch_execz .LBB870_302
; %bb.296:
	s_add_u32 s42, s26, -1
	v_lshl_add_u64 v[30:31], v[30:31], 0, 8
	v_lshl_add_u64 v[32:33], v[32:33], 0, 8
	s_addc_u32 s43, s27, -1
	s_mov_b64 s[44:45], 0
	s_mov_b64 s[48:49], 0
                                        ; implicit-def: $sgpr46_sgpr47
	s_branch .LBB870_299
.LBB870_297:                            ;   in Loop: Header=BB870_299 Depth=1
	global_load_dwordx2 v[34:35], v[32:33], off
	global_load_dwordx2 v[36:37], v[30:31], off
	s_add_u32 s48, s48, 1
	s_addc_u32 s49, s49, 0
	s_andn2_b64 s[46:47], s[46:47], exec
	v_lshl_add_u64 v[30:31], v[30:31], 0, 8
	v_lshl_add_u64 v[32:33], v[32:33], 0, 8
	s_waitcnt vmcnt(0)
	v_cmp_neq_f64_e32 vcc, v[34:35], v[36:37]
	s_and_b64 s[50:51], vcc, exec
	s_or_b64 s[46:47], s[46:47], s[50:51]
.LBB870_298:                            ;   in Loop: Header=BB870_299 Depth=1
	s_and_b64 s[50:51], exec, s[46:47]
	s_or_b64 s[44:45], s[50:51], s[44:45]
	v_mov_b64_e32 v[34:35], s[48:49]
	s_andn2_b64 exec, exec, s[44:45]
	s_cbranch_execz .LBB870_301
.LBB870_299:                            ; =>This Inner Loop Header: Depth=1
	s_or_b64 s[46:47], s[46:47], exec
	s_cmp_eq_u64 s[42:43], s[48:49]
	s_cbranch_scc0 .LBB870_297
; %bb.300:                              ;   in Loop: Header=BB870_299 Depth=1
                                        ; implicit-def: $vgpr30_vgpr31
                                        ; implicit-def: $vgpr32_vgpr33
	s_mov_b64 s[48:49], s[26:27]
	s_branch .LBB870_298
.LBB870_301:
	s_or_b64 exec, exec, s[44:45]
	v_cmp_gt_i64_e32 vcc, s[26:27], v[34:35]
	s_orn2_b64 s[42:43], vcc, exec
.LBB870_302:
	s_or_b64 exec, exec, s[16:17]
.LBB870_303:
	s_and_b64 s[16:17], s[42:43], exec
.LBB870_304:
	s_or_b64 exec, exec, s[40:41]
	v_cmp_gt_u32_e32 vcc, s54, v40
	s_mov_b64 s[40:41], 0
	s_mov_b64 s[42:43], 0
	s_and_saveexec_b64 s[44:45], vcc
	s_cbranch_execz .LBB870_315
; %bb.305:
	s_andn2_b64 vcc, exec, s[6:7]
	s_mov_b64 s[46:47], 0
	s_cbranch_vccnz .LBB870_314
; %bb.306:
	v_mul_lo_u32 v32, v25, s26
	v_mul_lo_u32 v33, v24, s27
	s_waitcnt vmcnt(0) lgkmcnt(1)
	v_mad_u64_u32 v[30:31], s[42:43], v24, s26, 0
	v_add3_u32 v31, v31, v33, v32
	v_mul_lo_u32 v32, v19, s26
	v_mul_lo_u32 v33, v18, s27
	v_mad_u64_u32 v[34:35], s[42:43], v18, s26, 0
	v_add3_u32 v35, v35, v33, v32
	v_lshl_add_u64 v[32:33], v[30:31], 3, s[36:37]
	v_lshl_add_u64 v[30:31], v[34:35], 3, s[36:37]
	global_load_dwordx2 v[34:35], v[32:33], off
	global_load_dwordx2 v[36:37], v[30:31], off
	s_mov_b64 s[46:47], -1
	s_waitcnt vmcnt(0)
	v_cmp_eq_f64_e32 vcc, v[34:35], v[36:37]
	s_and_saveexec_b64 s[42:43], vcc
	s_cbranch_execz .LBB870_313
; %bb.307:
	s_add_u32 s46, s26, -1
	v_lshl_add_u64 v[30:31], v[30:31], 0, 8
	v_lshl_add_u64 v[32:33], v[32:33], 0, 8
	s_addc_u32 s47, s27, -1
	s_mov_b64 s[48:49], 0
	s_mov_b64 s[52:53], 0
                                        ; implicit-def: $sgpr50_sgpr51
	s_branch .LBB870_310
.LBB870_308:                            ;   in Loop: Header=BB870_310 Depth=1
	global_load_dwordx2 v[34:35], v[32:33], off
	global_load_dwordx2 v[36:37], v[30:31], off
	s_add_u32 s52, s52, 1
	s_addc_u32 s53, s53, 0
	s_andn2_b64 s[50:51], s[50:51], exec
	v_lshl_add_u64 v[30:31], v[30:31], 0, 8
	v_lshl_add_u64 v[32:33], v[32:33], 0, 8
	s_waitcnt vmcnt(0)
	v_cmp_neq_f64_e32 vcc, v[34:35], v[36:37]
	s_and_b64 s[56:57], vcc, exec
	s_or_b64 s[50:51], s[50:51], s[56:57]
.LBB870_309:                            ;   in Loop: Header=BB870_310 Depth=1
	s_and_b64 s[56:57], exec, s[50:51]
	s_or_b64 s[48:49], s[56:57], s[48:49]
	v_mov_b64_e32 v[34:35], s[52:53]
	s_andn2_b64 exec, exec, s[48:49]
	s_cbranch_execz .LBB870_312
.LBB870_310:                            ; =>This Inner Loop Header: Depth=1
	s_or_b64 s[50:51], s[50:51], exec
	s_cmp_eq_u64 s[46:47], s[52:53]
	s_cbranch_scc0 .LBB870_308
; %bb.311:                              ;   in Loop: Header=BB870_310 Depth=1
                                        ; implicit-def: $vgpr30_vgpr31
                                        ; implicit-def: $vgpr32_vgpr33
	s_mov_b64 s[52:53], s[26:27]
	s_branch .LBB870_309
.LBB870_312:
	s_or_b64 exec, exec, s[48:49]
	v_cmp_gt_i64_e32 vcc, s[26:27], v[34:35]
	s_orn2_b64 s[46:47], vcc, exec
.LBB870_313:
	s_or_b64 exec, exec, s[42:43]
.LBB870_314:
	s_and_b64 s[42:43], s[46:47], exec
.LBB870_315:
	s_or_b64 exec, exec, s[44:45]
	v_cmp_gt_u32_e32 vcc, s54, v43
	s_and_saveexec_b64 s[44:45], vcc
	s_cbranch_execz .LBB870_326
; %bb.316:
	s_andn2_b64 vcc, exec, s[6:7]
	s_mov_b64 s[46:47], 0
	s_cbranch_vccnz .LBB870_325
; %bb.317:
	v_mul_lo_u32 v32, v23, s26
	v_mul_lo_u32 v33, v22, s27
	s_waitcnt vmcnt(0) lgkmcnt(1)
	v_mad_u64_u32 v[30:31], s[40:41], v22, s26, 0
	v_add3_u32 v31, v31, v33, v32
	v_mul_lo_u32 v32, v25, s26
	v_mul_lo_u32 v33, v24, s27
	v_mad_u64_u32 v[34:35], s[40:41], v24, s26, 0
	v_add3_u32 v35, v35, v33, v32
	v_lshl_add_u64 v[32:33], v[30:31], 3, s[36:37]
	v_lshl_add_u64 v[30:31], v[34:35], 3, s[36:37]
	global_load_dwordx2 v[34:35], v[32:33], off
	global_load_dwordx2 v[36:37], v[30:31], off
	s_mov_b64 s[46:47], -1
	s_waitcnt vmcnt(0)
	v_cmp_eq_f64_e32 vcc, v[34:35], v[36:37]
	s_and_saveexec_b64 s[40:41], vcc
	s_cbranch_execz .LBB870_324
; %bb.318:
	s_add_u32 s46, s26, -1
	v_lshl_add_u64 v[30:31], v[30:31], 0, 8
	v_lshl_add_u64 v[32:33], v[32:33], 0, 8
	s_addc_u32 s47, s27, -1
	s_mov_b64 s[48:49], 0
	s_mov_b64 s[52:53], 0
                                        ; implicit-def: $sgpr50_sgpr51
	s_branch .LBB870_321
.LBB870_319:                            ;   in Loop: Header=BB870_321 Depth=1
	global_load_dwordx2 v[34:35], v[32:33], off
	global_load_dwordx2 v[36:37], v[30:31], off
	s_add_u32 s52, s52, 1
	s_addc_u32 s53, s53, 0
	s_andn2_b64 s[50:51], s[50:51], exec
	v_lshl_add_u64 v[30:31], v[30:31], 0, 8
	v_lshl_add_u64 v[32:33], v[32:33], 0, 8
	s_waitcnt vmcnt(0)
	v_cmp_neq_f64_e32 vcc, v[34:35], v[36:37]
	s_and_b64 s[56:57], vcc, exec
	s_or_b64 s[50:51], s[50:51], s[56:57]
.LBB870_320:                            ;   in Loop: Header=BB870_321 Depth=1
	s_and_b64 s[56:57], exec, s[50:51]
	s_or_b64 s[48:49], s[56:57], s[48:49]
	v_mov_b64_e32 v[34:35], s[52:53]
	s_andn2_b64 exec, exec, s[48:49]
	s_cbranch_execz .LBB870_323
.LBB870_321:                            ; =>This Inner Loop Header: Depth=1
	s_or_b64 s[50:51], s[50:51], exec
	s_cmp_eq_u64 s[46:47], s[52:53]
	s_cbranch_scc0 .LBB870_319
; %bb.322:                              ;   in Loop: Header=BB870_321 Depth=1
                                        ; implicit-def: $vgpr30_vgpr31
                                        ; implicit-def: $vgpr32_vgpr33
	s_mov_b64 s[52:53], s[26:27]
	s_branch .LBB870_320
.LBB870_323:
	s_or_b64 exec, exec, s[48:49]
	v_cmp_gt_i64_e32 vcc, s[26:27], v[34:35]
	s_orn2_b64 s[46:47], vcc, exec
.LBB870_324:
	s_or_b64 exec, exec, s[40:41]
.LBB870_325:
	s_and_b64 s[40:41], s[46:47], exec
.LBB870_326:
	s_or_b64 exec, exec, s[44:45]
	s_waitcnt vmcnt(0) lgkmcnt(1)
	v_cndmask_b32_e64 v31, 0, 1, s[16:17]
	v_cndmask_b32_e64 v30, 0, 1, s[42:43]
	;; [unrolled: 1-line block ×3, first 2 shown]
	v_lshlrev_b16_e32 v31, 8, v31
	v_cndmask_b32_e64 v39, 0, 1, s[14:15]
	v_cndmask_b32_e64 v32, 0, 1, s[40:41]
	v_or_b32_sdwa v30, v30, v31 dst_sel:WORD_1 dst_unused:UNUSED_PAD src0_sel:DWORD src1_sel:DWORD
	v_lshlrev_b16_e32 v31, 8, v48
	v_lshlrev_b16_e32 v32, 8, v32
	v_or_b32_e32 v31, v39, v31
	v_or_b32_e32 v32, 1, v32
	v_and_b32_e32 v31, 0xffff, v31
	v_cndmask_b32_e64 v49, 0, 1, s[4:5]
	v_or_b32_sdwa v30, v32, v30 dst_sel:DWORD dst_unused:UNUSED_PAD src0_sel:WORD_0 src1_sel:DWORD
	v_lshl_or_b32 v31, v49, 16, v31
	s_waitcnt lgkmcnt(0)
	s_barrier
	s_waitcnt lgkmcnt(0)
                                        ; implicit-def: $sgpr14_sgpr15
                                        ; implicit-def: $vgpr34
	s_and_saveexec_b64 s[4:5], s[2:3]
	s_cbranch_execz .LBB870_339
; %bb.327:
	v_cmp_gt_u32_e32 vcc, s54, v1
	s_mov_b32 s40, 0x3020104
	s_mov_b64 s[12:13], 0
	s_and_saveexec_b64 s[2:3], vcc
	s_cbranch_execz .LBB870_338
; %bb.328:
	s_andn2_b64 vcc, exec, s[6:7]
	s_cbranch_vccnz .LBB870_337
; %bb.329:
	v_add_u32_e32 v31, -8, v38
	ds_read_b64 v[32:33], v31
	v_mul_lo_u32 v31, v23, s26
	v_mad_u64_u32 v[36:37], s[6:7], v22, s26, 0
	s_mov_b64 s[12:13], -1
	s_waitcnt lgkmcnt(0)
	v_mul_lo_u32 v34, v33, s26
	v_mul_lo_u32 v35, v32, s27
	v_mad_u64_u32 v[32:33], s[6:7], v32, s26, 0
	v_add3_u32 v33, v33, v35, v34
	v_mul_lo_u32 v34, v22, s27
	v_add3_u32 v37, v37, v34, v31
	v_lshl_add_u64 v[34:35], v[32:33], 3, s[36:37]
	v_lshl_add_u64 v[32:33], v[36:37], 3, s[36:37]
	global_load_dwordx2 v[36:37], v[34:35], off
	global_load_dwordx2 v[46:47], v[32:33], off
	s_waitcnt vmcnt(0)
	v_cmp_eq_f64_e32 vcc, v[36:37], v[46:47]
	s_and_saveexec_b64 s[6:7], vcc
	s_cbranch_execz .LBB870_336
; %bb.330:
	s_add_u32 s12, s26, -1
	v_lshl_add_u64 v[32:33], v[32:33], 0, 8
	v_lshl_add_u64 v[34:35], v[34:35], 0, 8
	s_addc_u32 s13, s27, -1
	s_mov_b64 s[14:15], 0
	s_mov_b64 s[36:37], 0
                                        ; implicit-def: $sgpr16_sgpr17
	s_branch .LBB870_333
.LBB870_331:                            ;   in Loop: Header=BB870_333 Depth=1
	global_load_dwordx2 v[36:37], v[34:35], off
	global_load_dwordx2 v[46:47], v[32:33], off
	s_add_u32 s36, s36, 1
	s_addc_u32 s37, s37, 0
	s_andn2_b64 s[16:17], s[16:17], exec
	v_lshl_add_u64 v[32:33], v[32:33], 0, 8
	v_lshl_add_u64 v[34:35], v[34:35], 0, 8
	s_waitcnt vmcnt(0)
	v_cmp_neq_f64_e32 vcc, v[36:37], v[46:47]
	s_and_b64 s[42:43], vcc, exec
	s_or_b64 s[16:17], s[16:17], s[42:43]
.LBB870_332:                            ;   in Loop: Header=BB870_333 Depth=1
	s_and_b64 s[42:43], exec, s[16:17]
	s_or_b64 s[14:15], s[42:43], s[14:15]
	v_mov_b64_e32 v[36:37], s[36:37]
	s_andn2_b64 exec, exec, s[14:15]
	s_cbranch_execz .LBB870_335
.LBB870_333:                            ; =>This Inner Loop Header: Depth=1
	s_or_b64 s[16:17], s[16:17], exec
	s_cmp_eq_u64 s[12:13], s[36:37]
	s_cbranch_scc0 .LBB870_331
; %bb.334:                              ;   in Loop: Header=BB870_333 Depth=1
                                        ; implicit-def: $vgpr32_vgpr33
                                        ; implicit-def: $vgpr34_vgpr35
	s_mov_b64 s[36:37], s[26:27]
	s_branch .LBB870_332
.LBB870_335:
	s_or_b64 exec, exec, s[14:15]
	v_cmp_gt_i64_e32 vcc, s[26:27], v[36:37]
	s_orn2_b64 s[12:13], vcc, exec
.LBB870_336:
	s_or_b64 exec, exec, s[6:7]
.LBB870_337:
	s_and_b64 s[12:13], s[12:13], exec
.LBB870_338:
	s_or_b64 exec, exec, s[2:3]
	v_perm_b32 v34, v30, v30, s40
	s_and_b64 s[14:15], s[12:13], exec
	s_or_b64 s[10:11], s[10:11], exec
                                        ; implicit-def: $vgpr30_vgpr31
.LBB870_339:
	s_or_b64 exec, exec, s[4:5]
.LBB870_340:
	s_and_saveexec_b64 s[2:3], s[10:11]
	s_cbranch_execz .LBB870_342
; %bb.341:
	s_waitcnt vmcnt(0) lgkmcnt(0)
	v_lshlrev_b16_e32 v31, 8, v48
	v_and_b32_e32 v32, 0xff, v49
	v_or_b32_sdwa v31, v39, v31 dst_sel:DWORD dst_unused:UNUSED_PAD src0_sel:BYTE_0 src1_sel:DWORD
	v_lshlrev_b32_e32 v32, 16, v32
	s_movk_i32 s4, 0xff
	v_or_b32_sdwa v31, v31, v32 dst_sel:DWORD dst_unused:UNUSED_PAD src0_sel:WORD_0 src1_sel:DWORD
	v_lshrrev_b32_e32 v32, 24, v34
	v_lshlrev_b16_e32 v32, 8, v32
	v_and_b32_sdwa v33, v34, s4 dst_sel:DWORD dst_unused:UNUSED_PAD src0_sel:WORD_1 src1_sel:DWORD
	v_or_b32_sdwa v32, v33, v32 dst_sel:WORD_1 dst_unused:UNUSED_PAD src0_sel:DWORD src1_sel:DWORD
	v_mov_b32_e32 v33, 8
	v_cndmask_b32_e64 v30, 0, 1, s[14:15]
	v_lshrrev_b32_sdwa v33, v33, v34 dst_sel:BYTE_1 dst_unused:UNUSED_PAD src0_sel:DWORD src1_sel:DWORD
	s_nop 0
	v_or_b32_e32 v30, v30, v33
	v_or_b32_sdwa v30, v30, v32 dst_sel:DWORD dst_unused:UNUSED_PAD src0_sel:WORD_0 src1_sel:DWORD
.LBB870_342:
	s_or_b64 exec, exec, s[2:3]
	s_andn2_b64 vcc, exec, s[8:9]
	s_cbranch_vccnz .LBB870_344
; %bb.343:
	s_waitcnt vmcnt(0) lgkmcnt(0)
	v_and_b32_e32 v32, 0xffff0000, v30
	v_cmp_gt_u32_e32 vcc, s54, v1
	s_mov_b32 s2, 0x40c0100
	s_nop 0
	v_cndmask_b32_e32 v1, v32, v30, vcc
	v_and_b32_e32 v1, 0xffff00ff, v1
	v_cmp_gt_u32_e32 vcc, s54, v43
	s_nop 1
	v_cndmask_b32_e32 v1, v1, v30, vcc
	v_lshrrev_b32_e32 v32, 24, v1
	v_perm_b32 v1, v32, v1, s2
	v_cmp_gt_u32_e32 vcc, s54, v40
	v_and_b32_e32 v32, 0xffffff00, v31
	s_nop 0
	v_cndmask_b32_e32 v1, v1, v30, vcc
	v_and_b32_e32 v1, 0xffffff, v1
	v_cmp_gt_u32_e32 vcc, s54, v44
	s_nop 1
	v_cndmask_b32_e32 v1, v1, v30, vcc
	v_cmp_gt_u32_e32 vcc, s54, v41
	s_nop 1
	v_cndmask_b32_e32 v32, v32, v31, vcc
	v_and_b32_e32 v32, 0xffff00ff, v32
	v_cndmask_b32_e32 v1, v1, v30, vcc
	v_cmp_gt_u32_e32 vcc, s54, v45
	s_nop 1
	v_cndmask_b32_e32 v32, v32, v31, vcc
	v_lshrrev_b32_e32 v33, 24, v32
	v_cndmask_b32_e32 v1, v1, v30, vcc
	v_perm_b32 v32, v33, v32, s2
	v_cmp_gt_u32_e32 vcc, s54, v42
	s_mov_b32 s2, 0x3020104
	s_nop 0
	v_cndmask_b32_e32 v1, v1, v30, vcc
	v_cndmask_b32_e32 v30, v32, v31, vcc
	v_mov_b32_e32 v31, 8
	v_lshrrev_b32_sdwa v31, v31, v30 dst_sel:BYTE_1 dst_unused:UNUSED_PAD src0_sel:DWORD src1_sel:DWORD
	s_nop 0
	v_or_b32_sdwa v31, v30, v31 dst_sel:DWORD dst_unused:UNUSED_PAD src0_sel:BYTE_0 src1_sel:DWORD
	v_and_b32_e32 v31, 0xffff, v31
	v_bfe_u32 v30, v30, 16, 8
	v_lshl_or_b32 v31, v30, 16, v31
	v_perm_b32 v30, v1, v1, s2
.LBB870_344:
	s_waitcnt vmcnt(0) lgkmcnt(0)
	v_and_b32_e32 v1, 0xff, v30
	v_bfe_u32 v43, v30, 8, 8
	v_bfe_u32 v45, v30, 16, 8
	v_alignbit_b32 v32, v31, v30, 24
	v_and_b32_e32 v47, 0xff, v32
	v_and_b32_e32 v48, 0xff, v31
	v_add3_u32 v33, v43, v1, v45
	v_bfe_u32 v49, v31, 8, 8
	v_bfe_u32 v32, v31, 16, 8
	v_add3_u32 v33, v33, v47, v48
	v_add3_u32 v52, v33, v49, v32
	v_mbcnt_lo_u32_b32 v32, -1, 0
	v_mbcnt_hi_u32_b32 v50, -1, v32
	v_and_b32_e32 v32, 15, v50
	v_cmp_eq_u32_e64 s[14:15], 0, v32
	v_cmp_lt_u32_e64 s[12:13], 1, v32
	v_cmp_lt_u32_e64 s[10:11], 3, v32
	;; [unrolled: 1-line block ×3, first 2 shown]
	v_and_b32_e32 v32, 16, v50
	v_cmp_eq_u32_e64 s[6:7], 0, v32
	v_or_b32_e32 v32, 63, v0
	v_cmp_lt_u32_e64 s[2:3], 31, v50
	v_lshrrev_b32_e32 v51, 6, v0
	v_cmp_eq_u32_e64 s[4:5], v32, v0
	s_and_b64 vcc, exec, s[0:1]
	s_barrier
	s_cbranch_vccz .LBB870_371
; %bb.345:
	v_mov_b32_dpp v32, v52 row_shr:1 row_mask:0xf bank_mask:0xf
	v_cndmask_b32_e64 v32, v32, 0, s[14:15]
	v_add_u32_e32 v32, v32, v52
	s_nop 1
	v_mov_b32_dpp v33, v32 row_shr:2 row_mask:0xf bank_mask:0xf
	v_cndmask_b32_e64 v33, 0, v33, s[12:13]
	v_add_u32_e32 v32, v32, v33
	s_nop 1
	;; [unrolled: 4-line block ×4, first 2 shown]
	v_mov_b32_dpp v33, v32 row_bcast:15 row_mask:0xf bank_mask:0xf
	v_cndmask_b32_e64 v33, v33, 0, s[6:7]
	v_add_u32_e32 v32, v32, v33
	s_nop 1
	v_mov_b32_dpp v33, v32 row_bcast:31 row_mask:0xf bank_mask:0xf
	v_cndmask_b32_e64 v33, 0, v33, s[2:3]
	v_add_u32_e32 v32, v32, v33
	s_and_saveexec_b64 s[0:1], s[4:5]
	s_cbranch_execz .LBB870_347
; %bb.346:
	v_lshlrev_b32_e32 v33, 2, v51
	ds_write_b32 v33, v32
.LBB870_347:
	s_or_b64 exec, exec, s[0:1]
	v_cmp_gt_u32_e32 vcc, 8, v0
	s_waitcnt lgkmcnt(0)
	s_barrier
	s_and_saveexec_b64 s[0:1], vcc
	s_cbranch_execz .LBB870_349
; %bb.348:
	v_lshlrev_b32_e32 v33, 2, v0
	ds_read_b32 v34, v33
	v_and_b32_e32 v35, 7, v50
	v_cmp_ne_u32_e32 vcc, 0, v35
	s_waitcnt lgkmcnt(0)
	v_mov_b32_dpp v36, v34 row_shr:1 row_mask:0xf bank_mask:0xf
	v_cndmask_b32_e32 v36, 0, v36, vcc
	v_add_u32_e32 v34, v36, v34
	v_cmp_lt_u32_e32 vcc, 1, v35
	s_nop 0
	v_mov_b32_dpp v36, v34 row_shr:2 row_mask:0xf bank_mask:0xf
	v_cndmask_b32_e32 v36, 0, v36, vcc
	v_add_u32_e32 v34, v34, v36
	v_cmp_lt_u32_e32 vcc, 3, v35
	s_nop 0
	v_mov_b32_dpp v36, v34 row_shr:4 row_mask:0xf bank_mask:0xf
	v_cndmask_b32_e32 v35, 0, v36, vcc
	v_add_u32_e32 v34, v34, v35
	ds_write_b32 v33, v34
.LBB870_349:
	s_or_b64 exec, exec, s[0:1]
	v_cmp_gt_u32_e32 vcc, 64, v0
	v_cmp_lt_u32_e64 s[0:1], 63, v0
	s_waitcnt lgkmcnt(0)
	s_barrier
	s_waitcnt lgkmcnt(0)
                                        ; implicit-def: $vgpr42
	s_and_saveexec_b64 s[16:17], s[0:1]
	s_cbranch_execz .LBB870_351
; %bb.350:
	v_lshl_add_u32 v33, v51, 2, -4
	ds_read_b32 v42, v33
	s_waitcnt lgkmcnt(0)
	v_add_u32_e32 v32, v42, v32
.LBB870_351:
	s_or_b64 exec, exec, s[16:17]
	v_add_u32_e32 v33, -1, v50
	v_and_b32_e32 v34, 64, v50
	v_cmp_lt_i32_e64 s[0:1], v33, v34
	v_cmp_eq_u32_e64 s[16:17], 0, v50
	s_nop 0
	v_cndmask_b32_e64 v33, v33, v50, s[0:1]
	v_lshlrev_b32_e32 v33, 2, v33
	ds_bpermute_b32 v44, v33, v32
	s_and_saveexec_b64 s[0:1], vcc
	s_cbranch_execz .LBB870_370
; %bb.352:
	v_mov_b32_e32 v39, 0
	ds_read_b32 v32, v39 offset:28
	s_and_saveexec_b64 s[26:27], s[16:17]
	s_cbranch_execz .LBB870_354
; %bb.353:
	s_add_i32 s36, s33, 64
	s_mov_b32 s37, 0
	s_lshl_b64 s[36:37], s[36:37], 3
	s_add_u32 s36, s38, s36
	v_mov_b32_e32 v33, 1
	s_addc_u32 s37, s39, s37
	s_waitcnt lgkmcnt(0)
	global_store_dwordx2 v39, v[32:33], s[36:37] sc1
.LBB870_354:
	s_or_b64 exec, exec, s[26:27]
	v_xad_u32 v34, v50, -1, s33
	v_add_u32_e32 v38, 64, v34
	v_lshl_add_u64 v[40:41], v[38:39], 3, s[38:39]
	global_load_dwordx2 v[36:37], v[40:41], off sc1
	s_waitcnt vmcnt(0)
	v_cmp_eq_u16_sdwa s[36:37], v37, v39 src0_sel:BYTE_0 src1_sel:DWORD
	s_and_saveexec_b64 s[26:27], s[36:37]
	s_cbranch_execz .LBB870_358
; %bb.355:
	s_mov_b64 s[36:37], 0
	v_mov_b32_e32 v33, 0
.LBB870_356:                            ; =>This Inner Loop Header: Depth=1
	global_load_dwordx2 v[36:37], v[40:41], off sc1
	s_waitcnt vmcnt(0)
	v_cmp_ne_u16_sdwa s[40:41], v37, v33 src0_sel:BYTE_0 src1_sel:DWORD
	s_or_b64 s[36:37], s[40:41], s[36:37]
	s_andn2_b64 exec, exec, s[36:37]
	s_cbranch_execnz .LBB870_356
; %bb.357:
	s_or_b64 exec, exec, s[36:37]
.LBB870_358:
	s_or_b64 exec, exec, s[26:27]
	v_and_b32_e32 v46, 63, v50
	v_mov_b32_e32 v33, 2
	v_cmp_ne_u32_e32 vcc, 63, v46
	v_cmp_eq_u16_sdwa s[26:27], v37, v33 src0_sel:BYTE_0 src1_sel:DWORD
	v_lshlrev_b64 v[38:39], v50, -1
	v_addc_co_u32_e32 v41, vcc, 0, v50, vcc
	v_and_b32_e32 v35, s27, v39
	v_lshlrev_b32_e32 v53, 2, v41
	v_or_b32_e32 v35, 0x80000000, v35
	ds_bpermute_b32 v41, v53, v36
	v_and_b32_e32 v40, s26, v38
	v_ffbl_b32_e32 v35, v35
	v_add_u32_e32 v35, 32, v35
	v_ffbl_b32_e32 v40, v40
	v_min_u32_e32 v35, v40, v35
	v_cmp_lt_u32_e32 vcc, v46, v35
	v_add_u32_e32 v55, 2, v46
	v_add_u32_e32 v57, 4, v46
	s_waitcnt lgkmcnt(0)
	v_cndmask_b32_e32 v40, 0, v41, vcc
	v_cmp_gt_u32_e32 vcc, 62, v46
	v_add_u32_e32 v36, v40, v36
	v_add_u32_e32 v59, 8, v46
	v_cndmask_b32_e64 v40, 0, 1, vcc
	v_lshlrev_b32_e32 v40, 1, v40
	v_add_lshl_u32 v54, v40, v50, 2
	ds_bpermute_b32 v40, v54, v36
	v_cmp_le_u32_e32 vcc, v55, v35
	v_add_u32_e32 v62, 16, v46
	v_add_u32_e32 v64, 32, v46
	s_waitcnt lgkmcnt(0)
	v_cndmask_b32_e32 v40, 0, v40, vcc
	v_cmp_gt_u32_e32 vcc, 60, v46
	v_add_u32_e32 v36, v36, v40
	s_nop 0
	v_cndmask_b32_e64 v40, 0, 1, vcc
	v_lshlrev_b32_e32 v40, 2, v40
	v_add_lshl_u32 v56, v40, v50, 2
	ds_bpermute_b32 v40, v56, v36
	v_cmp_le_u32_e32 vcc, v57, v35
	s_waitcnt lgkmcnt(0)
	s_nop 0
	v_cndmask_b32_e32 v40, 0, v40, vcc
	v_cmp_gt_u32_e32 vcc, 56, v46
	v_add_u32_e32 v36, v36, v40
	s_nop 0
	v_cndmask_b32_e64 v40, 0, 1, vcc
	v_lshlrev_b32_e32 v40, 3, v40
	v_add_lshl_u32 v58, v40, v50, 2
	ds_bpermute_b32 v40, v58, v36
	v_cmp_le_u32_e32 vcc, v59, v35
	s_waitcnt lgkmcnt(0)
	s_nop 0
	;; [unrolled: 11-line block ×4, first 2 shown]
	v_cndmask_b32_e32 v35, 0, v40, vcc
	v_add_u32_e32 v36, v36, v35
	v_mov_b32_e32 v35, 0
	s_branch .LBB870_360
.LBB870_359:                            ;   in Loop: Header=BB870_360 Depth=1
	s_or_b64 exec, exec, s[26:27]
	v_cmp_eq_u16_sdwa s[26:27], v37, v33 src0_sel:BYTE_0 src1_sel:DWORD
	ds_bpermute_b32 v65, v53, v36
	v_subrev_u32_e32 v34, 64, v34
	v_and_b32_e32 v40, s27, v39
	v_or_b32_e32 v40, 0x80000000, v40
	v_and_b32_e32 v41, s26, v38
	v_ffbl_b32_e32 v40, v40
	v_add_u32_e32 v40, 32, v40
	v_ffbl_b32_e32 v41, v41
	v_min_u32_e32 v40, v41, v40
	v_cmp_lt_u32_e32 vcc, v46, v40
	s_waitcnt lgkmcnt(0)
	s_nop 0
	v_cndmask_b32_e32 v41, 0, v65, vcc
	v_add_u32_e32 v36, v41, v36
	ds_bpermute_b32 v41, v54, v36
	v_cmp_le_u32_e32 vcc, v55, v40
	s_waitcnt lgkmcnt(0)
	s_nop 0
	v_cndmask_b32_e32 v41, 0, v41, vcc
	v_add_u32_e32 v36, v36, v41
	ds_bpermute_b32 v41, v56, v36
	v_cmp_le_u32_e32 vcc, v57, v40
	;; [unrolled: 6-line block ×5, first 2 shown]
	s_waitcnt lgkmcnt(0)
	s_nop 0
	v_cndmask_b32_e32 v40, 0, v41, vcc
	v_add3_u32 v36, v40, v60, v36
.LBB870_360:                            ; =>This Loop Header: Depth=1
                                        ;     Child Loop BB870_363 Depth 2
	v_cmp_ne_u16_sdwa s[26:27], v37, v33 src0_sel:BYTE_0 src1_sel:DWORD
	v_mov_b32_e32 v60, v36
	s_nop 0
	v_cndmask_b32_e64 v37, 0, 1, s[26:27]
	;;#ASMSTART
	;;#ASMEND
	s_nop 0
	v_cmp_ne_u32_e32 vcc, 0, v37
	s_cmp_lg_u64 vcc, exec
	s_cbranch_scc1 .LBB870_365
; %bb.361:                              ;   in Loop: Header=BB870_360 Depth=1
	v_lshl_add_u64 v[40:41], v[34:35], 3, s[38:39]
	global_load_dwordx2 v[36:37], v[40:41], off sc1
	s_waitcnt vmcnt(0)
	v_cmp_eq_u16_sdwa s[36:37], v37, v35 src0_sel:BYTE_0 src1_sel:DWORD
	s_and_saveexec_b64 s[26:27], s[36:37]
	s_cbranch_execz .LBB870_359
; %bb.362:                              ;   in Loop: Header=BB870_360 Depth=1
	s_mov_b64 s[36:37], 0
.LBB870_363:                            ;   Parent Loop BB870_360 Depth=1
                                        ; =>  This Inner Loop Header: Depth=2
	global_load_dwordx2 v[36:37], v[40:41], off sc1
	s_waitcnt vmcnt(0)
	v_cmp_ne_u16_sdwa s[40:41], v37, v35 src0_sel:BYTE_0 src1_sel:DWORD
	s_or_b64 s[36:37], s[40:41], s[36:37]
	s_andn2_b64 exec, exec, s[36:37]
	s_cbranch_execnz .LBB870_363
; %bb.364:                              ;   in Loop: Header=BB870_360 Depth=1
	s_or_b64 exec, exec, s[36:37]
	s_branch .LBB870_359
.LBB870_365:                            ;   in Loop: Header=BB870_360 Depth=1
                                        ; implicit-def: $vgpr36
                                        ; implicit-def: $vgpr37
	s_cbranch_execz .LBB870_360
; %bb.366:
	s_and_saveexec_b64 s[26:27], s[16:17]
	s_cbranch_execz .LBB870_368
; %bb.367:
	s_add_i32 s36, s33, 64
	s_mov_b32 s37, 0
	s_lshl_b64 s[36:37], s[36:37], 3
	s_add_u32 s36, s38, s36
	v_add_u32_e32 v34, v60, v32
	v_mov_b32_e32 v35, 2
	s_addc_u32 s37, s39, s37
	v_mov_b32_e32 v33, 0
	s_movk_i32 s33, 0x7000
	global_store_dwordx2 v33, v[34:35], s[36:37] sc1
	v_add_u32_e64 v33, s33, 0
	ds_write2_b32 v33, v32, v60 offset1:2
.LBB870_368:
	s_or_b64 exec, exec, s[26:27]
	s_and_b64 exec, exec, s[18:19]
	s_cbranch_execz .LBB870_370
; %bb.369:
	v_mov_b32_e32 v32, 0
	ds_write_b32 v32, v60 offset:28
.LBB870_370:
	s_or_b64 exec, exec, s[0:1]
	v_mov_b32_e32 v32, 0
	s_waitcnt lgkmcnt(0)
	s_barrier
	ds_read_b32 v32, v32 offset:28
	v_cndmask_b32_e64 v33, v44, v42, s[16:17]
	v_cndmask_b32_e64 v33, v33, 0, s[18:19]
	s_movk_i32 s0, 0x7000
	s_waitcnt lgkmcnt(0)
	v_add_u32_e32 v46, v32, v33
	v_add_u32_e64 v32, s0, 0
	v_add_u32_e32 v44, v46, v1
	s_barrier
	ds_read2_b32 v[32:33], v32 offset1:2
	v_add_u32_e32 v42, v44, v43
	v_add_u32_e32 v40, v42, v45
	;; [unrolled: 1-line block ×5, first 2 shown]
	s_waitcnt lgkmcnt(0)
	v_readfirstlane_b32 s26, v32
	v_readfirstlane_b32 s16, v33
	v_lshrrev_b64 v[32:33], 24, v[30:31]
	s_branch .LBB870_381
.LBB870_371:
                                        ; implicit-def: $vgpr34
                                        ; implicit-def: $vgpr36
                                        ; implicit-def: $vgpr38
                                        ; implicit-def: $vgpr40
                                        ; implicit-def: $vgpr42
                                        ; implicit-def: $vgpr44
                                        ; implicit-def: $vgpr46
                                        ; implicit-def: $sgpr16
                                        ; implicit-def: $sgpr26
	v_lshrrev_b64 v[32:33], 24, v[30:31]
	s_cbranch_execz .LBB870_381
; %bb.372:
	s_nop 0
	v_mov_b32_dpp v33, v52 row_shr:1 row_mask:0xf bank_mask:0xf
	v_cndmask_b32_e64 v33, v33, 0, s[14:15]
	v_add_u32_e32 v33, v33, v52
	s_nop 1
	v_mov_b32_dpp v34, v33 row_shr:2 row_mask:0xf bank_mask:0xf
	v_cndmask_b32_e64 v34, 0, v34, s[12:13]
	v_add_u32_e32 v33, v33, v34
	;; [unrolled: 4-line block ×4, first 2 shown]
	s_nop 1
	v_mov_b32_dpp v34, v33 row_bcast:15 row_mask:0xf bank_mask:0xf
	v_cndmask_b32_e64 v34, v34, 0, s[6:7]
	v_add_u32_e32 v33, v33, v34
	s_nop 1
	v_mov_b32_dpp v34, v33 row_bcast:31 row_mask:0xf bank_mask:0xf
	v_cndmask_b32_e64 v34, 0, v34, s[2:3]
	v_add_u32_e32 v33, v33, v34
	s_and_saveexec_b64 s[0:1], s[4:5]
	s_cbranch_execz .LBB870_374
; %bb.373:
	v_lshlrev_b32_e32 v34, 2, v51
	ds_write_b32 v34, v33
.LBB870_374:
	s_or_b64 exec, exec, s[0:1]
	v_cmp_gt_u32_e32 vcc, 8, v0
	s_waitcnt lgkmcnt(0)
	s_barrier
	s_and_saveexec_b64 s[0:1], vcc
	s_cbranch_execz .LBB870_376
; %bb.375:
	v_lshlrev_b32_e32 v34, 2, v0
	ds_read_b32 v35, v34
	v_and_b32_e32 v36, 7, v50
	v_cmp_ne_u32_e32 vcc, 0, v36
	s_waitcnt lgkmcnt(0)
	v_mov_b32_dpp v37, v35 row_shr:1 row_mask:0xf bank_mask:0xf
	v_cndmask_b32_e32 v37, 0, v37, vcc
	v_add_u32_e32 v35, v37, v35
	v_cmp_lt_u32_e32 vcc, 1, v36
	s_nop 0
	v_mov_b32_dpp v37, v35 row_shr:2 row_mask:0xf bank_mask:0xf
	v_cndmask_b32_e32 v37, 0, v37, vcc
	v_add_u32_e32 v35, v35, v37
	v_cmp_lt_u32_e32 vcc, 3, v36
	s_nop 0
	v_mov_b32_dpp v37, v35 row_shr:4 row_mask:0xf bank_mask:0xf
	v_cndmask_b32_e32 v36, 0, v37, vcc
	v_add_u32_e32 v35, v35, v36
	ds_write_b32 v34, v35
.LBB870_376:
	s_or_b64 exec, exec, s[0:1]
	v_cmp_lt_u32_e32 vcc, 63, v0
	v_mov_b32_e32 v35, 0
	v_mov_b32_e32 v34, 0
	s_waitcnt lgkmcnt(0)
	s_barrier
	s_and_saveexec_b64 s[0:1], vcc
	s_cbranch_execz .LBB870_378
; %bb.377:
	v_lshl_add_u32 v34, v51, 2, -4
	ds_read_b32 v34, v34
.LBB870_378:
	s_or_b64 exec, exec, s[0:1]
	v_add_u32_e32 v36, -1, v50
	v_and_b32_e32 v37, 64, v50
	v_cmp_lt_i32_e32 vcc, v36, v37
	s_waitcnt lgkmcnt(0)
	v_add_u32_e32 v33, v34, v33
	ds_read_b32 v35, v35 offset:28
	v_cndmask_b32_e32 v36, v36, v50, vcc
	v_lshlrev_b32_e32 v36, 2, v36
	ds_bpermute_b32 v33, v36, v33
	s_waitcnt lgkmcnt(1)
	v_readfirstlane_b32 s26, v35
	s_and_saveexec_b64 s[0:1], s[18:19]
	s_cbranch_execz .LBB870_380
; %bb.379:
	v_mov_b32_e32 v35, 0
	v_mov_b32_e32 v36, s26
	;; [unrolled: 1-line block ×3, first 2 shown]
	global_store_dwordx2 v35, v[36:37], s[38:39] offset:512 sc1
.LBB870_380:
	s_or_b64 exec, exec, s[0:1]
	v_cmp_eq_u32_e32 vcc, 0, v50
	s_mov_b32 s16, 0
	s_waitcnt lgkmcnt(0)
	v_cndmask_b32_e32 v33, v33, v34, vcc
	v_cndmask_b32_e64 v46, v33, 0, s[18:19]
	v_add_u32_e32 v44, v46, v1
	v_add_u32_e32 v42, v44, v43
	;; [unrolled: 1-line block ×6, first 2 shown]
	s_barrier
.LBB870_381:
	s_cmpk_lt_u32 s26, 0x201
	s_cselect_b64 s[2:3], -1, 0
	v_lshrrev_b32_e32 v33, 8, v30
	v_lshrrev_b32_e32 v1, 8, v31
	s_mov_b64 s[0:1], -1
	s_and_b64 vcc, exec, s[2:3]
	s_cbranch_vccz .LBB870_404
; %bb.382:
	s_add_i32 s4, s16, s26
	v_cmp_gt_u32_e32 vcc, s4, v46
	s_or_b64 s[6:7], s[34:35], vcc
	s_and_saveexec_b64 s[0:1], s[6:7]
	s_cbranch_execz .LBB870_385
; %bb.383:
	v_and_b32_e32 v35, 1, v30
	v_cmp_eq_u32_e32 vcc, 1, v35
	s_and_b64 exec, exec, vcc
	s_cbranch_execz .LBB870_385
; %bb.384:
	s_lshl_b64 s[6:7], s[22:23], 3
	s_add_u32 s6, s28, s6
	s_addc_u32 s7, s29, s7
	v_mov_b32_e32 v47, 0
	v_lshl_add_u64 v[48:49], v[46:47], 3, s[6:7]
	global_store_dwordx2 v[48:49], v[22:23], off
.LBB870_385:
	s_or_b64 exec, exec, s[0:1]
	v_cmp_gt_u32_e32 vcc, s4, v44
	s_or_b64 s[6:7], s[34:35], vcc
	s_and_saveexec_b64 s[0:1], s[6:7]
	s_cbranch_execz .LBB870_388
; %bb.386:
	v_and_b32_e32 v35, 1, v33
	v_cmp_eq_u32_e32 vcc, 1, v35
	s_and_b64 exec, exec, vcc
	s_cbranch_execz .LBB870_388
; %bb.387:
	s_lshl_b64 s[6:7], s[22:23], 3
	s_add_u32 s6, s28, s6
	s_addc_u32 s7, s29, s7
	v_mov_b32_e32 v45, 0
	v_lshl_add_u64 v[48:49], v[44:45], 3, s[6:7]
	global_store_dwordx2 v[48:49], v[24:25], off
.LBB870_388:
	s_or_b64 exec, exec, s[0:1]
	v_cmp_gt_u32_e32 vcc, s4, v42
	s_or_b64 s[6:7], s[34:35], vcc
	s_and_saveexec_b64 s[0:1], s[6:7]
	s_cbranch_execz .LBB870_391
; %bb.389:
	v_mov_b32_e32 v35, 1
	v_and_b32_sdwa v35, v35, v30 dst_sel:DWORD dst_unused:UNUSED_PAD src0_sel:DWORD src1_sel:WORD_1
	v_cmp_eq_u32_e32 vcc, 1, v35
	s_and_b64 exec, exec, vcc
	s_cbranch_execz .LBB870_391
; %bb.390:
	s_lshl_b64 s[6:7], s[22:23], 3
	s_add_u32 s6, s28, s6
	s_addc_u32 s7, s29, s7
	v_mov_b32_e32 v43, 0
	v_lshl_add_u64 v[48:49], v[42:43], 3, s[6:7]
	global_store_dwordx2 v[48:49], v[18:19], off
.LBB870_391:
	s_or_b64 exec, exec, s[0:1]
	v_cmp_gt_u32_e32 vcc, s4, v40
	s_or_b64 s[6:7], s[34:35], vcc
	s_and_saveexec_b64 s[0:1], s[6:7]
	s_cbranch_execz .LBB870_394
; %bb.392:
	v_and_b32_e32 v35, 1, v32
	v_cmp_eq_u32_e32 vcc, 1, v35
	s_and_b64 exec, exec, vcc
	s_cbranch_execz .LBB870_394
; %bb.393:
	s_lshl_b64 s[6:7], s[22:23], 3
	s_add_u32 s6, s28, s6
	s_addc_u32 s7, s29, s7
	v_mov_b32_e32 v41, 0
	v_lshl_add_u64 v[48:49], v[40:41], 3, s[6:7]
	global_store_dwordx2 v[48:49], v[20:21], off
.LBB870_394:
	s_or_b64 exec, exec, s[0:1]
	v_cmp_gt_u32_e32 vcc, s4, v38
	s_or_b64 s[6:7], s[34:35], vcc
	s_and_saveexec_b64 s[0:1], s[6:7]
	s_cbranch_execz .LBB870_397
; %bb.395:
	v_and_b32_e32 v35, 1, v31
	v_cmp_eq_u32_e32 vcc, 1, v35
	s_and_b64 exec, exec, vcc
	s_cbranch_execz .LBB870_397
; %bb.396:
	s_lshl_b64 s[6:7], s[22:23], 3
	s_add_u32 s6, s28, s6
	s_addc_u32 s7, s29, s7
	v_mov_b32_e32 v39, 0
	v_lshl_add_u64 v[48:49], v[38:39], 3, s[6:7]
	global_store_dwordx2 v[48:49], v[14:15], off
.LBB870_397:
	s_or_b64 exec, exec, s[0:1]
	v_cmp_gt_u32_e32 vcc, s4, v36
	s_or_b64 s[6:7], s[34:35], vcc
	s_and_saveexec_b64 s[0:1], s[6:7]
	s_cbranch_execz .LBB870_400
; %bb.398:
	v_and_b32_e32 v35, 1, v1
	v_cmp_eq_u32_e32 vcc, 1, v35
	s_and_b64 exec, exec, vcc
	s_cbranch_execz .LBB870_400
; %bb.399:
	s_lshl_b64 s[6:7], s[22:23], 3
	s_add_u32 s6, s28, s6
	s_addc_u32 s7, s29, s7
	v_mov_b32_e32 v37, 0
	v_lshl_add_u64 v[48:49], v[36:37], 3, s[6:7]
	global_store_dwordx2 v[48:49], v[16:17], off
.LBB870_400:
	s_or_b64 exec, exec, s[0:1]
	v_cmp_gt_u32_e32 vcc, s4, v34
	s_or_b64 s[4:5], s[34:35], vcc
	s_and_saveexec_b64 s[0:1], s[4:5]
	s_cbranch_execz .LBB870_403
; %bb.401:
	v_mov_b32_e32 v35, 1
	v_and_b32_sdwa v35, v35, v31 dst_sel:DWORD dst_unused:UNUSED_PAD src0_sel:DWORD src1_sel:WORD_1
	v_cmp_eq_u32_e32 vcc, 1, v35
	s_and_b64 exec, exec, vcc
	s_cbranch_execz .LBB870_403
; %bb.402:
	s_lshl_b64 s[4:5], s[22:23], 3
	s_add_u32 s4, s28, s4
	s_addc_u32 s5, s29, s5
	v_mov_b32_e32 v35, 0
	v_lshl_add_u64 v[48:49], v[34:35], 3, s[4:5]
	global_store_dwordx2 v[48:49], v[28:29], off
.LBB870_403:
	s_or_b64 exec, exec, s[0:1]
	s_mov_b64 s[0:1], 0
.LBB870_404:
	v_and_b32_e32 v48, 1, v30
	s_and_b64 vcc, exec, s[0:1]
	v_cmp_eq_u32_e64 s[0:1], 1, v48
	s_cbranch_vccz .LBB870_423
; %bb.405:
	s_and_saveexec_b64 s[4:5], s[0:1]
	s_cbranch_execz .LBB870_407
; %bb.406:
	v_subrev_u32_e32 v35, s16, v46
	v_lshlrev_b32_e32 v35, 3, v35
	ds_write_b64 v35, v[22:23]
.LBB870_407:
	s_or_b64 exec, exec, s[4:5]
	v_and_b32_e32 v22, 1, v33
	v_cmp_eq_u32_e32 vcc, 1, v22
	s_and_saveexec_b64 s[0:1], vcc
	s_cbranch_execz .LBB870_409
; %bb.408:
	v_subrev_u32_e32 v22, s16, v44
	v_lshlrev_b32_e32 v22, 3, v22
	ds_write_b64 v22, v[24:25]
.LBB870_409:
	s_or_b64 exec, exec, s[0:1]
	v_mov_b32_e32 v22, 1
	v_and_b32_sdwa v22, v22, v30 dst_sel:DWORD dst_unused:UNUSED_PAD src0_sel:DWORD src1_sel:WORD_1
	v_cmp_eq_u32_e32 vcc, 1, v22
	s_and_saveexec_b64 s[0:1], vcc
	s_cbranch_execz .LBB870_411
; %bb.410:
	v_subrev_u32_e32 v22, s16, v42
	v_lshlrev_b32_e32 v22, 3, v22
	ds_write_b64 v22, v[18:19]
.LBB870_411:
	s_or_b64 exec, exec, s[0:1]
	v_and_b32_e32 v18, 1, v32
	v_cmp_eq_u32_e32 vcc, 1, v18
	s_and_saveexec_b64 s[0:1], vcc
	s_cbranch_execz .LBB870_413
; %bb.412:
	v_subrev_u32_e32 v18, s16, v40
	v_lshlrev_b32_e32 v18, 3, v18
	ds_write_b64 v18, v[20:21]
.LBB870_413:
	s_or_b64 exec, exec, s[0:1]
	v_and_b32_e32 v18, 1, v31
	;; [unrolled: 10-line block ×3, first 2 shown]
	v_cmp_eq_u32_e32 vcc, 1, v14
	s_and_saveexec_b64 s[0:1], vcc
	s_cbranch_execz .LBB870_417
; %bb.416:
	v_subrev_u32_e32 v14, s16, v36
	v_lshlrev_b32_e32 v14, 3, v14
	ds_write_b64 v14, v[16:17]
.LBB870_417:
	s_or_b64 exec, exec, s[0:1]
	v_mov_b32_e32 v14, 1
	v_and_b32_sdwa v14, v14, v31 dst_sel:DWORD dst_unused:UNUSED_PAD src0_sel:DWORD src1_sel:WORD_1
	v_cmp_eq_u32_e32 vcc, 1, v14
	s_and_saveexec_b64 s[0:1], vcc
	s_cbranch_execz .LBB870_419
; %bb.418:
	v_subrev_u32_e32 v14, s16, v34
	v_lshlrev_b32_e32 v14, 3, v14
	ds_write_b64 v14, v[28:29]
.LBB870_419:
	s_or_b64 exec, exec, s[0:1]
	v_cmp_gt_u32_e32 vcc, s26, v0
	s_waitcnt lgkmcnt(0)
	s_barrier
	s_and_saveexec_b64 s[0:1], vcc
	s_cbranch_execz .LBB870_422
; %bb.420:
	s_mov_b32 s17, 0
	s_lshl_b64 s[4:5], s[22:23], 3
	s_lshl_b64 s[6:7], s[16:17], 3
	s_add_u32 s4, s4, s6
	s_addc_u32 s5, s5, s7
	s_add_u32 s4, s28, s4
	v_lshlrev_b32_e32 v14, 3, v0
	v_mov_b32_e32 v15, 0
	s_addc_u32 s5, s29, s5
	v_lshl_add_u64 v[16:17], s[4:5], 0, v[14:15]
	s_mov_b64 s[4:5], 0
	s_mov_b64 s[6:7], 0x1000
	v_mov_b32_e32 v15, v0
.LBB870_421:                            ; =>This Inner Loop Header: Depth=1
	ds_read_b64 v[18:19], v14
	v_add_u32_e32 v15, 0x200, v15
	v_cmp_le_u32_e32 vcc, s26, v15
	v_add_u32_e32 v14, 0x1000, v14
	s_or_b64 s[4:5], vcc, s[4:5]
	s_waitcnt lgkmcnt(0)
	global_store_dwordx2 v[16:17], v[18:19], off
	v_lshl_add_u64 v[16:17], v[16:17], 0, s[6:7]
	s_andn2_b64 exec, exec, s[4:5]
	s_cbranch_execnz .LBB870_421
.LBB870_422:
	s_or_b64 exec, exec, s[0:1]
.LBB870_423:
	s_mov_b64 s[0:1], -1
	s_and_b64 vcc, exec, s[2:3]
	s_barrier
	s_cbranch_vccnz .LBB870_427
; %bb.424:
	s_and_b64 vcc, exec, s[0:1]
	s_cbranch_vccnz .LBB870_449
.LBB870_425:
	s_and_b64 s[0:1], s[18:19], s[24:25]
	s_and_saveexec_b64 s[2:3], s[0:1]
	s_cbranch_execnz .LBB870_467
.LBB870_426:
	s_endpgm
.LBB870_427:
	s_add_i32 s2, s16, s26
	v_cmp_gt_u32_e32 vcc, s2, v46
	s_or_b64 s[4:5], s[34:35], vcc
	s_and_saveexec_b64 s[0:1], s[4:5]
	s_cbranch_execz .LBB870_430
; %bb.428:
	v_cmp_eq_u32_e32 vcc, 1, v48
	s_and_b64 exec, exec, vcc
	s_cbranch_execz .LBB870_430
; %bb.429:
	s_lshl_b64 s[4:5], s[22:23], 3
	s_add_u32 s4, s30, s4
	s_addc_u32 s5, s31, s5
	v_mov_b32_e32 v47, 0
	v_lshl_add_u64 v[14:15], v[46:47], 3, s[4:5]
	global_store_dwordx2 v[14:15], v[10:11], off
.LBB870_430:
	s_or_b64 exec, exec, s[0:1]
	v_cmp_gt_u32_e32 vcc, s2, v44
	s_or_b64 s[4:5], s[34:35], vcc
	s_and_saveexec_b64 s[0:1], s[4:5]
	s_cbranch_execz .LBB870_433
; %bb.431:
	v_and_b32_e32 v14, 1, v33
	v_cmp_eq_u32_e32 vcc, 1, v14
	s_and_b64 exec, exec, vcc
	s_cbranch_execz .LBB870_433
; %bb.432:
	s_lshl_b64 s[4:5], s[22:23], 3
	s_add_u32 s4, s30, s4
	s_addc_u32 s5, s31, s5
	v_mov_b32_e32 v45, 0
	v_lshl_add_u64 v[14:15], v[44:45], 3, s[4:5]
	global_store_dwordx2 v[14:15], v[12:13], off
.LBB870_433:
	s_or_b64 exec, exec, s[0:1]
	v_cmp_gt_u32_e32 vcc, s2, v42
	s_or_b64 s[4:5], s[34:35], vcc
	s_and_saveexec_b64 s[0:1], s[4:5]
	s_cbranch_execz .LBB870_436
; %bb.434:
	v_mov_b32_e32 v14, 1
	v_and_b32_sdwa v14, v14, v30 dst_sel:DWORD dst_unused:UNUSED_PAD src0_sel:DWORD src1_sel:WORD_1
	v_cmp_eq_u32_e32 vcc, 1, v14
	s_and_b64 exec, exec, vcc
	s_cbranch_execz .LBB870_436
; %bb.435:
	s_lshl_b64 s[4:5], s[22:23], 3
	s_add_u32 s4, s30, s4
	s_addc_u32 s5, s31, s5
	v_mov_b32_e32 v43, 0
	v_lshl_add_u64 v[14:15], v[42:43], 3, s[4:5]
	global_store_dwordx2 v[14:15], v[6:7], off
.LBB870_436:
	s_or_b64 exec, exec, s[0:1]
	v_cmp_gt_u32_e32 vcc, s2, v40
	s_or_b64 s[4:5], s[34:35], vcc
	s_and_saveexec_b64 s[0:1], s[4:5]
	s_cbranch_execz .LBB870_439
; %bb.437:
	v_and_b32_e32 v14, 1, v32
	v_cmp_eq_u32_e32 vcc, 1, v14
	s_and_b64 exec, exec, vcc
	s_cbranch_execz .LBB870_439
; %bb.438:
	s_lshl_b64 s[4:5], s[22:23], 3
	s_add_u32 s4, s30, s4
	s_addc_u32 s5, s31, s5
	v_mov_b32_e32 v41, 0
	v_lshl_add_u64 v[14:15], v[40:41], 3, s[4:5]
	global_store_dwordx2 v[14:15], v[8:9], off
.LBB870_439:
	s_or_b64 exec, exec, s[0:1]
	v_cmp_gt_u32_e32 vcc, s2, v38
	s_or_b64 s[4:5], s[34:35], vcc
	s_and_saveexec_b64 s[0:1], s[4:5]
	s_cbranch_execz .LBB870_442
; %bb.440:
	v_and_b32_e32 v14, 1, v31
	v_cmp_eq_u32_e32 vcc, 1, v14
	s_and_b64 exec, exec, vcc
	s_cbranch_execz .LBB870_442
; %bb.441:
	s_lshl_b64 s[4:5], s[22:23], 3
	s_add_u32 s4, s30, s4
	s_addc_u32 s5, s31, s5
	v_mov_b32_e32 v39, 0
	v_lshl_add_u64 v[14:15], v[38:39], 3, s[4:5]
	global_store_dwordx2 v[14:15], v[2:3], off
.LBB870_442:
	s_or_b64 exec, exec, s[0:1]
	v_cmp_gt_u32_e32 vcc, s2, v36
	s_or_b64 s[4:5], s[34:35], vcc
	s_and_saveexec_b64 s[0:1], s[4:5]
	s_cbranch_execz .LBB870_445
; %bb.443:
	v_and_b32_e32 v14, 1, v1
	v_cmp_eq_u32_e32 vcc, 1, v14
	s_and_b64 exec, exec, vcc
	s_cbranch_execz .LBB870_445
; %bb.444:
	s_lshl_b64 s[4:5], s[22:23], 3
	s_add_u32 s4, s30, s4
	s_addc_u32 s5, s31, s5
	v_mov_b32_e32 v37, 0
	v_lshl_add_u64 v[14:15], v[36:37], 3, s[4:5]
	global_store_dwordx2 v[14:15], v[4:5], off
.LBB870_445:
	s_or_b64 exec, exec, s[0:1]
	v_cmp_gt_u32_e32 vcc, s2, v34
	s_or_b64 s[2:3], s[34:35], vcc
	s_and_saveexec_b64 s[0:1], s[2:3]
	s_cbranch_execz .LBB870_448
; %bb.446:
	v_mov_b32_e32 v14, 1
	v_and_b32_sdwa v14, v14, v31 dst_sel:DWORD dst_unused:UNUSED_PAD src0_sel:DWORD src1_sel:WORD_1
	v_cmp_eq_u32_e32 vcc, 1, v14
	s_and_b64 exec, exec, vcc
	s_cbranch_execz .LBB870_448
; %bb.447:
	s_lshl_b64 s[2:3], s[22:23], 3
	s_add_u32 s2, s30, s2
	s_addc_u32 s3, s31, s3
	v_mov_b32_e32 v35, 0
	v_lshl_add_u64 v[14:15], v[34:35], 3, s[2:3]
	global_store_dwordx2 v[14:15], v[26:27], off
.LBB870_448:
	s_or_b64 exec, exec, s[0:1]
	s_branch .LBB870_425
.LBB870_449:
	v_cmp_eq_u32_e32 vcc, 1, v48
	s_and_saveexec_b64 s[0:1], vcc
	s_cbranch_execz .LBB870_451
; %bb.450:
	v_subrev_u32_e32 v14, s16, v46
	v_lshlrev_b32_e32 v14, 3, v14
	ds_write_b64 v14, v[10:11]
.LBB870_451:
	s_or_b64 exec, exec, s[0:1]
	v_and_b32_e32 v10, 1, v33
	v_cmp_eq_u32_e32 vcc, 1, v10
	s_and_saveexec_b64 s[0:1], vcc
	s_cbranch_execz .LBB870_453
; %bb.452:
	v_subrev_u32_e32 v10, s16, v44
	v_lshlrev_b32_e32 v10, 3, v10
	ds_write_b64 v10, v[12:13]
.LBB870_453:
	s_or_b64 exec, exec, s[0:1]
	v_mov_b32_e32 v10, 1
	v_and_b32_sdwa v10, v10, v30 dst_sel:DWORD dst_unused:UNUSED_PAD src0_sel:DWORD src1_sel:WORD_1
	v_cmp_eq_u32_e32 vcc, 1, v10
	s_and_saveexec_b64 s[0:1], vcc
	s_cbranch_execz .LBB870_455
; %bb.454:
	v_subrev_u32_e32 v10, s16, v42
	v_lshlrev_b32_e32 v10, 3, v10
	ds_write_b64 v10, v[6:7]
.LBB870_455:
	s_or_b64 exec, exec, s[0:1]
	v_and_b32_e32 v6, 1, v32
	v_cmp_eq_u32_e32 vcc, 1, v6
	s_and_saveexec_b64 s[0:1], vcc
	s_cbranch_execz .LBB870_457
; %bb.456:
	v_subrev_u32_e32 v6, s16, v40
	v_lshlrev_b32_e32 v6, 3, v6
	ds_write_b64 v6, v[8:9]
.LBB870_457:
	s_or_b64 exec, exec, s[0:1]
	v_and_b32_e32 v6, 1, v31
	v_cmp_eq_u32_e32 vcc, 1, v6
	s_and_saveexec_b64 s[0:1], vcc
	s_cbranch_execz .LBB870_459
; %bb.458:
	v_subrev_u32_e32 v6, s16, v38
	v_lshlrev_b32_e32 v6, 3, v6
	ds_write_b64 v6, v[2:3]
.LBB870_459:
	s_or_b64 exec, exec, s[0:1]
	v_and_b32_e32 v1, 1, v1
	v_cmp_eq_u32_e32 vcc, 1, v1
	s_and_saveexec_b64 s[0:1], vcc
	s_cbranch_execz .LBB870_461
; %bb.460:
	v_subrev_u32_e32 v1, s16, v36
	v_lshlrev_b32_e32 v1, 3, v1
	ds_write_b64 v1, v[4:5]
.LBB870_461:
	s_or_b64 exec, exec, s[0:1]
	v_mov_b32_e32 v1, 1
	v_and_b32_sdwa v1, v1, v31 dst_sel:DWORD dst_unused:UNUSED_PAD src0_sel:DWORD src1_sel:WORD_1
	v_cmp_eq_u32_e32 vcc, 1, v1
	s_and_saveexec_b64 s[0:1], vcc
	s_cbranch_execz .LBB870_463
; %bb.462:
	v_subrev_u32_e32 v1, s16, v34
	v_lshlrev_b32_e32 v1, 3, v1
	ds_write_b64 v1, v[26:27]
.LBB870_463:
	s_or_b64 exec, exec, s[0:1]
	v_cmp_gt_u32_e32 vcc, s26, v0
	s_waitcnt lgkmcnt(0)
	s_barrier
	s_and_saveexec_b64 s[0:1], vcc
	s_cbranch_execz .LBB870_466
; %bb.464:
	s_mov_b32 s17, 0
	s_lshl_b64 s[2:3], s[22:23], 3
	s_lshl_b64 s[4:5], s[16:17], 3
	s_add_u32 s2, s2, s4
	s_addc_u32 s3, s3, s5
	s_add_u32 s2, s30, s2
	v_lshlrev_b32_e32 v2, 3, v0
	v_mov_b32_e32 v3, 0
	s_addc_u32 s3, s31, s3
	v_lshl_add_u64 v[4:5], s[2:3], 0, v[2:3]
	s_mov_b64 s[2:3], 0
	s_mov_b64 s[4:5], 0x1000
.LBB870_465:                            ; =>This Inner Loop Header: Depth=1
	ds_read_b64 v[6:7], v2
	v_add_u32_e32 v0, 0x200, v0
	v_cmp_le_u32_e32 vcc, s26, v0
	v_add_u32_e32 v2, 0x1000, v2
	s_or_b64 s[2:3], vcc, s[2:3]
	s_waitcnt lgkmcnt(0)
	global_store_dwordx2 v[4:5], v[6:7], off
	v_lshl_add_u64 v[4:5], v[4:5], 0, s[4:5]
	s_andn2_b64 exec, exec, s[2:3]
	s_cbranch_execnz .LBB870_465
.LBB870_466:
	s_or_b64 exec, exec, s[0:1]
	s_and_b64 s[0:1], s[18:19], s[24:25]
	s_and_saveexec_b64 s[2:3], s[0:1]
	s_cbranch_execz .LBB870_426
.LBB870_467:
	s_add_u32 s0, s22, s26
	s_addc_u32 s1, s23, 0
	s_add_u32 s0, s0, s16
	s_addc_u32 s1, s1, 0
	v_mov_b32_e32 v2, 0
	v_mov_b64_e32 v[0:1], s[0:1]
	global_store_dwordx2 v2, v[0:1], s[20:21]
	s_endpgm
	.section	.rodata,"a",@progbits
	.p2align	6, 0x0
	.amdhsa_kernel _ZN7rocprim17ROCPRIM_400000_NS6detail17trampoline_kernelINS0_14default_configENS1_25partition_config_selectorILNS1_17partition_subalgoE9EllbEEZZNS1_14partition_implILS5_9ELb0ES3_jPlS8_PNS0_10empty_typeENS0_5tupleIJS8_S9_EEENSB_IJS8_SA_EEENS0_18inequality_wrapperIZN2at6native12_GLOBAL__N_124unique_dim_cuda_templateIdEESt5tupleIJNSF_6TensorESK_SK_EERKSK_lbbbEUlllE0_EEPmJS9_EEE10hipError_tPvRmT3_T4_T5_T6_T7_T9_mT8_P12ihipStream_tbDpT10_ENKUlT_T0_E_clISt17integral_constantIbLb0EES19_IbLb1EEEEDaS15_S16_EUlS15_E_NS1_11comp_targetILNS1_3genE5ELNS1_11target_archE942ELNS1_3gpuE9ELNS1_3repE0EEENS1_30default_config_static_selectorELNS0_4arch9wavefront6targetE1EEEvT1_
		.amdhsa_group_segment_fixed_size 28684
		.amdhsa_private_segment_fixed_size 0
		.amdhsa_kernarg_size 136
		.amdhsa_user_sgpr_count 2
		.amdhsa_user_sgpr_dispatch_ptr 0
		.amdhsa_user_sgpr_queue_ptr 0
		.amdhsa_user_sgpr_kernarg_segment_ptr 1
		.amdhsa_user_sgpr_dispatch_id 0
		.amdhsa_user_sgpr_kernarg_preload_length 0
		.amdhsa_user_sgpr_kernarg_preload_offset 0
		.amdhsa_user_sgpr_private_segment_size 0
		.amdhsa_uses_dynamic_stack 0
		.amdhsa_enable_private_segment 0
		.amdhsa_system_sgpr_workgroup_id_x 1
		.amdhsa_system_sgpr_workgroup_id_y 0
		.amdhsa_system_sgpr_workgroup_id_z 0
		.amdhsa_system_sgpr_workgroup_info 0
		.amdhsa_system_vgpr_workitem_id 0
		.amdhsa_next_free_vgpr 66
		.amdhsa_next_free_sgpr 58
		.amdhsa_accum_offset 68
		.amdhsa_reserve_vcc 1
		.amdhsa_float_round_mode_32 0
		.amdhsa_float_round_mode_16_64 0
		.amdhsa_float_denorm_mode_32 3
		.amdhsa_float_denorm_mode_16_64 3
		.amdhsa_dx10_clamp 1
		.amdhsa_ieee_mode 1
		.amdhsa_fp16_overflow 0
		.amdhsa_tg_split 0
		.amdhsa_exception_fp_ieee_invalid_op 0
		.amdhsa_exception_fp_denorm_src 0
		.amdhsa_exception_fp_ieee_div_zero 0
		.amdhsa_exception_fp_ieee_overflow 0
		.amdhsa_exception_fp_ieee_underflow 0
		.amdhsa_exception_fp_ieee_inexact 0
		.amdhsa_exception_int_div_zero 0
	.end_amdhsa_kernel
	.section	.text._ZN7rocprim17ROCPRIM_400000_NS6detail17trampoline_kernelINS0_14default_configENS1_25partition_config_selectorILNS1_17partition_subalgoE9EllbEEZZNS1_14partition_implILS5_9ELb0ES3_jPlS8_PNS0_10empty_typeENS0_5tupleIJS8_S9_EEENSB_IJS8_SA_EEENS0_18inequality_wrapperIZN2at6native12_GLOBAL__N_124unique_dim_cuda_templateIdEESt5tupleIJNSF_6TensorESK_SK_EERKSK_lbbbEUlllE0_EEPmJS9_EEE10hipError_tPvRmT3_T4_T5_T6_T7_T9_mT8_P12ihipStream_tbDpT10_ENKUlT_T0_E_clISt17integral_constantIbLb0EES19_IbLb1EEEEDaS15_S16_EUlS15_E_NS1_11comp_targetILNS1_3genE5ELNS1_11target_archE942ELNS1_3gpuE9ELNS1_3repE0EEENS1_30default_config_static_selectorELNS0_4arch9wavefront6targetE1EEEvT1_,"axG",@progbits,_ZN7rocprim17ROCPRIM_400000_NS6detail17trampoline_kernelINS0_14default_configENS1_25partition_config_selectorILNS1_17partition_subalgoE9EllbEEZZNS1_14partition_implILS5_9ELb0ES3_jPlS8_PNS0_10empty_typeENS0_5tupleIJS8_S9_EEENSB_IJS8_SA_EEENS0_18inequality_wrapperIZN2at6native12_GLOBAL__N_124unique_dim_cuda_templateIdEESt5tupleIJNSF_6TensorESK_SK_EERKSK_lbbbEUlllE0_EEPmJS9_EEE10hipError_tPvRmT3_T4_T5_T6_T7_T9_mT8_P12ihipStream_tbDpT10_ENKUlT_T0_E_clISt17integral_constantIbLb0EES19_IbLb1EEEEDaS15_S16_EUlS15_E_NS1_11comp_targetILNS1_3genE5ELNS1_11target_archE942ELNS1_3gpuE9ELNS1_3repE0EEENS1_30default_config_static_selectorELNS0_4arch9wavefront6targetE1EEEvT1_,comdat
.Lfunc_end870:
	.size	_ZN7rocprim17ROCPRIM_400000_NS6detail17trampoline_kernelINS0_14default_configENS1_25partition_config_selectorILNS1_17partition_subalgoE9EllbEEZZNS1_14partition_implILS5_9ELb0ES3_jPlS8_PNS0_10empty_typeENS0_5tupleIJS8_S9_EEENSB_IJS8_SA_EEENS0_18inequality_wrapperIZN2at6native12_GLOBAL__N_124unique_dim_cuda_templateIdEESt5tupleIJNSF_6TensorESK_SK_EERKSK_lbbbEUlllE0_EEPmJS9_EEE10hipError_tPvRmT3_T4_T5_T6_T7_T9_mT8_P12ihipStream_tbDpT10_ENKUlT_T0_E_clISt17integral_constantIbLb0EES19_IbLb1EEEEDaS15_S16_EUlS15_E_NS1_11comp_targetILNS1_3genE5ELNS1_11target_archE942ELNS1_3gpuE9ELNS1_3repE0EEENS1_30default_config_static_selectorELNS0_4arch9wavefront6targetE1EEEvT1_, .Lfunc_end870-_ZN7rocprim17ROCPRIM_400000_NS6detail17trampoline_kernelINS0_14default_configENS1_25partition_config_selectorILNS1_17partition_subalgoE9EllbEEZZNS1_14partition_implILS5_9ELb0ES3_jPlS8_PNS0_10empty_typeENS0_5tupleIJS8_S9_EEENSB_IJS8_SA_EEENS0_18inequality_wrapperIZN2at6native12_GLOBAL__N_124unique_dim_cuda_templateIdEESt5tupleIJNSF_6TensorESK_SK_EERKSK_lbbbEUlllE0_EEPmJS9_EEE10hipError_tPvRmT3_T4_T5_T6_T7_T9_mT8_P12ihipStream_tbDpT10_ENKUlT_T0_E_clISt17integral_constantIbLb0EES19_IbLb1EEEEDaS15_S16_EUlS15_E_NS1_11comp_targetILNS1_3genE5ELNS1_11target_archE942ELNS1_3gpuE9ELNS1_3repE0EEENS1_30default_config_static_selectorELNS0_4arch9wavefront6targetE1EEEvT1_
                                        ; -- End function
	.section	.AMDGPU.csdata,"",@progbits
; Kernel info:
; codeLenInByte = 14484
; NumSgprs: 64
; NumVgprs: 66
; NumAgprs: 0
; TotalNumVgprs: 66
; ScratchSize: 0
; MemoryBound: 1
; FloatMode: 240
; IeeeMode: 1
; LDSByteSize: 28684 bytes/workgroup (compile time only)
; SGPRBlocks: 7
; VGPRBlocks: 8
; NumSGPRsForWavesPerEU: 64
; NumVGPRsForWavesPerEU: 66
; AccumOffset: 68
; Occupancy: 4
; WaveLimiterHint : 1
; COMPUTE_PGM_RSRC2:SCRATCH_EN: 0
; COMPUTE_PGM_RSRC2:USER_SGPR: 2
; COMPUTE_PGM_RSRC2:TRAP_HANDLER: 0
; COMPUTE_PGM_RSRC2:TGID_X_EN: 1
; COMPUTE_PGM_RSRC2:TGID_Y_EN: 0
; COMPUTE_PGM_RSRC2:TGID_Z_EN: 0
; COMPUTE_PGM_RSRC2:TIDIG_COMP_CNT: 0
; COMPUTE_PGM_RSRC3_GFX90A:ACCUM_OFFSET: 16
; COMPUTE_PGM_RSRC3_GFX90A:TG_SPLIT: 0
	.section	.text._ZN7rocprim17ROCPRIM_400000_NS6detail17trampoline_kernelINS0_14default_configENS1_25partition_config_selectorILNS1_17partition_subalgoE9EllbEEZZNS1_14partition_implILS5_9ELb0ES3_jPlS8_PNS0_10empty_typeENS0_5tupleIJS8_S9_EEENSB_IJS8_SA_EEENS0_18inequality_wrapperIZN2at6native12_GLOBAL__N_124unique_dim_cuda_templateIdEESt5tupleIJNSF_6TensorESK_SK_EERKSK_lbbbEUlllE0_EEPmJS9_EEE10hipError_tPvRmT3_T4_T5_T6_T7_T9_mT8_P12ihipStream_tbDpT10_ENKUlT_T0_E_clISt17integral_constantIbLb0EES19_IbLb1EEEEDaS15_S16_EUlS15_E_NS1_11comp_targetILNS1_3genE4ELNS1_11target_archE910ELNS1_3gpuE8ELNS1_3repE0EEENS1_30default_config_static_selectorELNS0_4arch9wavefront6targetE1EEEvT1_,"axG",@progbits,_ZN7rocprim17ROCPRIM_400000_NS6detail17trampoline_kernelINS0_14default_configENS1_25partition_config_selectorILNS1_17partition_subalgoE9EllbEEZZNS1_14partition_implILS5_9ELb0ES3_jPlS8_PNS0_10empty_typeENS0_5tupleIJS8_S9_EEENSB_IJS8_SA_EEENS0_18inequality_wrapperIZN2at6native12_GLOBAL__N_124unique_dim_cuda_templateIdEESt5tupleIJNSF_6TensorESK_SK_EERKSK_lbbbEUlllE0_EEPmJS9_EEE10hipError_tPvRmT3_T4_T5_T6_T7_T9_mT8_P12ihipStream_tbDpT10_ENKUlT_T0_E_clISt17integral_constantIbLb0EES19_IbLb1EEEEDaS15_S16_EUlS15_E_NS1_11comp_targetILNS1_3genE4ELNS1_11target_archE910ELNS1_3gpuE8ELNS1_3repE0EEENS1_30default_config_static_selectorELNS0_4arch9wavefront6targetE1EEEvT1_,comdat
	.globl	_ZN7rocprim17ROCPRIM_400000_NS6detail17trampoline_kernelINS0_14default_configENS1_25partition_config_selectorILNS1_17partition_subalgoE9EllbEEZZNS1_14partition_implILS5_9ELb0ES3_jPlS8_PNS0_10empty_typeENS0_5tupleIJS8_S9_EEENSB_IJS8_SA_EEENS0_18inequality_wrapperIZN2at6native12_GLOBAL__N_124unique_dim_cuda_templateIdEESt5tupleIJNSF_6TensorESK_SK_EERKSK_lbbbEUlllE0_EEPmJS9_EEE10hipError_tPvRmT3_T4_T5_T6_T7_T9_mT8_P12ihipStream_tbDpT10_ENKUlT_T0_E_clISt17integral_constantIbLb0EES19_IbLb1EEEEDaS15_S16_EUlS15_E_NS1_11comp_targetILNS1_3genE4ELNS1_11target_archE910ELNS1_3gpuE8ELNS1_3repE0EEENS1_30default_config_static_selectorELNS0_4arch9wavefront6targetE1EEEvT1_ ; -- Begin function _ZN7rocprim17ROCPRIM_400000_NS6detail17trampoline_kernelINS0_14default_configENS1_25partition_config_selectorILNS1_17partition_subalgoE9EllbEEZZNS1_14partition_implILS5_9ELb0ES3_jPlS8_PNS0_10empty_typeENS0_5tupleIJS8_S9_EEENSB_IJS8_SA_EEENS0_18inequality_wrapperIZN2at6native12_GLOBAL__N_124unique_dim_cuda_templateIdEESt5tupleIJNSF_6TensorESK_SK_EERKSK_lbbbEUlllE0_EEPmJS9_EEE10hipError_tPvRmT3_T4_T5_T6_T7_T9_mT8_P12ihipStream_tbDpT10_ENKUlT_T0_E_clISt17integral_constantIbLb0EES19_IbLb1EEEEDaS15_S16_EUlS15_E_NS1_11comp_targetILNS1_3genE4ELNS1_11target_archE910ELNS1_3gpuE8ELNS1_3repE0EEENS1_30default_config_static_selectorELNS0_4arch9wavefront6targetE1EEEvT1_
	.p2align	8
	.type	_ZN7rocprim17ROCPRIM_400000_NS6detail17trampoline_kernelINS0_14default_configENS1_25partition_config_selectorILNS1_17partition_subalgoE9EllbEEZZNS1_14partition_implILS5_9ELb0ES3_jPlS8_PNS0_10empty_typeENS0_5tupleIJS8_S9_EEENSB_IJS8_SA_EEENS0_18inequality_wrapperIZN2at6native12_GLOBAL__N_124unique_dim_cuda_templateIdEESt5tupleIJNSF_6TensorESK_SK_EERKSK_lbbbEUlllE0_EEPmJS9_EEE10hipError_tPvRmT3_T4_T5_T6_T7_T9_mT8_P12ihipStream_tbDpT10_ENKUlT_T0_E_clISt17integral_constantIbLb0EES19_IbLb1EEEEDaS15_S16_EUlS15_E_NS1_11comp_targetILNS1_3genE4ELNS1_11target_archE910ELNS1_3gpuE8ELNS1_3repE0EEENS1_30default_config_static_selectorELNS0_4arch9wavefront6targetE1EEEvT1_,@function
_ZN7rocprim17ROCPRIM_400000_NS6detail17trampoline_kernelINS0_14default_configENS1_25partition_config_selectorILNS1_17partition_subalgoE9EllbEEZZNS1_14partition_implILS5_9ELb0ES3_jPlS8_PNS0_10empty_typeENS0_5tupleIJS8_S9_EEENSB_IJS8_SA_EEENS0_18inequality_wrapperIZN2at6native12_GLOBAL__N_124unique_dim_cuda_templateIdEESt5tupleIJNSF_6TensorESK_SK_EERKSK_lbbbEUlllE0_EEPmJS9_EEE10hipError_tPvRmT3_T4_T5_T6_T7_T9_mT8_P12ihipStream_tbDpT10_ENKUlT_T0_E_clISt17integral_constantIbLb0EES19_IbLb1EEEEDaS15_S16_EUlS15_E_NS1_11comp_targetILNS1_3genE4ELNS1_11target_archE910ELNS1_3gpuE8ELNS1_3repE0EEENS1_30default_config_static_selectorELNS0_4arch9wavefront6targetE1EEEvT1_: ; @_ZN7rocprim17ROCPRIM_400000_NS6detail17trampoline_kernelINS0_14default_configENS1_25partition_config_selectorILNS1_17partition_subalgoE9EllbEEZZNS1_14partition_implILS5_9ELb0ES3_jPlS8_PNS0_10empty_typeENS0_5tupleIJS8_S9_EEENSB_IJS8_SA_EEENS0_18inequality_wrapperIZN2at6native12_GLOBAL__N_124unique_dim_cuda_templateIdEESt5tupleIJNSF_6TensorESK_SK_EERKSK_lbbbEUlllE0_EEPmJS9_EEE10hipError_tPvRmT3_T4_T5_T6_T7_T9_mT8_P12ihipStream_tbDpT10_ENKUlT_T0_E_clISt17integral_constantIbLb0EES19_IbLb1EEEEDaS15_S16_EUlS15_E_NS1_11comp_targetILNS1_3genE4ELNS1_11target_archE910ELNS1_3gpuE8ELNS1_3repE0EEENS1_30default_config_static_selectorELNS0_4arch9wavefront6targetE1EEEvT1_
; %bb.0:
	.section	.rodata,"a",@progbits
	.p2align	6, 0x0
	.amdhsa_kernel _ZN7rocprim17ROCPRIM_400000_NS6detail17trampoline_kernelINS0_14default_configENS1_25partition_config_selectorILNS1_17partition_subalgoE9EllbEEZZNS1_14partition_implILS5_9ELb0ES3_jPlS8_PNS0_10empty_typeENS0_5tupleIJS8_S9_EEENSB_IJS8_SA_EEENS0_18inequality_wrapperIZN2at6native12_GLOBAL__N_124unique_dim_cuda_templateIdEESt5tupleIJNSF_6TensorESK_SK_EERKSK_lbbbEUlllE0_EEPmJS9_EEE10hipError_tPvRmT3_T4_T5_T6_T7_T9_mT8_P12ihipStream_tbDpT10_ENKUlT_T0_E_clISt17integral_constantIbLb0EES19_IbLb1EEEEDaS15_S16_EUlS15_E_NS1_11comp_targetILNS1_3genE4ELNS1_11target_archE910ELNS1_3gpuE8ELNS1_3repE0EEENS1_30default_config_static_selectorELNS0_4arch9wavefront6targetE1EEEvT1_
		.amdhsa_group_segment_fixed_size 0
		.amdhsa_private_segment_fixed_size 0
		.amdhsa_kernarg_size 136
		.amdhsa_user_sgpr_count 2
		.amdhsa_user_sgpr_dispatch_ptr 0
		.amdhsa_user_sgpr_queue_ptr 0
		.amdhsa_user_sgpr_kernarg_segment_ptr 1
		.amdhsa_user_sgpr_dispatch_id 0
		.amdhsa_user_sgpr_kernarg_preload_length 0
		.amdhsa_user_sgpr_kernarg_preload_offset 0
		.amdhsa_user_sgpr_private_segment_size 0
		.amdhsa_uses_dynamic_stack 0
		.amdhsa_enable_private_segment 0
		.amdhsa_system_sgpr_workgroup_id_x 1
		.amdhsa_system_sgpr_workgroup_id_y 0
		.amdhsa_system_sgpr_workgroup_id_z 0
		.amdhsa_system_sgpr_workgroup_info 0
		.amdhsa_system_vgpr_workitem_id 0
		.amdhsa_next_free_vgpr 1
		.amdhsa_next_free_sgpr 0
		.amdhsa_accum_offset 4
		.amdhsa_reserve_vcc 0
		.amdhsa_float_round_mode_32 0
		.amdhsa_float_round_mode_16_64 0
		.amdhsa_float_denorm_mode_32 3
		.amdhsa_float_denorm_mode_16_64 3
		.amdhsa_dx10_clamp 1
		.amdhsa_ieee_mode 1
		.amdhsa_fp16_overflow 0
		.amdhsa_tg_split 0
		.amdhsa_exception_fp_ieee_invalid_op 0
		.amdhsa_exception_fp_denorm_src 0
		.amdhsa_exception_fp_ieee_div_zero 0
		.amdhsa_exception_fp_ieee_overflow 0
		.amdhsa_exception_fp_ieee_underflow 0
		.amdhsa_exception_fp_ieee_inexact 0
		.amdhsa_exception_int_div_zero 0
	.end_amdhsa_kernel
	.section	.text._ZN7rocprim17ROCPRIM_400000_NS6detail17trampoline_kernelINS0_14default_configENS1_25partition_config_selectorILNS1_17partition_subalgoE9EllbEEZZNS1_14partition_implILS5_9ELb0ES3_jPlS8_PNS0_10empty_typeENS0_5tupleIJS8_S9_EEENSB_IJS8_SA_EEENS0_18inequality_wrapperIZN2at6native12_GLOBAL__N_124unique_dim_cuda_templateIdEESt5tupleIJNSF_6TensorESK_SK_EERKSK_lbbbEUlllE0_EEPmJS9_EEE10hipError_tPvRmT3_T4_T5_T6_T7_T9_mT8_P12ihipStream_tbDpT10_ENKUlT_T0_E_clISt17integral_constantIbLb0EES19_IbLb1EEEEDaS15_S16_EUlS15_E_NS1_11comp_targetILNS1_3genE4ELNS1_11target_archE910ELNS1_3gpuE8ELNS1_3repE0EEENS1_30default_config_static_selectorELNS0_4arch9wavefront6targetE1EEEvT1_,"axG",@progbits,_ZN7rocprim17ROCPRIM_400000_NS6detail17trampoline_kernelINS0_14default_configENS1_25partition_config_selectorILNS1_17partition_subalgoE9EllbEEZZNS1_14partition_implILS5_9ELb0ES3_jPlS8_PNS0_10empty_typeENS0_5tupleIJS8_S9_EEENSB_IJS8_SA_EEENS0_18inequality_wrapperIZN2at6native12_GLOBAL__N_124unique_dim_cuda_templateIdEESt5tupleIJNSF_6TensorESK_SK_EERKSK_lbbbEUlllE0_EEPmJS9_EEE10hipError_tPvRmT3_T4_T5_T6_T7_T9_mT8_P12ihipStream_tbDpT10_ENKUlT_T0_E_clISt17integral_constantIbLb0EES19_IbLb1EEEEDaS15_S16_EUlS15_E_NS1_11comp_targetILNS1_3genE4ELNS1_11target_archE910ELNS1_3gpuE8ELNS1_3repE0EEENS1_30default_config_static_selectorELNS0_4arch9wavefront6targetE1EEEvT1_,comdat
.Lfunc_end871:
	.size	_ZN7rocprim17ROCPRIM_400000_NS6detail17trampoline_kernelINS0_14default_configENS1_25partition_config_selectorILNS1_17partition_subalgoE9EllbEEZZNS1_14partition_implILS5_9ELb0ES3_jPlS8_PNS0_10empty_typeENS0_5tupleIJS8_S9_EEENSB_IJS8_SA_EEENS0_18inequality_wrapperIZN2at6native12_GLOBAL__N_124unique_dim_cuda_templateIdEESt5tupleIJNSF_6TensorESK_SK_EERKSK_lbbbEUlllE0_EEPmJS9_EEE10hipError_tPvRmT3_T4_T5_T6_T7_T9_mT8_P12ihipStream_tbDpT10_ENKUlT_T0_E_clISt17integral_constantIbLb0EES19_IbLb1EEEEDaS15_S16_EUlS15_E_NS1_11comp_targetILNS1_3genE4ELNS1_11target_archE910ELNS1_3gpuE8ELNS1_3repE0EEENS1_30default_config_static_selectorELNS0_4arch9wavefront6targetE1EEEvT1_, .Lfunc_end871-_ZN7rocprim17ROCPRIM_400000_NS6detail17trampoline_kernelINS0_14default_configENS1_25partition_config_selectorILNS1_17partition_subalgoE9EllbEEZZNS1_14partition_implILS5_9ELb0ES3_jPlS8_PNS0_10empty_typeENS0_5tupleIJS8_S9_EEENSB_IJS8_SA_EEENS0_18inequality_wrapperIZN2at6native12_GLOBAL__N_124unique_dim_cuda_templateIdEESt5tupleIJNSF_6TensorESK_SK_EERKSK_lbbbEUlllE0_EEPmJS9_EEE10hipError_tPvRmT3_T4_T5_T6_T7_T9_mT8_P12ihipStream_tbDpT10_ENKUlT_T0_E_clISt17integral_constantIbLb0EES19_IbLb1EEEEDaS15_S16_EUlS15_E_NS1_11comp_targetILNS1_3genE4ELNS1_11target_archE910ELNS1_3gpuE8ELNS1_3repE0EEENS1_30default_config_static_selectorELNS0_4arch9wavefront6targetE1EEEvT1_
                                        ; -- End function
	.section	.AMDGPU.csdata,"",@progbits
; Kernel info:
; codeLenInByte = 0
; NumSgprs: 6
; NumVgprs: 0
; NumAgprs: 0
; TotalNumVgprs: 0
; ScratchSize: 0
; MemoryBound: 0
; FloatMode: 240
; IeeeMode: 1
; LDSByteSize: 0 bytes/workgroup (compile time only)
; SGPRBlocks: 0
; VGPRBlocks: 0
; NumSGPRsForWavesPerEU: 6
; NumVGPRsForWavesPerEU: 1
; AccumOffset: 4
; Occupancy: 8
; WaveLimiterHint : 0
; COMPUTE_PGM_RSRC2:SCRATCH_EN: 0
; COMPUTE_PGM_RSRC2:USER_SGPR: 2
; COMPUTE_PGM_RSRC2:TRAP_HANDLER: 0
; COMPUTE_PGM_RSRC2:TGID_X_EN: 1
; COMPUTE_PGM_RSRC2:TGID_Y_EN: 0
; COMPUTE_PGM_RSRC2:TGID_Z_EN: 0
; COMPUTE_PGM_RSRC2:TIDIG_COMP_CNT: 0
; COMPUTE_PGM_RSRC3_GFX90A:ACCUM_OFFSET: 0
; COMPUTE_PGM_RSRC3_GFX90A:TG_SPLIT: 0
	.section	.text._ZN7rocprim17ROCPRIM_400000_NS6detail17trampoline_kernelINS0_14default_configENS1_25partition_config_selectorILNS1_17partition_subalgoE9EllbEEZZNS1_14partition_implILS5_9ELb0ES3_jPlS8_PNS0_10empty_typeENS0_5tupleIJS8_S9_EEENSB_IJS8_SA_EEENS0_18inequality_wrapperIZN2at6native12_GLOBAL__N_124unique_dim_cuda_templateIdEESt5tupleIJNSF_6TensorESK_SK_EERKSK_lbbbEUlllE0_EEPmJS9_EEE10hipError_tPvRmT3_T4_T5_T6_T7_T9_mT8_P12ihipStream_tbDpT10_ENKUlT_T0_E_clISt17integral_constantIbLb0EES19_IbLb1EEEEDaS15_S16_EUlS15_E_NS1_11comp_targetILNS1_3genE3ELNS1_11target_archE908ELNS1_3gpuE7ELNS1_3repE0EEENS1_30default_config_static_selectorELNS0_4arch9wavefront6targetE1EEEvT1_,"axG",@progbits,_ZN7rocprim17ROCPRIM_400000_NS6detail17trampoline_kernelINS0_14default_configENS1_25partition_config_selectorILNS1_17partition_subalgoE9EllbEEZZNS1_14partition_implILS5_9ELb0ES3_jPlS8_PNS0_10empty_typeENS0_5tupleIJS8_S9_EEENSB_IJS8_SA_EEENS0_18inequality_wrapperIZN2at6native12_GLOBAL__N_124unique_dim_cuda_templateIdEESt5tupleIJNSF_6TensorESK_SK_EERKSK_lbbbEUlllE0_EEPmJS9_EEE10hipError_tPvRmT3_T4_T5_T6_T7_T9_mT8_P12ihipStream_tbDpT10_ENKUlT_T0_E_clISt17integral_constantIbLb0EES19_IbLb1EEEEDaS15_S16_EUlS15_E_NS1_11comp_targetILNS1_3genE3ELNS1_11target_archE908ELNS1_3gpuE7ELNS1_3repE0EEENS1_30default_config_static_selectorELNS0_4arch9wavefront6targetE1EEEvT1_,comdat
	.globl	_ZN7rocprim17ROCPRIM_400000_NS6detail17trampoline_kernelINS0_14default_configENS1_25partition_config_selectorILNS1_17partition_subalgoE9EllbEEZZNS1_14partition_implILS5_9ELb0ES3_jPlS8_PNS0_10empty_typeENS0_5tupleIJS8_S9_EEENSB_IJS8_SA_EEENS0_18inequality_wrapperIZN2at6native12_GLOBAL__N_124unique_dim_cuda_templateIdEESt5tupleIJNSF_6TensorESK_SK_EERKSK_lbbbEUlllE0_EEPmJS9_EEE10hipError_tPvRmT3_T4_T5_T6_T7_T9_mT8_P12ihipStream_tbDpT10_ENKUlT_T0_E_clISt17integral_constantIbLb0EES19_IbLb1EEEEDaS15_S16_EUlS15_E_NS1_11comp_targetILNS1_3genE3ELNS1_11target_archE908ELNS1_3gpuE7ELNS1_3repE0EEENS1_30default_config_static_selectorELNS0_4arch9wavefront6targetE1EEEvT1_ ; -- Begin function _ZN7rocprim17ROCPRIM_400000_NS6detail17trampoline_kernelINS0_14default_configENS1_25partition_config_selectorILNS1_17partition_subalgoE9EllbEEZZNS1_14partition_implILS5_9ELb0ES3_jPlS8_PNS0_10empty_typeENS0_5tupleIJS8_S9_EEENSB_IJS8_SA_EEENS0_18inequality_wrapperIZN2at6native12_GLOBAL__N_124unique_dim_cuda_templateIdEESt5tupleIJNSF_6TensorESK_SK_EERKSK_lbbbEUlllE0_EEPmJS9_EEE10hipError_tPvRmT3_T4_T5_T6_T7_T9_mT8_P12ihipStream_tbDpT10_ENKUlT_T0_E_clISt17integral_constantIbLb0EES19_IbLb1EEEEDaS15_S16_EUlS15_E_NS1_11comp_targetILNS1_3genE3ELNS1_11target_archE908ELNS1_3gpuE7ELNS1_3repE0EEENS1_30default_config_static_selectorELNS0_4arch9wavefront6targetE1EEEvT1_
	.p2align	8
	.type	_ZN7rocprim17ROCPRIM_400000_NS6detail17trampoline_kernelINS0_14default_configENS1_25partition_config_selectorILNS1_17partition_subalgoE9EllbEEZZNS1_14partition_implILS5_9ELb0ES3_jPlS8_PNS0_10empty_typeENS0_5tupleIJS8_S9_EEENSB_IJS8_SA_EEENS0_18inequality_wrapperIZN2at6native12_GLOBAL__N_124unique_dim_cuda_templateIdEESt5tupleIJNSF_6TensorESK_SK_EERKSK_lbbbEUlllE0_EEPmJS9_EEE10hipError_tPvRmT3_T4_T5_T6_T7_T9_mT8_P12ihipStream_tbDpT10_ENKUlT_T0_E_clISt17integral_constantIbLb0EES19_IbLb1EEEEDaS15_S16_EUlS15_E_NS1_11comp_targetILNS1_3genE3ELNS1_11target_archE908ELNS1_3gpuE7ELNS1_3repE0EEENS1_30default_config_static_selectorELNS0_4arch9wavefront6targetE1EEEvT1_,@function
_ZN7rocprim17ROCPRIM_400000_NS6detail17trampoline_kernelINS0_14default_configENS1_25partition_config_selectorILNS1_17partition_subalgoE9EllbEEZZNS1_14partition_implILS5_9ELb0ES3_jPlS8_PNS0_10empty_typeENS0_5tupleIJS8_S9_EEENSB_IJS8_SA_EEENS0_18inequality_wrapperIZN2at6native12_GLOBAL__N_124unique_dim_cuda_templateIdEESt5tupleIJNSF_6TensorESK_SK_EERKSK_lbbbEUlllE0_EEPmJS9_EEE10hipError_tPvRmT3_T4_T5_T6_T7_T9_mT8_P12ihipStream_tbDpT10_ENKUlT_T0_E_clISt17integral_constantIbLb0EES19_IbLb1EEEEDaS15_S16_EUlS15_E_NS1_11comp_targetILNS1_3genE3ELNS1_11target_archE908ELNS1_3gpuE7ELNS1_3repE0EEENS1_30default_config_static_selectorELNS0_4arch9wavefront6targetE1EEEvT1_: ; @_ZN7rocprim17ROCPRIM_400000_NS6detail17trampoline_kernelINS0_14default_configENS1_25partition_config_selectorILNS1_17partition_subalgoE9EllbEEZZNS1_14partition_implILS5_9ELb0ES3_jPlS8_PNS0_10empty_typeENS0_5tupleIJS8_S9_EEENSB_IJS8_SA_EEENS0_18inequality_wrapperIZN2at6native12_GLOBAL__N_124unique_dim_cuda_templateIdEESt5tupleIJNSF_6TensorESK_SK_EERKSK_lbbbEUlllE0_EEPmJS9_EEE10hipError_tPvRmT3_T4_T5_T6_T7_T9_mT8_P12ihipStream_tbDpT10_ENKUlT_T0_E_clISt17integral_constantIbLb0EES19_IbLb1EEEEDaS15_S16_EUlS15_E_NS1_11comp_targetILNS1_3genE3ELNS1_11target_archE908ELNS1_3gpuE7ELNS1_3repE0EEENS1_30default_config_static_selectorELNS0_4arch9wavefront6targetE1EEEvT1_
; %bb.0:
	.section	.rodata,"a",@progbits
	.p2align	6, 0x0
	.amdhsa_kernel _ZN7rocprim17ROCPRIM_400000_NS6detail17trampoline_kernelINS0_14default_configENS1_25partition_config_selectorILNS1_17partition_subalgoE9EllbEEZZNS1_14partition_implILS5_9ELb0ES3_jPlS8_PNS0_10empty_typeENS0_5tupleIJS8_S9_EEENSB_IJS8_SA_EEENS0_18inequality_wrapperIZN2at6native12_GLOBAL__N_124unique_dim_cuda_templateIdEESt5tupleIJNSF_6TensorESK_SK_EERKSK_lbbbEUlllE0_EEPmJS9_EEE10hipError_tPvRmT3_T4_T5_T6_T7_T9_mT8_P12ihipStream_tbDpT10_ENKUlT_T0_E_clISt17integral_constantIbLb0EES19_IbLb1EEEEDaS15_S16_EUlS15_E_NS1_11comp_targetILNS1_3genE3ELNS1_11target_archE908ELNS1_3gpuE7ELNS1_3repE0EEENS1_30default_config_static_selectorELNS0_4arch9wavefront6targetE1EEEvT1_
		.amdhsa_group_segment_fixed_size 0
		.amdhsa_private_segment_fixed_size 0
		.amdhsa_kernarg_size 136
		.amdhsa_user_sgpr_count 2
		.amdhsa_user_sgpr_dispatch_ptr 0
		.amdhsa_user_sgpr_queue_ptr 0
		.amdhsa_user_sgpr_kernarg_segment_ptr 1
		.amdhsa_user_sgpr_dispatch_id 0
		.amdhsa_user_sgpr_kernarg_preload_length 0
		.amdhsa_user_sgpr_kernarg_preload_offset 0
		.amdhsa_user_sgpr_private_segment_size 0
		.amdhsa_uses_dynamic_stack 0
		.amdhsa_enable_private_segment 0
		.amdhsa_system_sgpr_workgroup_id_x 1
		.amdhsa_system_sgpr_workgroup_id_y 0
		.amdhsa_system_sgpr_workgroup_id_z 0
		.amdhsa_system_sgpr_workgroup_info 0
		.amdhsa_system_vgpr_workitem_id 0
		.amdhsa_next_free_vgpr 1
		.amdhsa_next_free_sgpr 0
		.amdhsa_accum_offset 4
		.amdhsa_reserve_vcc 0
		.amdhsa_float_round_mode_32 0
		.amdhsa_float_round_mode_16_64 0
		.amdhsa_float_denorm_mode_32 3
		.amdhsa_float_denorm_mode_16_64 3
		.amdhsa_dx10_clamp 1
		.amdhsa_ieee_mode 1
		.amdhsa_fp16_overflow 0
		.amdhsa_tg_split 0
		.amdhsa_exception_fp_ieee_invalid_op 0
		.amdhsa_exception_fp_denorm_src 0
		.amdhsa_exception_fp_ieee_div_zero 0
		.amdhsa_exception_fp_ieee_overflow 0
		.amdhsa_exception_fp_ieee_underflow 0
		.amdhsa_exception_fp_ieee_inexact 0
		.amdhsa_exception_int_div_zero 0
	.end_amdhsa_kernel
	.section	.text._ZN7rocprim17ROCPRIM_400000_NS6detail17trampoline_kernelINS0_14default_configENS1_25partition_config_selectorILNS1_17partition_subalgoE9EllbEEZZNS1_14partition_implILS5_9ELb0ES3_jPlS8_PNS0_10empty_typeENS0_5tupleIJS8_S9_EEENSB_IJS8_SA_EEENS0_18inequality_wrapperIZN2at6native12_GLOBAL__N_124unique_dim_cuda_templateIdEESt5tupleIJNSF_6TensorESK_SK_EERKSK_lbbbEUlllE0_EEPmJS9_EEE10hipError_tPvRmT3_T4_T5_T6_T7_T9_mT8_P12ihipStream_tbDpT10_ENKUlT_T0_E_clISt17integral_constantIbLb0EES19_IbLb1EEEEDaS15_S16_EUlS15_E_NS1_11comp_targetILNS1_3genE3ELNS1_11target_archE908ELNS1_3gpuE7ELNS1_3repE0EEENS1_30default_config_static_selectorELNS0_4arch9wavefront6targetE1EEEvT1_,"axG",@progbits,_ZN7rocprim17ROCPRIM_400000_NS6detail17trampoline_kernelINS0_14default_configENS1_25partition_config_selectorILNS1_17partition_subalgoE9EllbEEZZNS1_14partition_implILS5_9ELb0ES3_jPlS8_PNS0_10empty_typeENS0_5tupleIJS8_S9_EEENSB_IJS8_SA_EEENS0_18inequality_wrapperIZN2at6native12_GLOBAL__N_124unique_dim_cuda_templateIdEESt5tupleIJNSF_6TensorESK_SK_EERKSK_lbbbEUlllE0_EEPmJS9_EEE10hipError_tPvRmT3_T4_T5_T6_T7_T9_mT8_P12ihipStream_tbDpT10_ENKUlT_T0_E_clISt17integral_constantIbLb0EES19_IbLb1EEEEDaS15_S16_EUlS15_E_NS1_11comp_targetILNS1_3genE3ELNS1_11target_archE908ELNS1_3gpuE7ELNS1_3repE0EEENS1_30default_config_static_selectorELNS0_4arch9wavefront6targetE1EEEvT1_,comdat
.Lfunc_end872:
	.size	_ZN7rocprim17ROCPRIM_400000_NS6detail17trampoline_kernelINS0_14default_configENS1_25partition_config_selectorILNS1_17partition_subalgoE9EllbEEZZNS1_14partition_implILS5_9ELb0ES3_jPlS8_PNS0_10empty_typeENS0_5tupleIJS8_S9_EEENSB_IJS8_SA_EEENS0_18inequality_wrapperIZN2at6native12_GLOBAL__N_124unique_dim_cuda_templateIdEESt5tupleIJNSF_6TensorESK_SK_EERKSK_lbbbEUlllE0_EEPmJS9_EEE10hipError_tPvRmT3_T4_T5_T6_T7_T9_mT8_P12ihipStream_tbDpT10_ENKUlT_T0_E_clISt17integral_constantIbLb0EES19_IbLb1EEEEDaS15_S16_EUlS15_E_NS1_11comp_targetILNS1_3genE3ELNS1_11target_archE908ELNS1_3gpuE7ELNS1_3repE0EEENS1_30default_config_static_selectorELNS0_4arch9wavefront6targetE1EEEvT1_, .Lfunc_end872-_ZN7rocprim17ROCPRIM_400000_NS6detail17trampoline_kernelINS0_14default_configENS1_25partition_config_selectorILNS1_17partition_subalgoE9EllbEEZZNS1_14partition_implILS5_9ELb0ES3_jPlS8_PNS0_10empty_typeENS0_5tupleIJS8_S9_EEENSB_IJS8_SA_EEENS0_18inequality_wrapperIZN2at6native12_GLOBAL__N_124unique_dim_cuda_templateIdEESt5tupleIJNSF_6TensorESK_SK_EERKSK_lbbbEUlllE0_EEPmJS9_EEE10hipError_tPvRmT3_T4_T5_T6_T7_T9_mT8_P12ihipStream_tbDpT10_ENKUlT_T0_E_clISt17integral_constantIbLb0EES19_IbLb1EEEEDaS15_S16_EUlS15_E_NS1_11comp_targetILNS1_3genE3ELNS1_11target_archE908ELNS1_3gpuE7ELNS1_3repE0EEENS1_30default_config_static_selectorELNS0_4arch9wavefront6targetE1EEEvT1_
                                        ; -- End function
	.section	.AMDGPU.csdata,"",@progbits
; Kernel info:
; codeLenInByte = 0
; NumSgprs: 6
; NumVgprs: 0
; NumAgprs: 0
; TotalNumVgprs: 0
; ScratchSize: 0
; MemoryBound: 0
; FloatMode: 240
; IeeeMode: 1
; LDSByteSize: 0 bytes/workgroup (compile time only)
; SGPRBlocks: 0
; VGPRBlocks: 0
; NumSGPRsForWavesPerEU: 6
; NumVGPRsForWavesPerEU: 1
; AccumOffset: 4
; Occupancy: 8
; WaveLimiterHint : 0
; COMPUTE_PGM_RSRC2:SCRATCH_EN: 0
; COMPUTE_PGM_RSRC2:USER_SGPR: 2
; COMPUTE_PGM_RSRC2:TRAP_HANDLER: 0
; COMPUTE_PGM_RSRC2:TGID_X_EN: 1
; COMPUTE_PGM_RSRC2:TGID_Y_EN: 0
; COMPUTE_PGM_RSRC2:TGID_Z_EN: 0
; COMPUTE_PGM_RSRC2:TIDIG_COMP_CNT: 0
; COMPUTE_PGM_RSRC3_GFX90A:ACCUM_OFFSET: 0
; COMPUTE_PGM_RSRC3_GFX90A:TG_SPLIT: 0
	.section	.text._ZN7rocprim17ROCPRIM_400000_NS6detail17trampoline_kernelINS0_14default_configENS1_25partition_config_selectorILNS1_17partition_subalgoE9EllbEEZZNS1_14partition_implILS5_9ELb0ES3_jPlS8_PNS0_10empty_typeENS0_5tupleIJS8_S9_EEENSB_IJS8_SA_EEENS0_18inequality_wrapperIZN2at6native12_GLOBAL__N_124unique_dim_cuda_templateIdEESt5tupleIJNSF_6TensorESK_SK_EERKSK_lbbbEUlllE0_EEPmJS9_EEE10hipError_tPvRmT3_T4_T5_T6_T7_T9_mT8_P12ihipStream_tbDpT10_ENKUlT_T0_E_clISt17integral_constantIbLb0EES19_IbLb1EEEEDaS15_S16_EUlS15_E_NS1_11comp_targetILNS1_3genE2ELNS1_11target_archE906ELNS1_3gpuE6ELNS1_3repE0EEENS1_30default_config_static_selectorELNS0_4arch9wavefront6targetE1EEEvT1_,"axG",@progbits,_ZN7rocprim17ROCPRIM_400000_NS6detail17trampoline_kernelINS0_14default_configENS1_25partition_config_selectorILNS1_17partition_subalgoE9EllbEEZZNS1_14partition_implILS5_9ELb0ES3_jPlS8_PNS0_10empty_typeENS0_5tupleIJS8_S9_EEENSB_IJS8_SA_EEENS0_18inequality_wrapperIZN2at6native12_GLOBAL__N_124unique_dim_cuda_templateIdEESt5tupleIJNSF_6TensorESK_SK_EERKSK_lbbbEUlllE0_EEPmJS9_EEE10hipError_tPvRmT3_T4_T5_T6_T7_T9_mT8_P12ihipStream_tbDpT10_ENKUlT_T0_E_clISt17integral_constantIbLb0EES19_IbLb1EEEEDaS15_S16_EUlS15_E_NS1_11comp_targetILNS1_3genE2ELNS1_11target_archE906ELNS1_3gpuE6ELNS1_3repE0EEENS1_30default_config_static_selectorELNS0_4arch9wavefront6targetE1EEEvT1_,comdat
	.globl	_ZN7rocprim17ROCPRIM_400000_NS6detail17trampoline_kernelINS0_14default_configENS1_25partition_config_selectorILNS1_17partition_subalgoE9EllbEEZZNS1_14partition_implILS5_9ELb0ES3_jPlS8_PNS0_10empty_typeENS0_5tupleIJS8_S9_EEENSB_IJS8_SA_EEENS0_18inequality_wrapperIZN2at6native12_GLOBAL__N_124unique_dim_cuda_templateIdEESt5tupleIJNSF_6TensorESK_SK_EERKSK_lbbbEUlllE0_EEPmJS9_EEE10hipError_tPvRmT3_T4_T5_T6_T7_T9_mT8_P12ihipStream_tbDpT10_ENKUlT_T0_E_clISt17integral_constantIbLb0EES19_IbLb1EEEEDaS15_S16_EUlS15_E_NS1_11comp_targetILNS1_3genE2ELNS1_11target_archE906ELNS1_3gpuE6ELNS1_3repE0EEENS1_30default_config_static_selectorELNS0_4arch9wavefront6targetE1EEEvT1_ ; -- Begin function _ZN7rocprim17ROCPRIM_400000_NS6detail17trampoline_kernelINS0_14default_configENS1_25partition_config_selectorILNS1_17partition_subalgoE9EllbEEZZNS1_14partition_implILS5_9ELb0ES3_jPlS8_PNS0_10empty_typeENS0_5tupleIJS8_S9_EEENSB_IJS8_SA_EEENS0_18inequality_wrapperIZN2at6native12_GLOBAL__N_124unique_dim_cuda_templateIdEESt5tupleIJNSF_6TensorESK_SK_EERKSK_lbbbEUlllE0_EEPmJS9_EEE10hipError_tPvRmT3_T4_T5_T6_T7_T9_mT8_P12ihipStream_tbDpT10_ENKUlT_T0_E_clISt17integral_constantIbLb0EES19_IbLb1EEEEDaS15_S16_EUlS15_E_NS1_11comp_targetILNS1_3genE2ELNS1_11target_archE906ELNS1_3gpuE6ELNS1_3repE0EEENS1_30default_config_static_selectorELNS0_4arch9wavefront6targetE1EEEvT1_
	.p2align	8
	.type	_ZN7rocprim17ROCPRIM_400000_NS6detail17trampoline_kernelINS0_14default_configENS1_25partition_config_selectorILNS1_17partition_subalgoE9EllbEEZZNS1_14partition_implILS5_9ELb0ES3_jPlS8_PNS0_10empty_typeENS0_5tupleIJS8_S9_EEENSB_IJS8_SA_EEENS0_18inequality_wrapperIZN2at6native12_GLOBAL__N_124unique_dim_cuda_templateIdEESt5tupleIJNSF_6TensorESK_SK_EERKSK_lbbbEUlllE0_EEPmJS9_EEE10hipError_tPvRmT3_T4_T5_T6_T7_T9_mT8_P12ihipStream_tbDpT10_ENKUlT_T0_E_clISt17integral_constantIbLb0EES19_IbLb1EEEEDaS15_S16_EUlS15_E_NS1_11comp_targetILNS1_3genE2ELNS1_11target_archE906ELNS1_3gpuE6ELNS1_3repE0EEENS1_30default_config_static_selectorELNS0_4arch9wavefront6targetE1EEEvT1_,@function
_ZN7rocprim17ROCPRIM_400000_NS6detail17trampoline_kernelINS0_14default_configENS1_25partition_config_selectorILNS1_17partition_subalgoE9EllbEEZZNS1_14partition_implILS5_9ELb0ES3_jPlS8_PNS0_10empty_typeENS0_5tupleIJS8_S9_EEENSB_IJS8_SA_EEENS0_18inequality_wrapperIZN2at6native12_GLOBAL__N_124unique_dim_cuda_templateIdEESt5tupleIJNSF_6TensorESK_SK_EERKSK_lbbbEUlllE0_EEPmJS9_EEE10hipError_tPvRmT3_T4_T5_T6_T7_T9_mT8_P12ihipStream_tbDpT10_ENKUlT_T0_E_clISt17integral_constantIbLb0EES19_IbLb1EEEEDaS15_S16_EUlS15_E_NS1_11comp_targetILNS1_3genE2ELNS1_11target_archE906ELNS1_3gpuE6ELNS1_3repE0EEENS1_30default_config_static_selectorELNS0_4arch9wavefront6targetE1EEEvT1_: ; @_ZN7rocprim17ROCPRIM_400000_NS6detail17trampoline_kernelINS0_14default_configENS1_25partition_config_selectorILNS1_17partition_subalgoE9EllbEEZZNS1_14partition_implILS5_9ELb0ES3_jPlS8_PNS0_10empty_typeENS0_5tupleIJS8_S9_EEENSB_IJS8_SA_EEENS0_18inequality_wrapperIZN2at6native12_GLOBAL__N_124unique_dim_cuda_templateIdEESt5tupleIJNSF_6TensorESK_SK_EERKSK_lbbbEUlllE0_EEPmJS9_EEE10hipError_tPvRmT3_T4_T5_T6_T7_T9_mT8_P12ihipStream_tbDpT10_ENKUlT_T0_E_clISt17integral_constantIbLb0EES19_IbLb1EEEEDaS15_S16_EUlS15_E_NS1_11comp_targetILNS1_3genE2ELNS1_11target_archE906ELNS1_3gpuE6ELNS1_3repE0EEENS1_30default_config_static_selectorELNS0_4arch9wavefront6targetE1EEEvT1_
; %bb.0:
	.section	.rodata,"a",@progbits
	.p2align	6, 0x0
	.amdhsa_kernel _ZN7rocprim17ROCPRIM_400000_NS6detail17trampoline_kernelINS0_14default_configENS1_25partition_config_selectorILNS1_17partition_subalgoE9EllbEEZZNS1_14partition_implILS5_9ELb0ES3_jPlS8_PNS0_10empty_typeENS0_5tupleIJS8_S9_EEENSB_IJS8_SA_EEENS0_18inequality_wrapperIZN2at6native12_GLOBAL__N_124unique_dim_cuda_templateIdEESt5tupleIJNSF_6TensorESK_SK_EERKSK_lbbbEUlllE0_EEPmJS9_EEE10hipError_tPvRmT3_T4_T5_T6_T7_T9_mT8_P12ihipStream_tbDpT10_ENKUlT_T0_E_clISt17integral_constantIbLb0EES19_IbLb1EEEEDaS15_S16_EUlS15_E_NS1_11comp_targetILNS1_3genE2ELNS1_11target_archE906ELNS1_3gpuE6ELNS1_3repE0EEENS1_30default_config_static_selectorELNS0_4arch9wavefront6targetE1EEEvT1_
		.amdhsa_group_segment_fixed_size 0
		.amdhsa_private_segment_fixed_size 0
		.amdhsa_kernarg_size 136
		.amdhsa_user_sgpr_count 2
		.amdhsa_user_sgpr_dispatch_ptr 0
		.amdhsa_user_sgpr_queue_ptr 0
		.amdhsa_user_sgpr_kernarg_segment_ptr 1
		.amdhsa_user_sgpr_dispatch_id 0
		.amdhsa_user_sgpr_kernarg_preload_length 0
		.amdhsa_user_sgpr_kernarg_preload_offset 0
		.amdhsa_user_sgpr_private_segment_size 0
		.amdhsa_uses_dynamic_stack 0
		.amdhsa_enable_private_segment 0
		.amdhsa_system_sgpr_workgroup_id_x 1
		.amdhsa_system_sgpr_workgroup_id_y 0
		.amdhsa_system_sgpr_workgroup_id_z 0
		.amdhsa_system_sgpr_workgroup_info 0
		.amdhsa_system_vgpr_workitem_id 0
		.amdhsa_next_free_vgpr 1
		.amdhsa_next_free_sgpr 0
		.amdhsa_accum_offset 4
		.amdhsa_reserve_vcc 0
		.amdhsa_float_round_mode_32 0
		.amdhsa_float_round_mode_16_64 0
		.amdhsa_float_denorm_mode_32 3
		.amdhsa_float_denorm_mode_16_64 3
		.amdhsa_dx10_clamp 1
		.amdhsa_ieee_mode 1
		.amdhsa_fp16_overflow 0
		.amdhsa_tg_split 0
		.amdhsa_exception_fp_ieee_invalid_op 0
		.amdhsa_exception_fp_denorm_src 0
		.amdhsa_exception_fp_ieee_div_zero 0
		.amdhsa_exception_fp_ieee_overflow 0
		.amdhsa_exception_fp_ieee_underflow 0
		.amdhsa_exception_fp_ieee_inexact 0
		.amdhsa_exception_int_div_zero 0
	.end_amdhsa_kernel
	.section	.text._ZN7rocprim17ROCPRIM_400000_NS6detail17trampoline_kernelINS0_14default_configENS1_25partition_config_selectorILNS1_17partition_subalgoE9EllbEEZZNS1_14partition_implILS5_9ELb0ES3_jPlS8_PNS0_10empty_typeENS0_5tupleIJS8_S9_EEENSB_IJS8_SA_EEENS0_18inequality_wrapperIZN2at6native12_GLOBAL__N_124unique_dim_cuda_templateIdEESt5tupleIJNSF_6TensorESK_SK_EERKSK_lbbbEUlllE0_EEPmJS9_EEE10hipError_tPvRmT3_T4_T5_T6_T7_T9_mT8_P12ihipStream_tbDpT10_ENKUlT_T0_E_clISt17integral_constantIbLb0EES19_IbLb1EEEEDaS15_S16_EUlS15_E_NS1_11comp_targetILNS1_3genE2ELNS1_11target_archE906ELNS1_3gpuE6ELNS1_3repE0EEENS1_30default_config_static_selectorELNS0_4arch9wavefront6targetE1EEEvT1_,"axG",@progbits,_ZN7rocprim17ROCPRIM_400000_NS6detail17trampoline_kernelINS0_14default_configENS1_25partition_config_selectorILNS1_17partition_subalgoE9EllbEEZZNS1_14partition_implILS5_9ELb0ES3_jPlS8_PNS0_10empty_typeENS0_5tupleIJS8_S9_EEENSB_IJS8_SA_EEENS0_18inequality_wrapperIZN2at6native12_GLOBAL__N_124unique_dim_cuda_templateIdEESt5tupleIJNSF_6TensorESK_SK_EERKSK_lbbbEUlllE0_EEPmJS9_EEE10hipError_tPvRmT3_T4_T5_T6_T7_T9_mT8_P12ihipStream_tbDpT10_ENKUlT_T0_E_clISt17integral_constantIbLb0EES19_IbLb1EEEEDaS15_S16_EUlS15_E_NS1_11comp_targetILNS1_3genE2ELNS1_11target_archE906ELNS1_3gpuE6ELNS1_3repE0EEENS1_30default_config_static_selectorELNS0_4arch9wavefront6targetE1EEEvT1_,comdat
.Lfunc_end873:
	.size	_ZN7rocprim17ROCPRIM_400000_NS6detail17trampoline_kernelINS0_14default_configENS1_25partition_config_selectorILNS1_17partition_subalgoE9EllbEEZZNS1_14partition_implILS5_9ELb0ES3_jPlS8_PNS0_10empty_typeENS0_5tupleIJS8_S9_EEENSB_IJS8_SA_EEENS0_18inequality_wrapperIZN2at6native12_GLOBAL__N_124unique_dim_cuda_templateIdEESt5tupleIJNSF_6TensorESK_SK_EERKSK_lbbbEUlllE0_EEPmJS9_EEE10hipError_tPvRmT3_T4_T5_T6_T7_T9_mT8_P12ihipStream_tbDpT10_ENKUlT_T0_E_clISt17integral_constantIbLb0EES19_IbLb1EEEEDaS15_S16_EUlS15_E_NS1_11comp_targetILNS1_3genE2ELNS1_11target_archE906ELNS1_3gpuE6ELNS1_3repE0EEENS1_30default_config_static_selectorELNS0_4arch9wavefront6targetE1EEEvT1_, .Lfunc_end873-_ZN7rocprim17ROCPRIM_400000_NS6detail17trampoline_kernelINS0_14default_configENS1_25partition_config_selectorILNS1_17partition_subalgoE9EllbEEZZNS1_14partition_implILS5_9ELb0ES3_jPlS8_PNS0_10empty_typeENS0_5tupleIJS8_S9_EEENSB_IJS8_SA_EEENS0_18inequality_wrapperIZN2at6native12_GLOBAL__N_124unique_dim_cuda_templateIdEESt5tupleIJNSF_6TensorESK_SK_EERKSK_lbbbEUlllE0_EEPmJS9_EEE10hipError_tPvRmT3_T4_T5_T6_T7_T9_mT8_P12ihipStream_tbDpT10_ENKUlT_T0_E_clISt17integral_constantIbLb0EES19_IbLb1EEEEDaS15_S16_EUlS15_E_NS1_11comp_targetILNS1_3genE2ELNS1_11target_archE906ELNS1_3gpuE6ELNS1_3repE0EEENS1_30default_config_static_selectorELNS0_4arch9wavefront6targetE1EEEvT1_
                                        ; -- End function
	.section	.AMDGPU.csdata,"",@progbits
; Kernel info:
; codeLenInByte = 0
; NumSgprs: 6
; NumVgprs: 0
; NumAgprs: 0
; TotalNumVgprs: 0
; ScratchSize: 0
; MemoryBound: 0
; FloatMode: 240
; IeeeMode: 1
; LDSByteSize: 0 bytes/workgroup (compile time only)
; SGPRBlocks: 0
; VGPRBlocks: 0
; NumSGPRsForWavesPerEU: 6
; NumVGPRsForWavesPerEU: 1
; AccumOffset: 4
; Occupancy: 8
; WaveLimiterHint : 0
; COMPUTE_PGM_RSRC2:SCRATCH_EN: 0
; COMPUTE_PGM_RSRC2:USER_SGPR: 2
; COMPUTE_PGM_RSRC2:TRAP_HANDLER: 0
; COMPUTE_PGM_RSRC2:TGID_X_EN: 1
; COMPUTE_PGM_RSRC2:TGID_Y_EN: 0
; COMPUTE_PGM_RSRC2:TGID_Z_EN: 0
; COMPUTE_PGM_RSRC2:TIDIG_COMP_CNT: 0
; COMPUTE_PGM_RSRC3_GFX90A:ACCUM_OFFSET: 0
; COMPUTE_PGM_RSRC3_GFX90A:TG_SPLIT: 0
	.section	.text._ZN7rocprim17ROCPRIM_400000_NS6detail17trampoline_kernelINS0_14default_configENS1_25partition_config_selectorILNS1_17partition_subalgoE9EllbEEZZNS1_14partition_implILS5_9ELb0ES3_jPlS8_PNS0_10empty_typeENS0_5tupleIJS8_S9_EEENSB_IJS8_SA_EEENS0_18inequality_wrapperIZN2at6native12_GLOBAL__N_124unique_dim_cuda_templateIdEESt5tupleIJNSF_6TensorESK_SK_EERKSK_lbbbEUlllE0_EEPmJS9_EEE10hipError_tPvRmT3_T4_T5_T6_T7_T9_mT8_P12ihipStream_tbDpT10_ENKUlT_T0_E_clISt17integral_constantIbLb0EES19_IbLb1EEEEDaS15_S16_EUlS15_E_NS1_11comp_targetILNS1_3genE10ELNS1_11target_archE1200ELNS1_3gpuE4ELNS1_3repE0EEENS1_30default_config_static_selectorELNS0_4arch9wavefront6targetE1EEEvT1_,"axG",@progbits,_ZN7rocprim17ROCPRIM_400000_NS6detail17trampoline_kernelINS0_14default_configENS1_25partition_config_selectorILNS1_17partition_subalgoE9EllbEEZZNS1_14partition_implILS5_9ELb0ES3_jPlS8_PNS0_10empty_typeENS0_5tupleIJS8_S9_EEENSB_IJS8_SA_EEENS0_18inequality_wrapperIZN2at6native12_GLOBAL__N_124unique_dim_cuda_templateIdEESt5tupleIJNSF_6TensorESK_SK_EERKSK_lbbbEUlllE0_EEPmJS9_EEE10hipError_tPvRmT3_T4_T5_T6_T7_T9_mT8_P12ihipStream_tbDpT10_ENKUlT_T0_E_clISt17integral_constantIbLb0EES19_IbLb1EEEEDaS15_S16_EUlS15_E_NS1_11comp_targetILNS1_3genE10ELNS1_11target_archE1200ELNS1_3gpuE4ELNS1_3repE0EEENS1_30default_config_static_selectorELNS0_4arch9wavefront6targetE1EEEvT1_,comdat
	.globl	_ZN7rocprim17ROCPRIM_400000_NS6detail17trampoline_kernelINS0_14default_configENS1_25partition_config_selectorILNS1_17partition_subalgoE9EllbEEZZNS1_14partition_implILS5_9ELb0ES3_jPlS8_PNS0_10empty_typeENS0_5tupleIJS8_S9_EEENSB_IJS8_SA_EEENS0_18inequality_wrapperIZN2at6native12_GLOBAL__N_124unique_dim_cuda_templateIdEESt5tupleIJNSF_6TensorESK_SK_EERKSK_lbbbEUlllE0_EEPmJS9_EEE10hipError_tPvRmT3_T4_T5_T6_T7_T9_mT8_P12ihipStream_tbDpT10_ENKUlT_T0_E_clISt17integral_constantIbLb0EES19_IbLb1EEEEDaS15_S16_EUlS15_E_NS1_11comp_targetILNS1_3genE10ELNS1_11target_archE1200ELNS1_3gpuE4ELNS1_3repE0EEENS1_30default_config_static_selectorELNS0_4arch9wavefront6targetE1EEEvT1_ ; -- Begin function _ZN7rocprim17ROCPRIM_400000_NS6detail17trampoline_kernelINS0_14default_configENS1_25partition_config_selectorILNS1_17partition_subalgoE9EllbEEZZNS1_14partition_implILS5_9ELb0ES3_jPlS8_PNS0_10empty_typeENS0_5tupleIJS8_S9_EEENSB_IJS8_SA_EEENS0_18inequality_wrapperIZN2at6native12_GLOBAL__N_124unique_dim_cuda_templateIdEESt5tupleIJNSF_6TensorESK_SK_EERKSK_lbbbEUlllE0_EEPmJS9_EEE10hipError_tPvRmT3_T4_T5_T6_T7_T9_mT8_P12ihipStream_tbDpT10_ENKUlT_T0_E_clISt17integral_constantIbLb0EES19_IbLb1EEEEDaS15_S16_EUlS15_E_NS1_11comp_targetILNS1_3genE10ELNS1_11target_archE1200ELNS1_3gpuE4ELNS1_3repE0EEENS1_30default_config_static_selectorELNS0_4arch9wavefront6targetE1EEEvT1_
	.p2align	8
	.type	_ZN7rocprim17ROCPRIM_400000_NS6detail17trampoline_kernelINS0_14default_configENS1_25partition_config_selectorILNS1_17partition_subalgoE9EllbEEZZNS1_14partition_implILS5_9ELb0ES3_jPlS8_PNS0_10empty_typeENS0_5tupleIJS8_S9_EEENSB_IJS8_SA_EEENS0_18inequality_wrapperIZN2at6native12_GLOBAL__N_124unique_dim_cuda_templateIdEESt5tupleIJNSF_6TensorESK_SK_EERKSK_lbbbEUlllE0_EEPmJS9_EEE10hipError_tPvRmT3_T4_T5_T6_T7_T9_mT8_P12ihipStream_tbDpT10_ENKUlT_T0_E_clISt17integral_constantIbLb0EES19_IbLb1EEEEDaS15_S16_EUlS15_E_NS1_11comp_targetILNS1_3genE10ELNS1_11target_archE1200ELNS1_3gpuE4ELNS1_3repE0EEENS1_30default_config_static_selectorELNS0_4arch9wavefront6targetE1EEEvT1_,@function
_ZN7rocprim17ROCPRIM_400000_NS6detail17trampoline_kernelINS0_14default_configENS1_25partition_config_selectorILNS1_17partition_subalgoE9EllbEEZZNS1_14partition_implILS5_9ELb0ES3_jPlS8_PNS0_10empty_typeENS0_5tupleIJS8_S9_EEENSB_IJS8_SA_EEENS0_18inequality_wrapperIZN2at6native12_GLOBAL__N_124unique_dim_cuda_templateIdEESt5tupleIJNSF_6TensorESK_SK_EERKSK_lbbbEUlllE0_EEPmJS9_EEE10hipError_tPvRmT3_T4_T5_T6_T7_T9_mT8_P12ihipStream_tbDpT10_ENKUlT_T0_E_clISt17integral_constantIbLb0EES19_IbLb1EEEEDaS15_S16_EUlS15_E_NS1_11comp_targetILNS1_3genE10ELNS1_11target_archE1200ELNS1_3gpuE4ELNS1_3repE0EEENS1_30default_config_static_selectorELNS0_4arch9wavefront6targetE1EEEvT1_: ; @_ZN7rocprim17ROCPRIM_400000_NS6detail17trampoline_kernelINS0_14default_configENS1_25partition_config_selectorILNS1_17partition_subalgoE9EllbEEZZNS1_14partition_implILS5_9ELb0ES3_jPlS8_PNS0_10empty_typeENS0_5tupleIJS8_S9_EEENSB_IJS8_SA_EEENS0_18inequality_wrapperIZN2at6native12_GLOBAL__N_124unique_dim_cuda_templateIdEESt5tupleIJNSF_6TensorESK_SK_EERKSK_lbbbEUlllE0_EEPmJS9_EEE10hipError_tPvRmT3_T4_T5_T6_T7_T9_mT8_P12ihipStream_tbDpT10_ENKUlT_T0_E_clISt17integral_constantIbLb0EES19_IbLb1EEEEDaS15_S16_EUlS15_E_NS1_11comp_targetILNS1_3genE10ELNS1_11target_archE1200ELNS1_3gpuE4ELNS1_3repE0EEENS1_30default_config_static_selectorELNS0_4arch9wavefront6targetE1EEEvT1_
; %bb.0:
	.section	.rodata,"a",@progbits
	.p2align	6, 0x0
	.amdhsa_kernel _ZN7rocprim17ROCPRIM_400000_NS6detail17trampoline_kernelINS0_14default_configENS1_25partition_config_selectorILNS1_17partition_subalgoE9EllbEEZZNS1_14partition_implILS5_9ELb0ES3_jPlS8_PNS0_10empty_typeENS0_5tupleIJS8_S9_EEENSB_IJS8_SA_EEENS0_18inequality_wrapperIZN2at6native12_GLOBAL__N_124unique_dim_cuda_templateIdEESt5tupleIJNSF_6TensorESK_SK_EERKSK_lbbbEUlllE0_EEPmJS9_EEE10hipError_tPvRmT3_T4_T5_T6_T7_T9_mT8_P12ihipStream_tbDpT10_ENKUlT_T0_E_clISt17integral_constantIbLb0EES19_IbLb1EEEEDaS15_S16_EUlS15_E_NS1_11comp_targetILNS1_3genE10ELNS1_11target_archE1200ELNS1_3gpuE4ELNS1_3repE0EEENS1_30default_config_static_selectorELNS0_4arch9wavefront6targetE1EEEvT1_
		.amdhsa_group_segment_fixed_size 0
		.amdhsa_private_segment_fixed_size 0
		.amdhsa_kernarg_size 136
		.amdhsa_user_sgpr_count 2
		.amdhsa_user_sgpr_dispatch_ptr 0
		.amdhsa_user_sgpr_queue_ptr 0
		.amdhsa_user_sgpr_kernarg_segment_ptr 1
		.amdhsa_user_sgpr_dispatch_id 0
		.amdhsa_user_sgpr_kernarg_preload_length 0
		.amdhsa_user_sgpr_kernarg_preload_offset 0
		.amdhsa_user_sgpr_private_segment_size 0
		.amdhsa_uses_dynamic_stack 0
		.amdhsa_enable_private_segment 0
		.amdhsa_system_sgpr_workgroup_id_x 1
		.amdhsa_system_sgpr_workgroup_id_y 0
		.amdhsa_system_sgpr_workgroup_id_z 0
		.amdhsa_system_sgpr_workgroup_info 0
		.amdhsa_system_vgpr_workitem_id 0
		.amdhsa_next_free_vgpr 1
		.amdhsa_next_free_sgpr 0
		.amdhsa_accum_offset 4
		.amdhsa_reserve_vcc 0
		.amdhsa_float_round_mode_32 0
		.amdhsa_float_round_mode_16_64 0
		.amdhsa_float_denorm_mode_32 3
		.amdhsa_float_denorm_mode_16_64 3
		.amdhsa_dx10_clamp 1
		.amdhsa_ieee_mode 1
		.amdhsa_fp16_overflow 0
		.amdhsa_tg_split 0
		.amdhsa_exception_fp_ieee_invalid_op 0
		.amdhsa_exception_fp_denorm_src 0
		.amdhsa_exception_fp_ieee_div_zero 0
		.amdhsa_exception_fp_ieee_overflow 0
		.amdhsa_exception_fp_ieee_underflow 0
		.amdhsa_exception_fp_ieee_inexact 0
		.amdhsa_exception_int_div_zero 0
	.end_amdhsa_kernel
	.section	.text._ZN7rocprim17ROCPRIM_400000_NS6detail17trampoline_kernelINS0_14default_configENS1_25partition_config_selectorILNS1_17partition_subalgoE9EllbEEZZNS1_14partition_implILS5_9ELb0ES3_jPlS8_PNS0_10empty_typeENS0_5tupleIJS8_S9_EEENSB_IJS8_SA_EEENS0_18inequality_wrapperIZN2at6native12_GLOBAL__N_124unique_dim_cuda_templateIdEESt5tupleIJNSF_6TensorESK_SK_EERKSK_lbbbEUlllE0_EEPmJS9_EEE10hipError_tPvRmT3_T4_T5_T6_T7_T9_mT8_P12ihipStream_tbDpT10_ENKUlT_T0_E_clISt17integral_constantIbLb0EES19_IbLb1EEEEDaS15_S16_EUlS15_E_NS1_11comp_targetILNS1_3genE10ELNS1_11target_archE1200ELNS1_3gpuE4ELNS1_3repE0EEENS1_30default_config_static_selectorELNS0_4arch9wavefront6targetE1EEEvT1_,"axG",@progbits,_ZN7rocprim17ROCPRIM_400000_NS6detail17trampoline_kernelINS0_14default_configENS1_25partition_config_selectorILNS1_17partition_subalgoE9EllbEEZZNS1_14partition_implILS5_9ELb0ES3_jPlS8_PNS0_10empty_typeENS0_5tupleIJS8_S9_EEENSB_IJS8_SA_EEENS0_18inequality_wrapperIZN2at6native12_GLOBAL__N_124unique_dim_cuda_templateIdEESt5tupleIJNSF_6TensorESK_SK_EERKSK_lbbbEUlllE0_EEPmJS9_EEE10hipError_tPvRmT3_T4_T5_T6_T7_T9_mT8_P12ihipStream_tbDpT10_ENKUlT_T0_E_clISt17integral_constantIbLb0EES19_IbLb1EEEEDaS15_S16_EUlS15_E_NS1_11comp_targetILNS1_3genE10ELNS1_11target_archE1200ELNS1_3gpuE4ELNS1_3repE0EEENS1_30default_config_static_selectorELNS0_4arch9wavefront6targetE1EEEvT1_,comdat
.Lfunc_end874:
	.size	_ZN7rocprim17ROCPRIM_400000_NS6detail17trampoline_kernelINS0_14default_configENS1_25partition_config_selectorILNS1_17partition_subalgoE9EllbEEZZNS1_14partition_implILS5_9ELb0ES3_jPlS8_PNS0_10empty_typeENS0_5tupleIJS8_S9_EEENSB_IJS8_SA_EEENS0_18inequality_wrapperIZN2at6native12_GLOBAL__N_124unique_dim_cuda_templateIdEESt5tupleIJNSF_6TensorESK_SK_EERKSK_lbbbEUlllE0_EEPmJS9_EEE10hipError_tPvRmT3_T4_T5_T6_T7_T9_mT8_P12ihipStream_tbDpT10_ENKUlT_T0_E_clISt17integral_constantIbLb0EES19_IbLb1EEEEDaS15_S16_EUlS15_E_NS1_11comp_targetILNS1_3genE10ELNS1_11target_archE1200ELNS1_3gpuE4ELNS1_3repE0EEENS1_30default_config_static_selectorELNS0_4arch9wavefront6targetE1EEEvT1_, .Lfunc_end874-_ZN7rocprim17ROCPRIM_400000_NS6detail17trampoline_kernelINS0_14default_configENS1_25partition_config_selectorILNS1_17partition_subalgoE9EllbEEZZNS1_14partition_implILS5_9ELb0ES3_jPlS8_PNS0_10empty_typeENS0_5tupleIJS8_S9_EEENSB_IJS8_SA_EEENS0_18inequality_wrapperIZN2at6native12_GLOBAL__N_124unique_dim_cuda_templateIdEESt5tupleIJNSF_6TensorESK_SK_EERKSK_lbbbEUlllE0_EEPmJS9_EEE10hipError_tPvRmT3_T4_T5_T6_T7_T9_mT8_P12ihipStream_tbDpT10_ENKUlT_T0_E_clISt17integral_constantIbLb0EES19_IbLb1EEEEDaS15_S16_EUlS15_E_NS1_11comp_targetILNS1_3genE10ELNS1_11target_archE1200ELNS1_3gpuE4ELNS1_3repE0EEENS1_30default_config_static_selectorELNS0_4arch9wavefront6targetE1EEEvT1_
                                        ; -- End function
	.section	.AMDGPU.csdata,"",@progbits
; Kernel info:
; codeLenInByte = 0
; NumSgprs: 6
; NumVgprs: 0
; NumAgprs: 0
; TotalNumVgprs: 0
; ScratchSize: 0
; MemoryBound: 0
; FloatMode: 240
; IeeeMode: 1
; LDSByteSize: 0 bytes/workgroup (compile time only)
; SGPRBlocks: 0
; VGPRBlocks: 0
; NumSGPRsForWavesPerEU: 6
; NumVGPRsForWavesPerEU: 1
; AccumOffset: 4
; Occupancy: 8
; WaveLimiterHint : 0
; COMPUTE_PGM_RSRC2:SCRATCH_EN: 0
; COMPUTE_PGM_RSRC2:USER_SGPR: 2
; COMPUTE_PGM_RSRC2:TRAP_HANDLER: 0
; COMPUTE_PGM_RSRC2:TGID_X_EN: 1
; COMPUTE_PGM_RSRC2:TGID_Y_EN: 0
; COMPUTE_PGM_RSRC2:TGID_Z_EN: 0
; COMPUTE_PGM_RSRC2:TIDIG_COMP_CNT: 0
; COMPUTE_PGM_RSRC3_GFX90A:ACCUM_OFFSET: 0
; COMPUTE_PGM_RSRC3_GFX90A:TG_SPLIT: 0
	.section	.text._ZN7rocprim17ROCPRIM_400000_NS6detail17trampoline_kernelINS0_14default_configENS1_25partition_config_selectorILNS1_17partition_subalgoE9EllbEEZZNS1_14partition_implILS5_9ELb0ES3_jPlS8_PNS0_10empty_typeENS0_5tupleIJS8_S9_EEENSB_IJS8_SA_EEENS0_18inequality_wrapperIZN2at6native12_GLOBAL__N_124unique_dim_cuda_templateIdEESt5tupleIJNSF_6TensorESK_SK_EERKSK_lbbbEUlllE0_EEPmJS9_EEE10hipError_tPvRmT3_T4_T5_T6_T7_T9_mT8_P12ihipStream_tbDpT10_ENKUlT_T0_E_clISt17integral_constantIbLb0EES19_IbLb1EEEEDaS15_S16_EUlS15_E_NS1_11comp_targetILNS1_3genE9ELNS1_11target_archE1100ELNS1_3gpuE3ELNS1_3repE0EEENS1_30default_config_static_selectorELNS0_4arch9wavefront6targetE1EEEvT1_,"axG",@progbits,_ZN7rocprim17ROCPRIM_400000_NS6detail17trampoline_kernelINS0_14default_configENS1_25partition_config_selectorILNS1_17partition_subalgoE9EllbEEZZNS1_14partition_implILS5_9ELb0ES3_jPlS8_PNS0_10empty_typeENS0_5tupleIJS8_S9_EEENSB_IJS8_SA_EEENS0_18inequality_wrapperIZN2at6native12_GLOBAL__N_124unique_dim_cuda_templateIdEESt5tupleIJNSF_6TensorESK_SK_EERKSK_lbbbEUlllE0_EEPmJS9_EEE10hipError_tPvRmT3_T4_T5_T6_T7_T9_mT8_P12ihipStream_tbDpT10_ENKUlT_T0_E_clISt17integral_constantIbLb0EES19_IbLb1EEEEDaS15_S16_EUlS15_E_NS1_11comp_targetILNS1_3genE9ELNS1_11target_archE1100ELNS1_3gpuE3ELNS1_3repE0EEENS1_30default_config_static_selectorELNS0_4arch9wavefront6targetE1EEEvT1_,comdat
	.globl	_ZN7rocprim17ROCPRIM_400000_NS6detail17trampoline_kernelINS0_14default_configENS1_25partition_config_selectorILNS1_17partition_subalgoE9EllbEEZZNS1_14partition_implILS5_9ELb0ES3_jPlS8_PNS0_10empty_typeENS0_5tupleIJS8_S9_EEENSB_IJS8_SA_EEENS0_18inequality_wrapperIZN2at6native12_GLOBAL__N_124unique_dim_cuda_templateIdEESt5tupleIJNSF_6TensorESK_SK_EERKSK_lbbbEUlllE0_EEPmJS9_EEE10hipError_tPvRmT3_T4_T5_T6_T7_T9_mT8_P12ihipStream_tbDpT10_ENKUlT_T0_E_clISt17integral_constantIbLb0EES19_IbLb1EEEEDaS15_S16_EUlS15_E_NS1_11comp_targetILNS1_3genE9ELNS1_11target_archE1100ELNS1_3gpuE3ELNS1_3repE0EEENS1_30default_config_static_selectorELNS0_4arch9wavefront6targetE1EEEvT1_ ; -- Begin function _ZN7rocprim17ROCPRIM_400000_NS6detail17trampoline_kernelINS0_14default_configENS1_25partition_config_selectorILNS1_17partition_subalgoE9EllbEEZZNS1_14partition_implILS5_9ELb0ES3_jPlS8_PNS0_10empty_typeENS0_5tupleIJS8_S9_EEENSB_IJS8_SA_EEENS0_18inequality_wrapperIZN2at6native12_GLOBAL__N_124unique_dim_cuda_templateIdEESt5tupleIJNSF_6TensorESK_SK_EERKSK_lbbbEUlllE0_EEPmJS9_EEE10hipError_tPvRmT3_T4_T5_T6_T7_T9_mT8_P12ihipStream_tbDpT10_ENKUlT_T0_E_clISt17integral_constantIbLb0EES19_IbLb1EEEEDaS15_S16_EUlS15_E_NS1_11comp_targetILNS1_3genE9ELNS1_11target_archE1100ELNS1_3gpuE3ELNS1_3repE0EEENS1_30default_config_static_selectorELNS0_4arch9wavefront6targetE1EEEvT1_
	.p2align	8
	.type	_ZN7rocprim17ROCPRIM_400000_NS6detail17trampoline_kernelINS0_14default_configENS1_25partition_config_selectorILNS1_17partition_subalgoE9EllbEEZZNS1_14partition_implILS5_9ELb0ES3_jPlS8_PNS0_10empty_typeENS0_5tupleIJS8_S9_EEENSB_IJS8_SA_EEENS0_18inequality_wrapperIZN2at6native12_GLOBAL__N_124unique_dim_cuda_templateIdEESt5tupleIJNSF_6TensorESK_SK_EERKSK_lbbbEUlllE0_EEPmJS9_EEE10hipError_tPvRmT3_T4_T5_T6_T7_T9_mT8_P12ihipStream_tbDpT10_ENKUlT_T0_E_clISt17integral_constantIbLb0EES19_IbLb1EEEEDaS15_S16_EUlS15_E_NS1_11comp_targetILNS1_3genE9ELNS1_11target_archE1100ELNS1_3gpuE3ELNS1_3repE0EEENS1_30default_config_static_selectorELNS0_4arch9wavefront6targetE1EEEvT1_,@function
_ZN7rocprim17ROCPRIM_400000_NS6detail17trampoline_kernelINS0_14default_configENS1_25partition_config_selectorILNS1_17partition_subalgoE9EllbEEZZNS1_14partition_implILS5_9ELb0ES3_jPlS8_PNS0_10empty_typeENS0_5tupleIJS8_S9_EEENSB_IJS8_SA_EEENS0_18inequality_wrapperIZN2at6native12_GLOBAL__N_124unique_dim_cuda_templateIdEESt5tupleIJNSF_6TensorESK_SK_EERKSK_lbbbEUlllE0_EEPmJS9_EEE10hipError_tPvRmT3_T4_T5_T6_T7_T9_mT8_P12ihipStream_tbDpT10_ENKUlT_T0_E_clISt17integral_constantIbLb0EES19_IbLb1EEEEDaS15_S16_EUlS15_E_NS1_11comp_targetILNS1_3genE9ELNS1_11target_archE1100ELNS1_3gpuE3ELNS1_3repE0EEENS1_30default_config_static_selectorELNS0_4arch9wavefront6targetE1EEEvT1_: ; @_ZN7rocprim17ROCPRIM_400000_NS6detail17trampoline_kernelINS0_14default_configENS1_25partition_config_selectorILNS1_17partition_subalgoE9EllbEEZZNS1_14partition_implILS5_9ELb0ES3_jPlS8_PNS0_10empty_typeENS0_5tupleIJS8_S9_EEENSB_IJS8_SA_EEENS0_18inequality_wrapperIZN2at6native12_GLOBAL__N_124unique_dim_cuda_templateIdEESt5tupleIJNSF_6TensorESK_SK_EERKSK_lbbbEUlllE0_EEPmJS9_EEE10hipError_tPvRmT3_T4_T5_T6_T7_T9_mT8_P12ihipStream_tbDpT10_ENKUlT_T0_E_clISt17integral_constantIbLb0EES19_IbLb1EEEEDaS15_S16_EUlS15_E_NS1_11comp_targetILNS1_3genE9ELNS1_11target_archE1100ELNS1_3gpuE3ELNS1_3repE0EEENS1_30default_config_static_selectorELNS0_4arch9wavefront6targetE1EEEvT1_
; %bb.0:
	.section	.rodata,"a",@progbits
	.p2align	6, 0x0
	.amdhsa_kernel _ZN7rocprim17ROCPRIM_400000_NS6detail17trampoline_kernelINS0_14default_configENS1_25partition_config_selectorILNS1_17partition_subalgoE9EllbEEZZNS1_14partition_implILS5_9ELb0ES3_jPlS8_PNS0_10empty_typeENS0_5tupleIJS8_S9_EEENSB_IJS8_SA_EEENS0_18inequality_wrapperIZN2at6native12_GLOBAL__N_124unique_dim_cuda_templateIdEESt5tupleIJNSF_6TensorESK_SK_EERKSK_lbbbEUlllE0_EEPmJS9_EEE10hipError_tPvRmT3_T4_T5_T6_T7_T9_mT8_P12ihipStream_tbDpT10_ENKUlT_T0_E_clISt17integral_constantIbLb0EES19_IbLb1EEEEDaS15_S16_EUlS15_E_NS1_11comp_targetILNS1_3genE9ELNS1_11target_archE1100ELNS1_3gpuE3ELNS1_3repE0EEENS1_30default_config_static_selectorELNS0_4arch9wavefront6targetE1EEEvT1_
		.amdhsa_group_segment_fixed_size 0
		.amdhsa_private_segment_fixed_size 0
		.amdhsa_kernarg_size 136
		.amdhsa_user_sgpr_count 2
		.amdhsa_user_sgpr_dispatch_ptr 0
		.amdhsa_user_sgpr_queue_ptr 0
		.amdhsa_user_sgpr_kernarg_segment_ptr 1
		.amdhsa_user_sgpr_dispatch_id 0
		.amdhsa_user_sgpr_kernarg_preload_length 0
		.amdhsa_user_sgpr_kernarg_preload_offset 0
		.amdhsa_user_sgpr_private_segment_size 0
		.amdhsa_uses_dynamic_stack 0
		.amdhsa_enable_private_segment 0
		.amdhsa_system_sgpr_workgroup_id_x 1
		.amdhsa_system_sgpr_workgroup_id_y 0
		.amdhsa_system_sgpr_workgroup_id_z 0
		.amdhsa_system_sgpr_workgroup_info 0
		.amdhsa_system_vgpr_workitem_id 0
		.amdhsa_next_free_vgpr 1
		.amdhsa_next_free_sgpr 0
		.amdhsa_accum_offset 4
		.amdhsa_reserve_vcc 0
		.amdhsa_float_round_mode_32 0
		.amdhsa_float_round_mode_16_64 0
		.amdhsa_float_denorm_mode_32 3
		.amdhsa_float_denorm_mode_16_64 3
		.amdhsa_dx10_clamp 1
		.amdhsa_ieee_mode 1
		.amdhsa_fp16_overflow 0
		.amdhsa_tg_split 0
		.amdhsa_exception_fp_ieee_invalid_op 0
		.amdhsa_exception_fp_denorm_src 0
		.amdhsa_exception_fp_ieee_div_zero 0
		.amdhsa_exception_fp_ieee_overflow 0
		.amdhsa_exception_fp_ieee_underflow 0
		.amdhsa_exception_fp_ieee_inexact 0
		.amdhsa_exception_int_div_zero 0
	.end_amdhsa_kernel
	.section	.text._ZN7rocprim17ROCPRIM_400000_NS6detail17trampoline_kernelINS0_14default_configENS1_25partition_config_selectorILNS1_17partition_subalgoE9EllbEEZZNS1_14partition_implILS5_9ELb0ES3_jPlS8_PNS0_10empty_typeENS0_5tupleIJS8_S9_EEENSB_IJS8_SA_EEENS0_18inequality_wrapperIZN2at6native12_GLOBAL__N_124unique_dim_cuda_templateIdEESt5tupleIJNSF_6TensorESK_SK_EERKSK_lbbbEUlllE0_EEPmJS9_EEE10hipError_tPvRmT3_T4_T5_T6_T7_T9_mT8_P12ihipStream_tbDpT10_ENKUlT_T0_E_clISt17integral_constantIbLb0EES19_IbLb1EEEEDaS15_S16_EUlS15_E_NS1_11comp_targetILNS1_3genE9ELNS1_11target_archE1100ELNS1_3gpuE3ELNS1_3repE0EEENS1_30default_config_static_selectorELNS0_4arch9wavefront6targetE1EEEvT1_,"axG",@progbits,_ZN7rocprim17ROCPRIM_400000_NS6detail17trampoline_kernelINS0_14default_configENS1_25partition_config_selectorILNS1_17partition_subalgoE9EllbEEZZNS1_14partition_implILS5_9ELb0ES3_jPlS8_PNS0_10empty_typeENS0_5tupleIJS8_S9_EEENSB_IJS8_SA_EEENS0_18inequality_wrapperIZN2at6native12_GLOBAL__N_124unique_dim_cuda_templateIdEESt5tupleIJNSF_6TensorESK_SK_EERKSK_lbbbEUlllE0_EEPmJS9_EEE10hipError_tPvRmT3_T4_T5_T6_T7_T9_mT8_P12ihipStream_tbDpT10_ENKUlT_T0_E_clISt17integral_constantIbLb0EES19_IbLb1EEEEDaS15_S16_EUlS15_E_NS1_11comp_targetILNS1_3genE9ELNS1_11target_archE1100ELNS1_3gpuE3ELNS1_3repE0EEENS1_30default_config_static_selectorELNS0_4arch9wavefront6targetE1EEEvT1_,comdat
.Lfunc_end875:
	.size	_ZN7rocprim17ROCPRIM_400000_NS6detail17trampoline_kernelINS0_14default_configENS1_25partition_config_selectorILNS1_17partition_subalgoE9EllbEEZZNS1_14partition_implILS5_9ELb0ES3_jPlS8_PNS0_10empty_typeENS0_5tupleIJS8_S9_EEENSB_IJS8_SA_EEENS0_18inequality_wrapperIZN2at6native12_GLOBAL__N_124unique_dim_cuda_templateIdEESt5tupleIJNSF_6TensorESK_SK_EERKSK_lbbbEUlllE0_EEPmJS9_EEE10hipError_tPvRmT3_T4_T5_T6_T7_T9_mT8_P12ihipStream_tbDpT10_ENKUlT_T0_E_clISt17integral_constantIbLb0EES19_IbLb1EEEEDaS15_S16_EUlS15_E_NS1_11comp_targetILNS1_3genE9ELNS1_11target_archE1100ELNS1_3gpuE3ELNS1_3repE0EEENS1_30default_config_static_selectorELNS0_4arch9wavefront6targetE1EEEvT1_, .Lfunc_end875-_ZN7rocprim17ROCPRIM_400000_NS6detail17trampoline_kernelINS0_14default_configENS1_25partition_config_selectorILNS1_17partition_subalgoE9EllbEEZZNS1_14partition_implILS5_9ELb0ES3_jPlS8_PNS0_10empty_typeENS0_5tupleIJS8_S9_EEENSB_IJS8_SA_EEENS0_18inequality_wrapperIZN2at6native12_GLOBAL__N_124unique_dim_cuda_templateIdEESt5tupleIJNSF_6TensorESK_SK_EERKSK_lbbbEUlllE0_EEPmJS9_EEE10hipError_tPvRmT3_T4_T5_T6_T7_T9_mT8_P12ihipStream_tbDpT10_ENKUlT_T0_E_clISt17integral_constantIbLb0EES19_IbLb1EEEEDaS15_S16_EUlS15_E_NS1_11comp_targetILNS1_3genE9ELNS1_11target_archE1100ELNS1_3gpuE3ELNS1_3repE0EEENS1_30default_config_static_selectorELNS0_4arch9wavefront6targetE1EEEvT1_
                                        ; -- End function
	.section	.AMDGPU.csdata,"",@progbits
; Kernel info:
; codeLenInByte = 0
; NumSgprs: 6
; NumVgprs: 0
; NumAgprs: 0
; TotalNumVgprs: 0
; ScratchSize: 0
; MemoryBound: 0
; FloatMode: 240
; IeeeMode: 1
; LDSByteSize: 0 bytes/workgroup (compile time only)
; SGPRBlocks: 0
; VGPRBlocks: 0
; NumSGPRsForWavesPerEU: 6
; NumVGPRsForWavesPerEU: 1
; AccumOffset: 4
; Occupancy: 8
; WaveLimiterHint : 0
; COMPUTE_PGM_RSRC2:SCRATCH_EN: 0
; COMPUTE_PGM_RSRC2:USER_SGPR: 2
; COMPUTE_PGM_RSRC2:TRAP_HANDLER: 0
; COMPUTE_PGM_RSRC2:TGID_X_EN: 1
; COMPUTE_PGM_RSRC2:TGID_Y_EN: 0
; COMPUTE_PGM_RSRC2:TGID_Z_EN: 0
; COMPUTE_PGM_RSRC2:TIDIG_COMP_CNT: 0
; COMPUTE_PGM_RSRC3_GFX90A:ACCUM_OFFSET: 0
; COMPUTE_PGM_RSRC3_GFX90A:TG_SPLIT: 0
	.section	.text._ZN7rocprim17ROCPRIM_400000_NS6detail17trampoline_kernelINS0_14default_configENS1_25partition_config_selectorILNS1_17partition_subalgoE9EllbEEZZNS1_14partition_implILS5_9ELb0ES3_jPlS8_PNS0_10empty_typeENS0_5tupleIJS8_S9_EEENSB_IJS8_SA_EEENS0_18inequality_wrapperIZN2at6native12_GLOBAL__N_124unique_dim_cuda_templateIdEESt5tupleIJNSF_6TensorESK_SK_EERKSK_lbbbEUlllE0_EEPmJS9_EEE10hipError_tPvRmT3_T4_T5_T6_T7_T9_mT8_P12ihipStream_tbDpT10_ENKUlT_T0_E_clISt17integral_constantIbLb0EES19_IbLb1EEEEDaS15_S16_EUlS15_E_NS1_11comp_targetILNS1_3genE8ELNS1_11target_archE1030ELNS1_3gpuE2ELNS1_3repE0EEENS1_30default_config_static_selectorELNS0_4arch9wavefront6targetE1EEEvT1_,"axG",@progbits,_ZN7rocprim17ROCPRIM_400000_NS6detail17trampoline_kernelINS0_14default_configENS1_25partition_config_selectorILNS1_17partition_subalgoE9EllbEEZZNS1_14partition_implILS5_9ELb0ES3_jPlS8_PNS0_10empty_typeENS0_5tupleIJS8_S9_EEENSB_IJS8_SA_EEENS0_18inequality_wrapperIZN2at6native12_GLOBAL__N_124unique_dim_cuda_templateIdEESt5tupleIJNSF_6TensorESK_SK_EERKSK_lbbbEUlllE0_EEPmJS9_EEE10hipError_tPvRmT3_T4_T5_T6_T7_T9_mT8_P12ihipStream_tbDpT10_ENKUlT_T0_E_clISt17integral_constantIbLb0EES19_IbLb1EEEEDaS15_S16_EUlS15_E_NS1_11comp_targetILNS1_3genE8ELNS1_11target_archE1030ELNS1_3gpuE2ELNS1_3repE0EEENS1_30default_config_static_selectorELNS0_4arch9wavefront6targetE1EEEvT1_,comdat
	.globl	_ZN7rocprim17ROCPRIM_400000_NS6detail17trampoline_kernelINS0_14default_configENS1_25partition_config_selectorILNS1_17partition_subalgoE9EllbEEZZNS1_14partition_implILS5_9ELb0ES3_jPlS8_PNS0_10empty_typeENS0_5tupleIJS8_S9_EEENSB_IJS8_SA_EEENS0_18inequality_wrapperIZN2at6native12_GLOBAL__N_124unique_dim_cuda_templateIdEESt5tupleIJNSF_6TensorESK_SK_EERKSK_lbbbEUlllE0_EEPmJS9_EEE10hipError_tPvRmT3_T4_T5_T6_T7_T9_mT8_P12ihipStream_tbDpT10_ENKUlT_T0_E_clISt17integral_constantIbLb0EES19_IbLb1EEEEDaS15_S16_EUlS15_E_NS1_11comp_targetILNS1_3genE8ELNS1_11target_archE1030ELNS1_3gpuE2ELNS1_3repE0EEENS1_30default_config_static_selectorELNS0_4arch9wavefront6targetE1EEEvT1_ ; -- Begin function _ZN7rocprim17ROCPRIM_400000_NS6detail17trampoline_kernelINS0_14default_configENS1_25partition_config_selectorILNS1_17partition_subalgoE9EllbEEZZNS1_14partition_implILS5_9ELb0ES3_jPlS8_PNS0_10empty_typeENS0_5tupleIJS8_S9_EEENSB_IJS8_SA_EEENS0_18inequality_wrapperIZN2at6native12_GLOBAL__N_124unique_dim_cuda_templateIdEESt5tupleIJNSF_6TensorESK_SK_EERKSK_lbbbEUlllE0_EEPmJS9_EEE10hipError_tPvRmT3_T4_T5_T6_T7_T9_mT8_P12ihipStream_tbDpT10_ENKUlT_T0_E_clISt17integral_constantIbLb0EES19_IbLb1EEEEDaS15_S16_EUlS15_E_NS1_11comp_targetILNS1_3genE8ELNS1_11target_archE1030ELNS1_3gpuE2ELNS1_3repE0EEENS1_30default_config_static_selectorELNS0_4arch9wavefront6targetE1EEEvT1_
	.p2align	8
	.type	_ZN7rocprim17ROCPRIM_400000_NS6detail17trampoline_kernelINS0_14default_configENS1_25partition_config_selectorILNS1_17partition_subalgoE9EllbEEZZNS1_14partition_implILS5_9ELb0ES3_jPlS8_PNS0_10empty_typeENS0_5tupleIJS8_S9_EEENSB_IJS8_SA_EEENS0_18inequality_wrapperIZN2at6native12_GLOBAL__N_124unique_dim_cuda_templateIdEESt5tupleIJNSF_6TensorESK_SK_EERKSK_lbbbEUlllE0_EEPmJS9_EEE10hipError_tPvRmT3_T4_T5_T6_T7_T9_mT8_P12ihipStream_tbDpT10_ENKUlT_T0_E_clISt17integral_constantIbLb0EES19_IbLb1EEEEDaS15_S16_EUlS15_E_NS1_11comp_targetILNS1_3genE8ELNS1_11target_archE1030ELNS1_3gpuE2ELNS1_3repE0EEENS1_30default_config_static_selectorELNS0_4arch9wavefront6targetE1EEEvT1_,@function
_ZN7rocprim17ROCPRIM_400000_NS6detail17trampoline_kernelINS0_14default_configENS1_25partition_config_selectorILNS1_17partition_subalgoE9EllbEEZZNS1_14partition_implILS5_9ELb0ES3_jPlS8_PNS0_10empty_typeENS0_5tupleIJS8_S9_EEENSB_IJS8_SA_EEENS0_18inequality_wrapperIZN2at6native12_GLOBAL__N_124unique_dim_cuda_templateIdEESt5tupleIJNSF_6TensorESK_SK_EERKSK_lbbbEUlllE0_EEPmJS9_EEE10hipError_tPvRmT3_T4_T5_T6_T7_T9_mT8_P12ihipStream_tbDpT10_ENKUlT_T0_E_clISt17integral_constantIbLb0EES19_IbLb1EEEEDaS15_S16_EUlS15_E_NS1_11comp_targetILNS1_3genE8ELNS1_11target_archE1030ELNS1_3gpuE2ELNS1_3repE0EEENS1_30default_config_static_selectorELNS0_4arch9wavefront6targetE1EEEvT1_: ; @_ZN7rocprim17ROCPRIM_400000_NS6detail17trampoline_kernelINS0_14default_configENS1_25partition_config_selectorILNS1_17partition_subalgoE9EllbEEZZNS1_14partition_implILS5_9ELb0ES3_jPlS8_PNS0_10empty_typeENS0_5tupleIJS8_S9_EEENSB_IJS8_SA_EEENS0_18inequality_wrapperIZN2at6native12_GLOBAL__N_124unique_dim_cuda_templateIdEESt5tupleIJNSF_6TensorESK_SK_EERKSK_lbbbEUlllE0_EEPmJS9_EEE10hipError_tPvRmT3_T4_T5_T6_T7_T9_mT8_P12ihipStream_tbDpT10_ENKUlT_T0_E_clISt17integral_constantIbLb0EES19_IbLb1EEEEDaS15_S16_EUlS15_E_NS1_11comp_targetILNS1_3genE8ELNS1_11target_archE1030ELNS1_3gpuE2ELNS1_3repE0EEENS1_30default_config_static_selectorELNS0_4arch9wavefront6targetE1EEEvT1_
; %bb.0:
	.section	.rodata,"a",@progbits
	.p2align	6, 0x0
	.amdhsa_kernel _ZN7rocprim17ROCPRIM_400000_NS6detail17trampoline_kernelINS0_14default_configENS1_25partition_config_selectorILNS1_17partition_subalgoE9EllbEEZZNS1_14partition_implILS5_9ELb0ES3_jPlS8_PNS0_10empty_typeENS0_5tupleIJS8_S9_EEENSB_IJS8_SA_EEENS0_18inequality_wrapperIZN2at6native12_GLOBAL__N_124unique_dim_cuda_templateIdEESt5tupleIJNSF_6TensorESK_SK_EERKSK_lbbbEUlllE0_EEPmJS9_EEE10hipError_tPvRmT3_T4_T5_T6_T7_T9_mT8_P12ihipStream_tbDpT10_ENKUlT_T0_E_clISt17integral_constantIbLb0EES19_IbLb1EEEEDaS15_S16_EUlS15_E_NS1_11comp_targetILNS1_3genE8ELNS1_11target_archE1030ELNS1_3gpuE2ELNS1_3repE0EEENS1_30default_config_static_selectorELNS0_4arch9wavefront6targetE1EEEvT1_
		.amdhsa_group_segment_fixed_size 0
		.amdhsa_private_segment_fixed_size 0
		.amdhsa_kernarg_size 136
		.amdhsa_user_sgpr_count 2
		.amdhsa_user_sgpr_dispatch_ptr 0
		.amdhsa_user_sgpr_queue_ptr 0
		.amdhsa_user_sgpr_kernarg_segment_ptr 1
		.amdhsa_user_sgpr_dispatch_id 0
		.amdhsa_user_sgpr_kernarg_preload_length 0
		.amdhsa_user_sgpr_kernarg_preload_offset 0
		.amdhsa_user_sgpr_private_segment_size 0
		.amdhsa_uses_dynamic_stack 0
		.amdhsa_enable_private_segment 0
		.amdhsa_system_sgpr_workgroup_id_x 1
		.amdhsa_system_sgpr_workgroup_id_y 0
		.amdhsa_system_sgpr_workgroup_id_z 0
		.amdhsa_system_sgpr_workgroup_info 0
		.amdhsa_system_vgpr_workitem_id 0
		.amdhsa_next_free_vgpr 1
		.amdhsa_next_free_sgpr 0
		.amdhsa_accum_offset 4
		.amdhsa_reserve_vcc 0
		.amdhsa_float_round_mode_32 0
		.amdhsa_float_round_mode_16_64 0
		.amdhsa_float_denorm_mode_32 3
		.amdhsa_float_denorm_mode_16_64 3
		.amdhsa_dx10_clamp 1
		.amdhsa_ieee_mode 1
		.amdhsa_fp16_overflow 0
		.amdhsa_tg_split 0
		.amdhsa_exception_fp_ieee_invalid_op 0
		.amdhsa_exception_fp_denorm_src 0
		.amdhsa_exception_fp_ieee_div_zero 0
		.amdhsa_exception_fp_ieee_overflow 0
		.amdhsa_exception_fp_ieee_underflow 0
		.amdhsa_exception_fp_ieee_inexact 0
		.amdhsa_exception_int_div_zero 0
	.end_amdhsa_kernel
	.section	.text._ZN7rocprim17ROCPRIM_400000_NS6detail17trampoline_kernelINS0_14default_configENS1_25partition_config_selectorILNS1_17partition_subalgoE9EllbEEZZNS1_14partition_implILS5_9ELb0ES3_jPlS8_PNS0_10empty_typeENS0_5tupleIJS8_S9_EEENSB_IJS8_SA_EEENS0_18inequality_wrapperIZN2at6native12_GLOBAL__N_124unique_dim_cuda_templateIdEESt5tupleIJNSF_6TensorESK_SK_EERKSK_lbbbEUlllE0_EEPmJS9_EEE10hipError_tPvRmT3_T4_T5_T6_T7_T9_mT8_P12ihipStream_tbDpT10_ENKUlT_T0_E_clISt17integral_constantIbLb0EES19_IbLb1EEEEDaS15_S16_EUlS15_E_NS1_11comp_targetILNS1_3genE8ELNS1_11target_archE1030ELNS1_3gpuE2ELNS1_3repE0EEENS1_30default_config_static_selectorELNS0_4arch9wavefront6targetE1EEEvT1_,"axG",@progbits,_ZN7rocprim17ROCPRIM_400000_NS6detail17trampoline_kernelINS0_14default_configENS1_25partition_config_selectorILNS1_17partition_subalgoE9EllbEEZZNS1_14partition_implILS5_9ELb0ES3_jPlS8_PNS0_10empty_typeENS0_5tupleIJS8_S9_EEENSB_IJS8_SA_EEENS0_18inequality_wrapperIZN2at6native12_GLOBAL__N_124unique_dim_cuda_templateIdEESt5tupleIJNSF_6TensorESK_SK_EERKSK_lbbbEUlllE0_EEPmJS9_EEE10hipError_tPvRmT3_T4_T5_T6_T7_T9_mT8_P12ihipStream_tbDpT10_ENKUlT_T0_E_clISt17integral_constantIbLb0EES19_IbLb1EEEEDaS15_S16_EUlS15_E_NS1_11comp_targetILNS1_3genE8ELNS1_11target_archE1030ELNS1_3gpuE2ELNS1_3repE0EEENS1_30default_config_static_selectorELNS0_4arch9wavefront6targetE1EEEvT1_,comdat
.Lfunc_end876:
	.size	_ZN7rocprim17ROCPRIM_400000_NS6detail17trampoline_kernelINS0_14default_configENS1_25partition_config_selectorILNS1_17partition_subalgoE9EllbEEZZNS1_14partition_implILS5_9ELb0ES3_jPlS8_PNS0_10empty_typeENS0_5tupleIJS8_S9_EEENSB_IJS8_SA_EEENS0_18inequality_wrapperIZN2at6native12_GLOBAL__N_124unique_dim_cuda_templateIdEESt5tupleIJNSF_6TensorESK_SK_EERKSK_lbbbEUlllE0_EEPmJS9_EEE10hipError_tPvRmT3_T4_T5_T6_T7_T9_mT8_P12ihipStream_tbDpT10_ENKUlT_T0_E_clISt17integral_constantIbLb0EES19_IbLb1EEEEDaS15_S16_EUlS15_E_NS1_11comp_targetILNS1_3genE8ELNS1_11target_archE1030ELNS1_3gpuE2ELNS1_3repE0EEENS1_30default_config_static_selectorELNS0_4arch9wavefront6targetE1EEEvT1_, .Lfunc_end876-_ZN7rocprim17ROCPRIM_400000_NS6detail17trampoline_kernelINS0_14default_configENS1_25partition_config_selectorILNS1_17partition_subalgoE9EllbEEZZNS1_14partition_implILS5_9ELb0ES3_jPlS8_PNS0_10empty_typeENS0_5tupleIJS8_S9_EEENSB_IJS8_SA_EEENS0_18inequality_wrapperIZN2at6native12_GLOBAL__N_124unique_dim_cuda_templateIdEESt5tupleIJNSF_6TensorESK_SK_EERKSK_lbbbEUlllE0_EEPmJS9_EEE10hipError_tPvRmT3_T4_T5_T6_T7_T9_mT8_P12ihipStream_tbDpT10_ENKUlT_T0_E_clISt17integral_constantIbLb0EES19_IbLb1EEEEDaS15_S16_EUlS15_E_NS1_11comp_targetILNS1_3genE8ELNS1_11target_archE1030ELNS1_3gpuE2ELNS1_3repE0EEENS1_30default_config_static_selectorELNS0_4arch9wavefront6targetE1EEEvT1_
                                        ; -- End function
	.section	.AMDGPU.csdata,"",@progbits
; Kernel info:
; codeLenInByte = 0
; NumSgprs: 6
; NumVgprs: 0
; NumAgprs: 0
; TotalNumVgprs: 0
; ScratchSize: 0
; MemoryBound: 0
; FloatMode: 240
; IeeeMode: 1
; LDSByteSize: 0 bytes/workgroup (compile time only)
; SGPRBlocks: 0
; VGPRBlocks: 0
; NumSGPRsForWavesPerEU: 6
; NumVGPRsForWavesPerEU: 1
; AccumOffset: 4
; Occupancy: 8
; WaveLimiterHint : 0
; COMPUTE_PGM_RSRC2:SCRATCH_EN: 0
; COMPUTE_PGM_RSRC2:USER_SGPR: 2
; COMPUTE_PGM_RSRC2:TRAP_HANDLER: 0
; COMPUTE_PGM_RSRC2:TGID_X_EN: 1
; COMPUTE_PGM_RSRC2:TGID_Y_EN: 0
; COMPUTE_PGM_RSRC2:TGID_Z_EN: 0
; COMPUTE_PGM_RSRC2:TIDIG_COMP_CNT: 0
; COMPUTE_PGM_RSRC3_GFX90A:ACCUM_OFFSET: 0
; COMPUTE_PGM_RSRC3_GFX90A:TG_SPLIT: 0
	.section	.text._ZN7rocprim17ROCPRIM_400000_NS6detail17trampoline_kernelINS0_14default_configENS1_37merge_sort_block_sort_config_selectorIlNS0_10empty_typeEEEZNS1_21merge_sort_block_sortIS3_PlS8_PS5_S9_ZN2at6native12_GLOBAL__N_124unique_dim_cuda_templateIfEESt5tupleIJNSA_6TensorESF_SF_EERKSF_lbbbEUlllE_EE10hipError_tT0_T1_T2_T3_mRjT4_P12ihipStream_tbNS1_7vsmem_tEEUlT_E_NS1_11comp_targetILNS1_3genE0ELNS1_11target_archE4294967295ELNS1_3gpuE0ELNS1_3repE0EEENS1_30default_config_static_selectorELNS0_4arch9wavefront6targetE1EEEvSM_,"axG",@progbits,_ZN7rocprim17ROCPRIM_400000_NS6detail17trampoline_kernelINS0_14default_configENS1_37merge_sort_block_sort_config_selectorIlNS0_10empty_typeEEEZNS1_21merge_sort_block_sortIS3_PlS8_PS5_S9_ZN2at6native12_GLOBAL__N_124unique_dim_cuda_templateIfEESt5tupleIJNSA_6TensorESF_SF_EERKSF_lbbbEUlllE_EE10hipError_tT0_T1_T2_T3_mRjT4_P12ihipStream_tbNS1_7vsmem_tEEUlT_E_NS1_11comp_targetILNS1_3genE0ELNS1_11target_archE4294967295ELNS1_3gpuE0ELNS1_3repE0EEENS1_30default_config_static_selectorELNS0_4arch9wavefront6targetE1EEEvSM_,comdat
	.globl	_ZN7rocprim17ROCPRIM_400000_NS6detail17trampoline_kernelINS0_14default_configENS1_37merge_sort_block_sort_config_selectorIlNS0_10empty_typeEEEZNS1_21merge_sort_block_sortIS3_PlS8_PS5_S9_ZN2at6native12_GLOBAL__N_124unique_dim_cuda_templateIfEESt5tupleIJNSA_6TensorESF_SF_EERKSF_lbbbEUlllE_EE10hipError_tT0_T1_T2_T3_mRjT4_P12ihipStream_tbNS1_7vsmem_tEEUlT_E_NS1_11comp_targetILNS1_3genE0ELNS1_11target_archE4294967295ELNS1_3gpuE0ELNS1_3repE0EEENS1_30default_config_static_selectorELNS0_4arch9wavefront6targetE1EEEvSM_ ; -- Begin function _ZN7rocprim17ROCPRIM_400000_NS6detail17trampoline_kernelINS0_14default_configENS1_37merge_sort_block_sort_config_selectorIlNS0_10empty_typeEEEZNS1_21merge_sort_block_sortIS3_PlS8_PS5_S9_ZN2at6native12_GLOBAL__N_124unique_dim_cuda_templateIfEESt5tupleIJNSA_6TensorESF_SF_EERKSF_lbbbEUlllE_EE10hipError_tT0_T1_T2_T3_mRjT4_P12ihipStream_tbNS1_7vsmem_tEEUlT_E_NS1_11comp_targetILNS1_3genE0ELNS1_11target_archE4294967295ELNS1_3gpuE0ELNS1_3repE0EEENS1_30default_config_static_selectorELNS0_4arch9wavefront6targetE1EEEvSM_
	.p2align	8
	.type	_ZN7rocprim17ROCPRIM_400000_NS6detail17trampoline_kernelINS0_14default_configENS1_37merge_sort_block_sort_config_selectorIlNS0_10empty_typeEEEZNS1_21merge_sort_block_sortIS3_PlS8_PS5_S9_ZN2at6native12_GLOBAL__N_124unique_dim_cuda_templateIfEESt5tupleIJNSA_6TensorESF_SF_EERKSF_lbbbEUlllE_EE10hipError_tT0_T1_T2_T3_mRjT4_P12ihipStream_tbNS1_7vsmem_tEEUlT_E_NS1_11comp_targetILNS1_3genE0ELNS1_11target_archE4294967295ELNS1_3gpuE0ELNS1_3repE0EEENS1_30default_config_static_selectorELNS0_4arch9wavefront6targetE1EEEvSM_,@function
_ZN7rocprim17ROCPRIM_400000_NS6detail17trampoline_kernelINS0_14default_configENS1_37merge_sort_block_sort_config_selectorIlNS0_10empty_typeEEEZNS1_21merge_sort_block_sortIS3_PlS8_PS5_S9_ZN2at6native12_GLOBAL__N_124unique_dim_cuda_templateIfEESt5tupleIJNSA_6TensorESF_SF_EERKSF_lbbbEUlllE_EE10hipError_tT0_T1_T2_T3_mRjT4_P12ihipStream_tbNS1_7vsmem_tEEUlT_E_NS1_11comp_targetILNS1_3genE0ELNS1_11target_archE4294967295ELNS1_3gpuE0ELNS1_3repE0EEENS1_30default_config_static_selectorELNS0_4arch9wavefront6targetE1EEEvSM_: ; @_ZN7rocprim17ROCPRIM_400000_NS6detail17trampoline_kernelINS0_14default_configENS1_37merge_sort_block_sort_config_selectorIlNS0_10empty_typeEEEZNS1_21merge_sort_block_sortIS3_PlS8_PS5_S9_ZN2at6native12_GLOBAL__N_124unique_dim_cuda_templateIfEESt5tupleIJNSA_6TensorESF_SF_EERKSF_lbbbEUlllE_EE10hipError_tT0_T1_T2_T3_mRjT4_P12ihipStream_tbNS1_7vsmem_tEEUlT_E_NS1_11comp_targetILNS1_3genE0ELNS1_11target_archE4294967295ELNS1_3gpuE0ELNS1_3repE0EEENS1_30default_config_static_selectorELNS0_4arch9wavefront6targetE1EEEvSM_
; %bb.0:
	.section	.rodata,"a",@progbits
	.p2align	6, 0x0
	.amdhsa_kernel _ZN7rocprim17ROCPRIM_400000_NS6detail17trampoline_kernelINS0_14default_configENS1_37merge_sort_block_sort_config_selectorIlNS0_10empty_typeEEEZNS1_21merge_sort_block_sortIS3_PlS8_PS5_S9_ZN2at6native12_GLOBAL__N_124unique_dim_cuda_templateIfEESt5tupleIJNSA_6TensorESF_SF_EERKSF_lbbbEUlllE_EE10hipError_tT0_T1_T2_T3_mRjT4_P12ihipStream_tbNS1_7vsmem_tEEUlT_E_NS1_11comp_targetILNS1_3genE0ELNS1_11target_archE4294967295ELNS1_3gpuE0ELNS1_3repE0EEENS1_30default_config_static_selectorELNS0_4arch9wavefront6targetE1EEEvSM_
		.amdhsa_group_segment_fixed_size 0
		.amdhsa_private_segment_fixed_size 0
		.amdhsa_kernarg_size 72
		.amdhsa_user_sgpr_count 2
		.amdhsa_user_sgpr_dispatch_ptr 0
		.amdhsa_user_sgpr_queue_ptr 0
		.amdhsa_user_sgpr_kernarg_segment_ptr 1
		.amdhsa_user_sgpr_dispatch_id 0
		.amdhsa_user_sgpr_kernarg_preload_length 0
		.amdhsa_user_sgpr_kernarg_preload_offset 0
		.amdhsa_user_sgpr_private_segment_size 0
		.amdhsa_uses_dynamic_stack 0
		.amdhsa_enable_private_segment 0
		.amdhsa_system_sgpr_workgroup_id_x 1
		.amdhsa_system_sgpr_workgroup_id_y 0
		.amdhsa_system_sgpr_workgroup_id_z 0
		.amdhsa_system_sgpr_workgroup_info 0
		.amdhsa_system_vgpr_workitem_id 0
		.amdhsa_next_free_vgpr 1
		.amdhsa_next_free_sgpr 0
		.amdhsa_accum_offset 4
		.amdhsa_reserve_vcc 0
		.amdhsa_float_round_mode_32 0
		.amdhsa_float_round_mode_16_64 0
		.amdhsa_float_denorm_mode_32 3
		.amdhsa_float_denorm_mode_16_64 3
		.amdhsa_dx10_clamp 1
		.amdhsa_ieee_mode 1
		.amdhsa_fp16_overflow 0
		.amdhsa_tg_split 0
		.amdhsa_exception_fp_ieee_invalid_op 0
		.amdhsa_exception_fp_denorm_src 0
		.amdhsa_exception_fp_ieee_div_zero 0
		.amdhsa_exception_fp_ieee_overflow 0
		.amdhsa_exception_fp_ieee_underflow 0
		.amdhsa_exception_fp_ieee_inexact 0
		.amdhsa_exception_int_div_zero 0
	.end_amdhsa_kernel
	.section	.text._ZN7rocprim17ROCPRIM_400000_NS6detail17trampoline_kernelINS0_14default_configENS1_37merge_sort_block_sort_config_selectorIlNS0_10empty_typeEEEZNS1_21merge_sort_block_sortIS3_PlS8_PS5_S9_ZN2at6native12_GLOBAL__N_124unique_dim_cuda_templateIfEESt5tupleIJNSA_6TensorESF_SF_EERKSF_lbbbEUlllE_EE10hipError_tT0_T1_T2_T3_mRjT4_P12ihipStream_tbNS1_7vsmem_tEEUlT_E_NS1_11comp_targetILNS1_3genE0ELNS1_11target_archE4294967295ELNS1_3gpuE0ELNS1_3repE0EEENS1_30default_config_static_selectorELNS0_4arch9wavefront6targetE1EEEvSM_,"axG",@progbits,_ZN7rocprim17ROCPRIM_400000_NS6detail17trampoline_kernelINS0_14default_configENS1_37merge_sort_block_sort_config_selectorIlNS0_10empty_typeEEEZNS1_21merge_sort_block_sortIS3_PlS8_PS5_S9_ZN2at6native12_GLOBAL__N_124unique_dim_cuda_templateIfEESt5tupleIJNSA_6TensorESF_SF_EERKSF_lbbbEUlllE_EE10hipError_tT0_T1_T2_T3_mRjT4_P12ihipStream_tbNS1_7vsmem_tEEUlT_E_NS1_11comp_targetILNS1_3genE0ELNS1_11target_archE4294967295ELNS1_3gpuE0ELNS1_3repE0EEENS1_30default_config_static_selectorELNS0_4arch9wavefront6targetE1EEEvSM_,comdat
.Lfunc_end877:
	.size	_ZN7rocprim17ROCPRIM_400000_NS6detail17trampoline_kernelINS0_14default_configENS1_37merge_sort_block_sort_config_selectorIlNS0_10empty_typeEEEZNS1_21merge_sort_block_sortIS3_PlS8_PS5_S9_ZN2at6native12_GLOBAL__N_124unique_dim_cuda_templateIfEESt5tupleIJNSA_6TensorESF_SF_EERKSF_lbbbEUlllE_EE10hipError_tT0_T1_T2_T3_mRjT4_P12ihipStream_tbNS1_7vsmem_tEEUlT_E_NS1_11comp_targetILNS1_3genE0ELNS1_11target_archE4294967295ELNS1_3gpuE0ELNS1_3repE0EEENS1_30default_config_static_selectorELNS0_4arch9wavefront6targetE1EEEvSM_, .Lfunc_end877-_ZN7rocprim17ROCPRIM_400000_NS6detail17trampoline_kernelINS0_14default_configENS1_37merge_sort_block_sort_config_selectorIlNS0_10empty_typeEEEZNS1_21merge_sort_block_sortIS3_PlS8_PS5_S9_ZN2at6native12_GLOBAL__N_124unique_dim_cuda_templateIfEESt5tupleIJNSA_6TensorESF_SF_EERKSF_lbbbEUlllE_EE10hipError_tT0_T1_T2_T3_mRjT4_P12ihipStream_tbNS1_7vsmem_tEEUlT_E_NS1_11comp_targetILNS1_3genE0ELNS1_11target_archE4294967295ELNS1_3gpuE0ELNS1_3repE0EEENS1_30default_config_static_selectorELNS0_4arch9wavefront6targetE1EEEvSM_
                                        ; -- End function
	.section	.AMDGPU.csdata,"",@progbits
; Kernel info:
; codeLenInByte = 0
; NumSgprs: 6
; NumVgprs: 0
; NumAgprs: 0
; TotalNumVgprs: 0
; ScratchSize: 0
; MemoryBound: 0
; FloatMode: 240
; IeeeMode: 1
; LDSByteSize: 0 bytes/workgroup (compile time only)
; SGPRBlocks: 0
; VGPRBlocks: 0
; NumSGPRsForWavesPerEU: 6
; NumVGPRsForWavesPerEU: 1
; AccumOffset: 4
; Occupancy: 8
; WaveLimiterHint : 0
; COMPUTE_PGM_RSRC2:SCRATCH_EN: 0
; COMPUTE_PGM_RSRC2:USER_SGPR: 2
; COMPUTE_PGM_RSRC2:TRAP_HANDLER: 0
; COMPUTE_PGM_RSRC2:TGID_X_EN: 1
; COMPUTE_PGM_RSRC2:TGID_Y_EN: 0
; COMPUTE_PGM_RSRC2:TGID_Z_EN: 0
; COMPUTE_PGM_RSRC2:TIDIG_COMP_CNT: 0
; COMPUTE_PGM_RSRC3_GFX90A:ACCUM_OFFSET: 0
; COMPUTE_PGM_RSRC3_GFX90A:TG_SPLIT: 0
	.text
	.p2align	2                               ; -- Begin function _ZN7rocprim17ROCPRIM_400000_NS6detail15block_sort_implIlNS0_10empty_typeELj256ELj8ELNS0_4arch9wavefront6targetE1EvE4sortIPlS9_PS3_SA_ZN2at6native12_GLOBAL__N_124unique_dim_cuda_templateIfEESt5tupleIJNSB_6TensorESG_SG_EERKSG_lbbbEUlllE_EEvjbT_T0_T1_T2_T3_RNS7_12storage_typeE
	.type	_ZN7rocprim17ROCPRIM_400000_NS6detail15block_sort_implIlNS0_10empty_typeELj256ELj8ELNS0_4arch9wavefront6targetE1EvE4sortIPlS9_PS3_SA_ZN2at6native12_GLOBAL__N_124unique_dim_cuda_templateIfEESt5tupleIJNSB_6TensorESG_SG_EERKSG_lbbbEUlllE_EEvjbT_T0_T1_T2_T3_RNS7_12storage_typeE,@function
_ZN7rocprim17ROCPRIM_400000_NS6detail15block_sort_implIlNS0_10empty_typeELj256ELj8ELNS0_4arch9wavefront6targetE1EvE4sortIPlS9_PS3_SA_ZN2at6native12_GLOBAL__N_124unique_dim_cuda_templateIfEESt5tupleIJNSB_6TensorESG_SG_EERKSG_lbbbEUlllE_EEvjbT_T0_T1_T2_T3_RNS7_12storage_typeE: ; @_ZN7rocprim17ROCPRIM_400000_NS6detail15block_sort_implIlNS0_10empty_typeELj256ELj8ELNS0_4arch9wavefront6targetE1EvE4sortIPlS9_PS3_SA_ZN2at6native12_GLOBAL__N_124unique_dim_cuda_templateIfEESt5tupleIJNSB_6TensorESG_SG_EERKSG_lbbbEUlllE_EEvjbT_T0_T1_T2_T3_RNS7_12storage_typeE
; %bb.0:
	s_waitcnt vmcnt(0) expcnt(0) lgkmcnt(0)
	s_or_saveexec_b64 s[0:1], -1
	scratch_store_dword off, v40, s32       ; 4-byte Folded Spill
	s_mov_b64 exec, s[0:1]
	v_writelane_b32 v40, s34, 0
	v_writelane_b32 v40, s35, 1
	;; [unrolled: 1-line block ×38, first 2 shown]
	s_nop 1
	v_writelane_b32 v40, s31, 38
	v_and_b32_e32 v1, 1, v1
	v_cmp_eq_u32_e32 vcc, 1, v1
	v_and_b32_e32 v28, 0x3ff, v31
	s_xor_b64 s[0:1], vcc, -1
	s_mov_b64 s[24:25], 0
	v_bfe_u32 v64, v31, 10, 10
	v_bfe_u32 v65, v31, 20, 10
	v_lshlrev_b32_e32 v30, 3, v28
	v_lshrrev_b32_e32 v32, 5, v28
	v_lshrrev_b32_e32 v1, 2, v28
                                        ; implicit-def: $vgpr12_vgpr13
	s_and_saveexec_b64 s[2:3], s[0:1]
	s_xor_b64 s[14:15], exec, s[2:3]
	s_cbranch_execnz .LBB878_5
; %bb.1:
	s_andn2_saveexec_b64 s[26:27], s[14:15]
	s_cbranch_execnz .LBB878_641
.LBB878_2:
	s_or_b64 exec, exec, s[26:27]
	s_and_saveexec_b64 s[0:1], s[24:25]
	s_cbranch_execz .LBB878_4
.LBB878_3:
	s_waitcnt vmcnt(0) lgkmcnt(0)
	v_lshl_add_u64 v[0:1], v[28:29], 3, v[4:5]
	v_add_co_u32_e32 v0, vcc, 0x3000, v0
	s_nop 1
	v_addc_co_u32_e32 v1, vcc, 0, v1, vcc
	flat_store_dwordx2 v[0:1], v[12:13] offset:2048
.LBB878_4:
	s_or_b64 exec, exec, s[0:1]
	v_readlane_b32 s30, v40, 37
	v_readlane_b32 s31, v40, 38
	;; [unrolled: 1-line block ×39, first 2 shown]
	s_or_saveexec_b64 s[0:1], -1
	scratch_load_dword v40, off, s32        ; 4-byte Folded Reload
	s_mov_b64 exec, s[0:1]
	s_waitcnt vmcnt(0) lgkmcnt(0)
	s_setpc_b64 s[30:31]
.LBB878_5:
	v_mov_b32_e32 v29, 0
	v_mov_b32_e32 v31, v29
	v_lshl_add_u64 v[2:3], v[2:3], 0, v[30:31]
	v_add_co_u32_e32 v12, vcc, 0x1000, v2
	v_add_u32_e32 v26, 0x200, v28
	s_nop 0
	v_addc_co_u32_e32 v13, vcc, 0, v3, vcc
	flat_load_dwordx2 v[14:15], v[2:3]
	flat_load_dwordx2 v[16:17], v[2:3] offset:2048
	flat_load_dwordx2 v[18:19], v[12:13]
	flat_load_dwordx2 v[20:21], v[12:13] offset:2048
	v_add_co_u32_e32 v12, vcc, 0x2000, v2
	v_add_u32_e32 v31, 0x300, v28
	s_nop 0
	v_addc_co_u32_e32 v13, vcc, 0, v3, vcc
	v_add_co_u32_e32 v2, vcc, 0x3000, v2
	v_or_b32_e32 v34, 0x400, v28
	s_nop 0
	v_addc_co_u32_e32 v3, vcc, 0, v3, vcc
	flat_load_dwordx2 v[22:23], v[12:13]
	flat_load_dwordx2 v[54:55], v[12:13] offset:2048
	flat_load_dwordx2 v[66:67], v[2:3]
	flat_load_dwordx2 v[68:69], v[2:3] offset:2048
	v_add_u32_e32 v3, 0x100, v28
	v_add_u32_e32 v35, 0x500, v28
	;; [unrolled: 1-line block ×4, first 2 shown]
	v_add_lshl_u32 v0, v32, v28, 3
	v_add_lshl_u32 v2, v1, v30, 3
	v_mov_b32_e32 v1, v29
	v_lshrrev_b32_e32 v12, 5, v3
	v_lshrrev_b32_e32 v32, 5, v26
	;; [unrolled: 1-line block ×7, first 2 shown]
	v_mov_b32_e32 v3, v29
	v_mov_b32_e32 v13, v29
	;; [unrolled: 1-line block ×8, first 2 shown]
	v_lshl_add_u64 v[24:25], v[10:11], 0, v[0:1]
	v_add_lshl_u32 v12, v12, v28, 3
	v_add_lshl_u32 v26, v32, v26, 3
	;; [unrolled: 1-line block ×7, first 2 shown]
	v_lshl_add_u64 v[52:53], v[10:11], 0, v[2:3]
	v_lshl_add_u64 v[34:35], v[10:11], 0, v[12:13]
	;; [unrolled: 1-line block ×8, first 2 shown]
	v_cmp_lt_i64_e32 vcc, 0, v[6:7]
	s_waitcnt vmcnt(0) lgkmcnt(0)
	flat_store_dwordx2 v[24:25], v[14:15]
	flat_store_dwordx2 v[34:35], v[16:17] offset:2048
	flat_store_dwordx2 v[26:27], v[18:19]
	flat_store_dwordx2 v[48:49], v[20:21]
	;; [unrolled: 1-line block ×6, first 2 shown]
	s_waitcnt lgkmcnt(0)
	s_barrier
	flat_load_dwordx4 v[20:23], v[52:53]
	flat_load_dwordx4 v[16:19], v[52:53] offset:16
	flat_load_dwordx4 v[12:15], v[52:53] offset:32
	;; [unrolled: 1-line block ×3, first 2 shown]
	s_waitcnt lgkmcnt(0)
	s_barrier
	s_load_dwordx2 s[0:1], s[8:9], 0x0
	s_waitcnt lgkmcnt(0)
	s_cmp_lt_u32 s12, s0
	s_cselect_b32 s2, 12, 18
	s_cmp_lt_u32 s13, s1
	s_cselect_b32 s0, 14, 20
	s_add_u32 s0, s8, s0
	s_addc_u32 s1, s9, 0
	s_add_u32 s2, s8, s2
	s_addc_u32 s3, s9, 0
	global_load_ushort v31, v29, s[0:1]
	global_load_ushort v54, v29, s[2:3]
	s_movk_i32 s0, 0x800
	s_waitcnt vmcnt(0)
	v_mad_u32_u24 v31, v65, v31, v64
	v_mul_lo_u32 v31, v31, v54
	v_add_lshl_u32 v31, v31, v28, 3
	v_cmp_gt_u32_e64 s[0:1], s0, v31
	s_and_saveexec_b64 s[6:7], s[0:1]
	s_cbranch_execz .LBB878_227
; %bb.6:
	s_and_saveexec_b64 s[10:11], vcc
	s_cbranch_execnz .LBB878_32
; %bb.7:
	s_or_b64 exec, exec, s[10:11]
	s_and_saveexec_b64 s[10:11], vcc
	s_cbranch_execnz .LBB878_39
.LBB878_8:
	s_or_b64 exec, exec, s[10:11]
	s_and_saveexec_b64 s[10:11], vcc
	s_cbranch_execnz .LBB878_46
.LBB878_9:
	s_or_b64 exec, exec, s[10:11]
	s_and_saveexec_b64 s[10:11], vcc
	s_cbranch_execnz .LBB878_53
.LBB878_10:
	s_or_b64 exec, exec, s[10:11]
	s_and_saveexec_b64 s[0:1], vcc
	s_xor_b64 s[10:11], exec, s[0:1]
	s_cbranch_execnz .LBB878_60
.LBB878_11:
	s_or_b64 exec, exec, s[10:11]
	s_and_saveexec_b64 s[10:11], vcc
	s_cbranch_execnz .LBB878_67
.LBB878_12:
	s_or_b64 exec, exec, s[10:11]
	s_and_saveexec_b64 s[10:11], vcc
	s_cbranch_execnz .LBB878_74
.LBB878_13:
	s_or_b64 exec, exec, s[10:11]
	s_and_saveexec_b64 s[10:11], vcc
	s_cbranch_execnz .LBB878_81
.LBB878_14:
	s_or_b64 exec, exec, s[10:11]
	s_and_saveexec_b64 s[10:11], vcc
	s_cbranch_execnz .LBB878_88
.LBB878_15:
	s_or_b64 exec, exec, s[10:11]
	s_and_saveexec_b64 s[10:11], vcc
	s_cbranch_execnz .LBB878_95
.LBB878_16:
	s_or_b64 exec, exec, s[10:11]
	s_and_saveexec_b64 s[10:11], vcc
	s_cbranch_execnz .LBB878_102
.LBB878_17:
	s_or_b64 exec, exec, s[10:11]
	s_and_saveexec_b64 s[10:11], vcc
	s_cbranch_execnz .LBB878_109
.LBB878_18:
	s_or_b64 exec, exec, s[10:11]
	s_and_saveexec_b64 s[10:11], vcc
	s_cbranch_execnz .LBB878_116
.LBB878_19:
	s_or_b64 exec, exec, s[10:11]
	s_and_saveexec_b64 s[10:11], vcc
	s_cbranch_execnz .LBB878_123
.LBB878_20:
	s_or_b64 exec, exec, s[10:11]
	s_and_saveexec_b64 s[10:11], vcc
	s_cbranch_execnz .LBB878_130
.LBB878_21:
	s_or_b64 exec, exec, s[10:11]
	s_and_saveexec_b64 s[10:11], vcc
	s_cbranch_execnz .LBB878_137
.LBB878_22:
	s_or_b64 exec, exec, s[10:11]
	s_and_saveexec_b64 s[10:11], vcc
	s_cbranch_execnz .LBB878_144
.LBB878_23:
	s_or_b64 exec, exec, s[10:11]
	s_and_saveexec_b64 s[10:11], vcc
	s_cbranch_execnz .LBB878_151
.LBB878_24:
	s_or_b64 exec, exec, s[10:11]
	s_and_saveexec_b64 s[10:11], vcc
	s_cbranch_execnz .LBB878_158
.LBB878_25:
	s_or_b64 exec, exec, s[10:11]
	s_and_saveexec_b64 s[10:11], vcc
	s_cbranch_execnz .LBB878_165
.LBB878_26:
	s_or_b64 exec, exec, s[10:11]
	s_and_saveexec_b64 s[10:11], vcc
	s_cbranch_execnz .LBB878_172
.LBB878_27:
	s_or_b64 exec, exec, s[10:11]
	s_and_saveexec_b64 s[10:11], vcc
	s_cbranch_execnz .LBB878_179
.LBB878_28:
	s_or_b64 exec, exec, s[10:11]
	s_and_saveexec_b64 s[10:11], vcc
	s_cbranch_execnz .LBB878_186
.LBB878_29:
	s_or_b64 exec, exec, s[10:11]
	s_and_saveexec_b64 s[10:11], vcc
	s_cbranch_execnz .LBB878_193
.LBB878_30:
	s_or_b64 exec, exec, s[10:11]
	s_and_saveexec_b64 s[10:11], vcc
	s_cbranch_execnz .LBB878_200
.LBB878_31:
	s_or_b64 exec, exec, s[10:11]
	s_and_saveexec_b64 s[10:11], vcc
	s_cbranch_execnz .LBB878_207
	s_branch .LBB878_226
.LBB878_32:
	v_mul_lo_u32 v64, v21, v6
	v_mul_lo_u32 v65, v20, v7
	v_mad_u64_u32 v[54:55], s[0:1], v20, v6, 0
	v_add3_u32 v55, v55, v65, v64
	v_mul_lo_u32 v66, v23, v6
	v_mul_lo_u32 v67, v22, v7
	v_mad_u64_u32 v[64:65], s[0:1], v22, v6, 0
	v_add3_u32 v65, v65, v67, v66
	v_lshl_add_u64 v[54:55], v[54:55], 2, v[8:9]
	v_lshl_add_u64 v[64:65], v[64:65], 2, v[8:9]
	s_mov_b64 s[18:19], 0
	v_mov_b64_e32 v[66:67], v[6:7]
                                        ; implicit-def: $sgpr16_sgpr17
                                        ; implicit-def: $sgpr20_sgpr21
                                        ; implicit-def: $sgpr24_sgpr25
                                        ; implicit-def: $sgpr22_sgpr23
                                        ; implicit-def: $sgpr26_sgpr27
                                        ; implicit-def: $sgpr28_sgpr29
	s_branch .LBB878_34
.LBB878_33:                             ;   in Loop: Header=BB878_34 Depth=1
	s_or_b64 exec, exec, s[30:31]
	s_and_b64 s[0:1], exec, s[24:25]
	s_or_b64 s[18:19], s[0:1], s[18:19]
	s_andn2_b64 s[0:1], s[28:29], exec
	s_and_b64 s[4:5], s[26:27], exec
	s_or_b64 s[28:29], s[0:1], s[4:5]
	s_andn2_b64 s[0:1], s[20:21], exec
	s_and_b64 s[4:5], s[22:23], exec
	;; [unrolled: 3-line block ×3, first 2 shown]
	s_or_b64 s[16:17], s[0:1], s[2:3]
	s_andn2_b64 exec, exec, s[18:19]
	s_cbranch_execz .LBB878_36
.LBB878_34:                             ; =>This Inner Loop Header: Depth=1
	flat_load_dword v68, v[64:65]
	flat_load_dword v69, v[54:55]
	s_andn2_b64 s[26:27], s[26:27], exec
	s_or_b64 s[22:23], s[22:23], exec
	s_or_b64 s[24:25], s[24:25], exec
	s_waitcnt vmcnt(0) lgkmcnt(0)
	v_cmp_ngt_f32_e64 s[2:3], v68, v69
	v_cmp_lt_f32_e64 s[0:1], v68, v69
	s_and_b64 s[2:3], s[2:3], s[28:29]
	v_cmp_nlg_f32_e64 s[4:5], v68, v69
	s_or_b64 s[2:3], s[0:1], s[2:3]
	s_and_saveexec_b64 s[30:31], s[4:5]
	s_cbranch_execz .LBB878_33
; %bb.35:                               ;   in Loop: Header=BB878_34 Depth=1
	v_lshl_add_u64 v[66:67], v[66:67], 0, -1
	v_cmp_eq_u64_e64 s[0:1], 0, v[66:67]
	s_andn2_b64 s[4:5], s[26:27], exec
	s_and_b64 s[26:27], s[2:3], exec
	s_or_b64 s[26:27], s[4:5], s[26:27]
	s_andn2_b64 s[4:5], s[24:25], exec
	s_and_b64 s[0:1], s[0:1], exec
	v_lshl_add_u64 v[54:55], v[54:55], 0, 4
	v_lshl_add_u64 v[64:65], v[64:65], 0, 4
	s_andn2_b64 s[22:23], s[22:23], exec
	s_or_b64 s[24:25], s[4:5], s[0:1]
                                        ; implicit-def: $sgpr28_sgpr29
	s_branch .LBB878_33
.LBB878_36:
	s_or_b64 exec, exec, s[18:19]
	s_and_saveexec_b64 s[0:1], s[20:21]
	s_xor_b64 s[0:1], exec, s[0:1]
; %bb.37:
	v_cndmask_b32_e64 v55, v23, v21, s[16:17]
	v_cndmask_b32_e64 v54, v22, v20, s[16:17]
	;; [unrolled: 1-line block ×4, first 2 shown]
	v_mov_b64_e32 v[22:23], v[54:55]
; %bb.38:
	s_or_b64 exec, exec, s[0:1]
	s_or_b64 exec, exec, s[10:11]
	s_and_saveexec_b64 s[10:11], vcc
	s_cbranch_execz .LBB878_8
.LBB878_39:
	v_mul_lo_u32 v64, v17, v6
	v_mul_lo_u32 v65, v16, v7
	v_mad_u64_u32 v[54:55], s[0:1], v16, v6, 0
	v_add3_u32 v55, v55, v65, v64
	v_mul_lo_u32 v66, v19, v6
	v_mul_lo_u32 v67, v18, v7
	v_mad_u64_u32 v[64:65], s[0:1], v18, v6, 0
	v_add3_u32 v65, v65, v67, v66
	v_lshl_add_u64 v[54:55], v[54:55], 2, v[8:9]
	v_lshl_add_u64 v[64:65], v[64:65], 2, v[8:9]
	s_mov_b64 s[18:19], 0
	v_mov_b64_e32 v[66:67], v[6:7]
                                        ; implicit-def: $sgpr16_sgpr17
                                        ; implicit-def: $sgpr20_sgpr21
                                        ; implicit-def: $sgpr24_sgpr25
                                        ; implicit-def: $sgpr22_sgpr23
                                        ; implicit-def: $sgpr26_sgpr27
                                        ; implicit-def: $sgpr28_sgpr29
	s_branch .LBB878_41
.LBB878_40:                             ;   in Loop: Header=BB878_41 Depth=1
	s_or_b64 exec, exec, s[30:31]
	s_and_b64 s[0:1], exec, s[24:25]
	s_or_b64 s[18:19], s[0:1], s[18:19]
	s_andn2_b64 s[0:1], s[28:29], exec
	s_and_b64 s[4:5], s[26:27], exec
	s_or_b64 s[28:29], s[0:1], s[4:5]
	s_andn2_b64 s[0:1], s[20:21], exec
	s_and_b64 s[4:5], s[22:23], exec
	;; [unrolled: 3-line block ×3, first 2 shown]
	s_or_b64 s[16:17], s[0:1], s[2:3]
	s_andn2_b64 exec, exec, s[18:19]
	s_cbranch_execz .LBB878_43
.LBB878_41:                             ; =>This Inner Loop Header: Depth=1
	flat_load_dword v68, v[64:65]
	flat_load_dword v69, v[54:55]
	s_andn2_b64 s[26:27], s[26:27], exec
	s_or_b64 s[22:23], s[22:23], exec
	s_or_b64 s[24:25], s[24:25], exec
	s_waitcnt vmcnt(0) lgkmcnt(0)
	v_cmp_ngt_f32_e64 s[2:3], v68, v69
	v_cmp_lt_f32_e64 s[0:1], v68, v69
	s_and_b64 s[2:3], s[2:3], s[28:29]
	v_cmp_nlg_f32_e64 s[4:5], v68, v69
	s_or_b64 s[2:3], s[0:1], s[2:3]
	s_and_saveexec_b64 s[30:31], s[4:5]
	s_cbranch_execz .LBB878_40
; %bb.42:                               ;   in Loop: Header=BB878_41 Depth=1
	v_lshl_add_u64 v[66:67], v[66:67], 0, -1
	v_cmp_eq_u64_e64 s[0:1], 0, v[66:67]
	s_andn2_b64 s[4:5], s[26:27], exec
	s_and_b64 s[26:27], s[2:3], exec
	s_or_b64 s[26:27], s[4:5], s[26:27]
	s_andn2_b64 s[4:5], s[24:25], exec
	s_and_b64 s[0:1], s[0:1], exec
	v_lshl_add_u64 v[54:55], v[54:55], 0, 4
	v_lshl_add_u64 v[64:65], v[64:65], 0, 4
	s_andn2_b64 s[22:23], s[22:23], exec
	s_or_b64 s[24:25], s[4:5], s[0:1]
                                        ; implicit-def: $sgpr28_sgpr29
	s_branch .LBB878_40
.LBB878_43:
	s_or_b64 exec, exec, s[18:19]
	s_and_saveexec_b64 s[0:1], s[20:21]
	s_xor_b64 s[0:1], exec, s[0:1]
; %bb.44:
	v_cndmask_b32_e64 v55, v17, v19, s[16:17]
	v_cndmask_b32_e64 v54, v16, v18, s[16:17]
	;; [unrolled: 1-line block ×4, first 2 shown]
	v_mov_b64_e32 v[16:17], v[54:55]
; %bb.45:
	s_or_b64 exec, exec, s[0:1]
	s_or_b64 exec, exec, s[10:11]
	s_and_saveexec_b64 s[10:11], vcc
	s_cbranch_execz .LBB878_9
.LBB878_46:
	v_mul_lo_u32 v64, v13, v6
	v_mul_lo_u32 v65, v12, v7
	v_mad_u64_u32 v[54:55], s[0:1], v12, v6, 0
	v_add3_u32 v55, v55, v65, v64
	v_mul_lo_u32 v66, v15, v6
	v_mul_lo_u32 v67, v14, v7
	v_mad_u64_u32 v[64:65], s[0:1], v14, v6, 0
	v_add3_u32 v65, v65, v67, v66
	v_lshl_add_u64 v[54:55], v[54:55], 2, v[8:9]
	v_lshl_add_u64 v[64:65], v[64:65], 2, v[8:9]
	s_mov_b64 s[18:19], 0
	v_mov_b64_e32 v[66:67], v[6:7]
                                        ; implicit-def: $sgpr16_sgpr17
                                        ; implicit-def: $sgpr20_sgpr21
                                        ; implicit-def: $sgpr24_sgpr25
                                        ; implicit-def: $sgpr22_sgpr23
                                        ; implicit-def: $sgpr26_sgpr27
                                        ; implicit-def: $sgpr28_sgpr29
	s_branch .LBB878_48
.LBB878_47:                             ;   in Loop: Header=BB878_48 Depth=1
	s_or_b64 exec, exec, s[30:31]
	s_and_b64 s[0:1], exec, s[24:25]
	s_or_b64 s[18:19], s[0:1], s[18:19]
	s_andn2_b64 s[0:1], s[28:29], exec
	s_and_b64 s[4:5], s[26:27], exec
	s_or_b64 s[28:29], s[0:1], s[4:5]
	s_andn2_b64 s[0:1], s[20:21], exec
	s_and_b64 s[4:5], s[22:23], exec
	;; [unrolled: 3-line block ×3, first 2 shown]
	s_or_b64 s[16:17], s[0:1], s[2:3]
	s_andn2_b64 exec, exec, s[18:19]
	s_cbranch_execz .LBB878_50
.LBB878_48:                             ; =>This Inner Loop Header: Depth=1
	flat_load_dword v68, v[64:65]
	flat_load_dword v69, v[54:55]
	s_andn2_b64 s[26:27], s[26:27], exec
	s_or_b64 s[22:23], s[22:23], exec
	s_or_b64 s[24:25], s[24:25], exec
	s_waitcnt vmcnt(0) lgkmcnt(0)
	v_cmp_ngt_f32_e64 s[2:3], v68, v69
	v_cmp_lt_f32_e64 s[0:1], v68, v69
	s_and_b64 s[2:3], s[2:3], s[28:29]
	v_cmp_nlg_f32_e64 s[4:5], v68, v69
	s_or_b64 s[2:3], s[0:1], s[2:3]
	s_and_saveexec_b64 s[30:31], s[4:5]
	s_cbranch_execz .LBB878_47
; %bb.49:                               ;   in Loop: Header=BB878_48 Depth=1
	v_lshl_add_u64 v[66:67], v[66:67], 0, -1
	v_cmp_eq_u64_e64 s[0:1], 0, v[66:67]
	s_andn2_b64 s[4:5], s[26:27], exec
	s_and_b64 s[26:27], s[2:3], exec
	s_or_b64 s[26:27], s[4:5], s[26:27]
	s_andn2_b64 s[4:5], s[24:25], exec
	s_and_b64 s[0:1], s[0:1], exec
	v_lshl_add_u64 v[54:55], v[54:55], 0, 4
	v_lshl_add_u64 v[64:65], v[64:65], 0, 4
	s_andn2_b64 s[22:23], s[22:23], exec
	s_or_b64 s[24:25], s[4:5], s[0:1]
                                        ; implicit-def: $sgpr28_sgpr29
	s_branch .LBB878_47
.LBB878_50:
	s_or_b64 exec, exec, s[18:19]
	s_and_saveexec_b64 s[0:1], s[20:21]
	s_xor_b64 s[0:1], exec, s[0:1]
; %bb.51:
	v_cndmask_b32_e64 v55, v13, v15, s[16:17]
	v_cndmask_b32_e64 v54, v12, v14, s[16:17]
	;; [unrolled: 1-line block ×4, first 2 shown]
	v_mov_b64_e32 v[12:13], v[54:55]
; %bb.52:
	s_or_b64 exec, exec, s[0:1]
	s_or_b64 exec, exec, s[10:11]
	s_and_saveexec_b64 s[10:11], vcc
	s_cbranch_execz .LBB878_10
.LBB878_53:
	v_mul_lo_u32 v64, v1, v6
	v_mul_lo_u32 v65, v0, v7
	v_mad_u64_u32 v[54:55], s[0:1], v0, v6, 0
	v_add3_u32 v55, v55, v65, v64
	v_mul_lo_u32 v66, v3, v6
	v_mul_lo_u32 v67, v2, v7
	v_mad_u64_u32 v[64:65], s[0:1], v2, v6, 0
	v_add3_u32 v65, v65, v67, v66
	v_lshl_add_u64 v[54:55], v[54:55], 2, v[8:9]
	v_lshl_add_u64 v[64:65], v[64:65], 2, v[8:9]
	s_mov_b64 s[18:19], 0
	v_mov_b64_e32 v[66:67], v[6:7]
                                        ; implicit-def: $sgpr16_sgpr17
                                        ; implicit-def: $sgpr20_sgpr21
                                        ; implicit-def: $sgpr24_sgpr25
                                        ; implicit-def: $sgpr22_sgpr23
                                        ; implicit-def: $sgpr26_sgpr27
                                        ; implicit-def: $sgpr28_sgpr29
	s_branch .LBB878_55
.LBB878_54:                             ;   in Loop: Header=BB878_55 Depth=1
	s_or_b64 exec, exec, s[30:31]
	s_and_b64 s[0:1], exec, s[24:25]
	s_or_b64 s[18:19], s[0:1], s[18:19]
	s_andn2_b64 s[0:1], s[28:29], exec
	s_and_b64 s[4:5], s[26:27], exec
	s_or_b64 s[28:29], s[0:1], s[4:5]
	s_andn2_b64 s[0:1], s[20:21], exec
	s_and_b64 s[4:5], s[22:23], exec
	;; [unrolled: 3-line block ×3, first 2 shown]
	s_or_b64 s[16:17], s[0:1], s[2:3]
	s_andn2_b64 exec, exec, s[18:19]
	s_cbranch_execz .LBB878_57
.LBB878_55:                             ; =>This Inner Loop Header: Depth=1
	flat_load_dword v68, v[64:65]
	flat_load_dword v69, v[54:55]
	s_andn2_b64 s[26:27], s[26:27], exec
	s_or_b64 s[22:23], s[22:23], exec
	s_or_b64 s[24:25], s[24:25], exec
	s_waitcnt vmcnt(0) lgkmcnt(0)
	v_cmp_ngt_f32_e64 s[2:3], v68, v69
	v_cmp_lt_f32_e64 s[0:1], v68, v69
	s_and_b64 s[2:3], s[2:3], s[28:29]
	v_cmp_nlg_f32_e64 s[4:5], v68, v69
	s_or_b64 s[2:3], s[0:1], s[2:3]
	s_and_saveexec_b64 s[30:31], s[4:5]
	s_cbranch_execz .LBB878_54
; %bb.56:                               ;   in Loop: Header=BB878_55 Depth=1
	v_lshl_add_u64 v[66:67], v[66:67], 0, -1
	v_cmp_eq_u64_e64 s[0:1], 0, v[66:67]
	s_andn2_b64 s[4:5], s[26:27], exec
	s_and_b64 s[26:27], s[2:3], exec
	s_or_b64 s[26:27], s[4:5], s[26:27]
	s_andn2_b64 s[4:5], s[24:25], exec
	s_and_b64 s[0:1], s[0:1], exec
	v_lshl_add_u64 v[54:55], v[54:55], 0, 4
	v_lshl_add_u64 v[64:65], v[64:65], 0, 4
	s_andn2_b64 s[22:23], s[22:23], exec
	s_or_b64 s[24:25], s[4:5], s[0:1]
                                        ; implicit-def: $sgpr28_sgpr29
	s_branch .LBB878_54
.LBB878_57:
	s_or_b64 exec, exec, s[18:19]
	s_and_saveexec_b64 s[0:1], s[20:21]
	s_xor_b64 s[0:1], exec, s[0:1]
; %bb.58:
	v_cndmask_b32_e64 v55, v1, v3, s[16:17]
	v_cndmask_b32_e64 v54, v0, v2, s[16:17]
	;; [unrolled: 1-line block ×4, first 2 shown]
	v_mov_b64_e32 v[0:1], v[54:55]
; %bb.59:
	s_or_b64 exec, exec, s[0:1]
	s_or_b64 exec, exec, s[10:11]
	s_and_saveexec_b64 s[0:1], vcc
	s_xor_b64 s[10:11], exec, s[0:1]
	s_cbranch_execz .LBB878_11
.LBB878_60:
	v_mul_lo_u32 v64, v23, v6
	v_mul_lo_u32 v65, v22, v7
	v_mad_u64_u32 v[54:55], s[0:1], v22, v6, 0
	v_add3_u32 v55, v55, v65, v64
	v_mul_lo_u32 v66, v17, v6
	v_mul_lo_u32 v67, v16, v7
	v_mad_u64_u32 v[64:65], s[0:1], v16, v6, 0
	v_add3_u32 v65, v65, v67, v66
	v_lshl_add_u64 v[54:55], v[54:55], 2, v[8:9]
	v_lshl_add_u64 v[64:65], v[64:65], 2, v[8:9]
	s_mov_b64 s[18:19], 0
	v_mov_b64_e32 v[66:67], v[6:7]
                                        ; implicit-def: $sgpr16_sgpr17
                                        ; implicit-def: $sgpr20_sgpr21
                                        ; implicit-def: $sgpr24_sgpr25
                                        ; implicit-def: $sgpr22_sgpr23
                                        ; implicit-def: $sgpr26_sgpr27
                                        ; implicit-def: $sgpr28_sgpr29
	s_branch .LBB878_62
.LBB878_61:                             ;   in Loop: Header=BB878_62 Depth=1
	s_or_b64 exec, exec, s[30:31]
	s_and_b64 s[0:1], exec, s[24:25]
	s_or_b64 s[18:19], s[0:1], s[18:19]
	s_andn2_b64 s[0:1], s[28:29], exec
	s_and_b64 s[4:5], s[26:27], exec
	s_or_b64 s[28:29], s[0:1], s[4:5]
	s_andn2_b64 s[0:1], s[20:21], exec
	s_and_b64 s[4:5], s[22:23], exec
	;; [unrolled: 3-line block ×3, first 2 shown]
	s_or_b64 s[16:17], s[0:1], s[2:3]
	s_andn2_b64 exec, exec, s[18:19]
	s_cbranch_execz .LBB878_64
.LBB878_62:                             ; =>This Inner Loop Header: Depth=1
	flat_load_dword v68, v[64:65]
	flat_load_dword v69, v[54:55]
	s_andn2_b64 s[26:27], s[26:27], exec
	s_or_b64 s[22:23], s[22:23], exec
	s_or_b64 s[24:25], s[24:25], exec
	s_waitcnt vmcnt(0) lgkmcnt(0)
	v_cmp_ngt_f32_e64 s[2:3], v68, v69
	v_cmp_lt_f32_e64 s[0:1], v68, v69
	s_and_b64 s[2:3], s[2:3], s[28:29]
	v_cmp_nlg_f32_e64 s[4:5], v68, v69
	s_or_b64 s[2:3], s[0:1], s[2:3]
	s_and_saveexec_b64 s[30:31], s[4:5]
	s_cbranch_execz .LBB878_61
; %bb.63:                               ;   in Loop: Header=BB878_62 Depth=1
	v_lshl_add_u64 v[66:67], v[66:67], 0, -1
	v_cmp_eq_u64_e64 s[0:1], 0, v[66:67]
	s_andn2_b64 s[4:5], s[26:27], exec
	s_and_b64 s[26:27], s[2:3], exec
	s_or_b64 s[26:27], s[4:5], s[26:27]
	s_andn2_b64 s[4:5], s[24:25], exec
	s_and_b64 s[0:1], s[0:1], exec
	v_lshl_add_u64 v[54:55], v[54:55], 0, 4
	v_lshl_add_u64 v[64:65], v[64:65], 0, 4
	s_andn2_b64 s[22:23], s[22:23], exec
	s_or_b64 s[24:25], s[4:5], s[0:1]
                                        ; implicit-def: $sgpr28_sgpr29
	s_branch .LBB878_61
.LBB878_64:
	s_or_b64 exec, exec, s[18:19]
	s_and_saveexec_b64 s[0:1], s[20:21]
	s_xor_b64 s[0:1], exec, s[0:1]
; %bb.65:
	v_cndmask_b32_e64 v55, v23, v17, s[16:17]
	v_cndmask_b32_e64 v54, v22, v16, s[16:17]
	;; [unrolled: 1-line block ×4, first 2 shown]
	v_mov_b64_e32 v[22:23], v[54:55]
; %bb.66:
	s_or_b64 exec, exec, s[0:1]
	s_or_b64 exec, exec, s[10:11]
	s_and_saveexec_b64 s[10:11], vcc
	s_cbranch_execz .LBB878_12
.LBB878_67:
	v_mul_lo_u32 v64, v19, v6
	v_mul_lo_u32 v65, v18, v7
	v_mad_u64_u32 v[54:55], s[0:1], v18, v6, 0
	v_add3_u32 v55, v55, v65, v64
	v_mul_lo_u32 v66, v13, v6
	v_mul_lo_u32 v67, v12, v7
	v_mad_u64_u32 v[64:65], s[0:1], v12, v6, 0
	v_add3_u32 v65, v65, v67, v66
	v_lshl_add_u64 v[54:55], v[54:55], 2, v[8:9]
	v_lshl_add_u64 v[64:65], v[64:65], 2, v[8:9]
	s_mov_b64 s[18:19], 0
	v_mov_b64_e32 v[66:67], v[6:7]
                                        ; implicit-def: $sgpr16_sgpr17
                                        ; implicit-def: $sgpr20_sgpr21
                                        ; implicit-def: $sgpr24_sgpr25
                                        ; implicit-def: $sgpr22_sgpr23
                                        ; implicit-def: $sgpr26_sgpr27
                                        ; implicit-def: $sgpr28_sgpr29
	s_branch .LBB878_69
.LBB878_68:                             ;   in Loop: Header=BB878_69 Depth=1
	s_or_b64 exec, exec, s[30:31]
	s_and_b64 s[0:1], exec, s[24:25]
	s_or_b64 s[18:19], s[0:1], s[18:19]
	s_andn2_b64 s[0:1], s[28:29], exec
	s_and_b64 s[4:5], s[26:27], exec
	s_or_b64 s[28:29], s[0:1], s[4:5]
	s_andn2_b64 s[0:1], s[20:21], exec
	s_and_b64 s[4:5], s[22:23], exec
	;; [unrolled: 3-line block ×3, first 2 shown]
	s_or_b64 s[16:17], s[0:1], s[2:3]
	s_andn2_b64 exec, exec, s[18:19]
	s_cbranch_execz .LBB878_71
.LBB878_69:                             ; =>This Inner Loop Header: Depth=1
	flat_load_dword v68, v[64:65]
	flat_load_dword v69, v[54:55]
	s_andn2_b64 s[26:27], s[26:27], exec
	s_or_b64 s[22:23], s[22:23], exec
	s_or_b64 s[24:25], s[24:25], exec
	s_waitcnt vmcnt(0) lgkmcnt(0)
	v_cmp_ngt_f32_e64 s[2:3], v68, v69
	v_cmp_lt_f32_e64 s[0:1], v68, v69
	s_and_b64 s[2:3], s[2:3], s[28:29]
	v_cmp_nlg_f32_e64 s[4:5], v68, v69
	s_or_b64 s[2:3], s[0:1], s[2:3]
	s_and_saveexec_b64 s[30:31], s[4:5]
	s_cbranch_execz .LBB878_68
; %bb.70:                               ;   in Loop: Header=BB878_69 Depth=1
	v_lshl_add_u64 v[66:67], v[66:67], 0, -1
	v_cmp_eq_u64_e64 s[0:1], 0, v[66:67]
	s_andn2_b64 s[4:5], s[26:27], exec
	s_and_b64 s[26:27], s[2:3], exec
	s_or_b64 s[26:27], s[4:5], s[26:27]
	s_andn2_b64 s[4:5], s[24:25], exec
	s_and_b64 s[0:1], s[0:1], exec
	v_lshl_add_u64 v[54:55], v[54:55], 0, 4
	v_lshl_add_u64 v[64:65], v[64:65], 0, 4
	s_andn2_b64 s[22:23], s[22:23], exec
	s_or_b64 s[24:25], s[4:5], s[0:1]
                                        ; implicit-def: $sgpr28_sgpr29
	s_branch .LBB878_68
.LBB878_71:
	s_or_b64 exec, exec, s[18:19]
	s_and_saveexec_b64 s[0:1], s[20:21]
	s_xor_b64 s[0:1], exec, s[0:1]
; %bb.72:
	v_cndmask_b32_e64 v55, v19, v13, s[16:17]
	v_cndmask_b32_e64 v54, v18, v12, s[16:17]
	v_cndmask_b32_e64 v13, v13, v19, s[16:17]
	v_cndmask_b32_e64 v12, v12, v18, s[16:17]
	v_mov_b64_e32 v[18:19], v[54:55]
; %bb.73:
	s_or_b64 exec, exec, s[0:1]
	s_or_b64 exec, exec, s[10:11]
	s_and_saveexec_b64 s[10:11], vcc
	s_cbranch_execz .LBB878_13
.LBB878_74:
	v_mul_lo_u32 v64, v15, v6
	v_mul_lo_u32 v65, v14, v7
	v_mad_u64_u32 v[54:55], s[0:1], v14, v6, 0
	v_add3_u32 v55, v55, v65, v64
	v_mul_lo_u32 v66, v1, v6
	v_mul_lo_u32 v67, v0, v7
	v_mad_u64_u32 v[64:65], s[0:1], v0, v6, 0
	v_add3_u32 v65, v65, v67, v66
	v_lshl_add_u64 v[54:55], v[54:55], 2, v[8:9]
	v_lshl_add_u64 v[64:65], v[64:65], 2, v[8:9]
	s_mov_b64 s[18:19], 0
	v_mov_b64_e32 v[66:67], v[6:7]
                                        ; implicit-def: $sgpr16_sgpr17
                                        ; implicit-def: $sgpr20_sgpr21
                                        ; implicit-def: $sgpr24_sgpr25
                                        ; implicit-def: $sgpr22_sgpr23
                                        ; implicit-def: $sgpr26_sgpr27
                                        ; implicit-def: $sgpr28_sgpr29
	s_branch .LBB878_76
.LBB878_75:                             ;   in Loop: Header=BB878_76 Depth=1
	s_or_b64 exec, exec, s[30:31]
	s_and_b64 s[0:1], exec, s[24:25]
	s_or_b64 s[18:19], s[0:1], s[18:19]
	s_andn2_b64 s[0:1], s[28:29], exec
	s_and_b64 s[4:5], s[26:27], exec
	s_or_b64 s[28:29], s[0:1], s[4:5]
	s_andn2_b64 s[0:1], s[20:21], exec
	s_and_b64 s[4:5], s[22:23], exec
	;; [unrolled: 3-line block ×3, first 2 shown]
	s_or_b64 s[16:17], s[0:1], s[2:3]
	s_andn2_b64 exec, exec, s[18:19]
	s_cbranch_execz .LBB878_78
.LBB878_76:                             ; =>This Inner Loop Header: Depth=1
	flat_load_dword v68, v[64:65]
	flat_load_dword v69, v[54:55]
	s_andn2_b64 s[26:27], s[26:27], exec
	s_or_b64 s[22:23], s[22:23], exec
	s_or_b64 s[24:25], s[24:25], exec
	s_waitcnt vmcnt(0) lgkmcnt(0)
	v_cmp_ngt_f32_e64 s[2:3], v68, v69
	v_cmp_lt_f32_e64 s[0:1], v68, v69
	s_and_b64 s[2:3], s[2:3], s[28:29]
	v_cmp_nlg_f32_e64 s[4:5], v68, v69
	s_or_b64 s[2:3], s[0:1], s[2:3]
	s_and_saveexec_b64 s[30:31], s[4:5]
	s_cbranch_execz .LBB878_75
; %bb.77:                               ;   in Loop: Header=BB878_76 Depth=1
	v_lshl_add_u64 v[66:67], v[66:67], 0, -1
	v_cmp_eq_u64_e64 s[0:1], 0, v[66:67]
	s_andn2_b64 s[4:5], s[26:27], exec
	s_and_b64 s[26:27], s[2:3], exec
	s_or_b64 s[26:27], s[4:5], s[26:27]
	s_andn2_b64 s[4:5], s[24:25], exec
	s_and_b64 s[0:1], s[0:1], exec
	v_lshl_add_u64 v[54:55], v[54:55], 0, 4
	v_lshl_add_u64 v[64:65], v[64:65], 0, 4
	s_andn2_b64 s[22:23], s[22:23], exec
	s_or_b64 s[24:25], s[4:5], s[0:1]
                                        ; implicit-def: $sgpr28_sgpr29
	s_branch .LBB878_75
.LBB878_78:
	s_or_b64 exec, exec, s[18:19]
	s_and_saveexec_b64 s[0:1], s[20:21]
	s_xor_b64 s[0:1], exec, s[0:1]
; %bb.79:
	v_cndmask_b32_e64 v55, v15, v1, s[16:17]
	v_cndmask_b32_e64 v54, v14, v0, s[16:17]
	;; [unrolled: 1-line block ×4, first 2 shown]
	v_mov_b64_e32 v[14:15], v[54:55]
; %bb.80:
	s_or_b64 exec, exec, s[0:1]
	s_or_b64 exec, exec, s[10:11]
	s_and_saveexec_b64 s[10:11], vcc
	s_cbranch_execz .LBB878_14
.LBB878_81:
	v_mul_lo_u32 v64, v21, v6
	v_mul_lo_u32 v65, v20, v7
	v_mad_u64_u32 v[54:55], s[0:1], v20, v6, 0
	v_add3_u32 v55, v55, v65, v64
	v_mul_lo_u32 v66, v23, v6
	v_mul_lo_u32 v67, v22, v7
	v_mad_u64_u32 v[64:65], s[0:1], v22, v6, 0
	v_add3_u32 v65, v65, v67, v66
	v_lshl_add_u64 v[54:55], v[54:55], 2, v[8:9]
	v_lshl_add_u64 v[64:65], v[64:65], 2, v[8:9]
	s_mov_b64 s[18:19], 0
	v_mov_b64_e32 v[66:67], v[6:7]
                                        ; implicit-def: $sgpr16_sgpr17
                                        ; implicit-def: $sgpr20_sgpr21
                                        ; implicit-def: $sgpr24_sgpr25
                                        ; implicit-def: $sgpr22_sgpr23
                                        ; implicit-def: $sgpr26_sgpr27
                                        ; implicit-def: $sgpr28_sgpr29
	s_branch .LBB878_83
.LBB878_82:                             ;   in Loop: Header=BB878_83 Depth=1
	s_or_b64 exec, exec, s[30:31]
	s_and_b64 s[0:1], exec, s[24:25]
	s_or_b64 s[18:19], s[0:1], s[18:19]
	s_andn2_b64 s[0:1], s[28:29], exec
	s_and_b64 s[4:5], s[26:27], exec
	s_or_b64 s[28:29], s[0:1], s[4:5]
	s_andn2_b64 s[0:1], s[20:21], exec
	s_and_b64 s[4:5], s[22:23], exec
	;; [unrolled: 3-line block ×3, first 2 shown]
	s_or_b64 s[16:17], s[0:1], s[2:3]
	s_andn2_b64 exec, exec, s[18:19]
	s_cbranch_execz .LBB878_85
.LBB878_83:                             ; =>This Inner Loop Header: Depth=1
	flat_load_dword v68, v[64:65]
	flat_load_dword v69, v[54:55]
	s_andn2_b64 s[26:27], s[26:27], exec
	s_or_b64 s[22:23], s[22:23], exec
	s_or_b64 s[24:25], s[24:25], exec
	s_waitcnt vmcnt(0) lgkmcnt(0)
	v_cmp_ngt_f32_e64 s[2:3], v68, v69
	v_cmp_lt_f32_e64 s[0:1], v68, v69
	s_and_b64 s[2:3], s[2:3], s[28:29]
	v_cmp_nlg_f32_e64 s[4:5], v68, v69
	s_or_b64 s[2:3], s[0:1], s[2:3]
	s_and_saveexec_b64 s[30:31], s[4:5]
	s_cbranch_execz .LBB878_82
; %bb.84:                               ;   in Loop: Header=BB878_83 Depth=1
	v_lshl_add_u64 v[66:67], v[66:67], 0, -1
	v_cmp_eq_u64_e64 s[0:1], 0, v[66:67]
	s_andn2_b64 s[4:5], s[26:27], exec
	s_and_b64 s[26:27], s[2:3], exec
	s_or_b64 s[26:27], s[4:5], s[26:27]
	s_andn2_b64 s[4:5], s[24:25], exec
	s_and_b64 s[0:1], s[0:1], exec
	v_lshl_add_u64 v[54:55], v[54:55], 0, 4
	v_lshl_add_u64 v[64:65], v[64:65], 0, 4
	s_andn2_b64 s[22:23], s[22:23], exec
	s_or_b64 s[24:25], s[4:5], s[0:1]
                                        ; implicit-def: $sgpr28_sgpr29
	s_branch .LBB878_82
.LBB878_85:
	s_or_b64 exec, exec, s[18:19]
	s_and_saveexec_b64 s[0:1], s[20:21]
	s_xor_b64 s[0:1], exec, s[0:1]
; %bb.86:
	v_cndmask_b32_e64 v55, v23, v21, s[16:17]
	v_cndmask_b32_e64 v54, v22, v20, s[16:17]
	;; [unrolled: 1-line block ×4, first 2 shown]
	v_mov_b64_e32 v[22:23], v[54:55]
; %bb.87:
	s_or_b64 exec, exec, s[0:1]
	s_or_b64 exec, exec, s[10:11]
	s_and_saveexec_b64 s[10:11], vcc
	s_cbranch_execz .LBB878_15
.LBB878_88:
	v_mul_lo_u32 v64, v17, v6
	v_mul_lo_u32 v65, v16, v7
	v_mad_u64_u32 v[54:55], s[0:1], v16, v6, 0
	v_add3_u32 v55, v55, v65, v64
	v_mul_lo_u32 v66, v19, v6
	v_mul_lo_u32 v67, v18, v7
	v_mad_u64_u32 v[64:65], s[0:1], v18, v6, 0
	v_add3_u32 v65, v65, v67, v66
	v_lshl_add_u64 v[54:55], v[54:55], 2, v[8:9]
	v_lshl_add_u64 v[64:65], v[64:65], 2, v[8:9]
	s_mov_b64 s[18:19], 0
	v_mov_b64_e32 v[66:67], v[6:7]
                                        ; implicit-def: $sgpr16_sgpr17
                                        ; implicit-def: $sgpr20_sgpr21
                                        ; implicit-def: $sgpr24_sgpr25
                                        ; implicit-def: $sgpr22_sgpr23
                                        ; implicit-def: $sgpr26_sgpr27
                                        ; implicit-def: $sgpr28_sgpr29
	s_branch .LBB878_90
.LBB878_89:                             ;   in Loop: Header=BB878_90 Depth=1
	s_or_b64 exec, exec, s[30:31]
	s_and_b64 s[0:1], exec, s[24:25]
	s_or_b64 s[18:19], s[0:1], s[18:19]
	s_andn2_b64 s[0:1], s[28:29], exec
	s_and_b64 s[4:5], s[26:27], exec
	s_or_b64 s[28:29], s[0:1], s[4:5]
	s_andn2_b64 s[0:1], s[20:21], exec
	s_and_b64 s[4:5], s[22:23], exec
	;; [unrolled: 3-line block ×3, first 2 shown]
	s_or_b64 s[16:17], s[0:1], s[2:3]
	s_andn2_b64 exec, exec, s[18:19]
	s_cbranch_execz .LBB878_92
.LBB878_90:                             ; =>This Inner Loop Header: Depth=1
	flat_load_dword v68, v[64:65]
	flat_load_dword v69, v[54:55]
	s_andn2_b64 s[26:27], s[26:27], exec
	s_or_b64 s[22:23], s[22:23], exec
	s_or_b64 s[24:25], s[24:25], exec
	s_waitcnt vmcnt(0) lgkmcnt(0)
	v_cmp_ngt_f32_e64 s[2:3], v68, v69
	v_cmp_lt_f32_e64 s[0:1], v68, v69
	s_and_b64 s[2:3], s[2:3], s[28:29]
	v_cmp_nlg_f32_e64 s[4:5], v68, v69
	s_or_b64 s[2:3], s[0:1], s[2:3]
	s_and_saveexec_b64 s[30:31], s[4:5]
	s_cbranch_execz .LBB878_89
; %bb.91:                               ;   in Loop: Header=BB878_90 Depth=1
	v_lshl_add_u64 v[66:67], v[66:67], 0, -1
	v_cmp_eq_u64_e64 s[0:1], 0, v[66:67]
	s_andn2_b64 s[4:5], s[26:27], exec
	s_and_b64 s[26:27], s[2:3], exec
	s_or_b64 s[26:27], s[4:5], s[26:27]
	s_andn2_b64 s[4:5], s[24:25], exec
	s_and_b64 s[0:1], s[0:1], exec
	v_lshl_add_u64 v[54:55], v[54:55], 0, 4
	v_lshl_add_u64 v[64:65], v[64:65], 0, 4
	s_andn2_b64 s[22:23], s[22:23], exec
	s_or_b64 s[24:25], s[4:5], s[0:1]
                                        ; implicit-def: $sgpr28_sgpr29
	s_branch .LBB878_89
.LBB878_92:
	s_or_b64 exec, exec, s[18:19]
	s_and_saveexec_b64 s[0:1], s[20:21]
	s_xor_b64 s[0:1], exec, s[0:1]
; %bb.93:
	v_cndmask_b32_e64 v55, v17, v19, s[16:17]
	v_cndmask_b32_e64 v54, v16, v18, s[16:17]
	;; [unrolled: 1-line block ×4, first 2 shown]
	v_mov_b64_e32 v[16:17], v[54:55]
; %bb.94:
	s_or_b64 exec, exec, s[0:1]
	s_or_b64 exec, exec, s[10:11]
	s_and_saveexec_b64 s[10:11], vcc
	s_cbranch_execz .LBB878_16
.LBB878_95:
	v_mul_lo_u32 v64, v13, v6
	v_mul_lo_u32 v65, v12, v7
	v_mad_u64_u32 v[54:55], s[0:1], v12, v6, 0
	v_add3_u32 v55, v55, v65, v64
	v_mul_lo_u32 v66, v15, v6
	v_mul_lo_u32 v67, v14, v7
	v_mad_u64_u32 v[64:65], s[0:1], v14, v6, 0
	v_add3_u32 v65, v65, v67, v66
	v_lshl_add_u64 v[54:55], v[54:55], 2, v[8:9]
	v_lshl_add_u64 v[64:65], v[64:65], 2, v[8:9]
	s_mov_b64 s[18:19], 0
	v_mov_b64_e32 v[66:67], v[6:7]
                                        ; implicit-def: $sgpr16_sgpr17
                                        ; implicit-def: $sgpr20_sgpr21
                                        ; implicit-def: $sgpr24_sgpr25
                                        ; implicit-def: $sgpr22_sgpr23
                                        ; implicit-def: $sgpr26_sgpr27
                                        ; implicit-def: $sgpr28_sgpr29
	s_branch .LBB878_97
.LBB878_96:                             ;   in Loop: Header=BB878_97 Depth=1
	s_or_b64 exec, exec, s[30:31]
	s_and_b64 s[0:1], exec, s[24:25]
	s_or_b64 s[18:19], s[0:1], s[18:19]
	s_andn2_b64 s[0:1], s[28:29], exec
	s_and_b64 s[4:5], s[26:27], exec
	s_or_b64 s[28:29], s[0:1], s[4:5]
	s_andn2_b64 s[0:1], s[20:21], exec
	s_and_b64 s[4:5], s[22:23], exec
	;; [unrolled: 3-line block ×3, first 2 shown]
	s_or_b64 s[16:17], s[0:1], s[2:3]
	s_andn2_b64 exec, exec, s[18:19]
	s_cbranch_execz .LBB878_99
.LBB878_97:                             ; =>This Inner Loop Header: Depth=1
	flat_load_dword v68, v[64:65]
	flat_load_dword v69, v[54:55]
	s_andn2_b64 s[26:27], s[26:27], exec
	s_or_b64 s[22:23], s[22:23], exec
	s_or_b64 s[24:25], s[24:25], exec
	s_waitcnt vmcnt(0) lgkmcnt(0)
	v_cmp_ngt_f32_e64 s[2:3], v68, v69
	v_cmp_lt_f32_e64 s[0:1], v68, v69
	s_and_b64 s[2:3], s[2:3], s[28:29]
	v_cmp_nlg_f32_e64 s[4:5], v68, v69
	s_or_b64 s[2:3], s[0:1], s[2:3]
	s_and_saveexec_b64 s[30:31], s[4:5]
	s_cbranch_execz .LBB878_96
; %bb.98:                               ;   in Loop: Header=BB878_97 Depth=1
	v_lshl_add_u64 v[66:67], v[66:67], 0, -1
	v_cmp_eq_u64_e64 s[0:1], 0, v[66:67]
	s_andn2_b64 s[4:5], s[26:27], exec
	s_and_b64 s[26:27], s[2:3], exec
	s_or_b64 s[26:27], s[4:5], s[26:27]
	s_andn2_b64 s[4:5], s[24:25], exec
	s_and_b64 s[0:1], s[0:1], exec
	v_lshl_add_u64 v[54:55], v[54:55], 0, 4
	v_lshl_add_u64 v[64:65], v[64:65], 0, 4
	s_andn2_b64 s[22:23], s[22:23], exec
	s_or_b64 s[24:25], s[4:5], s[0:1]
                                        ; implicit-def: $sgpr28_sgpr29
	s_branch .LBB878_96
.LBB878_99:
	s_or_b64 exec, exec, s[18:19]
	s_and_saveexec_b64 s[0:1], s[20:21]
	s_xor_b64 s[0:1], exec, s[0:1]
; %bb.100:
	v_cndmask_b32_e64 v55, v13, v15, s[16:17]
	v_cndmask_b32_e64 v54, v12, v14, s[16:17]
	;; [unrolled: 1-line block ×4, first 2 shown]
	v_mov_b64_e32 v[12:13], v[54:55]
; %bb.101:
	s_or_b64 exec, exec, s[0:1]
	s_or_b64 exec, exec, s[10:11]
	s_and_saveexec_b64 s[10:11], vcc
	s_cbranch_execz .LBB878_17
.LBB878_102:
	v_mul_lo_u32 v64, v1, v6
	v_mul_lo_u32 v65, v0, v7
	v_mad_u64_u32 v[54:55], s[0:1], v0, v6, 0
	v_add3_u32 v55, v55, v65, v64
	v_mul_lo_u32 v66, v3, v6
	v_mul_lo_u32 v67, v2, v7
	v_mad_u64_u32 v[64:65], s[0:1], v2, v6, 0
	v_add3_u32 v65, v65, v67, v66
	v_lshl_add_u64 v[54:55], v[54:55], 2, v[8:9]
	v_lshl_add_u64 v[64:65], v[64:65], 2, v[8:9]
	s_mov_b64 s[18:19], 0
	v_mov_b64_e32 v[66:67], v[6:7]
                                        ; implicit-def: $sgpr16_sgpr17
                                        ; implicit-def: $sgpr20_sgpr21
                                        ; implicit-def: $sgpr24_sgpr25
                                        ; implicit-def: $sgpr22_sgpr23
                                        ; implicit-def: $sgpr26_sgpr27
                                        ; implicit-def: $sgpr28_sgpr29
	s_branch .LBB878_104
.LBB878_103:                            ;   in Loop: Header=BB878_104 Depth=1
	s_or_b64 exec, exec, s[30:31]
	s_and_b64 s[0:1], exec, s[24:25]
	s_or_b64 s[18:19], s[0:1], s[18:19]
	s_andn2_b64 s[0:1], s[28:29], exec
	s_and_b64 s[4:5], s[26:27], exec
	s_or_b64 s[28:29], s[0:1], s[4:5]
	s_andn2_b64 s[0:1], s[20:21], exec
	s_and_b64 s[4:5], s[22:23], exec
	;; [unrolled: 3-line block ×3, first 2 shown]
	s_or_b64 s[16:17], s[0:1], s[2:3]
	s_andn2_b64 exec, exec, s[18:19]
	s_cbranch_execz .LBB878_106
.LBB878_104:                            ; =>This Inner Loop Header: Depth=1
	flat_load_dword v68, v[64:65]
	flat_load_dword v69, v[54:55]
	s_andn2_b64 s[26:27], s[26:27], exec
	s_or_b64 s[22:23], s[22:23], exec
	s_or_b64 s[24:25], s[24:25], exec
	s_waitcnt vmcnt(0) lgkmcnt(0)
	v_cmp_ngt_f32_e64 s[2:3], v68, v69
	v_cmp_lt_f32_e64 s[0:1], v68, v69
	s_and_b64 s[2:3], s[2:3], s[28:29]
	v_cmp_nlg_f32_e64 s[4:5], v68, v69
	s_or_b64 s[2:3], s[0:1], s[2:3]
	s_and_saveexec_b64 s[30:31], s[4:5]
	s_cbranch_execz .LBB878_103
; %bb.105:                              ;   in Loop: Header=BB878_104 Depth=1
	v_lshl_add_u64 v[66:67], v[66:67], 0, -1
	v_cmp_eq_u64_e64 s[0:1], 0, v[66:67]
	s_andn2_b64 s[4:5], s[26:27], exec
	s_and_b64 s[26:27], s[2:3], exec
	s_or_b64 s[26:27], s[4:5], s[26:27]
	s_andn2_b64 s[4:5], s[24:25], exec
	s_and_b64 s[0:1], s[0:1], exec
	v_lshl_add_u64 v[54:55], v[54:55], 0, 4
	v_lshl_add_u64 v[64:65], v[64:65], 0, 4
	s_andn2_b64 s[22:23], s[22:23], exec
	s_or_b64 s[24:25], s[4:5], s[0:1]
                                        ; implicit-def: $sgpr28_sgpr29
	s_branch .LBB878_103
.LBB878_106:
	s_or_b64 exec, exec, s[18:19]
	s_and_saveexec_b64 s[0:1], s[20:21]
	s_xor_b64 s[0:1], exec, s[0:1]
; %bb.107:
	v_cndmask_b32_e64 v55, v1, v3, s[16:17]
	v_cndmask_b32_e64 v54, v0, v2, s[16:17]
	;; [unrolled: 1-line block ×4, first 2 shown]
	v_mov_b64_e32 v[0:1], v[54:55]
; %bb.108:
	s_or_b64 exec, exec, s[0:1]
	s_or_b64 exec, exec, s[10:11]
	s_and_saveexec_b64 s[10:11], vcc
	s_cbranch_execz .LBB878_18
.LBB878_109:
	v_mul_lo_u32 v64, v23, v6
	v_mul_lo_u32 v65, v22, v7
	v_mad_u64_u32 v[54:55], s[0:1], v22, v6, 0
	v_add3_u32 v55, v55, v65, v64
	v_mul_lo_u32 v66, v17, v6
	v_mul_lo_u32 v67, v16, v7
	v_mad_u64_u32 v[64:65], s[0:1], v16, v6, 0
	v_add3_u32 v65, v65, v67, v66
	v_lshl_add_u64 v[54:55], v[54:55], 2, v[8:9]
	v_lshl_add_u64 v[64:65], v[64:65], 2, v[8:9]
	s_mov_b64 s[18:19], 0
	v_mov_b64_e32 v[66:67], v[6:7]
                                        ; implicit-def: $sgpr16_sgpr17
                                        ; implicit-def: $sgpr20_sgpr21
                                        ; implicit-def: $sgpr24_sgpr25
                                        ; implicit-def: $sgpr22_sgpr23
                                        ; implicit-def: $sgpr26_sgpr27
                                        ; implicit-def: $sgpr28_sgpr29
	s_branch .LBB878_111
.LBB878_110:                            ;   in Loop: Header=BB878_111 Depth=1
	s_or_b64 exec, exec, s[30:31]
	s_and_b64 s[0:1], exec, s[24:25]
	s_or_b64 s[18:19], s[0:1], s[18:19]
	s_andn2_b64 s[0:1], s[28:29], exec
	s_and_b64 s[4:5], s[26:27], exec
	s_or_b64 s[28:29], s[0:1], s[4:5]
	s_andn2_b64 s[0:1], s[20:21], exec
	s_and_b64 s[4:5], s[22:23], exec
	;; [unrolled: 3-line block ×3, first 2 shown]
	s_or_b64 s[16:17], s[0:1], s[2:3]
	s_andn2_b64 exec, exec, s[18:19]
	s_cbranch_execz .LBB878_113
.LBB878_111:                            ; =>This Inner Loop Header: Depth=1
	flat_load_dword v68, v[64:65]
	flat_load_dword v69, v[54:55]
	s_andn2_b64 s[26:27], s[26:27], exec
	s_or_b64 s[22:23], s[22:23], exec
	s_or_b64 s[24:25], s[24:25], exec
	s_waitcnt vmcnt(0) lgkmcnt(0)
	v_cmp_ngt_f32_e64 s[2:3], v68, v69
	v_cmp_lt_f32_e64 s[0:1], v68, v69
	s_and_b64 s[2:3], s[2:3], s[28:29]
	v_cmp_nlg_f32_e64 s[4:5], v68, v69
	s_or_b64 s[2:3], s[0:1], s[2:3]
	s_and_saveexec_b64 s[30:31], s[4:5]
	s_cbranch_execz .LBB878_110
; %bb.112:                              ;   in Loop: Header=BB878_111 Depth=1
	v_lshl_add_u64 v[66:67], v[66:67], 0, -1
	v_cmp_eq_u64_e64 s[0:1], 0, v[66:67]
	s_andn2_b64 s[4:5], s[26:27], exec
	s_and_b64 s[26:27], s[2:3], exec
	s_or_b64 s[26:27], s[4:5], s[26:27]
	s_andn2_b64 s[4:5], s[24:25], exec
	s_and_b64 s[0:1], s[0:1], exec
	v_lshl_add_u64 v[54:55], v[54:55], 0, 4
	v_lshl_add_u64 v[64:65], v[64:65], 0, 4
	s_andn2_b64 s[22:23], s[22:23], exec
	s_or_b64 s[24:25], s[4:5], s[0:1]
                                        ; implicit-def: $sgpr28_sgpr29
	s_branch .LBB878_110
.LBB878_113:
	s_or_b64 exec, exec, s[18:19]
	s_and_saveexec_b64 s[0:1], s[20:21]
	s_xor_b64 s[0:1], exec, s[0:1]
; %bb.114:
	v_cndmask_b32_e64 v55, v23, v17, s[16:17]
	v_cndmask_b32_e64 v54, v22, v16, s[16:17]
	;; [unrolled: 1-line block ×4, first 2 shown]
	v_mov_b64_e32 v[22:23], v[54:55]
; %bb.115:
	s_or_b64 exec, exec, s[0:1]
	s_or_b64 exec, exec, s[10:11]
	s_and_saveexec_b64 s[10:11], vcc
	s_cbranch_execz .LBB878_19
.LBB878_116:
	v_mul_lo_u32 v64, v19, v6
	v_mul_lo_u32 v65, v18, v7
	v_mad_u64_u32 v[54:55], s[0:1], v18, v6, 0
	v_add3_u32 v55, v55, v65, v64
	v_mul_lo_u32 v66, v13, v6
	v_mul_lo_u32 v67, v12, v7
	v_mad_u64_u32 v[64:65], s[0:1], v12, v6, 0
	v_add3_u32 v65, v65, v67, v66
	v_lshl_add_u64 v[54:55], v[54:55], 2, v[8:9]
	v_lshl_add_u64 v[64:65], v[64:65], 2, v[8:9]
	s_mov_b64 s[18:19], 0
	v_mov_b64_e32 v[66:67], v[6:7]
                                        ; implicit-def: $sgpr16_sgpr17
                                        ; implicit-def: $sgpr20_sgpr21
                                        ; implicit-def: $sgpr24_sgpr25
                                        ; implicit-def: $sgpr22_sgpr23
                                        ; implicit-def: $sgpr26_sgpr27
                                        ; implicit-def: $sgpr28_sgpr29
	s_branch .LBB878_118
.LBB878_117:                            ;   in Loop: Header=BB878_118 Depth=1
	s_or_b64 exec, exec, s[30:31]
	s_and_b64 s[0:1], exec, s[24:25]
	s_or_b64 s[18:19], s[0:1], s[18:19]
	s_andn2_b64 s[0:1], s[28:29], exec
	s_and_b64 s[4:5], s[26:27], exec
	s_or_b64 s[28:29], s[0:1], s[4:5]
	s_andn2_b64 s[0:1], s[20:21], exec
	s_and_b64 s[4:5], s[22:23], exec
	;; [unrolled: 3-line block ×3, first 2 shown]
	s_or_b64 s[16:17], s[0:1], s[2:3]
	s_andn2_b64 exec, exec, s[18:19]
	s_cbranch_execz .LBB878_120
.LBB878_118:                            ; =>This Inner Loop Header: Depth=1
	flat_load_dword v68, v[64:65]
	flat_load_dword v69, v[54:55]
	s_andn2_b64 s[26:27], s[26:27], exec
	s_or_b64 s[22:23], s[22:23], exec
	s_or_b64 s[24:25], s[24:25], exec
	s_waitcnt vmcnt(0) lgkmcnt(0)
	v_cmp_ngt_f32_e64 s[2:3], v68, v69
	v_cmp_lt_f32_e64 s[0:1], v68, v69
	s_and_b64 s[2:3], s[2:3], s[28:29]
	v_cmp_nlg_f32_e64 s[4:5], v68, v69
	s_or_b64 s[2:3], s[0:1], s[2:3]
	s_and_saveexec_b64 s[30:31], s[4:5]
	s_cbranch_execz .LBB878_117
; %bb.119:                              ;   in Loop: Header=BB878_118 Depth=1
	v_lshl_add_u64 v[66:67], v[66:67], 0, -1
	v_cmp_eq_u64_e64 s[0:1], 0, v[66:67]
	s_andn2_b64 s[4:5], s[26:27], exec
	s_and_b64 s[26:27], s[2:3], exec
	s_or_b64 s[26:27], s[4:5], s[26:27]
	s_andn2_b64 s[4:5], s[24:25], exec
	s_and_b64 s[0:1], s[0:1], exec
	v_lshl_add_u64 v[54:55], v[54:55], 0, 4
	v_lshl_add_u64 v[64:65], v[64:65], 0, 4
	s_andn2_b64 s[22:23], s[22:23], exec
	s_or_b64 s[24:25], s[4:5], s[0:1]
                                        ; implicit-def: $sgpr28_sgpr29
	s_branch .LBB878_117
.LBB878_120:
	s_or_b64 exec, exec, s[18:19]
	s_and_saveexec_b64 s[0:1], s[20:21]
	s_xor_b64 s[0:1], exec, s[0:1]
; %bb.121:
	v_cndmask_b32_e64 v55, v19, v13, s[16:17]
	v_cndmask_b32_e64 v54, v18, v12, s[16:17]
	;; [unrolled: 1-line block ×4, first 2 shown]
	v_mov_b64_e32 v[18:19], v[54:55]
; %bb.122:
	s_or_b64 exec, exec, s[0:1]
	s_or_b64 exec, exec, s[10:11]
	s_and_saveexec_b64 s[10:11], vcc
	s_cbranch_execz .LBB878_20
.LBB878_123:
	v_mul_lo_u32 v64, v15, v6
	v_mul_lo_u32 v65, v14, v7
	v_mad_u64_u32 v[54:55], s[0:1], v14, v6, 0
	v_add3_u32 v55, v55, v65, v64
	v_mul_lo_u32 v66, v1, v6
	v_mul_lo_u32 v67, v0, v7
	v_mad_u64_u32 v[64:65], s[0:1], v0, v6, 0
	v_add3_u32 v65, v65, v67, v66
	v_lshl_add_u64 v[54:55], v[54:55], 2, v[8:9]
	v_lshl_add_u64 v[64:65], v[64:65], 2, v[8:9]
	s_mov_b64 s[18:19], 0
	v_mov_b64_e32 v[66:67], v[6:7]
                                        ; implicit-def: $sgpr16_sgpr17
                                        ; implicit-def: $sgpr20_sgpr21
                                        ; implicit-def: $sgpr24_sgpr25
                                        ; implicit-def: $sgpr22_sgpr23
                                        ; implicit-def: $sgpr26_sgpr27
                                        ; implicit-def: $sgpr28_sgpr29
	s_branch .LBB878_125
.LBB878_124:                            ;   in Loop: Header=BB878_125 Depth=1
	s_or_b64 exec, exec, s[30:31]
	s_and_b64 s[0:1], exec, s[24:25]
	s_or_b64 s[18:19], s[0:1], s[18:19]
	s_andn2_b64 s[0:1], s[28:29], exec
	s_and_b64 s[4:5], s[26:27], exec
	s_or_b64 s[28:29], s[0:1], s[4:5]
	s_andn2_b64 s[0:1], s[20:21], exec
	s_and_b64 s[4:5], s[22:23], exec
	s_or_b64 s[20:21], s[0:1], s[4:5]
	s_andn2_b64 s[0:1], s[16:17], exec
	s_and_b64 s[2:3], s[2:3], exec
	s_or_b64 s[16:17], s[0:1], s[2:3]
	s_andn2_b64 exec, exec, s[18:19]
	s_cbranch_execz .LBB878_127
.LBB878_125:                            ; =>This Inner Loop Header: Depth=1
	flat_load_dword v68, v[64:65]
	flat_load_dword v69, v[54:55]
	s_andn2_b64 s[26:27], s[26:27], exec
	s_or_b64 s[22:23], s[22:23], exec
	s_or_b64 s[24:25], s[24:25], exec
	s_waitcnt vmcnt(0) lgkmcnt(0)
	v_cmp_ngt_f32_e64 s[2:3], v68, v69
	v_cmp_lt_f32_e64 s[0:1], v68, v69
	s_and_b64 s[2:3], s[2:3], s[28:29]
	v_cmp_nlg_f32_e64 s[4:5], v68, v69
	s_or_b64 s[2:3], s[0:1], s[2:3]
	s_and_saveexec_b64 s[30:31], s[4:5]
	s_cbranch_execz .LBB878_124
; %bb.126:                              ;   in Loop: Header=BB878_125 Depth=1
	v_lshl_add_u64 v[66:67], v[66:67], 0, -1
	v_cmp_eq_u64_e64 s[0:1], 0, v[66:67]
	s_andn2_b64 s[4:5], s[26:27], exec
	s_and_b64 s[26:27], s[2:3], exec
	s_or_b64 s[26:27], s[4:5], s[26:27]
	s_andn2_b64 s[4:5], s[24:25], exec
	s_and_b64 s[0:1], s[0:1], exec
	v_lshl_add_u64 v[54:55], v[54:55], 0, 4
	v_lshl_add_u64 v[64:65], v[64:65], 0, 4
	s_andn2_b64 s[22:23], s[22:23], exec
	s_or_b64 s[24:25], s[4:5], s[0:1]
                                        ; implicit-def: $sgpr28_sgpr29
	s_branch .LBB878_124
.LBB878_127:
	s_or_b64 exec, exec, s[18:19]
	s_and_saveexec_b64 s[0:1], s[20:21]
	s_xor_b64 s[0:1], exec, s[0:1]
; %bb.128:
	v_cndmask_b32_e64 v55, v15, v1, s[16:17]
	v_cndmask_b32_e64 v54, v14, v0, s[16:17]
	;; [unrolled: 1-line block ×4, first 2 shown]
	v_mov_b64_e32 v[14:15], v[54:55]
; %bb.129:
	s_or_b64 exec, exec, s[0:1]
	s_or_b64 exec, exec, s[10:11]
	s_and_saveexec_b64 s[10:11], vcc
	s_cbranch_execz .LBB878_21
.LBB878_130:
	v_mul_lo_u32 v64, v21, v6
	v_mul_lo_u32 v65, v20, v7
	v_mad_u64_u32 v[54:55], s[0:1], v20, v6, 0
	v_add3_u32 v55, v55, v65, v64
	v_mul_lo_u32 v66, v23, v6
	v_mul_lo_u32 v67, v22, v7
	v_mad_u64_u32 v[64:65], s[0:1], v22, v6, 0
	v_add3_u32 v65, v65, v67, v66
	v_lshl_add_u64 v[54:55], v[54:55], 2, v[8:9]
	v_lshl_add_u64 v[64:65], v[64:65], 2, v[8:9]
	s_mov_b64 s[18:19], 0
	v_mov_b64_e32 v[66:67], v[6:7]
                                        ; implicit-def: $sgpr16_sgpr17
                                        ; implicit-def: $sgpr20_sgpr21
                                        ; implicit-def: $sgpr24_sgpr25
                                        ; implicit-def: $sgpr22_sgpr23
                                        ; implicit-def: $sgpr26_sgpr27
                                        ; implicit-def: $sgpr28_sgpr29
	s_branch .LBB878_132
.LBB878_131:                            ;   in Loop: Header=BB878_132 Depth=1
	s_or_b64 exec, exec, s[30:31]
	s_and_b64 s[0:1], exec, s[24:25]
	s_or_b64 s[18:19], s[0:1], s[18:19]
	s_andn2_b64 s[0:1], s[28:29], exec
	s_and_b64 s[4:5], s[26:27], exec
	s_or_b64 s[28:29], s[0:1], s[4:5]
	s_andn2_b64 s[0:1], s[20:21], exec
	s_and_b64 s[4:5], s[22:23], exec
	;; [unrolled: 3-line block ×3, first 2 shown]
	s_or_b64 s[16:17], s[0:1], s[2:3]
	s_andn2_b64 exec, exec, s[18:19]
	s_cbranch_execz .LBB878_134
.LBB878_132:                            ; =>This Inner Loop Header: Depth=1
	flat_load_dword v68, v[64:65]
	flat_load_dword v69, v[54:55]
	s_andn2_b64 s[26:27], s[26:27], exec
	s_or_b64 s[22:23], s[22:23], exec
	s_or_b64 s[24:25], s[24:25], exec
	s_waitcnt vmcnt(0) lgkmcnt(0)
	v_cmp_ngt_f32_e64 s[2:3], v68, v69
	v_cmp_lt_f32_e64 s[0:1], v68, v69
	s_and_b64 s[2:3], s[2:3], s[28:29]
	v_cmp_nlg_f32_e64 s[4:5], v68, v69
	s_or_b64 s[2:3], s[0:1], s[2:3]
	s_and_saveexec_b64 s[30:31], s[4:5]
	s_cbranch_execz .LBB878_131
; %bb.133:                              ;   in Loop: Header=BB878_132 Depth=1
	v_lshl_add_u64 v[66:67], v[66:67], 0, -1
	v_cmp_eq_u64_e64 s[0:1], 0, v[66:67]
	s_andn2_b64 s[4:5], s[26:27], exec
	s_and_b64 s[26:27], s[2:3], exec
	s_or_b64 s[26:27], s[4:5], s[26:27]
	s_andn2_b64 s[4:5], s[24:25], exec
	s_and_b64 s[0:1], s[0:1], exec
	v_lshl_add_u64 v[54:55], v[54:55], 0, 4
	v_lshl_add_u64 v[64:65], v[64:65], 0, 4
	s_andn2_b64 s[22:23], s[22:23], exec
	s_or_b64 s[24:25], s[4:5], s[0:1]
                                        ; implicit-def: $sgpr28_sgpr29
	s_branch .LBB878_131
.LBB878_134:
	s_or_b64 exec, exec, s[18:19]
	s_and_saveexec_b64 s[0:1], s[20:21]
	s_xor_b64 s[0:1], exec, s[0:1]
; %bb.135:
	v_cndmask_b32_e64 v55, v23, v21, s[16:17]
	v_cndmask_b32_e64 v54, v22, v20, s[16:17]
	;; [unrolled: 1-line block ×4, first 2 shown]
	v_mov_b64_e32 v[22:23], v[54:55]
; %bb.136:
	s_or_b64 exec, exec, s[0:1]
	s_or_b64 exec, exec, s[10:11]
	s_and_saveexec_b64 s[10:11], vcc
	s_cbranch_execz .LBB878_22
.LBB878_137:
	v_mul_lo_u32 v64, v17, v6
	v_mul_lo_u32 v65, v16, v7
	v_mad_u64_u32 v[54:55], s[0:1], v16, v6, 0
	v_add3_u32 v55, v55, v65, v64
	v_mul_lo_u32 v66, v19, v6
	v_mul_lo_u32 v67, v18, v7
	v_mad_u64_u32 v[64:65], s[0:1], v18, v6, 0
	v_add3_u32 v65, v65, v67, v66
	v_lshl_add_u64 v[54:55], v[54:55], 2, v[8:9]
	v_lshl_add_u64 v[64:65], v[64:65], 2, v[8:9]
	s_mov_b64 s[18:19], 0
	v_mov_b64_e32 v[66:67], v[6:7]
                                        ; implicit-def: $sgpr16_sgpr17
                                        ; implicit-def: $sgpr20_sgpr21
                                        ; implicit-def: $sgpr24_sgpr25
                                        ; implicit-def: $sgpr22_sgpr23
                                        ; implicit-def: $sgpr26_sgpr27
                                        ; implicit-def: $sgpr28_sgpr29
	s_branch .LBB878_139
.LBB878_138:                            ;   in Loop: Header=BB878_139 Depth=1
	s_or_b64 exec, exec, s[30:31]
	s_and_b64 s[0:1], exec, s[24:25]
	s_or_b64 s[18:19], s[0:1], s[18:19]
	s_andn2_b64 s[0:1], s[28:29], exec
	s_and_b64 s[4:5], s[26:27], exec
	s_or_b64 s[28:29], s[0:1], s[4:5]
	s_andn2_b64 s[0:1], s[20:21], exec
	s_and_b64 s[4:5], s[22:23], exec
	;; [unrolled: 3-line block ×3, first 2 shown]
	s_or_b64 s[16:17], s[0:1], s[2:3]
	s_andn2_b64 exec, exec, s[18:19]
	s_cbranch_execz .LBB878_141
.LBB878_139:                            ; =>This Inner Loop Header: Depth=1
	flat_load_dword v68, v[64:65]
	flat_load_dword v69, v[54:55]
	s_andn2_b64 s[26:27], s[26:27], exec
	s_or_b64 s[22:23], s[22:23], exec
	s_or_b64 s[24:25], s[24:25], exec
	s_waitcnt vmcnt(0) lgkmcnt(0)
	v_cmp_ngt_f32_e64 s[2:3], v68, v69
	v_cmp_lt_f32_e64 s[0:1], v68, v69
	s_and_b64 s[2:3], s[2:3], s[28:29]
	v_cmp_nlg_f32_e64 s[4:5], v68, v69
	s_or_b64 s[2:3], s[0:1], s[2:3]
	s_and_saveexec_b64 s[30:31], s[4:5]
	s_cbranch_execz .LBB878_138
; %bb.140:                              ;   in Loop: Header=BB878_139 Depth=1
	v_lshl_add_u64 v[66:67], v[66:67], 0, -1
	v_cmp_eq_u64_e64 s[0:1], 0, v[66:67]
	s_andn2_b64 s[4:5], s[26:27], exec
	s_and_b64 s[26:27], s[2:3], exec
	s_or_b64 s[26:27], s[4:5], s[26:27]
	s_andn2_b64 s[4:5], s[24:25], exec
	s_and_b64 s[0:1], s[0:1], exec
	v_lshl_add_u64 v[54:55], v[54:55], 0, 4
	v_lshl_add_u64 v[64:65], v[64:65], 0, 4
	s_andn2_b64 s[22:23], s[22:23], exec
	s_or_b64 s[24:25], s[4:5], s[0:1]
                                        ; implicit-def: $sgpr28_sgpr29
	s_branch .LBB878_138
.LBB878_141:
	s_or_b64 exec, exec, s[18:19]
	s_and_saveexec_b64 s[0:1], s[20:21]
	s_xor_b64 s[0:1], exec, s[0:1]
; %bb.142:
	v_cndmask_b32_e64 v55, v17, v19, s[16:17]
	v_cndmask_b32_e64 v54, v16, v18, s[16:17]
	;; [unrolled: 1-line block ×4, first 2 shown]
	v_mov_b64_e32 v[16:17], v[54:55]
; %bb.143:
	s_or_b64 exec, exec, s[0:1]
	s_or_b64 exec, exec, s[10:11]
	s_and_saveexec_b64 s[10:11], vcc
	s_cbranch_execz .LBB878_23
.LBB878_144:
	v_mul_lo_u32 v64, v13, v6
	v_mul_lo_u32 v65, v12, v7
	v_mad_u64_u32 v[54:55], s[0:1], v12, v6, 0
	v_add3_u32 v55, v55, v65, v64
	v_mul_lo_u32 v66, v15, v6
	v_mul_lo_u32 v67, v14, v7
	v_mad_u64_u32 v[64:65], s[0:1], v14, v6, 0
	v_add3_u32 v65, v65, v67, v66
	v_lshl_add_u64 v[54:55], v[54:55], 2, v[8:9]
	v_lshl_add_u64 v[64:65], v[64:65], 2, v[8:9]
	s_mov_b64 s[18:19], 0
	v_mov_b64_e32 v[66:67], v[6:7]
                                        ; implicit-def: $sgpr16_sgpr17
                                        ; implicit-def: $sgpr20_sgpr21
                                        ; implicit-def: $sgpr24_sgpr25
                                        ; implicit-def: $sgpr22_sgpr23
                                        ; implicit-def: $sgpr26_sgpr27
                                        ; implicit-def: $sgpr28_sgpr29
	s_branch .LBB878_146
.LBB878_145:                            ;   in Loop: Header=BB878_146 Depth=1
	s_or_b64 exec, exec, s[30:31]
	s_and_b64 s[0:1], exec, s[24:25]
	s_or_b64 s[18:19], s[0:1], s[18:19]
	s_andn2_b64 s[0:1], s[28:29], exec
	s_and_b64 s[4:5], s[26:27], exec
	s_or_b64 s[28:29], s[0:1], s[4:5]
	s_andn2_b64 s[0:1], s[20:21], exec
	s_and_b64 s[4:5], s[22:23], exec
	;; [unrolled: 3-line block ×3, first 2 shown]
	s_or_b64 s[16:17], s[0:1], s[2:3]
	s_andn2_b64 exec, exec, s[18:19]
	s_cbranch_execz .LBB878_148
.LBB878_146:                            ; =>This Inner Loop Header: Depth=1
	flat_load_dword v68, v[64:65]
	flat_load_dword v69, v[54:55]
	s_andn2_b64 s[26:27], s[26:27], exec
	s_or_b64 s[22:23], s[22:23], exec
	s_or_b64 s[24:25], s[24:25], exec
	s_waitcnt vmcnt(0) lgkmcnt(0)
	v_cmp_ngt_f32_e64 s[2:3], v68, v69
	v_cmp_lt_f32_e64 s[0:1], v68, v69
	s_and_b64 s[2:3], s[2:3], s[28:29]
	v_cmp_nlg_f32_e64 s[4:5], v68, v69
	s_or_b64 s[2:3], s[0:1], s[2:3]
	s_and_saveexec_b64 s[30:31], s[4:5]
	s_cbranch_execz .LBB878_145
; %bb.147:                              ;   in Loop: Header=BB878_146 Depth=1
	v_lshl_add_u64 v[66:67], v[66:67], 0, -1
	v_cmp_eq_u64_e64 s[0:1], 0, v[66:67]
	s_andn2_b64 s[4:5], s[26:27], exec
	s_and_b64 s[26:27], s[2:3], exec
	s_or_b64 s[26:27], s[4:5], s[26:27]
	s_andn2_b64 s[4:5], s[24:25], exec
	s_and_b64 s[0:1], s[0:1], exec
	v_lshl_add_u64 v[54:55], v[54:55], 0, 4
	v_lshl_add_u64 v[64:65], v[64:65], 0, 4
	s_andn2_b64 s[22:23], s[22:23], exec
	s_or_b64 s[24:25], s[4:5], s[0:1]
                                        ; implicit-def: $sgpr28_sgpr29
	s_branch .LBB878_145
.LBB878_148:
	s_or_b64 exec, exec, s[18:19]
	s_and_saveexec_b64 s[0:1], s[20:21]
	s_xor_b64 s[0:1], exec, s[0:1]
; %bb.149:
	v_cndmask_b32_e64 v55, v13, v15, s[16:17]
	v_cndmask_b32_e64 v54, v12, v14, s[16:17]
	;; [unrolled: 1-line block ×4, first 2 shown]
	v_mov_b64_e32 v[12:13], v[54:55]
; %bb.150:
	s_or_b64 exec, exec, s[0:1]
	s_or_b64 exec, exec, s[10:11]
	s_and_saveexec_b64 s[10:11], vcc
	s_cbranch_execz .LBB878_24
.LBB878_151:
	v_mul_lo_u32 v64, v1, v6
	v_mul_lo_u32 v65, v0, v7
	v_mad_u64_u32 v[54:55], s[0:1], v0, v6, 0
	v_add3_u32 v55, v55, v65, v64
	v_mul_lo_u32 v66, v3, v6
	v_mul_lo_u32 v67, v2, v7
	v_mad_u64_u32 v[64:65], s[0:1], v2, v6, 0
	v_add3_u32 v65, v65, v67, v66
	v_lshl_add_u64 v[54:55], v[54:55], 2, v[8:9]
	v_lshl_add_u64 v[64:65], v[64:65], 2, v[8:9]
	s_mov_b64 s[18:19], 0
	v_mov_b64_e32 v[66:67], v[6:7]
                                        ; implicit-def: $sgpr16_sgpr17
                                        ; implicit-def: $sgpr20_sgpr21
                                        ; implicit-def: $sgpr24_sgpr25
                                        ; implicit-def: $sgpr22_sgpr23
                                        ; implicit-def: $sgpr26_sgpr27
                                        ; implicit-def: $sgpr28_sgpr29
	s_branch .LBB878_153
.LBB878_152:                            ;   in Loop: Header=BB878_153 Depth=1
	s_or_b64 exec, exec, s[30:31]
	s_and_b64 s[0:1], exec, s[24:25]
	s_or_b64 s[18:19], s[0:1], s[18:19]
	s_andn2_b64 s[0:1], s[28:29], exec
	s_and_b64 s[4:5], s[26:27], exec
	s_or_b64 s[28:29], s[0:1], s[4:5]
	s_andn2_b64 s[0:1], s[20:21], exec
	s_and_b64 s[4:5], s[22:23], exec
	;; [unrolled: 3-line block ×3, first 2 shown]
	s_or_b64 s[16:17], s[0:1], s[2:3]
	s_andn2_b64 exec, exec, s[18:19]
	s_cbranch_execz .LBB878_155
.LBB878_153:                            ; =>This Inner Loop Header: Depth=1
	flat_load_dword v68, v[64:65]
	flat_load_dword v69, v[54:55]
	s_andn2_b64 s[26:27], s[26:27], exec
	s_or_b64 s[22:23], s[22:23], exec
	s_or_b64 s[24:25], s[24:25], exec
	s_waitcnt vmcnt(0) lgkmcnt(0)
	v_cmp_ngt_f32_e64 s[2:3], v68, v69
	v_cmp_lt_f32_e64 s[0:1], v68, v69
	s_and_b64 s[2:3], s[2:3], s[28:29]
	v_cmp_nlg_f32_e64 s[4:5], v68, v69
	s_or_b64 s[2:3], s[0:1], s[2:3]
	s_and_saveexec_b64 s[30:31], s[4:5]
	s_cbranch_execz .LBB878_152
; %bb.154:                              ;   in Loop: Header=BB878_153 Depth=1
	v_lshl_add_u64 v[66:67], v[66:67], 0, -1
	v_cmp_eq_u64_e64 s[0:1], 0, v[66:67]
	s_andn2_b64 s[4:5], s[26:27], exec
	s_and_b64 s[26:27], s[2:3], exec
	s_or_b64 s[26:27], s[4:5], s[26:27]
	s_andn2_b64 s[4:5], s[24:25], exec
	s_and_b64 s[0:1], s[0:1], exec
	v_lshl_add_u64 v[54:55], v[54:55], 0, 4
	v_lshl_add_u64 v[64:65], v[64:65], 0, 4
	s_andn2_b64 s[22:23], s[22:23], exec
	s_or_b64 s[24:25], s[4:5], s[0:1]
                                        ; implicit-def: $sgpr28_sgpr29
	s_branch .LBB878_152
.LBB878_155:
	s_or_b64 exec, exec, s[18:19]
	s_and_saveexec_b64 s[0:1], s[20:21]
	s_xor_b64 s[0:1], exec, s[0:1]
; %bb.156:
	v_cndmask_b32_e64 v55, v1, v3, s[16:17]
	v_cndmask_b32_e64 v54, v0, v2, s[16:17]
	;; [unrolled: 1-line block ×4, first 2 shown]
	v_mov_b64_e32 v[0:1], v[54:55]
; %bb.157:
	s_or_b64 exec, exec, s[0:1]
	s_or_b64 exec, exec, s[10:11]
	s_and_saveexec_b64 s[10:11], vcc
	s_cbranch_execz .LBB878_25
.LBB878_158:
	v_mul_lo_u32 v64, v23, v6
	v_mul_lo_u32 v65, v22, v7
	v_mad_u64_u32 v[54:55], s[0:1], v22, v6, 0
	v_add3_u32 v55, v55, v65, v64
	v_mul_lo_u32 v66, v17, v6
	v_mul_lo_u32 v67, v16, v7
	v_mad_u64_u32 v[64:65], s[0:1], v16, v6, 0
	v_add3_u32 v65, v65, v67, v66
	v_lshl_add_u64 v[54:55], v[54:55], 2, v[8:9]
	v_lshl_add_u64 v[64:65], v[64:65], 2, v[8:9]
	s_mov_b64 s[18:19], 0
	v_mov_b64_e32 v[66:67], v[6:7]
                                        ; implicit-def: $sgpr16_sgpr17
                                        ; implicit-def: $sgpr20_sgpr21
                                        ; implicit-def: $sgpr24_sgpr25
                                        ; implicit-def: $sgpr22_sgpr23
                                        ; implicit-def: $sgpr26_sgpr27
                                        ; implicit-def: $sgpr28_sgpr29
	s_branch .LBB878_160
.LBB878_159:                            ;   in Loop: Header=BB878_160 Depth=1
	s_or_b64 exec, exec, s[30:31]
	s_and_b64 s[0:1], exec, s[24:25]
	s_or_b64 s[18:19], s[0:1], s[18:19]
	s_andn2_b64 s[0:1], s[28:29], exec
	s_and_b64 s[4:5], s[26:27], exec
	s_or_b64 s[28:29], s[0:1], s[4:5]
	s_andn2_b64 s[0:1], s[20:21], exec
	s_and_b64 s[4:5], s[22:23], exec
	;; [unrolled: 3-line block ×3, first 2 shown]
	s_or_b64 s[16:17], s[0:1], s[2:3]
	s_andn2_b64 exec, exec, s[18:19]
	s_cbranch_execz .LBB878_162
.LBB878_160:                            ; =>This Inner Loop Header: Depth=1
	flat_load_dword v68, v[64:65]
	flat_load_dword v69, v[54:55]
	s_andn2_b64 s[26:27], s[26:27], exec
	s_or_b64 s[22:23], s[22:23], exec
	s_or_b64 s[24:25], s[24:25], exec
	s_waitcnt vmcnt(0) lgkmcnt(0)
	v_cmp_ngt_f32_e64 s[2:3], v68, v69
	v_cmp_lt_f32_e64 s[0:1], v68, v69
	s_and_b64 s[2:3], s[2:3], s[28:29]
	v_cmp_nlg_f32_e64 s[4:5], v68, v69
	s_or_b64 s[2:3], s[0:1], s[2:3]
	s_and_saveexec_b64 s[30:31], s[4:5]
	s_cbranch_execz .LBB878_159
; %bb.161:                              ;   in Loop: Header=BB878_160 Depth=1
	v_lshl_add_u64 v[66:67], v[66:67], 0, -1
	v_cmp_eq_u64_e64 s[0:1], 0, v[66:67]
	s_andn2_b64 s[4:5], s[26:27], exec
	s_and_b64 s[26:27], s[2:3], exec
	s_or_b64 s[26:27], s[4:5], s[26:27]
	s_andn2_b64 s[4:5], s[24:25], exec
	s_and_b64 s[0:1], s[0:1], exec
	v_lshl_add_u64 v[54:55], v[54:55], 0, 4
	v_lshl_add_u64 v[64:65], v[64:65], 0, 4
	s_andn2_b64 s[22:23], s[22:23], exec
	s_or_b64 s[24:25], s[4:5], s[0:1]
                                        ; implicit-def: $sgpr28_sgpr29
	s_branch .LBB878_159
.LBB878_162:
	s_or_b64 exec, exec, s[18:19]
	s_and_saveexec_b64 s[0:1], s[20:21]
	s_xor_b64 s[0:1], exec, s[0:1]
; %bb.163:
	v_cndmask_b32_e64 v55, v23, v17, s[16:17]
	v_cndmask_b32_e64 v54, v22, v16, s[16:17]
	;; [unrolled: 1-line block ×4, first 2 shown]
	v_mov_b64_e32 v[22:23], v[54:55]
; %bb.164:
	s_or_b64 exec, exec, s[0:1]
	s_or_b64 exec, exec, s[10:11]
	s_and_saveexec_b64 s[10:11], vcc
	s_cbranch_execz .LBB878_26
.LBB878_165:
	v_mul_lo_u32 v64, v19, v6
	v_mul_lo_u32 v65, v18, v7
	v_mad_u64_u32 v[54:55], s[0:1], v18, v6, 0
	v_add3_u32 v55, v55, v65, v64
	v_mul_lo_u32 v66, v13, v6
	v_mul_lo_u32 v67, v12, v7
	v_mad_u64_u32 v[64:65], s[0:1], v12, v6, 0
	v_add3_u32 v65, v65, v67, v66
	v_lshl_add_u64 v[54:55], v[54:55], 2, v[8:9]
	v_lshl_add_u64 v[64:65], v[64:65], 2, v[8:9]
	s_mov_b64 s[18:19], 0
	v_mov_b64_e32 v[66:67], v[6:7]
                                        ; implicit-def: $sgpr16_sgpr17
                                        ; implicit-def: $sgpr20_sgpr21
                                        ; implicit-def: $sgpr24_sgpr25
                                        ; implicit-def: $sgpr22_sgpr23
                                        ; implicit-def: $sgpr26_sgpr27
                                        ; implicit-def: $sgpr28_sgpr29
	s_branch .LBB878_167
.LBB878_166:                            ;   in Loop: Header=BB878_167 Depth=1
	s_or_b64 exec, exec, s[30:31]
	s_and_b64 s[0:1], exec, s[24:25]
	s_or_b64 s[18:19], s[0:1], s[18:19]
	s_andn2_b64 s[0:1], s[28:29], exec
	s_and_b64 s[4:5], s[26:27], exec
	s_or_b64 s[28:29], s[0:1], s[4:5]
	s_andn2_b64 s[0:1], s[20:21], exec
	s_and_b64 s[4:5], s[22:23], exec
	;; [unrolled: 3-line block ×3, first 2 shown]
	s_or_b64 s[16:17], s[0:1], s[2:3]
	s_andn2_b64 exec, exec, s[18:19]
	s_cbranch_execz .LBB878_169
.LBB878_167:                            ; =>This Inner Loop Header: Depth=1
	flat_load_dword v68, v[64:65]
	flat_load_dword v69, v[54:55]
	s_andn2_b64 s[26:27], s[26:27], exec
	s_or_b64 s[22:23], s[22:23], exec
	s_or_b64 s[24:25], s[24:25], exec
	s_waitcnt vmcnt(0) lgkmcnt(0)
	v_cmp_ngt_f32_e64 s[2:3], v68, v69
	v_cmp_lt_f32_e64 s[0:1], v68, v69
	s_and_b64 s[2:3], s[2:3], s[28:29]
	v_cmp_nlg_f32_e64 s[4:5], v68, v69
	s_or_b64 s[2:3], s[0:1], s[2:3]
	s_and_saveexec_b64 s[30:31], s[4:5]
	s_cbranch_execz .LBB878_166
; %bb.168:                              ;   in Loop: Header=BB878_167 Depth=1
	v_lshl_add_u64 v[66:67], v[66:67], 0, -1
	v_cmp_eq_u64_e64 s[0:1], 0, v[66:67]
	s_andn2_b64 s[4:5], s[26:27], exec
	s_and_b64 s[26:27], s[2:3], exec
	s_or_b64 s[26:27], s[4:5], s[26:27]
	s_andn2_b64 s[4:5], s[24:25], exec
	s_and_b64 s[0:1], s[0:1], exec
	v_lshl_add_u64 v[54:55], v[54:55], 0, 4
	v_lshl_add_u64 v[64:65], v[64:65], 0, 4
	s_andn2_b64 s[22:23], s[22:23], exec
	s_or_b64 s[24:25], s[4:5], s[0:1]
                                        ; implicit-def: $sgpr28_sgpr29
	s_branch .LBB878_166
.LBB878_169:
	s_or_b64 exec, exec, s[18:19]
	s_and_saveexec_b64 s[0:1], s[20:21]
	s_xor_b64 s[0:1], exec, s[0:1]
; %bb.170:
	v_cndmask_b32_e64 v55, v19, v13, s[16:17]
	v_cndmask_b32_e64 v54, v18, v12, s[16:17]
	;; [unrolled: 1-line block ×4, first 2 shown]
	v_mov_b64_e32 v[18:19], v[54:55]
; %bb.171:
	s_or_b64 exec, exec, s[0:1]
	s_or_b64 exec, exec, s[10:11]
	s_and_saveexec_b64 s[10:11], vcc
	s_cbranch_execz .LBB878_27
.LBB878_172:
	v_mul_lo_u32 v64, v15, v6
	v_mul_lo_u32 v65, v14, v7
	v_mad_u64_u32 v[54:55], s[0:1], v14, v6, 0
	v_add3_u32 v55, v55, v65, v64
	v_mul_lo_u32 v66, v1, v6
	v_mul_lo_u32 v67, v0, v7
	v_mad_u64_u32 v[64:65], s[0:1], v0, v6, 0
	v_add3_u32 v65, v65, v67, v66
	v_lshl_add_u64 v[54:55], v[54:55], 2, v[8:9]
	v_lshl_add_u64 v[64:65], v[64:65], 2, v[8:9]
	s_mov_b64 s[18:19], 0
	v_mov_b64_e32 v[66:67], v[6:7]
                                        ; implicit-def: $sgpr16_sgpr17
                                        ; implicit-def: $sgpr20_sgpr21
                                        ; implicit-def: $sgpr24_sgpr25
                                        ; implicit-def: $sgpr22_sgpr23
                                        ; implicit-def: $sgpr26_sgpr27
                                        ; implicit-def: $sgpr28_sgpr29
	s_branch .LBB878_174
.LBB878_173:                            ;   in Loop: Header=BB878_174 Depth=1
	s_or_b64 exec, exec, s[30:31]
	s_and_b64 s[0:1], exec, s[24:25]
	s_or_b64 s[18:19], s[0:1], s[18:19]
	s_andn2_b64 s[0:1], s[28:29], exec
	s_and_b64 s[4:5], s[26:27], exec
	s_or_b64 s[28:29], s[0:1], s[4:5]
	s_andn2_b64 s[0:1], s[20:21], exec
	s_and_b64 s[4:5], s[22:23], exec
	;; [unrolled: 3-line block ×3, first 2 shown]
	s_or_b64 s[16:17], s[0:1], s[2:3]
	s_andn2_b64 exec, exec, s[18:19]
	s_cbranch_execz .LBB878_176
.LBB878_174:                            ; =>This Inner Loop Header: Depth=1
	flat_load_dword v68, v[64:65]
	flat_load_dword v69, v[54:55]
	s_andn2_b64 s[26:27], s[26:27], exec
	s_or_b64 s[22:23], s[22:23], exec
	s_or_b64 s[24:25], s[24:25], exec
	s_waitcnt vmcnt(0) lgkmcnt(0)
	v_cmp_ngt_f32_e64 s[2:3], v68, v69
	v_cmp_lt_f32_e64 s[0:1], v68, v69
	s_and_b64 s[2:3], s[2:3], s[28:29]
	v_cmp_nlg_f32_e64 s[4:5], v68, v69
	s_or_b64 s[2:3], s[0:1], s[2:3]
	s_and_saveexec_b64 s[30:31], s[4:5]
	s_cbranch_execz .LBB878_173
; %bb.175:                              ;   in Loop: Header=BB878_174 Depth=1
	v_lshl_add_u64 v[66:67], v[66:67], 0, -1
	v_cmp_eq_u64_e64 s[0:1], 0, v[66:67]
	s_andn2_b64 s[4:5], s[26:27], exec
	s_and_b64 s[26:27], s[2:3], exec
	s_or_b64 s[26:27], s[4:5], s[26:27]
	s_andn2_b64 s[4:5], s[24:25], exec
	s_and_b64 s[0:1], s[0:1], exec
	v_lshl_add_u64 v[54:55], v[54:55], 0, 4
	v_lshl_add_u64 v[64:65], v[64:65], 0, 4
	s_andn2_b64 s[22:23], s[22:23], exec
	s_or_b64 s[24:25], s[4:5], s[0:1]
                                        ; implicit-def: $sgpr28_sgpr29
	s_branch .LBB878_173
.LBB878_176:
	s_or_b64 exec, exec, s[18:19]
	s_and_saveexec_b64 s[0:1], s[20:21]
	s_xor_b64 s[0:1], exec, s[0:1]
; %bb.177:
	v_cndmask_b32_e64 v55, v15, v1, s[16:17]
	v_cndmask_b32_e64 v54, v14, v0, s[16:17]
	;; [unrolled: 1-line block ×4, first 2 shown]
	v_mov_b64_e32 v[14:15], v[54:55]
; %bb.178:
	s_or_b64 exec, exec, s[0:1]
	s_or_b64 exec, exec, s[10:11]
	s_and_saveexec_b64 s[10:11], vcc
	s_cbranch_execz .LBB878_28
.LBB878_179:
	v_mul_lo_u32 v64, v21, v6
	v_mul_lo_u32 v65, v20, v7
	v_mad_u64_u32 v[54:55], s[0:1], v20, v6, 0
	v_add3_u32 v55, v55, v65, v64
	v_mul_lo_u32 v66, v23, v6
	v_mul_lo_u32 v67, v22, v7
	v_mad_u64_u32 v[64:65], s[0:1], v22, v6, 0
	v_add3_u32 v65, v65, v67, v66
	v_lshl_add_u64 v[54:55], v[54:55], 2, v[8:9]
	v_lshl_add_u64 v[64:65], v[64:65], 2, v[8:9]
	s_mov_b64 s[18:19], 0
	v_mov_b64_e32 v[66:67], v[6:7]
                                        ; implicit-def: $sgpr16_sgpr17
                                        ; implicit-def: $sgpr20_sgpr21
                                        ; implicit-def: $sgpr24_sgpr25
                                        ; implicit-def: $sgpr22_sgpr23
                                        ; implicit-def: $sgpr26_sgpr27
                                        ; implicit-def: $sgpr28_sgpr29
	s_branch .LBB878_181
.LBB878_180:                            ;   in Loop: Header=BB878_181 Depth=1
	s_or_b64 exec, exec, s[30:31]
	s_and_b64 s[0:1], exec, s[24:25]
	s_or_b64 s[18:19], s[0:1], s[18:19]
	s_andn2_b64 s[0:1], s[28:29], exec
	s_and_b64 s[4:5], s[26:27], exec
	s_or_b64 s[28:29], s[0:1], s[4:5]
	s_andn2_b64 s[0:1], s[20:21], exec
	s_and_b64 s[4:5], s[22:23], exec
	;; [unrolled: 3-line block ×3, first 2 shown]
	s_or_b64 s[16:17], s[0:1], s[2:3]
	s_andn2_b64 exec, exec, s[18:19]
	s_cbranch_execz .LBB878_183
.LBB878_181:                            ; =>This Inner Loop Header: Depth=1
	flat_load_dword v68, v[64:65]
	flat_load_dword v69, v[54:55]
	s_andn2_b64 s[26:27], s[26:27], exec
	s_or_b64 s[22:23], s[22:23], exec
	s_or_b64 s[24:25], s[24:25], exec
	s_waitcnt vmcnt(0) lgkmcnt(0)
	v_cmp_ngt_f32_e64 s[2:3], v68, v69
	v_cmp_lt_f32_e64 s[0:1], v68, v69
	s_and_b64 s[2:3], s[2:3], s[28:29]
	v_cmp_nlg_f32_e64 s[4:5], v68, v69
	s_or_b64 s[2:3], s[0:1], s[2:3]
	s_and_saveexec_b64 s[30:31], s[4:5]
	s_cbranch_execz .LBB878_180
; %bb.182:                              ;   in Loop: Header=BB878_181 Depth=1
	v_lshl_add_u64 v[66:67], v[66:67], 0, -1
	v_cmp_eq_u64_e64 s[0:1], 0, v[66:67]
	s_andn2_b64 s[4:5], s[26:27], exec
	s_and_b64 s[26:27], s[2:3], exec
	s_or_b64 s[26:27], s[4:5], s[26:27]
	s_andn2_b64 s[4:5], s[24:25], exec
	s_and_b64 s[0:1], s[0:1], exec
	v_lshl_add_u64 v[54:55], v[54:55], 0, 4
	v_lshl_add_u64 v[64:65], v[64:65], 0, 4
	s_andn2_b64 s[22:23], s[22:23], exec
	s_or_b64 s[24:25], s[4:5], s[0:1]
                                        ; implicit-def: $sgpr28_sgpr29
	s_branch .LBB878_180
.LBB878_183:
	s_or_b64 exec, exec, s[18:19]
	s_and_saveexec_b64 s[0:1], s[20:21]
	s_xor_b64 s[0:1], exec, s[0:1]
; %bb.184:
	v_cndmask_b32_e64 v55, v23, v21, s[16:17]
	v_cndmask_b32_e64 v54, v22, v20, s[16:17]
	;; [unrolled: 1-line block ×4, first 2 shown]
	v_mov_b64_e32 v[22:23], v[54:55]
; %bb.185:
	s_or_b64 exec, exec, s[0:1]
	s_or_b64 exec, exec, s[10:11]
	s_and_saveexec_b64 s[10:11], vcc
	s_cbranch_execz .LBB878_29
.LBB878_186:
	v_mul_lo_u32 v64, v17, v6
	v_mul_lo_u32 v65, v16, v7
	v_mad_u64_u32 v[54:55], s[0:1], v16, v6, 0
	v_add3_u32 v55, v55, v65, v64
	v_mul_lo_u32 v66, v19, v6
	v_mul_lo_u32 v67, v18, v7
	v_mad_u64_u32 v[64:65], s[0:1], v18, v6, 0
	v_add3_u32 v65, v65, v67, v66
	v_lshl_add_u64 v[54:55], v[54:55], 2, v[8:9]
	v_lshl_add_u64 v[64:65], v[64:65], 2, v[8:9]
	s_mov_b64 s[18:19], 0
	v_mov_b64_e32 v[66:67], v[6:7]
                                        ; implicit-def: $sgpr16_sgpr17
                                        ; implicit-def: $sgpr20_sgpr21
                                        ; implicit-def: $sgpr24_sgpr25
                                        ; implicit-def: $sgpr22_sgpr23
                                        ; implicit-def: $sgpr26_sgpr27
                                        ; implicit-def: $sgpr28_sgpr29
	s_branch .LBB878_188
.LBB878_187:                            ;   in Loop: Header=BB878_188 Depth=1
	s_or_b64 exec, exec, s[30:31]
	s_and_b64 s[0:1], exec, s[24:25]
	s_or_b64 s[18:19], s[0:1], s[18:19]
	s_andn2_b64 s[0:1], s[28:29], exec
	s_and_b64 s[4:5], s[26:27], exec
	s_or_b64 s[28:29], s[0:1], s[4:5]
	s_andn2_b64 s[0:1], s[20:21], exec
	s_and_b64 s[4:5], s[22:23], exec
	;; [unrolled: 3-line block ×3, first 2 shown]
	s_or_b64 s[16:17], s[0:1], s[2:3]
	s_andn2_b64 exec, exec, s[18:19]
	s_cbranch_execz .LBB878_190
.LBB878_188:                            ; =>This Inner Loop Header: Depth=1
	flat_load_dword v68, v[64:65]
	flat_load_dword v69, v[54:55]
	s_andn2_b64 s[26:27], s[26:27], exec
	s_or_b64 s[22:23], s[22:23], exec
	s_or_b64 s[24:25], s[24:25], exec
	s_waitcnt vmcnt(0) lgkmcnt(0)
	v_cmp_ngt_f32_e64 s[2:3], v68, v69
	v_cmp_lt_f32_e64 s[0:1], v68, v69
	s_and_b64 s[2:3], s[2:3], s[28:29]
	v_cmp_nlg_f32_e64 s[4:5], v68, v69
	s_or_b64 s[2:3], s[0:1], s[2:3]
	s_and_saveexec_b64 s[30:31], s[4:5]
	s_cbranch_execz .LBB878_187
; %bb.189:                              ;   in Loop: Header=BB878_188 Depth=1
	v_lshl_add_u64 v[66:67], v[66:67], 0, -1
	v_cmp_eq_u64_e64 s[0:1], 0, v[66:67]
	s_andn2_b64 s[4:5], s[26:27], exec
	s_and_b64 s[26:27], s[2:3], exec
	s_or_b64 s[26:27], s[4:5], s[26:27]
	s_andn2_b64 s[4:5], s[24:25], exec
	s_and_b64 s[0:1], s[0:1], exec
	v_lshl_add_u64 v[54:55], v[54:55], 0, 4
	v_lshl_add_u64 v[64:65], v[64:65], 0, 4
	s_andn2_b64 s[22:23], s[22:23], exec
	s_or_b64 s[24:25], s[4:5], s[0:1]
                                        ; implicit-def: $sgpr28_sgpr29
	s_branch .LBB878_187
.LBB878_190:
	s_or_b64 exec, exec, s[18:19]
	s_and_saveexec_b64 s[0:1], s[20:21]
	s_xor_b64 s[0:1], exec, s[0:1]
; %bb.191:
	v_cndmask_b32_e64 v55, v17, v19, s[16:17]
	v_cndmask_b32_e64 v54, v16, v18, s[16:17]
	;; [unrolled: 1-line block ×4, first 2 shown]
	v_mov_b64_e32 v[16:17], v[54:55]
; %bb.192:
	s_or_b64 exec, exec, s[0:1]
	s_or_b64 exec, exec, s[10:11]
	s_and_saveexec_b64 s[10:11], vcc
	s_cbranch_execz .LBB878_30
.LBB878_193:
	v_mul_lo_u32 v64, v13, v6
	v_mul_lo_u32 v65, v12, v7
	v_mad_u64_u32 v[54:55], s[0:1], v12, v6, 0
	v_add3_u32 v55, v55, v65, v64
	v_mul_lo_u32 v66, v15, v6
	v_mul_lo_u32 v67, v14, v7
	v_mad_u64_u32 v[64:65], s[0:1], v14, v6, 0
	v_add3_u32 v65, v65, v67, v66
	v_lshl_add_u64 v[54:55], v[54:55], 2, v[8:9]
	v_lshl_add_u64 v[64:65], v[64:65], 2, v[8:9]
	s_mov_b64 s[18:19], 0
	v_mov_b64_e32 v[66:67], v[6:7]
                                        ; implicit-def: $sgpr16_sgpr17
                                        ; implicit-def: $sgpr20_sgpr21
                                        ; implicit-def: $sgpr24_sgpr25
                                        ; implicit-def: $sgpr22_sgpr23
                                        ; implicit-def: $sgpr26_sgpr27
                                        ; implicit-def: $sgpr28_sgpr29
	s_branch .LBB878_195
.LBB878_194:                            ;   in Loop: Header=BB878_195 Depth=1
	s_or_b64 exec, exec, s[30:31]
	s_and_b64 s[0:1], exec, s[24:25]
	s_or_b64 s[18:19], s[0:1], s[18:19]
	s_andn2_b64 s[0:1], s[28:29], exec
	s_and_b64 s[4:5], s[26:27], exec
	s_or_b64 s[28:29], s[0:1], s[4:5]
	s_andn2_b64 s[0:1], s[20:21], exec
	s_and_b64 s[4:5], s[22:23], exec
	s_or_b64 s[20:21], s[0:1], s[4:5]
	s_andn2_b64 s[0:1], s[16:17], exec
	s_and_b64 s[2:3], s[2:3], exec
	s_or_b64 s[16:17], s[0:1], s[2:3]
	s_andn2_b64 exec, exec, s[18:19]
	s_cbranch_execz .LBB878_197
.LBB878_195:                            ; =>This Inner Loop Header: Depth=1
	flat_load_dword v68, v[64:65]
	flat_load_dword v69, v[54:55]
	s_andn2_b64 s[26:27], s[26:27], exec
	s_or_b64 s[22:23], s[22:23], exec
	s_or_b64 s[24:25], s[24:25], exec
	s_waitcnt vmcnt(0) lgkmcnt(0)
	v_cmp_ngt_f32_e64 s[2:3], v68, v69
	v_cmp_lt_f32_e64 s[0:1], v68, v69
	s_and_b64 s[2:3], s[2:3], s[28:29]
	v_cmp_nlg_f32_e64 s[4:5], v68, v69
	s_or_b64 s[2:3], s[0:1], s[2:3]
	s_and_saveexec_b64 s[30:31], s[4:5]
	s_cbranch_execz .LBB878_194
; %bb.196:                              ;   in Loop: Header=BB878_195 Depth=1
	v_lshl_add_u64 v[66:67], v[66:67], 0, -1
	v_cmp_eq_u64_e64 s[0:1], 0, v[66:67]
	s_andn2_b64 s[4:5], s[26:27], exec
	s_and_b64 s[26:27], s[2:3], exec
	s_or_b64 s[26:27], s[4:5], s[26:27]
	s_andn2_b64 s[4:5], s[24:25], exec
	s_and_b64 s[0:1], s[0:1], exec
	v_lshl_add_u64 v[54:55], v[54:55], 0, 4
	v_lshl_add_u64 v[64:65], v[64:65], 0, 4
	s_andn2_b64 s[22:23], s[22:23], exec
	s_or_b64 s[24:25], s[4:5], s[0:1]
                                        ; implicit-def: $sgpr28_sgpr29
	s_branch .LBB878_194
.LBB878_197:
	s_or_b64 exec, exec, s[18:19]
	s_and_saveexec_b64 s[0:1], s[20:21]
	s_xor_b64 s[0:1], exec, s[0:1]
; %bb.198:
	v_cndmask_b32_e64 v55, v13, v15, s[16:17]
	v_cndmask_b32_e64 v54, v12, v14, s[16:17]
	;; [unrolled: 1-line block ×4, first 2 shown]
	v_mov_b64_e32 v[12:13], v[54:55]
; %bb.199:
	s_or_b64 exec, exec, s[0:1]
	s_or_b64 exec, exec, s[10:11]
	s_and_saveexec_b64 s[10:11], vcc
	s_cbranch_execz .LBB878_31
.LBB878_200:
	v_mul_lo_u32 v64, v1, v6
	v_mul_lo_u32 v65, v0, v7
	v_mad_u64_u32 v[54:55], s[0:1], v0, v6, 0
	v_add3_u32 v55, v55, v65, v64
	v_mul_lo_u32 v66, v3, v6
	v_mul_lo_u32 v67, v2, v7
	v_mad_u64_u32 v[64:65], s[0:1], v2, v6, 0
	v_add3_u32 v65, v65, v67, v66
	v_lshl_add_u64 v[54:55], v[54:55], 2, v[8:9]
	v_lshl_add_u64 v[64:65], v[64:65], 2, v[8:9]
	s_mov_b64 s[18:19], 0
	v_mov_b64_e32 v[66:67], v[6:7]
                                        ; implicit-def: $sgpr16_sgpr17
                                        ; implicit-def: $sgpr20_sgpr21
                                        ; implicit-def: $sgpr24_sgpr25
                                        ; implicit-def: $sgpr22_sgpr23
                                        ; implicit-def: $sgpr26_sgpr27
                                        ; implicit-def: $sgpr28_sgpr29
	s_branch .LBB878_202
.LBB878_201:                            ;   in Loop: Header=BB878_202 Depth=1
	s_or_b64 exec, exec, s[30:31]
	s_and_b64 s[0:1], exec, s[24:25]
	s_or_b64 s[18:19], s[0:1], s[18:19]
	s_andn2_b64 s[0:1], s[28:29], exec
	s_and_b64 s[4:5], s[26:27], exec
	s_or_b64 s[28:29], s[0:1], s[4:5]
	s_andn2_b64 s[0:1], s[20:21], exec
	s_and_b64 s[4:5], s[22:23], exec
	;; [unrolled: 3-line block ×3, first 2 shown]
	s_or_b64 s[16:17], s[0:1], s[2:3]
	s_andn2_b64 exec, exec, s[18:19]
	s_cbranch_execz .LBB878_204
.LBB878_202:                            ; =>This Inner Loop Header: Depth=1
	flat_load_dword v68, v[64:65]
	flat_load_dword v69, v[54:55]
	s_andn2_b64 s[26:27], s[26:27], exec
	s_or_b64 s[22:23], s[22:23], exec
	s_or_b64 s[24:25], s[24:25], exec
	s_waitcnt vmcnt(0) lgkmcnt(0)
	v_cmp_ngt_f32_e64 s[2:3], v68, v69
	v_cmp_lt_f32_e64 s[0:1], v68, v69
	s_and_b64 s[2:3], s[2:3], s[28:29]
	v_cmp_nlg_f32_e64 s[4:5], v68, v69
	s_or_b64 s[2:3], s[0:1], s[2:3]
	s_and_saveexec_b64 s[30:31], s[4:5]
	s_cbranch_execz .LBB878_201
; %bb.203:                              ;   in Loop: Header=BB878_202 Depth=1
	v_lshl_add_u64 v[66:67], v[66:67], 0, -1
	v_cmp_eq_u64_e64 s[0:1], 0, v[66:67]
	s_andn2_b64 s[4:5], s[26:27], exec
	s_and_b64 s[26:27], s[2:3], exec
	s_or_b64 s[26:27], s[4:5], s[26:27]
	s_andn2_b64 s[4:5], s[24:25], exec
	s_and_b64 s[0:1], s[0:1], exec
	v_lshl_add_u64 v[54:55], v[54:55], 0, 4
	v_lshl_add_u64 v[64:65], v[64:65], 0, 4
	s_andn2_b64 s[22:23], s[22:23], exec
	s_or_b64 s[24:25], s[4:5], s[0:1]
                                        ; implicit-def: $sgpr28_sgpr29
	s_branch .LBB878_201
.LBB878_204:
	s_or_b64 exec, exec, s[18:19]
	s_and_saveexec_b64 s[0:1], s[20:21]
	s_xor_b64 s[0:1], exec, s[0:1]
; %bb.205:
	v_cndmask_b32_e64 v55, v1, v3, s[16:17]
	v_cndmask_b32_e64 v54, v0, v2, s[16:17]
	;; [unrolled: 1-line block ×4, first 2 shown]
	v_mov_b64_e32 v[0:1], v[54:55]
; %bb.206:
	s_or_b64 exec, exec, s[0:1]
	s_or_b64 exec, exec, s[10:11]
	s_and_saveexec_b64 s[10:11], vcc
	s_cbranch_execz .LBB878_226
.LBB878_207:
	v_mul_lo_u32 v64, v23, v6
	v_mul_lo_u32 v65, v22, v7
	v_mad_u64_u32 v[54:55], s[0:1], v22, v6, 0
	v_add3_u32 v55, v55, v65, v64
	v_mul_lo_u32 v66, v17, v6
	v_mul_lo_u32 v67, v16, v7
	v_mad_u64_u32 v[64:65], s[0:1], v16, v6, 0
	v_add3_u32 v65, v65, v67, v66
	v_lshl_add_u64 v[54:55], v[54:55], 2, v[8:9]
	v_lshl_add_u64 v[64:65], v[64:65], 2, v[8:9]
	s_mov_b64 s[18:19], 0
	v_mov_b64_e32 v[66:67], v[6:7]
                                        ; implicit-def: $sgpr16_sgpr17
                                        ; implicit-def: $sgpr20_sgpr21
                                        ; implicit-def: $sgpr24_sgpr25
                                        ; implicit-def: $sgpr22_sgpr23
                                        ; implicit-def: $sgpr26_sgpr27
                                        ; implicit-def: $sgpr28_sgpr29
	s_branch .LBB878_209
.LBB878_208:                            ;   in Loop: Header=BB878_209 Depth=1
	s_or_b64 exec, exec, s[30:31]
	s_and_b64 s[0:1], exec, s[24:25]
	s_or_b64 s[18:19], s[0:1], s[18:19]
	s_andn2_b64 s[0:1], s[28:29], exec
	s_and_b64 s[4:5], s[26:27], exec
	s_or_b64 s[28:29], s[0:1], s[4:5]
	s_andn2_b64 s[0:1], s[20:21], exec
	s_and_b64 s[4:5], s[22:23], exec
	s_or_b64 s[20:21], s[0:1], s[4:5]
	s_andn2_b64 s[0:1], s[16:17], exec
	s_and_b64 s[2:3], s[2:3], exec
	s_or_b64 s[16:17], s[0:1], s[2:3]
	s_andn2_b64 exec, exec, s[18:19]
	s_cbranch_execz .LBB878_211
.LBB878_209:                            ; =>This Inner Loop Header: Depth=1
	flat_load_dword v68, v[64:65]
	flat_load_dword v69, v[54:55]
	s_andn2_b64 s[26:27], s[26:27], exec
	s_or_b64 s[22:23], s[22:23], exec
	s_or_b64 s[24:25], s[24:25], exec
	s_waitcnt vmcnt(0) lgkmcnt(0)
	v_cmp_ngt_f32_e64 s[2:3], v68, v69
	v_cmp_lt_f32_e64 s[0:1], v68, v69
	s_and_b64 s[2:3], s[2:3], s[28:29]
	v_cmp_nlg_f32_e64 s[4:5], v68, v69
	s_or_b64 s[2:3], s[0:1], s[2:3]
	s_and_saveexec_b64 s[30:31], s[4:5]
	s_cbranch_execz .LBB878_208
; %bb.210:                              ;   in Loop: Header=BB878_209 Depth=1
	v_lshl_add_u64 v[66:67], v[66:67], 0, -1
	v_cmp_eq_u64_e64 s[0:1], 0, v[66:67]
	s_andn2_b64 s[4:5], s[26:27], exec
	s_and_b64 s[26:27], s[2:3], exec
	s_or_b64 s[26:27], s[4:5], s[26:27]
	s_andn2_b64 s[4:5], s[24:25], exec
	s_and_b64 s[0:1], s[0:1], exec
	v_lshl_add_u64 v[54:55], v[54:55], 0, 4
	v_lshl_add_u64 v[64:65], v[64:65], 0, 4
	s_andn2_b64 s[22:23], s[22:23], exec
	s_or_b64 s[24:25], s[4:5], s[0:1]
                                        ; implicit-def: $sgpr28_sgpr29
	s_branch .LBB878_208
.LBB878_211:
	s_or_b64 exec, exec, s[18:19]
	s_and_saveexec_b64 s[0:1], s[20:21]
	s_xor_b64 s[0:1], exec, s[0:1]
; %bb.212:
	v_cndmask_b32_e64 v55, v23, v17, s[16:17]
	v_cndmask_b32_e64 v54, v22, v16, s[16:17]
	;; [unrolled: 1-line block ×4, first 2 shown]
	v_mov_b64_e32 v[22:23], v[54:55]
; %bb.213:
	s_or_b64 exec, exec, s[0:1]
	v_mul_lo_u32 v64, v19, v6
	v_mul_lo_u32 v65, v18, v7
	v_mad_u64_u32 v[54:55], s[0:1], v18, v6, 0
	v_add3_u32 v55, v55, v65, v64
	v_mul_lo_u32 v66, v13, v6
	v_mul_lo_u32 v67, v12, v7
	v_mad_u64_u32 v[64:65], s[0:1], v12, v6, 0
	v_add3_u32 v65, v65, v67, v66
	v_lshl_add_u64 v[54:55], v[54:55], 2, v[8:9]
	v_lshl_add_u64 v[64:65], v[64:65], 2, v[8:9]
	s_mov_b64 s[18:19], 0
	v_mov_b64_e32 v[66:67], v[6:7]
                                        ; implicit-def: $sgpr16_sgpr17
                                        ; implicit-def: $sgpr20_sgpr21
                                        ; implicit-def: $sgpr24_sgpr25
                                        ; implicit-def: $sgpr22_sgpr23
                                        ; implicit-def: $sgpr26_sgpr27
                                        ; implicit-def: $sgpr28_sgpr29
	s_branch .LBB878_215
.LBB878_214:                            ;   in Loop: Header=BB878_215 Depth=1
	s_or_b64 exec, exec, s[30:31]
	s_and_b64 s[0:1], exec, s[24:25]
	s_or_b64 s[18:19], s[0:1], s[18:19]
	s_andn2_b64 s[0:1], s[28:29], exec
	s_and_b64 s[4:5], s[26:27], exec
	s_or_b64 s[28:29], s[0:1], s[4:5]
	s_andn2_b64 s[0:1], s[20:21], exec
	s_and_b64 s[4:5], s[22:23], exec
	s_or_b64 s[20:21], s[0:1], s[4:5]
	s_andn2_b64 s[0:1], s[16:17], exec
	s_and_b64 s[2:3], s[2:3], exec
	s_or_b64 s[16:17], s[0:1], s[2:3]
	s_andn2_b64 exec, exec, s[18:19]
	s_cbranch_execz .LBB878_217
.LBB878_215:                            ; =>This Inner Loop Header: Depth=1
	flat_load_dword v68, v[64:65]
	flat_load_dword v69, v[54:55]
	s_andn2_b64 s[26:27], s[26:27], exec
	s_or_b64 s[22:23], s[22:23], exec
	s_or_b64 s[24:25], s[24:25], exec
	s_waitcnt vmcnt(0) lgkmcnt(0)
	v_cmp_ngt_f32_e64 s[2:3], v68, v69
	v_cmp_lt_f32_e64 s[0:1], v68, v69
	s_and_b64 s[2:3], s[2:3], s[28:29]
	v_cmp_nlg_f32_e64 s[4:5], v68, v69
	s_or_b64 s[2:3], s[0:1], s[2:3]
	s_and_saveexec_b64 s[30:31], s[4:5]
	s_cbranch_execz .LBB878_214
; %bb.216:                              ;   in Loop: Header=BB878_215 Depth=1
	v_lshl_add_u64 v[66:67], v[66:67], 0, -1
	v_cmp_eq_u64_e64 s[0:1], 0, v[66:67]
	s_andn2_b64 s[4:5], s[26:27], exec
	s_and_b64 s[26:27], s[2:3], exec
	s_or_b64 s[26:27], s[4:5], s[26:27]
	s_andn2_b64 s[4:5], s[24:25], exec
	s_and_b64 s[0:1], s[0:1], exec
	v_lshl_add_u64 v[54:55], v[54:55], 0, 4
	v_lshl_add_u64 v[64:65], v[64:65], 0, 4
	s_andn2_b64 s[22:23], s[22:23], exec
	s_or_b64 s[24:25], s[4:5], s[0:1]
                                        ; implicit-def: $sgpr28_sgpr29
	s_branch .LBB878_214
.LBB878_217:
	s_or_b64 exec, exec, s[18:19]
	s_and_saveexec_b64 s[0:1], s[20:21]
	s_xor_b64 s[0:1], exec, s[0:1]
; %bb.218:
	v_cndmask_b32_e64 v55, v19, v13, s[16:17]
	v_cndmask_b32_e64 v54, v18, v12, s[16:17]
	;; [unrolled: 1-line block ×4, first 2 shown]
	v_mov_b64_e32 v[18:19], v[54:55]
; %bb.219:
	s_or_b64 exec, exec, s[0:1]
	v_mul_lo_u32 v64, v15, v6
	v_mul_lo_u32 v65, v14, v7
	v_mad_u64_u32 v[54:55], s[0:1], v14, v6, 0
	v_add3_u32 v55, v55, v65, v64
	v_mul_lo_u32 v66, v1, v6
	v_mul_lo_u32 v67, v0, v7
	v_mad_u64_u32 v[64:65], s[0:1], v0, v6, 0
	v_add3_u32 v65, v65, v67, v66
	v_lshl_add_u64 v[54:55], v[54:55], 2, v[8:9]
	v_lshl_add_u64 v[64:65], v[64:65], 2, v[8:9]
	s_mov_b64 s[20:21], 0
	v_mov_b64_e32 v[66:67], v[6:7]
                                        ; implicit-def: $sgpr16_sgpr17
                                        ; implicit-def: $sgpr18_sgpr19
                                        ; implicit-def: $sgpr24_sgpr25
                                        ; implicit-def: $sgpr22_sgpr23
                                        ; implicit-def: $sgpr26_sgpr27
                                        ; implicit-def: $sgpr28_sgpr29
	s_branch .LBB878_221
.LBB878_220:                            ;   in Loop: Header=BB878_221 Depth=1
	s_or_b64 exec, exec, s[30:31]
	s_and_b64 s[0:1], exec, s[24:25]
	s_or_b64 s[20:21], s[0:1], s[20:21]
	s_andn2_b64 s[0:1], s[28:29], exec
	s_and_b64 s[4:5], s[26:27], exec
	s_or_b64 s[28:29], s[0:1], s[4:5]
	s_andn2_b64 s[0:1], s[18:19], exec
	s_and_b64 s[4:5], s[22:23], exec
	;; [unrolled: 3-line block ×3, first 2 shown]
	s_or_b64 s[16:17], s[0:1], s[2:3]
	s_andn2_b64 exec, exec, s[20:21]
	s_cbranch_execz .LBB878_223
.LBB878_221:                            ; =>This Inner Loop Header: Depth=1
	flat_load_dword v68, v[64:65]
	flat_load_dword v69, v[54:55]
	s_andn2_b64 s[26:27], s[26:27], exec
	s_or_b64 s[22:23], s[22:23], exec
	s_or_b64 s[24:25], s[24:25], exec
	s_waitcnt vmcnt(0) lgkmcnt(0)
	v_cmp_ngt_f32_e64 s[2:3], v68, v69
	v_cmp_lt_f32_e64 s[0:1], v68, v69
	s_and_b64 s[2:3], s[2:3], s[28:29]
	v_cmp_nlg_f32_e64 s[4:5], v68, v69
	s_or_b64 s[2:3], s[0:1], s[2:3]
	s_and_saveexec_b64 s[30:31], s[4:5]
	s_cbranch_execz .LBB878_220
; %bb.222:                              ;   in Loop: Header=BB878_221 Depth=1
	v_lshl_add_u64 v[66:67], v[66:67], 0, -1
	v_cmp_eq_u64_e64 s[0:1], 0, v[66:67]
	s_andn2_b64 s[4:5], s[26:27], exec
	s_and_b64 s[26:27], s[2:3], exec
	s_or_b64 s[26:27], s[4:5], s[26:27]
	s_andn2_b64 s[4:5], s[24:25], exec
	s_and_b64 s[0:1], s[0:1], exec
	v_lshl_add_u64 v[54:55], v[54:55], 0, 4
	v_lshl_add_u64 v[64:65], v[64:65], 0, 4
	s_andn2_b64 s[22:23], s[22:23], exec
	s_or_b64 s[24:25], s[4:5], s[0:1]
                                        ; implicit-def: $sgpr28_sgpr29
	s_branch .LBB878_220
.LBB878_223:
	s_or_b64 exec, exec, s[20:21]
	s_and_saveexec_b64 s[0:1], s[18:19]
	s_xor_b64 s[0:1], exec, s[0:1]
; %bb.224:
	v_cndmask_b32_e64 v55, v15, v1, s[16:17]
	v_cndmask_b32_e64 v54, v14, v0, s[16:17]
	;; [unrolled: 1-line block ×4, first 2 shown]
	v_mov_b64_e32 v[14:15], v[54:55]
; %bb.225:
	s_or_b64 exec, exec, s[0:1]
.LBB878_226:
	s_or_b64 exec, exec, s[10:11]
.LBB878_227:
	s_or_b64 exec, exec, s[6:7]
	v_mbcnt_lo_u32_b32 v54, -1, 0
	v_mbcnt_hi_u32_b32 v64, -1, v54
	v_and_b32_e32 v66, 0xfffffe00, v31
	s_movk_i32 s0, 0x800
	v_mov_b32_e32 v67, 0
	v_sub_u32_e64 v31, s0, v66 clamp
	v_lshl_add_u64 v[54:55], v[66:67], 3, v[10:11]
	v_lshlrev_b32_e32 v98, 3, v64
	v_lshlrev_b32_e32 v66, 6, v64
	v_lshl_add_u64 v[64:65], v[54:55], 0, v[66:67]
	v_or_b32_e32 v66, 8, v98
	v_min_u32_e32 v99, v31, v66
	v_add_u32_e32 v66, 8, v99
	v_and_b32_e32 v101, 0x3f0, v98
	v_min_u32_e32 v100, v31, v66
	v_and_b32_e32 v66, 8, v98
	v_min_u32_e32 v102, v31, v66
	v_sub_u32_e32 v66, v99, v101
	v_sub_u32_e32 v68, v100, v99
	v_sub_u32_e64 v103, v102, v68 clamp
	v_min_u32_e32 v112, v102, v66
	v_cmp_lt_u32_e64 s[0:1], v103, v112
	flat_store_dwordx4 v[64:65], v[20:23]
	flat_store_dwordx4 v[64:65], v[16:19] offset:16
	flat_store_dwordx4 v[64:65], v[12:15] offset:32
	;; [unrolled: 1-line block ×3, first 2 shown]
	; wave barrier
	s_and_saveexec_b64 s[6:7], s[0:1]
	s_cbranch_execz .LBB878_237
; %bb.228:
	v_lshlrev_b32_e32 v66, 3, v101
	v_lshl_add_u64 v[68:69], v[54:55], 0, v[66:67]
	v_lshlrev_b32_e32 v66, 3, v99
	v_lshl_add_u64 v[70:71], v[54:55], 0, v[66:67]
	v_lshlrev_b64 v[80:81], 2, v[6:7]
	s_mov_b64 s[10:11], 0
	s_branch .LBB878_231
.LBB878_229:                            ;   in Loop: Header=BB878_231 Depth=1
	s_or_b64 exec, exec, s[18:19]
	s_and_b64 s[0:1], s[20:21], exec
.LBB878_230:                            ;   in Loop: Header=BB878_231 Depth=1
	s_or_b64 exec, exec, s[16:17]
	v_add_u32_e32 v66, 1, v82
	v_cndmask_b32_e64 v112, v112, v82, s[0:1]
	v_cndmask_b32_e64 v103, v66, v103, s[0:1]
	v_cmp_ge_u32_e64 s[0:1], v103, v112
	s_or_b64 s[10:11], s[0:1], s[10:11]
	s_andn2_b64 exec, exec, s[10:11]
	s_cbranch_execz .LBB878_236
.LBB878_231:                            ; =>This Loop Header: Depth=1
                                        ;     Child Loop BB878_234 Depth 2
	v_add_u32_e32 v66, v112, v103
	v_lshrrev_b32_e32 v82, 1, v66
	s_mov_b64 s[0:1], 0
	s_and_saveexec_b64 s[16:17], vcc
	s_cbranch_execz .LBB878_230
; %bb.232:                              ;   in Loop: Header=BB878_231 Depth=1
	v_mov_b32_e32 v83, v67
	v_xad_u32 v66, v82, -1, v102
	v_lshl_add_u64 v[84:85], v[82:83], 3, v[68:69]
	v_lshl_add_u64 v[86:87], v[66:67], 3, v[70:71]
	flat_load_dwordx2 v[84:85], v[84:85]
	s_mov_b64 s[18:19], 0
	flat_load_dwordx2 v[86:87], v[86:87]
                                        ; implicit-def: $sgpr20_sgpr21
                                        ; implicit-def: $sgpr22_sgpr23
                                        ; implicit-def: $sgpr24_sgpr25
                                        ; implicit-def: $sgpr2_sgpr3
                                        ; implicit-def: $sgpr26_sgpr27
	s_waitcnt vmcnt(0) lgkmcnt(0)
	v_mul_lo_u32 v66, v80, v85
	v_mul_lo_u32 v83, v81, v84
	v_mad_u64_u32 v[84:85], s[0:1], v80, v84, v[8:9]
	v_mul_lo_u32 v96, v80, v87
	v_mul_lo_u32 v97, v81, v86
	v_mad_u64_u32 v[86:87], s[0:1], v80, v86, v[8:9]
	v_add3_u32 v85, v83, v85, v66
	v_add3_u32 v87, v97, v87, v96
	v_mov_b64_e32 v[96:97], v[6:7]
	s_branch .LBB878_234
.LBB878_233:                            ;   in Loop: Header=BB878_234 Depth=2
	s_or_b64 exec, exec, s[28:29]
	s_and_b64 s[0:1], exec, s[22:23]
	s_or_b64 s[18:19], s[0:1], s[18:19]
	s_andn2_b64 s[0:1], s[26:27], exec
	s_and_b64 s[4:5], s[24:25], exec
	s_or_b64 s[26:27], s[0:1], s[4:5]
	s_andn2_b64 s[0:1], s[20:21], exec
	s_and_b64 s[4:5], s[2:3], exec
	s_or_b64 s[20:21], s[0:1], s[4:5]
	s_andn2_b64 exec, exec, s[18:19]
	s_cbranch_execz .LBB878_229
.LBB878_234:                            ;   Parent Loop BB878_231 Depth=1
                                        ; =>  This Inner Loop Header: Depth=2
	flat_load_dword v66, v[86:87]
	flat_load_dword v83, v[84:85]
	s_andn2_b64 s[28:29], s[2:3], exec
	s_andn2_b64 s[24:25], s[24:25], exec
	s_or_b64 s[22:23], s[22:23], exec
	s_waitcnt vmcnt(0) lgkmcnt(0)
	v_cmp_ngt_f32_e64 s[2:3], v66, v83
	v_cmp_lt_f32_e64 s[0:1], v66, v83
	s_and_b64 s[2:3], s[2:3], s[26:27]
	s_or_b64 s[30:31], s[0:1], s[2:3]
	s_and_b64 s[0:1], s[30:31], exec
	v_cmp_nlg_f32_e64 s[4:5], v66, v83
	s_or_b64 s[2:3], s[28:29], s[0:1]
	s_and_saveexec_b64 s[28:29], s[4:5]
	s_cbranch_execz .LBB878_233
; %bb.235:                              ;   in Loop: Header=BB878_234 Depth=2
	v_lshl_add_u64 v[96:97], v[96:97], 0, -1
	v_cmp_eq_u64_e64 s[0:1], 0, v[96:97]
	s_andn2_b64 s[4:5], s[24:25], exec
	s_and_b64 s[24:25], s[30:31], exec
	s_or_b64 s[24:25], s[4:5], s[24:25]
	s_andn2_b64 s[4:5], s[22:23], exec
	s_and_b64 s[0:1], s[0:1], exec
	v_lshl_add_u64 v[84:85], v[84:85], 0, 4
	v_lshl_add_u64 v[86:87], v[86:87], 0, 4
	s_andn2_b64 s[2:3], s[2:3], exec
	s_or_b64 s[22:23], s[4:5], s[0:1]
                                        ; implicit-def: $sgpr26_sgpr27
	s_branch .LBB878_233
.LBB878_236:
	s_or_b64 exec, exec, s[10:11]
.LBB878_237:
	s_or_b64 exec, exec, s[6:7]
	v_add_u32_e32 v67, v99, v102
	v_add_u32_e32 v66, v103, v101
	v_sub_u32_e32 v68, v67, v103
	v_cmp_le_u32_e64 s[4:5], v66, v99
	v_cmp_le_u32_e64 s[6:7], v68, v100
	v_cmp_gt_i64_e64 s[0:1], 1, v[6:7]
	v_cmp_lt_i64_e64 s[2:3], 0, v[6:7]
	s_or_b64 s[4:5], s[4:5], s[6:7]
	s_and_saveexec_b64 s[16:17], s[4:5]
	s_cbranch_execz .LBB878_309
; %bb.238:
	v_cmp_ge_u32_e64 s[4:5], v66, v99
	v_cmp_lt_u32_e64 s[6:7], v66, v99
                                        ; implicit-def: $vgpr0_vgpr1
	s_and_saveexec_b64 s[10:11], s[6:7]
	s_cbranch_execz .LBB878_240
; %bb.239:
	v_mov_b32_e32 v67, 0
	v_lshl_add_u64 v[0:1], v[66:67], 3, v[54:55]
	flat_load_dwordx2 v[0:1], v[0:1]
.LBB878_240:
	s_or_b64 exec, exec, s[10:11]
	v_cmp_ge_u32_e64 s[18:19], v68, v100
	v_cmp_lt_u32_e64 s[6:7], v68, v100
                                        ; implicit-def: $vgpr2_vgpr3
	s_and_saveexec_b64 s[10:11], s[6:7]
	s_cbranch_execz .LBB878_242
; %bb.241:
	v_mov_b32_e32 v69, 0
	v_lshl_add_u64 v[2:3], v[68:69], 3, v[54:55]
	flat_load_dwordx2 v[2:3], v[2:3]
.LBB878_242:
	s_or_b64 exec, exec, s[10:11]
	s_or_b64 s[4:5], s[4:5], s[18:19]
	s_xor_b64 s[4:5], s[4:5], -1
	s_and_saveexec_b64 s[20:21], s[4:5]
	s_cbranch_execz .LBB878_250
; %bb.243:
	s_mov_b64 s[4:5], 0
	s_and_saveexec_b64 s[22:23], s[2:3]
	s_cbranch_execz .LBB878_249
; %bb.244:
	s_waitcnt vmcnt(0) lgkmcnt(0)
	v_mul_lo_u32 v14, v1, v6
	v_mul_lo_u32 v15, v0, v7
	v_mad_u64_u32 v[12:13], s[4:5], v0, v6, 0
	v_add3_u32 v13, v13, v15, v14
	v_mul_lo_u32 v16, v3, v6
	v_mul_lo_u32 v17, v2, v7
	v_mad_u64_u32 v[14:15], s[4:5], v2, v6, 0
	v_add3_u32 v15, v15, v17, v16
	v_lshl_add_u64 v[12:13], v[12:13], 2, v[8:9]
	v_lshl_add_u64 v[14:15], v[14:15], 2, v[8:9]
	s_mov_b64 s[24:25], 0
	v_mov_b64_e32 v[16:17], v[6:7]
                                        ; implicit-def: $sgpr26_sgpr27
                                        ; implicit-def: $sgpr28_sgpr29
                                        ; implicit-def: $sgpr30_sgpr31
                                        ; implicit-def: $sgpr6_sgpr7
                                        ; implicit-def: $sgpr34_sgpr35
	s_branch .LBB878_246
.LBB878_245:                            ;   in Loop: Header=BB878_246 Depth=1
	s_or_b64 exec, exec, s[36:37]
	s_and_b64 s[4:5], exec, s[28:29]
	s_or_b64 s[24:25], s[4:5], s[24:25]
	s_andn2_b64 s[4:5], s[34:35], exec
	s_and_b64 s[10:11], s[30:31], exec
	s_or_b64 s[34:35], s[4:5], s[10:11]
	s_andn2_b64 s[4:5], s[26:27], exec
	s_and_b64 s[10:11], s[6:7], exec
	s_or_b64 s[26:27], s[4:5], s[10:11]
	s_andn2_b64 exec, exec, s[24:25]
	s_cbranch_execz .LBB878_248
.LBB878_246:                            ; =>This Inner Loop Header: Depth=1
	flat_load_dword v18, v[14:15]
	flat_load_dword v19, v[12:13]
	s_andn2_b64 s[36:37], s[6:7], exec
	s_andn2_b64 s[30:31], s[30:31], exec
	s_or_b64 s[28:29], s[28:29], exec
	s_waitcnt vmcnt(0) lgkmcnt(0)
	v_cmp_ngt_f32_e64 s[6:7], v18, v19
	v_cmp_lt_f32_e64 s[4:5], v18, v19
	s_and_b64 s[6:7], s[6:7], s[34:35]
	s_or_b64 s[38:39], s[4:5], s[6:7]
	s_and_b64 s[4:5], s[38:39], exec
	v_cmp_nlg_f32_e64 s[10:11], v18, v19
	s_or_b64 s[6:7], s[36:37], s[4:5]
	s_and_saveexec_b64 s[36:37], s[10:11]
	s_cbranch_execz .LBB878_245
; %bb.247:                              ;   in Loop: Header=BB878_246 Depth=1
	v_lshl_add_u64 v[16:17], v[16:17], 0, -1
	v_cmp_eq_u64_e64 s[4:5], 0, v[16:17]
	s_andn2_b64 s[10:11], s[30:31], exec
	s_and_b64 s[30:31], s[38:39], exec
	s_or_b64 s[30:31], s[10:11], s[30:31]
	s_andn2_b64 s[10:11], s[28:29], exec
	s_and_b64 s[4:5], s[4:5], exec
	v_lshl_add_u64 v[12:13], v[12:13], 0, 4
	v_lshl_add_u64 v[14:15], v[14:15], 0, 4
	s_andn2_b64 s[6:7], s[6:7], exec
	s_or_b64 s[28:29], s[10:11], s[4:5]
                                        ; implicit-def: $sgpr34_sgpr35
	s_branch .LBB878_245
.LBB878_248:
	s_or_b64 exec, exec, s[24:25]
	s_and_b64 s[4:5], s[26:27], exec
.LBB878_249:
	s_or_b64 exec, exec, s[22:23]
	s_xor_b64 s[4:5], s[4:5], -1
	s_andn2_b64 s[6:7], s[18:19], exec
	s_and_b64 s[4:5], s[4:5], exec
	s_or_b64 s[18:19], s[6:7], s[4:5]
.LBB878_250:
	s_or_b64 exec, exec, s[20:21]
	v_cndmask_b32_e64 v12, v68, v66, s[18:19]
	v_cndmask_b32_e64 v13, v100, v99, s[18:19]
	v_add_u32_e32 v16, 1, v12
	v_add_u32_e32 v12, -1, v13
	v_min_u32_e32 v12, v16, v12
	v_mov_b32_e32 v13, 0
	v_lshl_add_u64 v[14:15], v[12:13], 3, v[54:55]
	flat_load_dwordx2 v[14:15], v[14:15]
	v_cndmask_b32_e64 v23, v16, v68, s[18:19]
	s_mov_b64 s[20:21], -1
	v_cndmask_b32_e64 v66, v66, v16, s[18:19]
	v_cmp_lt_u32_e64 s[4:5], v23, v100
	s_mov_b64 s[22:23], -1
	s_waitcnt vmcnt(0) lgkmcnt(0)
	v_cndmask_b32_e64 v20, v15, v3, s[18:19]
	v_cndmask_b32_e64 v21, v14, v2, s[18:19]
	;; [unrolled: 1-line block ×4, first 2 shown]
	s_and_saveexec_b64 s[24:25], s[4:5]
	s_cbranch_execz .LBB878_260
; %bb.251:
	v_cmp_lt_u32_e64 s[4:5], v66, v99
	s_mov_b64 s[6:7], 0
	s_and_saveexec_b64 s[22:23], s[4:5]
	s_cbranch_execz .LBB878_259
; %bb.252:
	s_mov_b64 s[4:5], 0
	s_and_saveexec_b64 s[26:27], s[2:3]
	s_cbranch_execz .LBB878_258
; %bb.253:
	v_mul_lo_u32 v12, v22, v6
	v_mul_lo_u32 v16, v68, v7
	v_mad_u64_u32 v[14:15], s[4:5], v68, v6, 0
	v_add3_u32 v15, v15, v16, v12
	v_mul_lo_u32 v12, v20, v6
	v_mul_lo_u32 v18, v21, v7
	v_mad_u64_u32 v[16:17], s[4:5], v21, v6, 0
	v_add3_u32 v17, v17, v18, v12
	v_lshl_add_u64 v[14:15], v[14:15], 2, v[8:9]
	v_lshl_add_u64 v[16:17], v[16:17], 2, v[8:9]
	s_mov_b64 s[28:29], 0
	v_mov_b64_e32 v[18:19], v[6:7]
                                        ; implicit-def: $sgpr30_sgpr31
                                        ; implicit-def: $sgpr34_sgpr35
                                        ; implicit-def: $sgpr36_sgpr37
                                        ; implicit-def: $sgpr6_sgpr7
                                        ; implicit-def: $sgpr38_sgpr39
	s_branch .LBB878_255
.LBB878_254:                            ;   in Loop: Header=BB878_255 Depth=1
	s_or_b64 exec, exec, s[40:41]
	s_and_b64 s[4:5], exec, s[34:35]
	s_or_b64 s[28:29], s[4:5], s[28:29]
	s_andn2_b64 s[4:5], s[38:39], exec
	s_and_b64 s[10:11], s[36:37], exec
	s_or_b64 s[38:39], s[4:5], s[10:11]
	s_andn2_b64 s[4:5], s[30:31], exec
	s_and_b64 s[10:11], s[6:7], exec
	s_or_b64 s[30:31], s[4:5], s[10:11]
	s_andn2_b64 exec, exec, s[28:29]
	s_cbranch_execz .LBB878_257
.LBB878_255:                            ; =>This Inner Loop Header: Depth=1
	flat_load_dword v12, v[16:17]
	flat_load_dword v67, v[14:15]
	s_andn2_b64 s[40:41], s[6:7], exec
	s_andn2_b64 s[36:37], s[36:37], exec
	s_or_b64 s[34:35], s[34:35], exec
	s_waitcnt vmcnt(0) lgkmcnt(0)
	v_cmp_ngt_f32_e64 s[6:7], v12, v67
	v_cmp_lt_f32_e64 s[4:5], v12, v67
	s_and_b64 s[6:7], s[6:7], s[38:39]
	s_or_b64 s[42:43], s[4:5], s[6:7]
	s_and_b64 s[4:5], s[42:43], exec
	v_cmp_nlg_f32_e64 s[10:11], v12, v67
	s_or_b64 s[6:7], s[40:41], s[4:5]
	s_and_saveexec_b64 s[40:41], s[10:11]
	s_cbranch_execz .LBB878_254
; %bb.256:                              ;   in Loop: Header=BB878_255 Depth=1
	v_lshl_add_u64 v[18:19], v[18:19], 0, -1
	v_cmp_eq_u64_e64 s[4:5], 0, v[18:19]
	s_andn2_b64 s[10:11], s[36:37], exec
	s_and_b64 s[36:37], s[42:43], exec
	s_or_b64 s[36:37], s[10:11], s[36:37]
	s_andn2_b64 s[10:11], s[34:35], exec
	s_and_b64 s[4:5], s[4:5], exec
	v_lshl_add_u64 v[14:15], v[14:15], 0, 4
	v_lshl_add_u64 v[16:17], v[16:17], 0, 4
	s_andn2_b64 s[6:7], s[6:7], exec
	s_or_b64 s[34:35], s[10:11], s[4:5]
                                        ; implicit-def: $sgpr38_sgpr39
	s_branch .LBB878_254
.LBB878_257:
	s_or_b64 exec, exec, s[28:29]
	s_and_b64 s[4:5], s[30:31], exec
.LBB878_258:
	s_or_b64 exec, exec, s[26:27]
	s_xor_b64 s[4:5], s[4:5], -1
	s_and_b64 s[6:7], s[4:5], exec
.LBB878_259:
	s_or_b64 exec, exec, s[22:23]
	s_orn2_b64 s[22:23], s[6:7], exec
.LBB878_260:
	s_or_b64 exec, exec, s[24:25]
	v_cndmask_b32_e64 v12, v23, v66, s[22:23]
	v_cndmask_b32_e64 v14, v100, v99, s[22:23]
	v_add_u32_e32 v15, 1, v12
	v_add_u32_e32 v12, -1, v14
	v_min_u32_e32 v12, v15, v12
	v_lshl_add_u64 v[12:13], v[12:13], 3, v[54:55]
	flat_load_dwordx2 v[12:13], v[12:13]
	v_cndmask_b32_e64 v18, v15, v23, s[22:23]
	v_cndmask_b32_e64 v19, v66, v15, s[22:23]
	v_cmp_lt_u32_e64 s[4:5], v18, v100
	s_waitcnt vmcnt(0) lgkmcnt(0)
	v_cndmask_b32_e64 v23, v13, v20, s[22:23]
	v_cndmask_b32_e64 v69, v12, v21, s[22:23]
	;; [unrolled: 1-line block ×4, first 2 shown]
	s_and_saveexec_b64 s[24:25], s[4:5]
	s_cbranch_execz .LBB878_268
; %bb.261:
	v_cmp_lt_u32_e64 s[20:21], v19, v99
	s_xor_b64 s[4:5], s[0:1], -1
	s_and_b64 s[4:5], s[20:21], s[4:5]
	s_and_saveexec_b64 s[26:27], s[4:5]
	s_cbranch_execz .LBB878_267
; %bb.262:
	v_mul_lo_u32 v14, v70, v6
	v_mul_lo_u32 v15, v71, v7
	v_mad_u64_u32 v[12:13], s[4:5], v71, v6, 0
	v_add3_u32 v13, v13, v15, v14
	v_mul_lo_u32 v16, v23, v6
	v_mul_lo_u32 v17, v69, v7
	v_mad_u64_u32 v[14:15], s[4:5], v69, v6, 0
	v_add3_u32 v15, v15, v17, v16
	v_lshl_add_u64 v[12:13], v[12:13], 2, v[8:9]
	v_lshl_add_u64 v[14:15], v[14:15], 2, v[8:9]
	s_mov_b64 s[28:29], 0
	v_mov_b64_e32 v[16:17], v[6:7]
                                        ; implicit-def: $sgpr30_sgpr31
                                        ; implicit-def: $sgpr34_sgpr35
                                        ; implicit-def: $sgpr6_sgpr7
                                        ; implicit-def: $sgpr36_sgpr37
                                        ; implicit-def: $sgpr38_sgpr39
	s_branch .LBB878_264
.LBB878_263:                            ;   in Loop: Header=BB878_264 Depth=1
	s_or_b64 exec, exec, s[40:41]
	s_and_b64 s[4:5], exec, s[34:35]
	s_or_b64 s[28:29], s[4:5], s[28:29]
	s_andn2_b64 s[4:5], s[38:39], exec
	s_and_b64 s[10:11], s[36:37], exec
	s_or_b64 s[38:39], s[4:5], s[10:11]
	s_andn2_b64 s[4:5], s[30:31], exec
	s_and_b64 s[10:11], s[6:7], exec
	s_or_b64 s[30:31], s[4:5], s[10:11]
	s_andn2_b64 exec, exec, s[28:29]
	s_cbranch_execz .LBB878_266
.LBB878_264:                            ; =>This Inner Loop Header: Depth=1
	flat_load_dword v66, v[14:15]
	flat_load_dword v67, v[12:13]
	s_andn2_b64 s[40:41], s[6:7], exec
	s_andn2_b64 s[36:37], s[36:37], exec
	s_or_b64 s[34:35], s[34:35], exec
	s_waitcnt vmcnt(0) lgkmcnt(0)
	v_cmp_ngt_f32_e64 s[6:7], v66, v67
	v_cmp_lt_f32_e64 s[4:5], v66, v67
	s_and_b64 s[6:7], s[6:7], s[38:39]
	s_or_b64 s[42:43], s[4:5], s[6:7]
	s_and_b64 s[4:5], s[42:43], exec
	v_cmp_nlg_f32_e64 s[10:11], v66, v67
	s_or_b64 s[6:7], s[40:41], s[4:5]
	s_and_saveexec_b64 s[40:41], s[10:11]
	s_cbranch_execz .LBB878_263
; %bb.265:                              ;   in Loop: Header=BB878_264 Depth=1
	v_lshl_add_u64 v[16:17], v[16:17], 0, -1
	v_cmp_eq_u64_e64 s[4:5], 0, v[16:17]
	s_andn2_b64 s[10:11], s[36:37], exec
	s_and_b64 s[36:37], s[42:43], exec
	s_or_b64 s[36:37], s[10:11], s[36:37]
	s_andn2_b64 s[10:11], s[34:35], exec
	s_and_b64 s[4:5], s[4:5], exec
	v_lshl_add_u64 v[12:13], v[12:13], 0, 4
	v_lshl_add_u64 v[14:15], v[14:15], 0, 4
	s_andn2_b64 s[6:7], s[6:7], exec
	s_or_b64 s[34:35], s[10:11], s[4:5]
                                        ; implicit-def: $sgpr38_sgpr39
	s_branch .LBB878_263
.LBB878_266:
	s_or_b64 exec, exec, s[28:29]
	s_xor_b64 s[4:5], s[30:31], -1
	s_andn2_b64 s[6:7], s[20:21], exec
	s_and_b64 s[4:5], s[4:5], exec
	s_or_b64 s[20:21], s[6:7], s[4:5]
.LBB878_267:
	s_or_b64 exec, exec, s[26:27]
	s_orn2_b64 s[20:21], s[20:21], exec
.LBB878_268:
	s_or_b64 exec, exec, s[24:25]
	v_cndmask_b32_e64 v12, v18, v19, s[20:21]
	v_cndmask_b32_e64 v13, v100, v99, s[20:21]
	v_add_u32_e32 v16, 1, v12
	v_add_u32_e32 v12, -1, v13
	v_min_u32_e32 v12, v16, v12
	v_mov_b32_e32 v13, 0
	v_lshl_add_u64 v[14:15], v[12:13], 3, v[54:55]
	flat_load_dwordx2 v[14:15], v[14:15]
	v_cndmask_b32_e64 v66, v16, v18, s[20:21]
	s_mov_b64 s[24:25], -1
	v_cndmask_b32_e64 v67, v19, v16, s[20:21]
	v_cmp_lt_u32_e64 s[4:5], v66, v100
	s_mov_b64 s[26:27], -1
	s_waitcnt vmcnt(0) lgkmcnt(0)
	v_cndmask_b32_e64 v80, v15, v23, s[20:21]
	v_cndmask_b32_e64 v81, v14, v69, s[20:21]
	;; [unrolled: 1-line block ×4, first 2 shown]
	s_and_saveexec_b64 s[28:29], s[4:5]
	s_cbranch_execz .LBB878_276
; %bb.269:
	v_cmp_lt_u32_e64 s[26:27], v67, v99
	s_xor_b64 s[4:5], s[0:1], -1
	s_and_b64 s[4:5], s[26:27], s[4:5]
	s_and_saveexec_b64 s[30:31], s[4:5]
	s_cbranch_execz .LBB878_275
; %bb.270:
	v_mul_lo_u32 v12, v82, v6
	v_mul_lo_u32 v16, v83, v7
	v_mad_u64_u32 v[14:15], s[4:5], v83, v6, 0
	v_add3_u32 v15, v15, v16, v12
	v_mul_lo_u32 v12, v80, v6
	v_mul_lo_u32 v18, v81, v7
	v_mad_u64_u32 v[16:17], s[4:5], v81, v6, 0
	v_add3_u32 v17, v17, v18, v12
	v_lshl_add_u64 v[14:15], v[14:15], 2, v[8:9]
	v_lshl_add_u64 v[16:17], v[16:17], 2, v[8:9]
	s_mov_b64 s[34:35], 0
	v_mov_b64_e32 v[18:19], v[6:7]
                                        ; implicit-def: $sgpr36_sgpr37
                                        ; implicit-def: $sgpr38_sgpr39
                                        ; implicit-def: $sgpr6_sgpr7
                                        ; implicit-def: $sgpr40_sgpr41
                                        ; implicit-def: $sgpr42_sgpr43
	s_branch .LBB878_272
.LBB878_271:                            ;   in Loop: Header=BB878_272 Depth=1
	s_or_b64 exec, exec, s[44:45]
	s_and_b64 s[4:5], exec, s[38:39]
	s_or_b64 s[34:35], s[4:5], s[34:35]
	s_andn2_b64 s[4:5], s[42:43], exec
	s_and_b64 s[10:11], s[40:41], exec
	s_or_b64 s[42:43], s[4:5], s[10:11]
	s_andn2_b64 s[4:5], s[36:37], exec
	s_and_b64 s[10:11], s[6:7], exec
	s_or_b64 s[36:37], s[4:5], s[10:11]
	s_andn2_b64 exec, exec, s[34:35]
	s_cbranch_execz .LBB878_274
.LBB878_272:                            ; =>This Inner Loop Header: Depth=1
	flat_load_dword v12, v[16:17]
	flat_load_dword v84, v[14:15]
	s_andn2_b64 s[44:45], s[6:7], exec
	s_andn2_b64 s[40:41], s[40:41], exec
	s_or_b64 s[38:39], s[38:39], exec
	s_waitcnt vmcnt(0) lgkmcnt(0)
	v_cmp_ngt_f32_e64 s[6:7], v12, v84
	v_cmp_lt_f32_e64 s[4:5], v12, v84
	s_and_b64 s[6:7], s[6:7], s[42:43]
	s_or_b64 s[46:47], s[4:5], s[6:7]
	s_and_b64 s[4:5], s[46:47], exec
	v_cmp_nlg_f32_e64 s[10:11], v12, v84
	s_or_b64 s[6:7], s[44:45], s[4:5]
	s_and_saveexec_b64 s[44:45], s[10:11]
	s_cbranch_execz .LBB878_271
; %bb.273:                              ;   in Loop: Header=BB878_272 Depth=1
	v_lshl_add_u64 v[18:19], v[18:19], 0, -1
	v_cmp_eq_u64_e64 s[4:5], 0, v[18:19]
	s_andn2_b64 s[10:11], s[40:41], exec
	s_and_b64 s[40:41], s[46:47], exec
	s_or_b64 s[40:41], s[10:11], s[40:41]
	s_andn2_b64 s[10:11], s[38:39], exec
	s_and_b64 s[4:5], s[4:5], exec
	v_lshl_add_u64 v[14:15], v[14:15], 0, 4
	v_lshl_add_u64 v[16:17], v[16:17], 0, 4
	s_andn2_b64 s[6:7], s[6:7], exec
	s_or_b64 s[38:39], s[10:11], s[4:5]
                                        ; implicit-def: $sgpr42_sgpr43
	s_branch .LBB878_271
.LBB878_274:
	s_or_b64 exec, exec, s[34:35]
	s_xor_b64 s[4:5], s[36:37], -1
	s_andn2_b64 s[6:7], s[26:27], exec
	s_and_b64 s[4:5], s[4:5], exec
	s_or_b64 s[26:27], s[6:7], s[4:5]
.LBB878_275:
	s_or_b64 exec, exec, s[30:31]
	s_orn2_b64 s[26:27], s[26:27], exec
.LBB878_276:
	s_or_b64 exec, exec, s[28:29]
	v_cndmask_b32_e64 v12, v66, v67, s[26:27]
	v_cndmask_b32_e64 v14, v100, v99, s[26:27]
	v_add_u32_e32 v15, 1, v12
	v_add_u32_e32 v12, -1, v14
	v_min_u32_e32 v12, v15, v12
	v_lshl_add_u64 v[12:13], v[12:13], 3, v[54:55]
	flat_load_dwordx2 v[12:13], v[12:13]
	v_cndmask_b32_e64 v18, v15, v66, s[26:27]
	v_cndmask_b32_e64 v19, v67, v15, s[26:27]
	v_cmp_lt_u32_e64 s[4:5], v18, v100
	s_waitcnt vmcnt(0) lgkmcnt(0)
	v_cndmask_b32_e64 v84, v13, v80, s[26:27]
	v_cndmask_b32_e64 v85, v12, v81, s[26:27]
	;; [unrolled: 1-line block ×4, first 2 shown]
	s_and_saveexec_b64 s[28:29], s[4:5]
	s_cbranch_execz .LBB878_284
; %bb.277:
	v_cmp_lt_u32_e64 s[24:25], v19, v99
	s_xor_b64 s[4:5], s[0:1], -1
	s_and_b64 s[4:5], s[24:25], s[4:5]
	s_and_saveexec_b64 s[30:31], s[4:5]
	s_cbranch_execz .LBB878_283
; %bb.278:
	v_mul_lo_u32 v14, v86, v6
	v_mul_lo_u32 v15, v87, v7
	v_mad_u64_u32 v[12:13], s[4:5], v87, v6, 0
	v_add3_u32 v13, v13, v15, v14
	v_mul_lo_u32 v16, v84, v6
	v_mul_lo_u32 v17, v85, v7
	v_mad_u64_u32 v[14:15], s[4:5], v85, v6, 0
	v_add3_u32 v15, v15, v17, v16
	v_lshl_add_u64 v[12:13], v[12:13], 2, v[8:9]
	v_lshl_add_u64 v[14:15], v[14:15], 2, v[8:9]
	s_mov_b64 s[34:35], 0
	v_mov_b64_e32 v[16:17], v[6:7]
                                        ; implicit-def: $sgpr36_sgpr37
                                        ; implicit-def: $sgpr38_sgpr39
                                        ; implicit-def: $sgpr6_sgpr7
                                        ; implicit-def: $sgpr40_sgpr41
                                        ; implicit-def: $sgpr42_sgpr43
	s_branch .LBB878_280
.LBB878_279:                            ;   in Loop: Header=BB878_280 Depth=1
	s_or_b64 exec, exec, s[44:45]
	s_and_b64 s[4:5], exec, s[38:39]
	s_or_b64 s[34:35], s[4:5], s[34:35]
	s_andn2_b64 s[4:5], s[42:43], exec
	s_and_b64 s[10:11], s[40:41], exec
	s_or_b64 s[42:43], s[4:5], s[10:11]
	s_andn2_b64 s[4:5], s[36:37], exec
	s_and_b64 s[10:11], s[6:7], exec
	s_or_b64 s[36:37], s[4:5], s[10:11]
	s_andn2_b64 exec, exec, s[34:35]
	s_cbranch_execz .LBB878_282
.LBB878_280:                            ; =>This Inner Loop Header: Depth=1
	flat_load_dword v66, v[14:15]
	flat_load_dword v67, v[12:13]
	s_andn2_b64 s[44:45], s[6:7], exec
	s_andn2_b64 s[40:41], s[40:41], exec
	s_or_b64 s[38:39], s[38:39], exec
	s_waitcnt vmcnt(0) lgkmcnt(0)
	v_cmp_ngt_f32_e64 s[6:7], v66, v67
	v_cmp_lt_f32_e64 s[4:5], v66, v67
	s_and_b64 s[6:7], s[6:7], s[42:43]
	s_or_b64 s[46:47], s[4:5], s[6:7]
	s_and_b64 s[4:5], s[46:47], exec
	v_cmp_nlg_f32_e64 s[10:11], v66, v67
	s_or_b64 s[6:7], s[44:45], s[4:5]
	s_and_saveexec_b64 s[44:45], s[10:11]
	s_cbranch_execz .LBB878_279
; %bb.281:                              ;   in Loop: Header=BB878_280 Depth=1
	v_lshl_add_u64 v[16:17], v[16:17], 0, -1
	v_cmp_eq_u64_e64 s[4:5], 0, v[16:17]
	s_andn2_b64 s[10:11], s[40:41], exec
	s_and_b64 s[40:41], s[46:47], exec
	s_or_b64 s[40:41], s[10:11], s[40:41]
	s_andn2_b64 s[10:11], s[38:39], exec
	s_and_b64 s[4:5], s[4:5], exec
	v_lshl_add_u64 v[12:13], v[12:13], 0, 4
	v_lshl_add_u64 v[14:15], v[14:15], 0, 4
	s_andn2_b64 s[6:7], s[6:7], exec
	s_or_b64 s[38:39], s[10:11], s[4:5]
                                        ; implicit-def: $sgpr42_sgpr43
	s_branch .LBB878_279
.LBB878_282:
	s_or_b64 exec, exec, s[34:35]
	s_xor_b64 s[4:5], s[36:37], -1
	s_andn2_b64 s[6:7], s[24:25], exec
	s_and_b64 s[4:5], s[4:5], exec
	s_or_b64 s[24:25], s[6:7], s[4:5]
.LBB878_283:
	s_or_b64 exec, exec, s[30:31]
	s_orn2_b64 s[24:25], s[24:25], exec
.LBB878_284:
	s_or_b64 exec, exec, s[28:29]
	v_cndmask_b32_e64 v12, v18, v19, s[24:25]
	v_cndmask_b32_e64 v13, v100, v99, s[24:25]
	v_add_u32_e32 v16, 1, v12
	v_add_u32_e32 v12, -1, v13
	v_min_u32_e32 v12, v16, v12
	v_mov_b32_e32 v13, 0
	v_lshl_add_u64 v[14:15], v[12:13], 3, v[54:55]
	flat_load_dwordx2 v[14:15], v[14:15]
	v_cndmask_b32_e64 v66, v16, v18, s[24:25]
	s_mov_b64 s[28:29], -1
	v_cndmask_b32_e64 v67, v19, v16, s[24:25]
	v_cmp_lt_u32_e64 s[4:5], v66, v100
	s_mov_b64 s[30:31], -1
	s_waitcnt vmcnt(0) lgkmcnt(0)
	v_cndmask_b32_e64 v96, v15, v84, s[24:25]
	v_cndmask_b32_e64 v97, v14, v85, s[24:25]
	;; [unrolled: 1-line block ×4, first 2 shown]
	s_and_saveexec_b64 s[34:35], s[4:5]
	s_cbranch_execz .LBB878_292
; %bb.285:
	v_cmp_lt_u32_e64 s[30:31], v67, v99
	s_xor_b64 s[4:5], s[0:1], -1
	s_and_b64 s[4:5], s[30:31], s[4:5]
	s_and_saveexec_b64 s[36:37], s[4:5]
	s_cbranch_execz .LBB878_291
; %bb.286:
	v_mul_lo_u32 v12, v101, v6
	v_mul_lo_u32 v16, v102, v7
	v_mad_u64_u32 v[14:15], s[4:5], v102, v6, 0
	v_add3_u32 v15, v15, v16, v12
	v_mul_lo_u32 v12, v96, v6
	v_mul_lo_u32 v18, v97, v7
	v_mad_u64_u32 v[16:17], s[4:5], v97, v6, 0
	v_add3_u32 v17, v17, v18, v12
	v_lshl_add_u64 v[14:15], v[14:15], 2, v[8:9]
	v_lshl_add_u64 v[16:17], v[16:17], 2, v[8:9]
	s_mov_b64 s[38:39], 0
	v_mov_b64_e32 v[18:19], v[6:7]
                                        ; implicit-def: $sgpr40_sgpr41
                                        ; implicit-def: $sgpr42_sgpr43
                                        ; implicit-def: $sgpr6_sgpr7
                                        ; implicit-def: $sgpr44_sgpr45
                                        ; implicit-def: $sgpr46_sgpr47
	s_branch .LBB878_288
.LBB878_287:                            ;   in Loop: Header=BB878_288 Depth=1
	s_or_b64 exec, exec, s[48:49]
	s_and_b64 s[4:5], exec, s[42:43]
	s_or_b64 s[38:39], s[4:5], s[38:39]
	s_andn2_b64 s[4:5], s[46:47], exec
	s_and_b64 s[10:11], s[44:45], exec
	s_or_b64 s[46:47], s[4:5], s[10:11]
	s_andn2_b64 s[4:5], s[40:41], exec
	s_and_b64 s[10:11], s[6:7], exec
	s_or_b64 s[40:41], s[4:5], s[10:11]
	s_andn2_b64 exec, exec, s[38:39]
	s_cbranch_execz .LBB878_290
.LBB878_288:                            ; =>This Inner Loop Header: Depth=1
	flat_load_dword v12, v[16:17]
	flat_load_dword v103, v[14:15]
	s_andn2_b64 s[48:49], s[6:7], exec
	s_andn2_b64 s[44:45], s[44:45], exec
	s_or_b64 s[42:43], s[42:43], exec
	s_waitcnt vmcnt(0) lgkmcnt(0)
	v_cmp_ngt_f32_e64 s[6:7], v12, v103
	v_cmp_lt_f32_e64 s[4:5], v12, v103
	s_and_b64 s[6:7], s[6:7], s[46:47]
	s_or_b64 s[50:51], s[4:5], s[6:7]
	s_and_b64 s[4:5], s[50:51], exec
	v_cmp_nlg_f32_e64 s[10:11], v12, v103
	s_or_b64 s[6:7], s[48:49], s[4:5]
	s_and_saveexec_b64 s[48:49], s[10:11]
	s_cbranch_execz .LBB878_287
; %bb.289:                              ;   in Loop: Header=BB878_288 Depth=1
	v_lshl_add_u64 v[18:19], v[18:19], 0, -1
	v_cmp_eq_u64_e64 s[4:5], 0, v[18:19]
	s_andn2_b64 s[10:11], s[44:45], exec
	s_and_b64 s[44:45], s[50:51], exec
	s_or_b64 s[44:45], s[10:11], s[44:45]
	s_andn2_b64 s[10:11], s[42:43], exec
	s_and_b64 s[4:5], s[4:5], exec
	v_lshl_add_u64 v[14:15], v[14:15], 0, 4
	v_lshl_add_u64 v[16:17], v[16:17], 0, 4
	s_andn2_b64 s[6:7], s[6:7], exec
	s_or_b64 s[42:43], s[10:11], s[4:5]
                                        ; implicit-def: $sgpr46_sgpr47
	s_branch .LBB878_287
.LBB878_290:
	s_or_b64 exec, exec, s[38:39]
	s_xor_b64 s[4:5], s[40:41], -1
	s_andn2_b64 s[6:7], s[30:31], exec
	s_and_b64 s[4:5], s[4:5], exec
	s_or_b64 s[30:31], s[6:7], s[4:5]
.LBB878_291:
	s_or_b64 exec, exec, s[36:37]
	s_orn2_b64 s[30:31], s[30:31], exec
.LBB878_292:
	s_or_b64 exec, exec, s[34:35]
	v_cndmask_b32_e64 v12, v66, v67, s[30:31]
	v_cndmask_b32_e64 v14, v100, v99, s[30:31]
	v_add_u32_e32 v15, 1, v12
	v_add_u32_e32 v12, -1, v14
	v_min_u32_e32 v12, v15, v12
	v_lshl_add_u64 v[12:13], v[12:13], 3, v[54:55]
	flat_load_dwordx2 v[12:13], v[12:13]
	v_cndmask_b32_e64 v114, v15, v66, s[30:31]
	v_cndmask_b32_e64 v103, v67, v15, s[30:31]
	v_cmp_lt_u32_e64 s[4:5], v114, v100
	s_waitcnt vmcnt(0) lgkmcnt(0)
	v_cndmask_b32_e64 v112, v13, v96, s[30:31]
	v_cndmask_b32_e64 v113, v12, v97, s[30:31]
	v_cndmask_b32_e64 v115, v101, v13, s[30:31]
	v_cndmask_b32_e64 v116, v102, v12, s[30:31]
	s_and_saveexec_b64 s[34:35], s[4:5]
	s_cbranch_execz .LBB878_300
; %bb.293:
	v_cmp_lt_u32_e64 s[28:29], v103, v99
	s_xor_b64 s[4:5], s[0:1], -1
	s_and_b64 s[4:5], s[28:29], s[4:5]
	s_and_saveexec_b64 s[36:37], s[4:5]
	s_cbranch_execz .LBB878_299
; %bb.294:
	v_mul_lo_u32 v14, v115, v6
	v_mul_lo_u32 v15, v116, v7
	v_mad_u64_u32 v[12:13], s[4:5], v116, v6, 0
	v_add3_u32 v13, v13, v15, v14
	v_mul_lo_u32 v16, v112, v6
	v_mul_lo_u32 v17, v113, v7
	v_mad_u64_u32 v[14:15], s[4:5], v113, v6, 0
	v_add3_u32 v15, v15, v17, v16
	v_lshl_add_u64 v[12:13], v[12:13], 2, v[8:9]
	v_lshl_add_u64 v[14:15], v[14:15], 2, v[8:9]
	s_mov_b64 s[38:39], 0
	v_mov_b64_e32 v[16:17], v[6:7]
                                        ; implicit-def: $sgpr40_sgpr41
                                        ; implicit-def: $sgpr42_sgpr43
                                        ; implicit-def: $sgpr6_sgpr7
                                        ; implicit-def: $sgpr44_sgpr45
                                        ; implicit-def: $sgpr46_sgpr47
	s_branch .LBB878_296
.LBB878_295:                            ;   in Loop: Header=BB878_296 Depth=1
	s_or_b64 exec, exec, s[48:49]
	s_and_b64 s[4:5], exec, s[42:43]
	s_or_b64 s[38:39], s[4:5], s[38:39]
	s_andn2_b64 s[4:5], s[46:47], exec
	s_and_b64 s[10:11], s[44:45], exec
	s_or_b64 s[46:47], s[4:5], s[10:11]
	s_andn2_b64 s[4:5], s[40:41], exec
	s_and_b64 s[10:11], s[6:7], exec
	s_or_b64 s[40:41], s[4:5], s[10:11]
	s_andn2_b64 exec, exec, s[38:39]
	s_cbranch_execz .LBB878_298
.LBB878_296:                            ; =>This Inner Loop Header: Depth=1
	flat_load_dword v18, v[14:15]
	flat_load_dword v19, v[12:13]
	s_andn2_b64 s[48:49], s[6:7], exec
	s_andn2_b64 s[44:45], s[44:45], exec
	s_or_b64 s[42:43], s[42:43], exec
	s_waitcnt vmcnt(0) lgkmcnt(0)
	v_cmp_ngt_f32_e64 s[6:7], v18, v19
	v_cmp_lt_f32_e64 s[4:5], v18, v19
	s_and_b64 s[6:7], s[6:7], s[46:47]
	s_or_b64 s[50:51], s[4:5], s[6:7]
	s_and_b64 s[4:5], s[50:51], exec
	v_cmp_nlg_f32_e64 s[10:11], v18, v19
	s_or_b64 s[6:7], s[48:49], s[4:5]
	s_and_saveexec_b64 s[48:49], s[10:11]
	s_cbranch_execz .LBB878_295
; %bb.297:                              ;   in Loop: Header=BB878_296 Depth=1
	v_lshl_add_u64 v[16:17], v[16:17], 0, -1
	v_cmp_eq_u64_e64 s[4:5], 0, v[16:17]
	s_andn2_b64 s[10:11], s[44:45], exec
	s_and_b64 s[44:45], s[50:51], exec
	s_or_b64 s[44:45], s[10:11], s[44:45]
	s_andn2_b64 s[10:11], s[42:43], exec
	s_and_b64 s[4:5], s[4:5], exec
	v_lshl_add_u64 v[12:13], v[12:13], 0, 4
	v_lshl_add_u64 v[14:15], v[14:15], 0, 4
	s_andn2_b64 s[6:7], s[6:7], exec
	s_or_b64 s[42:43], s[10:11], s[4:5]
                                        ; implicit-def: $sgpr46_sgpr47
	s_branch .LBB878_295
.LBB878_298:
	s_or_b64 exec, exec, s[38:39]
	s_xor_b64 s[4:5], s[40:41], -1
	s_andn2_b64 s[6:7], s[28:29], exec
	s_and_b64 s[4:5], s[4:5], exec
	s_or_b64 s[28:29], s[6:7], s[4:5]
.LBB878_299:
	s_or_b64 exec, exec, s[36:37]
	s_orn2_b64 s[28:29], s[28:29], exec
.LBB878_300:
	s_or_b64 exec, exec, s[34:35]
	v_cndmask_b32_e64 v12, v114, v103, s[28:29]
	v_cndmask_b32_e64 v13, v100, v99, s[28:29]
	v_add_u32_e32 v117, 1, v12
	v_add_u32_e32 v12, -1, v13
	v_min_u32_e32 v12, v117, v12
	v_mov_b32_e32 v13, 0
	v_lshl_add_u64 v[12:13], v[12:13], 3, v[54:55]
	flat_load_dwordx2 v[66:67], v[12:13]
	v_cndmask_b32_e64 v17, v23, v70, s[20:21]
	v_cndmask_b32_e64 v23, v20, v22, s[22:23]
	;; [unrolled: 1-line block ×15, first 2 shown]
	v_cmp_lt_u32_e64 s[4:5], v68, v100
	s_waitcnt vmcnt(0) lgkmcnt(0)
	v_cndmask_b32_e64 v3, v115, v67, s[28:29]
	v_cndmask_b32_e64 v2, v116, v66, s[28:29]
	s_and_saveexec_b64 s[18:19], s[4:5]
	s_cbranch_execz .LBB878_308
; %bb.301:
	v_cndmask_b32_e64 v81, v66, v113, s[28:29]
	v_cndmask_b32_e64 v66, v103, v117, s[28:29]
	v_cmp_ge_u32_e64 s[4:5], v66, v99
	v_cndmask_b32_e64 v80, v67, v112, s[28:29]
	s_or_b64 s[6:7], s[4:5], s[0:1]
	v_cndmask_b32_e64 v67, v3, v80, s[4:5]
	s_xor_b64 s[6:7], s[6:7], -1
	v_cndmask_b32_e64 v66, v2, v81, s[4:5]
	s_and_saveexec_b64 s[20:21], s[6:7]
	s_cbranch_execz .LBB878_307
; %bb.302:
	v_mul_lo_u32 v68, v3, v6
	v_mul_lo_u32 v69, v2, v7
	v_mad_u64_u32 v[66:67], s[4:5], v2, v6, 0
	v_add3_u32 v67, v67, v69, v68
	v_mul_lo_u32 v70, v80, v6
	v_mul_lo_u32 v71, v81, v7
	v_mad_u64_u32 v[68:69], s[4:5], v81, v6, 0
	v_add3_u32 v69, v69, v71, v70
	v_lshl_add_u64 v[66:67], v[66:67], 2, v[8:9]
	v_lshl_add_u64 v[68:69], v[68:69], 2, v[8:9]
	s_mov_b64 s[22:23], 0
	v_mov_b64_e32 v[70:71], v[6:7]
                                        ; implicit-def: $sgpr24_sgpr25
                                        ; implicit-def: $sgpr26_sgpr27
                                        ; implicit-def: $sgpr6_sgpr7
                                        ; implicit-def: $sgpr28_sgpr29
                                        ; implicit-def: $sgpr30_sgpr31
	s_branch .LBB878_304
.LBB878_303:                            ;   in Loop: Header=BB878_304 Depth=1
	s_or_b64 exec, exec, s[34:35]
	s_and_b64 s[4:5], exec, s[26:27]
	s_or_b64 s[22:23], s[4:5], s[22:23]
	s_andn2_b64 s[4:5], s[30:31], exec
	s_and_b64 s[10:11], s[28:29], exec
	s_or_b64 s[30:31], s[4:5], s[10:11]
	s_andn2_b64 s[4:5], s[24:25], exec
	s_and_b64 s[10:11], s[6:7], exec
	s_or_b64 s[24:25], s[4:5], s[10:11]
	s_andn2_b64 exec, exec, s[22:23]
	s_cbranch_execz .LBB878_306
.LBB878_304:                            ; =>This Inner Loop Header: Depth=1
	flat_load_dword v82, v[68:69]
	flat_load_dword v83, v[66:67]
	s_andn2_b64 s[34:35], s[6:7], exec
	s_andn2_b64 s[28:29], s[28:29], exec
	s_or_b64 s[26:27], s[26:27], exec
	s_waitcnt vmcnt(0) lgkmcnt(0)
	v_cmp_ngt_f32_e64 s[6:7], v82, v83
	v_cmp_lt_f32_e64 s[4:5], v82, v83
	s_and_b64 s[6:7], s[6:7], s[30:31]
	s_or_b64 s[36:37], s[4:5], s[6:7]
	s_and_b64 s[4:5], s[36:37], exec
	v_cmp_nlg_f32_e64 s[10:11], v82, v83
	s_or_b64 s[6:7], s[34:35], s[4:5]
	s_and_saveexec_b64 s[34:35], s[10:11]
	s_cbranch_execz .LBB878_303
; %bb.305:                              ;   in Loop: Header=BB878_304 Depth=1
	v_lshl_add_u64 v[70:71], v[70:71], 0, -1
	v_cmp_eq_u64_e64 s[4:5], 0, v[70:71]
	s_andn2_b64 s[10:11], s[28:29], exec
	s_and_b64 s[28:29], s[36:37], exec
	s_or_b64 s[28:29], s[10:11], s[28:29]
	s_andn2_b64 s[10:11], s[26:27], exec
	s_and_b64 s[4:5], s[4:5], exec
	v_lshl_add_u64 v[66:67], v[66:67], 0, 4
	v_lshl_add_u64 v[68:69], v[68:69], 0, 4
	s_andn2_b64 s[6:7], s[6:7], exec
	s_or_b64 s[26:27], s[10:11], s[4:5]
                                        ; implicit-def: $sgpr30_sgpr31
	s_branch .LBB878_303
.LBB878_306:
	s_or_b64 exec, exec, s[22:23]
	v_cndmask_b32_e64 v67, v3, v80, s[24:25]
	v_cndmask_b32_e64 v66, v2, v81, s[24:25]
.LBB878_307:
	s_or_b64 exec, exec, s[20:21]
	v_mov_b64_e32 v[2:3], v[66:67]
.LBB878_308:
	s_or_b64 exec, exec, s[18:19]
.LBB878_309:
	s_or_b64 exec, exec, s[16:17]
	v_and_b32_e32 v101, 0x3e0, v98
	v_or_b32_e32 v66, 16, v101
	v_min_u32_e32 v99, v31, v66
	v_add_u32_e32 v66, 16, v99
	v_min_u32_e32 v100, v31, v66
	v_and_b32_e32 v66, 24, v98
	v_min_u32_e32 v102, v31, v66
	v_sub_u32_e32 v66, v99, v101
	v_sub_u32_e32 v67, v100, v99
	v_sub_u32_e64 v103, v102, v67 clamp
	v_min_u32_e32 v112, v102, v66
	v_cmp_lt_u32_e64 s[4:5], v103, v112
	; wave barrier
	flat_store_dwordx4 v[64:65], v[20:23]
	flat_store_dwordx4 v[64:65], v[16:19] offset:16
	flat_store_dwordx4 v[64:65], v[12:15] offset:32
	;; [unrolled: 1-line block ×3, first 2 shown]
	; wave barrier
	s_and_saveexec_b64 s[16:17], s[4:5]
	s_cbranch_execz .LBB878_319
; %bb.310:
	v_lshlrev_b32_e32 v66, 3, v101
	v_mov_b32_e32 v67, 0
	v_lshl_add_u64 v[68:69], v[54:55], 0, v[66:67]
	v_lshlrev_b32_e32 v66, 3, v99
	v_lshl_add_u64 v[70:71], v[54:55], 0, v[66:67]
	v_lshlrev_b64 v[80:81], 2, v[6:7]
	s_mov_b64 s[18:19], 0
	s_branch .LBB878_313
.LBB878_311:                            ;   in Loop: Header=BB878_313 Depth=1
	s_or_b64 exec, exec, s[22:23]
	s_and_b64 s[4:5], s[24:25], exec
.LBB878_312:                            ;   in Loop: Header=BB878_313 Depth=1
	s_or_b64 exec, exec, s[20:21]
	v_add_u32_e32 v66, 1, v82
	v_cndmask_b32_e64 v112, v112, v82, s[4:5]
	v_cndmask_b32_e64 v103, v66, v103, s[4:5]
	v_cmp_ge_u32_e64 s[4:5], v103, v112
	s_or_b64 s[18:19], s[4:5], s[18:19]
	s_andn2_b64 exec, exec, s[18:19]
	s_cbranch_execz .LBB878_318
.LBB878_313:                            ; =>This Loop Header: Depth=1
                                        ;     Child Loop BB878_316 Depth 2
	v_add_u32_e32 v66, v112, v103
	v_lshrrev_b32_e32 v82, 1, v66
	s_mov_b64 s[4:5], 0
	s_and_saveexec_b64 s[20:21], vcc
	s_cbranch_execz .LBB878_312
; %bb.314:                              ;   in Loop: Header=BB878_313 Depth=1
	v_mov_b32_e32 v83, v67
	v_xad_u32 v66, v82, -1, v102
	v_lshl_add_u64 v[84:85], v[82:83], 3, v[68:69]
	v_lshl_add_u64 v[86:87], v[66:67], 3, v[70:71]
	flat_load_dwordx2 v[84:85], v[84:85]
	s_mov_b64 s[22:23], 0
	flat_load_dwordx2 v[86:87], v[86:87]
                                        ; implicit-def: $sgpr24_sgpr25
                                        ; implicit-def: $sgpr26_sgpr27
                                        ; implicit-def: $sgpr28_sgpr29
                                        ; implicit-def: $sgpr6_sgpr7
                                        ; implicit-def: $sgpr30_sgpr31
	s_waitcnt vmcnt(0) lgkmcnt(0)
	v_mul_lo_u32 v66, v80, v85
	v_mul_lo_u32 v83, v81, v84
	v_mad_u64_u32 v[84:85], s[4:5], v80, v84, v[8:9]
	v_mul_lo_u32 v96, v80, v87
	v_mul_lo_u32 v97, v81, v86
	v_mad_u64_u32 v[86:87], s[4:5], v80, v86, v[8:9]
	v_add3_u32 v85, v83, v85, v66
	v_add3_u32 v87, v97, v87, v96
	v_mov_b64_e32 v[96:97], v[6:7]
	s_branch .LBB878_316
.LBB878_315:                            ;   in Loop: Header=BB878_316 Depth=2
	s_or_b64 exec, exec, s[34:35]
	s_and_b64 s[4:5], exec, s[26:27]
	s_or_b64 s[22:23], s[4:5], s[22:23]
	s_andn2_b64 s[4:5], s[30:31], exec
	s_and_b64 s[10:11], s[28:29], exec
	s_or_b64 s[30:31], s[4:5], s[10:11]
	s_andn2_b64 s[4:5], s[24:25], exec
	s_and_b64 s[10:11], s[6:7], exec
	s_or_b64 s[24:25], s[4:5], s[10:11]
	s_andn2_b64 exec, exec, s[22:23]
	s_cbranch_execz .LBB878_311
.LBB878_316:                            ;   Parent Loop BB878_313 Depth=1
                                        ; =>  This Inner Loop Header: Depth=2
	flat_load_dword v66, v[86:87]
	flat_load_dword v83, v[84:85]
	s_andn2_b64 s[34:35], s[6:7], exec
	s_andn2_b64 s[28:29], s[28:29], exec
	s_or_b64 s[26:27], s[26:27], exec
	s_waitcnt vmcnt(0) lgkmcnt(0)
	v_cmp_ngt_f32_e64 s[6:7], v66, v83
	v_cmp_lt_f32_e64 s[4:5], v66, v83
	s_and_b64 s[6:7], s[6:7], s[30:31]
	s_or_b64 s[36:37], s[4:5], s[6:7]
	s_and_b64 s[4:5], s[36:37], exec
	v_cmp_nlg_f32_e64 s[10:11], v66, v83
	s_or_b64 s[6:7], s[34:35], s[4:5]
	s_and_saveexec_b64 s[34:35], s[10:11]
	s_cbranch_execz .LBB878_315
; %bb.317:                              ;   in Loop: Header=BB878_316 Depth=2
	v_lshl_add_u64 v[96:97], v[96:97], 0, -1
	v_cmp_eq_u64_e64 s[4:5], 0, v[96:97]
	s_andn2_b64 s[10:11], s[28:29], exec
	s_and_b64 s[28:29], s[36:37], exec
	s_or_b64 s[28:29], s[10:11], s[28:29]
	s_andn2_b64 s[10:11], s[26:27], exec
	s_and_b64 s[4:5], s[4:5], exec
	v_lshl_add_u64 v[84:85], v[84:85], 0, 4
	v_lshl_add_u64 v[86:87], v[86:87], 0, 4
	s_andn2_b64 s[6:7], s[6:7], exec
	s_or_b64 s[26:27], s[10:11], s[4:5]
                                        ; implicit-def: $sgpr30_sgpr31
	s_branch .LBB878_315
.LBB878_318:
	s_or_b64 exec, exec, s[18:19]
.LBB878_319:
	s_or_b64 exec, exec, s[16:17]
	v_add_u32_e32 v67, v99, v102
	v_add_u32_e32 v66, v103, v101
	v_sub_u32_e32 v68, v67, v103
	v_cmp_le_u32_e64 s[4:5], v66, v99
	v_cmp_le_u32_e64 s[6:7], v68, v100
	s_or_b64 s[4:5], s[4:5], s[6:7]
	s_and_saveexec_b64 s[16:17], s[4:5]
	s_cbranch_execz .LBB878_391
; %bb.320:
	v_cmp_ge_u32_e64 s[4:5], v66, v99
	v_cmp_lt_u32_e64 s[6:7], v66, v99
                                        ; implicit-def: $vgpr0_vgpr1
	s_and_saveexec_b64 s[10:11], s[6:7]
	s_cbranch_execz .LBB878_322
; %bb.321:
	v_mov_b32_e32 v67, 0
	v_lshl_add_u64 v[0:1], v[66:67], 3, v[54:55]
	flat_load_dwordx2 v[0:1], v[0:1]
.LBB878_322:
	s_or_b64 exec, exec, s[10:11]
	v_cmp_ge_u32_e64 s[18:19], v68, v100
	v_cmp_lt_u32_e64 s[6:7], v68, v100
                                        ; implicit-def: $vgpr2_vgpr3
	s_and_saveexec_b64 s[10:11], s[6:7]
	s_cbranch_execz .LBB878_324
; %bb.323:
	v_mov_b32_e32 v69, 0
	v_lshl_add_u64 v[2:3], v[68:69], 3, v[54:55]
	flat_load_dwordx2 v[2:3], v[2:3]
.LBB878_324:
	s_or_b64 exec, exec, s[10:11]
	s_or_b64 s[4:5], s[4:5], s[18:19]
	s_xor_b64 s[4:5], s[4:5], -1
	s_and_saveexec_b64 s[20:21], s[4:5]
	s_cbranch_execz .LBB878_332
; %bb.325:
	s_mov_b64 s[4:5], 0
	s_and_saveexec_b64 s[22:23], s[2:3]
	s_cbranch_execz .LBB878_331
; %bb.326:
	s_waitcnt vmcnt(0) lgkmcnt(0)
	v_mul_lo_u32 v14, v1, v6
	v_mul_lo_u32 v15, v0, v7
	v_mad_u64_u32 v[12:13], s[4:5], v0, v6, 0
	v_add3_u32 v13, v13, v15, v14
	v_mul_lo_u32 v16, v3, v6
	v_mul_lo_u32 v17, v2, v7
	v_mad_u64_u32 v[14:15], s[4:5], v2, v6, 0
	v_add3_u32 v15, v15, v17, v16
	v_lshl_add_u64 v[12:13], v[12:13], 2, v[8:9]
	v_lshl_add_u64 v[14:15], v[14:15], 2, v[8:9]
	s_mov_b64 s[24:25], 0
	v_mov_b64_e32 v[16:17], v[6:7]
                                        ; implicit-def: $sgpr26_sgpr27
                                        ; implicit-def: $sgpr28_sgpr29
                                        ; implicit-def: $sgpr30_sgpr31
                                        ; implicit-def: $sgpr6_sgpr7
                                        ; implicit-def: $sgpr34_sgpr35
	s_branch .LBB878_328
.LBB878_327:                            ;   in Loop: Header=BB878_328 Depth=1
	s_or_b64 exec, exec, s[36:37]
	s_and_b64 s[4:5], exec, s[28:29]
	s_or_b64 s[24:25], s[4:5], s[24:25]
	s_andn2_b64 s[4:5], s[34:35], exec
	s_and_b64 s[10:11], s[30:31], exec
	s_or_b64 s[34:35], s[4:5], s[10:11]
	s_andn2_b64 s[4:5], s[26:27], exec
	s_and_b64 s[10:11], s[6:7], exec
	s_or_b64 s[26:27], s[4:5], s[10:11]
	s_andn2_b64 exec, exec, s[24:25]
	s_cbranch_execz .LBB878_330
.LBB878_328:                            ; =>This Inner Loop Header: Depth=1
	flat_load_dword v18, v[14:15]
	flat_load_dword v19, v[12:13]
	s_andn2_b64 s[36:37], s[6:7], exec
	s_andn2_b64 s[30:31], s[30:31], exec
	s_or_b64 s[28:29], s[28:29], exec
	s_waitcnt vmcnt(0) lgkmcnt(0)
	v_cmp_ngt_f32_e64 s[6:7], v18, v19
	v_cmp_lt_f32_e64 s[4:5], v18, v19
	s_and_b64 s[6:7], s[6:7], s[34:35]
	s_or_b64 s[38:39], s[4:5], s[6:7]
	s_and_b64 s[4:5], s[38:39], exec
	v_cmp_nlg_f32_e64 s[10:11], v18, v19
	s_or_b64 s[6:7], s[36:37], s[4:5]
	s_and_saveexec_b64 s[36:37], s[10:11]
	s_cbranch_execz .LBB878_327
; %bb.329:                              ;   in Loop: Header=BB878_328 Depth=1
	v_lshl_add_u64 v[16:17], v[16:17], 0, -1
	v_cmp_eq_u64_e64 s[4:5], 0, v[16:17]
	s_andn2_b64 s[10:11], s[30:31], exec
	s_and_b64 s[30:31], s[38:39], exec
	s_or_b64 s[30:31], s[10:11], s[30:31]
	s_andn2_b64 s[10:11], s[28:29], exec
	s_and_b64 s[4:5], s[4:5], exec
	v_lshl_add_u64 v[12:13], v[12:13], 0, 4
	v_lshl_add_u64 v[14:15], v[14:15], 0, 4
	s_andn2_b64 s[6:7], s[6:7], exec
	s_or_b64 s[28:29], s[10:11], s[4:5]
                                        ; implicit-def: $sgpr34_sgpr35
	s_branch .LBB878_327
.LBB878_330:
	s_or_b64 exec, exec, s[24:25]
	s_and_b64 s[4:5], s[26:27], exec
.LBB878_331:
	s_or_b64 exec, exec, s[22:23]
	s_xor_b64 s[4:5], s[4:5], -1
	s_andn2_b64 s[6:7], s[18:19], exec
	s_and_b64 s[4:5], s[4:5], exec
	s_or_b64 s[18:19], s[6:7], s[4:5]
.LBB878_332:
	s_or_b64 exec, exec, s[20:21]
	v_cndmask_b32_e64 v12, v68, v66, s[18:19]
	v_cndmask_b32_e64 v13, v100, v99, s[18:19]
	v_add_u32_e32 v16, 1, v12
	v_add_u32_e32 v12, -1, v13
	v_min_u32_e32 v12, v16, v12
	v_mov_b32_e32 v13, 0
	v_lshl_add_u64 v[14:15], v[12:13], 3, v[54:55]
	flat_load_dwordx2 v[14:15], v[14:15]
	v_cndmask_b32_e64 v23, v16, v68, s[18:19]
	s_mov_b64 s[20:21], -1
	v_cndmask_b32_e64 v66, v66, v16, s[18:19]
	v_cmp_lt_u32_e64 s[4:5], v23, v100
	s_mov_b64 s[22:23], -1
	s_waitcnt vmcnt(0) lgkmcnt(0)
	v_cndmask_b32_e64 v20, v15, v3, s[18:19]
	v_cndmask_b32_e64 v21, v14, v2, s[18:19]
	;; [unrolled: 1-line block ×4, first 2 shown]
	s_and_saveexec_b64 s[24:25], s[4:5]
	s_cbranch_execz .LBB878_342
; %bb.333:
	v_cmp_lt_u32_e64 s[4:5], v66, v99
	s_mov_b64 s[6:7], 0
	s_and_saveexec_b64 s[22:23], s[4:5]
	s_cbranch_execz .LBB878_341
; %bb.334:
	s_mov_b64 s[4:5], 0
	s_and_saveexec_b64 s[26:27], s[2:3]
	s_cbranch_execz .LBB878_340
; %bb.335:
	v_mul_lo_u32 v12, v22, v6
	v_mul_lo_u32 v16, v68, v7
	v_mad_u64_u32 v[14:15], s[4:5], v68, v6, 0
	v_add3_u32 v15, v15, v16, v12
	v_mul_lo_u32 v12, v20, v6
	v_mul_lo_u32 v18, v21, v7
	v_mad_u64_u32 v[16:17], s[4:5], v21, v6, 0
	v_add3_u32 v17, v17, v18, v12
	v_lshl_add_u64 v[14:15], v[14:15], 2, v[8:9]
	v_lshl_add_u64 v[16:17], v[16:17], 2, v[8:9]
	s_mov_b64 s[28:29], 0
	v_mov_b64_e32 v[18:19], v[6:7]
                                        ; implicit-def: $sgpr30_sgpr31
                                        ; implicit-def: $sgpr34_sgpr35
                                        ; implicit-def: $sgpr36_sgpr37
                                        ; implicit-def: $sgpr6_sgpr7
                                        ; implicit-def: $sgpr38_sgpr39
	s_branch .LBB878_337
.LBB878_336:                            ;   in Loop: Header=BB878_337 Depth=1
	s_or_b64 exec, exec, s[40:41]
	s_and_b64 s[4:5], exec, s[34:35]
	s_or_b64 s[28:29], s[4:5], s[28:29]
	s_andn2_b64 s[4:5], s[38:39], exec
	s_and_b64 s[10:11], s[36:37], exec
	s_or_b64 s[38:39], s[4:5], s[10:11]
	s_andn2_b64 s[4:5], s[30:31], exec
	s_and_b64 s[10:11], s[6:7], exec
	s_or_b64 s[30:31], s[4:5], s[10:11]
	s_andn2_b64 exec, exec, s[28:29]
	s_cbranch_execz .LBB878_339
.LBB878_337:                            ; =>This Inner Loop Header: Depth=1
	flat_load_dword v12, v[16:17]
	flat_load_dword v67, v[14:15]
	s_andn2_b64 s[40:41], s[6:7], exec
	s_andn2_b64 s[36:37], s[36:37], exec
	s_or_b64 s[34:35], s[34:35], exec
	s_waitcnt vmcnt(0) lgkmcnt(0)
	v_cmp_ngt_f32_e64 s[6:7], v12, v67
	v_cmp_lt_f32_e64 s[4:5], v12, v67
	s_and_b64 s[6:7], s[6:7], s[38:39]
	s_or_b64 s[42:43], s[4:5], s[6:7]
	s_and_b64 s[4:5], s[42:43], exec
	v_cmp_nlg_f32_e64 s[10:11], v12, v67
	s_or_b64 s[6:7], s[40:41], s[4:5]
	s_and_saveexec_b64 s[40:41], s[10:11]
	s_cbranch_execz .LBB878_336
; %bb.338:                              ;   in Loop: Header=BB878_337 Depth=1
	v_lshl_add_u64 v[18:19], v[18:19], 0, -1
	v_cmp_eq_u64_e64 s[4:5], 0, v[18:19]
	s_andn2_b64 s[10:11], s[36:37], exec
	s_and_b64 s[36:37], s[42:43], exec
	s_or_b64 s[36:37], s[10:11], s[36:37]
	s_andn2_b64 s[10:11], s[34:35], exec
	s_and_b64 s[4:5], s[4:5], exec
	v_lshl_add_u64 v[14:15], v[14:15], 0, 4
	v_lshl_add_u64 v[16:17], v[16:17], 0, 4
	s_andn2_b64 s[6:7], s[6:7], exec
	s_or_b64 s[34:35], s[10:11], s[4:5]
                                        ; implicit-def: $sgpr38_sgpr39
	s_branch .LBB878_336
.LBB878_339:
	s_or_b64 exec, exec, s[28:29]
	s_and_b64 s[4:5], s[30:31], exec
.LBB878_340:
	s_or_b64 exec, exec, s[26:27]
	s_xor_b64 s[4:5], s[4:5], -1
	s_and_b64 s[6:7], s[4:5], exec
.LBB878_341:
	s_or_b64 exec, exec, s[22:23]
	s_orn2_b64 s[22:23], s[6:7], exec
.LBB878_342:
	s_or_b64 exec, exec, s[24:25]
	v_cndmask_b32_e64 v12, v23, v66, s[22:23]
	v_cndmask_b32_e64 v14, v100, v99, s[22:23]
	v_add_u32_e32 v15, 1, v12
	v_add_u32_e32 v12, -1, v14
	v_min_u32_e32 v12, v15, v12
	v_lshl_add_u64 v[12:13], v[12:13], 3, v[54:55]
	flat_load_dwordx2 v[12:13], v[12:13]
	v_cndmask_b32_e64 v18, v15, v23, s[22:23]
	v_cndmask_b32_e64 v19, v66, v15, s[22:23]
	v_cmp_lt_u32_e64 s[4:5], v18, v100
	s_waitcnt vmcnt(0) lgkmcnt(0)
	v_cndmask_b32_e64 v23, v13, v20, s[22:23]
	v_cndmask_b32_e64 v69, v12, v21, s[22:23]
	;; [unrolled: 1-line block ×4, first 2 shown]
	s_and_saveexec_b64 s[24:25], s[4:5]
	s_cbranch_execz .LBB878_350
; %bb.343:
	v_cmp_lt_u32_e64 s[20:21], v19, v99
	s_xor_b64 s[4:5], s[0:1], -1
	s_and_b64 s[4:5], s[20:21], s[4:5]
	s_and_saveexec_b64 s[26:27], s[4:5]
	s_cbranch_execz .LBB878_349
; %bb.344:
	v_mul_lo_u32 v14, v70, v6
	v_mul_lo_u32 v15, v71, v7
	v_mad_u64_u32 v[12:13], s[4:5], v71, v6, 0
	v_add3_u32 v13, v13, v15, v14
	v_mul_lo_u32 v16, v23, v6
	v_mul_lo_u32 v17, v69, v7
	v_mad_u64_u32 v[14:15], s[4:5], v69, v6, 0
	v_add3_u32 v15, v15, v17, v16
	v_lshl_add_u64 v[12:13], v[12:13], 2, v[8:9]
	v_lshl_add_u64 v[14:15], v[14:15], 2, v[8:9]
	s_mov_b64 s[28:29], 0
	v_mov_b64_e32 v[16:17], v[6:7]
                                        ; implicit-def: $sgpr30_sgpr31
                                        ; implicit-def: $sgpr34_sgpr35
                                        ; implicit-def: $sgpr6_sgpr7
                                        ; implicit-def: $sgpr36_sgpr37
                                        ; implicit-def: $sgpr38_sgpr39
	s_branch .LBB878_346
.LBB878_345:                            ;   in Loop: Header=BB878_346 Depth=1
	s_or_b64 exec, exec, s[40:41]
	s_and_b64 s[4:5], exec, s[34:35]
	s_or_b64 s[28:29], s[4:5], s[28:29]
	s_andn2_b64 s[4:5], s[38:39], exec
	s_and_b64 s[10:11], s[36:37], exec
	s_or_b64 s[38:39], s[4:5], s[10:11]
	s_andn2_b64 s[4:5], s[30:31], exec
	s_and_b64 s[10:11], s[6:7], exec
	s_or_b64 s[30:31], s[4:5], s[10:11]
	s_andn2_b64 exec, exec, s[28:29]
	s_cbranch_execz .LBB878_348
.LBB878_346:                            ; =>This Inner Loop Header: Depth=1
	flat_load_dword v66, v[14:15]
	flat_load_dword v67, v[12:13]
	s_andn2_b64 s[40:41], s[6:7], exec
	s_andn2_b64 s[36:37], s[36:37], exec
	s_or_b64 s[34:35], s[34:35], exec
	s_waitcnt vmcnt(0) lgkmcnt(0)
	v_cmp_ngt_f32_e64 s[6:7], v66, v67
	v_cmp_lt_f32_e64 s[4:5], v66, v67
	s_and_b64 s[6:7], s[6:7], s[38:39]
	s_or_b64 s[42:43], s[4:5], s[6:7]
	s_and_b64 s[4:5], s[42:43], exec
	v_cmp_nlg_f32_e64 s[10:11], v66, v67
	s_or_b64 s[6:7], s[40:41], s[4:5]
	s_and_saveexec_b64 s[40:41], s[10:11]
	s_cbranch_execz .LBB878_345
; %bb.347:                              ;   in Loop: Header=BB878_346 Depth=1
	v_lshl_add_u64 v[16:17], v[16:17], 0, -1
	v_cmp_eq_u64_e64 s[4:5], 0, v[16:17]
	s_andn2_b64 s[10:11], s[36:37], exec
	s_and_b64 s[36:37], s[42:43], exec
	s_or_b64 s[36:37], s[10:11], s[36:37]
	s_andn2_b64 s[10:11], s[34:35], exec
	s_and_b64 s[4:5], s[4:5], exec
	v_lshl_add_u64 v[12:13], v[12:13], 0, 4
	v_lshl_add_u64 v[14:15], v[14:15], 0, 4
	s_andn2_b64 s[6:7], s[6:7], exec
	s_or_b64 s[34:35], s[10:11], s[4:5]
                                        ; implicit-def: $sgpr38_sgpr39
	s_branch .LBB878_345
.LBB878_348:
	s_or_b64 exec, exec, s[28:29]
	s_xor_b64 s[4:5], s[30:31], -1
	s_andn2_b64 s[6:7], s[20:21], exec
	s_and_b64 s[4:5], s[4:5], exec
	s_or_b64 s[20:21], s[6:7], s[4:5]
.LBB878_349:
	s_or_b64 exec, exec, s[26:27]
	s_orn2_b64 s[20:21], s[20:21], exec
.LBB878_350:
	s_or_b64 exec, exec, s[24:25]
	v_cndmask_b32_e64 v12, v18, v19, s[20:21]
	v_cndmask_b32_e64 v13, v100, v99, s[20:21]
	v_add_u32_e32 v16, 1, v12
	v_add_u32_e32 v12, -1, v13
	v_min_u32_e32 v12, v16, v12
	v_mov_b32_e32 v13, 0
	v_lshl_add_u64 v[14:15], v[12:13], 3, v[54:55]
	flat_load_dwordx2 v[14:15], v[14:15]
	v_cndmask_b32_e64 v66, v16, v18, s[20:21]
	s_mov_b64 s[24:25], -1
	v_cndmask_b32_e64 v67, v19, v16, s[20:21]
	v_cmp_lt_u32_e64 s[4:5], v66, v100
	s_mov_b64 s[26:27], -1
	s_waitcnt vmcnt(0) lgkmcnt(0)
	v_cndmask_b32_e64 v80, v15, v23, s[20:21]
	v_cndmask_b32_e64 v81, v14, v69, s[20:21]
	;; [unrolled: 1-line block ×4, first 2 shown]
	s_and_saveexec_b64 s[28:29], s[4:5]
	s_cbranch_execz .LBB878_358
; %bb.351:
	v_cmp_lt_u32_e64 s[26:27], v67, v99
	s_xor_b64 s[4:5], s[0:1], -1
	s_and_b64 s[4:5], s[26:27], s[4:5]
	s_and_saveexec_b64 s[30:31], s[4:5]
	s_cbranch_execz .LBB878_357
; %bb.352:
	v_mul_lo_u32 v12, v82, v6
	v_mul_lo_u32 v16, v83, v7
	v_mad_u64_u32 v[14:15], s[4:5], v83, v6, 0
	v_add3_u32 v15, v15, v16, v12
	v_mul_lo_u32 v12, v80, v6
	v_mul_lo_u32 v18, v81, v7
	v_mad_u64_u32 v[16:17], s[4:5], v81, v6, 0
	v_add3_u32 v17, v17, v18, v12
	v_lshl_add_u64 v[14:15], v[14:15], 2, v[8:9]
	v_lshl_add_u64 v[16:17], v[16:17], 2, v[8:9]
	s_mov_b64 s[34:35], 0
	v_mov_b64_e32 v[18:19], v[6:7]
                                        ; implicit-def: $sgpr36_sgpr37
                                        ; implicit-def: $sgpr38_sgpr39
                                        ; implicit-def: $sgpr6_sgpr7
                                        ; implicit-def: $sgpr40_sgpr41
                                        ; implicit-def: $sgpr42_sgpr43
	s_branch .LBB878_354
.LBB878_353:                            ;   in Loop: Header=BB878_354 Depth=1
	s_or_b64 exec, exec, s[44:45]
	s_and_b64 s[4:5], exec, s[38:39]
	s_or_b64 s[34:35], s[4:5], s[34:35]
	s_andn2_b64 s[4:5], s[42:43], exec
	s_and_b64 s[10:11], s[40:41], exec
	s_or_b64 s[42:43], s[4:5], s[10:11]
	s_andn2_b64 s[4:5], s[36:37], exec
	s_and_b64 s[10:11], s[6:7], exec
	s_or_b64 s[36:37], s[4:5], s[10:11]
	s_andn2_b64 exec, exec, s[34:35]
	s_cbranch_execz .LBB878_356
.LBB878_354:                            ; =>This Inner Loop Header: Depth=1
	flat_load_dword v12, v[16:17]
	flat_load_dword v84, v[14:15]
	s_andn2_b64 s[44:45], s[6:7], exec
	s_andn2_b64 s[40:41], s[40:41], exec
	s_or_b64 s[38:39], s[38:39], exec
	s_waitcnt vmcnt(0) lgkmcnt(0)
	v_cmp_ngt_f32_e64 s[6:7], v12, v84
	v_cmp_lt_f32_e64 s[4:5], v12, v84
	s_and_b64 s[6:7], s[6:7], s[42:43]
	s_or_b64 s[46:47], s[4:5], s[6:7]
	s_and_b64 s[4:5], s[46:47], exec
	v_cmp_nlg_f32_e64 s[10:11], v12, v84
	s_or_b64 s[6:7], s[44:45], s[4:5]
	s_and_saveexec_b64 s[44:45], s[10:11]
	s_cbranch_execz .LBB878_353
; %bb.355:                              ;   in Loop: Header=BB878_354 Depth=1
	v_lshl_add_u64 v[18:19], v[18:19], 0, -1
	v_cmp_eq_u64_e64 s[4:5], 0, v[18:19]
	s_andn2_b64 s[10:11], s[40:41], exec
	s_and_b64 s[40:41], s[46:47], exec
	s_or_b64 s[40:41], s[10:11], s[40:41]
	s_andn2_b64 s[10:11], s[38:39], exec
	s_and_b64 s[4:5], s[4:5], exec
	v_lshl_add_u64 v[14:15], v[14:15], 0, 4
	v_lshl_add_u64 v[16:17], v[16:17], 0, 4
	s_andn2_b64 s[6:7], s[6:7], exec
	s_or_b64 s[38:39], s[10:11], s[4:5]
                                        ; implicit-def: $sgpr42_sgpr43
	s_branch .LBB878_353
.LBB878_356:
	s_or_b64 exec, exec, s[34:35]
	s_xor_b64 s[4:5], s[36:37], -1
	s_andn2_b64 s[6:7], s[26:27], exec
	s_and_b64 s[4:5], s[4:5], exec
	s_or_b64 s[26:27], s[6:7], s[4:5]
.LBB878_357:
	s_or_b64 exec, exec, s[30:31]
	s_orn2_b64 s[26:27], s[26:27], exec
.LBB878_358:
	s_or_b64 exec, exec, s[28:29]
	v_cndmask_b32_e64 v12, v66, v67, s[26:27]
	v_cndmask_b32_e64 v14, v100, v99, s[26:27]
	v_add_u32_e32 v15, 1, v12
	v_add_u32_e32 v12, -1, v14
	v_min_u32_e32 v12, v15, v12
	v_lshl_add_u64 v[12:13], v[12:13], 3, v[54:55]
	flat_load_dwordx2 v[12:13], v[12:13]
	v_cndmask_b32_e64 v18, v15, v66, s[26:27]
	v_cndmask_b32_e64 v19, v67, v15, s[26:27]
	v_cmp_lt_u32_e64 s[4:5], v18, v100
	s_waitcnt vmcnt(0) lgkmcnt(0)
	v_cndmask_b32_e64 v84, v13, v80, s[26:27]
	v_cndmask_b32_e64 v85, v12, v81, s[26:27]
	;; [unrolled: 1-line block ×4, first 2 shown]
	s_and_saveexec_b64 s[28:29], s[4:5]
	s_cbranch_execz .LBB878_366
; %bb.359:
	v_cmp_lt_u32_e64 s[24:25], v19, v99
	s_xor_b64 s[4:5], s[0:1], -1
	s_and_b64 s[4:5], s[24:25], s[4:5]
	s_and_saveexec_b64 s[30:31], s[4:5]
	s_cbranch_execz .LBB878_365
; %bb.360:
	v_mul_lo_u32 v14, v86, v6
	v_mul_lo_u32 v15, v87, v7
	v_mad_u64_u32 v[12:13], s[4:5], v87, v6, 0
	v_add3_u32 v13, v13, v15, v14
	v_mul_lo_u32 v16, v84, v6
	v_mul_lo_u32 v17, v85, v7
	v_mad_u64_u32 v[14:15], s[4:5], v85, v6, 0
	v_add3_u32 v15, v15, v17, v16
	v_lshl_add_u64 v[12:13], v[12:13], 2, v[8:9]
	v_lshl_add_u64 v[14:15], v[14:15], 2, v[8:9]
	s_mov_b64 s[34:35], 0
	v_mov_b64_e32 v[16:17], v[6:7]
                                        ; implicit-def: $sgpr36_sgpr37
                                        ; implicit-def: $sgpr38_sgpr39
                                        ; implicit-def: $sgpr6_sgpr7
                                        ; implicit-def: $sgpr40_sgpr41
                                        ; implicit-def: $sgpr42_sgpr43
	s_branch .LBB878_362
.LBB878_361:                            ;   in Loop: Header=BB878_362 Depth=1
	s_or_b64 exec, exec, s[44:45]
	s_and_b64 s[4:5], exec, s[38:39]
	s_or_b64 s[34:35], s[4:5], s[34:35]
	s_andn2_b64 s[4:5], s[42:43], exec
	s_and_b64 s[10:11], s[40:41], exec
	s_or_b64 s[42:43], s[4:5], s[10:11]
	s_andn2_b64 s[4:5], s[36:37], exec
	s_and_b64 s[10:11], s[6:7], exec
	s_or_b64 s[36:37], s[4:5], s[10:11]
	s_andn2_b64 exec, exec, s[34:35]
	s_cbranch_execz .LBB878_364
.LBB878_362:                            ; =>This Inner Loop Header: Depth=1
	flat_load_dword v66, v[14:15]
	flat_load_dword v67, v[12:13]
	s_andn2_b64 s[44:45], s[6:7], exec
	s_andn2_b64 s[40:41], s[40:41], exec
	s_or_b64 s[38:39], s[38:39], exec
	s_waitcnt vmcnt(0) lgkmcnt(0)
	v_cmp_ngt_f32_e64 s[6:7], v66, v67
	v_cmp_lt_f32_e64 s[4:5], v66, v67
	s_and_b64 s[6:7], s[6:7], s[42:43]
	s_or_b64 s[46:47], s[4:5], s[6:7]
	s_and_b64 s[4:5], s[46:47], exec
	v_cmp_nlg_f32_e64 s[10:11], v66, v67
	s_or_b64 s[6:7], s[44:45], s[4:5]
	s_and_saveexec_b64 s[44:45], s[10:11]
	s_cbranch_execz .LBB878_361
; %bb.363:                              ;   in Loop: Header=BB878_362 Depth=1
	v_lshl_add_u64 v[16:17], v[16:17], 0, -1
	v_cmp_eq_u64_e64 s[4:5], 0, v[16:17]
	s_andn2_b64 s[10:11], s[40:41], exec
	s_and_b64 s[40:41], s[46:47], exec
	s_or_b64 s[40:41], s[10:11], s[40:41]
	s_andn2_b64 s[10:11], s[38:39], exec
	s_and_b64 s[4:5], s[4:5], exec
	v_lshl_add_u64 v[12:13], v[12:13], 0, 4
	v_lshl_add_u64 v[14:15], v[14:15], 0, 4
	s_andn2_b64 s[6:7], s[6:7], exec
	s_or_b64 s[38:39], s[10:11], s[4:5]
                                        ; implicit-def: $sgpr42_sgpr43
	s_branch .LBB878_361
.LBB878_364:
	s_or_b64 exec, exec, s[34:35]
	s_xor_b64 s[4:5], s[36:37], -1
	s_andn2_b64 s[6:7], s[24:25], exec
	s_and_b64 s[4:5], s[4:5], exec
	s_or_b64 s[24:25], s[6:7], s[4:5]
.LBB878_365:
	s_or_b64 exec, exec, s[30:31]
	s_orn2_b64 s[24:25], s[24:25], exec
.LBB878_366:
	s_or_b64 exec, exec, s[28:29]
	v_cndmask_b32_e64 v12, v18, v19, s[24:25]
	v_cndmask_b32_e64 v13, v100, v99, s[24:25]
	v_add_u32_e32 v16, 1, v12
	v_add_u32_e32 v12, -1, v13
	v_min_u32_e32 v12, v16, v12
	v_mov_b32_e32 v13, 0
	v_lshl_add_u64 v[14:15], v[12:13], 3, v[54:55]
	flat_load_dwordx2 v[14:15], v[14:15]
	v_cndmask_b32_e64 v66, v16, v18, s[24:25]
	s_mov_b64 s[28:29], -1
	v_cndmask_b32_e64 v67, v19, v16, s[24:25]
	v_cmp_lt_u32_e64 s[4:5], v66, v100
	s_mov_b64 s[30:31], -1
	s_waitcnt vmcnt(0) lgkmcnt(0)
	v_cndmask_b32_e64 v96, v15, v84, s[24:25]
	v_cndmask_b32_e64 v97, v14, v85, s[24:25]
	;; [unrolled: 1-line block ×4, first 2 shown]
	s_and_saveexec_b64 s[34:35], s[4:5]
	s_cbranch_execz .LBB878_374
; %bb.367:
	v_cmp_lt_u32_e64 s[30:31], v67, v99
	s_xor_b64 s[4:5], s[0:1], -1
	s_and_b64 s[4:5], s[30:31], s[4:5]
	s_and_saveexec_b64 s[36:37], s[4:5]
	s_cbranch_execz .LBB878_373
; %bb.368:
	v_mul_lo_u32 v12, v101, v6
	v_mul_lo_u32 v16, v102, v7
	v_mad_u64_u32 v[14:15], s[4:5], v102, v6, 0
	v_add3_u32 v15, v15, v16, v12
	v_mul_lo_u32 v12, v96, v6
	v_mul_lo_u32 v18, v97, v7
	v_mad_u64_u32 v[16:17], s[4:5], v97, v6, 0
	v_add3_u32 v17, v17, v18, v12
	v_lshl_add_u64 v[14:15], v[14:15], 2, v[8:9]
	v_lshl_add_u64 v[16:17], v[16:17], 2, v[8:9]
	s_mov_b64 s[38:39], 0
	v_mov_b64_e32 v[18:19], v[6:7]
                                        ; implicit-def: $sgpr40_sgpr41
                                        ; implicit-def: $sgpr42_sgpr43
                                        ; implicit-def: $sgpr6_sgpr7
                                        ; implicit-def: $sgpr44_sgpr45
                                        ; implicit-def: $sgpr46_sgpr47
	s_branch .LBB878_370
.LBB878_369:                            ;   in Loop: Header=BB878_370 Depth=1
	s_or_b64 exec, exec, s[48:49]
	s_and_b64 s[4:5], exec, s[42:43]
	s_or_b64 s[38:39], s[4:5], s[38:39]
	s_andn2_b64 s[4:5], s[46:47], exec
	s_and_b64 s[10:11], s[44:45], exec
	s_or_b64 s[46:47], s[4:5], s[10:11]
	s_andn2_b64 s[4:5], s[40:41], exec
	s_and_b64 s[10:11], s[6:7], exec
	s_or_b64 s[40:41], s[4:5], s[10:11]
	s_andn2_b64 exec, exec, s[38:39]
	s_cbranch_execz .LBB878_372
.LBB878_370:                            ; =>This Inner Loop Header: Depth=1
	flat_load_dword v12, v[16:17]
	flat_load_dword v103, v[14:15]
	s_andn2_b64 s[48:49], s[6:7], exec
	s_andn2_b64 s[44:45], s[44:45], exec
	s_or_b64 s[42:43], s[42:43], exec
	s_waitcnt vmcnt(0) lgkmcnt(0)
	v_cmp_ngt_f32_e64 s[6:7], v12, v103
	v_cmp_lt_f32_e64 s[4:5], v12, v103
	s_and_b64 s[6:7], s[6:7], s[46:47]
	s_or_b64 s[50:51], s[4:5], s[6:7]
	s_and_b64 s[4:5], s[50:51], exec
	v_cmp_nlg_f32_e64 s[10:11], v12, v103
	s_or_b64 s[6:7], s[48:49], s[4:5]
	s_and_saveexec_b64 s[48:49], s[10:11]
	s_cbranch_execz .LBB878_369
; %bb.371:                              ;   in Loop: Header=BB878_370 Depth=1
	v_lshl_add_u64 v[18:19], v[18:19], 0, -1
	v_cmp_eq_u64_e64 s[4:5], 0, v[18:19]
	s_andn2_b64 s[10:11], s[44:45], exec
	s_and_b64 s[44:45], s[50:51], exec
	s_or_b64 s[44:45], s[10:11], s[44:45]
	s_andn2_b64 s[10:11], s[42:43], exec
	s_and_b64 s[4:5], s[4:5], exec
	v_lshl_add_u64 v[14:15], v[14:15], 0, 4
	v_lshl_add_u64 v[16:17], v[16:17], 0, 4
	s_andn2_b64 s[6:7], s[6:7], exec
	s_or_b64 s[42:43], s[10:11], s[4:5]
                                        ; implicit-def: $sgpr46_sgpr47
	s_branch .LBB878_369
.LBB878_372:
	s_or_b64 exec, exec, s[38:39]
	s_xor_b64 s[4:5], s[40:41], -1
	s_andn2_b64 s[6:7], s[30:31], exec
	s_and_b64 s[4:5], s[4:5], exec
	s_or_b64 s[30:31], s[6:7], s[4:5]
.LBB878_373:
	s_or_b64 exec, exec, s[36:37]
	s_orn2_b64 s[30:31], s[30:31], exec
.LBB878_374:
	s_or_b64 exec, exec, s[34:35]
	v_cndmask_b32_e64 v12, v66, v67, s[30:31]
	v_cndmask_b32_e64 v14, v100, v99, s[30:31]
	v_add_u32_e32 v15, 1, v12
	v_add_u32_e32 v12, -1, v14
	v_min_u32_e32 v12, v15, v12
	v_lshl_add_u64 v[12:13], v[12:13], 3, v[54:55]
	flat_load_dwordx2 v[12:13], v[12:13]
	v_cndmask_b32_e64 v114, v15, v66, s[30:31]
	v_cndmask_b32_e64 v103, v67, v15, s[30:31]
	v_cmp_lt_u32_e64 s[4:5], v114, v100
	s_waitcnt vmcnt(0) lgkmcnt(0)
	v_cndmask_b32_e64 v112, v13, v96, s[30:31]
	v_cndmask_b32_e64 v113, v12, v97, s[30:31]
	;; [unrolled: 1-line block ×4, first 2 shown]
	s_and_saveexec_b64 s[34:35], s[4:5]
	s_cbranch_execz .LBB878_382
; %bb.375:
	v_cmp_lt_u32_e64 s[28:29], v103, v99
	s_xor_b64 s[4:5], s[0:1], -1
	s_and_b64 s[4:5], s[28:29], s[4:5]
	s_and_saveexec_b64 s[36:37], s[4:5]
	s_cbranch_execz .LBB878_381
; %bb.376:
	v_mul_lo_u32 v14, v115, v6
	v_mul_lo_u32 v15, v116, v7
	v_mad_u64_u32 v[12:13], s[4:5], v116, v6, 0
	v_add3_u32 v13, v13, v15, v14
	v_mul_lo_u32 v16, v112, v6
	v_mul_lo_u32 v17, v113, v7
	v_mad_u64_u32 v[14:15], s[4:5], v113, v6, 0
	v_add3_u32 v15, v15, v17, v16
	v_lshl_add_u64 v[12:13], v[12:13], 2, v[8:9]
	v_lshl_add_u64 v[14:15], v[14:15], 2, v[8:9]
	s_mov_b64 s[38:39], 0
	v_mov_b64_e32 v[16:17], v[6:7]
                                        ; implicit-def: $sgpr40_sgpr41
                                        ; implicit-def: $sgpr42_sgpr43
                                        ; implicit-def: $sgpr6_sgpr7
                                        ; implicit-def: $sgpr44_sgpr45
                                        ; implicit-def: $sgpr46_sgpr47
	s_branch .LBB878_378
.LBB878_377:                            ;   in Loop: Header=BB878_378 Depth=1
	s_or_b64 exec, exec, s[48:49]
	s_and_b64 s[4:5], exec, s[42:43]
	s_or_b64 s[38:39], s[4:5], s[38:39]
	s_andn2_b64 s[4:5], s[46:47], exec
	s_and_b64 s[10:11], s[44:45], exec
	s_or_b64 s[46:47], s[4:5], s[10:11]
	s_andn2_b64 s[4:5], s[40:41], exec
	s_and_b64 s[10:11], s[6:7], exec
	s_or_b64 s[40:41], s[4:5], s[10:11]
	s_andn2_b64 exec, exec, s[38:39]
	s_cbranch_execz .LBB878_380
.LBB878_378:                            ; =>This Inner Loop Header: Depth=1
	flat_load_dword v18, v[14:15]
	flat_load_dword v19, v[12:13]
	s_andn2_b64 s[48:49], s[6:7], exec
	s_andn2_b64 s[44:45], s[44:45], exec
	s_or_b64 s[42:43], s[42:43], exec
	s_waitcnt vmcnt(0) lgkmcnt(0)
	v_cmp_ngt_f32_e64 s[6:7], v18, v19
	v_cmp_lt_f32_e64 s[4:5], v18, v19
	s_and_b64 s[6:7], s[6:7], s[46:47]
	s_or_b64 s[50:51], s[4:5], s[6:7]
	s_and_b64 s[4:5], s[50:51], exec
	v_cmp_nlg_f32_e64 s[10:11], v18, v19
	s_or_b64 s[6:7], s[48:49], s[4:5]
	s_and_saveexec_b64 s[48:49], s[10:11]
	s_cbranch_execz .LBB878_377
; %bb.379:                              ;   in Loop: Header=BB878_378 Depth=1
	v_lshl_add_u64 v[16:17], v[16:17], 0, -1
	v_cmp_eq_u64_e64 s[4:5], 0, v[16:17]
	s_andn2_b64 s[10:11], s[44:45], exec
	s_and_b64 s[44:45], s[50:51], exec
	s_or_b64 s[44:45], s[10:11], s[44:45]
	s_andn2_b64 s[10:11], s[42:43], exec
	s_and_b64 s[4:5], s[4:5], exec
	v_lshl_add_u64 v[12:13], v[12:13], 0, 4
	v_lshl_add_u64 v[14:15], v[14:15], 0, 4
	s_andn2_b64 s[6:7], s[6:7], exec
	s_or_b64 s[42:43], s[10:11], s[4:5]
                                        ; implicit-def: $sgpr46_sgpr47
	s_branch .LBB878_377
.LBB878_380:
	s_or_b64 exec, exec, s[38:39]
	s_xor_b64 s[4:5], s[40:41], -1
	s_andn2_b64 s[6:7], s[28:29], exec
	s_and_b64 s[4:5], s[4:5], exec
	s_or_b64 s[28:29], s[6:7], s[4:5]
.LBB878_381:
	s_or_b64 exec, exec, s[36:37]
	s_orn2_b64 s[28:29], s[28:29], exec
.LBB878_382:
	s_or_b64 exec, exec, s[34:35]
	v_cndmask_b32_e64 v12, v114, v103, s[28:29]
	v_cndmask_b32_e64 v13, v100, v99, s[28:29]
	v_add_u32_e32 v117, 1, v12
	v_add_u32_e32 v12, -1, v13
	v_min_u32_e32 v12, v117, v12
	v_mov_b32_e32 v13, 0
	v_lshl_add_u64 v[12:13], v[12:13], 3, v[54:55]
	flat_load_dwordx2 v[66:67], v[12:13]
	v_cndmask_b32_e64 v17, v23, v70, s[20:21]
	v_cndmask_b32_e64 v23, v20, v22, s[22:23]
	;; [unrolled: 1-line block ×15, first 2 shown]
	v_cmp_lt_u32_e64 s[4:5], v68, v100
	s_waitcnt vmcnt(0) lgkmcnt(0)
	v_cndmask_b32_e64 v3, v115, v67, s[28:29]
	v_cndmask_b32_e64 v2, v116, v66, s[28:29]
	s_and_saveexec_b64 s[18:19], s[4:5]
	s_cbranch_execz .LBB878_390
; %bb.383:
	v_cndmask_b32_e64 v81, v66, v113, s[28:29]
	v_cndmask_b32_e64 v66, v103, v117, s[28:29]
	v_cmp_ge_u32_e64 s[4:5], v66, v99
	v_cndmask_b32_e64 v80, v67, v112, s[28:29]
	s_or_b64 s[6:7], s[4:5], s[0:1]
	v_cndmask_b32_e64 v67, v3, v80, s[4:5]
	s_xor_b64 s[6:7], s[6:7], -1
	v_cndmask_b32_e64 v66, v2, v81, s[4:5]
	s_and_saveexec_b64 s[20:21], s[6:7]
	s_cbranch_execz .LBB878_389
; %bb.384:
	v_mul_lo_u32 v68, v3, v6
	v_mul_lo_u32 v69, v2, v7
	v_mad_u64_u32 v[66:67], s[4:5], v2, v6, 0
	v_add3_u32 v67, v67, v69, v68
	v_mul_lo_u32 v70, v80, v6
	v_mul_lo_u32 v71, v81, v7
	v_mad_u64_u32 v[68:69], s[4:5], v81, v6, 0
	v_add3_u32 v69, v69, v71, v70
	v_lshl_add_u64 v[66:67], v[66:67], 2, v[8:9]
	v_lshl_add_u64 v[68:69], v[68:69], 2, v[8:9]
	s_mov_b64 s[22:23], 0
	v_mov_b64_e32 v[70:71], v[6:7]
                                        ; implicit-def: $sgpr24_sgpr25
                                        ; implicit-def: $sgpr26_sgpr27
                                        ; implicit-def: $sgpr6_sgpr7
                                        ; implicit-def: $sgpr28_sgpr29
                                        ; implicit-def: $sgpr30_sgpr31
	s_branch .LBB878_386
.LBB878_385:                            ;   in Loop: Header=BB878_386 Depth=1
	s_or_b64 exec, exec, s[34:35]
	s_and_b64 s[4:5], exec, s[26:27]
	s_or_b64 s[22:23], s[4:5], s[22:23]
	s_andn2_b64 s[4:5], s[30:31], exec
	s_and_b64 s[10:11], s[28:29], exec
	s_or_b64 s[30:31], s[4:5], s[10:11]
	s_andn2_b64 s[4:5], s[24:25], exec
	s_and_b64 s[10:11], s[6:7], exec
	s_or_b64 s[24:25], s[4:5], s[10:11]
	s_andn2_b64 exec, exec, s[22:23]
	s_cbranch_execz .LBB878_388
.LBB878_386:                            ; =>This Inner Loop Header: Depth=1
	flat_load_dword v82, v[68:69]
	flat_load_dword v83, v[66:67]
	s_andn2_b64 s[34:35], s[6:7], exec
	s_andn2_b64 s[28:29], s[28:29], exec
	s_or_b64 s[26:27], s[26:27], exec
	s_waitcnt vmcnt(0) lgkmcnt(0)
	v_cmp_ngt_f32_e64 s[6:7], v82, v83
	v_cmp_lt_f32_e64 s[4:5], v82, v83
	s_and_b64 s[6:7], s[6:7], s[30:31]
	s_or_b64 s[36:37], s[4:5], s[6:7]
	s_and_b64 s[4:5], s[36:37], exec
	v_cmp_nlg_f32_e64 s[10:11], v82, v83
	s_or_b64 s[6:7], s[34:35], s[4:5]
	s_and_saveexec_b64 s[34:35], s[10:11]
	s_cbranch_execz .LBB878_385
; %bb.387:                              ;   in Loop: Header=BB878_386 Depth=1
	v_lshl_add_u64 v[70:71], v[70:71], 0, -1
	v_cmp_eq_u64_e64 s[4:5], 0, v[70:71]
	s_andn2_b64 s[10:11], s[28:29], exec
	s_and_b64 s[28:29], s[36:37], exec
	s_or_b64 s[28:29], s[10:11], s[28:29]
	s_andn2_b64 s[10:11], s[26:27], exec
	s_and_b64 s[4:5], s[4:5], exec
	v_lshl_add_u64 v[66:67], v[66:67], 0, 4
	v_lshl_add_u64 v[68:69], v[68:69], 0, 4
	s_andn2_b64 s[6:7], s[6:7], exec
	s_or_b64 s[26:27], s[10:11], s[4:5]
                                        ; implicit-def: $sgpr30_sgpr31
	s_branch .LBB878_385
.LBB878_388:
	s_or_b64 exec, exec, s[22:23]
	v_cndmask_b32_e64 v67, v3, v80, s[24:25]
	v_cndmask_b32_e64 v66, v2, v81, s[24:25]
.LBB878_389:
	s_or_b64 exec, exec, s[20:21]
	v_mov_b64_e32 v[2:3], v[66:67]
.LBB878_390:
	s_or_b64 exec, exec, s[18:19]
.LBB878_391:
	s_or_b64 exec, exec, s[16:17]
	v_and_b32_e32 v101, 0x3c0, v98
	v_or_b32_e32 v66, 32, v101
	v_min_u32_e32 v99, v31, v66
	v_add_u32_e32 v66, 32, v99
	v_min_u32_e32 v100, v31, v66
	v_and_b32_e32 v66, 56, v98
	v_min_u32_e32 v102, v31, v66
	v_sub_u32_e32 v66, v99, v101
	v_sub_u32_e32 v67, v100, v99
	v_sub_u32_e64 v103, v102, v67 clamp
	v_min_u32_e32 v112, v102, v66
	v_cmp_lt_u32_e64 s[4:5], v103, v112
	; wave barrier
	flat_store_dwordx4 v[64:65], v[20:23]
	flat_store_dwordx4 v[64:65], v[16:19] offset:16
	flat_store_dwordx4 v[64:65], v[12:15] offset:32
	;; [unrolled: 1-line block ×3, first 2 shown]
	; wave barrier
	s_and_saveexec_b64 s[16:17], s[4:5]
	s_cbranch_execz .LBB878_401
; %bb.392:
	v_lshlrev_b32_e32 v66, 3, v101
	v_mov_b32_e32 v67, 0
	v_lshl_add_u64 v[68:69], v[54:55], 0, v[66:67]
	v_lshlrev_b32_e32 v66, 3, v99
	v_lshl_add_u64 v[70:71], v[54:55], 0, v[66:67]
	v_lshlrev_b64 v[80:81], 2, v[6:7]
	s_mov_b64 s[18:19], 0
	s_branch .LBB878_395
.LBB878_393:                            ;   in Loop: Header=BB878_395 Depth=1
	s_or_b64 exec, exec, s[22:23]
	s_and_b64 s[4:5], s[24:25], exec
.LBB878_394:                            ;   in Loop: Header=BB878_395 Depth=1
	s_or_b64 exec, exec, s[20:21]
	v_add_u32_e32 v66, 1, v82
	v_cndmask_b32_e64 v112, v112, v82, s[4:5]
	v_cndmask_b32_e64 v103, v66, v103, s[4:5]
	v_cmp_ge_u32_e64 s[4:5], v103, v112
	s_or_b64 s[18:19], s[4:5], s[18:19]
	s_andn2_b64 exec, exec, s[18:19]
	s_cbranch_execz .LBB878_400
.LBB878_395:                            ; =>This Loop Header: Depth=1
                                        ;     Child Loop BB878_398 Depth 2
	v_add_u32_e32 v66, v112, v103
	v_lshrrev_b32_e32 v82, 1, v66
	s_mov_b64 s[4:5], 0
	s_and_saveexec_b64 s[20:21], vcc
	s_cbranch_execz .LBB878_394
; %bb.396:                              ;   in Loop: Header=BB878_395 Depth=1
	v_mov_b32_e32 v83, v67
	v_xad_u32 v66, v82, -1, v102
	v_lshl_add_u64 v[84:85], v[82:83], 3, v[68:69]
	v_lshl_add_u64 v[86:87], v[66:67], 3, v[70:71]
	flat_load_dwordx2 v[84:85], v[84:85]
	s_mov_b64 s[22:23], 0
	flat_load_dwordx2 v[86:87], v[86:87]
                                        ; implicit-def: $sgpr24_sgpr25
                                        ; implicit-def: $sgpr26_sgpr27
                                        ; implicit-def: $sgpr28_sgpr29
                                        ; implicit-def: $sgpr6_sgpr7
                                        ; implicit-def: $sgpr30_sgpr31
	s_waitcnt vmcnt(0) lgkmcnt(0)
	v_mul_lo_u32 v66, v80, v85
	v_mul_lo_u32 v83, v81, v84
	v_mad_u64_u32 v[84:85], s[4:5], v80, v84, v[8:9]
	v_mul_lo_u32 v96, v80, v87
	v_mul_lo_u32 v97, v81, v86
	v_mad_u64_u32 v[86:87], s[4:5], v80, v86, v[8:9]
	v_add3_u32 v85, v83, v85, v66
	v_add3_u32 v87, v97, v87, v96
	v_mov_b64_e32 v[96:97], v[6:7]
	s_branch .LBB878_398
.LBB878_397:                            ;   in Loop: Header=BB878_398 Depth=2
	s_or_b64 exec, exec, s[34:35]
	s_and_b64 s[4:5], exec, s[26:27]
	s_or_b64 s[22:23], s[4:5], s[22:23]
	s_andn2_b64 s[4:5], s[30:31], exec
	s_and_b64 s[10:11], s[28:29], exec
	s_or_b64 s[30:31], s[4:5], s[10:11]
	s_andn2_b64 s[4:5], s[24:25], exec
	s_and_b64 s[10:11], s[6:7], exec
	s_or_b64 s[24:25], s[4:5], s[10:11]
	s_andn2_b64 exec, exec, s[22:23]
	s_cbranch_execz .LBB878_393
.LBB878_398:                            ;   Parent Loop BB878_395 Depth=1
                                        ; =>  This Inner Loop Header: Depth=2
	flat_load_dword v66, v[86:87]
	flat_load_dword v83, v[84:85]
	s_andn2_b64 s[34:35], s[6:7], exec
	s_andn2_b64 s[28:29], s[28:29], exec
	s_or_b64 s[26:27], s[26:27], exec
	s_waitcnt vmcnt(0) lgkmcnt(0)
	v_cmp_ngt_f32_e64 s[6:7], v66, v83
	v_cmp_lt_f32_e64 s[4:5], v66, v83
	s_and_b64 s[6:7], s[6:7], s[30:31]
	s_or_b64 s[36:37], s[4:5], s[6:7]
	s_and_b64 s[4:5], s[36:37], exec
	v_cmp_nlg_f32_e64 s[10:11], v66, v83
	s_or_b64 s[6:7], s[34:35], s[4:5]
	s_and_saveexec_b64 s[34:35], s[10:11]
	s_cbranch_execz .LBB878_397
; %bb.399:                              ;   in Loop: Header=BB878_398 Depth=2
	v_lshl_add_u64 v[96:97], v[96:97], 0, -1
	v_cmp_eq_u64_e64 s[4:5], 0, v[96:97]
	s_andn2_b64 s[10:11], s[28:29], exec
	s_and_b64 s[28:29], s[36:37], exec
	s_or_b64 s[28:29], s[10:11], s[28:29]
	s_andn2_b64 s[10:11], s[26:27], exec
	s_and_b64 s[4:5], s[4:5], exec
	v_lshl_add_u64 v[84:85], v[84:85], 0, 4
	v_lshl_add_u64 v[86:87], v[86:87], 0, 4
	s_andn2_b64 s[6:7], s[6:7], exec
	s_or_b64 s[26:27], s[10:11], s[4:5]
                                        ; implicit-def: $sgpr30_sgpr31
	s_branch .LBB878_397
.LBB878_400:
	s_or_b64 exec, exec, s[18:19]
.LBB878_401:
	s_or_b64 exec, exec, s[16:17]
	v_add_u32_e32 v67, v99, v102
	v_add_u32_e32 v66, v103, v101
	v_sub_u32_e32 v68, v67, v103
	v_cmp_le_u32_e64 s[4:5], v66, v99
	v_cmp_le_u32_e64 s[6:7], v68, v100
	s_or_b64 s[4:5], s[4:5], s[6:7]
	s_and_saveexec_b64 s[16:17], s[4:5]
	s_cbranch_execz .LBB878_473
; %bb.402:
	v_cmp_ge_u32_e64 s[4:5], v66, v99
	v_cmp_lt_u32_e64 s[6:7], v66, v99
                                        ; implicit-def: $vgpr0_vgpr1
	s_and_saveexec_b64 s[10:11], s[6:7]
	s_cbranch_execz .LBB878_404
; %bb.403:
	v_mov_b32_e32 v67, 0
	v_lshl_add_u64 v[0:1], v[66:67], 3, v[54:55]
	flat_load_dwordx2 v[0:1], v[0:1]
.LBB878_404:
	s_or_b64 exec, exec, s[10:11]
	v_cmp_ge_u32_e64 s[18:19], v68, v100
	v_cmp_lt_u32_e64 s[6:7], v68, v100
                                        ; implicit-def: $vgpr2_vgpr3
	s_and_saveexec_b64 s[10:11], s[6:7]
	s_cbranch_execz .LBB878_406
; %bb.405:
	v_mov_b32_e32 v69, 0
	v_lshl_add_u64 v[2:3], v[68:69], 3, v[54:55]
	flat_load_dwordx2 v[2:3], v[2:3]
.LBB878_406:
	s_or_b64 exec, exec, s[10:11]
	s_or_b64 s[4:5], s[4:5], s[18:19]
	s_xor_b64 s[4:5], s[4:5], -1
	s_and_saveexec_b64 s[20:21], s[4:5]
	s_cbranch_execz .LBB878_414
; %bb.407:
	s_mov_b64 s[4:5], 0
	s_and_saveexec_b64 s[22:23], s[2:3]
	s_cbranch_execz .LBB878_413
; %bb.408:
	s_waitcnt vmcnt(0) lgkmcnt(0)
	v_mul_lo_u32 v14, v1, v6
	v_mul_lo_u32 v15, v0, v7
	v_mad_u64_u32 v[12:13], s[4:5], v0, v6, 0
	v_add3_u32 v13, v13, v15, v14
	v_mul_lo_u32 v16, v3, v6
	v_mul_lo_u32 v17, v2, v7
	v_mad_u64_u32 v[14:15], s[4:5], v2, v6, 0
	v_add3_u32 v15, v15, v17, v16
	v_lshl_add_u64 v[12:13], v[12:13], 2, v[8:9]
	v_lshl_add_u64 v[14:15], v[14:15], 2, v[8:9]
	s_mov_b64 s[24:25], 0
	v_mov_b64_e32 v[16:17], v[6:7]
                                        ; implicit-def: $sgpr26_sgpr27
                                        ; implicit-def: $sgpr28_sgpr29
                                        ; implicit-def: $sgpr30_sgpr31
                                        ; implicit-def: $sgpr6_sgpr7
                                        ; implicit-def: $sgpr34_sgpr35
	s_branch .LBB878_410
.LBB878_409:                            ;   in Loop: Header=BB878_410 Depth=1
	s_or_b64 exec, exec, s[36:37]
	s_and_b64 s[4:5], exec, s[28:29]
	s_or_b64 s[24:25], s[4:5], s[24:25]
	s_andn2_b64 s[4:5], s[34:35], exec
	s_and_b64 s[10:11], s[30:31], exec
	s_or_b64 s[34:35], s[4:5], s[10:11]
	s_andn2_b64 s[4:5], s[26:27], exec
	s_and_b64 s[10:11], s[6:7], exec
	s_or_b64 s[26:27], s[4:5], s[10:11]
	s_andn2_b64 exec, exec, s[24:25]
	s_cbranch_execz .LBB878_412
.LBB878_410:                            ; =>This Inner Loop Header: Depth=1
	flat_load_dword v18, v[14:15]
	flat_load_dword v19, v[12:13]
	s_andn2_b64 s[36:37], s[6:7], exec
	s_andn2_b64 s[30:31], s[30:31], exec
	s_or_b64 s[28:29], s[28:29], exec
	s_waitcnt vmcnt(0) lgkmcnt(0)
	v_cmp_ngt_f32_e64 s[6:7], v18, v19
	v_cmp_lt_f32_e64 s[4:5], v18, v19
	s_and_b64 s[6:7], s[6:7], s[34:35]
	s_or_b64 s[38:39], s[4:5], s[6:7]
	s_and_b64 s[4:5], s[38:39], exec
	v_cmp_nlg_f32_e64 s[10:11], v18, v19
	s_or_b64 s[6:7], s[36:37], s[4:5]
	s_and_saveexec_b64 s[36:37], s[10:11]
	s_cbranch_execz .LBB878_409
; %bb.411:                              ;   in Loop: Header=BB878_410 Depth=1
	v_lshl_add_u64 v[16:17], v[16:17], 0, -1
	v_cmp_eq_u64_e64 s[4:5], 0, v[16:17]
	s_andn2_b64 s[10:11], s[30:31], exec
	s_and_b64 s[30:31], s[38:39], exec
	s_or_b64 s[30:31], s[10:11], s[30:31]
	s_andn2_b64 s[10:11], s[28:29], exec
	s_and_b64 s[4:5], s[4:5], exec
	v_lshl_add_u64 v[12:13], v[12:13], 0, 4
	v_lshl_add_u64 v[14:15], v[14:15], 0, 4
	s_andn2_b64 s[6:7], s[6:7], exec
	s_or_b64 s[28:29], s[10:11], s[4:5]
                                        ; implicit-def: $sgpr34_sgpr35
	s_branch .LBB878_409
.LBB878_412:
	s_or_b64 exec, exec, s[24:25]
	s_and_b64 s[4:5], s[26:27], exec
.LBB878_413:
	s_or_b64 exec, exec, s[22:23]
	s_xor_b64 s[4:5], s[4:5], -1
	s_andn2_b64 s[6:7], s[18:19], exec
	s_and_b64 s[4:5], s[4:5], exec
	s_or_b64 s[18:19], s[6:7], s[4:5]
.LBB878_414:
	s_or_b64 exec, exec, s[20:21]
	v_cndmask_b32_e64 v12, v68, v66, s[18:19]
	v_cndmask_b32_e64 v13, v100, v99, s[18:19]
	v_add_u32_e32 v16, 1, v12
	v_add_u32_e32 v12, -1, v13
	v_min_u32_e32 v12, v16, v12
	v_mov_b32_e32 v13, 0
	v_lshl_add_u64 v[14:15], v[12:13], 3, v[54:55]
	flat_load_dwordx2 v[14:15], v[14:15]
	v_cndmask_b32_e64 v23, v16, v68, s[18:19]
	s_mov_b64 s[20:21], -1
	v_cndmask_b32_e64 v66, v66, v16, s[18:19]
	v_cmp_lt_u32_e64 s[4:5], v23, v100
	s_mov_b64 s[22:23], -1
	s_waitcnt vmcnt(0) lgkmcnt(0)
	v_cndmask_b32_e64 v20, v15, v3, s[18:19]
	v_cndmask_b32_e64 v21, v14, v2, s[18:19]
	;; [unrolled: 1-line block ×4, first 2 shown]
	s_and_saveexec_b64 s[24:25], s[4:5]
	s_cbranch_execz .LBB878_424
; %bb.415:
	v_cmp_lt_u32_e64 s[4:5], v66, v99
	s_mov_b64 s[6:7], 0
	s_and_saveexec_b64 s[22:23], s[4:5]
	s_cbranch_execz .LBB878_423
; %bb.416:
	s_mov_b64 s[4:5], 0
	s_and_saveexec_b64 s[26:27], s[2:3]
	s_cbranch_execz .LBB878_422
; %bb.417:
	v_mul_lo_u32 v12, v22, v6
	v_mul_lo_u32 v16, v68, v7
	v_mad_u64_u32 v[14:15], s[4:5], v68, v6, 0
	v_add3_u32 v15, v15, v16, v12
	v_mul_lo_u32 v12, v20, v6
	v_mul_lo_u32 v18, v21, v7
	v_mad_u64_u32 v[16:17], s[4:5], v21, v6, 0
	v_add3_u32 v17, v17, v18, v12
	v_lshl_add_u64 v[14:15], v[14:15], 2, v[8:9]
	v_lshl_add_u64 v[16:17], v[16:17], 2, v[8:9]
	s_mov_b64 s[28:29], 0
	v_mov_b64_e32 v[18:19], v[6:7]
                                        ; implicit-def: $sgpr30_sgpr31
                                        ; implicit-def: $sgpr34_sgpr35
                                        ; implicit-def: $sgpr36_sgpr37
                                        ; implicit-def: $sgpr6_sgpr7
                                        ; implicit-def: $sgpr38_sgpr39
	s_branch .LBB878_419
.LBB878_418:                            ;   in Loop: Header=BB878_419 Depth=1
	s_or_b64 exec, exec, s[40:41]
	s_and_b64 s[4:5], exec, s[34:35]
	s_or_b64 s[28:29], s[4:5], s[28:29]
	s_andn2_b64 s[4:5], s[38:39], exec
	s_and_b64 s[10:11], s[36:37], exec
	s_or_b64 s[38:39], s[4:5], s[10:11]
	s_andn2_b64 s[4:5], s[30:31], exec
	s_and_b64 s[10:11], s[6:7], exec
	s_or_b64 s[30:31], s[4:5], s[10:11]
	s_andn2_b64 exec, exec, s[28:29]
	s_cbranch_execz .LBB878_421
.LBB878_419:                            ; =>This Inner Loop Header: Depth=1
	flat_load_dword v12, v[16:17]
	flat_load_dword v67, v[14:15]
	s_andn2_b64 s[40:41], s[6:7], exec
	s_andn2_b64 s[36:37], s[36:37], exec
	s_or_b64 s[34:35], s[34:35], exec
	s_waitcnt vmcnt(0) lgkmcnt(0)
	v_cmp_ngt_f32_e64 s[6:7], v12, v67
	v_cmp_lt_f32_e64 s[4:5], v12, v67
	s_and_b64 s[6:7], s[6:7], s[38:39]
	s_or_b64 s[42:43], s[4:5], s[6:7]
	s_and_b64 s[4:5], s[42:43], exec
	v_cmp_nlg_f32_e64 s[10:11], v12, v67
	s_or_b64 s[6:7], s[40:41], s[4:5]
	s_and_saveexec_b64 s[40:41], s[10:11]
	s_cbranch_execz .LBB878_418
; %bb.420:                              ;   in Loop: Header=BB878_419 Depth=1
	v_lshl_add_u64 v[18:19], v[18:19], 0, -1
	v_cmp_eq_u64_e64 s[4:5], 0, v[18:19]
	s_andn2_b64 s[10:11], s[36:37], exec
	s_and_b64 s[36:37], s[42:43], exec
	s_or_b64 s[36:37], s[10:11], s[36:37]
	s_andn2_b64 s[10:11], s[34:35], exec
	s_and_b64 s[4:5], s[4:5], exec
	v_lshl_add_u64 v[14:15], v[14:15], 0, 4
	v_lshl_add_u64 v[16:17], v[16:17], 0, 4
	s_andn2_b64 s[6:7], s[6:7], exec
	s_or_b64 s[34:35], s[10:11], s[4:5]
                                        ; implicit-def: $sgpr38_sgpr39
	s_branch .LBB878_418
.LBB878_421:
	s_or_b64 exec, exec, s[28:29]
	s_and_b64 s[4:5], s[30:31], exec
.LBB878_422:
	s_or_b64 exec, exec, s[26:27]
	s_xor_b64 s[4:5], s[4:5], -1
	s_and_b64 s[6:7], s[4:5], exec
.LBB878_423:
	s_or_b64 exec, exec, s[22:23]
	s_orn2_b64 s[22:23], s[6:7], exec
.LBB878_424:
	s_or_b64 exec, exec, s[24:25]
	v_cndmask_b32_e64 v12, v23, v66, s[22:23]
	v_cndmask_b32_e64 v14, v100, v99, s[22:23]
	v_add_u32_e32 v15, 1, v12
	v_add_u32_e32 v12, -1, v14
	v_min_u32_e32 v12, v15, v12
	v_lshl_add_u64 v[12:13], v[12:13], 3, v[54:55]
	flat_load_dwordx2 v[12:13], v[12:13]
	v_cndmask_b32_e64 v18, v15, v23, s[22:23]
	v_cndmask_b32_e64 v19, v66, v15, s[22:23]
	v_cmp_lt_u32_e64 s[4:5], v18, v100
	s_waitcnt vmcnt(0) lgkmcnt(0)
	v_cndmask_b32_e64 v23, v13, v20, s[22:23]
	v_cndmask_b32_e64 v69, v12, v21, s[22:23]
	v_cndmask_b32_e64 v70, v22, v13, s[22:23]
	v_cndmask_b32_e64 v71, v68, v12, s[22:23]
	s_and_saveexec_b64 s[24:25], s[4:5]
	s_cbranch_execz .LBB878_432
; %bb.425:
	v_cmp_lt_u32_e64 s[20:21], v19, v99
	s_xor_b64 s[4:5], s[0:1], -1
	s_and_b64 s[4:5], s[20:21], s[4:5]
	s_and_saveexec_b64 s[26:27], s[4:5]
	s_cbranch_execz .LBB878_431
; %bb.426:
	v_mul_lo_u32 v14, v70, v6
	v_mul_lo_u32 v15, v71, v7
	v_mad_u64_u32 v[12:13], s[4:5], v71, v6, 0
	v_add3_u32 v13, v13, v15, v14
	v_mul_lo_u32 v16, v23, v6
	v_mul_lo_u32 v17, v69, v7
	v_mad_u64_u32 v[14:15], s[4:5], v69, v6, 0
	v_add3_u32 v15, v15, v17, v16
	v_lshl_add_u64 v[12:13], v[12:13], 2, v[8:9]
	v_lshl_add_u64 v[14:15], v[14:15], 2, v[8:9]
	s_mov_b64 s[28:29], 0
	v_mov_b64_e32 v[16:17], v[6:7]
                                        ; implicit-def: $sgpr30_sgpr31
                                        ; implicit-def: $sgpr34_sgpr35
                                        ; implicit-def: $sgpr6_sgpr7
                                        ; implicit-def: $sgpr36_sgpr37
                                        ; implicit-def: $sgpr38_sgpr39
	s_branch .LBB878_428
.LBB878_427:                            ;   in Loop: Header=BB878_428 Depth=1
	s_or_b64 exec, exec, s[40:41]
	s_and_b64 s[4:5], exec, s[34:35]
	s_or_b64 s[28:29], s[4:5], s[28:29]
	s_andn2_b64 s[4:5], s[38:39], exec
	s_and_b64 s[10:11], s[36:37], exec
	s_or_b64 s[38:39], s[4:5], s[10:11]
	s_andn2_b64 s[4:5], s[30:31], exec
	s_and_b64 s[10:11], s[6:7], exec
	s_or_b64 s[30:31], s[4:5], s[10:11]
	s_andn2_b64 exec, exec, s[28:29]
	s_cbranch_execz .LBB878_430
.LBB878_428:                            ; =>This Inner Loop Header: Depth=1
	flat_load_dword v66, v[14:15]
	flat_load_dword v67, v[12:13]
	s_andn2_b64 s[40:41], s[6:7], exec
	s_andn2_b64 s[36:37], s[36:37], exec
	s_or_b64 s[34:35], s[34:35], exec
	s_waitcnt vmcnt(0) lgkmcnt(0)
	v_cmp_ngt_f32_e64 s[6:7], v66, v67
	v_cmp_lt_f32_e64 s[4:5], v66, v67
	s_and_b64 s[6:7], s[6:7], s[38:39]
	s_or_b64 s[42:43], s[4:5], s[6:7]
	s_and_b64 s[4:5], s[42:43], exec
	v_cmp_nlg_f32_e64 s[10:11], v66, v67
	s_or_b64 s[6:7], s[40:41], s[4:5]
	s_and_saveexec_b64 s[40:41], s[10:11]
	s_cbranch_execz .LBB878_427
; %bb.429:                              ;   in Loop: Header=BB878_428 Depth=1
	v_lshl_add_u64 v[16:17], v[16:17], 0, -1
	v_cmp_eq_u64_e64 s[4:5], 0, v[16:17]
	s_andn2_b64 s[10:11], s[36:37], exec
	s_and_b64 s[36:37], s[42:43], exec
	s_or_b64 s[36:37], s[10:11], s[36:37]
	s_andn2_b64 s[10:11], s[34:35], exec
	s_and_b64 s[4:5], s[4:5], exec
	v_lshl_add_u64 v[12:13], v[12:13], 0, 4
	v_lshl_add_u64 v[14:15], v[14:15], 0, 4
	s_andn2_b64 s[6:7], s[6:7], exec
	s_or_b64 s[34:35], s[10:11], s[4:5]
                                        ; implicit-def: $sgpr38_sgpr39
	s_branch .LBB878_427
.LBB878_430:
	s_or_b64 exec, exec, s[28:29]
	s_xor_b64 s[4:5], s[30:31], -1
	s_andn2_b64 s[6:7], s[20:21], exec
	s_and_b64 s[4:5], s[4:5], exec
	s_or_b64 s[20:21], s[6:7], s[4:5]
.LBB878_431:
	s_or_b64 exec, exec, s[26:27]
	s_orn2_b64 s[20:21], s[20:21], exec
.LBB878_432:
	s_or_b64 exec, exec, s[24:25]
	v_cndmask_b32_e64 v12, v18, v19, s[20:21]
	v_cndmask_b32_e64 v13, v100, v99, s[20:21]
	v_add_u32_e32 v16, 1, v12
	v_add_u32_e32 v12, -1, v13
	v_min_u32_e32 v12, v16, v12
	v_mov_b32_e32 v13, 0
	v_lshl_add_u64 v[14:15], v[12:13], 3, v[54:55]
	flat_load_dwordx2 v[14:15], v[14:15]
	v_cndmask_b32_e64 v66, v16, v18, s[20:21]
	s_mov_b64 s[24:25], -1
	v_cndmask_b32_e64 v67, v19, v16, s[20:21]
	v_cmp_lt_u32_e64 s[4:5], v66, v100
	s_mov_b64 s[26:27], -1
	s_waitcnt vmcnt(0) lgkmcnt(0)
	v_cndmask_b32_e64 v80, v15, v23, s[20:21]
	v_cndmask_b32_e64 v81, v14, v69, s[20:21]
	;; [unrolled: 1-line block ×4, first 2 shown]
	s_and_saveexec_b64 s[28:29], s[4:5]
	s_cbranch_execz .LBB878_440
; %bb.433:
	v_cmp_lt_u32_e64 s[26:27], v67, v99
	s_xor_b64 s[4:5], s[0:1], -1
	s_and_b64 s[4:5], s[26:27], s[4:5]
	s_and_saveexec_b64 s[30:31], s[4:5]
	s_cbranch_execz .LBB878_439
; %bb.434:
	v_mul_lo_u32 v12, v82, v6
	v_mul_lo_u32 v16, v83, v7
	v_mad_u64_u32 v[14:15], s[4:5], v83, v6, 0
	v_add3_u32 v15, v15, v16, v12
	v_mul_lo_u32 v12, v80, v6
	v_mul_lo_u32 v18, v81, v7
	v_mad_u64_u32 v[16:17], s[4:5], v81, v6, 0
	v_add3_u32 v17, v17, v18, v12
	v_lshl_add_u64 v[14:15], v[14:15], 2, v[8:9]
	v_lshl_add_u64 v[16:17], v[16:17], 2, v[8:9]
	s_mov_b64 s[34:35], 0
	v_mov_b64_e32 v[18:19], v[6:7]
                                        ; implicit-def: $sgpr36_sgpr37
                                        ; implicit-def: $sgpr38_sgpr39
                                        ; implicit-def: $sgpr6_sgpr7
                                        ; implicit-def: $sgpr40_sgpr41
                                        ; implicit-def: $sgpr42_sgpr43
	s_branch .LBB878_436
.LBB878_435:                            ;   in Loop: Header=BB878_436 Depth=1
	s_or_b64 exec, exec, s[44:45]
	s_and_b64 s[4:5], exec, s[38:39]
	s_or_b64 s[34:35], s[4:5], s[34:35]
	s_andn2_b64 s[4:5], s[42:43], exec
	s_and_b64 s[10:11], s[40:41], exec
	s_or_b64 s[42:43], s[4:5], s[10:11]
	s_andn2_b64 s[4:5], s[36:37], exec
	s_and_b64 s[10:11], s[6:7], exec
	s_or_b64 s[36:37], s[4:5], s[10:11]
	s_andn2_b64 exec, exec, s[34:35]
	s_cbranch_execz .LBB878_438
.LBB878_436:                            ; =>This Inner Loop Header: Depth=1
	flat_load_dword v12, v[16:17]
	flat_load_dword v84, v[14:15]
	s_andn2_b64 s[44:45], s[6:7], exec
	s_andn2_b64 s[40:41], s[40:41], exec
	s_or_b64 s[38:39], s[38:39], exec
	s_waitcnt vmcnt(0) lgkmcnt(0)
	v_cmp_ngt_f32_e64 s[6:7], v12, v84
	v_cmp_lt_f32_e64 s[4:5], v12, v84
	s_and_b64 s[6:7], s[6:7], s[42:43]
	s_or_b64 s[46:47], s[4:5], s[6:7]
	s_and_b64 s[4:5], s[46:47], exec
	v_cmp_nlg_f32_e64 s[10:11], v12, v84
	s_or_b64 s[6:7], s[44:45], s[4:5]
	s_and_saveexec_b64 s[44:45], s[10:11]
	s_cbranch_execz .LBB878_435
; %bb.437:                              ;   in Loop: Header=BB878_436 Depth=1
	v_lshl_add_u64 v[18:19], v[18:19], 0, -1
	v_cmp_eq_u64_e64 s[4:5], 0, v[18:19]
	s_andn2_b64 s[10:11], s[40:41], exec
	s_and_b64 s[40:41], s[46:47], exec
	s_or_b64 s[40:41], s[10:11], s[40:41]
	s_andn2_b64 s[10:11], s[38:39], exec
	s_and_b64 s[4:5], s[4:5], exec
	v_lshl_add_u64 v[14:15], v[14:15], 0, 4
	v_lshl_add_u64 v[16:17], v[16:17], 0, 4
	s_andn2_b64 s[6:7], s[6:7], exec
	s_or_b64 s[38:39], s[10:11], s[4:5]
                                        ; implicit-def: $sgpr42_sgpr43
	s_branch .LBB878_435
.LBB878_438:
	s_or_b64 exec, exec, s[34:35]
	s_xor_b64 s[4:5], s[36:37], -1
	s_andn2_b64 s[6:7], s[26:27], exec
	s_and_b64 s[4:5], s[4:5], exec
	s_or_b64 s[26:27], s[6:7], s[4:5]
.LBB878_439:
	s_or_b64 exec, exec, s[30:31]
	s_orn2_b64 s[26:27], s[26:27], exec
.LBB878_440:
	s_or_b64 exec, exec, s[28:29]
	v_cndmask_b32_e64 v12, v66, v67, s[26:27]
	v_cndmask_b32_e64 v14, v100, v99, s[26:27]
	v_add_u32_e32 v15, 1, v12
	v_add_u32_e32 v12, -1, v14
	v_min_u32_e32 v12, v15, v12
	v_lshl_add_u64 v[12:13], v[12:13], 3, v[54:55]
	flat_load_dwordx2 v[12:13], v[12:13]
	v_cndmask_b32_e64 v18, v15, v66, s[26:27]
	v_cndmask_b32_e64 v19, v67, v15, s[26:27]
	v_cmp_lt_u32_e64 s[4:5], v18, v100
	s_waitcnt vmcnt(0) lgkmcnt(0)
	v_cndmask_b32_e64 v84, v13, v80, s[26:27]
	v_cndmask_b32_e64 v85, v12, v81, s[26:27]
	;; [unrolled: 1-line block ×4, first 2 shown]
	s_and_saveexec_b64 s[28:29], s[4:5]
	s_cbranch_execz .LBB878_448
; %bb.441:
	v_cmp_lt_u32_e64 s[24:25], v19, v99
	s_xor_b64 s[4:5], s[0:1], -1
	s_and_b64 s[4:5], s[24:25], s[4:5]
	s_and_saveexec_b64 s[30:31], s[4:5]
	s_cbranch_execz .LBB878_447
; %bb.442:
	v_mul_lo_u32 v14, v86, v6
	v_mul_lo_u32 v15, v87, v7
	v_mad_u64_u32 v[12:13], s[4:5], v87, v6, 0
	v_add3_u32 v13, v13, v15, v14
	v_mul_lo_u32 v16, v84, v6
	v_mul_lo_u32 v17, v85, v7
	v_mad_u64_u32 v[14:15], s[4:5], v85, v6, 0
	v_add3_u32 v15, v15, v17, v16
	v_lshl_add_u64 v[12:13], v[12:13], 2, v[8:9]
	v_lshl_add_u64 v[14:15], v[14:15], 2, v[8:9]
	s_mov_b64 s[34:35], 0
	v_mov_b64_e32 v[16:17], v[6:7]
                                        ; implicit-def: $sgpr36_sgpr37
                                        ; implicit-def: $sgpr38_sgpr39
                                        ; implicit-def: $sgpr6_sgpr7
                                        ; implicit-def: $sgpr40_sgpr41
                                        ; implicit-def: $sgpr42_sgpr43
	s_branch .LBB878_444
.LBB878_443:                            ;   in Loop: Header=BB878_444 Depth=1
	s_or_b64 exec, exec, s[44:45]
	s_and_b64 s[4:5], exec, s[38:39]
	s_or_b64 s[34:35], s[4:5], s[34:35]
	s_andn2_b64 s[4:5], s[42:43], exec
	s_and_b64 s[10:11], s[40:41], exec
	s_or_b64 s[42:43], s[4:5], s[10:11]
	s_andn2_b64 s[4:5], s[36:37], exec
	s_and_b64 s[10:11], s[6:7], exec
	s_or_b64 s[36:37], s[4:5], s[10:11]
	s_andn2_b64 exec, exec, s[34:35]
	s_cbranch_execz .LBB878_446
.LBB878_444:                            ; =>This Inner Loop Header: Depth=1
	flat_load_dword v66, v[14:15]
	flat_load_dword v67, v[12:13]
	s_andn2_b64 s[44:45], s[6:7], exec
	s_andn2_b64 s[40:41], s[40:41], exec
	s_or_b64 s[38:39], s[38:39], exec
	s_waitcnt vmcnt(0) lgkmcnt(0)
	v_cmp_ngt_f32_e64 s[6:7], v66, v67
	v_cmp_lt_f32_e64 s[4:5], v66, v67
	s_and_b64 s[6:7], s[6:7], s[42:43]
	s_or_b64 s[46:47], s[4:5], s[6:7]
	s_and_b64 s[4:5], s[46:47], exec
	v_cmp_nlg_f32_e64 s[10:11], v66, v67
	s_or_b64 s[6:7], s[44:45], s[4:5]
	s_and_saveexec_b64 s[44:45], s[10:11]
	s_cbranch_execz .LBB878_443
; %bb.445:                              ;   in Loop: Header=BB878_444 Depth=1
	v_lshl_add_u64 v[16:17], v[16:17], 0, -1
	v_cmp_eq_u64_e64 s[4:5], 0, v[16:17]
	s_andn2_b64 s[10:11], s[40:41], exec
	s_and_b64 s[40:41], s[46:47], exec
	s_or_b64 s[40:41], s[10:11], s[40:41]
	s_andn2_b64 s[10:11], s[38:39], exec
	s_and_b64 s[4:5], s[4:5], exec
	v_lshl_add_u64 v[12:13], v[12:13], 0, 4
	v_lshl_add_u64 v[14:15], v[14:15], 0, 4
	s_andn2_b64 s[6:7], s[6:7], exec
	s_or_b64 s[38:39], s[10:11], s[4:5]
                                        ; implicit-def: $sgpr42_sgpr43
	s_branch .LBB878_443
.LBB878_446:
	s_or_b64 exec, exec, s[34:35]
	s_xor_b64 s[4:5], s[36:37], -1
	s_andn2_b64 s[6:7], s[24:25], exec
	s_and_b64 s[4:5], s[4:5], exec
	s_or_b64 s[24:25], s[6:7], s[4:5]
.LBB878_447:
	s_or_b64 exec, exec, s[30:31]
	s_orn2_b64 s[24:25], s[24:25], exec
.LBB878_448:
	s_or_b64 exec, exec, s[28:29]
	v_cndmask_b32_e64 v12, v18, v19, s[24:25]
	v_cndmask_b32_e64 v13, v100, v99, s[24:25]
	v_add_u32_e32 v16, 1, v12
	v_add_u32_e32 v12, -1, v13
	v_min_u32_e32 v12, v16, v12
	v_mov_b32_e32 v13, 0
	v_lshl_add_u64 v[14:15], v[12:13], 3, v[54:55]
	flat_load_dwordx2 v[14:15], v[14:15]
	v_cndmask_b32_e64 v66, v16, v18, s[24:25]
	s_mov_b64 s[28:29], -1
	v_cndmask_b32_e64 v67, v19, v16, s[24:25]
	v_cmp_lt_u32_e64 s[4:5], v66, v100
	s_mov_b64 s[30:31], -1
	s_waitcnt vmcnt(0) lgkmcnt(0)
	v_cndmask_b32_e64 v96, v15, v84, s[24:25]
	v_cndmask_b32_e64 v97, v14, v85, s[24:25]
	v_cndmask_b32_e64 v101, v86, v15, s[24:25]
	v_cndmask_b32_e64 v102, v87, v14, s[24:25]
	s_and_saveexec_b64 s[34:35], s[4:5]
	s_cbranch_execz .LBB878_456
; %bb.449:
	v_cmp_lt_u32_e64 s[30:31], v67, v99
	s_xor_b64 s[4:5], s[0:1], -1
	s_and_b64 s[4:5], s[30:31], s[4:5]
	s_and_saveexec_b64 s[36:37], s[4:5]
	s_cbranch_execz .LBB878_455
; %bb.450:
	v_mul_lo_u32 v12, v101, v6
	v_mul_lo_u32 v16, v102, v7
	v_mad_u64_u32 v[14:15], s[4:5], v102, v6, 0
	v_add3_u32 v15, v15, v16, v12
	v_mul_lo_u32 v12, v96, v6
	v_mul_lo_u32 v18, v97, v7
	v_mad_u64_u32 v[16:17], s[4:5], v97, v6, 0
	v_add3_u32 v17, v17, v18, v12
	v_lshl_add_u64 v[14:15], v[14:15], 2, v[8:9]
	v_lshl_add_u64 v[16:17], v[16:17], 2, v[8:9]
	s_mov_b64 s[38:39], 0
	v_mov_b64_e32 v[18:19], v[6:7]
                                        ; implicit-def: $sgpr40_sgpr41
                                        ; implicit-def: $sgpr42_sgpr43
                                        ; implicit-def: $sgpr6_sgpr7
                                        ; implicit-def: $sgpr44_sgpr45
                                        ; implicit-def: $sgpr46_sgpr47
	s_branch .LBB878_452
.LBB878_451:                            ;   in Loop: Header=BB878_452 Depth=1
	s_or_b64 exec, exec, s[48:49]
	s_and_b64 s[4:5], exec, s[42:43]
	s_or_b64 s[38:39], s[4:5], s[38:39]
	s_andn2_b64 s[4:5], s[46:47], exec
	s_and_b64 s[10:11], s[44:45], exec
	s_or_b64 s[46:47], s[4:5], s[10:11]
	s_andn2_b64 s[4:5], s[40:41], exec
	s_and_b64 s[10:11], s[6:7], exec
	s_or_b64 s[40:41], s[4:5], s[10:11]
	s_andn2_b64 exec, exec, s[38:39]
	s_cbranch_execz .LBB878_454
.LBB878_452:                            ; =>This Inner Loop Header: Depth=1
	flat_load_dword v12, v[16:17]
	flat_load_dword v103, v[14:15]
	s_andn2_b64 s[48:49], s[6:7], exec
	s_andn2_b64 s[44:45], s[44:45], exec
	s_or_b64 s[42:43], s[42:43], exec
	s_waitcnt vmcnt(0) lgkmcnt(0)
	v_cmp_ngt_f32_e64 s[6:7], v12, v103
	v_cmp_lt_f32_e64 s[4:5], v12, v103
	s_and_b64 s[6:7], s[6:7], s[46:47]
	s_or_b64 s[50:51], s[4:5], s[6:7]
	s_and_b64 s[4:5], s[50:51], exec
	v_cmp_nlg_f32_e64 s[10:11], v12, v103
	s_or_b64 s[6:7], s[48:49], s[4:5]
	s_and_saveexec_b64 s[48:49], s[10:11]
	s_cbranch_execz .LBB878_451
; %bb.453:                              ;   in Loop: Header=BB878_452 Depth=1
	v_lshl_add_u64 v[18:19], v[18:19], 0, -1
	v_cmp_eq_u64_e64 s[4:5], 0, v[18:19]
	s_andn2_b64 s[10:11], s[44:45], exec
	s_and_b64 s[44:45], s[50:51], exec
	s_or_b64 s[44:45], s[10:11], s[44:45]
	s_andn2_b64 s[10:11], s[42:43], exec
	s_and_b64 s[4:5], s[4:5], exec
	v_lshl_add_u64 v[14:15], v[14:15], 0, 4
	v_lshl_add_u64 v[16:17], v[16:17], 0, 4
	s_andn2_b64 s[6:7], s[6:7], exec
	s_or_b64 s[42:43], s[10:11], s[4:5]
                                        ; implicit-def: $sgpr46_sgpr47
	s_branch .LBB878_451
.LBB878_454:
	s_or_b64 exec, exec, s[38:39]
	s_xor_b64 s[4:5], s[40:41], -1
	s_andn2_b64 s[6:7], s[30:31], exec
	s_and_b64 s[4:5], s[4:5], exec
	s_or_b64 s[30:31], s[6:7], s[4:5]
.LBB878_455:
	s_or_b64 exec, exec, s[36:37]
	s_orn2_b64 s[30:31], s[30:31], exec
.LBB878_456:
	s_or_b64 exec, exec, s[34:35]
	v_cndmask_b32_e64 v12, v66, v67, s[30:31]
	v_cndmask_b32_e64 v14, v100, v99, s[30:31]
	v_add_u32_e32 v15, 1, v12
	v_add_u32_e32 v12, -1, v14
	v_min_u32_e32 v12, v15, v12
	v_lshl_add_u64 v[12:13], v[12:13], 3, v[54:55]
	flat_load_dwordx2 v[12:13], v[12:13]
	v_cndmask_b32_e64 v114, v15, v66, s[30:31]
	v_cndmask_b32_e64 v103, v67, v15, s[30:31]
	v_cmp_lt_u32_e64 s[4:5], v114, v100
	s_waitcnt vmcnt(0) lgkmcnt(0)
	v_cndmask_b32_e64 v112, v13, v96, s[30:31]
	v_cndmask_b32_e64 v113, v12, v97, s[30:31]
	;; [unrolled: 1-line block ×4, first 2 shown]
	s_and_saveexec_b64 s[34:35], s[4:5]
	s_cbranch_execz .LBB878_464
; %bb.457:
	v_cmp_lt_u32_e64 s[28:29], v103, v99
	s_xor_b64 s[4:5], s[0:1], -1
	s_and_b64 s[4:5], s[28:29], s[4:5]
	s_and_saveexec_b64 s[36:37], s[4:5]
	s_cbranch_execz .LBB878_463
; %bb.458:
	v_mul_lo_u32 v14, v115, v6
	v_mul_lo_u32 v15, v116, v7
	v_mad_u64_u32 v[12:13], s[4:5], v116, v6, 0
	v_add3_u32 v13, v13, v15, v14
	v_mul_lo_u32 v16, v112, v6
	v_mul_lo_u32 v17, v113, v7
	v_mad_u64_u32 v[14:15], s[4:5], v113, v6, 0
	v_add3_u32 v15, v15, v17, v16
	v_lshl_add_u64 v[12:13], v[12:13], 2, v[8:9]
	v_lshl_add_u64 v[14:15], v[14:15], 2, v[8:9]
	s_mov_b64 s[38:39], 0
	v_mov_b64_e32 v[16:17], v[6:7]
                                        ; implicit-def: $sgpr40_sgpr41
                                        ; implicit-def: $sgpr42_sgpr43
                                        ; implicit-def: $sgpr6_sgpr7
                                        ; implicit-def: $sgpr44_sgpr45
                                        ; implicit-def: $sgpr46_sgpr47
	s_branch .LBB878_460
.LBB878_459:                            ;   in Loop: Header=BB878_460 Depth=1
	s_or_b64 exec, exec, s[48:49]
	s_and_b64 s[4:5], exec, s[42:43]
	s_or_b64 s[38:39], s[4:5], s[38:39]
	s_andn2_b64 s[4:5], s[46:47], exec
	s_and_b64 s[10:11], s[44:45], exec
	s_or_b64 s[46:47], s[4:5], s[10:11]
	s_andn2_b64 s[4:5], s[40:41], exec
	s_and_b64 s[10:11], s[6:7], exec
	s_or_b64 s[40:41], s[4:5], s[10:11]
	s_andn2_b64 exec, exec, s[38:39]
	s_cbranch_execz .LBB878_462
.LBB878_460:                            ; =>This Inner Loop Header: Depth=1
	flat_load_dword v18, v[14:15]
	flat_load_dword v19, v[12:13]
	s_andn2_b64 s[48:49], s[6:7], exec
	s_andn2_b64 s[44:45], s[44:45], exec
	s_or_b64 s[42:43], s[42:43], exec
	s_waitcnt vmcnt(0) lgkmcnt(0)
	v_cmp_ngt_f32_e64 s[6:7], v18, v19
	v_cmp_lt_f32_e64 s[4:5], v18, v19
	s_and_b64 s[6:7], s[6:7], s[46:47]
	s_or_b64 s[50:51], s[4:5], s[6:7]
	s_and_b64 s[4:5], s[50:51], exec
	v_cmp_nlg_f32_e64 s[10:11], v18, v19
	s_or_b64 s[6:7], s[48:49], s[4:5]
	s_and_saveexec_b64 s[48:49], s[10:11]
	s_cbranch_execz .LBB878_459
; %bb.461:                              ;   in Loop: Header=BB878_460 Depth=1
	v_lshl_add_u64 v[16:17], v[16:17], 0, -1
	v_cmp_eq_u64_e64 s[4:5], 0, v[16:17]
	s_andn2_b64 s[10:11], s[44:45], exec
	s_and_b64 s[44:45], s[50:51], exec
	s_or_b64 s[44:45], s[10:11], s[44:45]
	s_andn2_b64 s[10:11], s[42:43], exec
	s_and_b64 s[4:5], s[4:5], exec
	v_lshl_add_u64 v[12:13], v[12:13], 0, 4
	v_lshl_add_u64 v[14:15], v[14:15], 0, 4
	s_andn2_b64 s[6:7], s[6:7], exec
	s_or_b64 s[42:43], s[10:11], s[4:5]
                                        ; implicit-def: $sgpr46_sgpr47
	s_branch .LBB878_459
.LBB878_462:
	s_or_b64 exec, exec, s[38:39]
	s_xor_b64 s[4:5], s[40:41], -1
	s_andn2_b64 s[6:7], s[28:29], exec
	s_and_b64 s[4:5], s[4:5], exec
	s_or_b64 s[28:29], s[6:7], s[4:5]
.LBB878_463:
	s_or_b64 exec, exec, s[36:37]
	s_orn2_b64 s[28:29], s[28:29], exec
.LBB878_464:
	s_or_b64 exec, exec, s[34:35]
	v_cndmask_b32_e64 v12, v114, v103, s[28:29]
	v_cndmask_b32_e64 v13, v100, v99, s[28:29]
	v_add_u32_e32 v117, 1, v12
	v_add_u32_e32 v12, -1, v13
	v_min_u32_e32 v12, v117, v12
	v_mov_b32_e32 v13, 0
	v_lshl_add_u64 v[12:13], v[12:13], 3, v[54:55]
	flat_load_dwordx2 v[66:67], v[12:13]
	v_cndmask_b32_e64 v17, v23, v70, s[20:21]
	v_cndmask_b32_e64 v23, v20, v22, s[22:23]
	;; [unrolled: 1-line block ×15, first 2 shown]
	v_cmp_lt_u32_e64 s[4:5], v68, v100
	s_waitcnt vmcnt(0) lgkmcnt(0)
	v_cndmask_b32_e64 v3, v115, v67, s[28:29]
	v_cndmask_b32_e64 v2, v116, v66, s[28:29]
	s_and_saveexec_b64 s[18:19], s[4:5]
	s_cbranch_execz .LBB878_472
; %bb.465:
	v_cndmask_b32_e64 v81, v66, v113, s[28:29]
	v_cndmask_b32_e64 v66, v103, v117, s[28:29]
	v_cmp_ge_u32_e64 s[4:5], v66, v99
	v_cndmask_b32_e64 v80, v67, v112, s[28:29]
	s_or_b64 s[6:7], s[4:5], s[0:1]
	v_cndmask_b32_e64 v67, v3, v80, s[4:5]
	s_xor_b64 s[6:7], s[6:7], -1
	v_cndmask_b32_e64 v66, v2, v81, s[4:5]
	s_and_saveexec_b64 s[20:21], s[6:7]
	s_cbranch_execz .LBB878_471
; %bb.466:
	v_mul_lo_u32 v68, v3, v6
	v_mul_lo_u32 v69, v2, v7
	v_mad_u64_u32 v[66:67], s[4:5], v2, v6, 0
	v_add3_u32 v67, v67, v69, v68
	v_mul_lo_u32 v70, v80, v6
	v_mul_lo_u32 v71, v81, v7
	v_mad_u64_u32 v[68:69], s[4:5], v81, v6, 0
	v_add3_u32 v69, v69, v71, v70
	v_lshl_add_u64 v[66:67], v[66:67], 2, v[8:9]
	v_lshl_add_u64 v[68:69], v[68:69], 2, v[8:9]
	s_mov_b64 s[22:23], 0
	v_mov_b64_e32 v[70:71], v[6:7]
                                        ; implicit-def: $sgpr24_sgpr25
                                        ; implicit-def: $sgpr26_sgpr27
                                        ; implicit-def: $sgpr6_sgpr7
                                        ; implicit-def: $sgpr28_sgpr29
                                        ; implicit-def: $sgpr30_sgpr31
	s_branch .LBB878_468
.LBB878_467:                            ;   in Loop: Header=BB878_468 Depth=1
	s_or_b64 exec, exec, s[34:35]
	s_and_b64 s[4:5], exec, s[26:27]
	s_or_b64 s[22:23], s[4:5], s[22:23]
	s_andn2_b64 s[4:5], s[30:31], exec
	s_and_b64 s[10:11], s[28:29], exec
	s_or_b64 s[30:31], s[4:5], s[10:11]
	s_andn2_b64 s[4:5], s[24:25], exec
	s_and_b64 s[10:11], s[6:7], exec
	s_or_b64 s[24:25], s[4:5], s[10:11]
	s_andn2_b64 exec, exec, s[22:23]
	s_cbranch_execz .LBB878_470
.LBB878_468:                            ; =>This Inner Loop Header: Depth=1
	flat_load_dword v82, v[68:69]
	flat_load_dword v83, v[66:67]
	s_andn2_b64 s[34:35], s[6:7], exec
	s_andn2_b64 s[28:29], s[28:29], exec
	s_or_b64 s[26:27], s[26:27], exec
	s_waitcnt vmcnt(0) lgkmcnt(0)
	v_cmp_ngt_f32_e64 s[6:7], v82, v83
	v_cmp_lt_f32_e64 s[4:5], v82, v83
	s_and_b64 s[6:7], s[6:7], s[30:31]
	s_or_b64 s[36:37], s[4:5], s[6:7]
	s_and_b64 s[4:5], s[36:37], exec
	v_cmp_nlg_f32_e64 s[10:11], v82, v83
	s_or_b64 s[6:7], s[34:35], s[4:5]
	s_and_saveexec_b64 s[34:35], s[10:11]
	s_cbranch_execz .LBB878_467
; %bb.469:                              ;   in Loop: Header=BB878_468 Depth=1
	v_lshl_add_u64 v[70:71], v[70:71], 0, -1
	v_cmp_eq_u64_e64 s[4:5], 0, v[70:71]
	s_andn2_b64 s[10:11], s[28:29], exec
	s_and_b64 s[28:29], s[36:37], exec
	s_or_b64 s[28:29], s[10:11], s[28:29]
	s_andn2_b64 s[10:11], s[26:27], exec
	s_and_b64 s[4:5], s[4:5], exec
	v_lshl_add_u64 v[66:67], v[66:67], 0, 4
	v_lshl_add_u64 v[68:69], v[68:69], 0, 4
	s_andn2_b64 s[6:7], s[6:7], exec
	s_or_b64 s[26:27], s[10:11], s[4:5]
                                        ; implicit-def: $sgpr30_sgpr31
	s_branch .LBB878_467
.LBB878_470:
	s_or_b64 exec, exec, s[22:23]
	v_cndmask_b32_e64 v67, v3, v80, s[24:25]
	v_cndmask_b32_e64 v66, v2, v81, s[24:25]
.LBB878_471:
	s_or_b64 exec, exec, s[20:21]
	v_mov_b64_e32 v[2:3], v[66:67]
.LBB878_472:
	s_or_b64 exec, exec, s[18:19]
.LBB878_473:
	s_or_b64 exec, exec, s[16:17]
	v_and_b32_e32 v99, 0x380, v98
	; wave barrier
	flat_store_dwordx4 v[64:65], v[20:23]
	flat_store_dwordx4 v[64:65], v[16:19] offset:16
	flat_store_dwordx4 v[64:65], v[12:15] offset:32
	;; [unrolled: 1-line block ×3, first 2 shown]
	v_or_b32_e32 v64, 64, v99
	v_min_u32_e32 v96, v31, v64
	v_add_u32_e32 v64, 64, v96
	v_min_u32_e32 v97, v31, v64
	v_and_b32_e32 v64, 0x78, v98
	v_min_u32_e32 v31, v31, v64
	v_sub_u32_e32 v64, v96, v99
	v_sub_u32_e32 v65, v97, v96
	v_sub_u32_e64 v98, v31, v65 clamp
	v_min_u32_e32 v100, v31, v64
	v_cmp_lt_u32_e64 s[4:5], v98, v100
	; wave barrier
	s_and_saveexec_b64 s[16:17], s[4:5]
	s_cbranch_execz .LBB878_483
; %bb.474:
	v_lshlrev_b32_e32 v64, 3, v99
	v_mov_b32_e32 v65, 0
	v_lshl_add_u64 v[66:67], v[54:55], 0, v[64:65]
	v_lshlrev_b32_e32 v64, 3, v96
	v_lshl_add_u64 v[68:69], v[54:55], 0, v[64:65]
	v_lshlrev_b64 v[70:71], 2, v[6:7]
	s_mov_b64 s[18:19], 0
	s_branch .LBB878_477
.LBB878_475:                            ;   in Loop: Header=BB878_477 Depth=1
	s_or_b64 exec, exec, s[22:23]
	s_and_b64 s[4:5], s[24:25], exec
.LBB878_476:                            ;   in Loop: Header=BB878_477 Depth=1
	s_or_b64 exec, exec, s[20:21]
	v_add_u32_e32 v64, 1, v80
	v_cndmask_b32_e64 v100, v100, v80, s[4:5]
	v_cndmask_b32_e64 v98, v64, v98, s[4:5]
	v_cmp_ge_u32_e64 s[4:5], v98, v100
	s_or_b64 s[18:19], s[4:5], s[18:19]
	s_andn2_b64 exec, exec, s[18:19]
	s_cbranch_execz .LBB878_482
.LBB878_477:                            ; =>This Loop Header: Depth=1
                                        ;     Child Loop BB878_480 Depth 2
	v_add_u32_e32 v64, v100, v98
	v_lshrrev_b32_e32 v80, 1, v64
	s_mov_b64 s[4:5], 0
	s_and_saveexec_b64 s[20:21], vcc
	s_cbranch_execz .LBB878_476
; %bb.478:                              ;   in Loop: Header=BB878_477 Depth=1
	v_mov_b32_e32 v81, v65
	v_xad_u32 v64, v80, -1, v31
	v_lshl_add_u64 v[82:83], v[80:81], 3, v[66:67]
	v_lshl_add_u64 v[84:85], v[64:65], 3, v[68:69]
	flat_load_dwordx2 v[82:83], v[82:83]
	s_mov_b64 s[22:23], 0
	flat_load_dwordx2 v[84:85], v[84:85]
                                        ; implicit-def: $sgpr24_sgpr25
                                        ; implicit-def: $sgpr26_sgpr27
                                        ; implicit-def: $sgpr28_sgpr29
                                        ; implicit-def: $sgpr6_sgpr7
                                        ; implicit-def: $sgpr30_sgpr31
	s_waitcnt vmcnt(0) lgkmcnt(0)
	v_mul_lo_u32 v64, v70, v83
	v_mul_lo_u32 v81, v71, v82
	v_mad_u64_u32 v[82:83], s[4:5], v70, v82, v[8:9]
	v_mul_lo_u32 v86, v70, v85
	v_mul_lo_u32 v87, v71, v84
	v_mad_u64_u32 v[84:85], s[4:5], v70, v84, v[8:9]
	v_add3_u32 v83, v81, v83, v64
	v_add3_u32 v85, v87, v85, v86
	v_mov_b64_e32 v[86:87], v[6:7]
	s_branch .LBB878_480
.LBB878_479:                            ;   in Loop: Header=BB878_480 Depth=2
	s_or_b64 exec, exec, s[34:35]
	s_and_b64 s[4:5], exec, s[26:27]
	s_or_b64 s[22:23], s[4:5], s[22:23]
	s_andn2_b64 s[4:5], s[30:31], exec
	s_and_b64 s[10:11], s[28:29], exec
	s_or_b64 s[30:31], s[4:5], s[10:11]
	s_andn2_b64 s[4:5], s[24:25], exec
	s_and_b64 s[10:11], s[6:7], exec
	s_or_b64 s[24:25], s[4:5], s[10:11]
	s_andn2_b64 exec, exec, s[22:23]
	s_cbranch_execz .LBB878_475
.LBB878_480:                            ;   Parent Loop BB878_477 Depth=1
                                        ; =>  This Inner Loop Header: Depth=2
	flat_load_dword v64, v[84:85]
	flat_load_dword v81, v[82:83]
	s_andn2_b64 s[34:35], s[6:7], exec
	s_andn2_b64 s[28:29], s[28:29], exec
	s_or_b64 s[26:27], s[26:27], exec
	s_waitcnt vmcnt(0) lgkmcnt(0)
	v_cmp_ngt_f32_e64 s[6:7], v64, v81
	v_cmp_lt_f32_e64 s[4:5], v64, v81
	s_and_b64 s[6:7], s[6:7], s[30:31]
	s_or_b64 s[36:37], s[4:5], s[6:7]
	s_and_b64 s[4:5], s[36:37], exec
	v_cmp_nlg_f32_e64 s[10:11], v64, v81
	s_or_b64 s[6:7], s[34:35], s[4:5]
	s_and_saveexec_b64 s[34:35], s[10:11]
	s_cbranch_execz .LBB878_479
; %bb.481:                              ;   in Loop: Header=BB878_480 Depth=2
	v_lshl_add_u64 v[86:87], v[86:87], 0, -1
	v_cmp_eq_u64_e64 s[4:5], 0, v[86:87]
	s_andn2_b64 s[10:11], s[28:29], exec
	s_and_b64 s[28:29], s[36:37], exec
	s_or_b64 s[28:29], s[10:11], s[28:29]
	s_andn2_b64 s[10:11], s[26:27], exec
	s_and_b64 s[4:5], s[4:5], exec
	v_lshl_add_u64 v[82:83], v[82:83], 0, 4
	v_lshl_add_u64 v[84:85], v[84:85], 0, 4
	s_andn2_b64 s[6:7], s[6:7], exec
	s_or_b64 s[26:27], s[10:11], s[4:5]
                                        ; implicit-def: $sgpr30_sgpr31
	s_branch .LBB878_479
.LBB878_482:
	s_or_b64 exec, exec, s[18:19]
.LBB878_483:
	s_or_b64 exec, exec, s[16:17]
	v_add_u32_e32 v31, v96, v31
	v_add_u32_e32 v64, v98, v99
	v_sub_u32_e32 v66, v31, v98
	v_cmp_le_u32_e64 s[4:5], v64, v96
	v_cmp_le_u32_e64 s[6:7], v66, v97
	s_or_b64 s[4:5], s[4:5], s[6:7]
	s_and_saveexec_b64 s[16:17], s[4:5]
	s_cbranch_execz .LBB878_555
; %bb.484:
	v_cmp_ge_u32_e64 s[4:5], v64, v96
	v_cmp_lt_u32_e64 s[6:7], v64, v96
                                        ; implicit-def: $vgpr0_vgpr1
	s_and_saveexec_b64 s[10:11], s[6:7]
	s_cbranch_execz .LBB878_486
; %bb.485:
	v_mov_b32_e32 v65, 0
	v_lshl_add_u64 v[0:1], v[64:65], 3, v[54:55]
	flat_load_dwordx2 v[0:1], v[0:1]
.LBB878_486:
	s_or_b64 exec, exec, s[10:11]
	v_cmp_ge_u32_e64 s[18:19], v66, v97
	v_cmp_lt_u32_e64 s[6:7], v66, v97
                                        ; implicit-def: $vgpr2_vgpr3
	s_and_saveexec_b64 s[10:11], s[6:7]
	s_cbranch_execz .LBB878_488
; %bb.487:
	v_mov_b32_e32 v67, 0
	v_lshl_add_u64 v[2:3], v[66:67], 3, v[54:55]
	flat_load_dwordx2 v[2:3], v[2:3]
.LBB878_488:
	s_or_b64 exec, exec, s[10:11]
	s_or_b64 s[4:5], s[4:5], s[18:19]
	s_xor_b64 s[4:5], s[4:5], -1
	s_and_saveexec_b64 s[20:21], s[4:5]
	s_cbranch_execz .LBB878_496
; %bb.489:
	s_mov_b64 s[4:5], 0
	s_and_saveexec_b64 s[22:23], s[2:3]
	s_cbranch_execz .LBB878_495
; %bb.490:
	s_waitcnt vmcnt(0) lgkmcnt(0)
	v_mul_lo_u32 v14, v1, v6
	v_mul_lo_u32 v15, v0, v7
	v_mad_u64_u32 v[12:13], s[4:5], v0, v6, 0
	v_add3_u32 v13, v13, v15, v14
	v_mul_lo_u32 v16, v3, v6
	v_mul_lo_u32 v17, v2, v7
	v_mad_u64_u32 v[14:15], s[4:5], v2, v6, 0
	v_add3_u32 v15, v15, v17, v16
	v_lshl_add_u64 v[12:13], v[12:13], 2, v[8:9]
	v_lshl_add_u64 v[14:15], v[14:15], 2, v[8:9]
	s_mov_b64 s[24:25], 0
	v_mov_b64_e32 v[16:17], v[6:7]
                                        ; implicit-def: $sgpr26_sgpr27
                                        ; implicit-def: $sgpr28_sgpr29
                                        ; implicit-def: $sgpr30_sgpr31
                                        ; implicit-def: $sgpr6_sgpr7
                                        ; implicit-def: $sgpr34_sgpr35
	s_branch .LBB878_492
.LBB878_491:                            ;   in Loop: Header=BB878_492 Depth=1
	s_or_b64 exec, exec, s[36:37]
	s_and_b64 s[4:5], exec, s[28:29]
	s_or_b64 s[24:25], s[4:5], s[24:25]
	s_andn2_b64 s[4:5], s[34:35], exec
	s_and_b64 s[10:11], s[30:31], exec
	s_or_b64 s[34:35], s[4:5], s[10:11]
	s_andn2_b64 s[4:5], s[26:27], exec
	s_and_b64 s[10:11], s[6:7], exec
	s_or_b64 s[26:27], s[4:5], s[10:11]
	s_andn2_b64 exec, exec, s[24:25]
	s_cbranch_execz .LBB878_494
.LBB878_492:                            ; =>This Inner Loop Header: Depth=1
	flat_load_dword v18, v[14:15]
	flat_load_dword v19, v[12:13]
	s_andn2_b64 s[36:37], s[6:7], exec
	s_andn2_b64 s[30:31], s[30:31], exec
	s_or_b64 s[28:29], s[28:29], exec
	s_waitcnt vmcnt(0) lgkmcnt(0)
	v_cmp_ngt_f32_e64 s[6:7], v18, v19
	v_cmp_lt_f32_e64 s[4:5], v18, v19
	s_and_b64 s[6:7], s[6:7], s[34:35]
	s_or_b64 s[38:39], s[4:5], s[6:7]
	s_and_b64 s[4:5], s[38:39], exec
	v_cmp_nlg_f32_e64 s[10:11], v18, v19
	s_or_b64 s[6:7], s[36:37], s[4:5]
	s_and_saveexec_b64 s[36:37], s[10:11]
	s_cbranch_execz .LBB878_491
; %bb.493:                              ;   in Loop: Header=BB878_492 Depth=1
	v_lshl_add_u64 v[16:17], v[16:17], 0, -1
	v_cmp_eq_u64_e64 s[4:5], 0, v[16:17]
	s_andn2_b64 s[10:11], s[30:31], exec
	s_and_b64 s[30:31], s[38:39], exec
	s_or_b64 s[30:31], s[10:11], s[30:31]
	s_andn2_b64 s[10:11], s[28:29], exec
	s_and_b64 s[4:5], s[4:5], exec
	v_lshl_add_u64 v[12:13], v[12:13], 0, 4
	v_lshl_add_u64 v[14:15], v[14:15], 0, 4
	s_andn2_b64 s[6:7], s[6:7], exec
	s_or_b64 s[28:29], s[10:11], s[4:5]
                                        ; implicit-def: $sgpr34_sgpr35
	s_branch .LBB878_491
.LBB878_494:
	s_or_b64 exec, exec, s[24:25]
	s_and_b64 s[4:5], s[26:27], exec
.LBB878_495:
	s_or_b64 exec, exec, s[22:23]
	s_xor_b64 s[4:5], s[4:5], -1
	s_andn2_b64 s[6:7], s[18:19], exec
	s_and_b64 s[4:5], s[4:5], exec
	s_or_b64 s[18:19], s[6:7], s[4:5]
.LBB878_496:
	s_or_b64 exec, exec, s[20:21]
	v_cndmask_b32_e64 v12, v66, v64, s[18:19]
	v_cndmask_b32_e64 v13, v97, v96, s[18:19]
	v_add_u32_e32 v16, 1, v12
	v_add_u32_e32 v12, -1, v13
	v_min_u32_e32 v12, v16, v12
	v_mov_b32_e32 v13, 0
	v_lshl_add_u64 v[14:15], v[12:13], 3, v[54:55]
	flat_load_dwordx2 v[14:15], v[14:15]
	v_cndmask_b32_e64 v23, v16, v66, s[18:19]
	s_mov_b64 s[20:21], -1
	v_cndmask_b32_e64 v64, v64, v16, s[18:19]
	v_cmp_lt_u32_e64 s[4:5], v23, v97
	s_mov_b64 s[22:23], -1
	s_waitcnt vmcnt(0) lgkmcnt(0)
	v_cndmask_b32_e64 v20, v15, v3, s[18:19]
	v_cndmask_b32_e64 v21, v14, v2, s[18:19]
	;; [unrolled: 1-line block ×4, first 2 shown]
	s_and_saveexec_b64 s[24:25], s[4:5]
	s_cbranch_execz .LBB878_506
; %bb.497:
	v_cmp_lt_u32_e64 s[4:5], v64, v96
	s_mov_b64 s[6:7], 0
	s_and_saveexec_b64 s[22:23], s[4:5]
	s_cbranch_execz .LBB878_505
; %bb.498:
	s_mov_b64 s[4:5], 0
	s_and_saveexec_b64 s[26:27], s[2:3]
	s_cbranch_execz .LBB878_504
; %bb.499:
	v_mul_lo_u32 v12, v22, v6
	v_mul_lo_u32 v16, v31, v7
	v_mad_u64_u32 v[14:15], s[4:5], v31, v6, 0
	v_add3_u32 v15, v15, v16, v12
	v_mul_lo_u32 v12, v20, v6
	v_mul_lo_u32 v18, v21, v7
	v_mad_u64_u32 v[16:17], s[4:5], v21, v6, 0
	v_add3_u32 v17, v17, v18, v12
	v_lshl_add_u64 v[14:15], v[14:15], 2, v[8:9]
	v_lshl_add_u64 v[16:17], v[16:17], 2, v[8:9]
	s_mov_b64 s[28:29], 0
	v_mov_b64_e32 v[18:19], v[6:7]
                                        ; implicit-def: $sgpr30_sgpr31
                                        ; implicit-def: $sgpr34_sgpr35
                                        ; implicit-def: $sgpr36_sgpr37
                                        ; implicit-def: $sgpr6_sgpr7
                                        ; implicit-def: $sgpr38_sgpr39
	s_branch .LBB878_501
.LBB878_500:                            ;   in Loop: Header=BB878_501 Depth=1
	s_or_b64 exec, exec, s[40:41]
	s_and_b64 s[4:5], exec, s[34:35]
	s_or_b64 s[28:29], s[4:5], s[28:29]
	s_andn2_b64 s[4:5], s[38:39], exec
	s_and_b64 s[10:11], s[36:37], exec
	s_or_b64 s[38:39], s[4:5], s[10:11]
	s_andn2_b64 s[4:5], s[30:31], exec
	s_and_b64 s[10:11], s[6:7], exec
	s_or_b64 s[30:31], s[4:5], s[10:11]
	s_andn2_b64 exec, exec, s[28:29]
	s_cbranch_execz .LBB878_503
.LBB878_501:                            ; =>This Inner Loop Header: Depth=1
	flat_load_dword v12, v[16:17]
	flat_load_dword v65, v[14:15]
	s_andn2_b64 s[40:41], s[6:7], exec
	s_andn2_b64 s[36:37], s[36:37], exec
	s_or_b64 s[34:35], s[34:35], exec
	s_waitcnt vmcnt(0) lgkmcnt(0)
	v_cmp_ngt_f32_e64 s[6:7], v12, v65
	v_cmp_lt_f32_e64 s[4:5], v12, v65
	s_and_b64 s[6:7], s[6:7], s[38:39]
	s_or_b64 s[42:43], s[4:5], s[6:7]
	s_and_b64 s[4:5], s[42:43], exec
	v_cmp_nlg_f32_e64 s[10:11], v12, v65
	s_or_b64 s[6:7], s[40:41], s[4:5]
	s_and_saveexec_b64 s[40:41], s[10:11]
	s_cbranch_execz .LBB878_500
; %bb.502:                              ;   in Loop: Header=BB878_501 Depth=1
	v_lshl_add_u64 v[18:19], v[18:19], 0, -1
	v_cmp_eq_u64_e64 s[4:5], 0, v[18:19]
	s_andn2_b64 s[10:11], s[36:37], exec
	s_and_b64 s[36:37], s[42:43], exec
	s_or_b64 s[36:37], s[10:11], s[36:37]
	s_andn2_b64 s[10:11], s[34:35], exec
	s_and_b64 s[4:5], s[4:5], exec
	v_lshl_add_u64 v[14:15], v[14:15], 0, 4
	v_lshl_add_u64 v[16:17], v[16:17], 0, 4
	s_andn2_b64 s[6:7], s[6:7], exec
	s_or_b64 s[34:35], s[10:11], s[4:5]
                                        ; implicit-def: $sgpr38_sgpr39
	s_branch .LBB878_500
.LBB878_503:
	s_or_b64 exec, exec, s[28:29]
	s_and_b64 s[4:5], s[30:31], exec
.LBB878_504:
	s_or_b64 exec, exec, s[26:27]
	s_xor_b64 s[4:5], s[4:5], -1
	s_and_b64 s[6:7], s[4:5], exec
.LBB878_505:
	s_or_b64 exec, exec, s[22:23]
	s_orn2_b64 s[22:23], s[6:7], exec
.LBB878_506:
	s_or_b64 exec, exec, s[24:25]
	v_cndmask_b32_e64 v12, v23, v64, s[22:23]
	v_cndmask_b32_e64 v14, v97, v96, s[22:23]
	v_add_u32_e32 v15, 1, v12
	v_add_u32_e32 v12, -1, v14
	v_min_u32_e32 v12, v15, v12
	v_lshl_add_u64 v[12:13], v[12:13], 3, v[54:55]
	flat_load_dwordx2 v[12:13], v[12:13]
	v_cndmask_b32_e64 v18, v15, v23, s[22:23]
	v_cndmask_b32_e64 v19, v64, v15, s[22:23]
	v_cmp_lt_u32_e64 s[4:5], v18, v97
	s_waitcnt vmcnt(0) lgkmcnt(0)
	v_cndmask_b32_e64 v23, v13, v20, s[22:23]
	v_cndmask_b32_e64 v64, v12, v21, s[22:23]
	;; [unrolled: 1-line block ×4, first 2 shown]
	s_and_saveexec_b64 s[24:25], s[4:5]
	s_cbranch_execz .LBB878_514
; %bb.507:
	v_cmp_lt_u32_e64 s[20:21], v19, v96
	s_xor_b64 s[4:5], s[0:1], -1
	s_and_b64 s[4:5], s[20:21], s[4:5]
	s_and_saveexec_b64 s[26:27], s[4:5]
	s_cbranch_execz .LBB878_513
; %bb.508:
	v_mul_lo_u32 v14, v65, v6
	v_mul_lo_u32 v15, v66, v7
	v_mad_u64_u32 v[12:13], s[4:5], v66, v6, 0
	v_add3_u32 v13, v13, v15, v14
	v_mul_lo_u32 v16, v23, v6
	v_mul_lo_u32 v17, v64, v7
	v_mad_u64_u32 v[14:15], s[4:5], v64, v6, 0
	v_add3_u32 v15, v15, v17, v16
	v_lshl_add_u64 v[12:13], v[12:13], 2, v[8:9]
	v_lshl_add_u64 v[14:15], v[14:15], 2, v[8:9]
	s_mov_b64 s[28:29], 0
	v_mov_b64_e32 v[16:17], v[6:7]
                                        ; implicit-def: $sgpr30_sgpr31
                                        ; implicit-def: $sgpr34_sgpr35
                                        ; implicit-def: $sgpr6_sgpr7
                                        ; implicit-def: $sgpr36_sgpr37
                                        ; implicit-def: $sgpr38_sgpr39
	s_branch .LBB878_510
.LBB878_509:                            ;   in Loop: Header=BB878_510 Depth=1
	s_or_b64 exec, exec, s[40:41]
	s_and_b64 s[4:5], exec, s[34:35]
	s_or_b64 s[28:29], s[4:5], s[28:29]
	s_andn2_b64 s[4:5], s[38:39], exec
	s_and_b64 s[10:11], s[36:37], exec
	s_or_b64 s[38:39], s[4:5], s[10:11]
	s_andn2_b64 s[4:5], s[30:31], exec
	s_and_b64 s[10:11], s[6:7], exec
	s_or_b64 s[30:31], s[4:5], s[10:11]
	s_andn2_b64 exec, exec, s[28:29]
	s_cbranch_execz .LBB878_512
.LBB878_510:                            ; =>This Inner Loop Header: Depth=1
	flat_load_dword v67, v[14:15]
	flat_load_dword v68, v[12:13]
	s_andn2_b64 s[40:41], s[6:7], exec
	s_andn2_b64 s[36:37], s[36:37], exec
	s_or_b64 s[34:35], s[34:35], exec
	s_waitcnt vmcnt(0) lgkmcnt(0)
	v_cmp_ngt_f32_e64 s[6:7], v67, v68
	v_cmp_lt_f32_e64 s[4:5], v67, v68
	s_and_b64 s[6:7], s[6:7], s[38:39]
	s_or_b64 s[42:43], s[4:5], s[6:7]
	s_and_b64 s[4:5], s[42:43], exec
	v_cmp_nlg_f32_e64 s[10:11], v67, v68
	s_or_b64 s[6:7], s[40:41], s[4:5]
	s_and_saveexec_b64 s[40:41], s[10:11]
	s_cbranch_execz .LBB878_509
; %bb.511:                              ;   in Loop: Header=BB878_510 Depth=1
	v_lshl_add_u64 v[16:17], v[16:17], 0, -1
	v_cmp_eq_u64_e64 s[4:5], 0, v[16:17]
	s_andn2_b64 s[10:11], s[36:37], exec
	s_and_b64 s[36:37], s[42:43], exec
	s_or_b64 s[36:37], s[10:11], s[36:37]
	s_andn2_b64 s[10:11], s[34:35], exec
	s_and_b64 s[4:5], s[4:5], exec
	v_lshl_add_u64 v[12:13], v[12:13], 0, 4
	v_lshl_add_u64 v[14:15], v[14:15], 0, 4
	s_andn2_b64 s[6:7], s[6:7], exec
	s_or_b64 s[34:35], s[10:11], s[4:5]
                                        ; implicit-def: $sgpr38_sgpr39
	s_branch .LBB878_509
.LBB878_512:
	s_or_b64 exec, exec, s[28:29]
	s_xor_b64 s[4:5], s[30:31], -1
	s_andn2_b64 s[6:7], s[20:21], exec
	s_and_b64 s[4:5], s[4:5], exec
	s_or_b64 s[20:21], s[6:7], s[4:5]
.LBB878_513:
	s_or_b64 exec, exec, s[26:27]
	s_orn2_b64 s[20:21], s[20:21], exec
.LBB878_514:
	s_or_b64 exec, exec, s[24:25]
	v_cndmask_b32_e64 v12, v18, v19, s[20:21]
	v_cndmask_b32_e64 v13, v97, v96, s[20:21]
	v_add_u32_e32 v16, 1, v12
	v_add_u32_e32 v12, -1, v13
	v_min_u32_e32 v12, v16, v12
	v_mov_b32_e32 v13, 0
	v_lshl_add_u64 v[14:15], v[12:13], 3, v[54:55]
	flat_load_dwordx2 v[14:15], v[14:15]
	v_cndmask_b32_e64 v71, v16, v18, s[20:21]
	s_mov_b64 s[24:25], -1
	v_cndmask_b32_e64 v80, v19, v16, s[20:21]
	v_cmp_lt_u32_e64 s[4:5], v71, v97
	s_mov_b64 s[26:27], -1
	s_waitcnt vmcnt(0) lgkmcnt(0)
	v_cndmask_b32_e64 v67, v15, v23, s[20:21]
	v_cndmask_b32_e64 v68, v14, v64, s[20:21]
	v_cndmask_b32_e64 v69, v65, v15, s[20:21]
	v_cndmask_b32_e64 v70, v66, v14, s[20:21]
	s_and_saveexec_b64 s[28:29], s[4:5]
	s_cbranch_execz .LBB878_522
; %bb.515:
	v_cmp_lt_u32_e64 s[26:27], v80, v96
	s_xor_b64 s[4:5], s[0:1], -1
	s_and_b64 s[4:5], s[26:27], s[4:5]
	s_and_saveexec_b64 s[30:31], s[4:5]
	s_cbranch_execz .LBB878_521
; %bb.516:
	v_mul_lo_u32 v12, v69, v6
	v_mul_lo_u32 v16, v70, v7
	v_mad_u64_u32 v[14:15], s[4:5], v70, v6, 0
	v_add3_u32 v15, v15, v16, v12
	v_mul_lo_u32 v12, v67, v6
	v_mul_lo_u32 v18, v68, v7
	v_mad_u64_u32 v[16:17], s[4:5], v68, v6, 0
	v_add3_u32 v17, v17, v18, v12
	v_lshl_add_u64 v[14:15], v[14:15], 2, v[8:9]
	v_lshl_add_u64 v[16:17], v[16:17], 2, v[8:9]
	s_mov_b64 s[34:35], 0
	v_mov_b64_e32 v[18:19], v[6:7]
                                        ; implicit-def: $sgpr36_sgpr37
                                        ; implicit-def: $sgpr38_sgpr39
                                        ; implicit-def: $sgpr6_sgpr7
                                        ; implicit-def: $sgpr40_sgpr41
                                        ; implicit-def: $sgpr42_sgpr43
	s_branch .LBB878_518
.LBB878_517:                            ;   in Loop: Header=BB878_518 Depth=1
	s_or_b64 exec, exec, s[44:45]
	s_and_b64 s[4:5], exec, s[38:39]
	s_or_b64 s[34:35], s[4:5], s[34:35]
	s_andn2_b64 s[4:5], s[42:43], exec
	s_and_b64 s[10:11], s[40:41], exec
	s_or_b64 s[42:43], s[4:5], s[10:11]
	s_andn2_b64 s[4:5], s[36:37], exec
	s_and_b64 s[10:11], s[6:7], exec
	s_or_b64 s[36:37], s[4:5], s[10:11]
	s_andn2_b64 exec, exec, s[34:35]
	s_cbranch_execz .LBB878_520
.LBB878_518:                            ; =>This Inner Loop Header: Depth=1
	flat_load_dword v12, v[16:17]
	flat_load_dword v81, v[14:15]
	s_andn2_b64 s[44:45], s[6:7], exec
	s_andn2_b64 s[40:41], s[40:41], exec
	s_or_b64 s[38:39], s[38:39], exec
	s_waitcnt vmcnt(0) lgkmcnt(0)
	v_cmp_ngt_f32_e64 s[6:7], v12, v81
	v_cmp_lt_f32_e64 s[4:5], v12, v81
	s_and_b64 s[6:7], s[6:7], s[42:43]
	s_or_b64 s[46:47], s[4:5], s[6:7]
	s_and_b64 s[4:5], s[46:47], exec
	v_cmp_nlg_f32_e64 s[10:11], v12, v81
	s_or_b64 s[6:7], s[44:45], s[4:5]
	s_and_saveexec_b64 s[44:45], s[10:11]
	s_cbranch_execz .LBB878_517
; %bb.519:                              ;   in Loop: Header=BB878_518 Depth=1
	v_lshl_add_u64 v[18:19], v[18:19], 0, -1
	v_cmp_eq_u64_e64 s[4:5], 0, v[18:19]
	s_andn2_b64 s[10:11], s[40:41], exec
	s_and_b64 s[40:41], s[46:47], exec
	s_or_b64 s[40:41], s[10:11], s[40:41]
	s_andn2_b64 s[10:11], s[38:39], exec
	s_and_b64 s[4:5], s[4:5], exec
	v_lshl_add_u64 v[14:15], v[14:15], 0, 4
	v_lshl_add_u64 v[16:17], v[16:17], 0, 4
	s_andn2_b64 s[6:7], s[6:7], exec
	s_or_b64 s[38:39], s[10:11], s[4:5]
                                        ; implicit-def: $sgpr42_sgpr43
	s_branch .LBB878_517
.LBB878_520:
	s_or_b64 exec, exec, s[34:35]
	s_xor_b64 s[4:5], s[36:37], -1
	s_andn2_b64 s[6:7], s[26:27], exec
	s_and_b64 s[4:5], s[4:5], exec
	s_or_b64 s[26:27], s[6:7], s[4:5]
.LBB878_521:
	s_or_b64 exec, exec, s[30:31]
	s_orn2_b64 s[26:27], s[26:27], exec
.LBB878_522:
	s_or_b64 exec, exec, s[28:29]
	v_cndmask_b32_e64 v12, v71, v80, s[26:27]
	v_cndmask_b32_e64 v14, v97, v96, s[26:27]
	v_add_u32_e32 v15, 1, v12
	v_add_u32_e32 v12, -1, v14
	v_min_u32_e32 v12, v15, v12
	v_lshl_add_u64 v[12:13], v[12:13], 3, v[54:55]
	flat_load_dwordx2 v[12:13], v[12:13]
	v_cndmask_b32_e64 v18, v15, v71, s[26:27]
	v_cndmask_b32_e64 v19, v80, v15, s[26:27]
	v_cmp_lt_u32_e64 s[4:5], v18, v97
	s_waitcnt vmcnt(0) lgkmcnt(0)
	v_cndmask_b32_e64 v71, v13, v67, s[26:27]
	v_cndmask_b32_e64 v80, v12, v68, s[26:27]
	;; [unrolled: 1-line block ×4, first 2 shown]
	s_and_saveexec_b64 s[28:29], s[4:5]
	s_cbranch_execz .LBB878_530
; %bb.523:
	v_cmp_lt_u32_e64 s[24:25], v19, v96
	s_xor_b64 s[4:5], s[0:1], -1
	s_and_b64 s[4:5], s[24:25], s[4:5]
	s_and_saveexec_b64 s[30:31], s[4:5]
	s_cbranch_execz .LBB878_529
; %bb.524:
	v_mul_lo_u32 v14, v81, v6
	v_mul_lo_u32 v15, v82, v7
	v_mad_u64_u32 v[12:13], s[4:5], v82, v6, 0
	v_add3_u32 v13, v13, v15, v14
	v_mul_lo_u32 v16, v71, v6
	v_mul_lo_u32 v17, v80, v7
	v_mad_u64_u32 v[14:15], s[4:5], v80, v6, 0
	v_add3_u32 v15, v15, v17, v16
	v_lshl_add_u64 v[12:13], v[12:13], 2, v[8:9]
	v_lshl_add_u64 v[14:15], v[14:15], 2, v[8:9]
	s_mov_b64 s[34:35], 0
	v_mov_b64_e32 v[16:17], v[6:7]
                                        ; implicit-def: $sgpr36_sgpr37
                                        ; implicit-def: $sgpr38_sgpr39
                                        ; implicit-def: $sgpr6_sgpr7
                                        ; implicit-def: $sgpr40_sgpr41
                                        ; implicit-def: $sgpr42_sgpr43
	s_branch .LBB878_526
.LBB878_525:                            ;   in Loop: Header=BB878_526 Depth=1
	s_or_b64 exec, exec, s[44:45]
	s_and_b64 s[4:5], exec, s[38:39]
	s_or_b64 s[34:35], s[4:5], s[34:35]
	s_andn2_b64 s[4:5], s[42:43], exec
	s_and_b64 s[10:11], s[40:41], exec
	s_or_b64 s[42:43], s[4:5], s[10:11]
	s_andn2_b64 s[4:5], s[36:37], exec
	s_and_b64 s[10:11], s[6:7], exec
	s_or_b64 s[36:37], s[4:5], s[10:11]
	s_andn2_b64 exec, exec, s[34:35]
	s_cbranch_execz .LBB878_528
.LBB878_526:                            ; =>This Inner Loop Header: Depth=1
	flat_load_dword v83, v[14:15]
	flat_load_dword v84, v[12:13]
	s_andn2_b64 s[44:45], s[6:7], exec
	s_andn2_b64 s[40:41], s[40:41], exec
	s_or_b64 s[38:39], s[38:39], exec
	s_waitcnt vmcnt(0) lgkmcnt(0)
	v_cmp_ngt_f32_e64 s[6:7], v83, v84
	v_cmp_lt_f32_e64 s[4:5], v83, v84
	s_and_b64 s[6:7], s[6:7], s[42:43]
	s_or_b64 s[46:47], s[4:5], s[6:7]
	s_and_b64 s[4:5], s[46:47], exec
	v_cmp_nlg_f32_e64 s[10:11], v83, v84
	s_or_b64 s[6:7], s[44:45], s[4:5]
	s_and_saveexec_b64 s[44:45], s[10:11]
	s_cbranch_execz .LBB878_525
; %bb.527:                              ;   in Loop: Header=BB878_526 Depth=1
	v_lshl_add_u64 v[16:17], v[16:17], 0, -1
	v_cmp_eq_u64_e64 s[4:5], 0, v[16:17]
	s_andn2_b64 s[10:11], s[40:41], exec
	s_and_b64 s[40:41], s[46:47], exec
	s_or_b64 s[40:41], s[10:11], s[40:41]
	s_andn2_b64 s[10:11], s[38:39], exec
	s_and_b64 s[4:5], s[4:5], exec
	v_lshl_add_u64 v[12:13], v[12:13], 0, 4
	v_lshl_add_u64 v[14:15], v[14:15], 0, 4
	s_andn2_b64 s[6:7], s[6:7], exec
	s_or_b64 s[38:39], s[10:11], s[4:5]
                                        ; implicit-def: $sgpr42_sgpr43
	s_branch .LBB878_525
.LBB878_528:
	s_or_b64 exec, exec, s[34:35]
	s_xor_b64 s[4:5], s[36:37], -1
	s_andn2_b64 s[6:7], s[24:25], exec
	s_and_b64 s[4:5], s[4:5], exec
	s_or_b64 s[24:25], s[6:7], s[4:5]
.LBB878_529:
	s_or_b64 exec, exec, s[30:31]
	s_orn2_b64 s[24:25], s[24:25], exec
.LBB878_530:
	s_or_b64 exec, exec, s[28:29]
	v_cndmask_b32_e64 v12, v18, v19, s[24:25]
	v_cndmask_b32_e64 v13, v97, v96, s[24:25]
	v_add_u32_e32 v16, 1, v12
	v_add_u32_e32 v12, -1, v13
	v_min_u32_e32 v12, v16, v12
	v_mov_b32_e32 v13, 0
	v_lshl_add_u64 v[14:15], v[12:13], 3, v[54:55]
	flat_load_dwordx2 v[14:15], v[14:15]
	v_cndmask_b32_e64 v87, v16, v18, s[24:25]
	s_mov_b64 s[28:29], -1
	v_cndmask_b32_e64 v98, v19, v16, s[24:25]
	v_cmp_lt_u32_e64 s[4:5], v87, v97
	s_mov_b64 s[30:31], -1
	s_waitcnt vmcnt(0) lgkmcnt(0)
	v_cndmask_b32_e64 v83, v15, v71, s[24:25]
	v_cndmask_b32_e64 v84, v14, v80, s[24:25]
	;; [unrolled: 1-line block ×4, first 2 shown]
	s_and_saveexec_b64 s[34:35], s[4:5]
	s_cbranch_execz .LBB878_538
; %bb.531:
	v_cmp_lt_u32_e64 s[30:31], v98, v96
	s_xor_b64 s[4:5], s[0:1], -1
	s_and_b64 s[4:5], s[30:31], s[4:5]
	s_and_saveexec_b64 s[36:37], s[4:5]
	s_cbranch_execz .LBB878_537
; %bb.532:
	v_mul_lo_u32 v12, v85, v6
	v_mul_lo_u32 v16, v86, v7
	v_mad_u64_u32 v[14:15], s[4:5], v86, v6, 0
	v_add3_u32 v15, v15, v16, v12
	v_mul_lo_u32 v12, v83, v6
	v_mul_lo_u32 v18, v84, v7
	v_mad_u64_u32 v[16:17], s[4:5], v84, v6, 0
	v_add3_u32 v17, v17, v18, v12
	v_lshl_add_u64 v[14:15], v[14:15], 2, v[8:9]
	v_lshl_add_u64 v[16:17], v[16:17], 2, v[8:9]
	s_mov_b64 s[38:39], 0
	v_mov_b64_e32 v[18:19], v[6:7]
                                        ; implicit-def: $sgpr40_sgpr41
                                        ; implicit-def: $sgpr42_sgpr43
                                        ; implicit-def: $sgpr6_sgpr7
                                        ; implicit-def: $sgpr44_sgpr45
                                        ; implicit-def: $sgpr46_sgpr47
	s_branch .LBB878_534
.LBB878_533:                            ;   in Loop: Header=BB878_534 Depth=1
	s_or_b64 exec, exec, s[48:49]
	s_and_b64 s[4:5], exec, s[42:43]
	s_or_b64 s[38:39], s[4:5], s[38:39]
	s_andn2_b64 s[4:5], s[46:47], exec
	s_and_b64 s[10:11], s[44:45], exec
	s_or_b64 s[46:47], s[4:5], s[10:11]
	s_andn2_b64 s[4:5], s[40:41], exec
	s_and_b64 s[10:11], s[6:7], exec
	s_or_b64 s[40:41], s[4:5], s[10:11]
	s_andn2_b64 exec, exec, s[38:39]
	s_cbranch_execz .LBB878_536
.LBB878_534:                            ; =>This Inner Loop Header: Depth=1
	flat_load_dword v12, v[16:17]
	flat_load_dword v99, v[14:15]
	s_andn2_b64 s[48:49], s[6:7], exec
	s_andn2_b64 s[44:45], s[44:45], exec
	s_or_b64 s[42:43], s[42:43], exec
	s_waitcnt vmcnt(0) lgkmcnt(0)
	v_cmp_ngt_f32_e64 s[6:7], v12, v99
	v_cmp_lt_f32_e64 s[4:5], v12, v99
	s_and_b64 s[6:7], s[6:7], s[46:47]
	s_or_b64 s[50:51], s[4:5], s[6:7]
	s_and_b64 s[4:5], s[50:51], exec
	v_cmp_nlg_f32_e64 s[10:11], v12, v99
	s_or_b64 s[6:7], s[48:49], s[4:5]
	s_and_saveexec_b64 s[48:49], s[10:11]
	s_cbranch_execz .LBB878_533
; %bb.535:                              ;   in Loop: Header=BB878_534 Depth=1
	v_lshl_add_u64 v[18:19], v[18:19], 0, -1
	v_cmp_eq_u64_e64 s[4:5], 0, v[18:19]
	s_andn2_b64 s[10:11], s[44:45], exec
	s_and_b64 s[44:45], s[50:51], exec
	s_or_b64 s[44:45], s[10:11], s[44:45]
	s_andn2_b64 s[10:11], s[42:43], exec
	s_and_b64 s[4:5], s[4:5], exec
	v_lshl_add_u64 v[14:15], v[14:15], 0, 4
	v_lshl_add_u64 v[16:17], v[16:17], 0, 4
	s_andn2_b64 s[6:7], s[6:7], exec
	s_or_b64 s[42:43], s[10:11], s[4:5]
                                        ; implicit-def: $sgpr46_sgpr47
	s_branch .LBB878_533
.LBB878_536:
	s_or_b64 exec, exec, s[38:39]
	s_xor_b64 s[4:5], s[40:41], -1
	s_andn2_b64 s[6:7], s[30:31], exec
	s_and_b64 s[4:5], s[4:5], exec
	s_or_b64 s[30:31], s[6:7], s[4:5]
.LBB878_537:
	s_or_b64 exec, exec, s[36:37]
	s_orn2_b64 s[30:31], s[30:31], exec
.LBB878_538:
	s_or_b64 exec, exec, s[34:35]
	v_cndmask_b32_e64 v12, v87, v98, s[30:31]
	v_cndmask_b32_e64 v14, v97, v96, s[30:31]
	v_add_u32_e32 v15, 1, v12
	v_add_u32_e32 v12, -1, v14
	v_min_u32_e32 v12, v15, v12
	v_lshl_add_u64 v[12:13], v[12:13], 3, v[54:55]
	flat_load_dwordx2 v[12:13], v[12:13]
	v_cndmask_b32_e64 v100, v15, v87, s[30:31]
	v_cndmask_b32_e64 v87, v98, v15, s[30:31]
	v_cmp_lt_u32_e64 s[4:5], v100, v97
	s_waitcnt vmcnt(0) lgkmcnt(0)
	v_cndmask_b32_e64 v98, v13, v83, s[30:31]
	v_cndmask_b32_e64 v99, v12, v84, s[30:31]
	;; [unrolled: 1-line block ×4, first 2 shown]
	s_and_saveexec_b64 s[34:35], s[4:5]
	s_cbranch_execz .LBB878_546
; %bb.539:
	v_cmp_lt_u32_e64 s[28:29], v87, v96
	s_xor_b64 s[4:5], s[0:1], -1
	s_and_b64 s[4:5], s[28:29], s[4:5]
	s_and_saveexec_b64 s[36:37], s[4:5]
	s_cbranch_execz .LBB878_545
; %bb.540:
	v_mul_lo_u32 v14, v101, v6
	v_mul_lo_u32 v15, v102, v7
	v_mad_u64_u32 v[12:13], s[4:5], v102, v6, 0
	v_add3_u32 v13, v13, v15, v14
	v_mul_lo_u32 v16, v98, v6
	v_mul_lo_u32 v17, v99, v7
	v_mad_u64_u32 v[14:15], s[4:5], v99, v6, 0
	v_add3_u32 v15, v15, v17, v16
	v_lshl_add_u64 v[12:13], v[12:13], 2, v[8:9]
	v_lshl_add_u64 v[14:15], v[14:15], 2, v[8:9]
	s_mov_b64 s[38:39], 0
	v_mov_b64_e32 v[16:17], v[6:7]
                                        ; implicit-def: $sgpr40_sgpr41
                                        ; implicit-def: $sgpr42_sgpr43
                                        ; implicit-def: $sgpr6_sgpr7
                                        ; implicit-def: $sgpr44_sgpr45
                                        ; implicit-def: $sgpr46_sgpr47
	s_branch .LBB878_542
.LBB878_541:                            ;   in Loop: Header=BB878_542 Depth=1
	s_or_b64 exec, exec, s[48:49]
	s_and_b64 s[4:5], exec, s[42:43]
	s_or_b64 s[38:39], s[4:5], s[38:39]
	s_andn2_b64 s[4:5], s[46:47], exec
	s_and_b64 s[10:11], s[44:45], exec
	s_or_b64 s[46:47], s[4:5], s[10:11]
	s_andn2_b64 s[4:5], s[40:41], exec
	s_and_b64 s[10:11], s[6:7], exec
	s_or_b64 s[40:41], s[4:5], s[10:11]
	s_andn2_b64 exec, exec, s[38:39]
	s_cbranch_execz .LBB878_544
.LBB878_542:                            ; =>This Inner Loop Header: Depth=1
	flat_load_dword v18, v[14:15]
	flat_load_dword v19, v[12:13]
	s_andn2_b64 s[48:49], s[6:7], exec
	s_andn2_b64 s[44:45], s[44:45], exec
	s_or_b64 s[42:43], s[42:43], exec
	s_waitcnt vmcnt(0) lgkmcnt(0)
	v_cmp_ngt_f32_e64 s[6:7], v18, v19
	v_cmp_lt_f32_e64 s[4:5], v18, v19
	s_and_b64 s[6:7], s[6:7], s[46:47]
	s_or_b64 s[50:51], s[4:5], s[6:7]
	s_and_b64 s[4:5], s[50:51], exec
	v_cmp_nlg_f32_e64 s[10:11], v18, v19
	s_or_b64 s[6:7], s[48:49], s[4:5]
	s_and_saveexec_b64 s[48:49], s[10:11]
	s_cbranch_execz .LBB878_541
; %bb.543:                              ;   in Loop: Header=BB878_542 Depth=1
	v_lshl_add_u64 v[16:17], v[16:17], 0, -1
	v_cmp_eq_u64_e64 s[4:5], 0, v[16:17]
	s_andn2_b64 s[10:11], s[44:45], exec
	s_and_b64 s[44:45], s[50:51], exec
	s_or_b64 s[44:45], s[10:11], s[44:45]
	s_andn2_b64 s[10:11], s[42:43], exec
	s_and_b64 s[4:5], s[4:5], exec
	v_lshl_add_u64 v[12:13], v[12:13], 0, 4
	v_lshl_add_u64 v[14:15], v[14:15], 0, 4
	s_andn2_b64 s[6:7], s[6:7], exec
	s_or_b64 s[42:43], s[10:11], s[4:5]
                                        ; implicit-def: $sgpr46_sgpr47
	s_branch .LBB878_541
.LBB878_544:
	s_or_b64 exec, exec, s[38:39]
	s_xor_b64 s[4:5], s[40:41], -1
	s_andn2_b64 s[6:7], s[28:29], exec
	s_and_b64 s[4:5], s[4:5], exec
	s_or_b64 s[28:29], s[6:7], s[4:5]
.LBB878_545:
	s_or_b64 exec, exec, s[36:37]
	s_orn2_b64 s[28:29], s[28:29], exec
.LBB878_546:
	s_or_b64 exec, exec, s[34:35]
	v_cndmask_b32_e64 v12, v100, v87, s[28:29]
	v_cndmask_b32_e64 v13, v97, v96, s[28:29]
	v_add_u32_e32 v103, 1, v12
	v_add_u32_e32 v12, -1, v13
	v_min_u32_e32 v12, v103, v12
	v_mov_b32_e32 v13, 0
	v_lshl_add_u64 v[12:13], v[12:13], 3, v[54:55]
	flat_load_dwordx2 v[54:55], v[12:13]
	v_cndmask_b32_e64 v17, v23, v65, s[20:21]
	v_cndmask_b32_e64 v23, v20, v22, s[22:23]
	;; [unrolled: 1-line block ×15, first 2 shown]
	v_cmp_lt_u32_e64 s[4:5], v31, v97
	s_waitcnt vmcnt(0) lgkmcnt(0)
	v_cndmask_b32_e64 v3, v101, v55, s[28:29]
	v_cndmask_b32_e64 v2, v102, v54, s[28:29]
	s_and_saveexec_b64 s[18:19], s[4:5]
	s_cbranch_execz .LBB878_554
; %bb.547:
	v_cndmask_b32_e64 v68, v54, v99, s[28:29]
	v_cndmask_b32_e64 v54, v87, v103, s[28:29]
	v_cmp_ge_u32_e64 s[4:5], v54, v96
	v_cndmask_b32_e64 v31, v55, v98, s[28:29]
	s_or_b64 s[6:7], s[4:5], s[0:1]
	v_cndmask_b32_e64 v55, v3, v31, s[4:5]
	s_xor_b64 s[6:7], s[6:7], -1
	v_cndmask_b32_e64 v54, v2, v68, s[4:5]
	s_and_saveexec_b64 s[20:21], s[6:7]
	s_cbranch_execz .LBB878_553
; %bb.548:
	v_mul_lo_u32 v64, v3, v6
	v_mul_lo_u32 v65, v2, v7
	v_mad_u64_u32 v[54:55], s[4:5], v2, v6, 0
	v_add3_u32 v55, v55, v65, v64
	v_mul_lo_u32 v66, v31, v6
	v_mul_lo_u32 v67, v68, v7
	v_mad_u64_u32 v[64:65], s[4:5], v68, v6, 0
	v_add3_u32 v65, v65, v67, v66
	v_lshl_add_u64 v[54:55], v[54:55], 2, v[8:9]
	v_lshl_add_u64 v[64:65], v[64:65], 2, v[8:9]
	s_mov_b64 s[22:23], 0
	v_mov_b64_e32 v[66:67], v[6:7]
                                        ; implicit-def: $sgpr24_sgpr25
                                        ; implicit-def: $sgpr26_sgpr27
                                        ; implicit-def: $sgpr6_sgpr7
                                        ; implicit-def: $sgpr28_sgpr29
                                        ; implicit-def: $sgpr30_sgpr31
	s_branch .LBB878_550
.LBB878_549:                            ;   in Loop: Header=BB878_550 Depth=1
	s_or_b64 exec, exec, s[34:35]
	s_and_b64 s[4:5], exec, s[26:27]
	s_or_b64 s[22:23], s[4:5], s[22:23]
	s_andn2_b64 s[4:5], s[30:31], exec
	s_and_b64 s[10:11], s[28:29], exec
	s_or_b64 s[30:31], s[4:5], s[10:11]
	s_andn2_b64 s[4:5], s[24:25], exec
	s_and_b64 s[10:11], s[6:7], exec
	s_or_b64 s[24:25], s[4:5], s[10:11]
	s_andn2_b64 exec, exec, s[22:23]
	s_cbranch_execz .LBB878_552
.LBB878_550:                            ; =>This Inner Loop Header: Depth=1
	flat_load_dword v69, v[64:65]
	flat_load_dword v70, v[54:55]
	s_andn2_b64 s[34:35], s[6:7], exec
	s_andn2_b64 s[28:29], s[28:29], exec
	s_or_b64 s[26:27], s[26:27], exec
	s_waitcnt vmcnt(0) lgkmcnt(0)
	v_cmp_ngt_f32_e64 s[6:7], v69, v70
	v_cmp_lt_f32_e64 s[4:5], v69, v70
	s_and_b64 s[6:7], s[6:7], s[30:31]
	s_or_b64 s[36:37], s[4:5], s[6:7]
	s_and_b64 s[4:5], s[36:37], exec
	v_cmp_nlg_f32_e64 s[10:11], v69, v70
	s_or_b64 s[6:7], s[34:35], s[4:5]
	s_and_saveexec_b64 s[34:35], s[10:11]
	s_cbranch_execz .LBB878_549
; %bb.551:                              ;   in Loop: Header=BB878_550 Depth=1
	v_lshl_add_u64 v[66:67], v[66:67], 0, -1
	v_cmp_eq_u64_e64 s[4:5], 0, v[66:67]
	s_andn2_b64 s[10:11], s[28:29], exec
	s_and_b64 s[28:29], s[36:37], exec
	s_or_b64 s[28:29], s[10:11], s[28:29]
	s_andn2_b64 s[10:11], s[26:27], exec
	s_and_b64 s[4:5], s[4:5], exec
	v_lshl_add_u64 v[54:55], v[54:55], 0, 4
	v_lshl_add_u64 v[64:65], v[64:65], 0, 4
	s_andn2_b64 s[6:7], s[6:7], exec
	s_or_b64 s[26:27], s[10:11], s[4:5]
                                        ; implicit-def: $sgpr30_sgpr31
	s_branch .LBB878_549
.LBB878_552:
	s_or_b64 exec, exec, s[22:23]
	v_cndmask_b32_e64 v55, v3, v31, s[24:25]
	v_cndmask_b32_e64 v54, v2, v68, s[24:25]
.LBB878_553:
	s_or_b64 exec, exec, s[20:21]
	v_mov_b64_e32 v[2:3], v[54:55]
.LBB878_554:
	s_or_b64 exec, exec, s[18:19]
.LBB878_555:
	s_or_b64 exec, exec, s[16:17]
	v_lshlrev_b32_e32 v54, 3, v30
	v_mov_b32_e32 v55, 0
	v_lshl_add_u64 v[64:65], v[10:11], 0, v[54:55]
	v_lshlrev_b64 v[66:67], 2, v[6:7]
	s_movk_i32 s52, 0x80
	; wave barrier
	s_waitcnt lgkmcnt(0)
	s_barrier
.LBB878_556:                            ; =>This Loop Header: Depth=1
                                        ;     Child Loop BB878_560 Depth 2
                                        ;       Child Loop BB878_563 Depth 3
                                        ;     Child Loop BB878_575 Depth 2
                                        ;     Child Loop BB878_584 Depth 2
	;; [unrolled: 1-line block ×8, first 2 shown]
	s_lshl_b32 s53, s52, 1
	s_sub_i32 s5, 0, s53
	v_and_b32_e32 v97, s5, v30
	v_add_u32_e32 v31, s52, v97
	v_min_u32_e32 v31, 0x800, v31
	s_add_i32 s4, s53, -1
	v_add_u32_e32 v54, s52, v31
	v_min_u32_e32 v96, 0x800, v54
	v_and_b32_e32 v54, s4, v30
	v_min_u32_e32 v98, 0x800, v54
	v_sub_u32_e32 v54, v31, v97
	v_sub_u32_e32 v68, v96, v31
	v_sub_u32_e64 v99, v98, v68 clamp
	v_min_u32_e32 v100, v98, v54
	v_cmp_lt_u32_e64 s[4:5], v99, v100
	flat_store_dwordx4 v[64:65], v[20:23]
	flat_store_dwordx4 v[64:65], v[16:19] offset:16
	flat_store_dwordx4 v[64:65], v[12:15] offset:32
	;; [unrolled: 1-line block ×3, first 2 shown]
	s_waitcnt lgkmcnt(0)
	s_barrier
	s_and_saveexec_b64 s[16:17], s[4:5]
	s_cbranch_execz .LBB878_566
; %bb.557:                              ;   in Loop: Header=BB878_556 Depth=1
	v_lshlrev_b32_e32 v54, 3, v97
	v_lshl_add_u64 v[68:69], v[10:11], 0, v[54:55]
	v_lshlrev_b32_e32 v54, 3, v31
	v_lshl_add_u64 v[70:71], v[10:11], 0, v[54:55]
	s_mov_b64 s[18:19], 0
	s_branch .LBB878_560
.LBB878_558:                            ;   in Loop: Header=BB878_560 Depth=2
	s_or_b64 exec, exec, s[22:23]
	s_and_b64 s[4:5], s[24:25], exec
.LBB878_559:                            ;   in Loop: Header=BB878_560 Depth=2
	s_or_b64 exec, exec, s[20:21]
	v_add_u32_e32 v54, 1, v80
	v_cndmask_b32_e64 v100, v100, v80, s[4:5]
	v_cndmask_b32_e64 v99, v54, v99, s[4:5]
	v_cmp_ge_u32_e64 s[4:5], v99, v100
	s_or_b64 s[18:19], s[4:5], s[18:19]
	s_andn2_b64 exec, exec, s[18:19]
	s_cbranch_execz .LBB878_565
.LBB878_560:                            ;   Parent Loop BB878_556 Depth=1
                                        ; =>  This Loop Header: Depth=2
                                        ;       Child Loop BB878_563 Depth 3
	v_add_u32_e32 v54, v100, v99
	v_lshrrev_b32_e32 v80, 1, v54
	s_mov_b64 s[4:5], 0
	s_and_saveexec_b64 s[20:21], vcc
	s_cbranch_execz .LBB878_559
; %bb.561:                              ;   in Loop: Header=BB878_560 Depth=2
	v_mov_b32_e32 v81, v55
	v_xad_u32 v54, v80, -1, v98
	v_lshl_add_u64 v[82:83], v[80:81], 3, v[68:69]
	v_lshl_add_u64 v[84:85], v[54:55], 3, v[70:71]
	flat_load_dwordx2 v[82:83], v[82:83]
	s_mov_b64 s[22:23], 0
	flat_load_dwordx2 v[84:85], v[84:85]
                                        ; implicit-def: $sgpr24_sgpr25
                                        ; implicit-def: $sgpr26_sgpr27
                                        ; implicit-def: $sgpr28_sgpr29
                                        ; implicit-def: $sgpr6_sgpr7
                                        ; implicit-def: $sgpr30_sgpr31
	s_waitcnt vmcnt(0) lgkmcnt(0)
	v_mul_lo_u32 v54, v66, v83
	v_mul_lo_u32 v81, v67, v82
	v_mad_u64_u32 v[82:83], s[4:5], v66, v82, v[8:9]
	v_mul_lo_u32 v86, v66, v85
	v_mul_lo_u32 v87, v67, v84
	v_mad_u64_u32 v[84:85], s[4:5], v66, v84, v[8:9]
	v_add3_u32 v83, v81, v83, v54
	v_add3_u32 v85, v87, v85, v86
	v_mov_b64_e32 v[86:87], v[6:7]
	s_branch .LBB878_563
.LBB878_562:                            ;   in Loop: Header=BB878_563 Depth=3
	s_or_b64 exec, exec, s[34:35]
	s_and_b64 s[4:5], exec, s[26:27]
	s_or_b64 s[22:23], s[4:5], s[22:23]
	s_andn2_b64 s[4:5], s[30:31], exec
	s_and_b64 s[10:11], s[28:29], exec
	s_or_b64 s[30:31], s[4:5], s[10:11]
	s_andn2_b64 s[4:5], s[24:25], exec
	s_and_b64 s[10:11], s[6:7], exec
	s_or_b64 s[24:25], s[4:5], s[10:11]
	s_andn2_b64 exec, exec, s[22:23]
	s_cbranch_execz .LBB878_558
.LBB878_563:                            ;   Parent Loop BB878_556 Depth=1
                                        ;     Parent Loop BB878_560 Depth=2
                                        ; =>    This Inner Loop Header: Depth=3
	flat_load_dword v54, v[84:85]
	flat_load_dword v81, v[82:83]
	s_andn2_b64 s[34:35], s[6:7], exec
	s_andn2_b64 s[28:29], s[28:29], exec
	s_or_b64 s[26:27], s[26:27], exec
	s_waitcnt vmcnt(0) lgkmcnt(0)
	v_cmp_ngt_f32_e64 s[6:7], v54, v81
	v_cmp_lt_f32_e64 s[4:5], v54, v81
	s_and_b64 s[6:7], s[6:7], s[30:31]
	s_or_b64 s[36:37], s[4:5], s[6:7]
	s_and_b64 s[4:5], s[36:37], exec
	v_cmp_nlg_f32_e64 s[10:11], v54, v81
	s_or_b64 s[6:7], s[34:35], s[4:5]
	s_and_saveexec_b64 s[34:35], s[10:11]
	s_cbranch_execz .LBB878_562
; %bb.564:                              ;   in Loop: Header=BB878_563 Depth=3
	v_lshl_add_u64 v[86:87], v[86:87], 0, -1
	v_cmp_eq_u64_e64 s[4:5], 0, v[86:87]
	s_andn2_b64 s[10:11], s[28:29], exec
	s_and_b64 s[28:29], s[36:37], exec
	s_or_b64 s[28:29], s[10:11], s[28:29]
	s_andn2_b64 s[10:11], s[26:27], exec
	s_and_b64 s[4:5], s[4:5], exec
	v_lshl_add_u64 v[82:83], v[82:83], 0, 4
	v_lshl_add_u64 v[84:85], v[84:85], 0, 4
	s_andn2_b64 s[6:7], s[6:7], exec
	s_or_b64 s[26:27], s[10:11], s[4:5]
                                        ; implicit-def: $sgpr30_sgpr31
	s_branch .LBB878_562
.LBB878_565:                            ;   in Loop: Header=BB878_556 Depth=1
	s_or_b64 exec, exec, s[18:19]
.LBB878_566:                            ;   in Loop: Header=BB878_556 Depth=1
	s_or_b64 exec, exec, s[16:17]
	v_sub_u32_e32 v54, v98, v99
	v_add_u32_e32 v68, v99, v97
	v_add_u32_e32 v70, v54, v31
	v_cmp_le_u32_e64 s[4:5], v68, v31
	v_cmp_le_u32_e64 s[6:7], v70, v96
	s_or_b64 s[4:5], s[4:5], s[6:7]
	s_and_saveexec_b64 s[16:17], s[4:5]
	s_cbranch_execz .LBB878_638
; %bb.567:                              ;   in Loop: Header=BB878_556 Depth=1
	v_cmp_ge_u32_e64 s[4:5], v68, v31
	v_cmp_lt_u32_e64 s[6:7], v68, v31
                                        ; implicit-def: $vgpr0_vgpr1
	s_and_saveexec_b64 s[10:11], s[6:7]
	s_cbranch_execz .LBB878_569
; %bb.568:                              ;   in Loop: Header=BB878_556 Depth=1
	v_mov_b32_e32 v69, v55
	v_lshl_add_u64 v[0:1], v[68:69], 3, v[10:11]
	flat_load_dwordx2 v[0:1], v[0:1]
.LBB878_569:                            ;   in Loop: Header=BB878_556 Depth=1
	s_or_b64 exec, exec, s[10:11]
	v_cmp_ge_u32_e64 s[18:19], v70, v96
	v_cmp_lt_u32_e64 s[6:7], v70, v96
                                        ; implicit-def: $vgpr20_vgpr21
	s_and_saveexec_b64 s[10:11], s[6:7]
	s_cbranch_execz .LBB878_571
; %bb.570:                              ;   in Loop: Header=BB878_556 Depth=1
	v_mov_b32_e32 v71, v55
	v_lshl_add_u64 v[2:3], v[70:71], 3, v[10:11]
	flat_load_dwordx2 v[20:21], v[2:3]
.LBB878_571:                            ;   in Loop: Header=BB878_556 Depth=1
	s_or_b64 exec, exec, s[10:11]
	s_or_b64 s[4:5], s[4:5], s[18:19]
	s_xor_b64 s[4:5], s[4:5], -1
	s_and_saveexec_b64 s[20:21], s[4:5]
	s_cbranch_execz .LBB878_579
; %bb.572:                              ;   in Loop: Header=BB878_556 Depth=1
	s_mov_b64 s[4:5], 0
	s_and_saveexec_b64 s[22:23], s[2:3]
	s_cbranch_execz .LBB878_578
; %bb.573:                              ;   in Loop: Header=BB878_556 Depth=1
	s_waitcnt vmcnt(0) lgkmcnt(0)
	v_mad_u64_u32 v[2:3], s[4:5], v66, v0, v[8:9]
	v_mul_lo_u32 v12, v66, v1
	v_mul_lo_u32 v13, v67, v0
	v_add3_u32 v3, v13, v3, v12
	v_mad_u64_u32 v[12:13], s[4:5], v66, v20, v[8:9]
	v_mul_lo_u32 v14, v66, v21
	v_mul_lo_u32 v15, v67, v20
	v_add3_u32 v13, v15, v13, v14
	s_mov_b64 s[24:25], 0
	v_mov_b64_e32 v[14:15], v[6:7]
                                        ; implicit-def: $sgpr26_sgpr27
                                        ; implicit-def: $sgpr28_sgpr29
                                        ; implicit-def: $sgpr30_sgpr31
                                        ; implicit-def: $sgpr6_sgpr7
                                        ; implicit-def: $sgpr34_sgpr35
	s_branch .LBB878_575
.LBB878_574:                            ;   in Loop: Header=BB878_575 Depth=2
	s_or_b64 exec, exec, s[36:37]
	s_and_b64 s[4:5], exec, s[28:29]
	s_or_b64 s[24:25], s[4:5], s[24:25]
	s_andn2_b64 s[4:5], s[34:35], exec
	s_and_b64 s[10:11], s[30:31], exec
	s_or_b64 s[34:35], s[4:5], s[10:11]
	s_andn2_b64 s[4:5], s[26:27], exec
	s_and_b64 s[10:11], s[6:7], exec
	s_or_b64 s[26:27], s[4:5], s[10:11]
	s_andn2_b64 exec, exec, s[24:25]
	s_cbranch_execz .LBB878_577
.LBB878_575:                            ;   Parent Loop BB878_556 Depth=1
                                        ; =>  This Inner Loop Header: Depth=2
	flat_load_dword v16, v[12:13]
	flat_load_dword v17, v[2:3]
	s_andn2_b64 s[36:37], s[6:7], exec
	s_andn2_b64 s[30:31], s[30:31], exec
	s_or_b64 s[28:29], s[28:29], exec
	s_waitcnt vmcnt(0) lgkmcnt(0)
	v_cmp_ngt_f32_e64 s[6:7], v16, v17
	v_cmp_lt_f32_e64 s[4:5], v16, v17
	s_and_b64 s[6:7], s[6:7], s[34:35]
	s_or_b64 s[38:39], s[4:5], s[6:7]
	s_and_b64 s[4:5], s[38:39], exec
	v_cmp_nlg_f32_e64 s[10:11], v16, v17
	s_or_b64 s[6:7], s[36:37], s[4:5]
	s_and_saveexec_b64 s[36:37], s[10:11]
	s_cbranch_execz .LBB878_574
; %bb.576:                              ;   in Loop: Header=BB878_575 Depth=2
	v_lshl_add_u64 v[14:15], v[14:15], 0, -1
	v_cmp_eq_u64_e64 s[4:5], 0, v[14:15]
	s_andn2_b64 s[10:11], s[30:31], exec
	s_and_b64 s[30:31], s[38:39], exec
	s_or_b64 s[30:31], s[10:11], s[30:31]
	s_andn2_b64 s[10:11], s[28:29], exec
	s_and_b64 s[4:5], s[4:5], exec
	v_lshl_add_u64 v[2:3], v[2:3], 0, 4
	v_lshl_add_u64 v[12:13], v[12:13], 0, 4
	s_andn2_b64 s[6:7], s[6:7], exec
	s_or_b64 s[28:29], s[10:11], s[4:5]
                                        ; implicit-def: $sgpr34_sgpr35
	s_branch .LBB878_574
.LBB878_577:                            ;   in Loop: Header=BB878_556 Depth=1
	s_or_b64 exec, exec, s[24:25]
	s_and_b64 s[4:5], s[26:27], exec
.LBB878_578:                            ;   in Loop: Header=BB878_556 Depth=1
	s_or_b64 exec, exec, s[22:23]
	s_xor_b64 s[4:5], s[4:5], -1
	s_andn2_b64 s[6:7], s[18:19], exec
	s_and_b64 s[4:5], s[4:5], exec
	s_or_b64 s[18:19], s[6:7], s[4:5]
.LBB878_579:                            ;   in Loop: Header=BB878_556 Depth=1
	s_or_b64 exec, exec, s[20:21]
	v_cndmask_b32_e64 v2, v70, v68, s[18:19]
	v_cndmask_b32_e64 v3, v96, v31, s[18:19]
	v_add_u32_e32 v12, 1, v2
	v_add_u32_e32 v2, -1, v3
	v_min_u32_e32 v54, v12, v2
	v_lshl_add_u64 v[2:3], v[54:55], 3, v[10:11]
	flat_load_dwordx2 v[2:3], v[2:3]
	v_cndmask_b32_e64 v16, v12, v70, s[18:19]
	s_mov_b64 s[20:21], -1
	v_cndmask_b32_e64 v17, v68, v12, s[18:19]
	v_cmp_lt_u32_e64 s[4:5], v16, v96
	s_mov_b64 s[22:23], -1
	s_waitcnt vmcnt(0) lgkmcnt(0)
	v_cndmask_b32_e64 v22, v3, v21, s[18:19]
	v_cndmask_b32_e64 v68, v2, v20, s[18:19]
	v_cndmask_b32_e64 v23, v1, v3, s[18:19]
	v_cndmask_b32_e64 v69, v0, v2, s[18:19]
	s_and_saveexec_b64 s[24:25], s[4:5]
	s_cbranch_execz .LBB878_589
; %bb.580:                              ;   in Loop: Header=BB878_556 Depth=1
	v_cmp_lt_u32_e64 s[4:5], v17, v31
	s_mov_b64 s[6:7], 0
	s_and_saveexec_b64 s[22:23], s[4:5]
	s_cbranch_execz .LBB878_588
; %bb.581:                              ;   in Loop: Header=BB878_556 Depth=1
	s_mov_b64 s[4:5], 0
	s_and_saveexec_b64 s[26:27], s[2:3]
	s_cbranch_execz .LBB878_587
; %bb.582:                              ;   in Loop: Header=BB878_556 Depth=1
	v_mad_u64_u32 v[2:3], s[4:5], v66, v69, v[8:9]
	v_mul_lo_u32 v12, v66, v23
	v_mul_lo_u32 v13, v67, v69
	v_add3_u32 v3, v13, v3, v12
	v_mad_u64_u32 v[12:13], s[4:5], v66, v68, v[8:9]
	v_mul_lo_u32 v14, v66, v22
	v_mul_lo_u32 v15, v67, v68
	v_add3_u32 v13, v15, v13, v14
	s_mov_b64 s[28:29], 0
	v_mov_b64_e32 v[14:15], v[6:7]
                                        ; implicit-def: $sgpr30_sgpr31
                                        ; implicit-def: $sgpr34_sgpr35
                                        ; implicit-def: $sgpr36_sgpr37
                                        ; implicit-def: $sgpr6_sgpr7
                                        ; implicit-def: $sgpr38_sgpr39
	s_branch .LBB878_584
.LBB878_583:                            ;   in Loop: Header=BB878_584 Depth=2
	s_or_b64 exec, exec, s[40:41]
	s_and_b64 s[4:5], exec, s[34:35]
	s_or_b64 s[28:29], s[4:5], s[28:29]
	s_andn2_b64 s[4:5], s[38:39], exec
	s_and_b64 s[10:11], s[36:37], exec
	s_or_b64 s[38:39], s[4:5], s[10:11]
	s_andn2_b64 s[4:5], s[30:31], exec
	s_and_b64 s[10:11], s[6:7], exec
	s_or_b64 s[30:31], s[4:5], s[10:11]
	s_andn2_b64 exec, exec, s[28:29]
	s_cbranch_execz .LBB878_586
.LBB878_584:                            ;   Parent Loop BB878_556 Depth=1
                                        ; =>  This Inner Loop Header: Depth=2
	flat_load_dword v18, v[12:13]
	flat_load_dword v19, v[2:3]
	s_andn2_b64 s[40:41], s[6:7], exec
	s_andn2_b64 s[36:37], s[36:37], exec
	s_or_b64 s[34:35], s[34:35], exec
	s_waitcnt vmcnt(0) lgkmcnt(0)
	v_cmp_ngt_f32_e64 s[6:7], v18, v19
	v_cmp_lt_f32_e64 s[4:5], v18, v19
	s_and_b64 s[6:7], s[6:7], s[38:39]
	s_or_b64 s[42:43], s[4:5], s[6:7]
	s_and_b64 s[4:5], s[42:43], exec
	v_cmp_nlg_f32_e64 s[10:11], v18, v19
	s_or_b64 s[6:7], s[40:41], s[4:5]
	s_and_saveexec_b64 s[40:41], s[10:11]
	s_cbranch_execz .LBB878_583
; %bb.585:                              ;   in Loop: Header=BB878_584 Depth=2
	v_lshl_add_u64 v[14:15], v[14:15], 0, -1
	v_cmp_eq_u64_e64 s[4:5], 0, v[14:15]
	s_andn2_b64 s[10:11], s[36:37], exec
	s_and_b64 s[36:37], s[42:43], exec
	s_or_b64 s[36:37], s[10:11], s[36:37]
	s_andn2_b64 s[10:11], s[34:35], exec
	s_and_b64 s[4:5], s[4:5], exec
	v_lshl_add_u64 v[2:3], v[2:3], 0, 4
	v_lshl_add_u64 v[12:13], v[12:13], 0, 4
	s_andn2_b64 s[6:7], s[6:7], exec
	s_or_b64 s[34:35], s[10:11], s[4:5]
                                        ; implicit-def: $sgpr38_sgpr39
	s_branch .LBB878_583
.LBB878_586:                            ;   in Loop: Header=BB878_556 Depth=1
	s_or_b64 exec, exec, s[28:29]
	s_and_b64 s[4:5], s[30:31], exec
.LBB878_587:                            ;   in Loop: Header=BB878_556 Depth=1
	s_or_b64 exec, exec, s[26:27]
	s_xor_b64 s[4:5], s[4:5], -1
	s_and_b64 s[6:7], s[4:5], exec
.LBB878_588:                            ;   in Loop: Header=BB878_556 Depth=1
	s_or_b64 exec, exec, s[22:23]
	s_orn2_b64 s[22:23], s[6:7], exec
.LBB878_589:                            ;   in Loop: Header=BB878_556 Depth=1
	s_or_b64 exec, exec, s[24:25]
	v_cndmask_b32_e64 v2, v16, v17, s[22:23]
	v_cndmask_b32_e64 v3, v96, v31, s[22:23]
	v_add_u32_e32 v12, 1, v2
	v_add_u32_e32 v2, -1, v3
	v_min_u32_e32 v54, v12, v2
	v_lshl_add_u64 v[2:3], v[54:55], 3, v[10:11]
	flat_load_dwordx2 v[2:3], v[2:3]
	v_cndmask_b32_e64 v16, v12, v16, s[22:23]
	v_cndmask_b32_e64 v17, v17, v12, s[22:23]
	v_cmp_lt_u32_e64 s[4:5], v16, v96
	s_waitcnt vmcnt(0) lgkmcnt(0)
	v_cndmask_b32_e64 v70, v3, v22, s[22:23]
	v_cndmask_b32_e64 v71, v2, v68, s[22:23]
	;; [unrolled: 1-line block ×4, first 2 shown]
	s_and_saveexec_b64 s[24:25], s[4:5]
	s_cbranch_execz .LBB878_597
; %bb.590:                              ;   in Loop: Header=BB878_556 Depth=1
	v_cmp_lt_u32_e64 s[20:21], v17, v31
	s_xor_b64 s[4:5], s[0:1], -1
	s_and_b64 s[4:5], s[20:21], s[4:5]
	s_and_saveexec_b64 s[26:27], s[4:5]
	s_cbranch_execz .LBB878_596
; %bb.591:                              ;   in Loop: Header=BB878_556 Depth=1
	v_mad_u64_u32 v[2:3], s[4:5], v66, v81, v[8:9]
	v_mul_lo_u32 v12, v66, v80
	v_mul_lo_u32 v13, v67, v81
	v_add3_u32 v3, v13, v3, v12
	v_mad_u64_u32 v[12:13], s[4:5], v66, v71, v[8:9]
	v_mul_lo_u32 v14, v66, v70
	v_mul_lo_u32 v15, v67, v71
	v_add3_u32 v13, v15, v13, v14
	s_mov_b64 s[28:29], 0
	v_mov_b64_e32 v[14:15], v[6:7]
                                        ; implicit-def: $sgpr30_sgpr31
                                        ; implicit-def: $sgpr34_sgpr35
                                        ; implicit-def: $sgpr6_sgpr7
                                        ; implicit-def: $sgpr36_sgpr37
                                        ; implicit-def: $sgpr38_sgpr39
	s_branch .LBB878_593
.LBB878_592:                            ;   in Loop: Header=BB878_593 Depth=2
	s_or_b64 exec, exec, s[40:41]
	s_and_b64 s[4:5], exec, s[34:35]
	s_or_b64 s[28:29], s[4:5], s[28:29]
	s_andn2_b64 s[4:5], s[38:39], exec
	s_and_b64 s[10:11], s[36:37], exec
	s_or_b64 s[38:39], s[4:5], s[10:11]
	s_andn2_b64 s[4:5], s[30:31], exec
	s_and_b64 s[10:11], s[6:7], exec
	s_or_b64 s[30:31], s[4:5], s[10:11]
	s_andn2_b64 exec, exec, s[28:29]
	s_cbranch_execz .LBB878_595
.LBB878_593:                            ;   Parent Loop BB878_556 Depth=1
                                        ; =>  This Inner Loop Header: Depth=2
	flat_load_dword v18, v[12:13]
	flat_load_dword v19, v[2:3]
	s_andn2_b64 s[40:41], s[6:7], exec
	s_andn2_b64 s[36:37], s[36:37], exec
	s_or_b64 s[34:35], s[34:35], exec
	s_waitcnt vmcnt(0) lgkmcnt(0)
	v_cmp_ngt_f32_e64 s[6:7], v18, v19
	v_cmp_lt_f32_e64 s[4:5], v18, v19
	s_and_b64 s[6:7], s[6:7], s[38:39]
	s_or_b64 s[42:43], s[4:5], s[6:7]
	s_and_b64 s[4:5], s[42:43], exec
	v_cmp_nlg_f32_e64 s[10:11], v18, v19
	s_or_b64 s[6:7], s[40:41], s[4:5]
	s_and_saveexec_b64 s[40:41], s[10:11]
	s_cbranch_execz .LBB878_592
; %bb.594:                              ;   in Loop: Header=BB878_593 Depth=2
	v_lshl_add_u64 v[14:15], v[14:15], 0, -1
	v_cmp_eq_u64_e64 s[4:5], 0, v[14:15]
	s_andn2_b64 s[10:11], s[36:37], exec
	s_and_b64 s[36:37], s[42:43], exec
	s_or_b64 s[36:37], s[10:11], s[36:37]
	s_andn2_b64 s[10:11], s[34:35], exec
	s_and_b64 s[4:5], s[4:5], exec
	v_lshl_add_u64 v[2:3], v[2:3], 0, 4
	v_lshl_add_u64 v[12:13], v[12:13], 0, 4
	s_andn2_b64 s[6:7], s[6:7], exec
	s_or_b64 s[34:35], s[10:11], s[4:5]
                                        ; implicit-def: $sgpr38_sgpr39
	s_branch .LBB878_592
.LBB878_595:                            ;   in Loop: Header=BB878_556 Depth=1
	s_or_b64 exec, exec, s[28:29]
	s_xor_b64 s[4:5], s[30:31], -1
	s_andn2_b64 s[6:7], s[20:21], exec
	s_and_b64 s[4:5], s[4:5], exec
	s_or_b64 s[20:21], s[6:7], s[4:5]
.LBB878_596:                            ;   in Loop: Header=BB878_556 Depth=1
	s_or_b64 exec, exec, s[26:27]
	s_orn2_b64 s[20:21], s[20:21], exec
.LBB878_597:                            ;   in Loop: Header=BB878_556 Depth=1
	s_or_b64 exec, exec, s[24:25]
	v_cndmask_b32_e64 v2, v16, v17, s[20:21]
	v_cndmask_b32_e64 v3, v96, v31, s[20:21]
	v_add_u32_e32 v12, 1, v2
	v_add_u32_e32 v2, -1, v3
	v_min_u32_e32 v54, v12, v2
	v_lshl_add_u64 v[2:3], v[54:55], 3, v[10:11]
	flat_load_dwordx2 v[2:3], v[2:3]
	v_cndmask_b32_e64 v16, v12, v16, s[20:21]
	s_mov_b64 s[24:25], -1
	v_cndmask_b32_e64 v17, v17, v12, s[20:21]
	v_cmp_lt_u32_e64 s[4:5], v16, v96
	s_mov_b64 s[26:27], -1
	s_waitcnt vmcnt(0) lgkmcnt(0)
	v_cndmask_b32_e64 v18, v3, v70, s[20:21]
	v_cndmask_b32_e64 v82, v2, v71, s[20:21]
	;; [unrolled: 1-line block ×4, first 2 shown]
	s_and_saveexec_b64 s[28:29], s[4:5]
	s_cbranch_execz .LBB878_605
; %bb.598:                              ;   in Loop: Header=BB878_556 Depth=1
	v_cmp_lt_u32_e64 s[26:27], v17, v31
	s_xor_b64 s[4:5], s[0:1], -1
	s_and_b64 s[4:5], s[26:27], s[4:5]
	s_and_saveexec_b64 s[30:31], s[4:5]
	s_cbranch_execz .LBB878_604
; %bb.599:                              ;   in Loop: Header=BB878_556 Depth=1
	v_mad_u64_u32 v[2:3], s[4:5], v66, v83, v[8:9]
	v_mul_lo_u32 v12, v66, v19
	v_mul_lo_u32 v13, v67, v83
	v_add3_u32 v3, v13, v3, v12
	v_mad_u64_u32 v[12:13], s[4:5], v66, v82, v[8:9]
	v_mul_lo_u32 v14, v66, v18
	v_mul_lo_u32 v15, v67, v82
	v_add3_u32 v13, v15, v13, v14
	s_mov_b64 s[34:35], 0
	v_mov_b64_e32 v[14:15], v[6:7]
                                        ; implicit-def: $sgpr36_sgpr37
                                        ; implicit-def: $sgpr38_sgpr39
                                        ; implicit-def: $sgpr6_sgpr7
                                        ; implicit-def: $sgpr40_sgpr41
                                        ; implicit-def: $sgpr42_sgpr43
	s_branch .LBB878_601
.LBB878_600:                            ;   in Loop: Header=BB878_601 Depth=2
	s_or_b64 exec, exec, s[44:45]
	s_and_b64 s[4:5], exec, s[38:39]
	s_or_b64 s[34:35], s[4:5], s[34:35]
	s_andn2_b64 s[4:5], s[42:43], exec
	s_and_b64 s[10:11], s[40:41], exec
	s_or_b64 s[42:43], s[4:5], s[10:11]
	s_andn2_b64 s[4:5], s[36:37], exec
	s_and_b64 s[10:11], s[6:7], exec
	s_or_b64 s[36:37], s[4:5], s[10:11]
	s_andn2_b64 exec, exec, s[34:35]
	s_cbranch_execz .LBB878_603
.LBB878_601:                            ;   Parent Loop BB878_556 Depth=1
                                        ; =>  This Inner Loop Header: Depth=2
	flat_load_dword v54, v[12:13]
	flat_load_dword v84, v[2:3]
	s_andn2_b64 s[44:45], s[6:7], exec
	s_andn2_b64 s[40:41], s[40:41], exec
	s_or_b64 s[38:39], s[38:39], exec
	s_waitcnt vmcnt(0) lgkmcnt(0)
	v_cmp_ngt_f32_e64 s[6:7], v54, v84
	v_cmp_lt_f32_e64 s[4:5], v54, v84
	s_and_b64 s[6:7], s[6:7], s[42:43]
	s_or_b64 s[46:47], s[4:5], s[6:7]
	s_and_b64 s[4:5], s[46:47], exec
	v_cmp_nlg_f32_e64 s[10:11], v54, v84
	s_or_b64 s[6:7], s[44:45], s[4:5]
	s_and_saveexec_b64 s[44:45], s[10:11]
	s_cbranch_execz .LBB878_600
; %bb.602:                              ;   in Loop: Header=BB878_601 Depth=2
	v_lshl_add_u64 v[14:15], v[14:15], 0, -1
	v_cmp_eq_u64_e64 s[4:5], 0, v[14:15]
	s_andn2_b64 s[10:11], s[40:41], exec
	s_and_b64 s[40:41], s[46:47], exec
	s_or_b64 s[40:41], s[10:11], s[40:41]
	s_andn2_b64 s[10:11], s[38:39], exec
	s_and_b64 s[4:5], s[4:5], exec
	v_lshl_add_u64 v[2:3], v[2:3], 0, 4
	v_lshl_add_u64 v[12:13], v[12:13], 0, 4
	s_andn2_b64 s[6:7], s[6:7], exec
	s_or_b64 s[38:39], s[10:11], s[4:5]
                                        ; implicit-def: $sgpr42_sgpr43
	s_branch .LBB878_600
.LBB878_603:                            ;   in Loop: Header=BB878_556 Depth=1
	s_or_b64 exec, exec, s[34:35]
	s_xor_b64 s[4:5], s[36:37], -1
	s_andn2_b64 s[6:7], s[26:27], exec
	s_and_b64 s[4:5], s[4:5], exec
	s_or_b64 s[26:27], s[6:7], s[4:5]
.LBB878_604:                            ;   in Loop: Header=BB878_556 Depth=1
	s_or_b64 exec, exec, s[30:31]
	s_orn2_b64 s[26:27], s[26:27], exec
.LBB878_605:                            ;   in Loop: Header=BB878_556 Depth=1
	s_or_b64 exec, exec, s[28:29]
	v_cndmask_b32_e64 v2, v16, v17, s[26:27]
	v_cndmask_b32_e64 v3, v96, v31, s[26:27]
	v_add_u32_e32 v12, 1, v2
	v_add_u32_e32 v2, -1, v3
	v_min_u32_e32 v54, v12, v2
	v_lshl_add_u64 v[2:3], v[54:55], 3, v[10:11]
	flat_load_dwordx2 v[2:3], v[2:3]
	v_cndmask_b32_e64 v16, v12, v16, s[26:27]
	v_cndmask_b32_e64 v17, v17, v12, s[26:27]
	v_cmp_lt_u32_e64 s[4:5], v16, v96
	s_waitcnt vmcnt(0) lgkmcnt(0)
	v_cndmask_b32_e64 v84, v3, v18, s[26:27]
	v_cndmask_b32_e64 v85, v2, v82, s[26:27]
	;; [unrolled: 1-line block ×4, first 2 shown]
	s_and_saveexec_b64 s[28:29], s[4:5]
	s_cbranch_execz .LBB878_613
; %bb.606:                              ;   in Loop: Header=BB878_556 Depth=1
	v_cmp_lt_u32_e64 s[24:25], v17, v31
	s_xor_b64 s[4:5], s[0:1], -1
	s_and_b64 s[4:5], s[24:25], s[4:5]
	s_and_saveexec_b64 s[30:31], s[4:5]
	s_cbranch_execz .LBB878_612
; %bb.607:                              ;   in Loop: Header=BB878_556 Depth=1
	v_mad_u64_u32 v[2:3], s[4:5], v66, v87, v[8:9]
	v_mul_lo_u32 v12, v66, v86
	v_mul_lo_u32 v13, v67, v87
	v_add3_u32 v3, v13, v3, v12
	v_mad_u64_u32 v[12:13], s[4:5], v66, v85, v[8:9]
	v_mul_lo_u32 v14, v66, v84
	v_mul_lo_u32 v15, v67, v85
	v_add3_u32 v13, v15, v13, v14
	s_mov_b64 s[34:35], 0
	v_mov_b64_e32 v[14:15], v[6:7]
                                        ; implicit-def: $sgpr36_sgpr37
                                        ; implicit-def: $sgpr38_sgpr39
                                        ; implicit-def: $sgpr6_sgpr7
                                        ; implicit-def: $sgpr40_sgpr41
                                        ; implicit-def: $sgpr42_sgpr43
	s_branch .LBB878_609
.LBB878_608:                            ;   in Loop: Header=BB878_609 Depth=2
	s_or_b64 exec, exec, s[44:45]
	s_and_b64 s[4:5], exec, s[38:39]
	s_or_b64 s[34:35], s[4:5], s[34:35]
	s_andn2_b64 s[4:5], s[42:43], exec
	s_and_b64 s[10:11], s[40:41], exec
	s_or_b64 s[42:43], s[4:5], s[10:11]
	s_andn2_b64 s[4:5], s[36:37], exec
	s_and_b64 s[10:11], s[6:7], exec
	s_or_b64 s[36:37], s[4:5], s[10:11]
	s_andn2_b64 exec, exec, s[34:35]
	s_cbranch_execz .LBB878_611
.LBB878_609:                            ;   Parent Loop BB878_556 Depth=1
                                        ; =>  This Inner Loop Header: Depth=2
	flat_load_dword v54, v[12:13]
	flat_load_dword v97, v[2:3]
	s_andn2_b64 s[44:45], s[6:7], exec
	s_andn2_b64 s[40:41], s[40:41], exec
	s_or_b64 s[38:39], s[38:39], exec
	s_waitcnt vmcnt(0) lgkmcnt(0)
	v_cmp_ngt_f32_e64 s[6:7], v54, v97
	v_cmp_lt_f32_e64 s[4:5], v54, v97
	s_and_b64 s[6:7], s[6:7], s[42:43]
	s_or_b64 s[46:47], s[4:5], s[6:7]
	s_and_b64 s[4:5], s[46:47], exec
	v_cmp_nlg_f32_e64 s[10:11], v54, v97
	s_or_b64 s[6:7], s[44:45], s[4:5]
	s_and_saveexec_b64 s[44:45], s[10:11]
	s_cbranch_execz .LBB878_608
; %bb.610:                              ;   in Loop: Header=BB878_609 Depth=2
	v_lshl_add_u64 v[14:15], v[14:15], 0, -1
	v_cmp_eq_u64_e64 s[4:5], 0, v[14:15]
	s_andn2_b64 s[10:11], s[40:41], exec
	s_and_b64 s[40:41], s[46:47], exec
	s_or_b64 s[40:41], s[10:11], s[40:41]
	s_andn2_b64 s[10:11], s[38:39], exec
	s_and_b64 s[4:5], s[4:5], exec
	v_lshl_add_u64 v[2:3], v[2:3], 0, 4
	v_lshl_add_u64 v[12:13], v[12:13], 0, 4
	s_andn2_b64 s[6:7], s[6:7], exec
	s_or_b64 s[38:39], s[10:11], s[4:5]
                                        ; implicit-def: $sgpr42_sgpr43
	s_branch .LBB878_608
.LBB878_611:                            ;   in Loop: Header=BB878_556 Depth=1
	s_or_b64 exec, exec, s[34:35]
	s_xor_b64 s[4:5], s[36:37], -1
	s_andn2_b64 s[6:7], s[24:25], exec
	s_and_b64 s[4:5], s[4:5], exec
	s_or_b64 s[24:25], s[6:7], s[4:5]
.LBB878_612:                            ;   in Loop: Header=BB878_556 Depth=1
	s_or_b64 exec, exec, s[30:31]
	s_orn2_b64 s[24:25], s[24:25], exec
.LBB878_613:                            ;   in Loop: Header=BB878_556 Depth=1
	s_or_b64 exec, exec, s[28:29]
	v_cndmask_b32_e64 v2, v16, v17, s[24:25]
	v_cndmask_b32_e64 v3, v96, v31, s[24:25]
	v_add_u32_e32 v12, 1, v2
	v_add_u32_e32 v2, -1, v3
	v_min_u32_e32 v54, v12, v2
	v_lshl_add_u64 v[2:3], v[54:55], 3, v[10:11]
	flat_load_dwordx2 v[2:3], v[2:3]
	v_cndmask_b32_e64 v16, v12, v16, s[24:25]
	s_mov_b64 s[28:29], -1
	v_cndmask_b32_e64 v17, v17, v12, s[24:25]
	v_cmp_lt_u32_e64 s[4:5], v16, v96
	s_mov_b64 s[30:31], -1
	s_waitcnt vmcnt(0) lgkmcnt(0)
	v_cndmask_b32_e64 v97, v3, v84, s[24:25]
	v_cndmask_b32_e64 v98, v2, v85, s[24:25]
	v_cndmask_b32_e64 v99, v86, v3, s[24:25]
	v_cndmask_b32_e64 v100, v87, v2, s[24:25]
	s_and_saveexec_b64 s[34:35], s[4:5]
	s_cbranch_execz .LBB878_621
; %bb.614:                              ;   in Loop: Header=BB878_556 Depth=1
	v_cmp_lt_u32_e64 s[30:31], v17, v31
	s_xor_b64 s[4:5], s[0:1], -1
	s_and_b64 s[4:5], s[30:31], s[4:5]
	s_and_saveexec_b64 s[36:37], s[4:5]
	s_cbranch_execz .LBB878_620
; %bb.615:                              ;   in Loop: Header=BB878_556 Depth=1
	v_mad_u64_u32 v[2:3], s[4:5], v66, v100, v[8:9]
	v_mul_lo_u32 v12, v66, v99
	v_mul_lo_u32 v13, v67, v100
	v_add3_u32 v3, v13, v3, v12
	v_mad_u64_u32 v[12:13], s[4:5], v66, v98, v[8:9]
	v_mul_lo_u32 v14, v66, v97
	v_mul_lo_u32 v15, v67, v98
	v_add3_u32 v13, v15, v13, v14
	s_mov_b64 s[38:39], 0
	v_mov_b64_e32 v[14:15], v[6:7]
                                        ; implicit-def: $sgpr40_sgpr41
                                        ; implicit-def: $sgpr42_sgpr43
                                        ; implicit-def: $sgpr6_sgpr7
                                        ; implicit-def: $sgpr44_sgpr45
                                        ; implicit-def: $sgpr46_sgpr47
	s_branch .LBB878_617
.LBB878_616:                            ;   in Loop: Header=BB878_617 Depth=2
	s_or_b64 exec, exec, s[48:49]
	s_and_b64 s[4:5], exec, s[42:43]
	s_or_b64 s[38:39], s[4:5], s[38:39]
	s_andn2_b64 s[4:5], s[46:47], exec
	s_and_b64 s[10:11], s[44:45], exec
	s_or_b64 s[46:47], s[4:5], s[10:11]
	s_andn2_b64 s[4:5], s[40:41], exec
	s_and_b64 s[10:11], s[6:7], exec
	s_or_b64 s[40:41], s[4:5], s[10:11]
	s_andn2_b64 exec, exec, s[38:39]
	s_cbranch_execz .LBB878_619
.LBB878_617:                            ;   Parent Loop BB878_556 Depth=1
                                        ; =>  This Inner Loop Header: Depth=2
	flat_load_dword v54, v[12:13]
	flat_load_dword v101, v[2:3]
	s_andn2_b64 s[48:49], s[6:7], exec
	s_andn2_b64 s[44:45], s[44:45], exec
	s_or_b64 s[42:43], s[42:43], exec
	s_waitcnt vmcnt(0) lgkmcnt(0)
	v_cmp_ngt_f32_e64 s[6:7], v54, v101
	v_cmp_lt_f32_e64 s[4:5], v54, v101
	s_and_b64 s[6:7], s[6:7], s[46:47]
	s_or_b64 s[50:51], s[4:5], s[6:7]
	s_and_b64 s[4:5], s[50:51], exec
	v_cmp_nlg_f32_e64 s[10:11], v54, v101
	s_or_b64 s[6:7], s[48:49], s[4:5]
	s_and_saveexec_b64 s[48:49], s[10:11]
	s_cbranch_execz .LBB878_616
; %bb.618:                              ;   in Loop: Header=BB878_617 Depth=2
	v_lshl_add_u64 v[14:15], v[14:15], 0, -1
	v_cmp_eq_u64_e64 s[4:5], 0, v[14:15]
	s_andn2_b64 s[10:11], s[44:45], exec
	s_and_b64 s[44:45], s[50:51], exec
	s_or_b64 s[44:45], s[10:11], s[44:45]
	s_andn2_b64 s[10:11], s[42:43], exec
	s_and_b64 s[4:5], s[4:5], exec
	v_lshl_add_u64 v[2:3], v[2:3], 0, 4
	v_lshl_add_u64 v[12:13], v[12:13], 0, 4
	s_andn2_b64 s[6:7], s[6:7], exec
	s_or_b64 s[42:43], s[10:11], s[4:5]
                                        ; implicit-def: $sgpr46_sgpr47
	s_branch .LBB878_616
.LBB878_619:                            ;   in Loop: Header=BB878_556 Depth=1
	s_or_b64 exec, exec, s[38:39]
	s_xor_b64 s[4:5], s[40:41], -1
	s_andn2_b64 s[6:7], s[30:31], exec
	s_and_b64 s[4:5], s[4:5], exec
	s_or_b64 s[30:31], s[6:7], s[4:5]
.LBB878_620:                            ;   in Loop: Header=BB878_556 Depth=1
	s_or_b64 exec, exec, s[36:37]
	s_orn2_b64 s[30:31], s[30:31], exec
.LBB878_621:                            ;   in Loop: Header=BB878_556 Depth=1
	s_or_b64 exec, exec, s[34:35]
	v_cndmask_b32_e64 v2, v16, v17, s[30:31]
	v_cndmask_b32_e64 v3, v96, v31, s[30:31]
	v_add_u32_e32 v12, 1, v2
	v_add_u32_e32 v2, -1, v3
	v_min_u32_e32 v54, v12, v2
	v_lshl_add_u64 v[2:3], v[54:55], 3, v[10:11]
	flat_load_dwordx2 v[2:3], v[2:3]
	v_cndmask_b32_e64 v113, v12, v16, s[30:31]
	v_cndmask_b32_e64 v16, v17, v12, s[30:31]
	v_cmp_lt_u32_e64 s[4:5], v113, v96
	s_waitcnt vmcnt(0) lgkmcnt(0)
	v_cndmask_b32_e64 v101, v3, v97, s[30:31]
	v_cndmask_b32_e64 v102, v2, v98, s[30:31]
	;; [unrolled: 1-line block ×4, first 2 shown]
	s_and_saveexec_b64 s[34:35], s[4:5]
	s_cbranch_execz .LBB878_629
; %bb.622:                              ;   in Loop: Header=BB878_556 Depth=1
	v_cmp_lt_u32_e64 s[28:29], v16, v31
	s_xor_b64 s[4:5], s[0:1], -1
	s_and_b64 s[4:5], s[28:29], s[4:5]
	s_and_saveexec_b64 s[36:37], s[4:5]
	s_cbranch_execz .LBB878_628
; %bb.623:                              ;   in Loop: Header=BB878_556 Depth=1
	v_mad_u64_u32 v[2:3], s[4:5], v66, v112, v[8:9]
	v_mul_lo_u32 v12, v66, v103
	v_mul_lo_u32 v13, v67, v112
	v_add3_u32 v3, v13, v3, v12
	v_mad_u64_u32 v[12:13], s[4:5], v66, v102, v[8:9]
	v_mul_lo_u32 v14, v66, v101
	v_mul_lo_u32 v15, v67, v102
	v_add3_u32 v13, v15, v13, v14
	s_mov_b64 s[38:39], 0
	v_mov_b64_e32 v[14:15], v[6:7]
                                        ; implicit-def: $sgpr40_sgpr41
                                        ; implicit-def: $sgpr42_sgpr43
                                        ; implicit-def: $sgpr6_sgpr7
                                        ; implicit-def: $sgpr44_sgpr45
                                        ; implicit-def: $sgpr46_sgpr47
	s_branch .LBB878_625
.LBB878_624:                            ;   in Loop: Header=BB878_625 Depth=2
	s_or_b64 exec, exec, s[48:49]
	s_and_b64 s[4:5], exec, s[42:43]
	s_or_b64 s[38:39], s[4:5], s[38:39]
	s_andn2_b64 s[4:5], s[46:47], exec
	s_and_b64 s[10:11], s[44:45], exec
	s_or_b64 s[46:47], s[4:5], s[10:11]
	s_andn2_b64 s[4:5], s[40:41], exec
	s_and_b64 s[10:11], s[6:7], exec
	s_or_b64 s[40:41], s[4:5], s[10:11]
	s_andn2_b64 exec, exec, s[38:39]
	s_cbranch_execz .LBB878_627
.LBB878_625:                            ;   Parent Loop BB878_556 Depth=1
                                        ; =>  This Inner Loop Header: Depth=2
	flat_load_dword v17, v[12:13]
	flat_load_dword v54, v[2:3]
	s_andn2_b64 s[48:49], s[6:7], exec
	s_andn2_b64 s[44:45], s[44:45], exec
	s_or_b64 s[42:43], s[42:43], exec
	s_waitcnt vmcnt(0) lgkmcnt(0)
	v_cmp_ngt_f32_e64 s[6:7], v17, v54
	v_cmp_lt_f32_e64 s[4:5], v17, v54
	s_and_b64 s[6:7], s[6:7], s[46:47]
	s_or_b64 s[50:51], s[4:5], s[6:7]
	s_and_b64 s[4:5], s[50:51], exec
	v_cmp_nlg_f32_e64 s[10:11], v17, v54
	s_or_b64 s[6:7], s[48:49], s[4:5]
	s_and_saveexec_b64 s[48:49], s[10:11]
	s_cbranch_execz .LBB878_624
; %bb.626:                              ;   in Loop: Header=BB878_625 Depth=2
	v_lshl_add_u64 v[14:15], v[14:15], 0, -1
	v_cmp_eq_u64_e64 s[4:5], 0, v[14:15]
	s_andn2_b64 s[10:11], s[44:45], exec
	s_and_b64 s[44:45], s[50:51], exec
	s_or_b64 s[44:45], s[10:11], s[44:45]
	s_andn2_b64 s[10:11], s[42:43], exec
	s_and_b64 s[4:5], s[4:5], exec
	v_lshl_add_u64 v[2:3], v[2:3], 0, 4
	v_lshl_add_u64 v[12:13], v[12:13], 0, 4
	s_andn2_b64 s[6:7], s[6:7], exec
	s_or_b64 s[42:43], s[10:11], s[4:5]
                                        ; implicit-def: $sgpr46_sgpr47
	s_branch .LBB878_624
.LBB878_627:                            ;   in Loop: Header=BB878_556 Depth=1
	s_or_b64 exec, exec, s[38:39]
	s_xor_b64 s[4:5], s[40:41], -1
	s_andn2_b64 s[6:7], s[28:29], exec
	s_and_b64 s[4:5], s[4:5], exec
	s_or_b64 s[28:29], s[6:7], s[4:5]
.LBB878_628:                            ;   in Loop: Header=BB878_556 Depth=1
	s_or_b64 exec, exec, s[36:37]
	s_orn2_b64 s[28:29], s[28:29], exec
.LBB878_629:                            ;   in Loop: Header=BB878_556 Depth=1
	s_or_b64 exec, exec, s[34:35]
	v_cndmask_b32_e64 v2, v113, v16, s[28:29]
	v_cndmask_b32_e64 v3, v96, v31, s[28:29]
	v_add_u32_e32 v14, 1, v2
	v_add_u32_e32 v2, -1, v3
	v_min_u32_e32 v54, v14, v2
	v_lshl_add_u64 v[2:3], v[54:55], 3, v[10:11]
	flat_load_dwordx2 v[12:13], v[2:3]
	v_cndmask_b32_e64 v15, v14, v113, s[28:29]
	v_cmp_lt_u32_e64 s[4:5], v15, v96
	s_waitcnt vmcnt(0) lgkmcnt(0)
	v_cndmask_b32_e64 v3, v103, v13, s[28:29]
	v_cndmask_b32_e64 v2, v112, v12, s[28:29]
	s_and_saveexec_b64 s[34:35], s[4:5]
	s_cbranch_execz .LBB878_637
; %bb.630:                              ;   in Loop: Header=BB878_556 Depth=1
	v_cndmask_b32_e64 v96, v12, v102, s[28:29]
	v_cndmask_b32_e64 v12, v16, v14, s[28:29]
	v_cmp_ge_u32_e64 s[4:5], v12, v31
	v_cndmask_b32_e64 v54, v13, v101, s[28:29]
	s_or_b64 s[6:7], s[4:5], s[0:1]
	v_cndmask_b32_e64 v13, v3, v54, s[4:5]
	s_xor_b64 s[6:7], s[6:7], -1
	v_cndmask_b32_e64 v12, v2, v96, s[4:5]
	s_and_saveexec_b64 s[36:37], s[6:7]
	s_cbranch_execz .LBB878_636
; %bb.631:                              ;   in Loop: Header=BB878_556 Depth=1
	v_mad_u64_u32 v[12:13], s[4:5], v66, v2, v[8:9]
	v_mul_lo_u32 v14, v66, v3
	v_mul_lo_u32 v15, v67, v2
	v_add3_u32 v13, v15, v13, v14
	v_mad_u64_u32 v[14:15], s[4:5], v66, v96, v[8:9]
	v_mul_lo_u32 v16, v66, v54
	v_mul_lo_u32 v17, v67, v96
	v_add3_u32 v15, v17, v15, v16
	s_mov_b64 s[38:39], 0
	v_mov_b64_e32 v[16:17], v[6:7]
                                        ; implicit-def: $sgpr40_sgpr41
                                        ; implicit-def: $sgpr42_sgpr43
                                        ; implicit-def: $sgpr6_sgpr7
                                        ; implicit-def: $sgpr44_sgpr45
                                        ; implicit-def: $sgpr46_sgpr47
	s_branch .LBB878_633
.LBB878_632:                            ;   in Loop: Header=BB878_633 Depth=2
	s_or_b64 exec, exec, s[48:49]
	s_and_b64 s[4:5], exec, s[42:43]
	s_or_b64 s[38:39], s[4:5], s[38:39]
	s_andn2_b64 s[4:5], s[46:47], exec
	s_and_b64 s[10:11], s[44:45], exec
	s_or_b64 s[46:47], s[4:5], s[10:11]
	s_andn2_b64 s[4:5], s[40:41], exec
	s_and_b64 s[10:11], s[6:7], exec
	s_or_b64 s[40:41], s[4:5], s[10:11]
	s_andn2_b64 exec, exec, s[38:39]
	s_cbranch_execz .LBB878_635
.LBB878_633:                            ;   Parent Loop BB878_556 Depth=1
                                        ; =>  This Inner Loop Header: Depth=2
	flat_load_dword v31, v[14:15]
	flat_load_dword v113, v[12:13]
	s_andn2_b64 s[48:49], s[6:7], exec
	s_andn2_b64 s[44:45], s[44:45], exec
	s_or_b64 s[42:43], s[42:43], exec
	s_waitcnt vmcnt(0) lgkmcnt(0)
	v_cmp_ngt_f32_e64 s[6:7], v31, v113
	v_cmp_lt_f32_e64 s[4:5], v31, v113
	s_and_b64 s[6:7], s[6:7], s[46:47]
	s_or_b64 s[50:51], s[4:5], s[6:7]
	s_and_b64 s[4:5], s[50:51], exec
	v_cmp_nlg_f32_e64 s[10:11], v31, v113
	s_or_b64 s[6:7], s[48:49], s[4:5]
	s_and_saveexec_b64 s[48:49], s[10:11]
	s_cbranch_execz .LBB878_632
; %bb.634:                              ;   in Loop: Header=BB878_633 Depth=2
	v_lshl_add_u64 v[16:17], v[16:17], 0, -1
	v_cmp_eq_u64_e64 s[4:5], 0, v[16:17]
	s_andn2_b64 s[10:11], s[44:45], exec
	s_and_b64 s[44:45], s[50:51], exec
	s_or_b64 s[44:45], s[10:11], s[44:45]
	s_andn2_b64 s[10:11], s[42:43], exec
	s_and_b64 s[4:5], s[4:5], exec
	v_lshl_add_u64 v[12:13], v[12:13], 0, 4
	v_lshl_add_u64 v[14:15], v[14:15], 0, 4
	s_andn2_b64 s[6:7], s[6:7], exec
	s_or_b64 s[42:43], s[10:11], s[4:5]
                                        ; implicit-def: $sgpr46_sgpr47
	s_branch .LBB878_632
.LBB878_635:                            ;   in Loop: Header=BB878_556 Depth=1
	s_or_b64 exec, exec, s[38:39]
	v_cndmask_b32_e64 v13, v3, v54, s[40:41]
	v_cndmask_b32_e64 v12, v2, v96, s[40:41]
.LBB878_636:                            ;   in Loop: Header=BB878_556 Depth=1
	s_or_b64 exec, exec, s[36:37]
	v_mov_b64_e32 v[2:3], v[12:13]
.LBB878_637:                            ;   in Loop: Header=BB878_556 Depth=1
	s_or_b64 exec, exec, s[34:35]
	v_cndmask_b32_e64 v15, v97, v99, s[30:31]
	v_cndmask_b32_e64 v14, v98, v100, s[30:31]
	;; [unrolled: 1-line block ×14, first 2 shown]
.LBB878_638:                            ;   in Loop: Header=BB878_556 Depth=1
	s_or_b64 exec, exec, s[16:17]
	s_cmpk_lt_u32 s52, 0x400
	s_barrier
	s_cbranch_scc0 .LBB878_640
; %bb.639:                              ;   in Loop: Header=BB878_556 Depth=1
	s_mov_b32 s52, s53
	s_branch .LBB878_556
.LBB878_640:
	s_barrier
	flat_store_dwordx4 v[52:53], v[20:23]
	flat_store_dwordx4 v[52:53], v[16:19] offset:16
	flat_store_dwordx4 v[52:53], v[12:15] offset:32
	;; [unrolled: 1-line block ×3, first 2 shown]
	s_waitcnt lgkmcnt(0)
	s_barrier
	flat_load_dwordx2 v[0:1], v[24:25]
	flat_load_dwordx2 v[2:3], v[34:35] offset:2048
	flat_load_dwordx2 v[6:7], v[26:27]
	flat_load_dwordx2 v[8:9], v[48:49]
	;; [unrolled: 1-line block ×6, first 2 shown]
	v_mov_b32_e32 v31, 0
	s_movk_i32 s0, 0x1000
	v_lshl_add_u64 v[18:19], v[4:5], 0, v[30:31]
	v_add_co_u32_e32 v20, vcc, s0, v18
	s_mov_b64 s[24:25], exec
	s_nop 0
	v_addc_co_u32_e32 v21, vcc, 0, v19, vcc
	v_add_co_u32_e32 v22, vcc, 0x2000, v18
                                        ; implicit-def: $vgpr64
                                        ; implicit-def: $vgpr65
                                        ; implicit-def: $vgpr30
                                        ; implicit-def: $vgpr32
	s_nop 1
	v_addc_co_u32_e32 v23, vcc, 0, v19, vcc
	v_add_co_u32_e32 v24, vcc, 0x3000, v18
	s_nop 1
	v_addc_co_u32_e32 v25, vcc, 0, v19, vcc
	s_waitcnt vmcnt(0) lgkmcnt(0)
	flat_store_dwordx2 v[18:19], v[0:1]
	flat_store_dwordx2 v[18:19], v[2:3] offset:2048
	flat_store_dwordx2 v[20:21], v[6:7]
	flat_store_dwordx2 v[20:21], v[8:9] offset:2048
	flat_store_dwordx2 v[22:23], v[10:11]
	flat_store_dwordx2 v[22:23], v[14:15] offset:2048
	flat_store_dwordx2 v[24:25], v[16:17]
                                        ; implicit-def: $vgpr0
                                        ; implicit-def: $vgpr6_vgpr7
                                        ; implicit-def: $vgpr2_vgpr3
                                        ; implicit-def: $vgpr8_vgpr9
                                        ; implicit-def: $vgpr10_vgpr11
                                        ; implicit-def: $vgpr1
	s_andn2_saveexec_b64 s[26:27], s[14:15]
	s_cbranch_execz .LBB878_2
.LBB878_641:
	v_cmp_lt_u32_e32 vcc, v28, v0
                                        ; implicit-def: $vgpr12_vgpr13
	s_and_saveexec_b64 s[0:1], vcc
	s_cbranch_execz .LBB878_643
; %bb.642:
	v_mov_b32_e32 v31, 0
	v_lshl_add_u64 v[12:13], v[2:3], 0, v[30:31]
	flat_load_dwordx2 v[12:13], v[12:13]
.LBB878_643:
	s_or_b64 exec, exec, s[0:1]
	v_add_u32_e32 v33, 0x100, v28
	v_cmp_lt_u32_e64 s[0:1], v33, v0
                                        ; implicit-def: $vgpr14_vgpr15
	s_and_saveexec_b64 s[2:3], s[0:1]
	s_cbranch_execz .LBB878_645
; %bb.644:
	v_mov_b32_e32 v31, 0
	v_lshl_add_u64 v[14:15], v[2:3], 0, v[30:31]
	flat_load_dwordx2 v[14:15], v[14:15] offset:2048
.LBB878_645:
	s_or_b64 exec, exec, s[2:3]
	v_add_u32_e32 v31, 0x200, v28
	v_cmp_lt_u32_e64 s[2:3], v31, v0
                                        ; implicit-def: $vgpr16_vgpr17
	s_and_saveexec_b64 s[4:5], s[2:3]
	s_cbranch_execz .LBB878_647
; %bb.646:
	v_lshlrev_b32_e32 v16, 3, v31
	v_mov_b32_e32 v17, 0
	v_lshl_add_u64 v[16:17], v[2:3], 0, v[16:17]
	flat_load_dwordx2 v[16:17], v[16:17]
.LBB878_647:
	s_or_b64 exec, exec, s[4:5]
	v_add_u32_e32 v36, 0x300, v28
	v_cmp_lt_u32_e64 s[4:5], v36, v0
                                        ; implicit-def: $vgpr18_vgpr19
	s_and_saveexec_b64 s[6:7], s[4:5]
	s_cbranch_execz .LBB878_649
; %bb.648:
	v_lshlrev_b32_e32 v18, 3, v36
	v_mov_b32_e32 v19, 0
	v_lshl_add_u64 v[18:19], v[2:3], 0, v[18:19]
	flat_load_dwordx2 v[18:19], v[18:19]
.LBB878_649:
	s_or_b64 exec, exec, s[6:7]
	v_or_b32_e32 v38, 0x400, v28
	v_cmp_lt_u32_e64 s[6:7], v38, v0
                                        ; implicit-def: $vgpr20_vgpr21
	s_and_saveexec_b64 s[10:11], s[6:7]
	s_cbranch_execz .LBB878_651
; %bb.650:
	v_lshlrev_b32_e32 v20, 3, v38
	v_mov_b32_e32 v21, 0
	v_lshl_add_u64 v[20:21], v[2:3], 0, v[20:21]
	flat_load_dwordx2 v[20:21], v[20:21]
.LBB878_651:
	s_or_b64 exec, exec, s[10:11]
	v_add_u32_e32 v48, 0x500, v28
	v_cmp_lt_u32_e64 s[10:11], v48, v0
                                        ; implicit-def: $vgpr22_vgpr23
	s_and_saveexec_b64 s[14:15], s[10:11]
	s_cbranch_execz .LBB878_653
; %bb.652:
	v_lshlrev_b32_e32 v22, 3, v48
	v_mov_b32_e32 v23, 0
	v_lshl_add_u64 v[22:23], v[2:3], 0, v[22:23]
	flat_load_dwordx2 v[22:23], v[22:23]
.LBB878_653:
	s_or_b64 exec, exec, s[14:15]
	v_add_u32_e32 v50, 0x600, v28
	v_cmp_lt_u32_e64 s[20:21], v50, v0
                                        ; implicit-def: $vgpr24_vgpr25
	s_and_saveexec_b64 s[14:15], s[20:21]
	s_cbranch_execz .LBB878_655
; %bb.654:
	v_lshlrev_b32_e32 v24, 3, v50
	v_mov_b32_e32 v25, 0
	v_lshl_add_u64 v[24:25], v[2:3], 0, v[24:25]
	flat_load_dwordx2 v[24:25], v[24:25]
.LBB878_655:
	s_or_b64 exec, exec, s[14:15]
	v_add_u32_e32 v52, 0x700, v28
	v_cmp_lt_u32_e64 s[14:15], v52, v0
                                        ; implicit-def: $vgpr26_vgpr27
	s_and_saveexec_b64 s[16:17], s[14:15]
	s_cbranch_execz .LBB878_657
; %bb.656:
	v_lshlrev_b32_e32 v26, 3, v52
	v_mov_b32_e32 v27, 0
	v_lshl_add_u64 v[2:3], v[2:3], 0, v[26:27]
	flat_load_dwordx2 v[26:27], v[2:3]
.LBB878_657:
	s_or_b64 exec, exec, s[16:17]
	v_mov_b32_e32 v29, 0
	v_add_lshl_u32 v2, v32, v28, 3
	v_mov_b32_e32 v3, v29
	v_lshl_add_u64 v[2:3], v[10:11], 0, v[2:3]
	s_waitcnt vmcnt(0) lgkmcnt(0)
	flat_store_dwordx2 v[2:3], v[12:13]
	v_lshrrev_b32_e32 v12, 5, v33
	v_add_lshl_u32 v12, v12, v28, 3
	v_mov_b32_e32 v13, v29
	v_lshl_add_u64 v[32:33], v[10:11], 0, v[12:13]
	v_lshrrev_b32_e32 v12, 5, v31
	v_add_lshl_u32 v12, v12, v31, 3
	v_lshl_add_u64 v[34:35], v[10:11], 0, v[12:13]
	v_lshrrev_b32_e32 v12, 5, v36
	v_add_lshl_u32 v12, v12, v36, 3
	;; [unrolled: 3-line block ×6, first 2 shown]
	v_lshl_add_u64 v[52:53], v[10:11], 0, v[12:13]
	v_add_lshl_u32 v12, v1, v30, 3
	v_lshl_add_u64 v[54:55], v[10:11], 0, v[12:13]
	flat_store_dwordx2 v[32:33], v[14:15] offset:2048
	flat_store_dwordx2 v[34:35], v[16:17]
	flat_store_dwordx2 v[36:37], v[18:19]
	;; [unrolled: 1-line block ×6, first 2 shown]
	s_waitcnt lgkmcnt(0)
	s_barrier
	flat_load_dwordx4 v[24:27], v[54:55]
	flat_load_dwordx4 v[20:23], v[54:55] offset:16
	flat_load_dwordx4 v[16:19], v[54:55] offset:32
	;; [unrolled: 1-line block ×3, first 2 shown]
	s_waitcnt lgkmcnt(0)
	s_barrier
	s_load_dwordx2 s[16:17], s[8:9], 0x0
	s_mov_b64 s[34:35], 0
	s_waitcnt lgkmcnt(0)
	s_cmp_lt_u32 s12, s16
	s_cselect_b32 s16, 12, 18
	s_cmp_lt_u32 s13, s17
	s_cselect_b32 s12, 14, 20
	s_add_u32 s12, s8, s12
	s_addc_u32 s13, s9, 0
	s_add_u32 s8, s8, s16
	s_addc_u32 s9, s9, 0
	global_load_ushort v1, v29, s[12:13]
	global_load_ushort v31, v29, s[8:9]
	v_cmp_lt_i64_e64 s[16:17], 0, v[6:7]
	v_cmp_gt_i64_e64 s[8:9], 1, v[6:7]
	s_waitcnt vmcnt(0)
	v_mad_u32_u24 v1, v65, v1, v64
	v_mul_lo_u32 v1, v1, v31
	v_add_lshl_u32 v1, v1, v28, 3
	v_sub_u32_e64 v31, v0, v1 clamp
	v_cmp_lt_u32_e64 s[12:13], 1, v31
	s_and_b64 s[30:31], s[12:13], s[16:17]
	s_and_saveexec_b64 s[28:29], s[30:31]
	s_cbranch_execz .LBB878_665
; %bb.658:
	v_mul_lo_u32 v66, v25, v6
	v_mul_lo_u32 v67, v24, v7
	v_mad_u64_u32 v[64:65], s[12:13], v24, v6, 0
	v_add3_u32 v65, v65, v67, v66
	v_mul_lo_u32 v68, v27, v6
	v_mul_lo_u32 v69, v26, v7
	v_mad_u64_u32 v[66:67], s[12:13], v26, v6, 0
	v_add3_u32 v67, v67, v69, v68
	v_lshl_add_u64 v[64:65], v[64:65], 2, v[8:9]
	v_lshl_add_u64 v[66:67], v[66:67], 2, v[8:9]
	v_mov_b64_e32 v[68:69], v[6:7]
                                        ; implicit-def: $sgpr36_sgpr37
                                        ; implicit-def: $sgpr38_sgpr39
                                        ; implicit-def: $sgpr42_sgpr43
                                        ; implicit-def: $sgpr40_sgpr41
                                        ; implicit-def: $sgpr44_sgpr45
                                        ; implicit-def: $sgpr46_sgpr47
	s_branch .LBB878_660
.LBB878_659:                            ;   in Loop: Header=BB878_660 Depth=1
	s_or_b64 exec, exec, s[48:49]
	s_and_b64 s[12:13], exec, s[42:43]
	s_or_b64 s[34:35], s[12:13], s[34:35]
	s_andn2_b64 s[12:13], s[46:47], exec
	s_and_b64 s[22:23], s[44:45], exec
	s_or_b64 s[46:47], s[12:13], s[22:23]
	s_andn2_b64 s[12:13], s[38:39], exec
	s_and_b64 s[22:23], s[40:41], exec
	;; [unrolled: 3-line block ×3, first 2 shown]
	s_or_b64 s[36:37], s[12:13], s[18:19]
	s_andn2_b64 exec, exec, s[34:35]
	s_cbranch_execz .LBB878_662
.LBB878_660:                            ; =>This Inner Loop Header: Depth=1
	flat_load_dword v70, v[66:67]
	flat_load_dword v71, v[64:65]
	s_andn2_b64 s[44:45], s[44:45], exec
	s_or_b64 s[40:41], s[40:41], exec
	s_or_b64 s[42:43], s[42:43], exec
	s_waitcnt vmcnt(0) lgkmcnt(0)
	v_cmp_ngt_f32_e64 s[18:19], v70, v71
	v_cmp_lt_f32_e64 s[12:13], v70, v71
	s_and_b64 s[18:19], s[18:19], s[46:47]
	v_cmp_nlg_f32_e64 s[22:23], v70, v71
	s_or_b64 s[18:19], s[12:13], s[18:19]
	s_and_saveexec_b64 s[48:49], s[22:23]
	s_cbranch_execz .LBB878_659
; %bb.661:                              ;   in Loop: Header=BB878_660 Depth=1
	v_lshl_add_u64 v[68:69], v[68:69], 0, -1
	v_cmp_eq_u64_e64 s[12:13], 0, v[68:69]
	s_andn2_b64 s[22:23], s[44:45], exec
	s_and_b64 s[44:45], s[18:19], exec
	s_or_b64 s[44:45], s[22:23], s[44:45]
	s_andn2_b64 s[22:23], s[42:43], exec
	s_and_b64 s[12:13], s[12:13], exec
	v_lshl_add_u64 v[64:65], v[64:65], 0, 4
	v_lshl_add_u64 v[66:67], v[66:67], 0, 4
	s_andn2_b64 s[40:41], s[40:41], exec
	s_or_b64 s[42:43], s[22:23], s[12:13]
                                        ; implicit-def: $sgpr46_sgpr47
	s_branch .LBB878_659
.LBB878_662:
	s_or_b64 exec, exec, s[34:35]
	s_and_saveexec_b64 s[12:13], s[38:39]
	s_xor_b64 s[12:13], exec, s[12:13]
; %bb.663:
	v_cndmask_b32_e64 v65, v27, v25, s[36:37]
	v_cndmask_b32_e64 v64, v26, v24, s[36:37]
	;; [unrolled: 1-line block ×4, first 2 shown]
	v_mov_b64_e32 v[26:27], v[64:65]
; %bb.664:
	s_or_b64 exec, exec, s[12:13]
.LBB878_665:
	s_or_b64 exec, exec, s[28:29]
	v_cmp_lt_u32_e64 s[12:13], 3, v31
	s_xor_b64 s[28:29], s[8:9], -1
	s_and_b64 s[34:35], s[12:13], s[28:29]
	s_and_saveexec_b64 s[36:37], s[34:35]
	s_cbranch_execz .LBB878_673
; %bb.666:
	v_mul_lo_u32 v66, v21, v6
	v_mul_lo_u32 v67, v20, v7
	v_mad_u64_u32 v[64:65], s[12:13], v20, v6, 0
	v_add3_u32 v65, v65, v67, v66
	v_mul_lo_u32 v68, v23, v6
	v_mul_lo_u32 v69, v22, v7
	v_mad_u64_u32 v[66:67], s[12:13], v22, v6, 0
	v_add3_u32 v67, v67, v69, v68
	v_lshl_add_u64 v[64:65], v[64:65], 2, v[8:9]
	v_lshl_add_u64 v[66:67], v[66:67], 2, v[8:9]
	s_mov_b64 s[40:41], 0
	v_mov_b64_e32 v[68:69], v[6:7]
                                        ; implicit-def: $sgpr38_sgpr39
                                        ; implicit-def: $sgpr42_sgpr43
                                        ; implicit-def: $sgpr46_sgpr47
                                        ; implicit-def: $sgpr44_sgpr45
                                        ; implicit-def: $sgpr48_sgpr49
                                        ; implicit-def: $sgpr50_sgpr51
	s_branch .LBB878_668
.LBB878_667:                            ;   in Loop: Header=BB878_668 Depth=1
	s_or_b64 exec, exec, s[52:53]
	s_and_b64 s[12:13], exec, s[46:47]
	s_or_b64 s[40:41], s[12:13], s[40:41]
	s_andn2_b64 s[12:13], s[50:51], exec
	s_and_b64 s[22:23], s[48:49], exec
	s_or_b64 s[50:51], s[12:13], s[22:23]
	s_andn2_b64 s[12:13], s[42:43], exec
	s_and_b64 s[22:23], s[44:45], exec
	;; [unrolled: 3-line block ×3, first 2 shown]
	s_or_b64 s[38:39], s[12:13], s[18:19]
	s_andn2_b64 exec, exec, s[40:41]
	s_cbranch_execz .LBB878_670
.LBB878_668:                            ; =>This Inner Loop Header: Depth=1
	flat_load_dword v70, v[66:67]
	flat_load_dword v71, v[64:65]
	s_andn2_b64 s[48:49], s[48:49], exec
	s_or_b64 s[44:45], s[44:45], exec
	s_or_b64 s[46:47], s[46:47], exec
	s_waitcnt vmcnt(0) lgkmcnt(0)
	v_cmp_ngt_f32_e64 s[18:19], v70, v71
	v_cmp_lt_f32_e64 s[12:13], v70, v71
	s_and_b64 s[18:19], s[18:19], s[50:51]
	v_cmp_nlg_f32_e64 s[22:23], v70, v71
	s_or_b64 s[18:19], s[12:13], s[18:19]
	s_and_saveexec_b64 s[52:53], s[22:23]
	s_cbranch_execz .LBB878_667
; %bb.669:                              ;   in Loop: Header=BB878_668 Depth=1
	v_lshl_add_u64 v[68:69], v[68:69], 0, -1
	v_cmp_eq_u64_e64 s[12:13], 0, v[68:69]
	s_andn2_b64 s[22:23], s[48:49], exec
	s_and_b64 s[48:49], s[18:19], exec
	s_or_b64 s[48:49], s[22:23], s[48:49]
	s_andn2_b64 s[22:23], s[46:47], exec
	s_and_b64 s[12:13], s[12:13], exec
	v_lshl_add_u64 v[64:65], v[64:65], 0, 4
	v_lshl_add_u64 v[66:67], v[66:67], 0, 4
	s_andn2_b64 s[44:45], s[44:45], exec
	s_or_b64 s[46:47], s[22:23], s[12:13]
                                        ; implicit-def: $sgpr50_sgpr51
	s_branch .LBB878_667
.LBB878_670:
	s_or_b64 exec, exec, s[40:41]
	s_and_saveexec_b64 s[12:13], s[42:43]
	s_xor_b64 s[12:13], exec, s[12:13]
; %bb.671:
	v_cndmask_b32_e64 v65, v21, v23, s[38:39]
	v_cndmask_b32_e64 v64, v20, v22, s[38:39]
	;; [unrolled: 1-line block ×4, first 2 shown]
	v_mov_b64_e32 v[20:21], v[64:65]
; %bb.672:
	s_or_b64 exec, exec, s[12:13]
.LBB878_673:
	s_or_b64 exec, exec, s[36:37]
	v_cmp_lt_u32_e64 s[12:13], 5, v31
	s_and_b64 s[36:37], s[12:13], s[28:29]
	s_and_saveexec_b64 s[38:39], s[36:37]
	s_cbranch_execz .LBB878_681
; %bb.674:
	v_mul_lo_u32 v66, v17, v6
	v_mul_lo_u32 v67, v16, v7
	v_mad_u64_u32 v[64:65], s[12:13], v16, v6, 0
	v_add3_u32 v65, v65, v67, v66
	v_mul_lo_u32 v68, v19, v6
	v_mul_lo_u32 v69, v18, v7
	v_mad_u64_u32 v[66:67], s[12:13], v18, v6, 0
	v_add3_u32 v67, v67, v69, v68
	v_lshl_add_u64 v[64:65], v[64:65], 2, v[8:9]
	v_lshl_add_u64 v[66:67], v[66:67], 2, v[8:9]
	s_mov_b64 s[42:43], 0
	v_mov_b64_e32 v[68:69], v[6:7]
                                        ; implicit-def: $sgpr40_sgpr41
                                        ; implicit-def: $sgpr44_sgpr45
                                        ; implicit-def: $sgpr48_sgpr49
                                        ; implicit-def: $sgpr46_sgpr47
                                        ; implicit-def: $sgpr50_sgpr51
                                        ; implicit-def: $sgpr52_sgpr53
	s_branch .LBB878_676
.LBB878_675:                            ;   in Loop: Header=BB878_676 Depth=1
	s_or_b64 exec, exec, s[54:55]
	s_and_b64 s[12:13], exec, s[48:49]
	s_or_b64 s[42:43], s[12:13], s[42:43]
	s_andn2_b64 s[12:13], s[52:53], exec
	s_and_b64 s[22:23], s[50:51], exec
	s_or_b64 s[52:53], s[12:13], s[22:23]
	s_andn2_b64 s[12:13], s[44:45], exec
	s_and_b64 s[22:23], s[46:47], exec
	;; [unrolled: 3-line block ×3, first 2 shown]
	s_or_b64 s[40:41], s[12:13], s[18:19]
	s_andn2_b64 exec, exec, s[42:43]
	s_cbranch_execz .LBB878_678
.LBB878_676:                            ; =>This Inner Loop Header: Depth=1
	flat_load_dword v70, v[66:67]
	flat_load_dword v71, v[64:65]
	s_andn2_b64 s[50:51], s[50:51], exec
	s_or_b64 s[46:47], s[46:47], exec
	s_or_b64 s[48:49], s[48:49], exec
	s_waitcnt vmcnt(0) lgkmcnt(0)
	v_cmp_ngt_f32_e64 s[18:19], v70, v71
	v_cmp_lt_f32_e64 s[12:13], v70, v71
	s_and_b64 s[18:19], s[18:19], s[52:53]
	v_cmp_nlg_f32_e64 s[22:23], v70, v71
	s_or_b64 s[18:19], s[12:13], s[18:19]
	s_and_saveexec_b64 s[54:55], s[22:23]
	s_cbranch_execz .LBB878_675
; %bb.677:                              ;   in Loop: Header=BB878_676 Depth=1
	v_lshl_add_u64 v[68:69], v[68:69], 0, -1
	v_cmp_eq_u64_e64 s[12:13], 0, v[68:69]
	s_andn2_b64 s[22:23], s[50:51], exec
	s_and_b64 s[50:51], s[18:19], exec
	s_or_b64 s[50:51], s[22:23], s[50:51]
	s_andn2_b64 s[22:23], s[48:49], exec
	s_and_b64 s[12:13], s[12:13], exec
	v_lshl_add_u64 v[64:65], v[64:65], 0, 4
	v_lshl_add_u64 v[66:67], v[66:67], 0, 4
	s_andn2_b64 s[46:47], s[46:47], exec
	s_or_b64 s[48:49], s[22:23], s[12:13]
                                        ; implicit-def: $sgpr52_sgpr53
	s_branch .LBB878_675
.LBB878_678:
	s_or_b64 exec, exec, s[42:43]
	s_and_saveexec_b64 s[12:13], s[44:45]
	s_xor_b64 s[12:13], exec, s[12:13]
; %bb.679:
	v_cndmask_b32_e64 v65, v17, v19, s[40:41]
	v_cndmask_b32_e64 v64, v16, v18, s[40:41]
	;; [unrolled: 1-line block ×4, first 2 shown]
	v_mov_b64_e32 v[16:17], v[64:65]
; %bb.680:
	s_or_b64 exec, exec, s[12:13]
.LBB878_681:
	s_or_b64 exec, exec, s[38:39]
	v_cmp_lt_u32_e64 s[12:13], 7, v31
	s_and_b64 s[38:39], s[12:13], s[28:29]
	s_and_saveexec_b64 s[40:41], s[38:39]
	s_cbranch_execz .LBB878_689
; %bb.682:
	v_mul_lo_u32 v66, v13, v6
	v_mul_lo_u32 v67, v12, v7
	v_mad_u64_u32 v[64:65], s[12:13], v12, v6, 0
	v_add3_u32 v65, v65, v67, v66
	v_mul_lo_u32 v68, v15, v6
	v_mul_lo_u32 v69, v14, v7
	v_mad_u64_u32 v[66:67], s[12:13], v14, v6, 0
	v_add3_u32 v67, v67, v69, v68
	v_lshl_add_u64 v[64:65], v[64:65], 2, v[8:9]
	v_lshl_add_u64 v[66:67], v[66:67], 2, v[8:9]
	s_mov_b64 s[44:45], 0
	v_mov_b64_e32 v[68:69], v[6:7]
                                        ; implicit-def: $sgpr42_sgpr43
                                        ; implicit-def: $sgpr46_sgpr47
                                        ; implicit-def: $sgpr50_sgpr51
                                        ; implicit-def: $sgpr48_sgpr49
                                        ; implicit-def: $sgpr52_sgpr53
                                        ; implicit-def: $sgpr54_sgpr55
	s_branch .LBB878_684
.LBB878_683:                            ;   in Loop: Header=BB878_684 Depth=1
	s_or_b64 exec, exec, s[56:57]
	s_and_b64 s[12:13], exec, s[50:51]
	s_or_b64 s[44:45], s[12:13], s[44:45]
	s_andn2_b64 s[12:13], s[54:55], exec
	s_and_b64 s[22:23], s[52:53], exec
	s_or_b64 s[54:55], s[12:13], s[22:23]
	s_andn2_b64 s[12:13], s[46:47], exec
	s_and_b64 s[22:23], s[48:49], exec
	;; [unrolled: 3-line block ×3, first 2 shown]
	s_or_b64 s[42:43], s[12:13], s[18:19]
	s_andn2_b64 exec, exec, s[44:45]
	s_cbranch_execz .LBB878_686
.LBB878_684:                            ; =>This Inner Loop Header: Depth=1
	flat_load_dword v70, v[66:67]
	flat_load_dword v71, v[64:65]
	s_andn2_b64 s[52:53], s[52:53], exec
	s_or_b64 s[48:49], s[48:49], exec
	s_or_b64 s[50:51], s[50:51], exec
	s_waitcnt vmcnt(0) lgkmcnt(0)
	v_cmp_ngt_f32_e64 s[18:19], v70, v71
	v_cmp_lt_f32_e64 s[12:13], v70, v71
	s_and_b64 s[18:19], s[18:19], s[54:55]
	v_cmp_nlg_f32_e64 s[22:23], v70, v71
	s_or_b64 s[18:19], s[12:13], s[18:19]
	s_and_saveexec_b64 s[56:57], s[22:23]
	s_cbranch_execz .LBB878_683
; %bb.685:                              ;   in Loop: Header=BB878_684 Depth=1
	v_lshl_add_u64 v[68:69], v[68:69], 0, -1
	v_cmp_eq_u64_e64 s[12:13], 0, v[68:69]
	s_andn2_b64 s[22:23], s[52:53], exec
	s_and_b64 s[52:53], s[18:19], exec
	s_or_b64 s[52:53], s[22:23], s[52:53]
	s_andn2_b64 s[22:23], s[50:51], exec
	s_and_b64 s[12:13], s[12:13], exec
	v_lshl_add_u64 v[64:65], v[64:65], 0, 4
	v_lshl_add_u64 v[66:67], v[66:67], 0, 4
	s_andn2_b64 s[48:49], s[48:49], exec
	s_or_b64 s[50:51], s[22:23], s[12:13]
                                        ; implicit-def: $sgpr54_sgpr55
	s_branch .LBB878_683
.LBB878_686:
	s_or_b64 exec, exec, s[44:45]
	s_and_saveexec_b64 s[12:13], s[46:47]
	s_xor_b64 s[12:13], exec, s[12:13]
; %bb.687:
	v_cndmask_b32_e64 v65, v13, v15, s[42:43]
	v_cndmask_b32_e64 v64, v12, v14, s[42:43]
	;; [unrolled: 1-line block ×4, first 2 shown]
	v_mov_b64_e32 v[12:13], v[64:65]
; %bb.688:
	s_or_b64 exec, exec, s[12:13]
.LBB878_689:
	s_or_b64 exec, exec, s[40:41]
	v_cmp_lt_u32_e64 s[12:13], 2, v31
	s_and_b64 s[40:41], s[12:13], s[28:29]
	s_and_saveexec_b64 s[12:13], s[40:41]
	s_xor_b64 s[42:43], exec, s[12:13]
	s_cbranch_execz .LBB878_697
; %bb.690:
	v_mul_lo_u32 v66, v27, v6
	v_mul_lo_u32 v67, v26, v7
	v_mad_u64_u32 v[64:65], s[12:13], v26, v6, 0
	v_add3_u32 v65, v65, v67, v66
	v_mul_lo_u32 v68, v21, v6
	v_mul_lo_u32 v69, v20, v7
	v_mad_u64_u32 v[66:67], s[12:13], v20, v6, 0
	v_add3_u32 v67, v67, v69, v68
	v_lshl_add_u64 v[64:65], v[64:65], 2, v[8:9]
	v_lshl_add_u64 v[66:67], v[66:67], 2, v[8:9]
	s_mov_b64 s[46:47], 0
	v_mov_b64_e32 v[68:69], v[6:7]
                                        ; implicit-def: $sgpr44_sgpr45
                                        ; implicit-def: $sgpr48_sgpr49
                                        ; implicit-def: $sgpr52_sgpr53
                                        ; implicit-def: $sgpr50_sgpr51
                                        ; implicit-def: $sgpr54_sgpr55
                                        ; implicit-def: $sgpr56_sgpr57
	s_branch .LBB878_692
.LBB878_691:                            ;   in Loop: Header=BB878_692 Depth=1
	s_or_b64 exec, exec, s[58:59]
	s_and_b64 s[12:13], exec, s[52:53]
	s_or_b64 s[46:47], s[12:13], s[46:47]
	s_andn2_b64 s[12:13], s[56:57], exec
	s_and_b64 s[22:23], s[54:55], exec
	s_or_b64 s[56:57], s[12:13], s[22:23]
	s_andn2_b64 s[12:13], s[48:49], exec
	s_and_b64 s[22:23], s[50:51], exec
	s_or_b64 s[48:49], s[12:13], s[22:23]
	s_andn2_b64 s[12:13], s[44:45], exec
	s_and_b64 s[18:19], s[18:19], exec
	s_or_b64 s[44:45], s[12:13], s[18:19]
	s_andn2_b64 exec, exec, s[46:47]
	s_cbranch_execz .LBB878_694
.LBB878_692:                            ; =>This Inner Loop Header: Depth=1
	flat_load_dword v70, v[66:67]
	flat_load_dword v71, v[64:65]
	s_andn2_b64 s[54:55], s[54:55], exec
	s_or_b64 s[50:51], s[50:51], exec
	s_or_b64 s[52:53], s[52:53], exec
	s_waitcnt vmcnt(0) lgkmcnt(0)
	v_cmp_ngt_f32_e64 s[18:19], v70, v71
	v_cmp_lt_f32_e64 s[12:13], v70, v71
	s_and_b64 s[18:19], s[18:19], s[56:57]
	v_cmp_nlg_f32_e64 s[22:23], v70, v71
	s_or_b64 s[18:19], s[12:13], s[18:19]
	s_and_saveexec_b64 s[58:59], s[22:23]
	s_cbranch_execz .LBB878_691
; %bb.693:                              ;   in Loop: Header=BB878_692 Depth=1
	v_lshl_add_u64 v[68:69], v[68:69], 0, -1
	v_cmp_eq_u64_e64 s[12:13], 0, v[68:69]
	s_andn2_b64 s[22:23], s[54:55], exec
	s_and_b64 s[54:55], s[18:19], exec
	s_or_b64 s[54:55], s[22:23], s[54:55]
	s_andn2_b64 s[22:23], s[52:53], exec
	s_and_b64 s[12:13], s[12:13], exec
	v_lshl_add_u64 v[64:65], v[64:65], 0, 4
	v_lshl_add_u64 v[66:67], v[66:67], 0, 4
	s_andn2_b64 s[50:51], s[50:51], exec
	s_or_b64 s[52:53], s[22:23], s[12:13]
                                        ; implicit-def: $sgpr56_sgpr57
	s_branch .LBB878_691
.LBB878_694:
	s_or_b64 exec, exec, s[46:47]
	s_and_saveexec_b64 s[12:13], s[48:49]
	s_xor_b64 s[12:13], exec, s[12:13]
; %bb.695:
	v_cndmask_b32_e64 v65, v27, v21, s[44:45]
	v_cndmask_b32_e64 v64, v26, v20, s[44:45]
	;; [unrolled: 1-line block ×4, first 2 shown]
	v_mov_b64_e32 v[26:27], v[64:65]
; %bb.696:
	s_or_b64 exec, exec, s[12:13]
.LBB878_697:
	s_or_b64 exec, exec, s[42:43]
	v_cmp_lt_u32_e64 s[12:13], 4, v31
	s_and_b64 s[42:43], s[12:13], s[28:29]
	s_and_saveexec_b64 s[44:45], s[42:43]
	s_cbranch_execz .LBB878_705
; %bb.698:
	v_mul_lo_u32 v66, v23, v6
	v_mul_lo_u32 v67, v22, v7
	v_mad_u64_u32 v[64:65], s[12:13], v22, v6, 0
	v_add3_u32 v65, v65, v67, v66
	v_mul_lo_u32 v68, v17, v6
	v_mul_lo_u32 v69, v16, v7
	v_mad_u64_u32 v[66:67], s[12:13], v16, v6, 0
	v_add3_u32 v67, v67, v69, v68
	v_lshl_add_u64 v[64:65], v[64:65], 2, v[8:9]
	v_lshl_add_u64 v[66:67], v[66:67], 2, v[8:9]
	s_mov_b64 s[48:49], 0
	v_mov_b64_e32 v[68:69], v[6:7]
                                        ; implicit-def: $sgpr46_sgpr47
                                        ; implicit-def: $sgpr50_sgpr51
                                        ; implicit-def: $sgpr54_sgpr55
                                        ; implicit-def: $sgpr52_sgpr53
                                        ; implicit-def: $sgpr56_sgpr57
                                        ; implicit-def: $sgpr58_sgpr59
	s_branch .LBB878_700
.LBB878_699:                            ;   in Loop: Header=BB878_700 Depth=1
	s_or_b64 exec, exec, s[60:61]
	s_and_b64 s[12:13], exec, s[54:55]
	s_or_b64 s[48:49], s[12:13], s[48:49]
	s_andn2_b64 s[12:13], s[58:59], exec
	s_and_b64 s[22:23], s[56:57], exec
	s_or_b64 s[58:59], s[12:13], s[22:23]
	s_andn2_b64 s[12:13], s[50:51], exec
	s_and_b64 s[22:23], s[52:53], exec
	s_or_b64 s[50:51], s[12:13], s[22:23]
	s_andn2_b64 s[12:13], s[46:47], exec
	s_and_b64 s[18:19], s[18:19], exec
	s_or_b64 s[46:47], s[12:13], s[18:19]
	s_andn2_b64 exec, exec, s[48:49]
	s_cbranch_execz .LBB878_702
.LBB878_700:                            ; =>This Inner Loop Header: Depth=1
	flat_load_dword v70, v[66:67]
	flat_load_dword v71, v[64:65]
	s_andn2_b64 s[56:57], s[56:57], exec
	s_or_b64 s[52:53], s[52:53], exec
	s_or_b64 s[54:55], s[54:55], exec
	s_waitcnt vmcnt(0) lgkmcnt(0)
	v_cmp_ngt_f32_e64 s[18:19], v70, v71
	v_cmp_lt_f32_e64 s[12:13], v70, v71
	s_and_b64 s[18:19], s[18:19], s[58:59]
	v_cmp_nlg_f32_e64 s[22:23], v70, v71
	s_or_b64 s[18:19], s[12:13], s[18:19]
	s_and_saveexec_b64 s[60:61], s[22:23]
	s_cbranch_execz .LBB878_699
; %bb.701:                              ;   in Loop: Header=BB878_700 Depth=1
	v_lshl_add_u64 v[68:69], v[68:69], 0, -1
	v_cmp_eq_u64_e64 s[12:13], 0, v[68:69]
	s_andn2_b64 s[22:23], s[56:57], exec
	s_and_b64 s[56:57], s[18:19], exec
	s_or_b64 s[56:57], s[22:23], s[56:57]
	s_andn2_b64 s[22:23], s[54:55], exec
	s_and_b64 s[12:13], s[12:13], exec
	v_lshl_add_u64 v[64:65], v[64:65], 0, 4
	v_lshl_add_u64 v[66:67], v[66:67], 0, 4
	s_andn2_b64 s[52:53], s[52:53], exec
	s_or_b64 s[54:55], s[22:23], s[12:13]
                                        ; implicit-def: $sgpr58_sgpr59
	s_branch .LBB878_699
.LBB878_702:
	s_or_b64 exec, exec, s[48:49]
	s_and_saveexec_b64 s[12:13], s[50:51]
	s_xor_b64 s[12:13], exec, s[12:13]
; %bb.703:
	v_cndmask_b32_e64 v65, v23, v17, s[46:47]
	v_cndmask_b32_e64 v64, v22, v16, s[46:47]
	;; [unrolled: 1-line block ×4, first 2 shown]
	v_mov_b64_e32 v[22:23], v[64:65]
; %bb.704:
	s_or_b64 exec, exec, s[12:13]
.LBB878_705:
	s_or_b64 exec, exec, s[44:45]
	v_cmp_lt_u32_e64 s[12:13], 6, v31
	s_and_b64 s[44:45], s[12:13], s[28:29]
	s_and_saveexec_b64 s[46:47], s[44:45]
	s_cbranch_execnz .LBB878_727
; %bb.706:
	s_or_b64 exec, exec, s[46:47]
	s_and_saveexec_b64 s[46:47], s[30:31]
	s_cbranch_execnz .LBB878_734
.LBB878_707:
	s_or_b64 exec, exec, s[46:47]
	s_and_saveexec_b64 s[46:47], s[34:35]
	s_cbranch_execnz .LBB878_741
.LBB878_708:
	s_or_b64 exec, exec, s[46:47]
	s_and_saveexec_b64 s[46:47], s[36:37]
	s_cbranch_execnz .LBB878_748
.LBB878_709:
	s_or_b64 exec, exec, s[46:47]
	s_and_saveexec_b64 s[46:47], s[38:39]
	s_cbranch_execnz .LBB878_755
.LBB878_710:
	s_or_b64 exec, exec, s[46:47]
	s_and_saveexec_b64 s[46:47], s[40:41]
	s_cbranch_execnz .LBB878_762
.LBB878_711:
	s_or_b64 exec, exec, s[46:47]
	s_and_saveexec_b64 s[46:47], s[42:43]
	s_cbranch_execnz .LBB878_769
.LBB878_712:
	s_or_b64 exec, exec, s[46:47]
	s_and_saveexec_b64 s[46:47], s[44:45]
	s_cbranch_execnz .LBB878_776
.LBB878_713:
	s_or_b64 exec, exec, s[46:47]
	s_and_saveexec_b64 s[46:47], s[30:31]
	s_cbranch_execnz .LBB878_783
.LBB878_714:
	s_or_b64 exec, exec, s[46:47]
	s_and_saveexec_b64 s[46:47], s[34:35]
	s_cbranch_execnz .LBB878_790
.LBB878_715:
	s_or_b64 exec, exec, s[46:47]
	s_and_saveexec_b64 s[46:47], s[36:37]
	s_cbranch_execnz .LBB878_797
.LBB878_716:
	s_or_b64 exec, exec, s[46:47]
	s_and_saveexec_b64 s[46:47], s[38:39]
	s_cbranch_execnz .LBB878_804
.LBB878_717:
	s_or_b64 exec, exec, s[46:47]
	s_and_saveexec_b64 s[46:47], s[40:41]
	s_cbranch_execnz .LBB878_811
.LBB878_718:
	s_or_b64 exec, exec, s[46:47]
	s_and_saveexec_b64 s[46:47], s[42:43]
	s_cbranch_execnz .LBB878_818
.LBB878_719:
	s_or_b64 exec, exec, s[46:47]
	s_and_saveexec_b64 s[46:47], s[44:45]
	s_cbranch_execnz .LBB878_825
.LBB878_720:
	s_or_b64 exec, exec, s[46:47]
	s_and_saveexec_b64 s[46:47], s[30:31]
	s_cbranch_execnz .LBB878_832
.LBB878_721:
	s_or_b64 exec, exec, s[46:47]
	s_and_saveexec_b64 s[30:31], s[34:35]
	s_cbranch_execnz .LBB878_839
.LBB878_722:
	s_or_b64 exec, exec, s[30:31]
	s_and_saveexec_b64 s[30:31], s[36:37]
	s_cbranch_execnz .LBB878_846
.LBB878_723:
	s_or_b64 exec, exec, s[30:31]
	s_and_saveexec_b64 s[30:31], s[38:39]
	s_cbranch_execnz .LBB878_853
.LBB878_724:
	s_or_b64 exec, exec, s[30:31]
	s_and_saveexec_b64 s[30:31], s[40:41]
	s_cbranch_execnz .LBB878_860
.LBB878_725:
	s_or_b64 exec, exec, s[30:31]
	s_and_saveexec_b64 s[30:31], s[42:43]
	s_cbranch_execnz .LBB878_867
.LBB878_726:
	s_or_b64 exec, exec, s[30:31]
	s_and_saveexec_b64 s[30:31], s[44:45]
	s_cbranch_execnz .LBB878_874
	s_branch .LBB878_881
.LBB878_727:
	v_mul_lo_u32 v31, v19, v6
	v_mul_lo_u32 v66, v18, v7
	v_mad_u64_u32 v[64:65], s[12:13], v18, v6, 0
	v_add3_u32 v65, v65, v66, v31
	v_mul_lo_u32 v31, v13, v6
	v_mul_lo_u32 v68, v12, v7
	v_mad_u64_u32 v[66:67], s[12:13], v12, v6, 0
	v_add3_u32 v67, v67, v68, v31
	v_lshl_add_u64 v[64:65], v[64:65], 2, v[8:9]
	v_lshl_add_u64 v[66:67], v[66:67], 2, v[8:9]
	s_mov_b64 s[50:51], 0
	v_mov_b64_e32 v[68:69], v[6:7]
                                        ; implicit-def: $sgpr48_sgpr49
                                        ; implicit-def: $sgpr52_sgpr53
                                        ; implicit-def: $sgpr56_sgpr57
                                        ; implicit-def: $sgpr54_sgpr55
                                        ; implicit-def: $sgpr58_sgpr59
                                        ; implicit-def: $sgpr60_sgpr61
	s_branch .LBB878_729
.LBB878_728:                            ;   in Loop: Header=BB878_729 Depth=1
	s_or_b64 exec, exec, s[62:63]
	s_and_b64 s[12:13], exec, s[56:57]
	s_or_b64 s[50:51], s[12:13], s[50:51]
	s_andn2_b64 s[12:13], s[60:61], exec
	s_and_b64 s[22:23], s[58:59], exec
	s_or_b64 s[60:61], s[12:13], s[22:23]
	s_andn2_b64 s[12:13], s[52:53], exec
	s_and_b64 s[22:23], s[54:55], exec
	;; [unrolled: 3-line block ×3, first 2 shown]
	s_or_b64 s[48:49], s[12:13], s[18:19]
	s_andn2_b64 exec, exec, s[50:51]
	s_cbranch_execz .LBB878_731
.LBB878_729:                            ; =>This Inner Loop Header: Depth=1
	flat_load_dword v31, v[66:67]
	flat_load_dword v70, v[64:65]
	s_andn2_b64 s[58:59], s[58:59], exec
	s_or_b64 s[54:55], s[54:55], exec
	s_or_b64 s[56:57], s[56:57], exec
	s_waitcnt vmcnt(0) lgkmcnt(0)
	v_cmp_ngt_f32_e64 s[18:19], v31, v70
	v_cmp_lt_f32_e64 s[12:13], v31, v70
	s_and_b64 s[18:19], s[18:19], s[60:61]
	v_cmp_nlg_f32_e64 s[22:23], v31, v70
	s_or_b64 s[18:19], s[12:13], s[18:19]
	s_and_saveexec_b64 s[62:63], s[22:23]
	s_cbranch_execz .LBB878_728
; %bb.730:                              ;   in Loop: Header=BB878_729 Depth=1
	v_lshl_add_u64 v[68:69], v[68:69], 0, -1
	v_cmp_eq_u64_e64 s[12:13], 0, v[68:69]
	s_andn2_b64 s[22:23], s[58:59], exec
	s_and_b64 s[58:59], s[18:19], exec
	s_or_b64 s[58:59], s[22:23], s[58:59]
	s_andn2_b64 s[22:23], s[56:57], exec
	s_and_b64 s[12:13], s[12:13], exec
	v_lshl_add_u64 v[64:65], v[64:65], 0, 4
	v_lshl_add_u64 v[66:67], v[66:67], 0, 4
	s_andn2_b64 s[54:55], s[54:55], exec
	s_or_b64 s[56:57], s[22:23], s[12:13]
                                        ; implicit-def: $sgpr60_sgpr61
	s_branch .LBB878_728
.LBB878_731:
	s_or_b64 exec, exec, s[50:51]
	s_and_saveexec_b64 s[12:13], s[52:53]
	s_xor_b64 s[12:13], exec, s[12:13]
; %bb.732:
	v_cndmask_b32_e64 v65, v19, v13, s[48:49]
	v_cndmask_b32_e64 v64, v18, v12, s[48:49]
	;; [unrolled: 1-line block ×4, first 2 shown]
	v_mov_b64_e32 v[18:19], v[64:65]
; %bb.733:
	s_or_b64 exec, exec, s[12:13]
	s_or_b64 exec, exec, s[46:47]
	s_and_saveexec_b64 s[46:47], s[30:31]
	s_cbranch_execz .LBB878_707
.LBB878_734:
	v_mul_lo_u32 v31, v25, v6
	v_mul_lo_u32 v66, v24, v7
	v_mad_u64_u32 v[64:65], s[12:13], v24, v6, 0
	v_add3_u32 v65, v65, v66, v31
	v_mul_lo_u32 v31, v27, v6
	v_mul_lo_u32 v68, v26, v7
	v_mad_u64_u32 v[66:67], s[12:13], v26, v6, 0
	v_add3_u32 v67, v67, v68, v31
	v_lshl_add_u64 v[64:65], v[64:65], 2, v[8:9]
	v_lshl_add_u64 v[66:67], v[66:67], 2, v[8:9]
	s_mov_b64 s[50:51], 0
	v_mov_b64_e32 v[68:69], v[6:7]
                                        ; implicit-def: $sgpr48_sgpr49
                                        ; implicit-def: $sgpr52_sgpr53
                                        ; implicit-def: $sgpr56_sgpr57
                                        ; implicit-def: $sgpr54_sgpr55
                                        ; implicit-def: $sgpr58_sgpr59
                                        ; implicit-def: $sgpr60_sgpr61
	s_branch .LBB878_736
.LBB878_735:                            ;   in Loop: Header=BB878_736 Depth=1
	s_or_b64 exec, exec, s[62:63]
	s_and_b64 s[12:13], exec, s[56:57]
	s_or_b64 s[50:51], s[12:13], s[50:51]
	s_andn2_b64 s[12:13], s[60:61], exec
	s_and_b64 s[22:23], s[58:59], exec
	s_or_b64 s[60:61], s[12:13], s[22:23]
	s_andn2_b64 s[12:13], s[52:53], exec
	s_and_b64 s[22:23], s[54:55], exec
	s_or_b64 s[52:53], s[12:13], s[22:23]
	s_andn2_b64 s[12:13], s[48:49], exec
	s_and_b64 s[18:19], s[18:19], exec
	s_or_b64 s[48:49], s[12:13], s[18:19]
	s_andn2_b64 exec, exec, s[50:51]
	s_cbranch_execz .LBB878_738
.LBB878_736:                            ; =>This Inner Loop Header: Depth=1
	flat_load_dword v31, v[66:67]
	flat_load_dword v70, v[64:65]
	s_andn2_b64 s[58:59], s[58:59], exec
	s_or_b64 s[54:55], s[54:55], exec
	s_or_b64 s[56:57], s[56:57], exec
	s_waitcnt vmcnt(0) lgkmcnt(0)
	v_cmp_ngt_f32_e64 s[18:19], v31, v70
	v_cmp_lt_f32_e64 s[12:13], v31, v70
	s_and_b64 s[18:19], s[18:19], s[60:61]
	v_cmp_nlg_f32_e64 s[22:23], v31, v70
	s_or_b64 s[18:19], s[12:13], s[18:19]
	s_and_saveexec_b64 s[62:63], s[22:23]
	s_cbranch_execz .LBB878_735
; %bb.737:                              ;   in Loop: Header=BB878_736 Depth=1
	v_lshl_add_u64 v[68:69], v[68:69], 0, -1
	v_cmp_eq_u64_e64 s[12:13], 0, v[68:69]
	s_andn2_b64 s[22:23], s[58:59], exec
	s_and_b64 s[58:59], s[18:19], exec
	s_or_b64 s[58:59], s[22:23], s[58:59]
	s_andn2_b64 s[22:23], s[56:57], exec
	s_and_b64 s[12:13], s[12:13], exec
	v_lshl_add_u64 v[64:65], v[64:65], 0, 4
	v_lshl_add_u64 v[66:67], v[66:67], 0, 4
	s_andn2_b64 s[54:55], s[54:55], exec
	s_or_b64 s[56:57], s[22:23], s[12:13]
                                        ; implicit-def: $sgpr60_sgpr61
	s_branch .LBB878_735
.LBB878_738:
	s_or_b64 exec, exec, s[50:51]
	s_and_saveexec_b64 s[12:13], s[52:53]
	s_xor_b64 s[12:13], exec, s[12:13]
; %bb.739:
	v_cndmask_b32_e64 v65, v27, v25, s[48:49]
	v_cndmask_b32_e64 v64, v26, v24, s[48:49]
	;; [unrolled: 1-line block ×4, first 2 shown]
	v_mov_b64_e32 v[26:27], v[64:65]
; %bb.740:
	s_or_b64 exec, exec, s[12:13]
	s_or_b64 exec, exec, s[46:47]
	s_and_saveexec_b64 s[46:47], s[34:35]
	s_cbranch_execz .LBB878_708
.LBB878_741:
	v_mul_lo_u32 v31, v21, v6
	v_mul_lo_u32 v66, v20, v7
	v_mad_u64_u32 v[64:65], s[12:13], v20, v6, 0
	v_add3_u32 v65, v65, v66, v31
	v_mul_lo_u32 v31, v23, v6
	v_mul_lo_u32 v68, v22, v7
	v_mad_u64_u32 v[66:67], s[12:13], v22, v6, 0
	v_add3_u32 v67, v67, v68, v31
	v_lshl_add_u64 v[64:65], v[64:65], 2, v[8:9]
	v_lshl_add_u64 v[66:67], v[66:67], 2, v[8:9]
	s_mov_b64 s[50:51], 0
	v_mov_b64_e32 v[68:69], v[6:7]
                                        ; implicit-def: $sgpr48_sgpr49
                                        ; implicit-def: $sgpr52_sgpr53
                                        ; implicit-def: $sgpr56_sgpr57
                                        ; implicit-def: $sgpr54_sgpr55
                                        ; implicit-def: $sgpr58_sgpr59
                                        ; implicit-def: $sgpr60_sgpr61
	s_branch .LBB878_743
.LBB878_742:                            ;   in Loop: Header=BB878_743 Depth=1
	s_or_b64 exec, exec, s[62:63]
	s_and_b64 s[12:13], exec, s[56:57]
	s_or_b64 s[50:51], s[12:13], s[50:51]
	s_andn2_b64 s[12:13], s[60:61], exec
	s_and_b64 s[22:23], s[58:59], exec
	s_or_b64 s[60:61], s[12:13], s[22:23]
	s_andn2_b64 s[12:13], s[52:53], exec
	s_and_b64 s[22:23], s[54:55], exec
	;; [unrolled: 3-line block ×3, first 2 shown]
	s_or_b64 s[48:49], s[12:13], s[18:19]
	s_andn2_b64 exec, exec, s[50:51]
	s_cbranch_execz .LBB878_745
.LBB878_743:                            ; =>This Inner Loop Header: Depth=1
	flat_load_dword v31, v[66:67]
	flat_load_dword v70, v[64:65]
	s_andn2_b64 s[58:59], s[58:59], exec
	s_or_b64 s[54:55], s[54:55], exec
	s_or_b64 s[56:57], s[56:57], exec
	s_waitcnt vmcnt(0) lgkmcnt(0)
	v_cmp_ngt_f32_e64 s[18:19], v31, v70
	v_cmp_lt_f32_e64 s[12:13], v31, v70
	s_and_b64 s[18:19], s[18:19], s[60:61]
	v_cmp_nlg_f32_e64 s[22:23], v31, v70
	s_or_b64 s[18:19], s[12:13], s[18:19]
	s_and_saveexec_b64 s[62:63], s[22:23]
	s_cbranch_execz .LBB878_742
; %bb.744:                              ;   in Loop: Header=BB878_743 Depth=1
	v_lshl_add_u64 v[68:69], v[68:69], 0, -1
	v_cmp_eq_u64_e64 s[12:13], 0, v[68:69]
	s_andn2_b64 s[22:23], s[58:59], exec
	s_and_b64 s[58:59], s[18:19], exec
	s_or_b64 s[58:59], s[22:23], s[58:59]
	s_andn2_b64 s[22:23], s[56:57], exec
	s_and_b64 s[12:13], s[12:13], exec
	v_lshl_add_u64 v[64:65], v[64:65], 0, 4
	v_lshl_add_u64 v[66:67], v[66:67], 0, 4
	s_andn2_b64 s[54:55], s[54:55], exec
	s_or_b64 s[56:57], s[22:23], s[12:13]
                                        ; implicit-def: $sgpr60_sgpr61
	s_branch .LBB878_742
.LBB878_745:
	s_or_b64 exec, exec, s[50:51]
	s_and_saveexec_b64 s[12:13], s[52:53]
	s_xor_b64 s[12:13], exec, s[12:13]
; %bb.746:
	v_cndmask_b32_e64 v65, v21, v23, s[48:49]
	v_cndmask_b32_e64 v64, v20, v22, s[48:49]
	;; [unrolled: 1-line block ×4, first 2 shown]
	v_mov_b64_e32 v[20:21], v[64:65]
; %bb.747:
	s_or_b64 exec, exec, s[12:13]
	s_or_b64 exec, exec, s[46:47]
	s_and_saveexec_b64 s[46:47], s[36:37]
	s_cbranch_execz .LBB878_709
.LBB878_748:
	v_mul_lo_u32 v31, v17, v6
	v_mul_lo_u32 v66, v16, v7
	v_mad_u64_u32 v[64:65], s[12:13], v16, v6, 0
	v_add3_u32 v65, v65, v66, v31
	v_mul_lo_u32 v31, v19, v6
	v_mul_lo_u32 v68, v18, v7
	v_mad_u64_u32 v[66:67], s[12:13], v18, v6, 0
	v_add3_u32 v67, v67, v68, v31
	v_lshl_add_u64 v[64:65], v[64:65], 2, v[8:9]
	v_lshl_add_u64 v[66:67], v[66:67], 2, v[8:9]
	s_mov_b64 s[50:51], 0
	v_mov_b64_e32 v[68:69], v[6:7]
                                        ; implicit-def: $sgpr48_sgpr49
                                        ; implicit-def: $sgpr52_sgpr53
                                        ; implicit-def: $sgpr56_sgpr57
                                        ; implicit-def: $sgpr54_sgpr55
                                        ; implicit-def: $sgpr58_sgpr59
                                        ; implicit-def: $sgpr60_sgpr61
	s_branch .LBB878_750
.LBB878_749:                            ;   in Loop: Header=BB878_750 Depth=1
	s_or_b64 exec, exec, s[62:63]
	s_and_b64 s[12:13], exec, s[56:57]
	s_or_b64 s[50:51], s[12:13], s[50:51]
	s_andn2_b64 s[12:13], s[60:61], exec
	s_and_b64 s[22:23], s[58:59], exec
	s_or_b64 s[60:61], s[12:13], s[22:23]
	s_andn2_b64 s[12:13], s[52:53], exec
	s_and_b64 s[22:23], s[54:55], exec
	;; [unrolled: 3-line block ×3, first 2 shown]
	s_or_b64 s[48:49], s[12:13], s[18:19]
	s_andn2_b64 exec, exec, s[50:51]
	s_cbranch_execz .LBB878_752
.LBB878_750:                            ; =>This Inner Loop Header: Depth=1
	flat_load_dword v31, v[66:67]
	flat_load_dword v70, v[64:65]
	s_andn2_b64 s[58:59], s[58:59], exec
	s_or_b64 s[54:55], s[54:55], exec
	s_or_b64 s[56:57], s[56:57], exec
	s_waitcnt vmcnt(0) lgkmcnt(0)
	v_cmp_ngt_f32_e64 s[18:19], v31, v70
	v_cmp_lt_f32_e64 s[12:13], v31, v70
	s_and_b64 s[18:19], s[18:19], s[60:61]
	v_cmp_nlg_f32_e64 s[22:23], v31, v70
	s_or_b64 s[18:19], s[12:13], s[18:19]
	s_and_saveexec_b64 s[62:63], s[22:23]
	s_cbranch_execz .LBB878_749
; %bb.751:                              ;   in Loop: Header=BB878_750 Depth=1
	v_lshl_add_u64 v[68:69], v[68:69], 0, -1
	v_cmp_eq_u64_e64 s[12:13], 0, v[68:69]
	s_andn2_b64 s[22:23], s[58:59], exec
	s_and_b64 s[58:59], s[18:19], exec
	s_or_b64 s[58:59], s[22:23], s[58:59]
	s_andn2_b64 s[22:23], s[56:57], exec
	s_and_b64 s[12:13], s[12:13], exec
	v_lshl_add_u64 v[64:65], v[64:65], 0, 4
	v_lshl_add_u64 v[66:67], v[66:67], 0, 4
	s_andn2_b64 s[54:55], s[54:55], exec
	s_or_b64 s[56:57], s[22:23], s[12:13]
                                        ; implicit-def: $sgpr60_sgpr61
	s_branch .LBB878_749
.LBB878_752:
	s_or_b64 exec, exec, s[50:51]
	s_and_saveexec_b64 s[12:13], s[52:53]
	s_xor_b64 s[12:13], exec, s[12:13]
; %bb.753:
	v_cndmask_b32_e64 v65, v17, v19, s[48:49]
	v_cndmask_b32_e64 v64, v16, v18, s[48:49]
	;; [unrolled: 1-line block ×4, first 2 shown]
	v_mov_b64_e32 v[16:17], v[64:65]
; %bb.754:
	s_or_b64 exec, exec, s[12:13]
	s_or_b64 exec, exec, s[46:47]
	s_and_saveexec_b64 s[46:47], s[38:39]
	s_cbranch_execz .LBB878_710
.LBB878_755:
	v_mul_lo_u32 v31, v13, v6
	v_mul_lo_u32 v66, v12, v7
	v_mad_u64_u32 v[64:65], s[12:13], v12, v6, 0
	v_add3_u32 v65, v65, v66, v31
	v_mul_lo_u32 v31, v15, v6
	v_mul_lo_u32 v68, v14, v7
	v_mad_u64_u32 v[66:67], s[12:13], v14, v6, 0
	v_add3_u32 v67, v67, v68, v31
	v_lshl_add_u64 v[64:65], v[64:65], 2, v[8:9]
	v_lshl_add_u64 v[66:67], v[66:67], 2, v[8:9]
	s_mov_b64 s[50:51], 0
	v_mov_b64_e32 v[68:69], v[6:7]
                                        ; implicit-def: $sgpr48_sgpr49
                                        ; implicit-def: $sgpr52_sgpr53
                                        ; implicit-def: $sgpr56_sgpr57
                                        ; implicit-def: $sgpr54_sgpr55
                                        ; implicit-def: $sgpr58_sgpr59
                                        ; implicit-def: $sgpr60_sgpr61
	s_branch .LBB878_757
.LBB878_756:                            ;   in Loop: Header=BB878_757 Depth=1
	s_or_b64 exec, exec, s[62:63]
	s_and_b64 s[12:13], exec, s[56:57]
	s_or_b64 s[50:51], s[12:13], s[50:51]
	s_andn2_b64 s[12:13], s[60:61], exec
	s_and_b64 s[22:23], s[58:59], exec
	s_or_b64 s[60:61], s[12:13], s[22:23]
	s_andn2_b64 s[12:13], s[52:53], exec
	s_and_b64 s[22:23], s[54:55], exec
	;; [unrolled: 3-line block ×3, first 2 shown]
	s_or_b64 s[48:49], s[12:13], s[18:19]
	s_andn2_b64 exec, exec, s[50:51]
	s_cbranch_execz .LBB878_759
.LBB878_757:                            ; =>This Inner Loop Header: Depth=1
	flat_load_dword v31, v[66:67]
	flat_load_dword v70, v[64:65]
	s_andn2_b64 s[58:59], s[58:59], exec
	s_or_b64 s[54:55], s[54:55], exec
	s_or_b64 s[56:57], s[56:57], exec
	s_waitcnt vmcnt(0) lgkmcnt(0)
	v_cmp_ngt_f32_e64 s[18:19], v31, v70
	v_cmp_lt_f32_e64 s[12:13], v31, v70
	s_and_b64 s[18:19], s[18:19], s[60:61]
	v_cmp_nlg_f32_e64 s[22:23], v31, v70
	s_or_b64 s[18:19], s[12:13], s[18:19]
	s_and_saveexec_b64 s[62:63], s[22:23]
	s_cbranch_execz .LBB878_756
; %bb.758:                              ;   in Loop: Header=BB878_757 Depth=1
	v_lshl_add_u64 v[68:69], v[68:69], 0, -1
	v_cmp_eq_u64_e64 s[12:13], 0, v[68:69]
	s_andn2_b64 s[22:23], s[58:59], exec
	s_and_b64 s[58:59], s[18:19], exec
	s_or_b64 s[58:59], s[22:23], s[58:59]
	s_andn2_b64 s[22:23], s[56:57], exec
	s_and_b64 s[12:13], s[12:13], exec
	v_lshl_add_u64 v[64:65], v[64:65], 0, 4
	v_lshl_add_u64 v[66:67], v[66:67], 0, 4
	s_andn2_b64 s[54:55], s[54:55], exec
	s_or_b64 s[56:57], s[22:23], s[12:13]
                                        ; implicit-def: $sgpr60_sgpr61
	s_branch .LBB878_756
.LBB878_759:
	s_or_b64 exec, exec, s[50:51]
	s_and_saveexec_b64 s[12:13], s[52:53]
	s_xor_b64 s[12:13], exec, s[12:13]
; %bb.760:
	v_cndmask_b32_e64 v65, v13, v15, s[48:49]
	v_cndmask_b32_e64 v64, v12, v14, s[48:49]
	;; [unrolled: 1-line block ×4, first 2 shown]
	v_mov_b64_e32 v[12:13], v[64:65]
; %bb.761:
	s_or_b64 exec, exec, s[12:13]
	s_or_b64 exec, exec, s[46:47]
	s_and_saveexec_b64 s[46:47], s[40:41]
	s_cbranch_execz .LBB878_711
.LBB878_762:
	v_mul_lo_u32 v31, v27, v6
	v_mul_lo_u32 v66, v26, v7
	v_mad_u64_u32 v[64:65], s[12:13], v26, v6, 0
	v_add3_u32 v65, v65, v66, v31
	v_mul_lo_u32 v31, v21, v6
	v_mul_lo_u32 v68, v20, v7
	v_mad_u64_u32 v[66:67], s[12:13], v20, v6, 0
	v_add3_u32 v67, v67, v68, v31
	v_lshl_add_u64 v[64:65], v[64:65], 2, v[8:9]
	v_lshl_add_u64 v[66:67], v[66:67], 2, v[8:9]
	s_mov_b64 s[50:51], 0
	v_mov_b64_e32 v[68:69], v[6:7]
                                        ; implicit-def: $sgpr48_sgpr49
                                        ; implicit-def: $sgpr52_sgpr53
                                        ; implicit-def: $sgpr56_sgpr57
                                        ; implicit-def: $sgpr54_sgpr55
                                        ; implicit-def: $sgpr58_sgpr59
                                        ; implicit-def: $sgpr60_sgpr61
	s_branch .LBB878_764
.LBB878_763:                            ;   in Loop: Header=BB878_764 Depth=1
	s_or_b64 exec, exec, s[62:63]
	s_and_b64 s[12:13], exec, s[56:57]
	s_or_b64 s[50:51], s[12:13], s[50:51]
	s_andn2_b64 s[12:13], s[60:61], exec
	s_and_b64 s[22:23], s[58:59], exec
	s_or_b64 s[60:61], s[12:13], s[22:23]
	s_andn2_b64 s[12:13], s[52:53], exec
	s_and_b64 s[22:23], s[54:55], exec
	;; [unrolled: 3-line block ×3, first 2 shown]
	s_or_b64 s[48:49], s[12:13], s[18:19]
	s_andn2_b64 exec, exec, s[50:51]
	s_cbranch_execz .LBB878_766
.LBB878_764:                            ; =>This Inner Loop Header: Depth=1
	flat_load_dword v31, v[66:67]
	flat_load_dword v70, v[64:65]
	s_andn2_b64 s[58:59], s[58:59], exec
	s_or_b64 s[54:55], s[54:55], exec
	s_or_b64 s[56:57], s[56:57], exec
	s_waitcnt vmcnt(0) lgkmcnt(0)
	v_cmp_ngt_f32_e64 s[18:19], v31, v70
	v_cmp_lt_f32_e64 s[12:13], v31, v70
	s_and_b64 s[18:19], s[18:19], s[60:61]
	v_cmp_nlg_f32_e64 s[22:23], v31, v70
	s_or_b64 s[18:19], s[12:13], s[18:19]
	s_and_saveexec_b64 s[62:63], s[22:23]
	s_cbranch_execz .LBB878_763
; %bb.765:                              ;   in Loop: Header=BB878_764 Depth=1
	v_lshl_add_u64 v[68:69], v[68:69], 0, -1
	v_cmp_eq_u64_e64 s[12:13], 0, v[68:69]
	s_andn2_b64 s[22:23], s[58:59], exec
	s_and_b64 s[58:59], s[18:19], exec
	s_or_b64 s[58:59], s[22:23], s[58:59]
	s_andn2_b64 s[22:23], s[56:57], exec
	s_and_b64 s[12:13], s[12:13], exec
	v_lshl_add_u64 v[64:65], v[64:65], 0, 4
	v_lshl_add_u64 v[66:67], v[66:67], 0, 4
	s_andn2_b64 s[54:55], s[54:55], exec
	s_or_b64 s[56:57], s[22:23], s[12:13]
                                        ; implicit-def: $sgpr60_sgpr61
	s_branch .LBB878_763
.LBB878_766:
	s_or_b64 exec, exec, s[50:51]
	s_and_saveexec_b64 s[12:13], s[52:53]
	s_xor_b64 s[12:13], exec, s[12:13]
; %bb.767:
	v_cndmask_b32_e64 v65, v27, v21, s[48:49]
	v_cndmask_b32_e64 v64, v26, v20, s[48:49]
	;; [unrolled: 1-line block ×4, first 2 shown]
	v_mov_b64_e32 v[26:27], v[64:65]
; %bb.768:
	s_or_b64 exec, exec, s[12:13]
	s_or_b64 exec, exec, s[46:47]
	s_and_saveexec_b64 s[46:47], s[42:43]
	s_cbranch_execz .LBB878_712
.LBB878_769:
	v_mul_lo_u32 v31, v23, v6
	v_mul_lo_u32 v66, v22, v7
	v_mad_u64_u32 v[64:65], s[12:13], v22, v6, 0
	v_add3_u32 v65, v65, v66, v31
	v_mul_lo_u32 v31, v17, v6
	v_mul_lo_u32 v68, v16, v7
	v_mad_u64_u32 v[66:67], s[12:13], v16, v6, 0
	v_add3_u32 v67, v67, v68, v31
	v_lshl_add_u64 v[64:65], v[64:65], 2, v[8:9]
	v_lshl_add_u64 v[66:67], v[66:67], 2, v[8:9]
	s_mov_b64 s[50:51], 0
	v_mov_b64_e32 v[68:69], v[6:7]
                                        ; implicit-def: $sgpr48_sgpr49
                                        ; implicit-def: $sgpr52_sgpr53
                                        ; implicit-def: $sgpr56_sgpr57
                                        ; implicit-def: $sgpr54_sgpr55
                                        ; implicit-def: $sgpr58_sgpr59
                                        ; implicit-def: $sgpr60_sgpr61
	s_branch .LBB878_771
.LBB878_770:                            ;   in Loop: Header=BB878_771 Depth=1
	s_or_b64 exec, exec, s[62:63]
	s_and_b64 s[12:13], exec, s[56:57]
	s_or_b64 s[50:51], s[12:13], s[50:51]
	s_andn2_b64 s[12:13], s[60:61], exec
	s_and_b64 s[22:23], s[58:59], exec
	s_or_b64 s[60:61], s[12:13], s[22:23]
	s_andn2_b64 s[12:13], s[52:53], exec
	s_and_b64 s[22:23], s[54:55], exec
	;; [unrolled: 3-line block ×3, first 2 shown]
	s_or_b64 s[48:49], s[12:13], s[18:19]
	s_andn2_b64 exec, exec, s[50:51]
	s_cbranch_execz .LBB878_773
.LBB878_771:                            ; =>This Inner Loop Header: Depth=1
	flat_load_dword v31, v[66:67]
	flat_load_dword v70, v[64:65]
	s_andn2_b64 s[58:59], s[58:59], exec
	s_or_b64 s[54:55], s[54:55], exec
	s_or_b64 s[56:57], s[56:57], exec
	s_waitcnt vmcnt(0) lgkmcnt(0)
	v_cmp_ngt_f32_e64 s[18:19], v31, v70
	v_cmp_lt_f32_e64 s[12:13], v31, v70
	s_and_b64 s[18:19], s[18:19], s[60:61]
	v_cmp_nlg_f32_e64 s[22:23], v31, v70
	s_or_b64 s[18:19], s[12:13], s[18:19]
	s_and_saveexec_b64 s[62:63], s[22:23]
	s_cbranch_execz .LBB878_770
; %bb.772:                              ;   in Loop: Header=BB878_771 Depth=1
	v_lshl_add_u64 v[68:69], v[68:69], 0, -1
	v_cmp_eq_u64_e64 s[12:13], 0, v[68:69]
	s_andn2_b64 s[22:23], s[58:59], exec
	s_and_b64 s[58:59], s[18:19], exec
	s_or_b64 s[58:59], s[22:23], s[58:59]
	s_andn2_b64 s[22:23], s[56:57], exec
	s_and_b64 s[12:13], s[12:13], exec
	v_lshl_add_u64 v[64:65], v[64:65], 0, 4
	v_lshl_add_u64 v[66:67], v[66:67], 0, 4
	s_andn2_b64 s[54:55], s[54:55], exec
	s_or_b64 s[56:57], s[22:23], s[12:13]
                                        ; implicit-def: $sgpr60_sgpr61
	s_branch .LBB878_770
.LBB878_773:
	s_or_b64 exec, exec, s[50:51]
	s_and_saveexec_b64 s[12:13], s[52:53]
	s_xor_b64 s[12:13], exec, s[12:13]
; %bb.774:
	v_cndmask_b32_e64 v65, v23, v17, s[48:49]
	v_cndmask_b32_e64 v64, v22, v16, s[48:49]
	;; [unrolled: 1-line block ×4, first 2 shown]
	v_mov_b64_e32 v[22:23], v[64:65]
; %bb.775:
	s_or_b64 exec, exec, s[12:13]
	s_or_b64 exec, exec, s[46:47]
	s_and_saveexec_b64 s[46:47], s[44:45]
	s_cbranch_execz .LBB878_713
.LBB878_776:
	v_mul_lo_u32 v31, v19, v6
	v_mul_lo_u32 v66, v18, v7
	v_mad_u64_u32 v[64:65], s[12:13], v18, v6, 0
	v_add3_u32 v65, v65, v66, v31
	v_mul_lo_u32 v31, v13, v6
	v_mul_lo_u32 v68, v12, v7
	v_mad_u64_u32 v[66:67], s[12:13], v12, v6, 0
	v_add3_u32 v67, v67, v68, v31
	v_lshl_add_u64 v[64:65], v[64:65], 2, v[8:9]
	v_lshl_add_u64 v[66:67], v[66:67], 2, v[8:9]
	s_mov_b64 s[50:51], 0
	v_mov_b64_e32 v[68:69], v[6:7]
                                        ; implicit-def: $sgpr48_sgpr49
                                        ; implicit-def: $sgpr52_sgpr53
                                        ; implicit-def: $sgpr56_sgpr57
                                        ; implicit-def: $sgpr54_sgpr55
                                        ; implicit-def: $sgpr58_sgpr59
                                        ; implicit-def: $sgpr60_sgpr61
	s_branch .LBB878_778
.LBB878_777:                            ;   in Loop: Header=BB878_778 Depth=1
	s_or_b64 exec, exec, s[62:63]
	s_and_b64 s[12:13], exec, s[56:57]
	s_or_b64 s[50:51], s[12:13], s[50:51]
	s_andn2_b64 s[12:13], s[60:61], exec
	s_and_b64 s[22:23], s[58:59], exec
	s_or_b64 s[60:61], s[12:13], s[22:23]
	s_andn2_b64 s[12:13], s[52:53], exec
	s_and_b64 s[22:23], s[54:55], exec
	;; [unrolled: 3-line block ×3, first 2 shown]
	s_or_b64 s[48:49], s[12:13], s[18:19]
	s_andn2_b64 exec, exec, s[50:51]
	s_cbranch_execz .LBB878_780
.LBB878_778:                            ; =>This Inner Loop Header: Depth=1
	flat_load_dword v31, v[66:67]
	flat_load_dword v70, v[64:65]
	s_andn2_b64 s[58:59], s[58:59], exec
	s_or_b64 s[54:55], s[54:55], exec
	s_or_b64 s[56:57], s[56:57], exec
	s_waitcnt vmcnt(0) lgkmcnt(0)
	v_cmp_ngt_f32_e64 s[18:19], v31, v70
	v_cmp_lt_f32_e64 s[12:13], v31, v70
	s_and_b64 s[18:19], s[18:19], s[60:61]
	v_cmp_nlg_f32_e64 s[22:23], v31, v70
	s_or_b64 s[18:19], s[12:13], s[18:19]
	s_and_saveexec_b64 s[62:63], s[22:23]
	s_cbranch_execz .LBB878_777
; %bb.779:                              ;   in Loop: Header=BB878_778 Depth=1
	v_lshl_add_u64 v[68:69], v[68:69], 0, -1
	v_cmp_eq_u64_e64 s[12:13], 0, v[68:69]
	s_andn2_b64 s[22:23], s[58:59], exec
	s_and_b64 s[58:59], s[18:19], exec
	s_or_b64 s[58:59], s[22:23], s[58:59]
	s_andn2_b64 s[22:23], s[56:57], exec
	s_and_b64 s[12:13], s[12:13], exec
	v_lshl_add_u64 v[64:65], v[64:65], 0, 4
	v_lshl_add_u64 v[66:67], v[66:67], 0, 4
	s_andn2_b64 s[54:55], s[54:55], exec
	s_or_b64 s[56:57], s[22:23], s[12:13]
                                        ; implicit-def: $sgpr60_sgpr61
	s_branch .LBB878_777
.LBB878_780:
	s_or_b64 exec, exec, s[50:51]
	s_and_saveexec_b64 s[12:13], s[52:53]
	s_xor_b64 s[12:13], exec, s[12:13]
; %bb.781:
	v_cndmask_b32_e64 v65, v19, v13, s[48:49]
	v_cndmask_b32_e64 v64, v18, v12, s[48:49]
	;; [unrolled: 1-line block ×4, first 2 shown]
	v_mov_b64_e32 v[18:19], v[64:65]
; %bb.782:
	s_or_b64 exec, exec, s[12:13]
	s_or_b64 exec, exec, s[46:47]
	s_and_saveexec_b64 s[46:47], s[30:31]
	s_cbranch_execz .LBB878_714
.LBB878_783:
	v_mul_lo_u32 v31, v25, v6
	v_mul_lo_u32 v66, v24, v7
	v_mad_u64_u32 v[64:65], s[12:13], v24, v6, 0
	v_add3_u32 v65, v65, v66, v31
	v_mul_lo_u32 v31, v27, v6
	v_mul_lo_u32 v68, v26, v7
	v_mad_u64_u32 v[66:67], s[12:13], v26, v6, 0
	v_add3_u32 v67, v67, v68, v31
	v_lshl_add_u64 v[64:65], v[64:65], 2, v[8:9]
	v_lshl_add_u64 v[66:67], v[66:67], 2, v[8:9]
	s_mov_b64 s[50:51], 0
	v_mov_b64_e32 v[68:69], v[6:7]
                                        ; implicit-def: $sgpr48_sgpr49
                                        ; implicit-def: $sgpr52_sgpr53
                                        ; implicit-def: $sgpr56_sgpr57
                                        ; implicit-def: $sgpr54_sgpr55
                                        ; implicit-def: $sgpr58_sgpr59
                                        ; implicit-def: $sgpr60_sgpr61
	s_branch .LBB878_785
.LBB878_784:                            ;   in Loop: Header=BB878_785 Depth=1
	s_or_b64 exec, exec, s[62:63]
	s_and_b64 s[12:13], exec, s[56:57]
	s_or_b64 s[50:51], s[12:13], s[50:51]
	s_andn2_b64 s[12:13], s[60:61], exec
	s_and_b64 s[22:23], s[58:59], exec
	s_or_b64 s[60:61], s[12:13], s[22:23]
	s_andn2_b64 s[12:13], s[52:53], exec
	s_and_b64 s[22:23], s[54:55], exec
	;; [unrolled: 3-line block ×3, first 2 shown]
	s_or_b64 s[48:49], s[12:13], s[18:19]
	s_andn2_b64 exec, exec, s[50:51]
	s_cbranch_execz .LBB878_787
.LBB878_785:                            ; =>This Inner Loop Header: Depth=1
	flat_load_dword v31, v[66:67]
	flat_load_dword v70, v[64:65]
	s_andn2_b64 s[58:59], s[58:59], exec
	s_or_b64 s[54:55], s[54:55], exec
	s_or_b64 s[56:57], s[56:57], exec
	s_waitcnt vmcnt(0) lgkmcnt(0)
	v_cmp_ngt_f32_e64 s[18:19], v31, v70
	v_cmp_lt_f32_e64 s[12:13], v31, v70
	s_and_b64 s[18:19], s[18:19], s[60:61]
	v_cmp_nlg_f32_e64 s[22:23], v31, v70
	s_or_b64 s[18:19], s[12:13], s[18:19]
	s_and_saveexec_b64 s[62:63], s[22:23]
	s_cbranch_execz .LBB878_784
; %bb.786:                              ;   in Loop: Header=BB878_785 Depth=1
	v_lshl_add_u64 v[68:69], v[68:69], 0, -1
	v_cmp_eq_u64_e64 s[12:13], 0, v[68:69]
	s_andn2_b64 s[22:23], s[58:59], exec
	s_and_b64 s[58:59], s[18:19], exec
	s_or_b64 s[58:59], s[22:23], s[58:59]
	s_andn2_b64 s[22:23], s[56:57], exec
	s_and_b64 s[12:13], s[12:13], exec
	v_lshl_add_u64 v[64:65], v[64:65], 0, 4
	v_lshl_add_u64 v[66:67], v[66:67], 0, 4
	s_andn2_b64 s[54:55], s[54:55], exec
	s_or_b64 s[56:57], s[22:23], s[12:13]
                                        ; implicit-def: $sgpr60_sgpr61
	s_branch .LBB878_784
.LBB878_787:
	s_or_b64 exec, exec, s[50:51]
	s_and_saveexec_b64 s[12:13], s[52:53]
	s_xor_b64 s[12:13], exec, s[12:13]
; %bb.788:
	v_cndmask_b32_e64 v65, v27, v25, s[48:49]
	v_cndmask_b32_e64 v64, v26, v24, s[48:49]
	;; [unrolled: 1-line block ×4, first 2 shown]
	v_mov_b64_e32 v[26:27], v[64:65]
; %bb.789:
	s_or_b64 exec, exec, s[12:13]
	s_or_b64 exec, exec, s[46:47]
	s_and_saveexec_b64 s[46:47], s[34:35]
	s_cbranch_execz .LBB878_715
.LBB878_790:
	v_mul_lo_u32 v31, v21, v6
	v_mul_lo_u32 v66, v20, v7
	v_mad_u64_u32 v[64:65], s[12:13], v20, v6, 0
	v_add3_u32 v65, v65, v66, v31
	v_mul_lo_u32 v31, v23, v6
	v_mul_lo_u32 v68, v22, v7
	v_mad_u64_u32 v[66:67], s[12:13], v22, v6, 0
	v_add3_u32 v67, v67, v68, v31
	v_lshl_add_u64 v[64:65], v[64:65], 2, v[8:9]
	v_lshl_add_u64 v[66:67], v[66:67], 2, v[8:9]
	s_mov_b64 s[50:51], 0
	v_mov_b64_e32 v[68:69], v[6:7]
                                        ; implicit-def: $sgpr48_sgpr49
                                        ; implicit-def: $sgpr52_sgpr53
                                        ; implicit-def: $sgpr56_sgpr57
                                        ; implicit-def: $sgpr54_sgpr55
                                        ; implicit-def: $sgpr58_sgpr59
                                        ; implicit-def: $sgpr60_sgpr61
	s_branch .LBB878_792
.LBB878_791:                            ;   in Loop: Header=BB878_792 Depth=1
	s_or_b64 exec, exec, s[62:63]
	s_and_b64 s[12:13], exec, s[56:57]
	s_or_b64 s[50:51], s[12:13], s[50:51]
	s_andn2_b64 s[12:13], s[60:61], exec
	s_and_b64 s[22:23], s[58:59], exec
	s_or_b64 s[60:61], s[12:13], s[22:23]
	s_andn2_b64 s[12:13], s[52:53], exec
	s_and_b64 s[22:23], s[54:55], exec
	;; [unrolled: 3-line block ×3, first 2 shown]
	s_or_b64 s[48:49], s[12:13], s[18:19]
	s_andn2_b64 exec, exec, s[50:51]
	s_cbranch_execz .LBB878_794
.LBB878_792:                            ; =>This Inner Loop Header: Depth=1
	flat_load_dword v31, v[66:67]
	flat_load_dword v70, v[64:65]
	s_andn2_b64 s[58:59], s[58:59], exec
	s_or_b64 s[54:55], s[54:55], exec
	s_or_b64 s[56:57], s[56:57], exec
	s_waitcnt vmcnt(0) lgkmcnt(0)
	v_cmp_ngt_f32_e64 s[18:19], v31, v70
	v_cmp_lt_f32_e64 s[12:13], v31, v70
	s_and_b64 s[18:19], s[18:19], s[60:61]
	v_cmp_nlg_f32_e64 s[22:23], v31, v70
	s_or_b64 s[18:19], s[12:13], s[18:19]
	s_and_saveexec_b64 s[62:63], s[22:23]
	s_cbranch_execz .LBB878_791
; %bb.793:                              ;   in Loop: Header=BB878_792 Depth=1
	v_lshl_add_u64 v[68:69], v[68:69], 0, -1
	v_cmp_eq_u64_e64 s[12:13], 0, v[68:69]
	s_andn2_b64 s[22:23], s[58:59], exec
	s_and_b64 s[58:59], s[18:19], exec
	s_or_b64 s[58:59], s[22:23], s[58:59]
	s_andn2_b64 s[22:23], s[56:57], exec
	s_and_b64 s[12:13], s[12:13], exec
	v_lshl_add_u64 v[64:65], v[64:65], 0, 4
	v_lshl_add_u64 v[66:67], v[66:67], 0, 4
	s_andn2_b64 s[54:55], s[54:55], exec
	s_or_b64 s[56:57], s[22:23], s[12:13]
                                        ; implicit-def: $sgpr60_sgpr61
	s_branch .LBB878_791
.LBB878_794:
	s_or_b64 exec, exec, s[50:51]
	s_and_saveexec_b64 s[12:13], s[52:53]
	s_xor_b64 s[12:13], exec, s[12:13]
; %bb.795:
	v_cndmask_b32_e64 v65, v21, v23, s[48:49]
	v_cndmask_b32_e64 v64, v20, v22, s[48:49]
	;; [unrolled: 1-line block ×4, first 2 shown]
	v_mov_b64_e32 v[20:21], v[64:65]
; %bb.796:
	s_or_b64 exec, exec, s[12:13]
	s_or_b64 exec, exec, s[46:47]
	s_and_saveexec_b64 s[46:47], s[36:37]
	s_cbranch_execz .LBB878_716
.LBB878_797:
	v_mul_lo_u32 v31, v17, v6
	v_mul_lo_u32 v66, v16, v7
	v_mad_u64_u32 v[64:65], s[12:13], v16, v6, 0
	v_add3_u32 v65, v65, v66, v31
	v_mul_lo_u32 v31, v19, v6
	v_mul_lo_u32 v68, v18, v7
	v_mad_u64_u32 v[66:67], s[12:13], v18, v6, 0
	v_add3_u32 v67, v67, v68, v31
	v_lshl_add_u64 v[64:65], v[64:65], 2, v[8:9]
	v_lshl_add_u64 v[66:67], v[66:67], 2, v[8:9]
	s_mov_b64 s[50:51], 0
	v_mov_b64_e32 v[68:69], v[6:7]
                                        ; implicit-def: $sgpr48_sgpr49
                                        ; implicit-def: $sgpr52_sgpr53
                                        ; implicit-def: $sgpr56_sgpr57
                                        ; implicit-def: $sgpr54_sgpr55
                                        ; implicit-def: $sgpr58_sgpr59
                                        ; implicit-def: $sgpr60_sgpr61
	s_branch .LBB878_799
.LBB878_798:                            ;   in Loop: Header=BB878_799 Depth=1
	s_or_b64 exec, exec, s[62:63]
	s_and_b64 s[12:13], exec, s[56:57]
	s_or_b64 s[50:51], s[12:13], s[50:51]
	s_andn2_b64 s[12:13], s[60:61], exec
	s_and_b64 s[22:23], s[58:59], exec
	s_or_b64 s[60:61], s[12:13], s[22:23]
	s_andn2_b64 s[12:13], s[52:53], exec
	s_and_b64 s[22:23], s[54:55], exec
	;; [unrolled: 3-line block ×3, first 2 shown]
	s_or_b64 s[48:49], s[12:13], s[18:19]
	s_andn2_b64 exec, exec, s[50:51]
	s_cbranch_execz .LBB878_801
.LBB878_799:                            ; =>This Inner Loop Header: Depth=1
	flat_load_dword v31, v[66:67]
	flat_load_dword v70, v[64:65]
	s_andn2_b64 s[58:59], s[58:59], exec
	s_or_b64 s[54:55], s[54:55], exec
	s_or_b64 s[56:57], s[56:57], exec
	s_waitcnt vmcnt(0) lgkmcnt(0)
	v_cmp_ngt_f32_e64 s[18:19], v31, v70
	v_cmp_lt_f32_e64 s[12:13], v31, v70
	s_and_b64 s[18:19], s[18:19], s[60:61]
	v_cmp_nlg_f32_e64 s[22:23], v31, v70
	s_or_b64 s[18:19], s[12:13], s[18:19]
	s_and_saveexec_b64 s[62:63], s[22:23]
	s_cbranch_execz .LBB878_798
; %bb.800:                              ;   in Loop: Header=BB878_799 Depth=1
	v_lshl_add_u64 v[68:69], v[68:69], 0, -1
	v_cmp_eq_u64_e64 s[12:13], 0, v[68:69]
	s_andn2_b64 s[22:23], s[58:59], exec
	s_and_b64 s[58:59], s[18:19], exec
	s_or_b64 s[58:59], s[22:23], s[58:59]
	s_andn2_b64 s[22:23], s[56:57], exec
	s_and_b64 s[12:13], s[12:13], exec
	v_lshl_add_u64 v[64:65], v[64:65], 0, 4
	v_lshl_add_u64 v[66:67], v[66:67], 0, 4
	s_andn2_b64 s[54:55], s[54:55], exec
	s_or_b64 s[56:57], s[22:23], s[12:13]
                                        ; implicit-def: $sgpr60_sgpr61
	s_branch .LBB878_798
.LBB878_801:
	s_or_b64 exec, exec, s[50:51]
	s_and_saveexec_b64 s[12:13], s[52:53]
	s_xor_b64 s[12:13], exec, s[12:13]
; %bb.802:
	v_cndmask_b32_e64 v65, v17, v19, s[48:49]
	v_cndmask_b32_e64 v64, v16, v18, s[48:49]
	;; [unrolled: 1-line block ×4, first 2 shown]
	v_mov_b64_e32 v[16:17], v[64:65]
; %bb.803:
	s_or_b64 exec, exec, s[12:13]
	s_or_b64 exec, exec, s[46:47]
	s_and_saveexec_b64 s[46:47], s[38:39]
	s_cbranch_execz .LBB878_717
.LBB878_804:
	v_mul_lo_u32 v31, v13, v6
	v_mul_lo_u32 v66, v12, v7
	v_mad_u64_u32 v[64:65], s[12:13], v12, v6, 0
	v_add3_u32 v65, v65, v66, v31
	v_mul_lo_u32 v31, v15, v6
	v_mul_lo_u32 v68, v14, v7
	v_mad_u64_u32 v[66:67], s[12:13], v14, v6, 0
	v_add3_u32 v67, v67, v68, v31
	v_lshl_add_u64 v[64:65], v[64:65], 2, v[8:9]
	v_lshl_add_u64 v[66:67], v[66:67], 2, v[8:9]
	s_mov_b64 s[50:51], 0
	v_mov_b64_e32 v[68:69], v[6:7]
                                        ; implicit-def: $sgpr48_sgpr49
                                        ; implicit-def: $sgpr52_sgpr53
                                        ; implicit-def: $sgpr56_sgpr57
                                        ; implicit-def: $sgpr54_sgpr55
                                        ; implicit-def: $sgpr58_sgpr59
                                        ; implicit-def: $sgpr60_sgpr61
	s_branch .LBB878_806
.LBB878_805:                            ;   in Loop: Header=BB878_806 Depth=1
	s_or_b64 exec, exec, s[62:63]
	s_and_b64 s[12:13], exec, s[56:57]
	s_or_b64 s[50:51], s[12:13], s[50:51]
	s_andn2_b64 s[12:13], s[60:61], exec
	s_and_b64 s[22:23], s[58:59], exec
	s_or_b64 s[60:61], s[12:13], s[22:23]
	s_andn2_b64 s[12:13], s[52:53], exec
	s_and_b64 s[22:23], s[54:55], exec
	;; [unrolled: 3-line block ×3, first 2 shown]
	s_or_b64 s[48:49], s[12:13], s[18:19]
	s_andn2_b64 exec, exec, s[50:51]
	s_cbranch_execz .LBB878_808
.LBB878_806:                            ; =>This Inner Loop Header: Depth=1
	flat_load_dword v31, v[66:67]
	flat_load_dword v70, v[64:65]
	s_andn2_b64 s[58:59], s[58:59], exec
	s_or_b64 s[54:55], s[54:55], exec
	s_or_b64 s[56:57], s[56:57], exec
	s_waitcnt vmcnt(0) lgkmcnt(0)
	v_cmp_ngt_f32_e64 s[18:19], v31, v70
	v_cmp_lt_f32_e64 s[12:13], v31, v70
	s_and_b64 s[18:19], s[18:19], s[60:61]
	v_cmp_nlg_f32_e64 s[22:23], v31, v70
	s_or_b64 s[18:19], s[12:13], s[18:19]
	s_and_saveexec_b64 s[62:63], s[22:23]
	s_cbranch_execz .LBB878_805
; %bb.807:                              ;   in Loop: Header=BB878_806 Depth=1
	v_lshl_add_u64 v[68:69], v[68:69], 0, -1
	v_cmp_eq_u64_e64 s[12:13], 0, v[68:69]
	s_andn2_b64 s[22:23], s[58:59], exec
	s_and_b64 s[58:59], s[18:19], exec
	s_or_b64 s[58:59], s[22:23], s[58:59]
	s_andn2_b64 s[22:23], s[56:57], exec
	s_and_b64 s[12:13], s[12:13], exec
	v_lshl_add_u64 v[64:65], v[64:65], 0, 4
	v_lshl_add_u64 v[66:67], v[66:67], 0, 4
	s_andn2_b64 s[54:55], s[54:55], exec
	s_or_b64 s[56:57], s[22:23], s[12:13]
                                        ; implicit-def: $sgpr60_sgpr61
	s_branch .LBB878_805
.LBB878_808:
	s_or_b64 exec, exec, s[50:51]
	s_and_saveexec_b64 s[12:13], s[52:53]
	s_xor_b64 s[12:13], exec, s[12:13]
; %bb.809:
	v_cndmask_b32_e64 v65, v13, v15, s[48:49]
	v_cndmask_b32_e64 v64, v12, v14, s[48:49]
	;; [unrolled: 1-line block ×4, first 2 shown]
	v_mov_b64_e32 v[12:13], v[64:65]
; %bb.810:
	s_or_b64 exec, exec, s[12:13]
	s_or_b64 exec, exec, s[46:47]
	s_and_saveexec_b64 s[46:47], s[40:41]
	s_cbranch_execz .LBB878_718
.LBB878_811:
	v_mul_lo_u32 v31, v27, v6
	v_mul_lo_u32 v66, v26, v7
	v_mad_u64_u32 v[64:65], s[12:13], v26, v6, 0
	v_add3_u32 v65, v65, v66, v31
	v_mul_lo_u32 v31, v21, v6
	v_mul_lo_u32 v68, v20, v7
	v_mad_u64_u32 v[66:67], s[12:13], v20, v6, 0
	v_add3_u32 v67, v67, v68, v31
	v_lshl_add_u64 v[64:65], v[64:65], 2, v[8:9]
	v_lshl_add_u64 v[66:67], v[66:67], 2, v[8:9]
	s_mov_b64 s[50:51], 0
	v_mov_b64_e32 v[68:69], v[6:7]
                                        ; implicit-def: $sgpr48_sgpr49
                                        ; implicit-def: $sgpr52_sgpr53
                                        ; implicit-def: $sgpr56_sgpr57
                                        ; implicit-def: $sgpr54_sgpr55
                                        ; implicit-def: $sgpr58_sgpr59
                                        ; implicit-def: $sgpr60_sgpr61
	s_branch .LBB878_813
.LBB878_812:                            ;   in Loop: Header=BB878_813 Depth=1
	s_or_b64 exec, exec, s[62:63]
	s_and_b64 s[12:13], exec, s[56:57]
	s_or_b64 s[50:51], s[12:13], s[50:51]
	s_andn2_b64 s[12:13], s[60:61], exec
	s_and_b64 s[22:23], s[58:59], exec
	s_or_b64 s[60:61], s[12:13], s[22:23]
	s_andn2_b64 s[12:13], s[52:53], exec
	s_and_b64 s[22:23], s[54:55], exec
	;; [unrolled: 3-line block ×3, first 2 shown]
	s_or_b64 s[48:49], s[12:13], s[18:19]
	s_andn2_b64 exec, exec, s[50:51]
	s_cbranch_execz .LBB878_815
.LBB878_813:                            ; =>This Inner Loop Header: Depth=1
	flat_load_dword v31, v[66:67]
	flat_load_dword v70, v[64:65]
	s_andn2_b64 s[58:59], s[58:59], exec
	s_or_b64 s[54:55], s[54:55], exec
	s_or_b64 s[56:57], s[56:57], exec
	s_waitcnt vmcnt(0) lgkmcnt(0)
	v_cmp_ngt_f32_e64 s[18:19], v31, v70
	v_cmp_lt_f32_e64 s[12:13], v31, v70
	s_and_b64 s[18:19], s[18:19], s[60:61]
	v_cmp_nlg_f32_e64 s[22:23], v31, v70
	s_or_b64 s[18:19], s[12:13], s[18:19]
	s_and_saveexec_b64 s[62:63], s[22:23]
	s_cbranch_execz .LBB878_812
; %bb.814:                              ;   in Loop: Header=BB878_813 Depth=1
	v_lshl_add_u64 v[68:69], v[68:69], 0, -1
	v_cmp_eq_u64_e64 s[12:13], 0, v[68:69]
	s_andn2_b64 s[22:23], s[58:59], exec
	s_and_b64 s[58:59], s[18:19], exec
	s_or_b64 s[58:59], s[22:23], s[58:59]
	s_andn2_b64 s[22:23], s[56:57], exec
	s_and_b64 s[12:13], s[12:13], exec
	v_lshl_add_u64 v[64:65], v[64:65], 0, 4
	v_lshl_add_u64 v[66:67], v[66:67], 0, 4
	s_andn2_b64 s[54:55], s[54:55], exec
	s_or_b64 s[56:57], s[22:23], s[12:13]
                                        ; implicit-def: $sgpr60_sgpr61
	s_branch .LBB878_812
.LBB878_815:
	s_or_b64 exec, exec, s[50:51]
	s_and_saveexec_b64 s[12:13], s[52:53]
	s_xor_b64 s[12:13], exec, s[12:13]
; %bb.816:
	v_cndmask_b32_e64 v65, v27, v21, s[48:49]
	v_cndmask_b32_e64 v64, v26, v20, s[48:49]
	;; [unrolled: 1-line block ×4, first 2 shown]
	v_mov_b64_e32 v[26:27], v[64:65]
; %bb.817:
	s_or_b64 exec, exec, s[12:13]
	s_or_b64 exec, exec, s[46:47]
	s_and_saveexec_b64 s[46:47], s[42:43]
	s_cbranch_execz .LBB878_719
.LBB878_818:
	v_mul_lo_u32 v31, v23, v6
	v_mul_lo_u32 v66, v22, v7
	v_mad_u64_u32 v[64:65], s[12:13], v22, v6, 0
	v_add3_u32 v65, v65, v66, v31
	v_mul_lo_u32 v31, v17, v6
	v_mul_lo_u32 v68, v16, v7
	v_mad_u64_u32 v[66:67], s[12:13], v16, v6, 0
	v_add3_u32 v67, v67, v68, v31
	v_lshl_add_u64 v[64:65], v[64:65], 2, v[8:9]
	v_lshl_add_u64 v[66:67], v[66:67], 2, v[8:9]
	s_mov_b64 s[50:51], 0
	v_mov_b64_e32 v[68:69], v[6:7]
                                        ; implicit-def: $sgpr48_sgpr49
                                        ; implicit-def: $sgpr52_sgpr53
                                        ; implicit-def: $sgpr56_sgpr57
                                        ; implicit-def: $sgpr54_sgpr55
                                        ; implicit-def: $sgpr58_sgpr59
                                        ; implicit-def: $sgpr60_sgpr61
	s_branch .LBB878_820
.LBB878_819:                            ;   in Loop: Header=BB878_820 Depth=1
	s_or_b64 exec, exec, s[62:63]
	s_and_b64 s[12:13], exec, s[56:57]
	s_or_b64 s[50:51], s[12:13], s[50:51]
	s_andn2_b64 s[12:13], s[60:61], exec
	s_and_b64 s[22:23], s[58:59], exec
	s_or_b64 s[60:61], s[12:13], s[22:23]
	s_andn2_b64 s[12:13], s[52:53], exec
	s_and_b64 s[22:23], s[54:55], exec
	;; [unrolled: 3-line block ×3, first 2 shown]
	s_or_b64 s[48:49], s[12:13], s[18:19]
	s_andn2_b64 exec, exec, s[50:51]
	s_cbranch_execz .LBB878_822
.LBB878_820:                            ; =>This Inner Loop Header: Depth=1
	flat_load_dword v31, v[66:67]
	flat_load_dword v70, v[64:65]
	s_andn2_b64 s[58:59], s[58:59], exec
	s_or_b64 s[54:55], s[54:55], exec
	s_or_b64 s[56:57], s[56:57], exec
	s_waitcnt vmcnt(0) lgkmcnt(0)
	v_cmp_ngt_f32_e64 s[18:19], v31, v70
	v_cmp_lt_f32_e64 s[12:13], v31, v70
	s_and_b64 s[18:19], s[18:19], s[60:61]
	v_cmp_nlg_f32_e64 s[22:23], v31, v70
	s_or_b64 s[18:19], s[12:13], s[18:19]
	s_and_saveexec_b64 s[62:63], s[22:23]
	s_cbranch_execz .LBB878_819
; %bb.821:                              ;   in Loop: Header=BB878_820 Depth=1
	v_lshl_add_u64 v[68:69], v[68:69], 0, -1
	v_cmp_eq_u64_e64 s[12:13], 0, v[68:69]
	s_andn2_b64 s[22:23], s[58:59], exec
	s_and_b64 s[58:59], s[18:19], exec
	s_or_b64 s[58:59], s[22:23], s[58:59]
	s_andn2_b64 s[22:23], s[56:57], exec
	s_and_b64 s[12:13], s[12:13], exec
	v_lshl_add_u64 v[64:65], v[64:65], 0, 4
	v_lshl_add_u64 v[66:67], v[66:67], 0, 4
	s_andn2_b64 s[54:55], s[54:55], exec
	s_or_b64 s[56:57], s[22:23], s[12:13]
                                        ; implicit-def: $sgpr60_sgpr61
	s_branch .LBB878_819
.LBB878_822:
	s_or_b64 exec, exec, s[50:51]
	s_and_saveexec_b64 s[12:13], s[52:53]
	s_xor_b64 s[12:13], exec, s[12:13]
; %bb.823:
	v_cndmask_b32_e64 v65, v23, v17, s[48:49]
	v_cndmask_b32_e64 v64, v22, v16, s[48:49]
	;; [unrolled: 1-line block ×4, first 2 shown]
	v_mov_b64_e32 v[22:23], v[64:65]
; %bb.824:
	s_or_b64 exec, exec, s[12:13]
	s_or_b64 exec, exec, s[46:47]
	s_and_saveexec_b64 s[46:47], s[44:45]
	s_cbranch_execz .LBB878_720
.LBB878_825:
	v_mul_lo_u32 v31, v19, v6
	v_mul_lo_u32 v66, v18, v7
	v_mad_u64_u32 v[64:65], s[12:13], v18, v6, 0
	v_add3_u32 v65, v65, v66, v31
	v_mul_lo_u32 v31, v13, v6
	v_mul_lo_u32 v68, v12, v7
	v_mad_u64_u32 v[66:67], s[12:13], v12, v6, 0
	v_add3_u32 v67, v67, v68, v31
	v_lshl_add_u64 v[64:65], v[64:65], 2, v[8:9]
	v_lshl_add_u64 v[66:67], v[66:67], 2, v[8:9]
	s_mov_b64 s[50:51], 0
	v_mov_b64_e32 v[68:69], v[6:7]
                                        ; implicit-def: $sgpr48_sgpr49
                                        ; implicit-def: $sgpr52_sgpr53
                                        ; implicit-def: $sgpr56_sgpr57
                                        ; implicit-def: $sgpr54_sgpr55
                                        ; implicit-def: $sgpr58_sgpr59
                                        ; implicit-def: $sgpr60_sgpr61
	s_branch .LBB878_827
.LBB878_826:                            ;   in Loop: Header=BB878_827 Depth=1
	s_or_b64 exec, exec, s[62:63]
	s_and_b64 s[12:13], exec, s[56:57]
	s_or_b64 s[50:51], s[12:13], s[50:51]
	s_andn2_b64 s[12:13], s[60:61], exec
	s_and_b64 s[22:23], s[58:59], exec
	s_or_b64 s[60:61], s[12:13], s[22:23]
	s_andn2_b64 s[12:13], s[52:53], exec
	s_and_b64 s[22:23], s[54:55], exec
	;; [unrolled: 3-line block ×3, first 2 shown]
	s_or_b64 s[48:49], s[12:13], s[18:19]
	s_andn2_b64 exec, exec, s[50:51]
	s_cbranch_execz .LBB878_829
.LBB878_827:                            ; =>This Inner Loop Header: Depth=1
	flat_load_dword v31, v[66:67]
	flat_load_dword v70, v[64:65]
	s_andn2_b64 s[58:59], s[58:59], exec
	s_or_b64 s[54:55], s[54:55], exec
	s_or_b64 s[56:57], s[56:57], exec
	s_waitcnt vmcnt(0) lgkmcnt(0)
	v_cmp_ngt_f32_e64 s[18:19], v31, v70
	v_cmp_lt_f32_e64 s[12:13], v31, v70
	s_and_b64 s[18:19], s[18:19], s[60:61]
	v_cmp_nlg_f32_e64 s[22:23], v31, v70
	s_or_b64 s[18:19], s[12:13], s[18:19]
	s_and_saveexec_b64 s[62:63], s[22:23]
	s_cbranch_execz .LBB878_826
; %bb.828:                              ;   in Loop: Header=BB878_827 Depth=1
	v_lshl_add_u64 v[68:69], v[68:69], 0, -1
	v_cmp_eq_u64_e64 s[12:13], 0, v[68:69]
	s_andn2_b64 s[22:23], s[58:59], exec
	s_and_b64 s[58:59], s[18:19], exec
	s_or_b64 s[58:59], s[22:23], s[58:59]
	s_andn2_b64 s[22:23], s[56:57], exec
	s_and_b64 s[12:13], s[12:13], exec
	v_lshl_add_u64 v[64:65], v[64:65], 0, 4
	v_lshl_add_u64 v[66:67], v[66:67], 0, 4
	s_andn2_b64 s[54:55], s[54:55], exec
	s_or_b64 s[56:57], s[22:23], s[12:13]
                                        ; implicit-def: $sgpr60_sgpr61
	s_branch .LBB878_826
.LBB878_829:
	s_or_b64 exec, exec, s[50:51]
	s_and_saveexec_b64 s[12:13], s[52:53]
	s_xor_b64 s[12:13], exec, s[12:13]
; %bb.830:
	v_cndmask_b32_e64 v65, v19, v13, s[48:49]
	v_cndmask_b32_e64 v64, v18, v12, s[48:49]
	;; [unrolled: 1-line block ×4, first 2 shown]
	v_mov_b64_e32 v[18:19], v[64:65]
; %bb.831:
	s_or_b64 exec, exec, s[12:13]
	s_or_b64 exec, exec, s[46:47]
	s_and_saveexec_b64 s[46:47], s[30:31]
	s_cbranch_execz .LBB878_721
.LBB878_832:
	v_mul_lo_u32 v31, v25, v6
	v_mul_lo_u32 v66, v24, v7
	v_mad_u64_u32 v[64:65], s[12:13], v24, v6, 0
	v_add3_u32 v65, v65, v66, v31
	v_mul_lo_u32 v31, v27, v6
	v_mul_lo_u32 v68, v26, v7
	v_mad_u64_u32 v[66:67], s[12:13], v26, v6, 0
	v_add3_u32 v67, v67, v68, v31
	v_lshl_add_u64 v[64:65], v[64:65], 2, v[8:9]
	v_lshl_add_u64 v[66:67], v[66:67], 2, v[8:9]
	s_mov_b64 s[48:49], 0
	v_mov_b64_e32 v[68:69], v[6:7]
                                        ; implicit-def: $sgpr30_sgpr31
                                        ; implicit-def: $sgpr50_sgpr51
                                        ; implicit-def: $sgpr54_sgpr55
                                        ; implicit-def: $sgpr52_sgpr53
                                        ; implicit-def: $sgpr56_sgpr57
                                        ; implicit-def: $sgpr58_sgpr59
	s_branch .LBB878_834
.LBB878_833:                            ;   in Loop: Header=BB878_834 Depth=1
	s_or_b64 exec, exec, s[60:61]
	s_and_b64 s[12:13], exec, s[54:55]
	s_or_b64 s[48:49], s[12:13], s[48:49]
	s_andn2_b64 s[12:13], s[58:59], exec
	s_and_b64 s[22:23], s[56:57], exec
	s_or_b64 s[58:59], s[12:13], s[22:23]
	s_andn2_b64 s[12:13], s[50:51], exec
	s_and_b64 s[22:23], s[52:53], exec
	;; [unrolled: 3-line block ×3, first 2 shown]
	s_or_b64 s[30:31], s[12:13], s[18:19]
	s_andn2_b64 exec, exec, s[48:49]
	s_cbranch_execz .LBB878_836
.LBB878_834:                            ; =>This Inner Loop Header: Depth=1
	flat_load_dword v31, v[66:67]
	flat_load_dword v70, v[64:65]
	s_andn2_b64 s[56:57], s[56:57], exec
	s_or_b64 s[52:53], s[52:53], exec
	s_or_b64 s[54:55], s[54:55], exec
	s_waitcnt vmcnt(0) lgkmcnt(0)
	v_cmp_ngt_f32_e64 s[18:19], v31, v70
	v_cmp_lt_f32_e64 s[12:13], v31, v70
	s_and_b64 s[18:19], s[18:19], s[58:59]
	v_cmp_nlg_f32_e64 s[22:23], v31, v70
	s_or_b64 s[18:19], s[12:13], s[18:19]
	s_and_saveexec_b64 s[60:61], s[22:23]
	s_cbranch_execz .LBB878_833
; %bb.835:                              ;   in Loop: Header=BB878_834 Depth=1
	v_lshl_add_u64 v[68:69], v[68:69], 0, -1
	v_cmp_eq_u64_e64 s[12:13], 0, v[68:69]
	s_andn2_b64 s[22:23], s[56:57], exec
	s_and_b64 s[56:57], s[18:19], exec
	s_or_b64 s[56:57], s[22:23], s[56:57]
	s_andn2_b64 s[22:23], s[54:55], exec
	s_and_b64 s[12:13], s[12:13], exec
	v_lshl_add_u64 v[64:65], v[64:65], 0, 4
	v_lshl_add_u64 v[66:67], v[66:67], 0, 4
	s_andn2_b64 s[52:53], s[52:53], exec
	s_or_b64 s[54:55], s[22:23], s[12:13]
                                        ; implicit-def: $sgpr58_sgpr59
	s_branch .LBB878_833
.LBB878_836:
	s_or_b64 exec, exec, s[48:49]
	s_and_saveexec_b64 s[12:13], s[50:51]
	s_xor_b64 s[12:13], exec, s[12:13]
; %bb.837:
	v_cndmask_b32_e64 v65, v27, v25, s[30:31]
	v_cndmask_b32_e64 v64, v26, v24, s[30:31]
	;; [unrolled: 1-line block ×4, first 2 shown]
	v_mov_b64_e32 v[26:27], v[64:65]
; %bb.838:
	s_or_b64 exec, exec, s[12:13]
	s_or_b64 exec, exec, s[46:47]
	s_and_saveexec_b64 s[30:31], s[34:35]
	s_cbranch_execz .LBB878_722
.LBB878_839:
	v_mul_lo_u32 v31, v21, v6
	v_mul_lo_u32 v66, v20, v7
	v_mad_u64_u32 v[64:65], s[12:13], v20, v6, 0
	v_add3_u32 v65, v65, v66, v31
	v_mul_lo_u32 v31, v23, v6
	v_mul_lo_u32 v68, v22, v7
	v_mad_u64_u32 v[66:67], s[12:13], v22, v6, 0
	v_add3_u32 v67, v67, v68, v31
	v_lshl_add_u64 v[64:65], v[64:65], 2, v[8:9]
	v_lshl_add_u64 v[66:67], v[66:67], 2, v[8:9]
	s_mov_b64 s[46:47], 0
	v_mov_b64_e32 v[68:69], v[6:7]
                                        ; implicit-def: $sgpr34_sgpr35
                                        ; implicit-def: $sgpr48_sgpr49
                                        ; implicit-def: $sgpr52_sgpr53
                                        ; implicit-def: $sgpr50_sgpr51
                                        ; implicit-def: $sgpr54_sgpr55
                                        ; implicit-def: $sgpr56_sgpr57
	s_branch .LBB878_841
.LBB878_840:                            ;   in Loop: Header=BB878_841 Depth=1
	s_or_b64 exec, exec, s[58:59]
	s_and_b64 s[12:13], exec, s[52:53]
	s_or_b64 s[46:47], s[12:13], s[46:47]
	s_andn2_b64 s[12:13], s[56:57], exec
	s_and_b64 s[22:23], s[54:55], exec
	s_or_b64 s[56:57], s[12:13], s[22:23]
	s_andn2_b64 s[12:13], s[48:49], exec
	s_and_b64 s[22:23], s[50:51], exec
	;; [unrolled: 3-line block ×3, first 2 shown]
	s_or_b64 s[34:35], s[12:13], s[18:19]
	s_andn2_b64 exec, exec, s[46:47]
	s_cbranch_execz .LBB878_843
.LBB878_841:                            ; =>This Inner Loop Header: Depth=1
	flat_load_dword v31, v[66:67]
	flat_load_dword v70, v[64:65]
	s_andn2_b64 s[54:55], s[54:55], exec
	s_or_b64 s[50:51], s[50:51], exec
	s_or_b64 s[52:53], s[52:53], exec
	s_waitcnt vmcnt(0) lgkmcnt(0)
	v_cmp_ngt_f32_e64 s[18:19], v31, v70
	v_cmp_lt_f32_e64 s[12:13], v31, v70
	s_and_b64 s[18:19], s[18:19], s[56:57]
	v_cmp_nlg_f32_e64 s[22:23], v31, v70
	s_or_b64 s[18:19], s[12:13], s[18:19]
	s_and_saveexec_b64 s[58:59], s[22:23]
	s_cbranch_execz .LBB878_840
; %bb.842:                              ;   in Loop: Header=BB878_841 Depth=1
	v_lshl_add_u64 v[68:69], v[68:69], 0, -1
	v_cmp_eq_u64_e64 s[12:13], 0, v[68:69]
	s_andn2_b64 s[22:23], s[54:55], exec
	s_and_b64 s[54:55], s[18:19], exec
	s_or_b64 s[54:55], s[22:23], s[54:55]
	s_andn2_b64 s[22:23], s[52:53], exec
	s_and_b64 s[12:13], s[12:13], exec
	v_lshl_add_u64 v[64:65], v[64:65], 0, 4
	v_lshl_add_u64 v[66:67], v[66:67], 0, 4
	s_andn2_b64 s[50:51], s[50:51], exec
	s_or_b64 s[52:53], s[22:23], s[12:13]
                                        ; implicit-def: $sgpr56_sgpr57
	s_branch .LBB878_840
.LBB878_843:
	s_or_b64 exec, exec, s[46:47]
	s_and_saveexec_b64 s[12:13], s[48:49]
	s_xor_b64 s[12:13], exec, s[12:13]
; %bb.844:
	v_cndmask_b32_e64 v65, v21, v23, s[34:35]
	v_cndmask_b32_e64 v64, v20, v22, s[34:35]
	;; [unrolled: 1-line block ×4, first 2 shown]
	v_mov_b64_e32 v[20:21], v[64:65]
; %bb.845:
	s_or_b64 exec, exec, s[12:13]
	s_or_b64 exec, exec, s[30:31]
	s_and_saveexec_b64 s[30:31], s[36:37]
	s_cbranch_execz .LBB878_723
.LBB878_846:
	v_mul_lo_u32 v31, v17, v6
	v_mul_lo_u32 v66, v16, v7
	v_mad_u64_u32 v[64:65], s[12:13], v16, v6, 0
	v_add3_u32 v65, v65, v66, v31
	v_mul_lo_u32 v31, v19, v6
	v_mul_lo_u32 v68, v18, v7
	v_mad_u64_u32 v[66:67], s[12:13], v18, v6, 0
	v_add3_u32 v67, v67, v68, v31
	v_lshl_add_u64 v[64:65], v[64:65], 2, v[8:9]
	v_lshl_add_u64 v[66:67], v[66:67], 2, v[8:9]
	s_mov_b64 s[36:37], 0
	v_mov_b64_e32 v[68:69], v[6:7]
                                        ; implicit-def: $sgpr34_sgpr35
                                        ; implicit-def: $sgpr46_sgpr47
                                        ; implicit-def: $sgpr50_sgpr51
                                        ; implicit-def: $sgpr48_sgpr49
                                        ; implicit-def: $sgpr52_sgpr53
                                        ; implicit-def: $sgpr54_sgpr55
	s_branch .LBB878_848
.LBB878_847:                            ;   in Loop: Header=BB878_848 Depth=1
	s_or_b64 exec, exec, s[56:57]
	s_and_b64 s[12:13], exec, s[50:51]
	s_or_b64 s[36:37], s[12:13], s[36:37]
	s_andn2_b64 s[12:13], s[54:55], exec
	s_and_b64 s[22:23], s[52:53], exec
	s_or_b64 s[54:55], s[12:13], s[22:23]
	s_andn2_b64 s[12:13], s[46:47], exec
	s_and_b64 s[22:23], s[48:49], exec
	;; [unrolled: 3-line block ×3, first 2 shown]
	s_or_b64 s[34:35], s[12:13], s[18:19]
	s_andn2_b64 exec, exec, s[36:37]
	s_cbranch_execz .LBB878_850
.LBB878_848:                            ; =>This Inner Loop Header: Depth=1
	flat_load_dword v31, v[66:67]
	flat_load_dword v70, v[64:65]
	s_andn2_b64 s[52:53], s[52:53], exec
	s_or_b64 s[48:49], s[48:49], exec
	s_or_b64 s[50:51], s[50:51], exec
	s_waitcnt vmcnt(0) lgkmcnt(0)
	v_cmp_ngt_f32_e64 s[18:19], v31, v70
	v_cmp_lt_f32_e64 s[12:13], v31, v70
	s_and_b64 s[18:19], s[18:19], s[54:55]
	v_cmp_nlg_f32_e64 s[22:23], v31, v70
	s_or_b64 s[18:19], s[12:13], s[18:19]
	s_and_saveexec_b64 s[56:57], s[22:23]
	s_cbranch_execz .LBB878_847
; %bb.849:                              ;   in Loop: Header=BB878_848 Depth=1
	v_lshl_add_u64 v[68:69], v[68:69], 0, -1
	v_cmp_eq_u64_e64 s[12:13], 0, v[68:69]
	s_andn2_b64 s[22:23], s[52:53], exec
	s_and_b64 s[52:53], s[18:19], exec
	s_or_b64 s[52:53], s[22:23], s[52:53]
	s_andn2_b64 s[22:23], s[50:51], exec
	s_and_b64 s[12:13], s[12:13], exec
	v_lshl_add_u64 v[64:65], v[64:65], 0, 4
	v_lshl_add_u64 v[66:67], v[66:67], 0, 4
	s_andn2_b64 s[48:49], s[48:49], exec
	s_or_b64 s[50:51], s[22:23], s[12:13]
                                        ; implicit-def: $sgpr54_sgpr55
	s_branch .LBB878_847
.LBB878_850:
	s_or_b64 exec, exec, s[36:37]
	s_and_saveexec_b64 s[12:13], s[46:47]
	s_xor_b64 s[12:13], exec, s[12:13]
; %bb.851:
	v_cndmask_b32_e64 v65, v17, v19, s[34:35]
	v_cndmask_b32_e64 v64, v16, v18, s[34:35]
	;; [unrolled: 1-line block ×4, first 2 shown]
	v_mov_b64_e32 v[16:17], v[64:65]
; %bb.852:
	s_or_b64 exec, exec, s[12:13]
	s_or_b64 exec, exec, s[30:31]
	s_and_saveexec_b64 s[30:31], s[38:39]
	s_cbranch_execz .LBB878_724
.LBB878_853:
	v_mul_lo_u32 v31, v13, v6
	v_mul_lo_u32 v66, v12, v7
	v_mad_u64_u32 v[64:65], s[12:13], v12, v6, 0
	v_add3_u32 v65, v65, v66, v31
	v_mul_lo_u32 v31, v15, v6
	v_mul_lo_u32 v68, v14, v7
	v_mad_u64_u32 v[66:67], s[12:13], v14, v6, 0
	v_add3_u32 v67, v67, v68, v31
	v_lshl_add_u64 v[64:65], v[64:65], 2, v[8:9]
	v_lshl_add_u64 v[66:67], v[66:67], 2, v[8:9]
	s_mov_b64 s[36:37], 0
	v_mov_b64_e32 v[68:69], v[6:7]
                                        ; implicit-def: $sgpr34_sgpr35
                                        ; implicit-def: $sgpr38_sgpr39
                                        ; implicit-def: $sgpr48_sgpr49
                                        ; implicit-def: $sgpr46_sgpr47
                                        ; implicit-def: $sgpr50_sgpr51
                                        ; implicit-def: $sgpr52_sgpr53
	s_branch .LBB878_855
.LBB878_854:                            ;   in Loop: Header=BB878_855 Depth=1
	s_or_b64 exec, exec, s[54:55]
	s_and_b64 s[12:13], exec, s[48:49]
	s_or_b64 s[36:37], s[12:13], s[36:37]
	s_andn2_b64 s[12:13], s[52:53], exec
	s_and_b64 s[22:23], s[50:51], exec
	s_or_b64 s[52:53], s[12:13], s[22:23]
	s_andn2_b64 s[12:13], s[38:39], exec
	s_and_b64 s[22:23], s[46:47], exec
	;; [unrolled: 3-line block ×3, first 2 shown]
	s_or_b64 s[34:35], s[12:13], s[18:19]
	s_andn2_b64 exec, exec, s[36:37]
	s_cbranch_execz .LBB878_857
.LBB878_855:                            ; =>This Inner Loop Header: Depth=1
	flat_load_dword v31, v[66:67]
	flat_load_dword v70, v[64:65]
	s_andn2_b64 s[50:51], s[50:51], exec
	s_or_b64 s[46:47], s[46:47], exec
	s_or_b64 s[48:49], s[48:49], exec
	s_waitcnt vmcnt(0) lgkmcnt(0)
	v_cmp_ngt_f32_e64 s[18:19], v31, v70
	v_cmp_lt_f32_e64 s[12:13], v31, v70
	s_and_b64 s[18:19], s[18:19], s[52:53]
	v_cmp_nlg_f32_e64 s[22:23], v31, v70
	s_or_b64 s[18:19], s[12:13], s[18:19]
	s_and_saveexec_b64 s[54:55], s[22:23]
	s_cbranch_execz .LBB878_854
; %bb.856:                              ;   in Loop: Header=BB878_855 Depth=1
	v_lshl_add_u64 v[68:69], v[68:69], 0, -1
	v_cmp_eq_u64_e64 s[12:13], 0, v[68:69]
	s_andn2_b64 s[22:23], s[50:51], exec
	s_and_b64 s[50:51], s[18:19], exec
	s_or_b64 s[50:51], s[22:23], s[50:51]
	s_andn2_b64 s[22:23], s[48:49], exec
	s_and_b64 s[12:13], s[12:13], exec
	v_lshl_add_u64 v[64:65], v[64:65], 0, 4
	v_lshl_add_u64 v[66:67], v[66:67], 0, 4
	s_andn2_b64 s[46:47], s[46:47], exec
	s_or_b64 s[48:49], s[22:23], s[12:13]
                                        ; implicit-def: $sgpr52_sgpr53
	s_branch .LBB878_854
.LBB878_857:
	s_or_b64 exec, exec, s[36:37]
	s_and_saveexec_b64 s[12:13], s[38:39]
	s_xor_b64 s[12:13], exec, s[12:13]
; %bb.858:
	v_cndmask_b32_e64 v65, v13, v15, s[34:35]
	v_cndmask_b32_e64 v64, v12, v14, s[34:35]
	;; [unrolled: 1-line block ×4, first 2 shown]
	v_mov_b64_e32 v[12:13], v[64:65]
; %bb.859:
	s_or_b64 exec, exec, s[12:13]
	s_or_b64 exec, exec, s[30:31]
	s_and_saveexec_b64 s[30:31], s[40:41]
	s_cbranch_execz .LBB878_725
.LBB878_860:
	v_mul_lo_u32 v31, v27, v6
	v_mul_lo_u32 v66, v26, v7
	v_mad_u64_u32 v[64:65], s[12:13], v26, v6, 0
	v_add3_u32 v65, v65, v66, v31
	v_mul_lo_u32 v31, v21, v6
	v_mul_lo_u32 v68, v20, v7
	v_mad_u64_u32 v[66:67], s[12:13], v20, v6, 0
	v_add3_u32 v67, v67, v68, v31
	v_lshl_add_u64 v[64:65], v[64:65], 2, v[8:9]
	v_lshl_add_u64 v[66:67], v[66:67], 2, v[8:9]
	s_mov_b64 s[36:37], 0
	v_mov_b64_e32 v[68:69], v[6:7]
                                        ; implicit-def: $sgpr34_sgpr35
                                        ; implicit-def: $sgpr38_sgpr39
                                        ; implicit-def: $sgpr46_sgpr47
                                        ; implicit-def: $sgpr40_sgpr41
                                        ; implicit-def: $sgpr48_sgpr49
                                        ; implicit-def: $sgpr50_sgpr51
	s_branch .LBB878_862
.LBB878_861:                            ;   in Loop: Header=BB878_862 Depth=1
	s_or_b64 exec, exec, s[52:53]
	s_and_b64 s[12:13], exec, s[46:47]
	s_or_b64 s[36:37], s[12:13], s[36:37]
	s_andn2_b64 s[12:13], s[50:51], exec
	s_and_b64 s[22:23], s[48:49], exec
	s_or_b64 s[50:51], s[12:13], s[22:23]
	s_andn2_b64 s[12:13], s[38:39], exec
	s_and_b64 s[22:23], s[40:41], exec
	s_or_b64 s[38:39], s[12:13], s[22:23]
	s_andn2_b64 s[12:13], s[34:35], exec
	s_and_b64 s[18:19], s[18:19], exec
	s_or_b64 s[34:35], s[12:13], s[18:19]
	s_andn2_b64 exec, exec, s[36:37]
	s_cbranch_execz .LBB878_864
.LBB878_862:                            ; =>This Inner Loop Header: Depth=1
	flat_load_dword v31, v[66:67]
	flat_load_dword v70, v[64:65]
	s_andn2_b64 s[48:49], s[48:49], exec
	s_or_b64 s[40:41], s[40:41], exec
	s_or_b64 s[46:47], s[46:47], exec
	s_waitcnt vmcnt(0) lgkmcnt(0)
	v_cmp_ngt_f32_e64 s[18:19], v31, v70
	v_cmp_lt_f32_e64 s[12:13], v31, v70
	s_and_b64 s[18:19], s[18:19], s[50:51]
	v_cmp_nlg_f32_e64 s[22:23], v31, v70
	s_or_b64 s[18:19], s[12:13], s[18:19]
	s_and_saveexec_b64 s[52:53], s[22:23]
	s_cbranch_execz .LBB878_861
; %bb.863:                              ;   in Loop: Header=BB878_862 Depth=1
	v_lshl_add_u64 v[68:69], v[68:69], 0, -1
	v_cmp_eq_u64_e64 s[12:13], 0, v[68:69]
	s_andn2_b64 s[22:23], s[48:49], exec
	s_and_b64 s[48:49], s[18:19], exec
	s_or_b64 s[48:49], s[22:23], s[48:49]
	s_andn2_b64 s[22:23], s[46:47], exec
	s_and_b64 s[12:13], s[12:13], exec
	v_lshl_add_u64 v[64:65], v[64:65], 0, 4
	v_lshl_add_u64 v[66:67], v[66:67], 0, 4
	s_andn2_b64 s[40:41], s[40:41], exec
	s_or_b64 s[46:47], s[22:23], s[12:13]
                                        ; implicit-def: $sgpr50_sgpr51
	s_branch .LBB878_861
.LBB878_864:
	s_or_b64 exec, exec, s[36:37]
	s_and_saveexec_b64 s[12:13], s[38:39]
	s_xor_b64 s[12:13], exec, s[12:13]
; %bb.865:
	v_cndmask_b32_e64 v65, v27, v21, s[34:35]
	v_cndmask_b32_e64 v64, v26, v20, s[34:35]
	;; [unrolled: 1-line block ×4, first 2 shown]
	v_mov_b64_e32 v[26:27], v[64:65]
; %bb.866:
	s_or_b64 exec, exec, s[12:13]
	s_or_b64 exec, exec, s[30:31]
	s_and_saveexec_b64 s[30:31], s[42:43]
	s_cbranch_execz .LBB878_726
.LBB878_867:
	v_mul_lo_u32 v31, v23, v6
	v_mul_lo_u32 v66, v22, v7
	v_mad_u64_u32 v[64:65], s[12:13], v22, v6, 0
	v_add3_u32 v65, v65, v66, v31
	v_mul_lo_u32 v31, v17, v6
	v_mul_lo_u32 v68, v16, v7
	v_mad_u64_u32 v[66:67], s[12:13], v16, v6, 0
	v_add3_u32 v67, v67, v68, v31
	v_lshl_add_u64 v[64:65], v[64:65], 2, v[8:9]
	v_lshl_add_u64 v[66:67], v[66:67], 2, v[8:9]
	s_mov_b64 s[36:37], 0
	v_mov_b64_e32 v[68:69], v[6:7]
                                        ; implicit-def: $sgpr34_sgpr35
                                        ; implicit-def: $sgpr38_sgpr39
                                        ; implicit-def: $sgpr42_sgpr43
                                        ; implicit-def: $sgpr40_sgpr41
                                        ; implicit-def: $sgpr46_sgpr47
                                        ; implicit-def: $sgpr48_sgpr49
	s_branch .LBB878_869
.LBB878_868:                            ;   in Loop: Header=BB878_869 Depth=1
	s_or_b64 exec, exec, s[50:51]
	s_and_b64 s[12:13], exec, s[42:43]
	s_or_b64 s[36:37], s[12:13], s[36:37]
	s_andn2_b64 s[12:13], s[48:49], exec
	s_and_b64 s[22:23], s[46:47], exec
	s_or_b64 s[48:49], s[12:13], s[22:23]
	s_andn2_b64 s[12:13], s[38:39], exec
	s_and_b64 s[22:23], s[40:41], exec
	;; [unrolled: 3-line block ×3, first 2 shown]
	s_or_b64 s[34:35], s[12:13], s[18:19]
	s_andn2_b64 exec, exec, s[36:37]
	s_cbranch_execz .LBB878_871
.LBB878_869:                            ; =>This Inner Loop Header: Depth=1
	flat_load_dword v31, v[66:67]
	flat_load_dword v70, v[64:65]
	s_andn2_b64 s[46:47], s[46:47], exec
	s_or_b64 s[40:41], s[40:41], exec
	s_or_b64 s[42:43], s[42:43], exec
	s_waitcnt vmcnt(0) lgkmcnt(0)
	v_cmp_ngt_f32_e64 s[18:19], v31, v70
	v_cmp_lt_f32_e64 s[12:13], v31, v70
	s_and_b64 s[18:19], s[18:19], s[48:49]
	v_cmp_nlg_f32_e64 s[22:23], v31, v70
	s_or_b64 s[18:19], s[12:13], s[18:19]
	s_and_saveexec_b64 s[50:51], s[22:23]
	s_cbranch_execz .LBB878_868
; %bb.870:                              ;   in Loop: Header=BB878_869 Depth=1
	v_lshl_add_u64 v[68:69], v[68:69], 0, -1
	v_cmp_eq_u64_e64 s[12:13], 0, v[68:69]
	s_andn2_b64 s[22:23], s[46:47], exec
	s_and_b64 s[46:47], s[18:19], exec
	s_or_b64 s[46:47], s[22:23], s[46:47]
	s_andn2_b64 s[22:23], s[42:43], exec
	s_and_b64 s[12:13], s[12:13], exec
	v_lshl_add_u64 v[64:65], v[64:65], 0, 4
	v_lshl_add_u64 v[66:67], v[66:67], 0, 4
	s_andn2_b64 s[40:41], s[40:41], exec
	s_or_b64 s[42:43], s[22:23], s[12:13]
                                        ; implicit-def: $sgpr48_sgpr49
	s_branch .LBB878_868
.LBB878_871:
	s_or_b64 exec, exec, s[36:37]
	s_and_saveexec_b64 s[12:13], s[38:39]
	s_xor_b64 s[12:13], exec, s[12:13]
; %bb.872:
	v_cndmask_b32_e64 v65, v23, v17, s[34:35]
	v_cndmask_b32_e64 v64, v22, v16, s[34:35]
	;; [unrolled: 1-line block ×4, first 2 shown]
	v_mov_b64_e32 v[22:23], v[64:65]
; %bb.873:
	s_or_b64 exec, exec, s[12:13]
	s_or_b64 exec, exec, s[30:31]
	s_and_saveexec_b64 s[30:31], s[44:45]
	s_cbranch_execz .LBB878_881
.LBB878_874:
	v_mul_lo_u32 v31, v19, v6
	v_mul_lo_u32 v66, v18, v7
	v_mad_u64_u32 v[64:65], s[12:13], v18, v6, 0
	v_add3_u32 v65, v65, v66, v31
	v_mul_lo_u32 v31, v13, v6
	v_mul_lo_u32 v68, v12, v7
	v_mad_u64_u32 v[66:67], s[12:13], v12, v6, 0
	v_add3_u32 v67, v67, v68, v31
	v_lshl_add_u64 v[64:65], v[64:65], 2, v[8:9]
	v_lshl_add_u64 v[66:67], v[66:67], 2, v[8:9]
	s_mov_b64 s[36:37], 0
	v_mov_b64_e32 v[68:69], v[6:7]
                                        ; implicit-def: $sgpr34_sgpr35
                                        ; implicit-def: $sgpr38_sgpr39
                                        ; implicit-def: $sgpr42_sgpr43
                                        ; implicit-def: $sgpr40_sgpr41
                                        ; implicit-def: $sgpr44_sgpr45
                                        ; implicit-def: $sgpr46_sgpr47
	s_branch .LBB878_876
.LBB878_875:                            ;   in Loop: Header=BB878_876 Depth=1
	s_or_b64 exec, exec, s[48:49]
	s_and_b64 s[12:13], exec, s[42:43]
	s_or_b64 s[36:37], s[12:13], s[36:37]
	s_andn2_b64 s[12:13], s[46:47], exec
	s_and_b64 s[22:23], s[44:45], exec
	s_or_b64 s[46:47], s[12:13], s[22:23]
	s_andn2_b64 s[12:13], s[38:39], exec
	s_and_b64 s[22:23], s[40:41], exec
	;; [unrolled: 3-line block ×3, first 2 shown]
	s_or_b64 s[34:35], s[12:13], s[18:19]
	s_andn2_b64 exec, exec, s[36:37]
	s_cbranch_execz .LBB878_878
.LBB878_876:                            ; =>This Inner Loop Header: Depth=1
	flat_load_dword v31, v[66:67]
	flat_load_dword v70, v[64:65]
	s_andn2_b64 s[44:45], s[44:45], exec
	s_or_b64 s[40:41], s[40:41], exec
	s_or_b64 s[42:43], s[42:43], exec
	s_waitcnt vmcnt(0) lgkmcnt(0)
	v_cmp_ngt_f32_e64 s[18:19], v31, v70
	v_cmp_lt_f32_e64 s[12:13], v31, v70
	s_and_b64 s[18:19], s[18:19], s[46:47]
	v_cmp_nlg_f32_e64 s[22:23], v31, v70
	s_or_b64 s[18:19], s[12:13], s[18:19]
	s_and_saveexec_b64 s[48:49], s[22:23]
	s_cbranch_execz .LBB878_875
; %bb.877:                              ;   in Loop: Header=BB878_876 Depth=1
	v_lshl_add_u64 v[68:69], v[68:69], 0, -1
	v_cmp_eq_u64_e64 s[12:13], 0, v[68:69]
	s_andn2_b64 s[22:23], s[44:45], exec
	s_and_b64 s[44:45], s[18:19], exec
	s_or_b64 s[44:45], s[22:23], s[44:45]
	s_andn2_b64 s[22:23], s[42:43], exec
	s_and_b64 s[12:13], s[12:13], exec
	v_lshl_add_u64 v[64:65], v[64:65], 0, 4
	v_lshl_add_u64 v[66:67], v[66:67], 0, 4
	s_andn2_b64 s[40:41], s[40:41], exec
	s_or_b64 s[42:43], s[22:23], s[12:13]
                                        ; implicit-def: $sgpr46_sgpr47
	s_branch .LBB878_875
.LBB878_878:
	s_or_b64 exec, exec, s[36:37]
	s_and_saveexec_b64 s[12:13], s[38:39]
	s_xor_b64 s[12:13], exec, s[12:13]
; %bb.879:
	v_cndmask_b32_e64 v65, v19, v13, s[34:35]
	v_cndmask_b32_e64 v64, v18, v12, s[34:35]
	;; [unrolled: 1-line block ×4, first 2 shown]
	v_mov_b64_e32 v[18:19], v[64:65]
; %bb.880:
	s_or_b64 exec, exec, s[12:13]
.LBB878_881:
	s_or_b64 exec, exec, s[30:31]
	v_mbcnt_lo_u32_b32 v31, -1, 0
	v_mbcnt_hi_u32_b32 v64, -1, v31
	v_and_b32_e32 v70, 0xfffffe00, v1
	v_mov_b32_e32 v71, 0
	v_lshlrev_b32_e32 v31, 3, v64
	v_sub_u32_e64 v1, v0, v70 clamp
	v_lshl_add_u64 v[66:67], v[70:71], 3, v[10:11]
	v_lshlrev_b32_e32 v70, 6, v64
	v_or_b32_e32 v64, 8, v31
	v_min_u32_e32 v100, v1, v64
	v_add_u32_e32 v64, 8, v100
	v_and_b32_e32 v102, 0x3f0, v31
	v_min_u32_e32 v101, v1, v64
	v_and_b32_e32 v64, 8, v31
	v_min_u32_e32 v103, v1, v64
	v_sub_u32_e32 v64, v100, v102
	v_sub_u32_e32 v65, v101, v100
	v_sub_u32_e64 v112, v103, v65 clamp
	v_min_u32_e32 v113, v103, v64
	v_lshl_add_u64 v[68:69], v[66:67], 0, v[70:71]
	v_cmp_lt_u32_e64 s[12:13], v112, v113
	v_lshlrev_b64 v[64:65], 2, v[6:7]
	flat_store_dwordx4 v[68:69], v[24:27]
	flat_store_dwordx4 v[68:69], v[20:23] offset:16
	flat_store_dwordx4 v[68:69], v[16:19] offset:32
	;; [unrolled: 1-line block ×3, first 2 shown]
	; wave barrier
	s_and_saveexec_b64 s[30:31], s[12:13]
	s_cbranch_execz .LBB878_891
; %bb.882:
	v_lshlrev_b32_e32 v70, 3, v102
	v_lshl_add_u64 v[80:81], v[66:67], 0, v[70:71]
	v_lshlrev_b32_e32 v70, 3, v100
	v_lshl_add_u64 v[82:83], v[66:67], 0, v[70:71]
	s_mov_b64 s[34:35], 0
	s_branch .LBB878_885
.LBB878_883:                            ;   in Loop: Header=BB878_885 Depth=1
	s_or_b64 exec, exec, s[38:39]
	s_and_b64 s[12:13], s[40:41], exec
.LBB878_884:                            ;   in Loop: Header=BB878_885 Depth=1
	s_or_b64 exec, exec, s[36:37]
	v_add_u32_e32 v70, 1, v84
	v_cndmask_b32_e64 v113, v113, v84, s[12:13]
	v_cndmask_b32_e64 v112, v70, v112, s[12:13]
	v_cmp_ge_u32_e64 s[12:13], v112, v113
	s_or_b64 s[34:35], s[12:13], s[34:35]
	s_andn2_b64 exec, exec, s[34:35]
	s_cbranch_execz .LBB878_890
.LBB878_885:                            ; =>This Loop Header: Depth=1
                                        ;     Child Loop BB878_888 Depth 2
	v_add_u32_e32 v70, v113, v112
	v_lshrrev_b32_e32 v84, 1, v70
	s_mov_b64 s[12:13], 0
	s_and_saveexec_b64 s[36:37], s[16:17]
	s_cbranch_execz .LBB878_884
; %bb.886:                              ;   in Loop: Header=BB878_885 Depth=1
	v_mov_b32_e32 v85, v71
	v_xad_u32 v70, v84, -1, v103
	v_lshl_add_u64 v[86:87], v[84:85], 3, v[80:81]
	v_lshl_add_u64 v[96:97], v[70:71], 3, v[82:83]
	flat_load_dwordx2 v[86:87], v[86:87]
	s_mov_b64 s[38:39], 0
	flat_load_dwordx2 v[96:97], v[96:97]
                                        ; implicit-def: $sgpr40_sgpr41
                                        ; implicit-def: $sgpr42_sgpr43
                                        ; implicit-def: $sgpr44_sgpr45
                                        ; implicit-def: $sgpr18_sgpr19
                                        ; implicit-def: $sgpr46_sgpr47
	s_waitcnt vmcnt(0) lgkmcnt(0)
	v_mul_lo_u32 v70, v64, v87
	v_mul_lo_u32 v85, v65, v86
	v_mad_u64_u32 v[86:87], s[12:13], v64, v86, v[8:9]
	v_mul_lo_u32 v98, v64, v97
	v_mul_lo_u32 v99, v65, v96
	v_mad_u64_u32 v[96:97], s[12:13], v64, v96, v[8:9]
	v_add3_u32 v87, v85, v87, v70
	v_add3_u32 v97, v99, v97, v98
	v_mov_b64_e32 v[98:99], v[6:7]
	s_branch .LBB878_888
.LBB878_887:                            ;   in Loop: Header=BB878_888 Depth=2
	s_or_b64 exec, exec, s[48:49]
	s_and_b64 s[12:13], exec, s[42:43]
	s_or_b64 s[38:39], s[12:13], s[38:39]
	s_andn2_b64 s[12:13], s[46:47], exec
	s_and_b64 s[22:23], s[44:45], exec
	s_or_b64 s[46:47], s[12:13], s[22:23]
	s_andn2_b64 s[12:13], s[40:41], exec
	s_and_b64 s[22:23], s[18:19], exec
	s_or_b64 s[40:41], s[12:13], s[22:23]
	s_andn2_b64 exec, exec, s[38:39]
	s_cbranch_execz .LBB878_883
.LBB878_888:                            ;   Parent Loop BB878_885 Depth=1
                                        ; =>  This Inner Loop Header: Depth=2
	flat_load_dword v70, v[96:97]
	flat_load_dword v85, v[86:87]
	s_andn2_b64 s[48:49], s[18:19], exec
	s_andn2_b64 s[44:45], s[44:45], exec
	s_or_b64 s[42:43], s[42:43], exec
	s_waitcnt vmcnt(0) lgkmcnt(0)
	v_cmp_ngt_f32_e64 s[18:19], v70, v85
	v_cmp_lt_f32_e64 s[12:13], v70, v85
	s_and_b64 s[18:19], s[18:19], s[46:47]
	s_or_b64 s[50:51], s[12:13], s[18:19]
	s_and_b64 s[12:13], s[50:51], exec
	v_cmp_nlg_f32_e64 s[22:23], v70, v85
	s_or_b64 s[18:19], s[48:49], s[12:13]
	s_and_saveexec_b64 s[48:49], s[22:23]
	s_cbranch_execz .LBB878_887
; %bb.889:                              ;   in Loop: Header=BB878_888 Depth=2
	v_lshl_add_u64 v[98:99], v[98:99], 0, -1
	v_cmp_eq_u64_e64 s[12:13], 0, v[98:99]
	s_andn2_b64 s[22:23], s[44:45], exec
	s_and_b64 s[44:45], s[50:51], exec
	s_or_b64 s[44:45], s[22:23], s[44:45]
	s_andn2_b64 s[22:23], s[42:43], exec
	s_and_b64 s[12:13], s[12:13], exec
	v_lshl_add_u64 v[86:87], v[86:87], 0, 4
	v_lshl_add_u64 v[96:97], v[96:97], 0, 4
	s_andn2_b64 s[18:19], s[18:19], exec
	s_or_b64 s[42:43], s[22:23], s[12:13]
                                        ; implicit-def: $sgpr46_sgpr47
	s_branch .LBB878_887
.LBB878_890:
	s_or_b64 exec, exec, s[34:35]
.LBB878_891:
	s_or_b64 exec, exec, s[30:31]
	v_add_u32_e32 v71, v100, v103
	v_add_u32_e32 v70, v112, v102
	v_sub_u32_e32 v80, v71, v112
	v_cmp_le_u32_e64 s[12:13], v70, v100
	v_cmp_le_u32_e64 s[18:19], v80, v101
	s_or_b64 s[12:13], s[12:13], s[18:19]
	s_and_saveexec_b64 s[30:31], s[12:13]
	s_cbranch_execz .LBB878_963
; %bb.892:
	v_cmp_ge_u32_e64 s[18:19], v70, v100
	v_cmp_lt_u32_e64 s[12:13], v70, v100
                                        ; implicit-def: $vgpr12_vgpr13
	s_and_saveexec_b64 s[22:23], s[12:13]
	s_cbranch_execz .LBB878_894
; %bb.893:
	v_mov_b32_e32 v71, 0
	v_lshl_add_u64 v[12:13], v[70:71], 3, v[66:67]
	flat_load_dwordx2 v[12:13], v[12:13]
.LBB878_894:
	s_or_b64 exec, exec, s[22:23]
	v_cmp_ge_u32_e64 s[34:35], v80, v101
	v_cmp_lt_u32_e64 s[12:13], v80, v101
                                        ; implicit-def: $vgpr14_vgpr15
	s_and_saveexec_b64 s[22:23], s[12:13]
	s_cbranch_execz .LBB878_896
; %bb.895:
	v_mov_b32_e32 v81, 0
	v_lshl_add_u64 v[14:15], v[80:81], 3, v[66:67]
	flat_load_dwordx2 v[14:15], v[14:15]
.LBB878_896:
	s_or_b64 exec, exec, s[22:23]
	s_or_b64 s[12:13], s[18:19], s[34:35]
	s_xor_b64 s[12:13], s[12:13], -1
	s_and_saveexec_b64 s[36:37], s[12:13]
	s_cbranch_execz .LBB878_904
; %bb.897:
	s_mov_b64 s[12:13], 0
	s_and_saveexec_b64 s[38:39], s[16:17]
	s_cbranch_execz .LBB878_903
; %bb.898:
	s_waitcnt vmcnt(0) lgkmcnt(0)
	v_mul_lo_u32 v18, v13, v6
	v_mul_lo_u32 v19, v12, v7
	v_mad_u64_u32 v[16:17], s[12:13], v12, v6, 0
	v_add3_u32 v17, v17, v19, v18
	v_mul_lo_u32 v20, v15, v6
	v_mul_lo_u32 v21, v14, v7
	v_mad_u64_u32 v[18:19], s[12:13], v14, v6, 0
	v_add3_u32 v19, v19, v21, v20
	v_lshl_add_u64 v[16:17], v[16:17], 2, v[8:9]
	v_lshl_add_u64 v[18:19], v[18:19], 2, v[8:9]
	s_mov_b64 s[40:41], 0
	v_mov_b64_e32 v[20:21], v[6:7]
                                        ; implicit-def: $sgpr42_sgpr43
                                        ; implicit-def: $sgpr44_sgpr45
                                        ; implicit-def: $sgpr46_sgpr47
                                        ; implicit-def: $sgpr18_sgpr19
                                        ; implicit-def: $sgpr48_sgpr49
	s_branch .LBB878_900
.LBB878_899:                            ;   in Loop: Header=BB878_900 Depth=1
	s_or_b64 exec, exec, s[50:51]
	s_and_b64 s[12:13], exec, s[44:45]
	s_or_b64 s[40:41], s[12:13], s[40:41]
	s_andn2_b64 s[12:13], s[48:49], exec
	s_and_b64 s[22:23], s[46:47], exec
	s_or_b64 s[48:49], s[12:13], s[22:23]
	s_andn2_b64 s[12:13], s[42:43], exec
	s_and_b64 s[22:23], s[18:19], exec
	s_or_b64 s[42:43], s[12:13], s[22:23]
	s_andn2_b64 exec, exec, s[40:41]
	s_cbranch_execz .LBB878_902
.LBB878_900:                            ; =>This Inner Loop Header: Depth=1
	flat_load_dword v22, v[18:19]
	flat_load_dword v23, v[16:17]
	s_andn2_b64 s[50:51], s[18:19], exec
	s_andn2_b64 s[46:47], s[46:47], exec
	s_or_b64 s[44:45], s[44:45], exec
	s_waitcnt vmcnt(0) lgkmcnt(0)
	v_cmp_ngt_f32_e64 s[18:19], v22, v23
	v_cmp_lt_f32_e64 s[12:13], v22, v23
	s_and_b64 s[18:19], s[18:19], s[48:49]
	s_or_b64 s[52:53], s[12:13], s[18:19]
	s_and_b64 s[12:13], s[52:53], exec
	v_cmp_nlg_f32_e64 s[22:23], v22, v23
	s_or_b64 s[18:19], s[50:51], s[12:13]
	s_and_saveexec_b64 s[50:51], s[22:23]
	s_cbranch_execz .LBB878_899
; %bb.901:                              ;   in Loop: Header=BB878_900 Depth=1
	v_lshl_add_u64 v[20:21], v[20:21], 0, -1
	v_cmp_eq_u64_e64 s[12:13], 0, v[20:21]
	s_andn2_b64 s[22:23], s[46:47], exec
	s_and_b64 s[46:47], s[52:53], exec
	s_or_b64 s[46:47], s[22:23], s[46:47]
	s_andn2_b64 s[22:23], s[44:45], exec
	s_and_b64 s[12:13], s[12:13], exec
	v_lshl_add_u64 v[16:17], v[16:17], 0, 4
	v_lshl_add_u64 v[18:19], v[18:19], 0, 4
	s_andn2_b64 s[18:19], s[18:19], exec
	s_or_b64 s[44:45], s[22:23], s[12:13]
                                        ; implicit-def: $sgpr48_sgpr49
	s_branch .LBB878_899
.LBB878_902:
	s_or_b64 exec, exec, s[40:41]
	s_and_b64 s[12:13], s[42:43], exec
.LBB878_903:
	s_or_b64 exec, exec, s[38:39]
	s_xor_b64 s[12:13], s[12:13], -1
	s_andn2_b64 s[18:19], s[34:35], exec
	s_and_b64 s[12:13], s[12:13], exec
	s_or_b64 s[34:35], s[18:19], s[12:13]
.LBB878_904:
	s_or_b64 exec, exec, s[36:37]
	v_cndmask_b32_e64 v16, v80, v70, s[34:35]
	v_cndmask_b32_e64 v17, v101, v100, s[34:35]
	v_add_u32_e32 v20, 1, v16
	v_add_u32_e32 v16, -1, v17
	v_min_u32_e32 v16, v20, v16
	v_mov_b32_e32 v17, 0
	v_lshl_add_u64 v[18:19], v[16:17], 3, v[66:67]
	flat_load_dwordx2 v[18:19], v[18:19]
	v_cndmask_b32_e64 v27, v20, v80, s[34:35]
	s_mov_b64 s[36:37], -1
	v_cndmask_b32_e64 v70, v70, v20, s[34:35]
	v_cmp_lt_u32_e64 s[12:13], v27, v101
	s_mov_b64 s[38:39], -1
	s_waitcnt vmcnt(0) lgkmcnt(0)
	v_cndmask_b32_e64 v24, v19, v15, s[34:35]
	v_cndmask_b32_e64 v25, v18, v14, s[34:35]
	;; [unrolled: 1-line block ×4, first 2 shown]
	s_and_saveexec_b64 s[40:41], s[12:13]
	s_cbranch_execz .LBB878_914
; %bb.905:
	v_cmp_lt_u32_e64 s[12:13], v70, v100
	s_mov_b64 s[18:19], 0
	s_and_saveexec_b64 s[38:39], s[12:13]
	s_cbranch_execz .LBB878_913
; %bb.906:
	s_mov_b64 s[12:13], 0
	s_and_saveexec_b64 s[42:43], s[16:17]
	s_cbranch_execz .LBB878_912
; %bb.907:
	v_mul_lo_u32 v16, v26, v6
	v_mul_lo_u32 v20, v80, v7
	v_mad_u64_u32 v[18:19], s[12:13], v80, v6, 0
	v_add3_u32 v19, v19, v20, v16
	v_mul_lo_u32 v16, v24, v6
	v_mul_lo_u32 v22, v25, v7
	v_mad_u64_u32 v[20:21], s[12:13], v25, v6, 0
	v_add3_u32 v21, v21, v22, v16
	v_lshl_add_u64 v[18:19], v[18:19], 2, v[8:9]
	v_lshl_add_u64 v[20:21], v[20:21], 2, v[8:9]
	s_mov_b64 s[44:45], 0
	v_mov_b64_e32 v[22:23], v[6:7]
                                        ; implicit-def: $sgpr46_sgpr47
                                        ; implicit-def: $sgpr48_sgpr49
                                        ; implicit-def: $sgpr50_sgpr51
                                        ; implicit-def: $sgpr18_sgpr19
                                        ; implicit-def: $sgpr52_sgpr53
	s_branch .LBB878_909
.LBB878_908:                            ;   in Loop: Header=BB878_909 Depth=1
	s_or_b64 exec, exec, s[54:55]
	s_and_b64 s[12:13], exec, s[48:49]
	s_or_b64 s[44:45], s[12:13], s[44:45]
	s_andn2_b64 s[12:13], s[52:53], exec
	s_and_b64 s[22:23], s[50:51], exec
	s_or_b64 s[52:53], s[12:13], s[22:23]
	s_andn2_b64 s[12:13], s[46:47], exec
	s_and_b64 s[22:23], s[18:19], exec
	s_or_b64 s[46:47], s[12:13], s[22:23]
	s_andn2_b64 exec, exec, s[44:45]
	s_cbranch_execz .LBB878_911
.LBB878_909:                            ; =>This Inner Loop Header: Depth=1
	flat_load_dword v16, v[20:21]
	flat_load_dword v71, v[18:19]
	s_andn2_b64 s[54:55], s[18:19], exec
	s_andn2_b64 s[50:51], s[50:51], exec
	s_or_b64 s[48:49], s[48:49], exec
	s_waitcnt vmcnt(0) lgkmcnt(0)
	v_cmp_ngt_f32_e64 s[18:19], v16, v71
	v_cmp_lt_f32_e64 s[12:13], v16, v71
	s_and_b64 s[18:19], s[18:19], s[52:53]
	s_or_b64 s[56:57], s[12:13], s[18:19]
	s_and_b64 s[12:13], s[56:57], exec
	v_cmp_nlg_f32_e64 s[22:23], v16, v71
	s_or_b64 s[18:19], s[54:55], s[12:13]
	s_and_saveexec_b64 s[54:55], s[22:23]
	s_cbranch_execz .LBB878_908
; %bb.910:                              ;   in Loop: Header=BB878_909 Depth=1
	v_lshl_add_u64 v[22:23], v[22:23], 0, -1
	v_cmp_eq_u64_e64 s[12:13], 0, v[22:23]
	s_andn2_b64 s[22:23], s[50:51], exec
	s_and_b64 s[50:51], s[56:57], exec
	s_or_b64 s[50:51], s[22:23], s[50:51]
	s_andn2_b64 s[22:23], s[48:49], exec
	s_and_b64 s[12:13], s[12:13], exec
	v_lshl_add_u64 v[18:19], v[18:19], 0, 4
	v_lshl_add_u64 v[20:21], v[20:21], 0, 4
	s_andn2_b64 s[18:19], s[18:19], exec
	s_or_b64 s[48:49], s[22:23], s[12:13]
                                        ; implicit-def: $sgpr52_sgpr53
	s_branch .LBB878_908
.LBB878_911:
	s_or_b64 exec, exec, s[44:45]
	s_and_b64 s[12:13], s[46:47], exec
.LBB878_912:
	s_or_b64 exec, exec, s[42:43]
	s_xor_b64 s[12:13], s[12:13], -1
	s_and_b64 s[18:19], s[12:13], exec
.LBB878_913:
	s_or_b64 exec, exec, s[38:39]
	s_orn2_b64 s[38:39], s[18:19], exec
.LBB878_914:
	s_or_b64 exec, exec, s[40:41]
	v_cndmask_b32_e64 v16, v27, v70, s[38:39]
	v_cndmask_b32_e64 v18, v101, v100, s[38:39]
	v_add_u32_e32 v19, 1, v16
	v_add_u32_e32 v16, -1, v18
	v_min_u32_e32 v16, v19, v16
	v_lshl_add_u64 v[16:17], v[16:17], 3, v[66:67]
	flat_load_dwordx2 v[16:17], v[16:17]
	v_cndmask_b32_e64 v22, v19, v27, s[38:39]
	v_cndmask_b32_e64 v23, v70, v19, s[38:39]
	v_cmp_lt_u32_e64 s[12:13], v22, v101
	s_waitcnt vmcnt(0) lgkmcnt(0)
	v_cndmask_b32_e64 v27, v17, v24, s[38:39]
	v_cndmask_b32_e64 v81, v16, v25, s[38:39]
	;; [unrolled: 1-line block ×4, first 2 shown]
	s_and_saveexec_b64 s[40:41], s[12:13]
	s_cbranch_execz .LBB878_922
; %bb.915:
	v_cmp_lt_u32_e64 s[36:37], v23, v100
	s_and_b64 s[12:13], s[36:37], s[28:29]
	s_and_saveexec_b64 s[42:43], s[12:13]
	s_cbranch_execz .LBB878_921
; %bb.916:
	v_mul_lo_u32 v18, v82, v6
	v_mul_lo_u32 v19, v83, v7
	v_mad_u64_u32 v[16:17], s[12:13], v83, v6, 0
	v_add3_u32 v17, v17, v19, v18
	v_mul_lo_u32 v20, v27, v6
	v_mul_lo_u32 v21, v81, v7
	v_mad_u64_u32 v[18:19], s[12:13], v81, v6, 0
	v_add3_u32 v19, v19, v21, v20
	v_lshl_add_u64 v[16:17], v[16:17], 2, v[8:9]
	v_lshl_add_u64 v[18:19], v[18:19], 2, v[8:9]
	s_mov_b64 s[44:45], 0
	v_mov_b64_e32 v[20:21], v[6:7]
                                        ; implicit-def: $sgpr46_sgpr47
                                        ; implicit-def: $sgpr48_sgpr49
                                        ; implicit-def: $sgpr18_sgpr19
                                        ; implicit-def: $sgpr50_sgpr51
                                        ; implicit-def: $sgpr52_sgpr53
	s_branch .LBB878_918
.LBB878_917:                            ;   in Loop: Header=BB878_918 Depth=1
	s_or_b64 exec, exec, s[54:55]
	s_and_b64 s[12:13], exec, s[48:49]
	s_or_b64 s[44:45], s[12:13], s[44:45]
	s_andn2_b64 s[12:13], s[52:53], exec
	s_and_b64 s[22:23], s[50:51], exec
	s_or_b64 s[52:53], s[12:13], s[22:23]
	s_andn2_b64 s[12:13], s[46:47], exec
	s_and_b64 s[22:23], s[18:19], exec
	s_or_b64 s[46:47], s[12:13], s[22:23]
	s_andn2_b64 exec, exec, s[44:45]
	s_cbranch_execz .LBB878_920
.LBB878_918:                            ; =>This Inner Loop Header: Depth=1
	flat_load_dword v70, v[18:19]
	flat_load_dword v71, v[16:17]
	s_andn2_b64 s[54:55], s[18:19], exec
	s_andn2_b64 s[50:51], s[50:51], exec
	s_or_b64 s[48:49], s[48:49], exec
	s_waitcnt vmcnt(0) lgkmcnt(0)
	v_cmp_ngt_f32_e64 s[18:19], v70, v71
	v_cmp_lt_f32_e64 s[12:13], v70, v71
	s_and_b64 s[18:19], s[18:19], s[52:53]
	s_or_b64 s[56:57], s[12:13], s[18:19]
	s_and_b64 s[12:13], s[56:57], exec
	v_cmp_nlg_f32_e64 s[22:23], v70, v71
	s_or_b64 s[18:19], s[54:55], s[12:13]
	s_and_saveexec_b64 s[54:55], s[22:23]
	s_cbranch_execz .LBB878_917
; %bb.919:                              ;   in Loop: Header=BB878_918 Depth=1
	v_lshl_add_u64 v[20:21], v[20:21], 0, -1
	v_cmp_eq_u64_e64 s[12:13], 0, v[20:21]
	s_andn2_b64 s[22:23], s[50:51], exec
	s_and_b64 s[50:51], s[56:57], exec
	s_or_b64 s[50:51], s[22:23], s[50:51]
	s_andn2_b64 s[22:23], s[48:49], exec
	s_and_b64 s[12:13], s[12:13], exec
	v_lshl_add_u64 v[16:17], v[16:17], 0, 4
	v_lshl_add_u64 v[18:19], v[18:19], 0, 4
	s_andn2_b64 s[18:19], s[18:19], exec
	s_or_b64 s[48:49], s[22:23], s[12:13]
                                        ; implicit-def: $sgpr52_sgpr53
	s_branch .LBB878_917
.LBB878_920:
	s_or_b64 exec, exec, s[44:45]
	s_xor_b64 s[12:13], s[46:47], -1
	s_andn2_b64 s[18:19], s[36:37], exec
	s_and_b64 s[12:13], s[12:13], exec
	s_or_b64 s[36:37], s[18:19], s[12:13]
.LBB878_921:
	s_or_b64 exec, exec, s[42:43]
	s_orn2_b64 s[36:37], s[36:37], exec
.LBB878_922:
	s_or_b64 exec, exec, s[40:41]
	v_cndmask_b32_e64 v16, v22, v23, s[36:37]
	v_cndmask_b32_e64 v17, v101, v100, s[36:37]
	v_add_u32_e32 v20, 1, v16
	v_add_u32_e32 v16, -1, v17
	v_min_u32_e32 v16, v20, v16
	v_mov_b32_e32 v17, 0
	v_lshl_add_u64 v[18:19], v[16:17], 3, v[66:67]
	flat_load_dwordx2 v[18:19], v[18:19]
	v_cndmask_b32_e64 v70, v20, v22, s[36:37]
	s_mov_b64 s[40:41], -1
	v_cndmask_b32_e64 v71, v23, v20, s[36:37]
	v_cmp_lt_u32_e64 s[12:13], v70, v101
	s_mov_b64 s[42:43], -1
	s_waitcnt vmcnt(0) lgkmcnt(0)
	v_cndmask_b32_e64 v84, v19, v27, s[36:37]
	v_cndmask_b32_e64 v85, v18, v81, s[36:37]
	;; [unrolled: 1-line block ×4, first 2 shown]
	s_and_saveexec_b64 s[44:45], s[12:13]
	s_cbranch_execz .LBB878_930
; %bb.923:
	v_cmp_lt_u32_e64 s[42:43], v71, v100
	s_and_b64 s[12:13], s[42:43], s[28:29]
	s_and_saveexec_b64 s[46:47], s[12:13]
	s_cbranch_execz .LBB878_929
; %bb.924:
	v_mul_lo_u32 v16, v86, v6
	v_mul_lo_u32 v20, v87, v7
	v_mad_u64_u32 v[18:19], s[12:13], v87, v6, 0
	v_add3_u32 v19, v19, v20, v16
	v_mul_lo_u32 v16, v84, v6
	v_mul_lo_u32 v22, v85, v7
	v_mad_u64_u32 v[20:21], s[12:13], v85, v6, 0
	v_add3_u32 v21, v21, v22, v16
	v_lshl_add_u64 v[18:19], v[18:19], 2, v[8:9]
	v_lshl_add_u64 v[20:21], v[20:21], 2, v[8:9]
	s_mov_b64 s[48:49], 0
	v_mov_b64_e32 v[22:23], v[6:7]
                                        ; implicit-def: $sgpr50_sgpr51
                                        ; implicit-def: $sgpr52_sgpr53
                                        ; implicit-def: $sgpr18_sgpr19
                                        ; implicit-def: $sgpr54_sgpr55
                                        ; implicit-def: $sgpr56_sgpr57
	s_branch .LBB878_926
.LBB878_925:                            ;   in Loop: Header=BB878_926 Depth=1
	s_or_b64 exec, exec, s[58:59]
	s_and_b64 s[12:13], exec, s[52:53]
	s_or_b64 s[48:49], s[12:13], s[48:49]
	s_andn2_b64 s[12:13], s[56:57], exec
	s_and_b64 s[22:23], s[54:55], exec
	s_or_b64 s[56:57], s[12:13], s[22:23]
	s_andn2_b64 s[12:13], s[50:51], exec
	s_and_b64 s[22:23], s[18:19], exec
	s_or_b64 s[50:51], s[12:13], s[22:23]
	s_andn2_b64 exec, exec, s[48:49]
	s_cbranch_execz .LBB878_928
.LBB878_926:                            ; =>This Inner Loop Header: Depth=1
	flat_load_dword v16, v[20:21]
	flat_load_dword v96, v[18:19]
	s_andn2_b64 s[58:59], s[18:19], exec
	s_andn2_b64 s[54:55], s[54:55], exec
	s_or_b64 s[52:53], s[52:53], exec
	s_waitcnt vmcnt(0) lgkmcnt(0)
	v_cmp_ngt_f32_e64 s[18:19], v16, v96
	v_cmp_lt_f32_e64 s[12:13], v16, v96
	s_and_b64 s[18:19], s[18:19], s[56:57]
	s_or_b64 s[60:61], s[12:13], s[18:19]
	s_and_b64 s[12:13], s[60:61], exec
	v_cmp_nlg_f32_e64 s[22:23], v16, v96
	s_or_b64 s[18:19], s[58:59], s[12:13]
	s_and_saveexec_b64 s[58:59], s[22:23]
	s_cbranch_execz .LBB878_925
; %bb.927:                              ;   in Loop: Header=BB878_926 Depth=1
	v_lshl_add_u64 v[22:23], v[22:23], 0, -1
	v_cmp_eq_u64_e64 s[12:13], 0, v[22:23]
	s_andn2_b64 s[22:23], s[54:55], exec
	s_and_b64 s[54:55], s[60:61], exec
	s_or_b64 s[54:55], s[22:23], s[54:55]
	s_andn2_b64 s[22:23], s[52:53], exec
	s_and_b64 s[12:13], s[12:13], exec
	v_lshl_add_u64 v[18:19], v[18:19], 0, 4
	v_lshl_add_u64 v[20:21], v[20:21], 0, 4
	s_andn2_b64 s[18:19], s[18:19], exec
	s_or_b64 s[52:53], s[22:23], s[12:13]
                                        ; implicit-def: $sgpr56_sgpr57
	s_branch .LBB878_925
.LBB878_928:
	s_or_b64 exec, exec, s[48:49]
	s_xor_b64 s[12:13], s[50:51], -1
	s_andn2_b64 s[18:19], s[42:43], exec
	s_and_b64 s[12:13], s[12:13], exec
	s_or_b64 s[42:43], s[18:19], s[12:13]
.LBB878_929:
	s_or_b64 exec, exec, s[46:47]
	s_orn2_b64 s[42:43], s[42:43], exec
.LBB878_930:
	s_or_b64 exec, exec, s[44:45]
	v_cndmask_b32_e64 v16, v70, v71, s[42:43]
	v_cndmask_b32_e64 v18, v101, v100, s[42:43]
	v_add_u32_e32 v19, 1, v16
	v_add_u32_e32 v16, -1, v18
	v_min_u32_e32 v16, v19, v16
	v_lshl_add_u64 v[16:17], v[16:17], 3, v[66:67]
	flat_load_dwordx2 v[16:17], v[16:17]
	v_cndmask_b32_e64 v22, v19, v70, s[42:43]
	v_cndmask_b32_e64 v23, v71, v19, s[42:43]
	v_cmp_lt_u32_e64 s[12:13], v22, v101
	s_waitcnt vmcnt(0) lgkmcnt(0)
	v_cndmask_b32_e64 v96, v17, v84, s[42:43]
	v_cndmask_b32_e64 v97, v16, v85, s[42:43]
	;; [unrolled: 1-line block ×4, first 2 shown]
	s_and_saveexec_b64 s[44:45], s[12:13]
	s_cbranch_execz .LBB878_938
; %bb.931:
	v_cmp_lt_u32_e64 s[40:41], v23, v100
	s_and_b64 s[12:13], s[40:41], s[28:29]
	s_and_saveexec_b64 s[46:47], s[12:13]
	s_cbranch_execz .LBB878_937
; %bb.932:
	v_mul_lo_u32 v18, v98, v6
	v_mul_lo_u32 v19, v99, v7
	v_mad_u64_u32 v[16:17], s[12:13], v99, v6, 0
	v_add3_u32 v17, v17, v19, v18
	v_mul_lo_u32 v20, v96, v6
	v_mul_lo_u32 v21, v97, v7
	v_mad_u64_u32 v[18:19], s[12:13], v97, v6, 0
	v_add3_u32 v19, v19, v21, v20
	v_lshl_add_u64 v[16:17], v[16:17], 2, v[8:9]
	v_lshl_add_u64 v[18:19], v[18:19], 2, v[8:9]
	s_mov_b64 s[48:49], 0
	v_mov_b64_e32 v[20:21], v[6:7]
                                        ; implicit-def: $sgpr50_sgpr51
                                        ; implicit-def: $sgpr52_sgpr53
                                        ; implicit-def: $sgpr18_sgpr19
                                        ; implicit-def: $sgpr54_sgpr55
                                        ; implicit-def: $sgpr56_sgpr57
	s_branch .LBB878_934
.LBB878_933:                            ;   in Loop: Header=BB878_934 Depth=1
	s_or_b64 exec, exec, s[58:59]
	s_and_b64 s[12:13], exec, s[52:53]
	s_or_b64 s[48:49], s[12:13], s[48:49]
	s_andn2_b64 s[12:13], s[56:57], exec
	s_and_b64 s[22:23], s[54:55], exec
	s_or_b64 s[56:57], s[12:13], s[22:23]
	s_andn2_b64 s[12:13], s[50:51], exec
	s_and_b64 s[22:23], s[18:19], exec
	s_or_b64 s[50:51], s[12:13], s[22:23]
	s_andn2_b64 exec, exec, s[48:49]
	s_cbranch_execz .LBB878_936
.LBB878_934:                            ; =>This Inner Loop Header: Depth=1
	flat_load_dword v70, v[18:19]
	flat_load_dword v71, v[16:17]
	s_andn2_b64 s[58:59], s[18:19], exec
	s_andn2_b64 s[54:55], s[54:55], exec
	s_or_b64 s[52:53], s[52:53], exec
	s_waitcnt vmcnt(0) lgkmcnt(0)
	v_cmp_ngt_f32_e64 s[18:19], v70, v71
	v_cmp_lt_f32_e64 s[12:13], v70, v71
	s_and_b64 s[18:19], s[18:19], s[56:57]
	s_or_b64 s[60:61], s[12:13], s[18:19]
	s_and_b64 s[12:13], s[60:61], exec
	v_cmp_nlg_f32_e64 s[22:23], v70, v71
	s_or_b64 s[18:19], s[58:59], s[12:13]
	s_and_saveexec_b64 s[58:59], s[22:23]
	s_cbranch_execz .LBB878_933
; %bb.935:                              ;   in Loop: Header=BB878_934 Depth=1
	v_lshl_add_u64 v[20:21], v[20:21], 0, -1
	v_cmp_eq_u64_e64 s[12:13], 0, v[20:21]
	s_andn2_b64 s[22:23], s[54:55], exec
	s_and_b64 s[54:55], s[60:61], exec
	s_or_b64 s[54:55], s[22:23], s[54:55]
	s_andn2_b64 s[22:23], s[52:53], exec
	s_and_b64 s[12:13], s[12:13], exec
	v_lshl_add_u64 v[16:17], v[16:17], 0, 4
	v_lshl_add_u64 v[18:19], v[18:19], 0, 4
	s_andn2_b64 s[18:19], s[18:19], exec
	s_or_b64 s[52:53], s[22:23], s[12:13]
                                        ; implicit-def: $sgpr56_sgpr57
	s_branch .LBB878_933
.LBB878_936:
	s_or_b64 exec, exec, s[48:49]
	s_xor_b64 s[12:13], s[50:51], -1
	s_andn2_b64 s[18:19], s[40:41], exec
	s_and_b64 s[12:13], s[12:13], exec
	s_or_b64 s[40:41], s[18:19], s[12:13]
.LBB878_937:
	s_or_b64 exec, exec, s[46:47]
	s_orn2_b64 s[40:41], s[40:41], exec
.LBB878_938:
	s_or_b64 exec, exec, s[44:45]
	v_cndmask_b32_e64 v16, v22, v23, s[40:41]
	v_cndmask_b32_e64 v17, v101, v100, s[40:41]
	v_add_u32_e32 v20, 1, v16
	v_add_u32_e32 v16, -1, v17
	v_min_u32_e32 v16, v20, v16
	v_mov_b32_e32 v17, 0
	v_lshl_add_u64 v[18:19], v[16:17], 3, v[66:67]
	flat_load_dwordx2 v[18:19], v[18:19]
	v_cndmask_b32_e64 v70, v20, v22, s[40:41]
	s_mov_b64 s[44:45], -1
	v_cndmask_b32_e64 v71, v23, v20, s[40:41]
	v_cmp_lt_u32_e64 s[12:13], v70, v101
	s_mov_b64 s[46:47], -1
	s_waitcnt vmcnt(0) lgkmcnt(0)
	v_cndmask_b32_e64 v102, v19, v96, s[40:41]
	v_cndmask_b32_e64 v103, v18, v97, s[40:41]
	;; [unrolled: 1-line block ×4, first 2 shown]
	s_and_saveexec_b64 s[48:49], s[12:13]
	s_cbranch_execz .LBB878_946
; %bb.939:
	v_cmp_lt_u32_e64 s[46:47], v71, v100
	s_and_b64 s[12:13], s[46:47], s[28:29]
	s_and_saveexec_b64 s[50:51], s[12:13]
	s_cbranch_execz .LBB878_945
; %bb.940:
	v_mul_lo_u32 v16, v112, v6
	v_mul_lo_u32 v20, v113, v7
	v_mad_u64_u32 v[18:19], s[12:13], v113, v6, 0
	v_add3_u32 v19, v19, v20, v16
	v_mul_lo_u32 v16, v102, v6
	v_mul_lo_u32 v22, v103, v7
	v_mad_u64_u32 v[20:21], s[12:13], v103, v6, 0
	v_add3_u32 v21, v21, v22, v16
	v_lshl_add_u64 v[18:19], v[18:19], 2, v[8:9]
	v_lshl_add_u64 v[20:21], v[20:21], 2, v[8:9]
	s_mov_b64 s[52:53], 0
	v_mov_b64_e32 v[22:23], v[6:7]
                                        ; implicit-def: $sgpr54_sgpr55
                                        ; implicit-def: $sgpr56_sgpr57
                                        ; implicit-def: $sgpr18_sgpr19
                                        ; implicit-def: $sgpr58_sgpr59
                                        ; implicit-def: $sgpr60_sgpr61
	s_branch .LBB878_942
.LBB878_941:                            ;   in Loop: Header=BB878_942 Depth=1
	s_or_b64 exec, exec, s[62:63]
	s_and_b64 s[12:13], exec, s[56:57]
	s_or_b64 s[52:53], s[12:13], s[52:53]
	s_andn2_b64 s[12:13], s[60:61], exec
	s_and_b64 s[22:23], s[58:59], exec
	s_or_b64 s[60:61], s[12:13], s[22:23]
	s_andn2_b64 s[12:13], s[54:55], exec
	s_and_b64 s[22:23], s[18:19], exec
	s_or_b64 s[54:55], s[12:13], s[22:23]
	s_andn2_b64 exec, exec, s[52:53]
	s_cbranch_execz .LBB878_944
.LBB878_942:                            ; =>This Inner Loop Header: Depth=1
	flat_load_dword v16, v[20:21]
	flat_load_dword v114, v[18:19]
	s_andn2_b64 s[62:63], s[18:19], exec
	s_andn2_b64 s[58:59], s[58:59], exec
	s_or_b64 s[56:57], s[56:57], exec
	s_waitcnt vmcnt(0) lgkmcnt(0)
	v_cmp_ngt_f32_e64 s[18:19], v16, v114
	v_cmp_lt_f32_e64 s[12:13], v16, v114
	s_and_b64 s[18:19], s[18:19], s[60:61]
	s_or_b64 s[64:65], s[12:13], s[18:19]
	s_and_b64 s[12:13], s[64:65], exec
	v_cmp_nlg_f32_e64 s[22:23], v16, v114
	s_or_b64 s[18:19], s[62:63], s[12:13]
	s_and_saveexec_b64 s[62:63], s[22:23]
	s_cbranch_execz .LBB878_941
; %bb.943:                              ;   in Loop: Header=BB878_942 Depth=1
	v_lshl_add_u64 v[22:23], v[22:23], 0, -1
	v_cmp_eq_u64_e64 s[12:13], 0, v[22:23]
	s_andn2_b64 s[22:23], s[58:59], exec
	s_and_b64 s[58:59], s[64:65], exec
	s_or_b64 s[58:59], s[22:23], s[58:59]
	s_andn2_b64 s[22:23], s[56:57], exec
	s_and_b64 s[12:13], s[12:13], exec
	v_lshl_add_u64 v[18:19], v[18:19], 0, 4
	v_lshl_add_u64 v[20:21], v[20:21], 0, 4
	s_andn2_b64 s[18:19], s[18:19], exec
	s_or_b64 s[56:57], s[22:23], s[12:13]
                                        ; implicit-def: $sgpr60_sgpr61
	s_branch .LBB878_941
.LBB878_944:
	s_or_b64 exec, exec, s[52:53]
	s_xor_b64 s[12:13], s[54:55], -1
	s_andn2_b64 s[18:19], s[46:47], exec
	s_and_b64 s[12:13], s[12:13], exec
	s_or_b64 s[46:47], s[18:19], s[12:13]
.LBB878_945:
	s_or_b64 exec, exec, s[50:51]
	s_orn2_b64 s[46:47], s[46:47], exec
.LBB878_946:
	s_or_b64 exec, exec, s[48:49]
	v_cndmask_b32_e64 v16, v70, v71, s[46:47]
	v_cndmask_b32_e64 v18, v101, v100, s[46:47]
	v_add_u32_e32 v19, 1, v16
	v_add_u32_e32 v16, -1, v18
	v_min_u32_e32 v16, v19, v16
	v_lshl_add_u64 v[16:17], v[16:17], 3, v[66:67]
	flat_load_dwordx2 v[16:17], v[16:17]
	v_cndmask_b32_e64 v117, v19, v70, s[46:47]
	v_cndmask_b32_e64 v114, v71, v19, s[46:47]
	v_cmp_lt_u32_e64 s[12:13], v117, v101
	s_waitcnt vmcnt(0) lgkmcnt(0)
	v_cndmask_b32_e64 v115, v17, v102, s[46:47]
	v_cndmask_b32_e64 v116, v16, v103, s[46:47]
	v_cndmask_b32_e64 v118, v112, v17, s[46:47]
	v_cndmask_b32_e64 v119, v113, v16, s[46:47]
	s_and_saveexec_b64 s[48:49], s[12:13]
	s_cbranch_execz .LBB878_954
; %bb.947:
	v_cmp_lt_u32_e64 s[44:45], v114, v100
	s_and_b64 s[12:13], s[44:45], s[28:29]
	s_and_saveexec_b64 s[50:51], s[12:13]
	s_cbranch_execz .LBB878_953
; %bb.948:
	v_mul_lo_u32 v18, v118, v6
	v_mul_lo_u32 v19, v119, v7
	v_mad_u64_u32 v[16:17], s[12:13], v119, v6, 0
	v_add3_u32 v17, v17, v19, v18
	v_mul_lo_u32 v20, v115, v6
	v_mul_lo_u32 v21, v116, v7
	v_mad_u64_u32 v[18:19], s[12:13], v116, v6, 0
	v_add3_u32 v19, v19, v21, v20
	v_lshl_add_u64 v[16:17], v[16:17], 2, v[8:9]
	v_lshl_add_u64 v[18:19], v[18:19], 2, v[8:9]
	s_mov_b64 s[52:53], 0
	v_mov_b64_e32 v[20:21], v[6:7]
                                        ; implicit-def: $sgpr54_sgpr55
                                        ; implicit-def: $sgpr56_sgpr57
                                        ; implicit-def: $sgpr18_sgpr19
                                        ; implicit-def: $sgpr58_sgpr59
                                        ; implicit-def: $sgpr60_sgpr61
	s_branch .LBB878_950
.LBB878_949:                            ;   in Loop: Header=BB878_950 Depth=1
	s_or_b64 exec, exec, s[62:63]
	s_and_b64 s[12:13], exec, s[56:57]
	s_or_b64 s[52:53], s[12:13], s[52:53]
	s_andn2_b64 s[12:13], s[60:61], exec
	s_and_b64 s[22:23], s[58:59], exec
	s_or_b64 s[60:61], s[12:13], s[22:23]
	s_andn2_b64 s[12:13], s[54:55], exec
	s_and_b64 s[22:23], s[18:19], exec
	s_or_b64 s[54:55], s[12:13], s[22:23]
	s_andn2_b64 exec, exec, s[52:53]
	s_cbranch_execz .LBB878_952
.LBB878_950:                            ; =>This Inner Loop Header: Depth=1
	flat_load_dword v22, v[18:19]
	flat_load_dword v23, v[16:17]
	s_andn2_b64 s[62:63], s[18:19], exec
	s_andn2_b64 s[58:59], s[58:59], exec
	s_or_b64 s[56:57], s[56:57], exec
	s_waitcnt vmcnt(0) lgkmcnt(0)
	v_cmp_ngt_f32_e64 s[18:19], v22, v23
	v_cmp_lt_f32_e64 s[12:13], v22, v23
	s_and_b64 s[18:19], s[18:19], s[60:61]
	s_or_b64 s[64:65], s[12:13], s[18:19]
	s_and_b64 s[12:13], s[64:65], exec
	v_cmp_nlg_f32_e64 s[22:23], v22, v23
	s_or_b64 s[18:19], s[62:63], s[12:13]
	s_and_saveexec_b64 s[62:63], s[22:23]
	s_cbranch_execz .LBB878_949
; %bb.951:                              ;   in Loop: Header=BB878_950 Depth=1
	v_lshl_add_u64 v[20:21], v[20:21], 0, -1
	v_cmp_eq_u64_e64 s[12:13], 0, v[20:21]
	s_andn2_b64 s[22:23], s[58:59], exec
	s_and_b64 s[58:59], s[64:65], exec
	s_or_b64 s[58:59], s[22:23], s[58:59]
	s_andn2_b64 s[22:23], s[56:57], exec
	s_and_b64 s[12:13], s[12:13], exec
	v_lshl_add_u64 v[16:17], v[16:17], 0, 4
	v_lshl_add_u64 v[18:19], v[18:19], 0, 4
	s_andn2_b64 s[18:19], s[18:19], exec
	s_or_b64 s[56:57], s[22:23], s[12:13]
                                        ; implicit-def: $sgpr60_sgpr61
	s_branch .LBB878_949
.LBB878_952:
	s_or_b64 exec, exec, s[52:53]
	s_xor_b64 s[12:13], s[54:55], -1
	s_andn2_b64 s[18:19], s[44:45], exec
	s_and_b64 s[12:13], s[12:13], exec
	s_or_b64 s[44:45], s[18:19], s[12:13]
.LBB878_953:
	s_or_b64 exec, exec, s[50:51]
	s_orn2_b64 s[44:45], s[44:45], exec
.LBB878_954:
	s_or_b64 exec, exec, s[48:49]
	v_cndmask_b32_e64 v16, v117, v114, s[44:45]
	v_cndmask_b32_e64 v17, v101, v100, s[44:45]
	v_add_u32_e32 v128, 1, v16
	v_add_u32_e32 v16, -1, v17
	v_min_u32_e32 v16, v128, v16
	v_mov_b32_e32 v17, 0
	v_lshl_add_u64 v[16:17], v[16:17], 3, v[66:67]
	flat_load_dwordx2 v[70:71], v[16:17]
	v_cndmask_b32_e64 v21, v27, v82, s[36:37]
	v_cndmask_b32_e64 v27, v24, v26, s[38:39]
	;; [unrolled: 1-line block ×15, first 2 shown]
	v_cmp_lt_u32_e64 s[12:13], v80, v101
	s_waitcnt vmcnt(0) lgkmcnt(0)
	v_cndmask_b32_e64 v15, v118, v71, s[44:45]
	v_cndmask_b32_e64 v14, v119, v70, s[44:45]
	s_and_saveexec_b64 s[34:35], s[12:13]
	s_cbranch_execz .LBB878_962
; %bb.955:
	v_cndmask_b32_e64 v85, v70, v116, s[44:45]
	v_cndmask_b32_e64 v70, v114, v128, s[44:45]
	v_cmp_ge_u32_e64 s[12:13], v70, v100
	v_cndmask_b32_e64 v84, v71, v115, s[44:45]
	s_or_b64 s[18:19], s[12:13], s[8:9]
	v_cndmask_b32_e64 v71, v15, v84, s[12:13]
	s_xor_b64 s[18:19], s[18:19], -1
	v_cndmask_b32_e64 v70, v14, v85, s[12:13]
	s_and_saveexec_b64 s[36:37], s[18:19]
	s_cbranch_execz .LBB878_961
; %bb.956:
	v_mul_lo_u32 v80, v15, v6
	v_mul_lo_u32 v81, v14, v7
	v_mad_u64_u32 v[70:71], s[12:13], v14, v6, 0
	v_add3_u32 v71, v71, v81, v80
	v_mul_lo_u32 v82, v84, v6
	v_mul_lo_u32 v83, v85, v7
	v_mad_u64_u32 v[80:81], s[12:13], v85, v6, 0
	v_add3_u32 v81, v81, v83, v82
	v_lshl_add_u64 v[70:71], v[70:71], 2, v[8:9]
	v_lshl_add_u64 v[80:81], v[80:81], 2, v[8:9]
	s_mov_b64 s[38:39], 0
	v_mov_b64_e32 v[82:83], v[6:7]
                                        ; implicit-def: $sgpr40_sgpr41
                                        ; implicit-def: $sgpr42_sgpr43
                                        ; implicit-def: $sgpr18_sgpr19
                                        ; implicit-def: $sgpr44_sgpr45
                                        ; implicit-def: $sgpr46_sgpr47
	s_branch .LBB878_958
.LBB878_957:                            ;   in Loop: Header=BB878_958 Depth=1
	s_or_b64 exec, exec, s[48:49]
	s_and_b64 s[12:13], exec, s[42:43]
	s_or_b64 s[38:39], s[12:13], s[38:39]
	s_andn2_b64 s[12:13], s[46:47], exec
	s_and_b64 s[22:23], s[44:45], exec
	s_or_b64 s[46:47], s[12:13], s[22:23]
	s_andn2_b64 s[12:13], s[40:41], exec
	s_and_b64 s[22:23], s[18:19], exec
	s_or_b64 s[40:41], s[12:13], s[22:23]
	s_andn2_b64 exec, exec, s[38:39]
	s_cbranch_execz .LBB878_960
.LBB878_958:                            ; =>This Inner Loop Header: Depth=1
	flat_load_dword v86, v[80:81]
	flat_load_dword v87, v[70:71]
	s_andn2_b64 s[48:49], s[18:19], exec
	s_andn2_b64 s[44:45], s[44:45], exec
	s_or_b64 s[42:43], s[42:43], exec
	s_waitcnt vmcnt(0) lgkmcnt(0)
	v_cmp_ngt_f32_e64 s[18:19], v86, v87
	v_cmp_lt_f32_e64 s[12:13], v86, v87
	s_and_b64 s[18:19], s[18:19], s[46:47]
	s_or_b64 s[50:51], s[12:13], s[18:19]
	s_and_b64 s[12:13], s[50:51], exec
	v_cmp_nlg_f32_e64 s[22:23], v86, v87
	s_or_b64 s[18:19], s[48:49], s[12:13]
	s_and_saveexec_b64 s[48:49], s[22:23]
	s_cbranch_execz .LBB878_957
; %bb.959:                              ;   in Loop: Header=BB878_958 Depth=1
	v_lshl_add_u64 v[82:83], v[82:83], 0, -1
	v_cmp_eq_u64_e64 s[12:13], 0, v[82:83]
	s_andn2_b64 s[22:23], s[44:45], exec
	s_and_b64 s[44:45], s[50:51], exec
	s_or_b64 s[44:45], s[22:23], s[44:45]
	s_andn2_b64 s[22:23], s[42:43], exec
	s_and_b64 s[12:13], s[12:13], exec
	v_lshl_add_u64 v[70:71], v[70:71], 0, 4
	v_lshl_add_u64 v[80:81], v[80:81], 0, 4
	s_andn2_b64 s[18:19], s[18:19], exec
	s_or_b64 s[42:43], s[22:23], s[12:13]
                                        ; implicit-def: $sgpr46_sgpr47
	s_branch .LBB878_957
.LBB878_960:
	s_or_b64 exec, exec, s[38:39]
	v_cndmask_b32_e64 v71, v15, v84, s[40:41]
	v_cndmask_b32_e64 v70, v14, v85, s[40:41]
.LBB878_961:
	s_or_b64 exec, exec, s[36:37]
	v_mov_b64_e32 v[14:15], v[70:71]
.LBB878_962:
	s_or_b64 exec, exec, s[34:35]
.LBB878_963:
	s_or_b64 exec, exec, s[30:31]
	v_and_b32_e32 v102, 0x3e0, v31
	v_or_b32_e32 v70, 16, v102
	v_min_u32_e32 v100, v1, v70
	v_add_u32_e32 v70, 16, v100
	v_min_u32_e32 v101, v1, v70
	v_and_b32_e32 v70, 24, v31
	v_min_u32_e32 v103, v1, v70
	v_sub_u32_e32 v70, v100, v102
	v_sub_u32_e32 v71, v101, v100
	v_sub_u32_e64 v112, v103, v71 clamp
	v_min_u32_e32 v113, v103, v70
	v_cmp_lt_u32_e64 s[12:13], v112, v113
	; wave barrier
	flat_store_dwordx4 v[68:69], v[24:27]
	flat_store_dwordx4 v[68:69], v[20:23] offset:16
	flat_store_dwordx4 v[68:69], v[16:19] offset:32
	;; [unrolled: 1-line block ×3, first 2 shown]
	; wave barrier
	s_and_saveexec_b64 s[30:31], s[12:13]
	s_cbranch_execz .LBB878_973
; %bb.964:
	v_lshlrev_b32_e32 v70, 3, v102
	v_mov_b32_e32 v71, 0
	v_lshl_add_u64 v[80:81], v[66:67], 0, v[70:71]
	v_lshlrev_b32_e32 v70, 3, v100
	v_lshl_add_u64 v[82:83], v[66:67], 0, v[70:71]
	s_mov_b64 s[34:35], 0
	s_branch .LBB878_967
.LBB878_965:                            ;   in Loop: Header=BB878_967 Depth=1
	s_or_b64 exec, exec, s[38:39]
	s_and_b64 s[12:13], s[40:41], exec
.LBB878_966:                            ;   in Loop: Header=BB878_967 Depth=1
	s_or_b64 exec, exec, s[36:37]
	v_add_u32_e32 v70, 1, v84
	v_cndmask_b32_e64 v113, v113, v84, s[12:13]
	v_cndmask_b32_e64 v112, v70, v112, s[12:13]
	v_cmp_ge_u32_e64 s[12:13], v112, v113
	s_or_b64 s[34:35], s[12:13], s[34:35]
	s_andn2_b64 exec, exec, s[34:35]
	s_cbranch_execz .LBB878_972
.LBB878_967:                            ; =>This Loop Header: Depth=1
                                        ;     Child Loop BB878_970 Depth 2
	v_add_u32_e32 v70, v113, v112
	v_lshrrev_b32_e32 v84, 1, v70
	s_mov_b64 s[12:13], 0
	s_and_saveexec_b64 s[36:37], s[16:17]
	s_cbranch_execz .LBB878_966
; %bb.968:                              ;   in Loop: Header=BB878_967 Depth=1
	v_mov_b32_e32 v85, v71
	v_xad_u32 v70, v84, -1, v103
	v_lshl_add_u64 v[86:87], v[84:85], 3, v[80:81]
	v_lshl_add_u64 v[96:97], v[70:71], 3, v[82:83]
	flat_load_dwordx2 v[86:87], v[86:87]
	s_mov_b64 s[38:39], 0
	flat_load_dwordx2 v[96:97], v[96:97]
                                        ; implicit-def: $sgpr40_sgpr41
                                        ; implicit-def: $sgpr42_sgpr43
                                        ; implicit-def: $sgpr44_sgpr45
                                        ; implicit-def: $sgpr18_sgpr19
                                        ; implicit-def: $sgpr46_sgpr47
	s_waitcnt vmcnt(0) lgkmcnt(0)
	v_mul_lo_u32 v70, v64, v87
	v_mul_lo_u32 v85, v65, v86
	v_mad_u64_u32 v[86:87], s[12:13], v64, v86, v[8:9]
	v_mul_lo_u32 v98, v64, v97
	v_mul_lo_u32 v99, v65, v96
	v_mad_u64_u32 v[96:97], s[12:13], v64, v96, v[8:9]
	v_add3_u32 v87, v85, v87, v70
	v_add3_u32 v97, v99, v97, v98
	v_mov_b64_e32 v[98:99], v[6:7]
	s_branch .LBB878_970
.LBB878_969:                            ;   in Loop: Header=BB878_970 Depth=2
	s_or_b64 exec, exec, s[48:49]
	s_and_b64 s[12:13], exec, s[42:43]
	s_or_b64 s[38:39], s[12:13], s[38:39]
	s_andn2_b64 s[12:13], s[46:47], exec
	s_and_b64 s[22:23], s[44:45], exec
	s_or_b64 s[46:47], s[12:13], s[22:23]
	s_andn2_b64 s[12:13], s[40:41], exec
	s_and_b64 s[22:23], s[18:19], exec
	s_or_b64 s[40:41], s[12:13], s[22:23]
	s_andn2_b64 exec, exec, s[38:39]
	s_cbranch_execz .LBB878_965
.LBB878_970:                            ;   Parent Loop BB878_967 Depth=1
                                        ; =>  This Inner Loop Header: Depth=2
	flat_load_dword v70, v[96:97]
	flat_load_dword v85, v[86:87]
	s_andn2_b64 s[48:49], s[18:19], exec
	s_andn2_b64 s[44:45], s[44:45], exec
	s_or_b64 s[42:43], s[42:43], exec
	s_waitcnt vmcnt(0) lgkmcnt(0)
	v_cmp_ngt_f32_e64 s[18:19], v70, v85
	v_cmp_lt_f32_e64 s[12:13], v70, v85
	s_and_b64 s[18:19], s[18:19], s[46:47]
	s_or_b64 s[50:51], s[12:13], s[18:19]
	s_and_b64 s[12:13], s[50:51], exec
	v_cmp_nlg_f32_e64 s[22:23], v70, v85
	s_or_b64 s[18:19], s[48:49], s[12:13]
	s_and_saveexec_b64 s[48:49], s[22:23]
	s_cbranch_execz .LBB878_969
; %bb.971:                              ;   in Loop: Header=BB878_970 Depth=2
	v_lshl_add_u64 v[98:99], v[98:99], 0, -1
	v_cmp_eq_u64_e64 s[12:13], 0, v[98:99]
	s_andn2_b64 s[22:23], s[44:45], exec
	s_and_b64 s[44:45], s[50:51], exec
	s_or_b64 s[44:45], s[22:23], s[44:45]
	s_andn2_b64 s[22:23], s[42:43], exec
	s_and_b64 s[12:13], s[12:13], exec
	v_lshl_add_u64 v[86:87], v[86:87], 0, 4
	v_lshl_add_u64 v[96:97], v[96:97], 0, 4
	s_andn2_b64 s[18:19], s[18:19], exec
	s_or_b64 s[42:43], s[22:23], s[12:13]
                                        ; implicit-def: $sgpr46_sgpr47
	s_branch .LBB878_969
.LBB878_972:
	s_or_b64 exec, exec, s[34:35]
.LBB878_973:
	s_or_b64 exec, exec, s[30:31]
	v_add_u32_e32 v71, v100, v103
	v_add_u32_e32 v70, v112, v102
	v_sub_u32_e32 v80, v71, v112
	v_cmp_le_u32_e64 s[12:13], v70, v100
	v_cmp_le_u32_e64 s[18:19], v80, v101
	s_or_b64 s[12:13], s[12:13], s[18:19]
	s_and_saveexec_b64 s[30:31], s[12:13]
	s_cbranch_execz .LBB878_1045
; %bb.974:
	v_cmp_ge_u32_e64 s[18:19], v70, v100
	v_cmp_lt_u32_e64 s[12:13], v70, v100
                                        ; implicit-def: $vgpr12_vgpr13
	s_and_saveexec_b64 s[22:23], s[12:13]
	s_cbranch_execz .LBB878_976
; %bb.975:
	v_mov_b32_e32 v71, 0
	v_lshl_add_u64 v[12:13], v[70:71], 3, v[66:67]
	flat_load_dwordx2 v[12:13], v[12:13]
.LBB878_976:
	s_or_b64 exec, exec, s[22:23]
	v_cmp_ge_u32_e64 s[34:35], v80, v101
	v_cmp_lt_u32_e64 s[12:13], v80, v101
                                        ; implicit-def: $vgpr14_vgpr15
	s_and_saveexec_b64 s[22:23], s[12:13]
	s_cbranch_execz .LBB878_978
; %bb.977:
	v_mov_b32_e32 v81, 0
	v_lshl_add_u64 v[14:15], v[80:81], 3, v[66:67]
	flat_load_dwordx2 v[14:15], v[14:15]
.LBB878_978:
	s_or_b64 exec, exec, s[22:23]
	s_or_b64 s[12:13], s[18:19], s[34:35]
	s_xor_b64 s[12:13], s[12:13], -1
	s_and_saveexec_b64 s[36:37], s[12:13]
	s_cbranch_execz .LBB878_986
; %bb.979:
	s_mov_b64 s[12:13], 0
	s_and_saveexec_b64 s[38:39], s[16:17]
	s_cbranch_execz .LBB878_985
; %bb.980:
	s_waitcnt vmcnt(0) lgkmcnt(0)
	v_mul_lo_u32 v18, v13, v6
	v_mul_lo_u32 v19, v12, v7
	v_mad_u64_u32 v[16:17], s[12:13], v12, v6, 0
	v_add3_u32 v17, v17, v19, v18
	v_mul_lo_u32 v20, v15, v6
	v_mul_lo_u32 v21, v14, v7
	v_mad_u64_u32 v[18:19], s[12:13], v14, v6, 0
	v_add3_u32 v19, v19, v21, v20
	v_lshl_add_u64 v[16:17], v[16:17], 2, v[8:9]
	v_lshl_add_u64 v[18:19], v[18:19], 2, v[8:9]
	s_mov_b64 s[40:41], 0
	v_mov_b64_e32 v[20:21], v[6:7]
                                        ; implicit-def: $sgpr42_sgpr43
                                        ; implicit-def: $sgpr44_sgpr45
                                        ; implicit-def: $sgpr46_sgpr47
                                        ; implicit-def: $sgpr18_sgpr19
                                        ; implicit-def: $sgpr48_sgpr49
	s_branch .LBB878_982
.LBB878_981:                            ;   in Loop: Header=BB878_982 Depth=1
	s_or_b64 exec, exec, s[50:51]
	s_and_b64 s[12:13], exec, s[44:45]
	s_or_b64 s[40:41], s[12:13], s[40:41]
	s_andn2_b64 s[12:13], s[48:49], exec
	s_and_b64 s[22:23], s[46:47], exec
	s_or_b64 s[48:49], s[12:13], s[22:23]
	s_andn2_b64 s[12:13], s[42:43], exec
	s_and_b64 s[22:23], s[18:19], exec
	s_or_b64 s[42:43], s[12:13], s[22:23]
	s_andn2_b64 exec, exec, s[40:41]
	s_cbranch_execz .LBB878_984
.LBB878_982:                            ; =>This Inner Loop Header: Depth=1
	flat_load_dword v22, v[18:19]
	flat_load_dword v23, v[16:17]
	s_andn2_b64 s[50:51], s[18:19], exec
	s_andn2_b64 s[46:47], s[46:47], exec
	s_or_b64 s[44:45], s[44:45], exec
	s_waitcnt vmcnt(0) lgkmcnt(0)
	v_cmp_ngt_f32_e64 s[18:19], v22, v23
	v_cmp_lt_f32_e64 s[12:13], v22, v23
	s_and_b64 s[18:19], s[18:19], s[48:49]
	s_or_b64 s[52:53], s[12:13], s[18:19]
	s_and_b64 s[12:13], s[52:53], exec
	v_cmp_nlg_f32_e64 s[22:23], v22, v23
	s_or_b64 s[18:19], s[50:51], s[12:13]
	s_and_saveexec_b64 s[50:51], s[22:23]
	s_cbranch_execz .LBB878_981
; %bb.983:                              ;   in Loop: Header=BB878_982 Depth=1
	v_lshl_add_u64 v[20:21], v[20:21], 0, -1
	v_cmp_eq_u64_e64 s[12:13], 0, v[20:21]
	s_andn2_b64 s[22:23], s[46:47], exec
	s_and_b64 s[46:47], s[52:53], exec
	s_or_b64 s[46:47], s[22:23], s[46:47]
	s_andn2_b64 s[22:23], s[44:45], exec
	s_and_b64 s[12:13], s[12:13], exec
	v_lshl_add_u64 v[16:17], v[16:17], 0, 4
	v_lshl_add_u64 v[18:19], v[18:19], 0, 4
	s_andn2_b64 s[18:19], s[18:19], exec
	s_or_b64 s[44:45], s[22:23], s[12:13]
                                        ; implicit-def: $sgpr48_sgpr49
	s_branch .LBB878_981
.LBB878_984:
	s_or_b64 exec, exec, s[40:41]
	s_and_b64 s[12:13], s[42:43], exec
.LBB878_985:
	s_or_b64 exec, exec, s[38:39]
	s_xor_b64 s[12:13], s[12:13], -1
	s_andn2_b64 s[18:19], s[34:35], exec
	s_and_b64 s[12:13], s[12:13], exec
	s_or_b64 s[34:35], s[18:19], s[12:13]
.LBB878_986:
	s_or_b64 exec, exec, s[36:37]
	v_cndmask_b32_e64 v16, v80, v70, s[34:35]
	v_cndmask_b32_e64 v17, v101, v100, s[34:35]
	v_add_u32_e32 v20, 1, v16
	v_add_u32_e32 v16, -1, v17
	v_min_u32_e32 v16, v20, v16
	v_mov_b32_e32 v17, 0
	v_lshl_add_u64 v[18:19], v[16:17], 3, v[66:67]
	flat_load_dwordx2 v[18:19], v[18:19]
	v_cndmask_b32_e64 v27, v20, v80, s[34:35]
	s_mov_b64 s[36:37], -1
	v_cndmask_b32_e64 v70, v70, v20, s[34:35]
	v_cmp_lt_u32_e64 s[12:13], v27, v101
	s_mov_b64 s[38:39], -1
	s_waitcnt vmcnt(0) lgkmcnt(0)
	v_cndmask_b32_e64 v24, v19, v15, s[34:35]
	v_cndmask_b32_e64 v25, v18, v14, s[34:35]
	;; [unrolled: 1-line block ×4, first 2 shown]
	s_and_saveexec_b64 s[40:41], s[12:13]
	s_cbranch_execz .LBB878_996
; %bb.987:
	v_cmp_lt_u32_e64 s[12:13], v70, v100
	s_mov_b64 s[18:19], 0
	s_and_saveexec_b64 s[38:39], s[12:13]
	s_cbranch_execz .LBB878_995
; %bb.988:
	s_mov_b64 s[12:13], 0
	s_and_saveexec_b64 s[42:43], s[16:17]
	s_cbranch_execz .LBB878_994
; %bb.989:
	v_mul_lo_u32 v16, v26, v6
	v_mul_lo_u32 v20, v80, v7
	v_mad_u64_u32 v[18:19], s[12:13], v80, v6, 0
	v_add3_u32 v19, v19, v20, v16
	v_mul_lo_u32 v16, v24, v6
	v_mul_lo_u32 v22, v25, v7
	v_mad_u64_u32 v[20:21], s[12:13], v25, v6, 0
	v_add3_u32 v21, v21, v22, v16
	v_lshl_add_u64 v[18:19], v[18:19], 2, v[8:9]
	v_lshl_add_u64 v[20:21], v[20:21], 2, v[8:9]
	s_mov_b64 s[44:45], 0
	v_mov_b64_e32 v[22:23], v[6:7]
                                        ; implicit-def: $sgpr46_sgpr47
                                        ; implicit-def: $sgpr48_sgpr49
                                        ; implicit-def: $sgpr50_sgpr51
                                        ; implicit-def: $sgpr18_sgpr19
                                        ; implicit-def: $sgpr52_sgpr53
	s_branch .LBB878_991
.LBB878_990:                            ;   in Loop: Header=BB878_991 Depth=1
	s_or_b64 exec, exec, s[54:55]
	s_and_b64 s[12:13], exec, s[48:49]
	s_or_b64 s[44:45], s[12:13], s[44:45]
	s_andn2_b64 s[12:13], s[52:53], exec
	s_and_b64 s[22:23], s[50:51], exec
	s_or_b64 s[52:53], s[12:13], s[22:23]
	s_andn2_b64 s[12:13], s[46:47], exec
	s_and_b64 s[22:23], s[18:19], exec
	s_or_b64 s[46:47], s[12:13], s[22:23]
	s_andn2_b64 exec, exec, s[44:45]
	s_cbranch_execz .LBB878_993
.LBB878_991:                            ; =>This Inner Loop Header: Depth=1
	flat_load_dword v16, v[20:21]
	flat_load_dword v71, v[18:19]
	s_andn2_b64 s[54:55], s[18:19], exec
	s_andn2_b64 s[50:51], s[50:51], exec
	s_or_b64 s[48:49], s[48:49], exec
	s_waitcnt vmcnt(0) lgkmcnt(0)
	v_cmp_ngt_f32_e64 s[18:19], v16, v71
	v_cmp_lt_f32_e64 s[12:13], v16, v71
	s_and_b64 s[18:19], s[18:19], s[52:53]
	s_or_b64 s[56:57], s[12:13], s[18:19]
	s_and_b64 s[12:13], s[56:57], exec
	v_cmp_nlg_f32_e64 s[22:23], v16, v71
	s_or_b64 s[18:19], s[54:55], s[12:13]
	s_and_saveexec_b64 s[54:55], s[22:23]
	s_cbranch_execz .LBB878_990
; %bb.992:                              ;   in Loop: Header=BB878_991 Depth=1
	v_lshl_add_u64 v[22:23], v[22:23], 0, -1
	v_cmp_eq_u64_e64 s[12:13], 0, v[22:23]
	s_andn2_b64 s[22:23], s[50:51], exec
	s_and_b64 s[50:51], s[56:57], exec
	s_or_b64 s[50:51], s[22:23], s[50:51]
	s_andn2_b64 s[22:23], s[48:49], exec
	s_and_b64 s[12:13], s[12:13], exec
	v_lshl_add_u64 v[18:19], v[18:19], 0, 4
	v_lshl_add_u64 v[20:21], v[20:21], 0, 4
	s_andn2_b64 s[18:19], s[18:19], exec
	s_or_b64 s[48:49], s[22:23], s[12:13]
                                        ; implicit-def: $sgpr52_sgpr53
	s_branch .LBB878_990
.LBB878_993:
	s_or_b64 exec, exec, s[44:45]
	s_and_b64 s[12:13], s[46:47], exec
.LBB878_994:
	s_or_b64 exec, exec, s[42:43]
	s_xor_b64 s[12:13], s[12:13], -1
	s_and_b64 s[18:19], s[12:13], exec
.LBB878_995:
	s_or_b64 exec, exec, s[38:39]
	s_orn2_b64 s[38:39], s[18:19], exec
.LBB878_996:
	s_or_b64 exec, exec, s[40:41]
	v_cndmask_b32_e64 v16, v27, v70, s[38:39]
	v_cndmask_b32_e64 v18, v101, v100, s[38:39]
	v_add_u32_e32 v19, 1, v16
	v_add_u32_e32 v16, -1, v18
	v_min_u32_e32 v16, v19, v16
	v_lshl_add_u64 v[16:17], v[16:17], 3, v[66:67]
	flat_load_dwordx2 v[16:17], v[16:17]
	v_cndmask_b32_e64 v22, v19, v27, s[38:39]
	v_cndmask_b32_e64 v23, v70, v19, s[38:39]
	v_cmp_lt_u32_e64 s[12:13], v22, v101
	s_waitcnt vmcnt(0) lgkmcnt(0)
	v_cndmask_b32_e64 v27, v17, v24, s[38:39]
	v_cndmask_b32_e64 v81, v16, v25, s[38:39]
	;; [unrolled: 1-line block ×4, first 2 shown]
	s_and_saveexec_b64 s[40:41], s[12:13]
	s_cbranch_execz .LBB878_1004
; %bb.997:
	v_cmp_lt_u32_e64 s[36:37], v23, v100
	s_and_b64 s[12:13], s[36:37], s[28:29]
	s_and_saveexec_b64 s[42:43], s[12:13]
	s_cbranch_execz .LBB878_1003
; %bb.998:
	v_mul_lo_u32 v18, v82, v6
	v_mul_lo_u32 v19, v83, v7
	v_mad_u64_u32 v[16:17], s[12:13], v83, v6, 0
	v_add3_u32 v17, v17, v19, v18
	v_mul_lo_u32 v20, v27, v6
	v_mul_lo_u32 v21, v81, v7
	v_mad_u64_u32 v[18:19], s[12:13], v81, v6, 0
	v_add3_u32 v19, v19, v21, v20
	v_lshl_add_u64 v[16:17], v[16:17], 2, v[8:9]
	v_lshl_add_u64 v[18:19], v[18:19], 2, v[8:9]
	s_mov_b64 s[44:45], 0
	v_mov_b64_e32 v[20:21], v[6:7]
                                        ; implicit-def: $sgpr46_sgpr47
                                        ; implicit-def: $sgpr48_sgpr49
                                        ; implicit-def: $sgpr18_sgpr19
                                        ; implicit-def: $sgpr50_sgpr51
                                        ; implicit-def: $sgpr52_sgpr53
	s_branch .LBB878_1000
.LBB878_999:                            ;   in Loop: Header=BB878_1000 Depth=1
	s_or_b64 exec, exec, s[54:55]
	s_and_b64 s[12:13], exec, s[48:49]
	s_or_b64 s[44:45], s[12:13], s[44:45]
	s_andn2_b64 s[12:13], s[52:53], exec
	s_and_b64 s[22:23], s[50:51], exec
	s_or_b64 s[52:53], s[12:13], s[22:23]
	s_andn2_b64 s[12:13], s[46:47], exec
	s_and_b64 s[22:23], s[18:19], exec
	s_or_b64 s[46:47], s[12:13], s[22:23]
	s_andn2_b64 exec, exec, s[44:45]
	s_cbranch_execz .LBB878_1002
.LBB878_1000:                           ; =>This Inner Loop Header: Depth=1
	flat_load_dword v70, v[18:19]
	flat_load_dword v71, v[16:17]
	s_andn2_b64 s[54:55], s[18:19], exec
	s_andn2_b64 s[50:51], s[50:51], exec
	s_or_b64 s[48:49], s[48:49], exec
	s_waitcnt vmcnt(0) lgkmcnt(0)
	v_cmp_ngt_f32_e64 s[18:19], v70, v71
	v_cmp_lt_f32_e64 s[12:13], v70, v71
	s_and_b64 s[18:19], s[18:19], s[52:53]
	s_or_b64 s[56:57], s[12:13], s[18:19]
	s_and_b64 s[12:13], s[56:57], exec
	v_cmp_nlg_f32_e64 s[22:23], v70, v71
	s_or_b64 s[18:19], s[54:55], s[12:13]
	s_and_saveexec_b64 s[54:55], s[22:23]
	s_cbranch_execz .LBB878_999
; %bb.1001:                             ;   in Loop: Header=BB878_1000 Depth=1
	v_lshl_add_u64 v[20:21], v[20:21], 0, -1
	v_cmp_eq_u64_e64 s[12:13], 0, v[20:21]
	s_andn2_b64 s[22:23], s[50:51], exec
	s_and_b64 s[50:51], s[56:57], exec
	s_or_b64 s[50:51], s[22:23], s[50:51]
	s_andn2_b64 s[22:23], s[48:49], exec
	s_and_b64 s[12:13], s[12:13], exec
	v_lshl_add_u64 v[16:17], v[16:17], 0, 4
	v_lshl_add_u64 v[18:19], v[18:19], 0, 4
	s_andn2_b64 s[18:19], s[18:19], exec
	s_or_b64 s[48:49], s[22:23], s[12:13]
                                        ; implicit-def: $sgpr52_sgpr53
	s_branch .LBB878_999
.LBB878_1002:
	s_or_b64 exec, exec, s[44:45]
	s_xor_b64 s[12:13], s[46:47], -1
	s_andn2_b64 s[18:19], s[36:37], exec
	s_and_b64 s[12:13], s[12:13], exec
	s_or_b64 s[36:37], s[18:19], s[12:13]
.LBB878_1003:
	s_or_b64 exec, exec, s[42:43]
	s_orn2_b64 s[36:37], s[36:37], exec
.LBB878_1004:
	s_or_b64 exec, exec, s[40:41]
	v_cndmask_b32_e64 v16, v22, v23, s[36:37]
	v_cndmask_b32_e64 v17, v101, v100, s[36:37]
	v_add_u32_e32 v20, 1, v16
	v_add_u32_e32 v16, -1, v17
	v_min_u32_e32 v16, v20, v16
	v_mov_b32_e32 v17, 0
	v_lshl_add_u64 v[18:19], v[16:17], 3, v[66:67]
	flat_load_dwordx2 v[18:19], v[18:19]
	v_cndmask_b32_e64 v70, v20, v22, s[36:37]
	s_mov_b64 s[40:41], -1
	v_cndmask_b32_e64 v71, v23, v20, s[36:37]
	v_cmp_lt_u32_e64 s[12:13], v70, v101
	s_mov_b64 s[42:43], -1
	s_waitcnt vmcnt(0) lgkmcnt(0)
	v_cndmask_b32_e64 v84, v19, v27, s[36:37]
	v_cndmask_b32_e64 v85, v18, v81, s[36:37]
	;; [unrolled: 1-line block ×4, first 2 shown]
	s_and_saveexec_b64 s[44:45], s[12:13]
	s_cbranch_execz .LBB878_1012
; %bb.1005:
	v_cmp_lt_u32_e64 s[42:43], v71, v100
	s_and_b64 s[12:13], s[42:43], s[28:29]
	s_and_saveexec_b64 s[46:47], s[12:13]
	s_cbranch_execz .LBB878_1011
; %bb.1006:
	v_mul_lo_u32 v16, v86, v6
	v_mul_lo_u32 v20, v87, v7
	v_mad_u64_u32 v[18:19], s[12:13], v87, v6, 0
	v_add3_u32 v19, v19, v20, v16
	v_mul_lo_u32 v16, v84, v6
	v_mul_lo_u32 v22, v85, v7
	v_mad_u64_u32 v[20:21], s[12:13], v85, v6, 0
	v_add3_u32 v21, v21, v22, v16
	v_lshl_add_u64 v[18:19], v[18:19], 2, v[8:9]
	v_lshl_add_u64 v[20:21], v[20:21], 2, v[8:9]
	s_mov_b64 s[48:49], 0
	v_mov_b64_e32 v[22:23], v[6:7]
                                        ; implicit-def: $sgpr50_sgpr51
                                        ; implicit-def: $sgpr52_sgpr53
                                        ; implicit-def: $sgpr18_sgpr19
                                        ; implicit-def: $sgpr54_sgpr55
                                        ; implicit-def: $sgpr56_sgpr57
	s_branch .LBB878_1008
.LBB878_1007:                           ;   in Loop: Header=BB878_1008 Depth=1
	s_or_b64 exec, exec, s[58:59]
	s_and_b64 s[12:13], exec, s[52:53]
	s_or_b64 s[48:49], s[12:13], s[48:49]
	s_andn2_b64 s[12:13], s[56:57], exec
	s_and_b64 s[22:23], s[54:55], exec
	s_or_b64 s[56:57], s[12:13], s[22:23]
	s_andn2_b64 s[12:13], s[50:51], exec
	s_and_b64 s[22:23], s[18:19], exec
	s_or_b64 s[50:51], s[12:13], s[22:23]
	s_andn2_b64 exec, exec, s[48:49]
	s_cbranch_execz .LBB878_1010
.LBB878_1008:                           ; =>This Inner Loop Header: Depth=1
	flat_load_dword v16, v[20:21]
	flat_load_dword v96, v[18:19]
	s_andn2_b64 s[58:59], s[18:19], exec
	s_andn2_b64 s[54:55], s[54:55], exec
	s_or_b64 s[52:53], s[52:53], exec
	s_waitcnt vmcnt(0) lgkmcnt(0)
	v_cmp_ngt_f32_e64 s[18:19], v16, v96
	v_cmp_lt_f32_e64 s[12:13], v16, v96
	s_and_b64 s[18:19], s[18:19], s[56:57]
	s_or_b64 s[60:61], s[12:13], s[18:19]
	s_and_b64 s[12:13], s[60:61], exec
	v_cmp_nlg_f32_e64 s[22:23], v16, v96
	s_or_b64 s[18:19], s[58:59], s[12:13]
	s_and_saveexec_b64 s[58:59], s[22:23]
	s_cbranch_execz .LBB878_1007
; %bb.1009:                             ;   in Loop: Header=BB878_1008 Depth=1
	v_lshl_add_u64 v[22:23], v[22:23], 0, -1
	v_cmp_eq_u64_e64 s[12:13], 0, v[22:23]
	s_andn2_b64 s[22:23], s[54:55], exec
	s_and_b64 s[54:55], s[60:61], exec
	s_or_b64 s[54:55], s[22:23], s[54:55]
	s_andn2_b64 s[22:23], s[52:53], exec
	s_and_b64 s[12:13], s[12:13], exec
	v_lshl_add_u64 v[18:19], v[18:19], 0, 4
	v_lshl_add_u64 v[20:21], v[20:21], 0, 4
	s_andn2_b64 s[18:19], s[18:19], exec
	s_or_b64 s[52:53], s[22:23], s[12:13]
                                        ; implicit-def: $sgpr56_sgpr57
	s_branch .LBB878_1007
.LBB878_1010:
	s_or_b64 exec, exec, s[48:49]
	s_xor_b64 s[12:13], s[50:51], -1
	s_andn2_b64 s[18:19], s[42:43], exec
	s_and_b64 s[12:13], s[12:13], exec
	s_or_b64 s[42:43], s[18:19], s[12:13]
.LBB878_1011:
	s_or_b64 exec, exec, s[46:47]
	s_orn2_b64 s[42:43], s[42:43], exec
.LBB878_1012:
	s_or_b64 exec, exec, s[44:45]
	v_cndmask_b32_e64 v16, v70, v71, s[42:43]
	v_cndmask_b32_e64 v18, v101, v100, s[42:43]
	v_add_u32_e32 v19, 1, v16
	v_add_u32_e32 v16, -1, v18
	v_min_u32_e32 v16, v19, v16
	v_lshl_add_u64 v[16:17], v[16:17], 3, v[66:67]
	flat_load_dwordx2 v[16:17], v[16:17]
	v_cndmask_b32_e64 v22, v19, v70, s[42:43]
	v_cndmask_b32_e64 v23, v71, v19, s[42:43]
	v_cmp_lt_u32_e64 s[12:13], v22, v101
	s_waitcnt vmcnt(0) lgkmcnt(0)
	v_cndmask_b32_e64 v96, v17, v84, s[42:43]
	v_cndmask_b32_e64 v97, v16, v85, s[42:43]
	;; [unrolled: 1-line block ×4, first 2 shown]
	s_and_saveexec_b64 s[44:45], s[12:13]
	s_cbranch_execz .LBB878_1020
; %bb.1013:
	v_cmp_lt_u32_e64 s[40:41], v23, v100
	s_and_b64 s[12:13], s[40:41], s[28:29]
	s_and_saveexec_b64 s[46:47], s[12:13]
	s_cbranch_execz .LBB878_1019
; %bb.1014:
	v_mul_lo_u32 v18, v98, v6
	v_mul_lo_u32 v19, v99, v7
	v_mad_u64_u32 v[16:17], s[12:13], v99, v6, 0
	v_add3_u32 v17, v17, v19, v18
	v_mul_lo_u32 v20, v96, v6
	v_mul_lo_u32 v21, v97, v7
	v_mad_u64_u32 v[18:19], s[12:13], v97, v6, 0
	v_add3_u32 v19, v19, v21, v20
	v_lshl_add_u64 v[16:17], v[16:17], 2, v[8:9]
	v_lshl_add_u64 v[18:19], v[18:19], 2, v[8:9]
	s_mov_b64 s[48:49], 0
	v_mov_b64_e32 v[20:21], v[6:7]
                                        ; implicit-def: $sgpr50_sgpr51
                                        ; implicit-def: $sgpr52_sgpr53
                                        ; implicit-def: $sgpr18_sgpr19
                                        ; implicit-def: $sgpr54_sgpr55
                                        ; implicit-def: $sgpr56_sgpr57
	s_branch .LBB878_1016
.LBB878_1015:                           ;   in Loop: Header=BB878_1016 Depth=1
	s_or_b64 exec, exec, s[58:59]
	s_and_b64 s[12:13], exec, s[52:53]
	s_or_b64 s[48:49], s[12:13], s[48:49]
	s_andn2_b64 s[12:13], s[56:57], exec
	s_and_b64 s[22:23], s[54:55], exec
	s_or_b64 s[56:57], s[12:13], s[22:23]
	s_andn2_b64 s[12:13], s[50:51], exec
	s_and_b64 s[22:23], s[18:19], exec
	s_or_b64 s[50:51], s[12:13], s[22:23]
	s_andn2_b64 exec, exec, s[48:49]
	s_cbranch_execz .LBB878_1018
.LBB878_1016:                           ; =>This Inner Loop Header: Depth=1
	flat_load_dword v70, v[18:19]
	flat_load_dword v71, v[16:17]
	s_andn2_b64 s[58:59], s[18:19], exec
	s_andn2_b64 s[54:55], s[54:55], exec
	s_or_b64 s[52:53], s[52:53], exec
	s_waitcnt vmcnt(0) lgkmcnt(0)
	v_cmp_ngt_f32_e64 s[18:19], v70, v71
	v_cmp_lt_f32_e64 s[12:13], v70, v71
	s_and_b64 s[18:19], s[18:19], s[56:57]
	s_or_b64 s[60:61], s[12:13], s[18:19]
	s_and_b64 s[12:13], s[60:61], exec
	v_cmp_nlg_f32_e64 s[22:23], v70, v71
	s_or_b64 s[18:19], s[58:59], s[12:13]
	s_and_saveexec_b64 s[58:59], s[22:23]
	s_cbranch_execz .LBB878_1015
; %bb.1017:                             ;   in Loop: Header=BB878_1016 Depth=1
	v_lshl_add_u64 v[20:21], v[20:21], 0, -1
	v_cmp_eq_u64_e64 s[12:13], 0, v[20:21]
	s_andn2_b64 s[22:23], s[54:55], exec
	s_and_b64 s[54:55], s[60:61], exec
	s_or_b64 s[54:55], s[22:23], s[54:55]
	s_andn2_b64 s[22:23], s[52:53], exec
	s_and_b64 s[12:13], s[12:13], exec
	v_lshl_add_u64 v[16:17], v[16:17], 0, 4
	v_lshl_add_u64 v[18:19], v[18:19], 0, 4
	s_andn2_b64 s[18:19], s[18:19], exec
	s_or_b64 s[52:53], s[22:23], s[12:13]
                                        ; implicit-def: $sgpr56_sgpr57
	s_branch .LBB878_1015
.LBB878_1018:
	s_or_b64 exec, exec, s[48:49]
	s_xor_b64 s[12:13], s[50:51], -1
	s_andn2_b64 s[18:19], s[40:41], exec
	s_and_b64 s[12:13], s[12:13], exec
	s_or_b64 s[40:41], s[18:19], s[12:13]
.LBB878_1019:
	s_or_b64 exec, exec, s[46:47]
	s_orn2_b64 s[40:41], s[40:41], exec
.LBB878_1020:
	s_or_b64 exec, exec, s[44:45]
	v_cndmask_b32_e64 v16, v22, v23, s[40:41]
	v_cndmask_b32_e64 v17, v101, v100, s[40:41]
	v_add_u32_e32 v20, 1, v16
	v_add_u32_e32 v16, -1, v17
	v_min_u32_e32 v16, v20, v16
	v_mov_b32_e32 v17, 0
	v_lshl_add_u64 v[18:19], v[16:17], 3, v[66:67]
	flat_load_dwordx2 v[18:19], v[18:19]
	v_cndmask_b32_e64 v70, v20, v22, s[40:41]
	s_mov_b64 s[44:45], -1
	v_cndmask_b32_e64 v71, v23, v20, s[40:41]
	v_cmp_lt_u32_e64 s[12:13], v70, v101
	s_mov_b64 s[46:47], -1
	s_waitcnt vmcnt(0) lgkmcnt(0)
	v_cndmask_b32_e64 v102, v19, v96, s[40:41]
	v_cndmask_b32_e64 v103, v18, v97, s[40:41]
	;; [unrolled: 1-line block ×4, first 2 shown]
	s_and_saveexec_b64 s[48:49], s[12:13]
	s_cbranch_execz .LBB878_1028
; %bb.1021:
	v_cmp_lt_u32_e64 s[46:47], v71, v100
	s_and_b64 s[12:13], s[46:47], s[28:29]
	s_and_saveexec_b64 s[50:51], s[12:13]
	s_cbranch_execz .LBB878_1027
; %bb.1022:
	v_mul_lo_u32 v16, v112, v6
	v_mul_lo_u32 v20, v113, v7
	v_mad_u64_u32 v[18:19], s[12:13], v113, v6, 0
	v_add3_u32 v19, v19, v20, v16
	v_mul_lo_u32 v16, v102, v6
	v_mul_lo_u32 v22, v103, v7
	v_mad_u64_u32 v[20:21], s[12:13], v103, v6, 0
	v_add3_u32 v21, v21, v22, v16
	v_lshl_add_u64 v[18:19], v[18:19], 2, v[8:9]
	v_lshl_add_u64 v[20:21], v[20:21], 2, v[8:9]
	s_mov_b64 s[52:53], 0
	v_mov_b64_e32 v[22:23], v[6:7]
                                        ; implicit-def: $sgpr54_sgpr55
                                        ; implicit-def: $sgpr56_sgpr57
                                        ; implicit-def: $sgpr18_sgpr19
                                        ; implicit-def: $sgpr58_sgpr59
                                        ; implicit-def: $sgpr60_sgpr61
	s_branch .LBB878_1024
.LBB878_1023:                           ;   in Loop: Header=BB878_1024 Depth=1
	s_or_b64 exec, exec, s[62:63]
	s_and_b64 s[12:13], exec, s[56:57]
	s_or_b64 s[52:53], s[12:13], s[52:53]
	s_andn2_b64 s[12:13], s[60:61], exec
	s_and_b64 s[22:23], s[58:59], exec
	s_or_b64 s[60:61], s[12:13], s[22:23]
	s_andn2_b64 s[12:13], s[54:55], exec
	s_and_b64 s[22:23], s[18:19], exec
	s_or_b64 s[54:55], s[12:13], s[22:23]
	s_andn2_b64 exec, exec, s[52:53]
	s_cbranch_execz .LBB878_1026
.LBB878_1024:                           ; =>This Inner Loop Header: Depth=1
	flat_load_dword v16, v[20:21]
	flat_load_dword v114, v[18:19]
	s_andn2_b64 s[62:63], s[18:19], exec
	s_andn2_b64 s[58:59], s[58:59], exec
	s_or_b64 s[56:57], s[56:57], exec
	s_waitcnt vmcnt(0) lgkmcnt(0)
	v_cmp_ngt_f32_e64 s[18:19], v16, v114
	v_cmp_lt_f32_e64 s[12:13], v16, v114
	s_and_b64 s[18:19], s[18:19], s[60:61]
	s_or_b64 s[64:65], s[12:13], s[18:19]
	s_and_b64 s[12:13], s[64:65], exec
	v_cmp_nlg_f32_e64 s[22:23], v16, v114
	s_or_b64 s[18:19], s[62:63], s[12:13]
	s_and_saveexec_b64 s[62:63], s[22:23]
	s_cbranch_execz .LBB878_1023
; %bb.1025:                             ;   in Loop: Header=BB878_1024 Depth=1
	v_lshl_add_u64 v[22:23], v[22:23], 0, -1
	v_cmp_eq_u64_e64 s[12:13], 0, v[22:23]
	s_andn2_b64 s[22:23], s[58:59], exec
	s_and_b64 s[58:59], s[64:65], exec
	s_or_b64 s[58:59], s[22:23], s[58:59]
	s_andn2_b64 s[22:23], s[56:57], exec
	s_and_b64 s[12:13], s[12:13], exec
	v_lshl_add_u64 v[18:19], v[18:19], 0, 4
	v_lshl_add_u64 v[20:21], v[20:21], 0, 4
	s_andn2_b64 s[18:19], s[18:19], exec
	s_or_b64 s[56:57], s[22:23], s[12:13]
                                        ; implicit-def: $sgpr60_sgpr61
	s_branch .LBB878_1023
.LBB878_1026:
	s_or_b64 exec, exec, s[52:53]
	s_xor_b64 s[12:13], s[54:55], -1
	s_andn2_b64 s[18:19], s[46:47], exec
	s_and_b64 s[12:13], s[12:13], exec
	s_or_b64 s[46:47], s[18:19], s[12:13]
.LBB878_1027:
	s_or_b64 exec, exec, s[50:51]
	s_orn2_b64 s[46:47], s[46:47], exec
.LBB878_1028:
	s_or_b64 exec, exec, s[48:49]
	v_cndmask_b32_e64 v16, v70, v71, s[46:47]
	v_cndmask_b32_e64 v18, v101, v100, s[46:47]
	v_add_u32_e32 v19, 1, v16
	v_add_u32_e32 v16, -1, v18
	v_min_u32_e32 v16, v19, v16
	v_lshl_add_u64 v[16:17], v[16:17], 3, v[66:67]
	flat_load_dwordx2 v[16:17], v[16:17]
	v_cndmask_b32_e64 v117, v19, v70, s[46:47]
	v_cndmask_b32_e64 v114, v71, v19, s[46:47]
	v_cmp_lt_u32_e64 s[12:13], v117, v101
	s_waitcnt vmcnt(0) lgkmcnt(0)
	v_cndmask_b32_e64 v115, v17, v102, s[46:47]
	v_cndmask_b32_e64 v116, v16, v103, s[46:47]
	;; [unrolled: 1-line block ×4, first 2 shown]
	s_and_saveexec_b64 s[48:49], s[12:13]
	s_cbranch_execz .LBB878_1036
; %bb.1029:
	v_cmp_lt_u32_e64 s[44:45], v114, v100
	s_and_b64 s[12:13], s[44:45], s[28:29]
	s_and_saveexec_b64 s[50:51], s[12:13]
	s_cbranch_execz .LBB878_1035
; %bb.1030:
	v_mul_lo_u32 v18, v118, v6
	v_mul_lo_u32 v19, v119, v7
	v_mad_u64_u32 v[16:17], s[12:13], v119, v6, 0
	v_add3_u32 v17, v17, v19, v18
	v_mul_lo_u32 v20, v115, v6
	v_mul_lo_u32 v21, v116, v7
	v_mad_u64_u32 v[18:19], s[12:13], v116, v6, 0
	v_add3_u32 v19, v19, v21, v20
	v_lshl_add_u64 v[16:17], v[16:17], 2, v[8:9]
	v_lshl_add_u64 v[18:19], v[18:19], 2, v[8:9]
	s_mov_b64 s[52:53], 0
	v_mov_b64_e32 v[20:21], v[6:7]
                                        ; implicit-def: $sgpr54_sgpr55
                                        ; implicit-def: $sgpr56_sgpr57
                                        ; implicit-def: $sgpr18_sgpr19
                                        ; implicit-def: $sgpr58_sgpr59
                                        ; implicit-def: $sgpr60_sgpr61
	s_branch .LBB878_1032
.LBB878_1031:                           ;   in Loop: Header=BB878_1032 Depth=1
	s_or_b64 exec, exec, s[62:63]
	s_and_b64 s[12:13], exec, s[56:57]
	s_or_b64 s[52:53], s[12:13], s[52:53]
	s_andn2_b64 s[12:13], s[60:61], exec
	s_and_b64 s[22:23], s[58:59], exec
	s_or_b64 s[60:61], s[12:13], s[22:23]
	s_andn2_b64 s[12:13], s[54:55], exec
	s_and_b64 s[22:23], s[18:19], exec
	s_or_b64 s[54:55], s[12:13], s[22:23]
	s_andn2_b64 exec, exec, s[52:53]
	s_cbranch_execz .LBB878_1034
.LBB878_1032:                           ; =>This Inner Loop Header: Depth=1
	flat_load_dword v22, v[18:19]
	flat_load_dword v23, v[16:17]
	s_andn2_b64 s[62:63], s[18:19], exec
	s_andn2_b64 s[58:59], s[58:59], exec
	s_or_b64 s[56:57], s[56:57], exec
	s_waitcnt vmcnt(0) lgkmcnt(0)
	v_cmp_ngt_f32_e64 s[18:19], v22, v23
	v_cmp_lt_f32_e64 s[12:13], v22, v23
	s_and_b64 s[18:19], s[18:19], s[60:61]
	s_or_b64 s[64:65], s[12:13], s[18:19]
	s_and_b64 s[12:13], s[64:65], exec
	v_cmp_nlg_f32_e64 s[22:23], v22, v23
	s_or_b64 s[18:19], s[62:63], s[12:13]
	s_and_saveexec_b64 s[62:63], s[22:23]
	s_cbranch_execz .LBB878_1031
; %bb.1033:                             ;   in Loop: Header=BB878_1032 Depth=1
	v_lshl_add_u64 v[20:21], v[20:21], 0, -1
	v_cmp_eq_u64_e64 s[12:13], 0, v[20:21]
	s_andn2_b64 s[22:23], s[58:59], exec
	s_and_b64 s[58:59], s[64:65], exec
	s_or_b64 s[58:59], s[22:23], s[58:59]
	s_andn2_b64 s[22:23], s[56:57], exec
	s_and_b64 s[12:13], s[12:13], exec
	v_lshl_add_u64 v[16:17], v[16:17], 0, 4
	v_lshl_add_u64 v[18:19], v[18:19], 0, 4
	s_andn2_b64 s[18:19], s[18:19], exec
	s_or_b64 s[56:57], s[22:23], s[12:13]
                                        ; implicit-def: $sgpr60_sgpr61
	s_branch .LBB878_1031
.LBB878_1034:
	s_or_b64 exec, exec, s[52:53]
	s_xor_b64 s[12:13], s[54:55], -1
	s_andn2_b64 s[18:19], s[44:45], exec
	s_and_b64 s[12:13], s[12:13], exec
	s_or_b64 s[44:45], s[18:19], s[12:13]
.LBB878_1035:
	s_or_b64 exec, exec, s[50:51]
	s_orn2_b64 s[44:45], s[44:45], exec
.LBB878_1036:
	s_or_b64 exec, exec, s[48:49]
	v_cndmask_b32_e64 v16, v117, v114, s[44:45]
	v_cndmask_b32_e64 v17, v101, v100, s[44:45]
	v_add_u32_e32 v128, 1, v16
	v_add_u32_e32 v16, -1, v17
	v_min_u32_e32 v16, v128, v16
	v_mov_b32_e32 v17, 0
	v_lshl_add_u64 v[16:17], v[16:17], 3, v[66:67]
	flat_load_dwordx2 v[70:71], v[16:17]
	v_cndmask_b32_e64 v21, v27, v82, s[36:37]
	v_cndmask_b32_e64 v27, v24, v26, s[38:39]
	v_cndmask_b32_e64 v26, v25, v80, s[38:39]
	v_cndmask_b32_e64 v80, v128, v117, s[44:45]
	v_cndmask_b32_e64 v19, v102, v112, s[46:47]
	v_cndmask_b32_e64 v18, v103, v113, s[46:47]
	v_cndmask_b32_e64 v17, v96, v98, s[40:41]
	v_cndmask_b32_e64 v16, v97, v99, s[40:41]
	v_cndmask_b32_e64 v23, v84, v86, s[42:43]
	v_cndmask_b32_e64 v22, v85, v87, s[42:43]
	v_cndmask_b32_e64 v20, v81, v83, s[36:37]
	v_cndmask_b32_e64 v25, v15, v13, s[34:35]
	v_cndmask_b32_e64 v24, v14, v12, s[34:35]
	v_cndmask_b32_e64 v13, v115, v118, s[44:45]
	v_cndmask_b32_e64 v12, v116, v119, s[44:45]
	v_cmp_lt_u32_e64 s[12:13], v80, v101
	s_waitcnt vmcnt(0) lgkmcnt(0)
	v_cndmask_b32_e64 v15, v118, v71, s[44:45]
	v_cndmask_b32_e64 v14, v119, v70, s[44:45]
	s_and_saveexec_b64 s[34:35], s[12:13]
	s_cbranch_execz .LBB878_1044
; %bb.1037:
	v_cndmask_b32_e64 v85, v70, v116, s[44:45]
	v_cndmask_b32_e64 v70, v114, v128, s[44:45]
	v_cmp_ge_u32_e64 s[12:13], v70, v100
	v_cndmask_b32_e64 v84, v71, v115, s[44:45]
	s_or_b64 s[18:19], s[12:13], s[8:9]
	v_cndmask_b32_e64 v71, v15, v84, s[12:13]
	s_xor_b64 s[18:19], s[18:19], -1
	v_cndmask_b32_e64 v70, v14, v85, s[12:13]
	s_and_saveexec_b64 s[36:37], s[18:19]
	s_cbranch_execz .LBB878_1043
; %bb.1038:
	v_mul_lo_u32 v80, v15, v6
	v_mul_lo_u32 v81, v14, v7
	v_mad_u64_u32 v[70:71], s[12:13], v14, v6, 0
	v_add3_u32 v71, v71, v81, v80
	v_mul_lo_u32 v82, v84, v6
	v_mul_lo_u32 v83, v85, v7
	v_mad_u64_u32 v[80:81], s[12:13], v85, v6, 0
	v_add3_u32 v81, v81, v83, v82
	v_lshl_add_u64 v[70:71], v[70:71], 2, v[8:9]
	v_lshl_add_u64 v[80:81], v[80:81], 2, v[8:9]
	s_mov_b64 s[38:39], 0
	v_mov_b64_e32 v[82:83], v[6:7]
                                        ; implicit-def: $sgpr40_sgpr41
                                        ; implicit-def: $sgpr42_sgpr43
                                        ; implicit-def: $sgpr18_sgpr19
                                        ; implicit-def: $sgpr44_sgpr45
                                        ; implicit-def: $sgpr46_sgpr47
	s_branch .LBB878_1040
.LBB878_1039:                           ;   in Loop: Header=BB878_1040 Depth=1
	s_or_b64 exec, exec, s[48:49]
	s_and_b64 s[12:13], exec, s[42:43]
	s_or_b64 s[38:39], s[12:13], s[38:39]
	s_andn2_b64 s[12:13], s[46:47], exec
	s_and_b64 s[22:23], s[44:45], exec
	s_or_b64 s[46:47], s[12:13], s[22:23]
	s_andn2_b64 s[12:13], s[40:41], exec
	s_and_b64 s[22:23], s[18:19], exec
	s_or_b64 s[40:41], s[12:13], s[22:23]
	s_andn2_b64 exec, exec, s[38:39]
	s_cbranch_execz .LBB878_1042
.LBB878_1040:                           ; =>This Inner Loop Header: Depth=1
	flat_load_dword v86, v[80:81]
	flat_load_dword v87, v[70:71]
	s_andn2_b64 s[48:49], s[18:19], exec
	s_andn2_b64 s[44:45], s[44:45], exec
	s_or_b64 s[42:43], s[42:43], exec
	s_waitcnt vmcnt(0) lgkmcnt(0)
	v_cmp_ngt_f32_e64 s[18:19], v86, v87
	v_cmp_lt_f32_e64 s[12:13], v86, v87
	s_and_b64 s[18:19], s[18:19], s[46:47]
	s_or_b64 s[50:51], s[12:13], s[18:19]
	s_and_b64 s[12:13], s[50:51], exec
	v_cmp_nlg_f32_e64 s[22:23], v86, v87
	s_or_b64 s[18:19], s[48:49], s[12:13]
	s_and_saveexec_b64 s[48:49], s[22:23]
	s_cbranch_execz .LBB878_1039
; %bb.1041:                             ;   in Loop: Header=BB878_1040 Depth=1
	v_lshl_add_u64 v[82:83], v[82:83], 0, -1
	v_cmp_eq_u64_e64 s[12:13], 0, v[82:83]
	s_andn2_b64 s[22:23], s[44:45], exec
	s_and_b64 s[44:45], s[50:51], exec
	s_or_b64 s[44:45], s[22:23], s[44:45]
	s_andn2_b64 s[22:23], s[42:43], exec
	s_and_b64 s[12:13], s[12:13], exec
	v_lshl_add_u64 v[70:71], v[70:71], 0, 4
	v_lshl_add_u64 v[80:81], v[80:81], 0, 4
	s_andn2_b64 s[18:19], s[18:19], exec
	s_or_b64 s[42:43], s[22:23], s[12:13]
                                        ; implicit-def: $sgpr46_sgpr47
	s_branch .LBB878_1039
.LBB878_1042:
	s_or_b64 exec, exec, s[38:39]
	v_cndmask_b32_e64 v71, v15, v84, s[40:41]
	v_cndmask_b32_e64 v70, v14, v85, s[40:41]
.LBB878_1043:
	s_or_b64 exec, exec, s[36:37]
	v_mov_b64_e32 v[14:15], v[70:71]
.LBB878_1044:
	s_or_b64 exec, exec, s[34:35]
.LBB878_1045:
	s_or_b64 exec, exec, s[30:31]
	v_and_b32_e32 v102, 0x3c0, v31
	v_or_b32_e32 v70, 32, v102
	v_min_u32_e32 v100, v1, v70
	v_add_u32_e32 v70, 32, v100
	v_min_u32_e32 v101, v1, v70
	v_and_b32_e32 v70, 56, v31
	v_min_u32_e32 v103, v1, v70
	v_sub_u32_e32 v70, v100, v102
	v_sub_u32_e32 v71, v101, v100
	v_sub_u32_e64 v112, v103, v71 clamp
	v_min_u32_e32 v113, v103, v70
	v_cmp_lt_u32_e64 s[12:13], v112, v113
	; wave barrier
	flat_store_dwordx4 v[68:69], v[24:27]
	flat_store_dwordx4 v[68:69], v[20:23] offset:16
	flat_store_dwordx4 v[68:69], v[16:19] offset:32
	;; [unrolled: 1-line block ×3, first 2 shown]
	; wave barrier
	s_and_saveexec_b64 s[30:31], s[12:13]
	s_cbranch_execz .LBB878_1055
; %bb.1046:
	v_lshlrev_b32_e32 v70, 3, v102
	v_mov_b32_e32 v71, 0
	v_lshl_add_u64 v[80:81], v[66:67], 0, v[70:71]
	v_lshlrev_b32_e32 v70, 3, v100
	v_lshl_add_u64 v[82:83], v[66:67], 0, v[70:71]
	s_mov_b64 s[34:35], 0
	s_branch .LBB878_1049
.LBB878_1047:                           ;   in Loop: Header=BB878_1049 Depth=1
	s_or_b64 exec, exec, s[38:39]
	s_and_b64 s[12:13], s[40:41], exec
.LBB878_1048:                           ;   in Loop: Header=BB878_1049 Depth=1
	s_or_b64 exec, exec, s[36:37]
	v_add_u32_e32 v70, 1, v84
	v_cndmask_b32_e64 v113, v113, v84, s[12:13]
	v_cndmask_b32_e64 v112, v70, v112, s[12:13]
	v_cmp_ge_u32_e64 s[12:13], v112, v113
	s_or_b64 s[34:35], s[12:13], s[34:35]
	s_andn2_b64 exec, exec, s[34:35]
	s_cbranch_execz .LBB878_1054
.LBB878_1049:                           ; =>This Loop Header: Depth=1
                                        ;     Child Loop BB878_1052 Depth 2
	v_add_u32_e32 v70, v113, v112
	v_lshrrev_b32_e32 v84, 1, v70
	s_mov_b64 s[12:13], 0
	s_and_saveexec_b64 s[36:37], s[16:17]
	s_cbranch_execz .LBB878_1048
; %bb.1050:                             ;   in Loop: Header=BB878_1049 Depth=1
	v_mov_b32_e32 v85, v71
	v_xad_u32 v70, v84, -1, v103
	v_lshl_add_u64 v[86:87], v[84:85], 3, v[80:81]
	v_lshl_add_u64 v[96:97], v[70:71], 3, v[82:83]
	flat_load_dwordx2 v[86:87], v[86:87]
	s_mov_b64 s[38:39], 0
	flat_load_dwordx2 v[96:97], v[96:97]
                                        ; implicit-def: $sgpr40_sgpr41
                                        ; implicit-def: $sgpr42_sgpr43
                                        ; implicit-def: $sgpr44_sgpr45
                                        ; implicit-def: $sgpr18_sgpr19
                                        ; implicit-def: $sgpr46_sgpr47
	s_waitcnt vmcnt(0) lgkmcnt(0)
	v_mul_lo_u32 v70, v64, v87
	v_mul_lo_u32 v85, v65, v86
	v_mad_u64_u32 v[86:87], s[12:13], v64, v86, v[8:9]
	v_mul_lo_u32 v98, v64, v97
	v_mul_lo_u32 v99, v65, v96
	v_mad_u64_u32 v[96:97], s[12:13], v64, v96, v[8:9]
	v_add3_u32 v87, v85, v87, v70
	v_add3_u32 v97, v99, v97, v98
	v_mov_b64_e32 v[98:99], v[6:7]
	s_branch .LBB878_1052
.LBB878_1051:                           ;   in Loop: Header=BB878_1052 Depth=2
	s_or_b64 exec, exec, s[48:49]
	s_and_b64 s[12:13], exec, s[42:43]
	s_or_b64 s[38:39], s[12:13], s[38:39]
	s_andn2_b64 s[12:13], s[46:47], exec
	s_and_b64 s[22:23], s[44:45], exec
	s_or_b64 s[46:47], s[12:13], s[22:23]
	s_andn2_b64 s[12:13], s[40:41], exec
	s_and_b64 s[22:23], s[18:19], exec
	s_or_b64 s[40:41], s[12:13], s[22:23]
	s_andn2_b64 exec, exec, s[38:39]
	s_cbranch_execz .LBB878_1047
.LBB878_1052:                           ;   Parent Loop BB878_1049 Depth=1
                                        ; =>  This Inner Loop Header: Depth=2
	flat_load_dword v70, v[96:97]
	flat_load_dword v85, v[86:87]
	s_andn2_b64 s[48:49], s[18:19], exec
	s_andn2_b64 s[44:45], s[44:45], exec
	s_or_b64 s[42:43], s[42:43], exec
	s_waitcnt vmcnt(0) lgkmcnt(0)
	v_cmp_ngt_f32_e64 s[18:19], v70, v85
	v_cmp_lt_f32_e64 s[12:13], v70, v85
	s_and_b64 s[18:19], s[18:19], s[46:47]
	s_or_b64 s[50:51], s[12:13], s[18:19]
	s_and_b64 s[12:13], s[50:51], exec
	v_cmp_nlg_f32_e64 s[22:23], v70, v85
	s_or_b64 s[18:19], s[48:49], s[12:13]
	s_and_saveexec_b64 s[48:49], s[22:23]
	s_cbranch_execz .LBB878_1051
; %bb.1053:                             ;   in Loop: Header=BB878_1052 Depth=2
	v_lshl_add_u64 v[98:99], v[98:99], 0, -1
	v_cmp_eq_u64_e64 s[12:13], 0, v[98:99]
	s_andn2_b64 s[22:23], s[44:45], exec
	s_and_b64 s[44:45], s[50:51], exec
	s_or_b64 s[44:45], s[22:23], s[44:45]
	s_andn2_b64 s[22:23], s[42:43], exec
	s_and_b64 s[12:13], s[12:13], exec
	v_lshl_add_u64 v[86:87], v[86:87], 0, 4
	v_lshl_add_u64 v[96:97], v[96:97], 0, 4
	s_andn2_b64 s[18:19], s[18:19], exec
	s_or_b64 s[42:43], s[22:23], s[12:13]
                                        ; implicit-def: $sgpr46_sgpr47
	s_branch .LBB878_1051
.LBB878_1054:
	s_or_b64 exec, exec, s[34:35]
.LBB878_1055:
	s_or_b64 exec, exec, s[30:31]
	v_add_u32_e32 v71, v100, v103
	v_add_u32_e32 v70, v112, v102
	v_sub_u32_e32 v80, v71, v112
	v_cmp_le_u32_e64 s[12:13], v70, v100
	v_cmp_le_u32_e64 s[18:19], v80, v101
	s_or_b64 s[12:13], s[12:13], s[18:19]
	s_and_saveexec_b64 s[30:31], s[12:13]
	s_cbranch_execz .LBB878_1127
; %bb.1056:
	v_cmp_ge_u32_e64 s[18:19], v70, v100
	v_cmp_lt_u32_e64 s[12:13], v70, v100
                                        ; implicit-def: $vgpr12_vgpr13
	s_and_saveexec_b64 s[22:23], s[12:13]
	s_cbranch_execz .LBB878_1058
; %bb.1057:
	v_mov_b32_e32 v71, 0
	v_lshl_add_u64 v[12:13], v[70:71], 3, v[66:67]
	flat_load_dwordx2 v[12:13], v[12:13]
.LBB878_1058:
	s_or_b64 exec, exec, s[22:23]
	v_cmp_ge_u32_e64 s[34:35], v80, v101
	v_cmp_lt_u32_e64 s[12:13], v80, v101
                                        ; implicit-def: $vgpr14_vgpr15
	s_and_saveexec_b64 s[22:23], s[12:13]
	s_cbranch_execz .LBB878_1060
; %bb.1059:
	v_mov_b32_e32 v81, 0
	v_lshl_add_u64 v[14:15], v[80:81], 3, v[66:67]
	flat_load_dwordx2 v[14:15], v[14:15]
.LBB878_1060:
	s_or_b64 exec, exec, s[22:23]
	s_or_b64 s[12:13], s[18:19], s[34:35]
	s_xor_b64 s[12:13], s[12:13], -1
	s_and_saveexec_b64 s[36:37], s[12:13]
	s_cbranch_execz .LBB878_1068
; %bb.1061:
	s_mov_b64 s[12:13], 0
	s_and_saveexec_b64 s[38:39], s[16:17]
	s_cbranch_execz .LBB878_1067
; %bb.1062:
	s_waitcnt vmcnt(0) lgkmcnt(0)
	v_mul_lo_u32 v18, v13, v6
	v_mul_lo_u32 v19, v12, v7
	v_mad_u64_u32 v[16:17], s[12:13], v12, v6, 0
	v_add3_u32 v17, v17, v19, v18
	v_mul_lo_u32 v20, v15, v6
	v_mul_lo_u32 v21, v14, v7
	v_mad_u64_u32 v[18:19], s[12:13], v14, v6, 0
	v_add3_u32 v19, v19, v21, v20
	v_lshl_add_u64 v[16:17], v[16:17], 2, v[8:9]
	v_lshl_add_u64 v[18:19], v[18:19], 2, v[8:9]
	s_mov_b64 s[40:41], 0
	v_mov_b64_e32 v[20:21], v[6:7]
                                        ; implicit-def: $sgpr42_sgpr43
                                        ; implicit-def: $sgpr44_sgpr45
                                        ; implicit-def: $sgpr46_sgpr47
                                        ; implicit-def: $sgpr18_sgpr19
                                        ; implicit-def: $sgpr48_sgpr49
	s_branch .LBB878_1064
.LBB878_1063:                           ;   in Loop: Header=BB878_1064 Depth=1
	s_or_b64 exec, exec, s[50:51]
	s_and_b64 s[12:13], exec, s[44:45]
	s_or_b64 s[40:41], s[12:13], s[40:41]
	s_andn2_b64 s[12:13], s[48:49], exec
	s_and_b64 s[22:23], s[46:47], exec
	s_or_b64 s[48:49], s[12:13], s[22:23]
	s_andn2_b64 s[12:13], s[42:43], exec
	s_and_b64 s[22:23], s[18:19], exec
	s_or_b64 s[42:43], s[12:13], s[22:23]
	s_andn2_b64 exec, exec, s[40:41]
	s_cbranch_execz .LBB878_1066
.LBB878_1064:                           ; =>This Inner Loop Header: Depth=1
	flat_load_dword v22, v[18:19]
	flat_load_dword v23, v[16:17]
	s_andn2_b64 s[50:51], s[18:19], exec
	s_andn2_b64 s[46:47], s[46:47], exec
	s_or_b64 s[44:45], s[44:45], exec
	s_waitcnt vmcnt(0) lgkmcnt(0)
	v_cmp_ngt_f32_e64 s[18:19], v22, v23
	v_cmp_lt_f32_e64 s[12:13], v22, v23
	s_and_b64 s[18:19], s[18:19], s[48:49]
	s_or_b64 s[52:53], s[12:13], s[18:19]
	s_and_b64 s[12:13], s[52:53], exec
	v_cmp_nlg_f32_e64 s[22:23], v22, v23
	s_or_b64 s[18:19], s[50:51], s[12:13]
	s_and_saveexec_b64 s[50:51], s[22:23]
	s_cbranch_execz .LBB878_1063
; %bb.1065:                             ;   in Loop: Header=BB878_1064 Depth=1
	v_lshl_add_u64 v[20:21], v[20:21], 0, -1
	v_cmp_eq_u64_e64 s[12:13], 0, v[20:21]
	s_andn2_b64 s[22:23], s[46:47], exec
	s_and_b64 s[46:47], s[52:53], exec
	s_or_b64 s[46:47], s[22:23], s[46:47]
	s_andn2_b64 s[22:23], s[44:45], exec
	s_and_b64 s[12:13], s[12:13], exec
	v_lshl_add_u64 v[16:17], v[16:17], 0, 4
	v_lshl_add_u64 v[18:19], v[18:19], 0, 4
	s_andn2_b64 s[18:19], s[18:19], exec
	s_or_b64 s[44:45], s[22:23], s[12:13]
                                        ; implicit-def: $sgpr48_sgpr49
	s_branch .LBB878_1063
.LBB878_1066:
	s_or_b64 exec, exec, s[40:41]
	s_and_b64 s[12:13], s[42:43], exec
.LBB878_1067:
	s_or_b64 exec, exec, s[38:39]
	s_xor_b64 s[12:13], s[12:13], -1
	s_andn2_b64 s[18:19], s[34:35], exec
	s_and_b64 s[12:13], s[12:13], exec
	s_or_b64 s[34:35], s[18:19], s[12:13]
.LBB878_1068:
	s_or_b64 exec, exec, s[36:37]
	v_cndmask_b32_e64 v16, v80, v70, s[34:35]
	v_cndmask_b32_e64 v17, v101, v100, s[34:35]
	v_add_u32_e32 v20, 1, v16
	v_add_u32_e32 v16, -1, v17
	v_min_u32_e32 v16, v20, v16
	v_mov_b32_e32 v17, 0
	v_lshl_add_u64 v[18:19], v[16:17], 3, v[66:67]
	flat_load_dwordx2 v[18:19], v[18:19]
	v_cndmask_b32_e64 v27, v20, v80, s[34:35]
	s_mov_b64 s[36:37], -1
	v_cndmask_b32_e64 v70, v70, v20, s[34:35]
	v_cmp_lt_u32_e64 s[12:13], v27, v101
	s_mov_b64 s[38:39], -1
	s_waitcnt vmcnt(0) lgkmcnt(0)
	v_cndmask_b32_e64 v24, v19, v15, s[34:35]
	v_cndmask_b32_e64 v25, v18, v14, s[34:35]
	;; [unrolled: 1-line block ×4, first 2 shown]
	s_and_saveexec_b64 s[40:41], s[12:13]
	s_cbranch_execz .LBB878_1078
; %bb.1069:
	v_cmp_lt_u32_e64 s[12:13], v70, v100
	s_mov_b64 s[18:19], 0
	s_and_saveexec_b64 s[38:39], s[12:13]
	s_cbranch_execz .LBB878_1077
; %bb.1070:
	s_mov_b64 s[12:13], 0
	s_and_saveexec_b64 s[42:43], s[16:17]
	s_cbranch_execz .LBB878_1076
; %bb.1071:
	v_mul_lo_u32 v16, v26, v6
	v_mul_lo_u32 v20, v80, v7
	v_mad_u64_u32 v[18:19], s[12:13], v80, v6, 0
	v_add3_u32 v19, v19, v20, v16
	v_mul_lo_u32 v16, v24, v6
	v_mul_lo_u32 v22, v25, v7
	v_mad_u64_u32 v[20:21], s[12:13], v25, v6, 0
	v_add3_u32 v21, v21, v22, v16
	v_lshl_add_u64 v[18:19], v[18:19], 2, v[8:9]
	v_lshl_add_u64 v[20:21], v[20:21], 2, v[8:9]
	s_mov_b64 s[44:45], 0
	v_mov_b64_e32 v[22:23], v[6:7]
                                        ; implicit-def: $sgpr46_sgpr47
                                        ; implicit-def: $sgpr48_sgpr49
                                        ; implicit-def: $sgpr50_sgpr51
                                        ; implicit-def: $sgpr18_sgpr19
                                        ; implicit-def: $sgpr52_sgpr53
	s_branch .LBB878_1073
.LBB878_1072:                           ;   in Loop: Header=BB878_1073 Depth=1
	s_or_b64 exec, exec, s[54:55]
	s_and_b64 s[12:13], exec, s[48:49]
	s_or_b64 s[44:45], s[12:13], s[44:45]
	s_andn2_b64 s[12:13], s[52:53], exec
	s_and_b64 s[22:23], s[50:51], exec
	s_or_b64 s[52:53], s[12:13], s[22:23]
	s_andn2_b64 s[12:13], s[46:47], exec
	s_and_b64 s[22:23], s[18:19], exec
	s_or_b64 s[46:47], s[12:13], s[22:23]
	s_andn2_b64 exec, exec, s[44:45]
	s_cbranch_execz .LBB878_1075
.LBB878_1073:                           ; =>This Inner Loop Header: Depth=1
	flat_load_dword v16, v[20:21]
	flat_load_dword v71, v[18:19]
	s_andn2_b64 s[54:55], s[18:19], exec
	s_andn2_b64 s[50:51], s[50:51], exec
	s_or_b64 s[48:49], s[48:49], exec
	s_waitcnt vmcnt(0) lgkmcnt(0)
	v_cmp_ngt_f32_e64 s[18:19], v16, v71
	v_cmp_lt_f32_e64 s[12:13], v16, v71
	s_and_b64 s[18:19], s[18:19], s[52:53]
	s_or_b64 s[56:57], s[12:13], s[18:19]
	s_and_b64 s[12:13], s[56:57], exec
	v_cmp_nlg_f32_e64 s[22:23], v16, v71
	s_or_b64 s[18:19], s[54:55], s[12:13]
	s_and_saveexec_b64 s[54:55], s[22:23]
	s_cbranch_execz .LBB878_1072
; %bb.1074:                             ;   in Loop: Header=BB878_1073 Depth=1
	v_lshl_add_u64 v[22:23], v[22:23], 0, -1
	v_cmp_eq_u64_e64 s[12:13], 0, v[22:23]
	s_andn2_b64 s[22:23], s[50:51], exec
	s_and_b64 s[50:51], s[56:57], exec
	s_or_b64 s[50:51], s[22:23], s[50:51]
	s_andn2_b64 s[22:23], s[48:49], exec
	s_and_b64 s[12:13], s[12:13], exec
	v_lshl_add_u64 v[18:19], v[18:19], 0, 4
	v_lshl_add_u64 v[20:21], v[20:21], 0, 4
	s_andn2_b64 s[18:19], s[18:19], exec
	s_or_b64 s[48:49], s[22:23], s[12:13]
                                        ; implicit-def: $sgpr52_sgpr53
	s_branch .LBB878_1072
.LBB878_1075:
	s_or_b64 exec, exec, s[44:45]
	s_and_b64 s[12:13], s[46:47], exec
.LBB878_1076:
	s_or_b64 exec, exec, s[42:43]
	s_xor_b64 s[12:13], s[12:13], -1
	s_and_b64 s[18:19], s[12:13], exec
.LBB878_1077:
	s_or_b64 exec, exec, s[38:39]
	s_orn2_b64 s[38:39], s[18:19], exec
.LBB878_1078:
	s_or_b64 exec, exec, s[40:41]
	v_cndmask_b32_e64 v16, v27, v70, s[38:39]
	v_cndmask_b32_e64 v18, v101, v100, s[38:39]
	v_add_u32_e32 v19, 1, v16
	v_add_u32_e32 v16, -1, v18
	v_min_u32_e32 v16, v19, v16
	v_lshl_add_u64 v[16:17], v[16:17], 3, v[66:67]
	flat_load_dwordx2 v[16:17], v[16:17]
	v_cndmask_b32_e64 v22, v19, v27, s[38:39]
	v_cndmask_b32_e64 v23, v70, v19, s[38:39]
	v_cmp_lt_u32_e64 s[12:13], v22, v101
	s_waitcnt vmcnt(0) lgkmcnt(0)
	v_cndmask_b32_e64 v27, v17, v24, s[38:39]
	v_cndmask_b32_e64 v81, v16, v25, s[38:39]
	;; [unrolled: 1-line block ×4, first 2 shown]
	s_and_saveexec_b64 s[40:41], s[12:13]
	s_cbranch_execz .LBB878_1086
; %bb.1079:
	v_cmp_lt_u32_e64 s[36:37], v23, v100
	s_and_b64 s[12:13], s[36:37], s[28:29]
	s_and_saveexec_b64 s[42:43], s[12:13]
	s_cbranch_execz .LBB878_1085
; %bb.1080:
	v_mul_lo_u32 v18, v82, v6
	v_mul_lo_u32 v19, v83, v7
	v_mad_u64_u32 v[16:17], s[12:13], v83, v6, 0
	v_add3_u32 v17, v17, v19, v18
	v_mul_lo_u32 v20, v27, v6
	v_mul_lo_u32 v21, v81, v7
	v_mad_u64_u32 v[18:19], s[12:13], v81, v6, 0
	v_add3_u32 v19, v19, v21, v20
	v_lshl_add_u64 v[16:17], v[16:17], 2, v[8:9]
	v_lshl_add_u64 v[18:19], v[18:19], 2, v[8:9]
	s_mov_b64 s[44:45], 0
	v_mov_b64_e32 v[20:21], v[6:7]
                                        ; implicit-def: $sgpr46_sgpr47
                                        ; implicit-def: $sgpr48_sgpr49
                                        ; implicit-def: $sgpr18_sgpr19
                                        ; implicit-def: $sgpr50_sgpr51
                                        ; implicit-def: $sgpr52_sgpr53
	s_branch .LBB878_1082
.LBB878_1081:                           ;   in Loop: Header=BB878_1082 Depth=1
	s_or_b64 exec, exec, s[54:55]
	s_and_b64 s[12:13], exec, s[48:49]
	s_or_b64 s[44:45], s[12:13], s[44:45]
	s_andn2_b64 s[12:13], s[52:53], exec
	s_and_b64 s[22:23], s[50:51], exec
	s_or_b64 s[52:53], s[12:13], s[22:23]
	s_andn2_b64 s[12:13], s[46:47], exec
	s_and_b64 s[22:23], s[18:19], exec
	s_or_b64 s[46:47], s[12:13], s[22:23]
	s_andn2_b64 exec, exec, s[44:45]
	s_cbranch_execz .LBB878_1084
.LBB878_1082:                           ; =>This Inner Loop Header: Depth=1
	flat_load_dword v70, v[18:19]
	flat_load_dword v71, v[16:17]
	s_andn2_b64 s[54:55], s[18:19], exec
	s_andn2_b64 s[50:51], s[50:51], exec
	s_or_b64 s[48:49], s[48:49], exec
	s_waitcnt vmcnt(0) lgkmcnt(0)
	v_cmp_ngt_f32_e64 s[18:19], v70, v71
	v_cmp_lt_f32_e64 s[12:13], v70, v71
	s_and_b64 s[18:19], s[18:19], s[52:53]
	s_or_b64 s[56:57], s[12:13], s[18:19]
	s_and_b64 s[12:13], s[56:57], exec
	v_cmp_nlg_f32_e64 s[22:23], v70, v71
	s_or_b64 s[18:19], s[54:55], s[12:13]
	s_and_saveexec_b64 s[54:55], s[22:23]
	s_cbranch_execz .LBB878_1081
; %bb.1083:                             ;   in Loop: Header=BB878_1082 Depth=1
	v_lshl_add_u64 v[20:21], v[20:21], 0, -1
	v_cmp_eq_u64_e64 s[12:13], 0, v[20:21]
	s_andn2_b64 s[22:23], s[50:51], exec
	s_and_b64 s[50:51], s[56:57], exec
	s_or_b64 s[50:51], s[22:23], s[50:51]
	s_andn2_b64 s[22:23], s[48:49], exec
	s_and_b64 s[12:13], s[12:13], exec
	v_lshl_add_u64 v[16:17], v[16:17], 0, 4
	v_lshl_add_u64 v[18:19], v[18:19], 0, 4
	s_andn2_b64 s[18:19], s[18:19], exec
	s_or_b64 s[48:49], s[22:23], s[12:13]
                                        ; implicit-def: $sgpr52_sgpr53
	s_branch .LBB878_1081
.LBB878_1084:
	s_or_b64 exec, exec, s[44:45]
	s_xor_b64 s[12:13], s[46:47], -1
	s_andn2_b64 s[18:19], s[36:37], exec
	s_and_b64 s[12:13], s[12:13], exec
	s_or_b64 s[36:37], s[18:19], s[12:13]
.LBB878_1085:
	s_or_b64 exec, exec, s[42:43]
	s_orn2_b64 s[36:37], s[36:37], exec
.LBB878_1086:
	s_or_b64 exec, exec, s[40:41]
	v_cndmask_b32_e64 v16, v22, v23, s[36:37]
	v_cndmask_b32_e64 v17, v101, v100, s[36:37]
	v_add_u32_e32 v20, 1, v16
	v_add_u32_e32 v16, -1, v17
	v_min_u32_e32 v16, v20, v16
	v_mov_b32_e32 v17, 0
	v_lshl_add_u64 v[18:19], v[16:17], 3, v[66:67]
	flat_load_dwordx2 v[18:19], v[18:19]
	v_cndmask_b32_e64 v70, v20, v22, s[36:37]
	s_mov_b64 s[40:41], -1
	v_cndmask_b32_e64 v71, v23, v20, s[36:37]
	v_cmp_lt_u32_e64 s[12:13], v70, v101
	s_mov_b64 s[42:43], -1
	s_waitcnt vmcnt(0) lgkmcnt(0)
	v_cndmask_b32_e64 v84, v19, v27, s[36:37]
	v_cndmask_b32_e64 v85, v18, v81, s[36:37]
	;; [unrolled: 1-line block ×4, first 2 shown]
	s_and_saveexec_b64 s[44:45], s[12:13]
	s_cbranch_execz .LBB878_1094
; %bb.1087:
	v_cmp_lt_u32_e64 s[42:43], v71, v100
	s_and_b64 s[12:13], s[42:43], s[28:29]
	s_and_saveexec_b64 s[46:47], s[12:13]
	s_cbranch_execz .LBB878_1093
; %bb.1088:
	v_mul_lo_u32 v16, v86, v6
	v_mul_lo_u32 v20, v87, v7
	v_mad_u64_u32 v[18:19], s[12:13], v87, v6, 0
	v_add3_u32 v19, v19, v20, v16
	v_mul_lo_u32 v16, v84, v6
	v_mul_lo_u32 v22, v85, v7
	v_mad_u64_u32 v[20:21], s[12:13], v85, v6, 0
	v_add3_u32 v21, v21, v22, v16
	v_lshl_add_u64 v[18:19], v[18:19], 2, v[8:9]
	v_lshl_add_u64 v[20:21], v[20:21], 2, v[8:9]
	s_mov_b64 s[48:49], 0
	v_mov_b64_e32 v[22:23], v[6:7]
                                        ; implicit-def: $sgpr50_sgpr51
                                        ; implicit-def: $sgpr52_sgpr53
                                        ; implicit-def: $sgpr18_sgpr19
                                        ; implicit-def: $sgpr54_sgpr55
                                        ; implicit-def: $sgpr56_sgpr57
	s_branch .LBB878_1090
.LBB878_1089:                           ;   in Loop: Header=BB878_1090 Depth=1
	s_or_b64 exec, exec, s[58:59]
	s_and_b64 s[12:13], exec, s[52:53]
	s_or_b64 s[48:49], s[12:13], s[48:49]
	s_andn2_b64 s[12:13], s[56:57], exec
	s_and_b64 s[22:23], s[54:55], exec
	s_or_b64 s[56:57], s[12:13], s[22:23]
	s_andn2_b64 s[12:13], s[50:51], exec
	s_and_b64 s[22:23], s[18:19], exec
	s_or_b64 s[50:51], s[12:13], s[22:23]
	s_andn2_b64 exec, exec, s[48:49]
	s_cbranch_execz .LBB878_1092
.LBB878_1090:                           ; =>This Inner Loop Header: Depth=1
	flat_load_dword v16, v[20:21]
	flat_load_dword v96, v[18:19]
	s_andn2_b64 s[58:59], s[18:19], exec
	s_andn2_b64 s[54:55], s[54:55], exec
	s_or_b64 s[52:53], s[52:53], exec
	s_waitcnt vmcnt(0) lgkmcnt(0)
	v_cmp_ngt_f32_e64 s[18:19], v16, v96
	v_cmp_lt_f32_e64 s[12:13], v16, v96
	s_and_b64 s[18:19], s[18:19], s[56:57]
	s_or_b64 s[60:61], s[12:13], s[18:19]
	s_and_b64 s[12:13], s[60:61], exec
	v_cmp_nlg_f32_e64 s[22:23], v16, v96
	s_or_b64 s[18:19], s[58:59], s[12:13]
	s_and_saveexec_b64 s[58:59], s[22:23]
	s_cbranch_execz .LBB878_1089
; %bb.1091:                             ;   in Loop: Header=BB878_1090 Depth=1
	v_lshl_add_u64 v[22:23], v[22:23], 0, -1
	v_cmp_eq_u64_e64 s[12:13], 0, v[22:23]
	s_andn2_b64 s[22:23], s[54:55], exec
	s_and_b64 s[54:55], s[60:61], exec
	s_or_b64 s[54:55], s[22:23], s[54:55]
	s_andn2_b64 s[22:23], s[52:53], exec
	s_and_b64 s[12:13], s[12:13], exec
	v_lshl_add_u64 v[18:19], v[18:19], 0, 4
	v_lshl_add_u64 v[20:21], v[20:21], 0, 4
	s_andn2_b64 s[18:19], s[18:19], exec
	s_or_b64 s[52:53], s[22:23], s[12:13]
                                        ; implicit-def: $sgpr56_sgpr57
	s_branch .LBB878_1089
.LBB878_1092:
	s_or_b64 exec, exec, s[48:49]
	s_xor_b64 s[12:13], s[50:51], -1
	s_andn2_b64 s[18:19], s[42:43], exec
	s_and_b64 s[12:13], s[12:13], exec
	s_or_b64 s[42:43], s[18:19], s[12:13]
.LBB878_1093:
	s_or_b64 exec, exec, s[46:47]
	s_orn2_b64 s[42:43], s[42:43], exec
.LBB878_1094:
	s_or_b64 exec, exec, s[44:45]
	v_cndmask_b32_e64 v16, v70, v71, s[42:43]
	v_cndmask_b32_e64 v18, v101, v100, s[42:43]
	v_add_u32_e32 v19, 1, v16
	v_add_u32_e32 v16, -1, v18
	v_min_u32_e32 v16, v19, v16
	v_lshl_add_u64 v[16:17], v[16:17], 3, v[66:67]
	flat_load_dwordx2 v[16:17], v[16:17]
	v_cndmask_b32_e64 v22, v19, v70, s[42:43]
	v_cndmask_b32_e64 v23, v71, v19, s[42:43]
	v_cmp_lt_u32_e64 s[12:13], v22, v101
	s_waitcnt vmcnt(0) lgkmcnt(0)
	v_cndmask_b32_e64 v96, v17, v84, s[42:43]
	v_cndmask_b32_e64 v97, v16, v85, s[42:43]
	;; [unrolled: 1-line block ×4, first 2 shown]
	s_and_saveexec_b64 s[44:45], s[12:13]
	s_cbranch_execz .LBB878_1102
; %bb.1095:
	v_cmp_lt_u32_e64 s[40:41], v23, v100
	s_and_b64 s[12:13], s[40:41], s[28:29]
	s_and_saveexec_b64 s[46:47], s[12:13]
	s_cbranch_execz .LBB878_1101
; %bb.1096:
	v_mul_lo_u32 v18, v98, v6
	v_mul_lo_u32 v19, v99, v7
	v_mad_u64_u32 v[16:17], s[12:13], v99, v6, 0
	v_add3_u32 v17, v17, v19, v18
	v_mul_lo_u32 v20, v96, v6
	v_mul_lo_u32 v21, v97, v7
	v_mad_u64_u32 v[18:19], s[12:13], v97, v6, 0
	v_add3_u32 v19, v19, v21, v20
	v_lshl_add_u64 v[16:17], v[16:17], 2, v[8:9]
	v_lshl_add_u64 v[18:19], v[18:19], 2, v[8:9]
	s_mov_b64 s[48:49], 0
	v_mov_b64_e32 v[20:21], v[6:7]
                                        ; implicit-def: $sgpr50_sgpr51
                                        ; implicit-def: $sgpr52_sgpr53
                                        ; implicit-def: $sgpr18_sgpr19
                                        ; implicit-def: $sgpr54_sgpr55
                                        ; implicit-def: $sgpr56_sgpr57
	s_branch .LBB878_1098
.LBB878_1097:                           ;   in Loop: Header=BB878_1098 Depth=1
	s_or_b64 exec, exec, s[58:59]
	s_and_b64 s[12:13], exec, s[52:53]
	s_or_b64 s[48:49], s[12:13], s[48:49]
	s_andn2_b64 s[12:13], s[56:57], exec
	s_and_b64 s[22:23], s[54:55], exec
	s_or_b64 s[56:57], s[12:13], s[22:23]
	s_andn2_b64 s[12:13], s[50:51], exec
	s_and_b64 s[22:23], s[18:19], exec
	s_or_b64 s[50:51], s[12:13], s[22:23]
	s_andn2_b64 exec, exec, s[48:49]
	s_cbranch_execz .LBB878_1100
.LBB878_1098:                           ; =>This Inner Loop Header: Depth=1
	flat_load_dword v70, v[18:19]
	flat_load_dword v71, v[16:17]
	s_andn2_b64 s[58:59], s[18:19], exec
	s_andn2_b64 s[54:55], s[54:55], exec
	s_or_b64 s[52:53], s[52:53], exec
	s_waitcnt vmcnt(0) lgkmcnt(0)
	v_cmp_ngt_f32_e64 s[18:19], v70, v71
	v_cmp_lt_f32_e64 s[12:13], v70, v71
	s_and_b64 s[18:19], s[18:19], s[56:57]
	s_or_b64 s[60:61], s[12:13], s[18:19]
	s_and_b64 s[12:13], s[60:61], exec
	v_cmp_nlg_f32_e64 s[22:23], v70, v71
	s_or_b64 s[18:19], s[58:59], s[12:13]
	s_and_saveexec_b64 s[58:59], s[22:23]
	s_cbranch_execz .LBB878_1097
; %bb.1099:                             ;   in Loop: Header=BB878_1098 Depth=1
	v_lshl_add_u64 v[20:21], v[20:21], 0, -1
	v_cmp_eq_u64_e64 s[12:13], 0, v[20:21]
	s_andn2_b64 s[22:23], s[54:55], exec
	s_and_b64 s[54:55], s[60:61], exec
	s_or_b64 s[54:55], s[22:23], s[54:55]
	s_andn2_b64 s[22:23], s[52:53], exec
	s_and_b64 s[12:13], s[12:13], exec
	v_lshl_add_u64 v[16:17], v[16:17], 0, 4
	v_lshl_add_u64 v[18:19], v[18:19], 0, 4
	s_andn2_b64 s[18:19], s[18:19], exec
	s_or_b64 s[52:53], s[22:23], s[12:13]
                                        ; implicit-def: $sgpr56_sgpr57
	s_branch .LBB878_1097
.LBB878_1100:
	s_or_b64 exec, exec, s[48:49]
	s_xor_b64 s[12:13], s[50:51], -1
	s_andn2_b64 s[18:19], s[40:41], exec
	s_and_b64 s[12:13], s[12:13], exec
	s_or_b64 s[40:41], s[18:19], s[12:13]
.LBB878_1101:
	s_or_b64 exec, exec, s[46:47]
	s_orn2_b64 s[40:41], s[40:41], exec
.LBB878_1102:
	s_or_b64 exec, exec, s[44:45]
	v_cndmask_b32_e64 v16, v22, v23, s[40:41]
	v_cndmask_b32_e64 v17, v101, v100, s[40:41]
	v_add_u32_e32 v20, 1, v16
	v_add_u32_e32 v16, -1, v17
	v_min_u32_e32 v16, v20, v16
	v_mov_b32_e32 v17, 0
	v_lshl_add_u64 v[18:19], v[16:17], 3, v[66:67]
	flat_load_dwordx2 v[18:19], v[18:19]
	v_cndmask_b32_e64 v70, v20, v22, s[40:41]
	s_mov_b64 s[44:45], -1
	v_cndmask_b32_e64 v71, v23, v20, s[40:41]
	v_cmp_lt_u32_e64 s[12:13], v70, v101
	s_mov_b64 s[46:47], -1
	s_waitcnt vmcnt(0) lgkmcnt(0)
	v_cndmask_b32_e64 v102, v19, v96, s[40:41]
	v_cndmask_b32_e64 v103, v18, v97, s[40:41]
	;; [unrolled: 1-line block ×4, first 2 shown]
	s_and_saveexec_b64 s[48:49], s[12:13]
	s_cbranch_execz .LBB878_1110
; %bb.1103:
	v_cmp_lt_u32_e64 s[46:47], v71, v100
	s_and_b64 s[12:13], s[46:47], s[28:29]
	s_and_saveexec_b64 s[50:51], s[12:13]
	s_cbranch_execz .LBB878_1109
; %bb.1104:
	v_mul_lo_u32 v16, v112, v6
	v_mul_lo_u32 v20, v113, v7
	v_mad_u64_u32 v[18:19], s[12:13], v113, v6, 0
	v_add3_u32 v19, v19, v20, v16
	v_mul_lo_u32 v16, v102, v6
	v_mul_lo_u32 v22, v103, v7
	v_mad_u64_u32 v[20:21], s[12:13], v103, v6, 0
	v_add3_u32 v21, v21, v22, v16
	v_lshl_add_u64 v[18:19], v[18:19], 2, v[8:9]
	v_lshl_add_u64 v[20:21], v[20:21], 2, v[8:9]
	s_mov_b64 s[52:53], 0
	v_mov_b64_e32 v[22:23], v[6:7]
                                        ; implicit-def: $sgpr54_sgpr55
                                        ; implicit-def: $sgpr56_sgpr57
                                        ; implicit-def: $sgpr18_sgpr19
                                        ; implicit-def: $sgpr58_sgpr59
                                        ; implicit-def: $sgpr60_sgpr61
	s_branch .LBB878_1106
.LBB878_1105:                           ;   in Loop: Header=BB878_1106 Depth=1
	s_or_b64 exec, exec, s[62:63]
	s_and_b64 s[12:13], exec, s[56:57]
	s_or_b64 s[52:53], s[12:13], s[52:53]
	s_andn2_b64 s[12:13], s[60:61], exec
	s_and_b64 s[22:23], s[58:59], exec
	s_or_b64 s[60:61], s[12:13], s[22:23]
	s_andn2_b64 s[12:13], s[54:55], exec
	s_and_b64 s[22:23], s[18:19], exec
	s_or_b64 s[54:55], s[12:13], s[22:23]
	s_andn2_b64 exec, exec, s[52:53]
	s_cbranch_execz .LBB878_1108
.LBB878_1106:                           ; =>This Inner Loop Header: Depth=1
	flat_load_dword v16, v[20:21]
	flat_load_dword v114, v[18:19]
	s_andn2_b64 s[62:63], s[18:19], exec
	s_andn2_b64 s[58:59], s[58:59], exec
	s_or_b64 s[56:57], s[56:57], exec
	s_waitcnt vmcnt(0) lgkmcnt(0)
	v_cmp_ngt_f32_e64 s[18:19], v16, v114
	v_cmp_lt_f32_e64 s[12:13], v16, v114
	s_and_b64 s[18:19], s[18:19], s[60:61]
	s_or_b64 s[64:65], s[12:13], s[18:19]
	s_and_b64 s[12:13], s[64:65], exec
	v_cmp_nlg_f32_e64 s[22:23], v16, v114
	s_or_b64 s[18:19], s[62:63], s[12:13]
	s_and_saveexec_b64 s[62:63], s[22:23]
	s_cbranch_execz .LBB878_1105
; %bb.1107:                             ;   in Loop: Header=BB878_1106 Depth=1
	v_lshl_add_u64 v[22:23], v[22:23], 0, -1
	v_cmp_eq_u64_e64 s[12:13], 0, v[22:23]
	s_andn2_b64 s[22:23], s[58:59], exec
	s_and_b64 s[58:59], s[64:65], exec
	s_or_b64 s[58:59], s[22:23], s[58:59]
	s_andn2_b64 s[22:23], s[56:57], exec
	s_and_b64 s[12:13], s[12:13], exec
	v_lshl_add_u64 v[18:19], v[18:19], 0, 4
	v_lshl_add_u64 v[20:21], v[20:21], 0, 4
	s_andn2_b64 s[18:19], s[18:19], exec
	s_or_b64 s[56:57], s[22:23], s[12:13]
                                        ; implicit-def: $sgpr60_sgpr61
	s_branch .LBB878_1105
.LBB878_1108:
	s_or_b64 exec, exec, s[52:53]
	s_xor_b64 s[12:13], s[54:55], -1
	s_andn2_b64 s[18:19], s[46:47], exec
	s_and_b64 s[12:13], s[12:13], exec
	s_or_b64 s[46:47], s[18:19], s[12:13]
.LBB878_1109:
	s_or_b64 exec, exec, s[50:51]
	s_orn2_b64 s[46:47], s[46:47], exec
.LBB878_1110:
	s_or_b64 exec, exec, s[48:49]
	v_cndmask_b32_e64 v16, v70, v71, s[46:47]
	v_cndmask_b32_e64 v18, v101, v100, s[46:47]
	v_add_u32_e32 v19, 1, v16
	v_add_u32_e32 v16, -1, v18
	v_min_u32_e32 v16, v19, v16
	v_lshl_add_u64 v[16:17], v[16:17], 3, v[66:67]
	flat_load_dwordx2 v[16:17], v[16:17]
	v_cndmask_b32_e64 v117, v19, v70, s[46:47]
	v_cndmask_b32_e64 v114, v71, v19, s[46:47]
	v_cmp_lt_u32_e64 s[12:13], v117, v101
	s_waitcnt vmcnt(0) lgkmcnt(0)
	v_cndmask_b32_e64 v115, v17, v102, s[46:47]
	v_cndmask_b32_e64 v116, v16, v103, s[46:47]
	;; [unrolled: 1-line block ×4, first 2 shown]
	s_and_saveexec_b64 s[48:49], s[12:13]
	s_cbranch_execz .LBB878_1118
; %bb.1111:
	v_cmp_lt_u32_e64 s[44:45], v114, v100
	s_and_b64 s[12:13], s[44:45], s[28:29]
	s_and_saveexec_b64 s[50:51], s[12:13]
	s_cbranch_execz .LBB878_1117
; %bb.1112:
	v_mul_lo_u32 v18, v118, v6
	v_mul_lo_u32 v19, v119, v7
	v_mad_u64_u32 v[16:17], s[12:13], v119, v6, 0
	v_add3_u32 v17, v17, v19, v18
	v_mul_lo_u32 v20, v115, v6
	v_mul_lo_u32 v21, v116, v7
	v_mad_u64_u32 v[18:19], s[12:13], v116, v6, 0
	v_add3_u32 v19, v19, v21, v20
	v_lshl_add_u64 v[16:17], v[16:17], 2, v[8:9]
	v_lshl_add_u64 v[18:19], v[18:19], 2, v[8:9]
	s_mov_b64 s[52:53], 0
	v_mov_b64_e32 v[20:21], v[6:7]
                                        ; implicit-def: $sgpr54_sgpr55
                                        ; implicit-def: $sgpr56_sgpr57
                                        ; implicit-def: $sgpr18_sgpr19
                                        ; implicit-def: $sgpr58_sgpr59
                                        ; implicit-def: $sgpr60_sgpr61
	s_branch .LBB878_1114
.LBB878_1113:                           ;   in Loop: Header=BB878_1114 Depth=1
	s_or_b64 exec, exec, s[62:63]
	s_and_b64 s[12:13], exec, s[56:57]
	s_or_b64 s[52:53], s[12:13], s[52:53]
	s_andn2_b64 s[12:13], s[60:61], exec
	s_and_b64 s[22:23], s[58:59], exec
	s_or_b64 s[60:61], s[12:13], s[22:23]
	s_andn2_b64 s[12:13], s[54:55], exec
	s_and_b64 s[22:23], s[18:19], exec
	s_or_b64 s[54:55], s[12:13], s[22:23]
	s_andn2_b64 exec, exec, s[52:53]
	s_cbranch_execz .LBB878_1116
.LBB878_1114:                           ; =>This Inner Loop Header: Depth=1
	flat_load_dword v22, v[18:19]
	flat_load_dword v23, v[16:17]
	s_andn2_b64 s[62:63], s[18:19], exec
	s_andn2_b64 s[58:59], s[58:59], exec
	s_or_b64 s[56:57], s[56:57], exec
	s_waitcnt vmcnt(0) lgkmcnt(0)
	v_cmp_ngt_f32_e64 s[18:19], v22, v23
	v_cmp_lt_f32_e64 s[12:13], v22, v23
	s_and_b64 s[18:19], s[18:19], s[60:61]
	s_or_b64 s[64:65], s[12:13], s[18:19]
	s_and_b64 s[12:13], s[64:65], exec
	v_cmp_nlg_f32_e64 s[22:23], v22, v23
	s_or_b64 s[18:19], s[62:63], s[12:13]
	s_and_saveexec_b64 s[62:63], s[22:23]
	s_cbranch_execz .LBB878_1113
; %bb.1115:                             ;   in Loop: Header=BB878_1114 Depth=1
	v_lshl_add_u64 v[20:21], v[20:21], 0, -1
	v_cmp_eq_u64_e64 s[12:13], 0, v[20:21]
	s_andn2_b64 s[22:23], s[58:59], exec
	s_and_b64 s[58:59], s[64:65], exec
	s_or_b64 s[58:59], s[22:23], s[58:59]
	s_andn2_b64 s[22:23], s[56:57], exec
	s_and_b64 s[12:13], s[12:13], exec
	v_lshl_add_u64 v[16:17], v[16:17], 0, 4
	v_lshl_add_u64 v[18:19], v[18:19], 0, 4
	s_andn2_b64 s[18:19], s[18:19], exec
	s_or_b64 s[56:57], s[22:23], s[12:13]
                                        ; implicit-def: $sgpr60_sgpr61
	s_branch .LBB878_1113
.LBB878_1116:
	s_or_b64 exec, exec, s[52:53]
	s_xor_b64 s[12:13], s[54:55], -1
	s_andn2_b64 s[18:19], s[44:45], exec
	s_and_b64 s[12:13], s[12:13], exec
	s_or_b64 s[44:45], s[18:19], s[12:13]
.LBB878_1117:
	s_or_b64 exec, exec, s[50:51]
	s_orn2_b64 s[44:45], s[44:45], exec
.LBB878_1118:
	s_or_b64 exec, exec, s[48:49]
	v_cndmask_b32_e64 v16, v117, v114, s[44:45]
	v_cndmask_b32_e64 v17, v101, v100, s[44:45]
	v_add_u32_e32 v128, 1, v16
	v_add_u32_e32 v16, -1, v17
	v_min_u32_e32 v16, v128, v16
	v_mov_b32_e32 v17, 0
	v_lshl_add_u64 v[16:17], v[16:17], 3, v[66:67]
	flat_load_dwordx2 v[70:71], v[16:17]
	v_cndmask_b32_e64 v21, v27, v82, s[36:37]
	v_cndmask_b32_e64 v27, v24, v26, s[38:39]
	;; [unrolled: 1-line block ×15, first 2 shown]
	v_cmp_lt_u32_e64 s[12:13], v80, v101
	s_waitcnt vmcnt(0) lgkmcnt(0)
	v_cndmask_b32_e64 v15, v118, v71, s[44:45]
	v_cndmask_b32_e64 v14, v119, v70, s[44:45]
	s_and_saveexec_b64 s[34:35], s[12:13]
	s_cbranch_execz .LBB878_1126
; %bb.1119:
	v_cndmask_b32_e64 v85, v70, v116, s[44:45]
	v_cndmask_b32_e64 v70, v114, v128, s[44:45]
	v_cmp_ge_u32_e64 s[12:13], v70, v100
	v_cndmask_b32_e64 v84, v71, v115, s[44:45]
	s_or_b64 s[18:19], s[12:13], s[8:9]
	v_cndmask_b32_e64 v71, v15, v84, s[12:13]
	s_xor_b64 s[18:19], s[18:19], -1
	v_cndmask_b32_e64 v70, v14, v85, s[12:13]
	s_and_saveexec_b64 s[36:37], s[18:19]
	s_cbranch_execz .LBB878_1125
; %bb.1120:
	v_mul_lo_u32 v80, v15, v6
	v_mul_lo_u32 v81, v14, v7
	v_mad_u64_u32 v[70:71], s[12:13], v14, v6, 0
	v_add3_u32 v71, v71, v81, v80
	v_mul_lo_u32 v82, v84, v6
	v_mul_lo_u32 v83, v85, v7
	v_mad_u64_u32 v[80:81], s[12:13], v85, v6, 0
	v_add3_u32 v81, v81, v83, v82
	v_lshl_add_u64 v[70:71], v[70:71], 2, v[8:9]
	v_lshl_add_u64 v[80:81], v[80:81], 2, v[8:9]
	s_mov_b64 s[38:39], 0
	v_mov_b64_e32 v[82:83], v[6:7]
                                        ; implicit-def: $sgpr40_sgpr41
                                        ; implicit-def: $sgpr42_sgpr43
                                        ; implicit-def: $sgpr18_sgpr19
                                        ; implicit-def: $sgpr44_sgpr45
                                        ; implicit-def: $sgpr46_sgpr47
	s_branch .LBB878_1122
.LBB878_1121:                           ;   in Loop: Header=BB878_1122 Depth=1
	s_or_b64 exec, exec, s[48:49]
	s_and_b64 s[12:13], exec, s[42:43]
	s_or_b64 s[38:39], s[12:13], s[38:39]
	s_andn2_b64 s[12:13], s[46:47], exec
	s_and_b64 s[22:23], s[44:45], exec
	s_or_b64 s[46:47], s[12:13], s[22:23]
	s_andn2_b64 s[12:13], s[40:41], exec
	s_and_b64 s[22:23], s[18:19], exec
	s_or_b64 s[40:41], s[12:13], s[22:23]
	s_andn2_b64 exec, exec, s[38:39]
	s_cbranch_execz .LBB878_1124
.LBB878_1122:                           ; =>This Inner Loop Header: Depth=1
	flat_load_dword v86, v[80:81]
	flat_load_dword v87, v[70:71]
	s_andn2_b64 s[48:49], s[18:19], exec
	s_andn2_b64 s[44:45], s[44:45], exec
	s_or_b64 s[42:43], s[42:43], exec
	s_waitcnt vmcnt(0) lgkmcnt(0)
	v_cmp_ngt_f32_e64 s[18:19], v86, v87
	v_cmp_lt_f32_e64 s[12:13], v86, v87
	s_and_b64 s[18:19], s[18:19], s[46:47]
	s_or_b64 s[50:51], s[12:13], s[18:19]
	s_and_b64 s[12:13], s[50:51], exec
	v_cmp_nlg_f32_e64 s[22:23], v86, v87
	s_or_b64 s[18:19], s[48:49], s[12:13]
	s_and_saveexec_b64 s[48:49], s[22:23]
	s_cbranch_execz .LBB878_1121
; %bb.1123:                             ;   in Loop: Header=BB878_1122 Depth=1
	v_lshl_add_u64 v[82:83], v[82:83], 0, -1
	v_cmp_eq_u64_e64 s[12:13], 0, v[82:83]
	s_andn2_b64 s[22:23], s[44:45], exec
	s_and_b64 s[44:45], s[50:51], exec
	s_or_b64 s[44:45], s[22:23], s[44:45]
	s_andn2_b64 s[22:23], s[42:43], exec
	s_and_b64 s[12:13], s[12:13], exec
	v_lshl_add_u64 v[70:71], v[70:71], 0, 4
	v_lshl_add_u64 v[80:81], v[80:81], 0, 4
	s_andn2_b64 s[18:19], s[18:19], exec
	s_or_b64 s[42:43], s[22:23], s[12:13]
                                        ; implicit-def: $sgpr46_sgpr47
	s_branch .LBB878_1121
.LBB878_1124:
	s_or_b64 exec, exec, s[38:39]
	v_cndmask_b32_e64 v71, v15, v84, s[40:41]
	v_cndmask_b32_e64 v70, v14, v85, s[40:41]
.LBB878_1125:
	s_or_b64 exec, exec, s[36:37]
	v_mov_b64_e32 v[14:15], v[70:71]
.LBB878_1126:
	s_or_b64 exec, exec, s[34:35]
.LBB878_1127:
	s_or_b64 exec, exec, s[30:31]
	v_and_b32_e32 v100, 0x380, v31
	; wave barrier
	flat_store_dwordx4 v[68:69], v[24:27]
	flat_store_dwordx4 v[68:69], v[20:23] offset:16
	flat_store_dwordx4 v[68:69], v[16:19] offset:32
	;; [unrolled: 1-line block ×3, first 2 shown]
	v_or_b32_e32 v68, 64, v100
	v_min_u32_e32 v98, v1, v68
	v_add_u32_e32 v68, 64, v98
	v_min_u32_e32 v99, v1, v68
	v_and_b32_e32 v31, 0x78, v31
	v_min_u32_e32 v1, v1, v31
	v_sub_u32_e32 v68, v98, v100
	v_sub_u32_e32 v31, v99, v98
	v_sub_u32_e64 v31, v1, v31 clamp
	v_min_u32_e32 v101, v1, v68
	v_cmp_lt_u32_e64 s[12:13], v31, v101
	; wave barrier
	s_and_saveexec_b64 s[30:31], s[12:13]
	s_cbranch_execz .LBB878_1137
; %bb.1128:
	v_lshlrev_b32_e32 v68, 3, v100
	v_mov_b32_e32 v69, 0
	v_lshl_add_u64 v[70:71], v[66:67], 0, v[68:69]
	v_lshlrev_b32_e32 v68, 3, v98
	v_lshl_add_u64 v[80:81], v[66:67], 0, v[68:69]
	s_mov_b64 s[34:35], 0
	s_branch .LBB878_1131
.LBB878_1129:                           ;   in Loop: Header=BB878_1131 Depth=1
	s_or_b64 exec, exec, s[38:39]
	s_and_b64 s[12:13], s[40:41], exec
.LBB878_1130:                           ;   in Loop: Header=BB878_1131 Depth=1
	s_or_b64 exec, exec, s[36:37]
	v_add_u32_e32 v68, 1, v82
	v_cndmask_b32_e64 v101, v101, v82, s[12:13]
	v_cndmask_b32_e64 v31, v68, v31, s[12:13]
	v_cmp_ge_u32_e64 s[12:13], v31, v101
	s_or_b64 s[34:35], s[12:13], s[34:35]
	s_andn2_b64 exec, exec, s[34:35]
	s_cbranch_execz .LBB878_1136
.LBB878_1131:                           ; =>This Loop Header: Depth=1
                                        ;     Child Loop BB878_1134 Depth 2
	v_add_u32_e32 v68, v101, v31
	v_lshrrev_b32_e32 v82, 1, v68
	s_mov_b64 s[12:13], 0
	s_and_saveexec_b64 s[36:37], s[16:17]
	s_cbranch_execz .LBB878_1130
; %bb.1132:                             ;   in Loop: Header=BB878_1131 Depth=1
	v_mov_b32_e32 v83, v69
	v_xad_u32 v68, v82, -1, v1
	v_lshl_add_u64 v[84:85], v[82:83], 3, v[70:71]
	v_lshl_add_u64 v[86:87], v[68:69], 3, v[80:81]
	flat_load_dwordx2 v[84:85], v[84:85]
	s_mov_b64 s[38:39], 0
	flat_load_dwordx2 v[86:87], v[86:87]
                                        ; implicit-def: $sgpr40_sgpr41
                                        ; implicit-def: $sgpr42_sgpr43
                                        ; implicit-def: $sgpr44_sgpr45
                                        ; implicit-def: $sgpr18_sgpr19
                                        ; implicit-def: $sgpr46_sgpr47
	s_waitcnt vmcnt(0) lgkmcnt(0)
	v_mul_lo_u32 v68, v64, v85
	v_mul_lo_u32 v83, v65, v84
	v_mad_u64_u32 v[84:85], s[12:13], v64, v84, v[8:9]
	v_mul_lo_u32 v96, v64, v87
	v_mul_lo_u32 v97, v65, v86
	v_mad_u64_u32 v[86:87], s[12:13], v64, v86, v[8:9]
	v_add3_u32 v85, v83, v85, v68
	v_add3_u32 v87, v97, v87, v96
	v_mov_b64_e32 v[96:97], v[6:7]
	s_branch .LBB878_1134
.LBB878_1133:                           ;   in Loop: Header=BB878_1134 Depth=2
	s_or_b64 exec, exec, s[48:49]
	s_and_b64 s[12:13], exec, s[42:43]
	s_or_b64 s[38:39], s[12:13], s[38:39]
	s_andn2_b64 s[12:13], s[46:47], exec
	s_and_b64 s[22:23], s[44:45], exec
	s_or_b64 s[46:47], s[12:13], s[22:23]
	s_andn2_b64 s[12:13], s[40:41], exec
	s_and_b64 s[22:23], s[18:19], exec
	s_or_b64 s[40:41], s[12:13], s[22:23]
	s_andn2_b64 exec, exec, s[38:39]
	s_cbranch_execz .LBB878_1129
.LBB878_1134:                           ;   Parent Loop BB878_1131 Depth=1
                                        ; =>  This Inner Loop Header: Depth=2
	flat_load_dword v68, v[86:87]
	flat_load_dword v83, v[84:85]
	s_andn2_b64 s[48:49], s[18:19], exec
	s_andn2_b64 s[44:45], s[44:45], exec
	s_or_b64 s[42:43], s[42:43], exec
	s_waitcnt vmcnt(0) lgkmcnt(0)
	v_cmp_ngt_f32_e64 s[18:19], v68, v83
	v_cmp_lt_f32_e64 s[12:13], v68, v83
	s_and_b64 s[18:19], s[18:19], s[46:47]
	s_or_b64 s[50:51], s[12:13], s[18:19]
	s_and_b64 s[12:13], s[50:51], exec
	v_cmp_nlg_f32_e64 s[22:23], v68, v83
	s_or_b64 s[18:19], s[48:49], s[12:13]
	s_and_saveexec_b64 s[48:49], s[22:23]
	s_cbranch_execz .LBB878_1133
; %bb.1135:                             ;   in Loop: Header=BB878_1134 Depth=2
	v_lshl_add_u64 v[96:97], v[96:97], 0, -1
	v_cmp_eq_u64_e64 s[12:13], 0, v[96:97]
	s_andn2_b64 s[22:23], s[44:45], exec
	s_and_b64 s[44:45], s[50:51], exec
	s_or_b64 s[44:45], s[22:23], s[44:45]
	s_andn2_b64 s[22:23], s[42:43], exec
	s_and_b64 s[12:13], s[12:13], exec
	v_lshl_add_u64 v[84:85], v[84:85], 0, 4
	v_lshl_add_u64 v[86:87], v[86:87], 0, 4
	s_andn2_b64 s[18:19], s[18:19], exec
	s_or_b64 s[42:43], s[22:23], s[12:13]
                                        ; implicit-def: $sgpr46_sgpr47
	s_branch .LBB878_1133
.LBB878_1136:
	s_or_b64 exec, exec, s[34:35]
.LBB878_1137:
	s_or_b64 exec, exec, s[30:31]
	v_add_u32_e32 v1, v98, v1
	v_add_u32_e32 v68, v31, v100
	v_sub_u32_e32 v70, v1, v31
	v_cmp_le_u32_e64 s[12:13], v68, v98
	v_cmp_le_u32_e64 s[18:19], v70, v99
	s_or_b64 s[12:13], s[12:13], s[18:19]
	s_and_saveexec_b64 s[30:31], s[12:13]
	s_cbranch_execz .LBB878_1209
; %bb.1138:
	v_cmp_ge_u32_e64 s[18:19], v68, v98
	v_cmp_lt_u32_e64 s[12:13], v68, v98
                                        ; implicit-def: $vgpr12_vgpr13
	s_and_saveexec_b64 s[22:23], s[12:13]
	s_cbranch_execz .LBB878_1140
; %bb.1139:
	v_mov_b32_e32 v69, 0
	v_lshl_add_u64 v[12:13], v[68:69], 3, v[66:67]
	flat_load_dwordx2 v[12:13], v[12:13]
.LBB878_1140:
	s_or_b64 exec, exec, s[22:23]
	v_cmp_ge_u32_e64 s[34:35], v70, v99
	v_cmp_lt_u32_e64 s[12:13], v70, v99
                                        ; implicit-def: $vgpr14_vgpr15
	s_and_saveexec_b64 s[22:23], s[12:13]
	s_cbranch_execz .LBB878_1142
; %bb.1141:
	v_mov_b32_e32 v71, 0
	v_lshl_add_u64 v[14:15], v[70:71], 3, v[66:67]
	flat_load_dwordx2 v[14:15], v[14:15]
.LBB878_1142:
	s_or_b64 exec, exec, s[22:23]
	s_or_b64 s[12:13], s[18:19], s[34:35]
	s_xor_b64 s[12:13], s[12:13], -1
	s_and_saveexec_b64 s[36:37], s[12:13]
	s_cbranch_execz .LBB878_1150
; %bb.1143:
	s_mov_b64 s[12:13], 0
	s_and_saveexec_b64 s[38:39], s[16:17]
	s_cbranch_execz .LBB878_1149
; %bb.1144:
	s_waitcnt vmcnt(0) lgkmcnt(0)
	v_mul_lo_u32 v1, v13, v6
	v_mul_lo_u32 v18, v12, v7
	v_mad_u64_u32 v[16:17], s[12:13], v12, v6, 0
	v_add3_u32 v17, v17, v18, v1
	v_mul_lo_u32 v1, v15, v6
	v_mul_lo_u32 v20, v14, v7
	v_mad_u64_u32 v[18:19], s[12:13], v14, v6, 0
	v_add3_u32 v19, v19, v20, v1
	v_lshl_add_u64 v[16:17], v[16:17], 2, v[8:9]
	v_lshl_add_u64 v[18:19], v[18:19], 2, v[8:9]
	s_mov_b64 s[40:41], 0
	v_mov_b64_e32 v[20:21], v[6:7]
                                        ; implicit-def: $sgpr42_sgpr43
                                        ; implicit-def: $sgpr44_sgpr45
                                        ; implicit-def: $sgpr46_sgpr47
                                        ; implicit-def: $sgpr18_sgpr19
                                        ; implicit-def: $sgpr48_sgpr49
	s_branch .LBB878_1146
.LBB878_1145:                           ;   in Loop: Header=BB878_1146 Depth=1
	s_or_b64 exec, exec, s[50:51]
	s_and_b64 s[12:13], exec, s[44:45]
	s_or_b64 s[40:41], s[12:13], s[40:41]
	s_andn2_b64 s[12:13], s[48:49], exec
	s_and_b64 s[22:23], s[46:47], exec
	s_or_b64 s[48:49], s[12:13], s[22:23]
	s_andn2_b64 s[12:13], s[42:43], exec
	s_and_b64 s[22:23], s[18:19], exec
	s_or_b64 s[42:43], s[12:13], s[22:23]
	s_andn2_b64 exec, exec, s[40:41]
	s_cbranch_execz .LBB878_1148
.LBB878_1146:                           ; =>This Inner Loop Header: Depth=1
	flat_load_dword v1, v[18:19]
	flat_load_dword v22, v[16:17]
	s_andn2_b64 s[50:51], s[18:19], exec
	s_andn2_b64 s[46:47], s[46:47], exec
	s_or_b64 s[44:45], s[44:45], exec
	s_waitcnt vmcnt(0) lgkmcnt(0)
	v_cmp_ngt_f32_e64 s[18:19], v1, v22
	v_cmp_lt_f32_e64 s[12:13], v1, v22
	s_and_b64 s[18:19], s[18:19], s[48:49]
	s_or_b64 s[52:53], s[12:13], s[18:19]
	s_and_b64 s[12:13], s[52:53], exec
	v_cmp_nlg_f32_e64 s[22:23], v1, v22
	s_or_b64 s[18:19], s[50:51], s[12:13]
	s_and_saveexec_b64 s[50:51], s[22:23]
	s_cbranch_execz .LBB878_1145
; %bb.1147:                             ;   in Loop: Header=BB878_1146 Depth=1
	v_lshl_add_u64 v[20:21], v[20:21], 0, -1
	v_cmp_eq_u64_e64 s[12:13], 0, v[20:21]
	s_andn2_b64 s[22:23], s[46:47], exec
	s_and_b64 s[46:47], s[52:53], exec
	s_or_b64 s[46:47], s[22:23], s[46:47]
	s_andn2_b64 s[22:23], s[44:45], exec
	s_and_b64 s[12:13], s[12:13], exec
	v_lshl_add_u64 v[16:17], v[16:17], 0, 4
	v_lshl_add_u64 v[18:19], v[18:19], 0, 4
	s_andn2_b64 s[18:19], s[18:19], exec
	s_or_b64 s[44:45], s[22:23], s[12:13]
                                        ; implicit-def: $sgpr48_sgpr49
	s_branch .LBB878_1145
.LBB878_1148:
	s_or_b64 exec, exec, s[40:41]
	s_and_b64 s[12:13], s[42:43], exec
.LBB878_1149:
	s_or_b64 exec, exec, s[38:39]
	s_xor_b64 s[12:13], s[12:13], -1
	s_andn2_b64 s[18:19], s[34:35], exec
	s_and_b64 s[12:13], s[12:13], exec
	s_or_b64 s[34:35], s[18:19], s[12:13]
.LBB878_1150:
	s_or_b64 exec, exec, s[36:37]
	v_cndmask_b32_e64 v1, v70, v68, s[34:35]
	v_cndmask_b32_e64 v16, v99, v98, s[34:35]
	v_add_u32_e32 v1, 1, v1
	v_add_u32_e32 v16, -1, v16
	v_min_u32_e32 v16, v1, v16
	v_mov_b32_e32 v17, 0
	v_lshl_add_u64 v[18:19], v[16:17], 3, v[66:67]
	flat_load_dwordx2 v[18:19], v[18:19]
	v_cndmask_b32_e64 v27, v1, v70, s[34:35]
	s_mov_b64 s[36:37], -1
	v_cndmask_b32_e64 v31, v68, v1, s[34:35]
	v_cmp_lt_u32_e64 s[12:13], v27, v99
	s_mov_b64 s[38:39], -1
	s_waitcnt vmcnt(0) lgkmcnt(0)
	v_cndmask_b32_e64 v1, v19, v15, s[34:35]
	v_cndmask_b32_e64 v24, v18, v14, s[34:35]
	v_cndmask_b32_e64 v25, v13, v19, s[34:35]
	v_cndmask_b32_e64 v26, v12, v18, s[34:35]
	s_and_saveexec_b64 s[40:41], s[12:13]
	s_cbranch_execz .LBB878_1160
; %bb.1151:
	v_cmp_lt_u32_e64 s[12:13], v31, v98
	s_mov_b64 s[18:19], 0
	s_and_saveexec_b64 s[38:39], s[12:13]
	s_cbranch_execz .LBB878_1159
; %bb.1152:
	s_mov_b64 s[12:13], 0
	s_and_saveexec_b64 s[42:43], s[16:17]
	s_cbranch_execz .LBB878_1158
; %bb.1153:
	v_mul_lo_u32 v16, v25, v6
	v_mul_lo_u32 v20, v26, v7
	v_mad_u64_u32 v[18:19], s[12:13], v26, v6, 0
	v_add3_u32 v19, v19, v20, v16
	v_mul_lo_u32 v16, v1, v6
	v_mul_lo_u32 v22, v24, v7
	v_mad_u64_u32 v[20:21], s[12:13], v24, v6, 0
	v_add3_u32 v21, v21, v22, v16
	v_lshl_add_u64 v[18:19], v[18:19], 2, v[8:9]
	v_lshl_add_u64 v[20:21], v[20:21], 2, v[8:9]
	s_mov_b64 s[44:45], 0
	v_mov_b64_e32 v[22:23], v[6:7]
                                        ; implicit-def: $sgpr46_sgpr47
                                        ; implicit-def: $sgpr48_sgpr49
                                        ; implicit-def: $sgpr50_sgpr51
                                        ; implicit-def: $sgpr18_sgpr19
                                        ; implicit-def: $sgpr52_sgpr53
	s_branch .LBB878_1155
.LBB878_1154:                           ;   in Loop: Header=BB878_1155 Depth=1
	s_or_b64 exec, exec, s[54:55]
	s_and_b64 s[12:13], exec, s[48:49]
	s_or_b64 s[44:45], s[12:13], s[44:45]
	s_andn2_b64 s[12:13], s[52:53], exec
	s_and_b64 s[22:23], s[50:51], exec
	s_or_b64 s[52:53], s[12:13], s[22:23]
	s_andn2_b64 s[12:13], s[46:47], exec
	s_and_b64 s[22:23], s[18:19], exec
	s_or_b64 s[46:47], s[12:13], s[22:23]
	s_andn2_b64 exec, exec, s[44:45]
	s_cbranch_execz .LBB878_1157
.LBB878_1155:                           ; =>This Inner Loop Header: Depth=1
	flat_load_dword v16, v[20:21]
	flat_load_dword v68, v[18:19]
	s_andn2_b64 s[54:55], s[18:19], exec
	s_andn2_b64 s[50:51], s[50:51], exec
	s_or_b64 s[48:49], s[48:49], exec
	s_waitcnt vmcnt(0) lgkmcnt(0)
	v_cmp_ngt_f32_e64 s[18:19], v16, v68
	v_cmp_lt_f32_e64 s[12:13], v16, v68
	s_and_b64 s[18:19], s[18:19], s[52:53]
	s_or_b64 s[56:57], s[12:13], s[18:19]
	s_and_b64 s[12:13], s[56:57], exec
	v_cmp_nlg_f32_e64 s[22:23], v16, v68
	s_or_b64 s[18:19], s[54:55], s[12:13]
	s_and_saveexec_b64 s[54:55], s[22:23]
	s_cbranch_execz .LBB878_1154
; %bb.1156:                             ;   in Loop: Header=BB878_1155 Depth=1
	v_lshl_add_u64 v[22:23], v[22:23], 0, -1
	v_cmp_eq_u64_e64 s[12:13], 0, v[22:23]
	s_andn2_b64 s[22:23], s[50:51], exec
	s_and_b64 s[50:51], s[56:57], exec
	s_or_b64 s[50:51], s[22:23], s[50:51]
	s_andn2_b64 s[22:23], s[48:49], exec
	s_and_b64 s[12:13], s[12:13], exec
	v_lshl_add_u64 v[18:19], v[18:19], 0, 4
	v_lshl_add_u64 v[20:21], v[20:21], 0, 4
	s_andn2_b64 s[18:19], s[18:19], exec
	s_or_b64 s[48:49], s[22:23], s[12:13]
                                        ; implicit-def: $sgpr52_sgpr53
	s_branch .LBB878_1154
.LBB878_1157:
	s_or_b64 exec, exec, s[44:45]
	s_and_b64 s[12:13], s[46:47], exec
.LBB878_1158:
	s_or_b64 exec, exec, s[42:43]
	s_xor_b64 s[12:13], s[12:13], -1
	s_and_b64 s[18:19], s[12:13], exec
.LBB878_1159:
	s_or_b64 exec, exec, s[38:39]
	s_orn2_b64 s[38:39], s[18:19], exec
.LBB878_1160:
	s_or_b64 exec, exec, s[40:41]
	v_cndmask_b32_e64 v16, v27, v31, s[38:39]
	v_cndmask_b32_e64 v18, v99, v98, s[38:39]
	v_add_u32_e32 v19, 1, v16
	v_add_u32_e32 v16, -1, v18
	v_min_u32_e32 v16, v19, v16
	v_lshl_add_u64 v[16:17], v[16:17], 3, v[66:67]
	flat_load_dwordx2 v[16:17], v[16:17]
	v_cndmask_b32_e64 v22, v19, v27, s[38:39]
	v_cndmask_b32_e64 v23, v31, v19, s[38:39]
	v_cmp_lt_u32_e64 s[12:13], v22, v99
	s_waitcnt vmcnt(0) lgkmcnt(0)
	v_cndmask_b32_e64 v27, v17, v1, s[38:39]
	v_cndmask_b32_e64 v31, v16, v24, s[38:39]
	;; [unrolled: 1-line block ×4, first 2 shown]
	s_and_saveexec_b64 s[40:41], s[12:13]
	s_cbranch_execz .LBB878_1168
; %bb.1161:
	v_cmp_lt_u32_e64 s[36:37], v23, v98
	s_and_b64 s[12:13], s[36:37], s[28:29]
	s_and_saveexec_b64 s[42:43], s[12:13]
	s_cbranch_execz .LBB878_1167
; %bb.1162:
	v_mul_lo_u32 v18, v68, v6
	v_mul_lo_u32 v19, v69, v7
	v_mad_u64_u32 v[16:17], s[12:13], v69, v6, 0
	v_add3_u32 v17, v17, v19, v18
	v_mul_lo_u32 v20, v27, v6
	v_mul_lo_u32 v21, v31, v7
	v_mad_u64_u32 v[18:19], s[12:13], v31, v6, 0
	v_add3_u32 v19, v19, v21, v20
	v_lshl_add_u64 v[16:17], v[16:17], 2, v[8:9]
	v_lshl_add_u64 v[18:19], v[18:19], 2, v[8:9]
	s_mov_b64 s[44:45], 0
	v_mov_b64_e32 v[20:21], v[6:7]
                                        ; implicit-def: $sgpr46_sgpr47
                                        ; implicit-def: $sgpr48_sgpr49
                                        ; implicit-def: $sgpr18_sgpr19
                                        ; implicit-def: $sgpr50_sgpr51
                                        ; implicit-def: $sgpr52_sgpr53
	s_branch .LBB878_1164
.LBB878_1163:                           ;   in Loop: Header=BB878_1164 Depth=1
	s_or_b64 exec, exec, s[54:55]
	s_and_b64 s[12:13], exec, s[48:49]
	s_or_b64 s[44:45], s[12:13], s[44:45]
	s_andn2_b64 s[12:13], s[52:53], exec
	s_and_b64 s[22:23], s[50:51], exec
	s_or_b64 s[52:53], s[12:13], s[22:23]
	s_andn2_b64 s[12:13], s[46:47], exec
	s_and_b64 s[22:23], s[18:19], exec
	s_or_b64 s[46:47], s[12:13], s[22:23]
	s_andn2_b64 exec, exec, s[44:45]
	s_cbranch_execz .LBB878_1166
.LBB878_1164:                           ; =>This Inner Loop Header: Depth=1
	flat_load_dword v70, v[18:19]
	flat_load_dword v71, v[16:17]
	s_andn2_b64 s[54:55], s[18:19], exec
	s_andn2_b64 s[50:51], s[50:51], exec
	s_or_b64 s[48:49], s[48:49], exec
	s_waitcnt vmcnt(0) lgkmcnt(0)
	v_cmp_ngt_f32_e64 s[18:19], v70, v71
	v_cmp_lt_f32_e64 s[12:13], v70, v71
	s_and_b64 s[18:19], s[18:19], s[52:53]
	s_or_b64 s[56:57], s[12:13], s[18:19]
	s_and_b64 s[12:13], s[56:57], exec
	v_cmp_nlg_f32_e64 s[22:23], v70, v71
	s_or_b64 s[18:19], s[54:55], s[12:13]
	s_and_saveexec_b64 s[54:55], s[22:23]
	s_cbranch_execz .LBB878_1163
; %bb.1165:                             ;   in Loop: Header=BB878_1164 Depth=1
	v_lshl_add_u64 v[20:21], v[20:21], 0, -1
	v_cmp_eq_u64_e64 s[12:13], 0, v[20:21]
	s_andn2_b64 s[22:23], s[50:51], exec
	s_and_b64 s[50:51], s[56:57], exec
	s_or_b64 s[50:51], s[22:23], s[50:51]
	s_andn2_b64 s[22:23], s[48:49], exec
	s_and_b64 s[12:13], s[12:13], exec
	v_lshl_add_u64 v[16:17], v[16:17], 0, 4
	v_lshl_add_u64 v[18:19], v[18:19], 0, 4
	s_andn2_b64 s[18:19], s[18:19], exec
	s_or_b64 s[48:49], s[22:23], s[12:13]
                                        ; implicit-def: $sgpr52_sgpr53
	s_branch .LBB878_1163
.LBB878_1166:
	s_or_b64 exec, exec, s[44:45]
	s_xor_b64 s[12:13], s[46:47], -1
	s_andn2_b64 s[18:19], s[36:37], exec
	s_and_b64 s[12:13], s[12:13], exec
	s_or_b64 s[36:37], s[18:19], s[12:13]
.LBB878_1167:
	s_or_b64 exec, exec, s[42:43]
	s_orn2_b64 s[36:37], s[36:37], exec
.LBB878_1168:
	s_or_b64 exec, exec, s[40:41]
	v_cndmask_b32_e64 v16, v22, v23, s[36:37]
	v_cndmask_b32_e64 v17, v99, v98, s[36:37]
	v_add_u32_e32 v20, 1, v16
	v_add_u32_e32 v16, -1, v17
	v_min_u32_e32 v16, v20, v16
	v_mov_b32_e32 v17, 0
	v_lshl_add_u64 v[18:19], v[16:17], 3, v[66:67]
	flat_load_dwordx2 v[18:19], v[18:19]
	v_cndmask_b32_e64 v82, v20, v22, s[36:37]
	s_mov_b64 s[40:41], -1
	v_cndmask_b32_e64 v83, v23, v20, s[36:37]
	v_cmp_lt_u32_e64 s[12:13], v82, v99
	s_mov_b64 s[42:43], -1
	s_waitcnt vmcnt(0) lgkmcnt(0)
	v_cndmask_b32_e64 v70, v19, v27, s[36:37]
	v_cndmask_b32_e64 v71, v18, v31, s[36:37]
	;; [unrolled: 1-line block ×4, first 2 shown]
	s_and_saveexec_b64 s[44:45], s[12:13]
	s_cbranch_execz .LBB878_1176
; %bb.1169:
	v_cmp_lt_u32_e64 s[42:43], v83, v98
	s_and_b64 s[12:13], s[42:43], s[28:29]
	s_and_saveexec_b64 s[46:47], s[12:13]
	s_cbranch_execz .LBB878_1175
; %bb.1170:
	v_mul_lo_u32 v16, v80, v6
	v_mul_lo_u32 v20, v81, v7
	v_mad_u64_u32 v[18:19], s[12:13], v81, v6, 0
	v_add3_u32 v19, v19, v20, v16
	v_mul_lo_u32 v16, v70, v6
	v_mul_lo_u32 v22, v71, v7
	v_mad_u64_u32 v[20:21], s[12:13], v71, v6, 0
	v_add3_u32 v21, v21, v22, v16
	v_lshl_add_u64 v[18:19], v[18:19], 2, v[8:9]
	v_lshl_add_u64 v[20:21], v[20:21], 2, v[8:9]
	s_mov_b64 s[48:49], 0
	v_mov_b64_e32 v[22:23], v[6:7]
                                        ; implicit-def: $sgpr50_sgpr51
                                        ; implicit-def: $sgpr52_sgpr53
                                        ; implicit-def: $sgpr18_sgpr19
                                        ; implicit-def: $sgpr54_sgpr55
                                        ; implicit-def: $sgpr56_sgpr57
	s_branch .LBB878_1172
.LBB878_1171:                           ;   in Loop: Header=BB878_1172 Depth=1
	s_or_b64 exec, exec, s[58:59]
	s_and_b64 s[12:13], exec, s[52:53]
	s_or_b64 s[48:49], s[12:13], s[48:49]
	s_andn2_b64 s[12:13], s[56:57], exec
	s_and_b64 s[22:23], s[54:55], exec
	s_or_b64 s[56:57], s[12:13], s[22:23]
	s_andn2_b64 s[12:13], s[50:51], exec
	s_and_b64 s[22:23], s[18:19], exec
	s_or_b64 s[50:51], s[12:13], s[22:23]
	s_andn2_b64 exec, exec, s[48:49]
	s_cbranch_execz .LBB878_1174
.LBB878_1172:                           ; =>This Inner Loop Header: Depth=1
	flat_load_dword v16, v[20:21]
	flat_load_dword v84, v[18:19]
	s_andn2_b64 s[58:59], s[18:19], exec
	s_andn2_b64 s[54:55], s[54:55], exec
	s_or_b64 s[52:53], s[52:53], exec
	s_waitcnt vmcnt(0) lgkmcnt(0)
	v_cmp_ngt_f32_e64 s[18:19], v16, v84
	v_cmp_lt_f32_e64 s[12:13], v16, v84
	s_and_b64 s[18:19], s[18:19], s[56:57]
	s_or_b64 s[60:61], s[12:13], s[18:19]
	s_and_b64 s[12:13], s[60:61], exec
	v_cmp_nlg_f32_e64 s[22:23], v16, v84
	s_or_b64 s[18:19], s[58:59], s[12:13]
	s_and_saveexec_b64 s[58:59], s[22:23]
	s_cbranch_execz .LBB878_1171
; %bb.1173:                             ;   in Loop: Header=BB878_1172 Depth=1
	v_lshl_add_u64 v[22:23], v[22:23], 0, -1
	v_cmp_eq_u64_e64 s[12:13], 0, v[22:23]
	s_andn2_b64 s[22:23], s[54:55], exec
	s_and_b64 s[54:55], s[60:61], exec
	s_or_b64 s[54:55], s[22:23], s[54:55]
	s_andn2_b64 s[22:23], s[52:53], exec
	s_and_b64 s[12:13], s[12:13], exec
	v_lshl_add_u64 v[18:19], v[18:19], 0, 4
	v_lshl_add_u64 v[20:21], v[20:21], 0, 4
	s_andn2_b64 s[18:19], s[18:19], exec
	s_or_b64 s[52:53], s[22:23], s[12:13]
                                        ; implicit-def: $sgpr56_sgpr57
	s_branch .LBB878_1171
.LBB878_1174:
	s_or_b64 exec, exec, s[48:49]
	s_xor_b64 s[12:13], s[50:51], -1
	s_andn2_b64 s[18:19], s[42:43], exec
	s_and_b64 s[12:13], s[12:13], exec
	s_or_b64 s[42:43], s[18:19], s[12:13]
.LBB878_1175:
	s_or_b64 exec, exec, s[46:47]
	s_orn2_b64 s[42:43], s[42:43], exec
.LBB878_1176:
	s_or_b64 exec, exec, s[44:45]
	v_cndmask_b32_e64 v16, v82, v83, s[42:43]
	v_cndmask_b32_e64 v18, v99, v98, s[42:43]
	v_add_u32_e32 v19, 1, v16
	v_add_u32_e32 v16, -1, v18
	v_min_u32_e32 v16, v19, v16
	v_lshl_add_u64 v[16:17], v[16:17], 3, v[66:67]
	flat_load_dwordx2 v[16:17], v[16:17]
	v_cndmask_b32_e64 v22, v19, v82, s[42:43]
	v_cndmask_b32_e64 v23, v83, v19, s[42:43]
	v_cmp_lt_u32_e64 s[12:13], v22, v99
	s_waitcnt vmcnt(0) lgkmcnt(0)
	v_cndmask_b32_e64 v82, v17, v70, s[42:43]
	v_cndmask_b32_e64 v83, v16, v71, s[42:43]
	;; [unrolled: 1-line block ×4, first 2 shown]
	s_and_saveexec_b64 s[44:45], s[12:13]
	s_cbranch_execz .LBB878_1184
; %bb.1177:
	v_cmp_lt_u32_e64 s[40:41], v23, v98
	s_and_b64 s[12:13], s[40:41], s[28:29]
	s_and_saveexec_b64 s[46:47], s[12:13]
	s_cbranch_execz .LBB878_1183
; %bb.1178:
	v_mul_lo_u32 v18, v84, v6
	v_mul_lo_u32 v19, v85, v7
	v_mad_u64_u32 v[16:17], s[12:13], v85, v6, 0
	v_add3_u32 v17, v17, v19, v18
	v_mul_lo_u32 v20, v82, v6
	v_mul_lo_u32 v21, v83, v7
	v_mad_u64_u32 v[18:19], s[12:13], v83, v6, 0
	v_add3_u32 v19, v19, v21, v20
	v_lshl_add_u64 v[16:17], v[16:17], 2, v[8:9]
	v_lshl_add_u64 v[18:19], v[18:19], 2, v[8:9]
	s_mov_b64 s[48:49], 0
	v_mov_b64_e32 v[20:21], v[6:7]
                                        ; implicit-def: $sgpr50_sgpr51
                                        ; implicit-def: $sgpr52_sgpr53
                                        ; implicit-def: $sgpr18_sgpr19
                                        ; implicit-def: $sgpr54_sgpr55
                                        ; implicit-def: $sgpr56_sgpr57
	s_branch .LBB878_1180
.LBB878_1179:                           ;   in Loop: Header=BB878_1180 Depth=1
	s_or_b64 exec, exec, s[58:59]
	s_and_b64 s[12:13], exec, s[52:53]
	s_or_b64 s[48:49], s[12:13], s[48:49]
	s_andn2_b64 s[12:13], s[56:57], exec
	s_and_b64 s[22:23], s[54:55], exec
	s_or_b64 s[56:57], s[12:13], s[22:23]
	s_andn2_b64 s[12:13], s[50:51], exec
	s_and_b64 s[22:23], s[18:19], exec
	s_or_b64 s[50:51], s[12:13], s[22:23]
	s_andn2_b64 exec, exec, s[48:49]
	s_cbranch_execz .LBB878_1182
.LBB878_1180:                           ; =>This Inner Loop Header: Depth=1
	flat_load_dword v86, v[18:19]
	flat_load_dword v87, v[16:17]
	s_andn2_b64 s[58:59], s[18:19], exec
	s_andn2_b64 s[54:55], s[54:55], exec
	s_or_b64 s[52:53], s[52:53], exec
	s_waitcnt vmcnt(0) lgkmcnt(0)
	v_cmp_ngt_f32_e64 s[18:19], v86, v87
	v_cmp_lt_f32_e64 s[12:13], v86, v87
	s_and_b64 s[18:19], s[18:19], s[56:57]
	s_or_b64 s[60:61], s[12:13], s[18:19]
	s_and_b64 s[12:13], s[60:61], exec
	v_cmp_nlg_f32_e64 s[22:23], v86, v87
	s_or_b64 s[18:19], s[58:59], s[12:13]
	s_and_saveexec_b64 s[58:59], s[22:23]
	s_cbranch_execz .LBB878_1179
; %bb.1181:                             ;   in Loop: Header=BB878_1180 Depth=1
	v_lshl_add_u64 v[20:21], v[20:21], 0, -1
	v_cmp_eq_u64_e64 s[12:13], 0, v[20:21]
	s_andn2_b64 s[22:23], s[54:55], exec
	s_and_b64 s[54:55], s[60:61], exec
	s_or_b64 s[54:55], s[22:23], s[54:55]
	s_andn2_b64 s[22:23], s[52:53], exec
	s_and_b64 s[12:13], s[12:13], exec
	v_lshl_add_u64 v[16:17], v[16:17], 0, 4
	v_lshl_add_u64 v[18:19], v[18:19], 0, 4
	s_andn2_b64 s[18:19], s[18:19], exec
	s_or_b64 s[52:53], s[22:23], s[12:13]
                                        ; implicit-def: $sgpr56_sgpr57
	s_branch .LBB878_1179
.LBB878_1182:
	s_or_b64 exec, exec, s[48:49]
	s_xor_b64 s[12:13], s[50:51], -1
	s_andn2_b64 s[18:19], s[40:41], exec
	s_and_b64 s[12:13], s[12:13], exec
	s_or_b64 s[40:41], s[18:19], s[12:13]
.LBB878_1183:
	s_or_b64 exec, exec, s[46:47]
	s_orn2_b64 s[40:41], s[40:41], exec
.LBB878_1184:
	s_or_b64 exec, exec, s[44:45]
	v_cndmask_b32_e64 v16, v22, v23, s[40:41]
	v_cndmask_b32_e64 v17, v99, v98, s[40:41]
	v_add_u32_e32 v20, 1, v16
	v_add_u32_e32 v16, -1, v17
	v_min_u32_e32 v16, v20, v16
	v_mov_b32_e32 v17, 0
	v_lshl_add_u64 v[18:19], v[16:17], 3, v[66:67]
	flat_load_dwordx2 v[18:19], v[18:19]
	v_cndmask_b32_e64 v100, v20, v22, s[40:41]
	s_mov_b64 s[44:45], -1
	v_cndmask_b32_e64 v101, v23, v20, s[40:41]
	v_cmp_lt_u32_e64 s[12:13], v100, v99
	s_mov_b64 s[46:47], -1
	s_waitcnt vmcnt(0) lgkmcnt(0)
	v_cndmask_b32_e64 v86, v19, v82, s[40:41]
	v_cndmask_b32_e64 v87, v18, v83, s[40:41]
	;; [unrolled: 1-line block ×4, first 2 shown]
	s_and_saveexec_b64 s[48:49], s[12:13]
	s_cbranch_execz .LBB878_1192
; %bb.1185:
	v_cmp_lt_u32_e64 s[46:47], v101, v98
	s_and_b64 s[12:13], s[46:47], s[28:29]
	s_and_saveexec_b64 s[50:51], s[12:13]
	s_cbranch_execz .LBB878_1191
; %bb.1186:
	v_mul_lo_u32 v16, v96, v6
	v_mul_lo_u32 v20, v97, v7
	v_mad_u64_u32 v[18:19], s[12:13], v97, v6, 0
	v_add3_u32 v19, v19, v20, v16
	v_mul_lo_u32 v16, v86, v6
	v_mul_lo_u32 v22, v87, v7
	v_mad_u64_u32 v[20:21], s[12:13], v87, v6, 0
	v_add3_u32 v21, v21, v22, v16
	v_lshl_add_u64 v[18:19], v[18:19], 2, v[8:9]
	v_lshl_add_u64 v[20:21], v[20:21], 2, v[8:9]
	s_mov_b64 s[52:53], 0
	v_mov_b64_e32 v[22:23], v[6:7]
                                        ; implicit-def: $sgpr54_sgpr55
                                        ; implicit-def: $sgpr56_sgpr57
                                        ; implicit-def: $sgpr18_sgpr19
                                        ; implicit-def: $sgpr58_sgpr59
                                        ; implicit-def: $sgpr60_sgpr61
	s_branch .LBB878_1188
.LBB878_1187:                           ;   in Loop: Header=BB878_1188 Depth=1
	s_or_b64 exec, exec, s[62:63]
	s_and_b64 s[12:13], exec, s[56:57]
	s_or_b64 s[52:53], s[12:13], s[52:53]
	s_andn2_b64 s[12:13], s[60:61], exec
	s_and_b64 s[22:23], s[58:59], exec
	s_or_b64 s[60:61], s[12:13], s[22:23]
	s_andn2_b64 s[12:13], s[54:55], exec
	s_and_b64 s[22:23], s[18:19], exec
	s_or_b64 s[54:55], s[12:13], s[22:23]
	s_andn2_b64 exec, exec, s[52:53]
	s_cbranch_execz .LBB878_1190
.LBB878_1188:                           ; =>This Inner Loop Header: Depth=1
	flat_load_dword v16, v[20:21]
	flat_load_dword v102, v[18:19]
	s_andn2_b64 s[62:63], s[18:19], exec
	s_andn2_b64 s[58:59], s[58:59], exec
	s_or_b64 s[56:57], s[56:57], exec
	s_waitcnt vmcnt(0) lgkmcnt(0)
	v_cmp_ngt_f32_e64 s[18:19], v16, v102
	v_cmp_lt_f32_e64 s[12:13], v16, v102
	s_and_b64 s[18:19], s[18:19], s[60:61]
	s_or_b64 s[64:65], s[12:13], s[18:19]
	s_and_b64 s[12:13], s[64:65], exec
	v_cmp_nlg_f32_e64 s[22:23], v16, v102
	s_or_b64 s[18:19], s[62:63], s[12:13]
	s_and_saveexec_b64 s[62:63], s[22:23]
	s_cbranch_execz .LBB878_1187
; %bb.1189:                             ;   in Loop: Header=BB878_1188 Depth=1
	v_lshl_add_u64 v[22:23], v[22:23], 0, -1
	v_cmp_eq_u64_e64 s[12:13], 0, v[22:23]
	s_andn2_b64 s[22:23], s[58:59], exec
	s_and_b64 s[58:59], s[64:65], exec
	s_or_b64 s[58:59], s[22:23], s[58:59]
	s_andn2_b64 s[22:23], s[56:57], exec
	s_and_b64 s[12:13], s[12:13], exec
	v_lshl_add_u64 v[18:19], v[18:19], 0, 4
	v_lshl_add_u64 v[20:21], v[20:21], 0, 4
	s_andn2_b64 s[18:19], s[18:19], exec
	s_or_b64 s[56:57], s[22:23], s[12:13]
                                        ; implicit-def: $sgpr60_sgpr61
	s_branch .LBB878_1187
.LBB878_1190:
	s_or_b64 exec, exec, s[52:53]
	s_xor_b64 s[12:13], s[54:55], -1
	s_andn2_b64 s[18:19], s[46:47], exec
	s_and_b64 s[12:13], s[12:13], exec
	s_or_b64 s[46:47], s[18:19], s[12:13]
.LBB878_1191:
	s_or_b64 exec, exec, s[50:51]
	s_orn2_b64 s[46:47], s[46:47], exec
.LBB878_1192:
	s_or_b64 exec, exec, s[48:49]
	v_cndmask_b32_e64 v16, v100, v101, s[46:47]
	v_cndmask_b32_e64 v18, v99, v98, s[46:47]
	v_add_u32_e32 v19, 1, v16
	v_add_u32_e32 v16, -1, v18
	v_min_u32_e32 v16, v19, v16
	v_lshl_add_u64 v[16:17], v[16:17], 3, v[66:67]
	flat_load_dwordx2 v[16:17], v[16:17]
	v_cndmask_b32_e64 v103, v19, v100, s[46:47]
	v_cndmask_b32_e64 v100, v101, v19, s[46:47]
	v_cmp_lt_u32_e64 s[12:13], v103, v99
	s_waitcnt vmcnt(0) lgkmcnt(0)
	v_cndmask_b32_e64 v101, v17, v86, s[46:47]
	v_cndmask_b32_e64 v102, v16, v87, s[46:47]
	;; [unrolled: 1-line block ×4, first 2 shown]
	s_and_saveexec_b64 s[48:49], s[12:13]
	s_cbranch_execz .LBB878_1200
; %bb.1193:
	v_cmp_lt_u32_e64 s[44:45], v100, v98
	s_and_b64 s[12:13], s[44:45], s[28:29]
	s_and_saveexec_b64 s[50:51], s[12:13]
	s_cbranch_execz .LBB878_1199
; %bb.1194:
	v_mul_lo_u32 v18, v112, v6
	v_mul_lo_u32 v19, v113, v7
	v_mad_u64_u32 v[16:17], s[12:13], v113, v6, 0
	v_add3_u32 v17, v17, v19, v18
	v_mul_lo_u32 v20, v101, v6
	v_mul_lo_u32 v21, v102, v7
	v_mad_u64_u32 v[18:19], s[12:13], v102, v6, 0
	v_add3_u32 v19, v19, v21, v20
	v_lshl_add_u64 v[16:17], v[16:17], 2, v[8:9]
	v_lshl_add_u64 v[18:19], v[18:19], 2, v[8:9]
	s_mov_b64 s[52:53], 0
	v_mov_b64_e32 v[20:21], v[6:7]
                                        ; implicit-def: $sgpr54_sgpr55
                                        ; implicit-def: $sgpr56_sgpr57
                                        ; implicit-def: $sgpr18_sgpr19
                                        ; implicit-def: $sgpr58_sgpr59
                                        ; implicit-def: $sgpr60_sgpr61
	s_branch .LBB878_1196
.LBB878_1195:                           ;   in Loop: Header=BB878_1196 Depth=1
	s_or_b64 exec, exec, s[62:63]
	s_and_b64 s[12:13], exec, s[56:57]
	s_or_b64 s[52:53], s[12:13], s[52:53]
	s_andn2_b64 s[12:13], s[60:61], exec
	s_and_b64 s[22:23], s[58:59], exec
	s_or_b64 s[60:61], s[12:13], s[22:23]
	s_andn2_b64 s[12:13], s[54:55], exec
	s_and_b64 s[22:23], s[18:19], exec
	s_or_b64 s[54:55], s[12:13], s[22:23]
	s_andn2_b64 exec, exec, s[52:53]
	s_cbranch_execz .LBB878_1198
.LBB878_1196:                           ; =>This Inner Loop Header: Depth=1
	flat_load_dword v22, v[18:19]
	flat_load_dword v23, v[16:17]
	s_andn2_b64 s[62:63], s[18:19], exec
	s_andn2_b64 s[58:59], s[58:59], exec
	s_or_b64 s[56:57], s[56:57], exec
	s_waitcnt vmcnt(0) lgkmcnt(0)
	v_cmp_ngt_f32_e64 s[18:19], v22, v23
	v_cmp_lt_f32_e64 s[12:13], v22, v23
	s_and_b64 s[18:19], s[18:19], s[60:61]
	s_or_b64 s[64:65], s[12:13], s[18:19]
	s_and_b64 s[12:13], s[64:65], exec
	v_cmp_nlg_f32_e64 s[22:23], v22, v23
	s_or_b64 s[18:19], s[62:63], s[12:13]
	s_and_saveexec_b64 s[62:63], s[22:23]
	s_cbranch_execz .LBB878_1195
; %bb.1197:                             ;   in Loop: Header=BB878_1196 Depth=1
	v_lshl_add_u64 v[20:21], v[20:21], 0, -1
	v_cmp_eq_u64_e64 s[12:13], 0, v[20:21]
	s_andn2_b64 s[22:23], s[58:59], exec
	s_and_b64 s[58:59], s[64:65], exec
	s_or_b64 s[58:59], s[22:23], s[58:59]
	s_andn2_b64 s[22:23], s[56:57], exec
	s_and_b64 s[12:13], s[12:13], exec
	v_lshl_add_u64 v[16:17], v[16:17], 0, 4
	v_lshl_add_u64 v[18:19], v[18:19], 0, 4
	s_andn2_b64 s[18:19], s[18:19], exec
	s_or_b64 s[56:57], s[22:23], s[12:13]
                                        ; implicit-def: $sgpr60_sgpr61
	s_branch .LBB878_1195
.LBB878_1198:
	s_or_b64 exec, exec, s[52:53]
	s_xor_b64 s[12:13], s[54:55], -1
	s_andn2_b64 s[18:19], s[44:45], exec
	s_and_b64 s[12:13], s[12:13], exec
	s_or_b64 s[44:45], s[18:19], s[12:13]
.LBB878_1199:
	s_or_b64 exec, exec, s[50:51]
	s_orn2_b64 s[44:45], s[44:45], exec
.LBB878_1200:
	s_or_b64 exec, exec, s[48:49]
	v_cndmask_b32_e64 v16, v103, v100, s[44:45]
	v_cndmask_b32_e64 v17, v99, v98, s[44:45]
	v_add_u32_e32 v114, 1, v16
	v_add_u32_e32 v16, -1, v17
	v_min_u32_e32 v16, v114, v16
	v_mov_b32_e32 v17, 0
	v_lshl_add_u64 v[16:17], v[16:17], 3, v[66:67]
	flat_load_dwordx2 v[66:67], v[16:17]
	v_cndmask_b32_e64 v21, v27, v68, s[36:37]
	v_cndmask_b32_e64 v27, v1, v25, s[38:39]
	;; [unrolled: 1-line block ×15, first 2 shown]
	v_cmp_lt_u32_e64 s[12:13], v1, v99
	s_waitcnt vmcnt(0) lgkmcnt(0)
	v_cndmask_b32_e64 v15, v112, v67, s[44:45]
	v_cndmask_b32_e64 v14, v113, v66, s[44:45]
	s_and_saveexec_b64 s[34:35], s[12:13]
	s_cbranch_execz .LBB878_1208
; %bb.1201:
	v_cndmask_b32_e64 v31, v66, v102, s[44:45]
	v_cndmask_b32_e64 v66, v100, v114, s[44:45]
	v_cmp_ge_u32_e64 s[12:13], v66, v98
	v_cndmask_b32_e64 v1, v67, v101, s[44:45]
	s_or_b64 s[18:19], s[12:13], s[8:9]
	v_cndmask_b32_e64 v67, v15, v1, s[12:13]
	s_xor_b64 s[18:19], s[18:19], -1
	v_cndmask_b32_e64 v66, v14, v31, s[12:13]
	s_and_saveexec_b64 s[36:37], s[18:19]
	s_cbranch_execz .LBB878_1207
; %bb.1202:
	v_mul_lo_u32 v68, v15, v6
	v_mul_lo_u32 v69, v14, v7
	v_mad_u64_u32 v[66:67], s[12:13], v14, v6, 0
	v_add3_u32 v67, v67, v69, v68
	v_mul_lo_u32 v70, v1, v6
	v_mul_lo_u32 v71, v31, v7
	v_mad_u64_u32 v[68:69], s[12:13], v31, v6, 0
	v_add3_u32 v69, v69, v71, v70
	v_lshl_add_u64 v[66:67], v[66:67], 2, v[8:9]
	v_lshl_add_u64 v[68:69], v[68:69], 2, v[8:9]
	s_mov_b64 s[38:39], 0
	v_mov_b64_e32 v[70:71], v[6:7]
                                        ; implicit-def: $sgpr40_sgpr41
                                        ; implicit-def: $sgpr42_sgpr43
                                        ; implicit-def: $sgpr18_sgpr19
                                        ; implicit-def: $sgpr44_sgpr45
                                        ; implicit-def: $sgpr46_sgpr47
	s_branch .LBB878_1204
.LBB878_1203:                           ;   in Loop: Header=BB878_1204 Depth=1
	s_or_b64 exec, exec, s[48:49]
	s_and_b64 s[12:13], exec, s[42:43]
	s_or_b64 s[38:39], s[12:13], s[38:39]
	s_andn2_b64 s[12:13], s[46:47], exec
	s_and_b64 s[22:23], s[44:45], exec
	s_or_b64 s[46:47], s[12:13], s[22:23]
	s_andn2_b64 s[12:13], s[40:41], exec
	s_and_b64 s[22:23], s[18:19], exec
	s_or_b64 s[40:41], s[12:13], s[22:23]
	s_andn2_b64 exec, exec, s[38:39]
	s_cbranch_execz .LBB878_1206
.LBB878_1204:                           ; =>This Inner Loop Header: Depth=1
	flat_load_dword v80, v[68:69]
	flat_load_dword v81, v[66:67]
	s_andn2_b64 s[48:49], s[18:19], exec
	s_andn2_b64 s[44:45], s[44:45], exec
	s_or_b64 s[42:43], s[42:43], exec
	s_waitcnt vmcnt(0) lgkmcnt(0)
	v_cmp_ngt_f32_e64 s[18:19], v80, v81
	v_cmp_lt_f32_e64 s[12:13], v80, v81
	s_and_b64 s[18:19], s[18:19], s[46:47]
	s_or_b64 s[50:51], s[12:13], s[18:19]
	s_and_b64 s[12:13], s[50:51], exec
	v_cmp_nlg_f32_e64 s[22:23], v80, v81
	s_or_b64 s[18:19], s[48:49], s[12:13]
	s_and_saveexec_b64 s[48:49], s[22:23]
	s_cbranch_execz .LBB878_1203
; %bb.1205:                             ;   in Loop: Header=BB878_1204 Depth=1
	v_lshl_add_u64 v[70:71], v[70:71], 0, -1
	v_cmp_eq_u64_e64 s[12:13], 0, v[70:71]
	s_andn2_b64 s[22:23], s[44:45], exec
	s_and_b64 s[44:45], s[50:51], exec
	s_or_b64 s[44:45], s[22:23], s[44:45]
	s_andn2_b64 s[22:23], s[42:43], exec
	s_and_b64 s[12:13], s[12:13], exec
	v_lshl_add_u64 v[66:67], v[66:67], 0, 4
	v_lshl_add_u64 v[68:69], v[68:69], 0, 4
	s_andn2_b64 s[18:19], s[18:19], exec
	s_or_b64 s[42:43], s[22:23], s[12:13]
                                        ; implicit-def: $sgpr46_sgpr47
	s_branch .LBB878_1203
.LBB878_1206:
	s_or_b64 exec, exec, s[38:39]
	v_cndmask_b32_e64 v67, v15, v1, s[40:41]
	v_cndmask_b32_e64 v66, v14, v31, s[40:41]
.LBB878_1207:
	s_or_b64 exec, exec, s[36:37]
	v_mov_b64_e32 v[14:15], v[66:67]
.LBB878_1208:
	s_or_b64 exec, exec, s[34:35]
.LBB878_1209:
	s_or_b64 exec, exec, s[30:31]
	s_movk_i32 s70, 0x80
	v_cmp_lt_u32_e64 s[12:13], s70, v0
	; wave barrier
	s_waitcnt lgkmcnt(0)
	s_barrier
	s_and_saveexec_b64 s[30:31], s[12:13]
	s_cbranch_execz .LBB878_1295
; %bb.1210:
	v_lshlrev_b32_e32 v66, 3, v30
	v_mov_b32_e32 v67, 0
	v_lshl_add_u64 v[68:69], v[10:11], 0, v[66:67]
	s_mov_b64 s[34:35], 0
	s_branch .LBB878_1215
.LBB878_1211:                           ;   in Loop: Header=BB878_1215 Depth=1
	s_or_b64 exec, exec, s[56:57]
	v_cndmask_b32_e64 v17, v15, v1, s[58:59]
	v_cndmask_b32_e64 v16, v14, v66, s[58:59]
.LBB878_1212:                           ;   in Loop: Header=BB878_1215 Depth=1
	s_or_b64 exec, exec, s[54:55]
	v_mov_b64_e32 v[14:15], v[16:17]
.LBB878_1213:                           ;   in Loop: Header=BB878_1215 Depth=1
	s_or_b64 exec, exec, s[52:53]
	v_cndmask_b32_e64 v19, v98, v100, s[50:51]
	v_cndmask_b32_e64 v18, v99, v101, s[50:51]
	;; [unrolled: 1-line block ×14, first 2 shown]
.LBB878_1214:                           ;   in Loop: Header=BB878_1215 Depth=1
	s_or_b64 exec, exec, s[36:37]
	v_cmp_ge_u32_e64 s[12:13], s70, v0
	s_or_b64 s[34:35], s[12:13], s[34:35]
	s_barrier
	s_andn2_b64 exec, exec, s[34:35]
	s_cbranch_execz .LBB878_1294
.LBB878_1215:                           ; =>This Loop Header: Depth=1
                                        ;     Child Loop BB878_1219 Depth 2
                                        ;       Child Loop BB878_1222 Depth 3
                                        ;     Child Loop BB878_1234 Depth 2
                                        ;     Child Loop BB878_1243 Depth 2
	;; [unrolled: 1-line block ×8, first 2 shown]
	s_mov_b32 s12, s70
	s_lshl_b32 s70, s70, 1
	s_sub_i32 s18, 0, s70
	v_and_b32_e32 v31, s18, v30
	v_add_u32_e32 v1, s12, v31
	v_min_u32_e32 v70, v1, v0
	s_add_i32 s13, s70, -1
	v_add_u32_e32 v1, s12, v70
	v_min_u32_e32 v1, v1, v0
	v_and_b32_e32 v66, s13, v30
	v_min_u32_e32 v100, v66, v0
	v_sub_u32_e32 v66, v70, v31
	v_sub_u32_e32 v71, v1, v70
	v_sub_u32_e64 v101, v100, v71 clamp
	v_min_u32_e32 v102, v100, v66
	v_cmp_lt_u32_e64 s[12:13], v101, v102
	flat_store_dwordx4 v[68:69], v[24:27]
	flat_store_dwordx4 v[68:69], v[20:23] offset:16
	flat_store_dwordx4 v[68:69], v[16:19] offset:32
	;; [unrolled: 1-line block ×3, first 2 shown]
	s_waitcnt lgkmcnt(0)
	s_barrier
	s_and_saveexec_b64 s[36:37], s[12:13]
	s_cbranch_execz .LBB878_1225
; %bb.1216:                             ;   in Loop: Header=BB878_1215 Depth=1
	v_lshlrev_b32_e32 v66, 3, v31
	v_mov_b32_e32 v71, v67
	v_lshl_add_u64 v[80:81], v[10:11], 0, v[66:67]
	v_lshl_add_u64 v[82:83], v[70:71], 3, v[10:11]
	s_mov_b64 s[38:39], 0
	s_branch .LBB878_1219
.LBB878_1217:                           ;   in Loop: Header=BB878_1219 Depth=2
	s_or_b64 exec, exec, s[42:43]
	s_and_b64 s[12:13], s[44:45], exec
.LBB878_1218:                           ;   in Loop: Header=BB878_1219 Depth=2
	s_or_b64 exec, exec, s[40:41]
	v_add_u32_e32 v66, 1, v84
	v_cndmask_b32_e64 v102, v102, v84, s[12:13]
	v_cndmask_b32_e64 v101, v66, v101, s[12:13]
	v_cmp_ge_u32_e64 s[12:13], v101, v102
	s_or_b64 s[38:39], s[12:13], s[38:39]
	s_andn2_b64 exec, exec, s[38:39]
	s_cbranch_execz .LBB878_1224
.LBB878_1219:                           ;   Parent Loop BB878_1215 Depth=1
                                        ; =>  This Loop Header: Depth=2
                                        ;       Child Loop BB878_1222 Depth 3
	v_add_u32_e32 v66, v102, v101
	v_lshrrev_b32_e32 v84, 1, v66
	s_mov_b64 s[12:13], 0
	s_and_saveexec_b64 s[40:41], s[16:17]
	s_cbranch_execz .LBB878_1218
; %bb.1220:                             ;   in Loop: Header=BB878_1219 Depth=2
	v_mov_b32_e32 v85, v67
	v_xad_u32 v66, v84, -1, v100
	v_lshl_add_u64 v[86:87], v[84:85], 3, v[80:81]
	v_lshl_add_u64 v[96:97], v[66:67], 3, v[82:83]
	flat_load_dwordx2 v[86:87], v[86:87]
	s_mov_b64 s[42:43], 0
	flat_load_dwordx2 v[96:97], v[96:97]
                                        ; implicit-def: $sgpr44_sgpr45
                                        ; implicit-def: $sgpr46_sgpr47
                                        ; implicit-def: $sgpr48_sgpr49
                                        ; implicit-def: $sgpr18_sgpr19
                                        ; implicit-def: $sgpr50_sgpr51
	s_waitcnt vmcnt(0) lgkmcnt(0)
	v_mul_lo_u32 v66, v64, v87
	v_mul_lo_u32 v71, v65, v86
	v_mad_u64_u32 v[86:87], s[12:13], v64, v86, v[8:9]
	v_mul_lo_u32 v85, v64, v97
	v_mul_lo_u32 v98, v65, v96
	v_mad_u64_u32 v[96:97], s[12:13], v64, v96, v[8:9]
	v_add3_u32 v87, v71, v87, v66
	v_add3_u32 v97, v98, v97, v85
	v_mov_b64_e32 v[98:99], v[6:7]
	s_branch .LBB878_1222
.LBB878_1221:                           ;   in Loop: Header=BB878_1222 Depth=3
	s_or_b64 exec, exec, s[52:53]
	s_and_b64 s[12:13], exec, s[46:47]
	s_or_b64 s[42:43], s[12:13], s[42:43]
	s_andn2_b64 s[12:13], s[50:51], exec
	s_and_b64 s[22:23], s[48:49], exec
	s_or_b64 s[50:51], s[12:13], s[22:23]
	s_andn2_b64 s[12:13], s[44:45], exec
	s_and_b64 s[22:23], s[18:19], exec
	s_or_b64 s[44:45], s[12:13], s[22:23]
	s_andn2_b64 exec, exec, s[42:43]
	s_cbranch_execz .LBB878_1217
.LBB878_1222:                           ;   Parent Loop BB878_1215 Depth=1
                                        ;     Parent Loop BB878_1219 Depth=2
                                        ; =>    This Inner Loop Header: Depth=3
	flat_load_dword v66, v[96:97]
	flat_load_dword v71, v[86:87]
	s_andn2_b64 s[52:53], s[18:19], exec
	s_andn2_b64 s[48:49], s[48:49], exec
	s_or_b64 s[46:47], s[46:47], exec
	s_waitcnt vmcnt(0) lgkmcnt(0)
	v_cmp_ngt_f32_e64 s[18:19], v66, v71
	v_cmp_lt_f32_e64 s[12:13], v66, v71
	s_and_b64 s[18:19], s[18:19], s[50:51]
	s_or_b64 s[54:55], s[12:13], s[18:19]
	s_and_b64 s[12:13], s[54:55], exec
	v_cmp_nlg_f32_e64 s[22:23], v66, v71
	s_or_b64 s[18:19], s[52:53], s[12:13]
	s_and_saveexec_b64 s[52:53], s[22:23]
	s_cbranch_execz .LBB878_1221
; %bb.1223:                             ;   in Loop: Header=BB878_1222 Depth=3
	v_lshl_add_u64 v[98:99], v[98:99], 0, -1
	v_cmp_eq_u64_e64 s[12:13], 0, v[98:99]
	s_andn2_b64 s[22:23], s[48:49], exec
	s_and_b64 s[48:49], s[54:55], exec
	s_or_b64 s[48:49], s[22:23], s[48:49]
	s_andn2_b64 s[22:23], s[46:47], exec
	s_and_b64 s[12:13], s[12:13], exec
	v_lshl_add_u64 v[86:87], v[86:87], 0, 4
	v_lshl_add_u64 v[96:97], v[96:97], 0, 4
	s_andn2_b64 s[18:19], s[18:19], exec
	s_or_b64 s[46:47], s[22:23], s[12:13]
                                        ; implicit-def: $sgpr50_sgpr51
	s_branch .LBB878_1221
.LBB878_1224:                           ;   in Loop: Header=BB878_1215 Depth=1
	s_or_b64 exec, exec, s[38:39]
.LBB878_1225:                           ;   in Loop: Header=BB878_1215 Depth=1
	s_or_b64 exec, exec, s[36:37]
	v_sub_u32_e32 v66, v100, v101
	v_add_u32_e32 v80, v101, v31
	v_add_u32_e32 v82, v66, v70
	v_cmp_le_u32_e64 s[12:13], v80, v70
	v_cmp_le_u32_e64 s[18:19], v82, v1
	s_or_b64 s[12:13], s[12:13], s[18:19]
	s_and_saveexec_b64 s[36:37], s[12:13]
	s_cbranch_execz .LBB878_1214
; %bb.1226:                             ;   in Loop: Header=BB878_1215 Depth=1
	v_cmp_ge_u32_e64 s[18:19], v80, v70
	v_cmp_lt_u32_e64 s[12:13], v80, v70
                                        ; implicit-def: $vgpr12_vgpr13
	s_and_saveexec_b64 s[22:23], s[12:13]
	s_cbranch_execz .LBB878_1228
; %bb.1227:                             ;   in Loop: Header=BB878_1215 Depth=1
	v_mov_b32_e32 v81, v67
	v_lshl_add_u64 v[12:13], v[80:81], 3, v[10:11]
	flat_load_dwordx2 v[12:13], v[12:13]
.LBB878_1228:                           ;   in Loop: Header=BB878_1215 Depth=1
	s_or_b64 exec, exec, s[22:23]
	v_cmp_ge_u32_e64 s[38:39], v82, v1
	v_cmp_lt_u32_e64 s[12:13], v82, v1
                                        ; implicit-def: $vgpr24_vgpr25
	s_and_saveexec_b64 s[22:23], s[12:13]
	s_cbranch_execz .LBB878_1230
; %bb.1229:                             ;   in Loop: Header=BB878_1215 Depth=1
	v_mov_b32_e32 v83, v67
	v_lshl_add_u64 v[14:15], v[82:83], 3, v[10:11]
	flat_load_dwordx2 v[24:25], v[14:15]
.LBB878_1230:                           ;   in Loop: Header=BB878_1215 Depth=1
	s_or_b64 exec, exec, s[22:23]
	s_or_b64 s[12:13], s[18:19], s[38:39]
	s_xor_b64 s[12:13], s[12:13], -1
	s_and_saveexec_b64 s[40:41], s[12:13]
	s_cbranch_execz .LBB878_1238
; %bb.1231:                             ;   in Loop: Header=BB878_1215 Depth=1
	s_mov_b64 s[12:13], 0
	s_and_saveexec_b64 s[42:43], s[16:17]
	s_cbranch_execz .LBB878_1237
; %bb.1232:                             ;   in Loop: Header=BB878_1215 Depth=1
	s_waitcnt vmcnt(0) lgkmcnt(0)
	v_mad_u64_u32 v[14:15], s[12:13], v64, v12, v[8:9]
	v_mul_lo_u32 v16, v64, v13
	v_mul_lo_u32 v17, v65, v12
	v_add3_u32 v15, v17, v15, v16
	v_mad_u64_u32 v[16:17], s[12:13], v64, v24, v[8:9]
	v_mul_lo_u32 v18, v64, v25
	v_mul_lo_u32 v19, v65, v24
	v_add3_u32 v17, v19, v17, v18
	s_mov_b64 s[44:45], 0
	v_mov_b64_e32 v[18:19], v[6:7]
                                        ; implicit-def: $sgpr46_sgpr47
                                        ; implicit-def: $sgpr48_sgpr49
                                        ; implicit-def: $sgpr50_sgpr51
                                        ; implicit-def: $sgpr18_sgpr19
                                        ; implicit-def: $sgpr52_sgpr53
	s_branch .LBB878_1234
.LBB878_1233:                           ;   in Loop: Header=BB878_1234 Depth=2
	s_or_b64 exec, exec, s[54:55]
	s_and_b64 s[12:13], exec, s[48:49]
	s_or_b64 s[44:45], s[12:13], s[44:45]
	s_andn2_b64 s[12:13], s[52:53], exec
	s_and_b64 s[22:23], s[50:51], exec
	s_or_b64 s[52:53], s[12:13], s[22:23]
	s_andn2_b64 s[12:13], s[46:47], exec
	s_and_b64 s[22:23], s[18:19], exec
	s_or_b64 s[46:47], s[12:13], s[22:23]
	s_andn2_b64 exec, exec, s[44:45]
	s_cbranch_execz .LBB878_1236
.LBB878_1234:                           ;   Parent Loop BB878_1215 Depth=1
                                        ; =>  This Inner Loop Header: Depth=2
	flat_load_dword v20, v[16:17]
	flat_load_dword v21, v[14:15]
	s_andn2_b64 s[54:55], s[18:19], exec
	s_andn2_b64 s[50:51], s[50:51], exec
	s_or_b64 s[48:49], s[48:49], exec
	s_waitcnt vmcnt(0) lgkmcnt(0)
	v_cmp_ngt_f32_e64 s[18:19], v20, v21
	v_cmp_lt_f32_e64 s[12:13], v20, v21
	s_and_b64 s[18:19], s[18:19], s[52:53]
	s_or_b64 s[56:57], s[12:13], s[18:19]
	s_and_b64 s[12:13], s[56:57], exec
	v_cmp_nlg_f32_e64 s[22:23], v20, v21
	s_or_b64 s[18:19], s[54:55], s[12:13]
	s_and_saveexec_b64 s[54:55], s[22:23]
	s_cbranch_execz .LBB878_1233
; %bb.1235:                             ;   in Loop: Header=BB878_1234 Depth=2
	v_lshl_add_u64 v[18:19], v[18:19], 0, -1
	v_cmp_eq_u64_e64 s[12:13], 0, v[18:19]
	s_andn2_b64 s[22:23], s[50:51], exec
	s_and_b64 s[50:51], s[56:57], exec
	s_or_b64 s[50:51], s[22:23], s[50:51]
	s_andn2_b64 s[22:23], s[48:49], exec
	s_and_b64 s[12:13], s[12:13], exec
	v_lshl_add_u64 v[14:15], v[14:15], 0, 4
	v_lshl_add_u64 v[16:17], v[16:17], 0, 4
	s_andn2_b64 s[18:19], s[18:19], exec
	s_or_b64 s[48:49], s[22:23], s[12:13]
                                        ; implicit-def: $sgpr52_sgpr53
	s_branch .LBB878_1233
.LBB878_1236:                           ;   in Loop: Header=BB878_1215 Depth=1
	s_or_b64 exec, exec, s[44:45]
	s_and_b64 s[12:13], s[46:47], exec
.LBB878_1237:                           ;   in Loop: Header=BB878_1215 Depth=1
	s_or_b64 exec, exec, s[42:43]
	s_xor_b64 s[12:13], s[12:13], -1
	s_andn2_b64 s[18:19], s[38:39], exec
	s_and_b64 s[12:13], s[12:13], exec
	s_or_b64 s[38:39], s[18:19], s[12:13]
.LBB878_1238:                           ;   in Loop: Header=BB878_1215 Depth=1
	s_or_b64 exec, exec, s[40:41]
	v_cndmask_b32_e64 v14, v82, v80, s[38:39]
	v_cndmask_b32_e64 v15, v1, v70, s[38:39]
	v_add_u32_e32 v16, 1, v14
	v_add_u32_e32 v14, -1, v15
	v_min_u32_e32 v66, v16, v14
	v_lshl_add_u64 v[14:15], v[66:67], 3, v[10:11]
	flat_load_dwordx2 v[14:15], v[14:15]
	v_cndmask_b32_e64 v20, v16, v82, s[38:39]
	s_mov_b64 s[40:41], -1
	v_cndmask_b32_e64 v21, v80, v16, s[38:39]
	v_cmp_lt_u32_e64 s[12:13], v20, v1
	s_mov_b64 s[42:43], -1
	s_waitcnt vmcnt(0) lgkmcnt(0)
	v_cndmask_b32_e64 v26, v15, v25, s[38:39]
	v_cndmask_b32_e64 v31, v14, v24, s[38:39]
	;; [unrolled: 1-line block ×4, first 2 shown]
	s_and_saveexec_b64 s[44:45], s[12:13]
	s_cbranch_execz .LBB878_1248
; %bb.1239:                             ;   in Loop: Header=BB878_1215 Depth=1
	v_cmp_lt_u32_e64 s[12:13], v21, v70
	s_mov_b64 s[18:19], 0
	s_and_saveexec_b64 s[42:43], s[12:13]
	s_cbranch_execz .LBB878_1247
; %bb.1240:                             ;   in Loop: Header=BB878_1215 Depth=1
	s_mov_b64 s[12:13], 0
	s_and_saveexec_b64 s[46:47], s[16:17]
	s_cbranch_execz .LBB878_1246
; %bb.1241:                             ;   in Loop: Header=BB878_1215 Depth=1
	v_mad_u64_u32 v[14:15], s[12:13], v64, v71, v[8:9]
	v_mul_lo_u32 v16, v64, v27
	v_mul_lo_u32 v17, v65, v71
	v_add3_u32 v15, v17, v15, v16
	v_mad_u64_u32 v[16:17], s[12:13], v64, v31, v[8:9]
	v_mul_lo_u32 v18, v64, v26
	v_mul_lo_u32 v19, v65, v31
	v_add3_u32 v17, v19, v17, v18
	s_mov_b64 s[48:49], 0
	v_mov_b64_e32 v[18:19], v[6:7]
                                        ; implicit-def: $sgpr50_sgpr51
                                        ; implicit-def: $sgpr52_sgpr53
                                        ; implicit-def: $sgpr54_sgpr55
                                        ; implicit-def: $sgpr18_sgpr19
                                        ; implicit-def: $sgpr56_sgpr57
	s_branch .LBB878_1243
.LBB878_1242:                           ;   in Loop: Header=BB878_1243 Depth=2
	s_or_b64 exec, exec, s[58:59]
	s_and_b64 s[12:13], exec, s[52:53]
	s_or_b64 s[48:49], s[12:13], s[48:49]
	s_andn2_b64 s[12:13], s[56:57], exec
	s_and_b64 s[22:23], s[54:55], exec
	s_or_b64 s[56:57], s[12:13], s[22:23]
	s_andn2_b64 s[12:13], s[50:51], exec
	s_and_b64 s[22:23], s[18:19], exec
	s_or_b64 s[50:51], s[12:13], s[22:23]
	s_andn2_b64 exec, exec, s[48:49]
	s_cbranch_execz .LBB878_1245
.LBB878_1243:                           ;   Parent Loop BB878_1215 Depth=1
                                        ; =>  This Inner Loop Header: Depth=2
	flat_load_dword v22, v[16:17]
	flat_load_dword v23, v[14:15]
	s_andn2_b64 s[58:59], s[18:19], exec
	s_andn2_b64 s[54:55], s[54:55], exec
	s_or_b64 s[52:53], s[52:53], exec
	s_waitcnt vmcnt(0) lgkmcnt(0)
	v_cmp_ngt_f32_e64 s[18:19], v22, v23
	v_cmp_lt_f32_e64 s[12:13], v22, v23
	s_and_b64 s[18:19], s[18:19], s[56:57]
	s_or_b64 s[60:61], s[12:13], s[18:19]
	s_and_b64 s[12:13], s[60:61], exec
	v_cmp_nlg_f32_e64 s[22:23], v22, v23
	s_or_b64 s[18:19], s[58:59], s[12:13]
	s_and_saveexec_b64 s[58:59], s[22:23]
	s_cbranch_execz .LBB878_1242
; %bb.1244:                             ;   in Loop: Header=BB878_1243 Depth=2
	v_lshl_add_u64 v[18:19], v[18:19], 0, -1
	v_cmp_eq_u64_e64 s[12:13], 0, v[18:19]
	s_andn2_b64 s[22:23], s[54:55], exec
	s_and_b64 s[54:55], s[60:61], exec
	s_or_b64 s[54:55], s[22:23], s[54:55]
	s_andn2_b64 s[22:23], s[52:53], exec
	s_and_b64 s[12:13], s[12:13], exec
	v_lshl_add_u64 v[14:15], v[14:15], 0, 4
	v_lshl_add_u64 v[16:17], v[16:17], 0, 4
	s_andn2_b64 s[18:19], s[18:19], exec
	s_or_b64 s[52:53], s[22:23], s[12:13]
                                        ; implicit-def: $sgpr56_sgpr57
	s_branch .LBB878_1242
.LBB878_1245:                           ;   in Loop: Header=BB878_1215 Depth=1
	s_or_b64 exec, exec, s[48:49]
	s_and_b64 s[12:13], s[50:51], exec
.LBB878_1246:                           ;   in Loop: Header=BB878_1215 Depth=1
	s_or_b64 exec, exec, s[46:47]
	s_xor_b64 s[12:13], s[12:13], -1
	s_and_b64 s[18:19], s[12:13], exec
.LBB878_1247:                           ;   in Loop: Header=BB878_1215 Depth=1
	s_or_b64 exec, exec, s[42:43]
	s_orn2_b64 s[42:43], s[18:19], exec
.LBB878_1248:                           ;   in Loop: Header=BB878_1215 Depth=1
	s_or_b64 exec, exec, s[44:45]
	v_cndmask_b32_e64 v14, v20, v21, s[42:43]
	v_cndmask_b32_e64 v15, v1, v70, s[42:43]
	v_add_u32_e32 v16, 1, v14
	v_add_u32_e32 v14, -1, v15
	v_min_u32_e32 v66, v16, v14
	v_lshl_add_u64 v[14:15], v[66:67], 3, v[10:11]
	flat_load_dwordx2 v[14:15], v[14:15]
	v_cndmask_b32_e64 v20, v16, v20, s[42:43]
	v_cndmask_b32_e64 v21, v21, v16, s[42:43]
	v_cmp_lt_u32_e64 s[12:13], v20, v1
	s_waitcnt vmcnt(0) lgkmcnt(0)
	v_cndmask_b32_e64 v80, v15, v26, s[42:43]
	v_cndmask_b32_e64 v81, v14, v31, s[42:43]
	;; [unrolled: 1-line block ×4, first 2 shown]
	s_and_saveexec_b64 s[44:45], s[12:13]
	s_cbranch_execz .LBB878_1256
; %bb.1249:                             ;   in Loop: Header=BB878_1215 Depth=1
	v_cmp_lt_u32_e64 s[40:41], v21, v70
	s_and_b64 s[12:13], s[40:41], s[28:29]
	s_and_saveexec_b64 s[46:47], s[12:13]
	s_cbranch_execz .LBB878_1255
; %bb.1250:                             ;   in Loop: Header=BB878_1215 Depth=1
	v_mad_u64_u32 v[14:15], s[12:13], v64, v83, v[8:9]
	v_mul_lo_u32 v16, v64, v82
	v_mul_lo_u32 v17, v65, v83
	v_add3_u32 v15, v17, v15, v16
	v_mad_u64_u32 v[16:17], s[12:13], v64, v81, v[8:9]
	v_mul_lo_u32 v18, v64, v80
	v_mul_lo_u32 v19, v65, v81
	v_add3_u32 v17, v19, v17, v18
	s_mov_b64 s[48:49], 0
	v_mov_b64_e32 v[18:19], v[6:7]
                                        ; implicit-def: $sgpr50_sgpr51
                                        ; implicit-def: $sgpr52_sgpr53
                                        ; implicit-def: $sgpr18_sgpr19
                                        ; implicit-def: $sgpr54_sgpr55
                                        ; implicit-def: $sgpr56_sgpr57
	s_branch .LBB878_1252
.LBB878_1251:                           ;   in Loop: Header=BB878_1252 Depth=2
	s_or_b64 exec, exec, s[58:59]
	s_and_b64 s[12:13], exec, s[52:53]
	s_or_b64 s[48:49], s[12:13], s[48:49]
	s_andn2_b64 s[12:13], s[56:57], exec
	s_and_b64 s[22:23], s[54:55], exec
	s_or_b64 s[56:57], s[12:13], s[22:23]
	s_andn2_b64 s[12:13], s[50:51], exec
	s_and_b64 s[22:23], s[18:19], exec
	s_or_b64 s[50:51], s[12:13], s[22:23]
	s_andn2_b64 exec, exec, s[48:49]
	s_cbranch_execz .LBB878_1254
.LBB878_1252:                           ;   Parent Loop BB878_1215 Depth=1
                                        ; =>  This Inner Loop Header: Depth=2
	flat_load_dword v22, v[16:17]
	flat_load_dword v23, v[14:15]
	s_andn2_b64 s[58:59], s[18:19], exec
	s_andn2_b64 s[54:55], s[54:55], exec
	s_or_b64 s[52:53], s[52:53], exec
	s_waitcnt vmcnt(0) lgkmcnt(0)
	v_cmp_ngt_f32_e64 s[18:19], v22, v23
	v_cmp_lt_f32_e64 s[12:13], v22, v23
	s_and_b64 s[18:19], s[18:19], s[56:57]
	s_or_b64 s[60:61], s[12:13], s[18:19]
	s_and_b64 s[12:13], s[60:61], exec
	v_cmp_nlg_f32_e64 s[22:23], v22, v23
	s_or_b64 s[18:19], s[58:59], s[12:13]
	s_and_saveexec_b64 s[58:59], s[22:23]
	s_cbranch_execz .LBB878_1251
; %bb.1253:                             ;   in Loop: Header=BB878_1252 Depth=2
	v_lshl_add_u64 v[18:19], v[18:19], 0, -1
	v_cmp_eq_u64_e64 s[12:13], 0, v[18:19]
	s_andn2_b64 s[22:23], s[54:55], exec
	s_and_b64 s[54:55], s[60:61], exec
	s_or_b64 s[54:55], s[22:23], s[54:55]
	s_andn2_b64 s[22:23], s[52:53], exec
	s_and_b64 s[12:13], s[12:13], exec
	v_lshl_add_u64 v[14:15], v[14:15], 0, 4
	v_lshl_add_u64 v[16:17], v[16:17], 0, 4
	s_andn2_b64 s[18:19], s[18:19], exec
	s_or_b64 s[52:53], s[22:23], s[12:13]
                                        ; implicit-def: $sgpr56_sgpr57
	s_branch .LBB878_1251
.LBB878_1254:                           ;   in Loop: Header=BB878_1215 Depth=1
	s_or_b64 exec, exec, s[48:49]
	s_xor_b64 s[12:13], s[50:51], -1
	s_andn2_b64 s[18:19], s[40:41], exec
	s_and_b64 s[12:13], s[12:13], exec
	s_or_b64 s[40:41], s[18:19], s[12:13]
.LBB878_1255:                           ;   in Loop: Header=BB878_1215 Depth=1
	s_or_b64 exec, exec, s[46:47]
	s_orn2_b64 s[40:41], s[40:41], exec
.LBB878_1256:                           ;   in Loop: Header=BB878_1215 Depth=1
	s_or_b64 exec, exec, s[44:45]
	v_cndmask_b32_e64 v14, v20, v21, s[40:41]
	v_cndmask_b32_e64 v15, v1, v70, s[40:41]
	v_add_u32_e32 v16, 1, v14
	v_add_u32_e32 v14, -1, v15
	v_min_u32_e32 v66, v16, v14
	v_lshl_add_u64 v[14:15], v[66:67], 3, v[10:11]
	flat_load_dwordx2 v[14:15], v[14:15]
	v_cndmask_b32_e64 v20, v16, v20, s[40:41]
	s_mov_b64 s[44:45], -1
	v_cndmask_b32_e64 v21, v21, v16, s[40:41]
	v_cmp_lt_u32_e64 s[12:13], v20, v1
	s_mov_b64 s[46:47], -1
	s_waitcnt vmcnt(0) lgkmcnt(0)
	v_cndmask_b32_e64 v22, v15, v80, s[40:41]
	v_cndmask_b32_e64 v84, v14, v81, s[40:41]
	v_cndmask_b32_e64 v23, v82, v15, s[40:41]
	v_cndmask_b32_e64 v85, v83, v14, s[40:41]
	s_and_saveexec_b64 s[48:49], s[12:13]
	s_cbranch_execz .LBB878_1264
; %bb.1257:                             ;   in Loop: Header=BB878_1215 Depth=1
	v_cmp_lt_u32_e64 s[46:47], v21, v70
	s_and_b64 s[12:13], s[46:47], s[28:29]
	s_and_saveexec_b64 s[50:51], s[12:13]
	s_cbranch_execz .LBB878_1263
; %bb.1258:                             ;   in Loop: Header=BB878_1215 Depth=1
	v_mad_u64_u32 v[14:15], s[12:13], v64, v85, v[8:9]
	v_mul_lo_u32 v16, v64, v23
	v_mul_lo_u32 v17, v65, v85
	v_add3_u32 v15, v17, v15, v16
	v_mad_u64_u32 v[16:17], s[12:13], v64, v84, v[8:9]
	v_mul_lo_u32 v18, v64, v22
	v_mul_lo_u32 v19, v65, v84
	v_add3_u32 v17, v19, v17, v18
	s_mov_b64 s[52:53], 0
	v_mov_b64_e32 v[18:19], v[6:7]
                                        ; implicit-def: $sgpr54_sgpr55
                                        ; implicit-def: $sgpr56_sgpr57
                                        ; implicit-def: $sgpr18_sgpr19
                                        ; implicit-def: $sgpr58_sgpr59
                                        ; implicit-def: $sgpr60_sgpr61
	s_branch .LBB878_1260
.LBB878_1259:                           ;   in Loop: Header=BB878_1260 Depth=2
	s_or_b64 exec, exec, s[62:63]
	s_and_b64 s[12:13], exec, s[56:57]
	s_or_b64 s[52:53], s[12:13], s[52:53]
	s_andn2_b64 s[12:13], s[60:61], exec
	s_and_b64 s[22:23], s[58:59], exec
	s_or_b64 s[60:61], s[12:13], s[22:23]
	s_andn2_b64 s[12:13], s[54:55], exec
	s_and_b64 s[22:23], s[18:19], exec
	s_or_b64 s[54:55], s[12:13], s[22:23]
	s_andn2_b64 exec, exec, s[52:53]
	s_cbranch_execz .LBB878_1262
.LBB878_1260:                           ;   Parent Loop BB878_1215 Depth=1
                                        ; =>  This Inner Loop Header: Depth=2
	flat_load_dword v66, v[16:17]
	flat_load_dword v86, v[14:15]
	s_andn2_b64 s[62:63], s[18:19], exec
	s_andn2_b64 s[58:59], s[58:59], exec
	s_or_b64 s[56:57], s[56:57], exec
	s_waitcnt vmcnt(0) lgkmcnt(0)
	v_cmp_ngt_f32_e64 s[18:19], v66, v86
	v_cmp_lt_f32_e64 s[12:13], v66, v86
	s_and_b64 s[18:19], s[18:19], s[60:61]
	s_or_b64 s[64:65], s[12:13], s[18:19]
	s_and_b64 s[12:13], s[64:65], exec
	v_cmp_nlg_f32_e64 s[22:23], v66, v86
	s_or_b64 s[18:19], s[62:63], s[12:13]
	s_and_saveexec_b64 s[62:63], s[22:23]
	s_cbranch_execz .LBB878_1259
; %bb.1261:                             ;   in Loop: Header=BB878_1260 Depth=2
	v_lshl_add_u64 v[18:19], v[18:19], 0, -1
	v_cmp_eq_u64_e64 s[12:13], 0, v[18:19]
	s_andn2_b64 s[22:23], s[58:59], exec
	s_and_b64 s[58:59], s[64:65], exec
	s_or_b64 s[58:59], s[22:23], s[58:59]
	s_andn2_b64 s[22:23], s[56:57], exec
	s_and_b64 s[12:13], s[12:13], exec
	v_lshl_add_u64 v[14:15], v[14:15], 0, 4
	v_lshl_add_u64 v[16:17], v[16:17], 0, 4
	s_andn2_b64 s[18:19], s[18:19], exec
	s_or_b64 s[56:57], s[22:23], s[12:13]
                                        ; implicit-def: $sgpr60_sgpr61
	s_branch .LBB878_1259
.LBB878_1262:                           ;   in Loop: Header=BB878_1215 Depth=1
	s_or_b64 exec, exec, s[52:53]
	s_xor_b64 s[12:13], s[54:55], -1
	s_andn2_b64 s[18:19], s[46:47], exec
	s_and_b64 s[12:13], s[12:13], exec
	s_or_b64 s[46:47], s[18:19], s[12:13]
.LBB878_1263:                           ;   in Loop: Header=BB878_1215 Depth=1
	s_or_b64 exec, exec, s[50:51]
	s_orn2_b64 s[46:47], s[46:47], exec
.LBB878_1264:                           ;   in Loop: Header=BB878_1215 Depth=1
	s_or_b64 exec, exec, s[48:49]
	v_cndmask_b32_e64 v14, v20, v21, s[46:47]
	v_cndmask_b32_e64 v15, v1, v70, s[46:47]
	v_add_u32_e32 v16, 1, v14
	v_add_u32_e32 v14, -1, v15
	v_min_u32_e32 v66, v16, v14
	v_lshl_add_u64 v[14:15], v[66:67], 3, v[10:11]
	flat_load_dwordx2 v[14:15], v[14:15]
	v_cndmask_b32_e64 v20, v16, v20, s[46:47]
	v_cndmask_b32_e64 v21, v21, v16, s[46:47]
	v_cmp_lt_u32_e64 s[12:13], v20, v1
	s_waitcnt vmcnt(0) lgkmcnt(0)
	v_cndmask_b32_e64 v86, v15, v22, s[46:47]
	v_cndmask_b32_e64 v87, v14, v84, s[46:47]
	;; [unrolled: 1-line block ×4, first 2 shown]
	s_and_saveexec_b64 s[48:49], s[12:13]
	s_cbranch_execz .LBB878_1272
; %bb.1265:                             ;   in Loop: Header=BB878_1215 Depth=1
	v_cmp_lt_u32_e64 s[44:45], v21, v70
	s_and_b64 s[12:13], s[44:45], s[28:29]
	s_and_saveexec_b64 s[50:51], s[12:13]
	s_cbranch_execz .LBB878_1271
; %bb.1266:                             ;   in Loop: Header=BB878_1215 Depth=1
	v_mad_u64_u32 v[14:15], s[12:13], v64, v97, v[8:9]
	v_mul_lo_u32 v16, v64, v96
	v_mul_lo_u32 v17, v65, v97
	v_add3_u32 v15, v17, v15, v16
	v_mad_u64_u32 v[16:17], s[12:13], v64, v87, v[8:9]
	v_mul_lo_u32 v18, v64, v86
	v_mul_lo_u32 v19, v65, v87
	v_add3_u32 v17, v19, v17, v18
	s_mov_b64 s[52:53], 0
	v_mov_b64_e32 v[18:19], v[6:7]
                                        ; implicit-def: $sgpr54_sgpr55
                                        ; implicit-def: $sgpr56_sgpr57
                                        ; implicit-def: $sgpr18_sgpr19
                                        ; implicit-def: $sgpr58_sgpr59
                                        ; implicit-def: $sgpr60_sgpr61
	s_branch .LBB878_1268
.LBB878_1267:                           ;   in Loop: Header=BB878_1268 Depth=2
	s_or_b64 exec, exec, s[62:63]
	s_and_b64 s[12:13], exec, s[56:57]
	s_or_b64 s[52:53], s[12:13], s[52:53]
	s_andn2_b64 s[12:13], s[60:61], exec
	s_and_b64 s[22:23], s[58:59], exec
	s_or_b64 s[60:61], s[12:13], s[22:23]
	s_andn2_b64 s[12:13], s[54:55], exec
	s_and_b64 s[22:23], s[18:19], exec
	s_or_b64 s[54:55], s[12:13], s[22:23]
	s_andn2_b64 exec, exec, s[52:53]
	s_cbranch_execz .LBB878_1270
.LBB878_1268:                           ;   Parent Loop BB878_1215 Depth=1
                                        ; =>  This Inner Loop Header: Depth=2
	flat_load_dword v66, v[16:17]
	flat_load_dword v98, v[14:15]
	s_andn2_b64 s[62:63], s[18:19], exec
	s_andn2_b64 s[58:59], s[58:59], exec
	s_or_b64 s[56:57], s[56:57], exec
	s_waitcnt vmcnt(0) lgkmcnt(0)
	v_cmp_ngt_f32_e64 s[18:19], v66, v98
	v_cmp_lt_f32_e64 s[12:13], v66, v98
	s_and_b64 s[18:19], s[18:19], s[60:61]
	s_or_b64 s[64:65], s[12:13], s[18:19]
	s_and_b64 s[12:13], s[64:65], exec
	v_cmp_nlg_f32_e64 s[22:23], v66, v98
	s_or_b64 s[18:19], s[62:63], s[12:13]
	s_and_saveexec_b64 s[62:63], s[22:23]
	s_cbranch_execz .LBB878_1267
; %bb.1269:                             ;   in Loop: Header=BB878_1268 Depth=2
	v_lshl_add_u64 v[18:19], v[18:19], 0, -1
	v_cmp_eq_u64_e64 s[12:13], 0, v[18:19]
	s_andn2_b64 s[22:23], s[58:59], exec
	s_and_b64 s[58:59], s[64:65], exec
	s_or_b64 s[58:59], s[22:23], s[58:59]
	s_andn2_b64 s[22:23], s[56:57], exec
	s_and_b64 s[12:13], s[12:13], exec
	v_lshl_add_u64 v[14:15], v[14:15], 0, 4
	v_lshl_add_u64 v[16:17], v[16:17], 0, 4
	s_andn2_b64 s[18:19], s[18:19], exec
	s_or_b64 s[56:57], s[22:23], s[12:13]
                                        ; implicit-def: $sgpr60_sgpr61
	s_branch .LBB878_1267
.LBB878_1270:                           ;   in Loop: Header=BB878_1215 Depth=1
	s_or_b64 exec, exec, s[52:53]
	s_xor_b64 s[12:13], s[54:55], -1
	s_andn2_b64 s[18:19], s[44:45], exec
	s_and_b64 s[12:13], s[12:13], exec
	s_or_b64 s[44:45], s[18:19], s[12:13]
.LBB878_1271:                           ;   in Loop: Header=BB878_1215 Depth=1
	s_or_b64 exec, exec, s[50:51]
	s_orn2_b64 s[44:45], s[44:45], exec
.LBB878_1272:                           ;   in Loop: Header=BB878_1215 Depth=1
	s_or_b64 exec, exec, s[48:49]
	v_cndmask_b32_e64 v14, v20, v21, s[44:45]
	v_cndmask_b32_e64 v15, v1, v70, s[44:45]
	v_add_u32_e32 v16, 1, v14
	v_add_u32_e32 v14, -1, v15
	v_min_u32_e32 v66, v16, v14
	v_lshl_add_u64 v[14:15], v[66:67], 3, v[10:11]
	flat_load_dwordx2 v[14:15], v[14:15]
	v_cndmask_b32_e64 v20, v16, v20, s[44:45]
	s_mov_b64 s[48:49], -1
	v_cndmask_b32_e64 v21, v21, v16, s[44:45]
	v_cmp_lt_u32_e64 s[12:13], v20, v1
	s_mov_b64 s[50:51], -1
	s_waitcnt vmcnt(0) lgkmcnt(0)
	v_cndmask_b32_e64 v98, v15, v86, s[44:45]
	v_cndmask_b32_e64 v99, v14, v87, s[44:45]
	;; [unrolled: 1-line block ×4, first 2 shown]
	s_and_saveexec_b64 s[52:53], s[12:13]
	s_cbranch_execz .LBB878_1280
; %bb.1273:                             ;   in Loop: Header=BB878_1215 Depth=1
	v_cmp_lt_u32_e64 s[50:51], v21, v70
	s_and_b64 s[12:13], s[50:51], s[28:29]
	s_and_saveexec_b64 s[54:55], s[12:13]
	s_cbranch_execz .LBB878_1279
; %bb.1274:                             ;   in Loop: Header=BB878_1215 Depth=1
	v_mad_u64_u32 v[14:15], s[12:13], v64, v101, v[8:9]
	v_mul_lo_u32 v16, v64, v100
	v_mul_lo_u32 v17, v65, v101
	v_add3_u32 v15, v17, v15, v16
	v_mad_u64_u32 v[16:17], s[12:13], v64, v99, v[8:9]
	v_mul_lo_u32 v18, v64, v98
	v_mul_lo_u32 v19, v65, v99
	v_add3_u32 v17, v19, v17, v18
	s_mov_b64 s[56:57], 0
	v_mov_b64_e32 v[18:19], v[6:7]
                                        ; implicit-def: $sgpr58_sgpr59
                                        ; implicit-def: $sgpr60_sgpr61
                                        ; implicit-def: $sgpr18_sgpr19
                                        ; implicit-def: $sgpr62_sgpr63
                                        ; implicit-def: $sgpr64_sgpr65
	s_branch .LBB878_1276
.LBB878_1275:                           ;   in Loop: Header=BB878_1276 Depth=2
	s_or_b64 exec, exec, s[66:67]
	s_and_b64 s[12:13], exec, s[60:61]
	s_or_b64 s[56:57], s[12:13], s[56:57]
	s_andn2_b64 s[12:13], s[64:65], exec
	s_and_b64 s[22:23], s[62:63], exec
	s_or_b64 s[64:65], s[12:13], s[22:23]
	s_andn2_b64 s[12:13], s[58:59], exec
	s_and_b64 s[22:23], s[18:19], exec
	s_or_b64 s[58:59], s[12:13], s[22:23]
	s_andn2_b64 exec, exec, s[56:57]
	s_cbranch_execz .LBB878_1278
.LBB878_1276:                           ;   Parent Loop BB878_1215 Depth=1
                                        ; =>  This Inner Loop Header: Depth=2
	flat_load_dword v66, v[16:17]
	flat_load_dword v102, v[14:15]
	s_andn2_b64 s[66:67], s[18:19], exec
	s_andn2_b64 s[62:63], s[62:63], exec
	s_or_b64 s[60:61], s[60:61], exec
	s_waitcnt vmcnt(0) lgkmcnt(0)
	v_cmp_ngt_f32_e64 s[18:19], v66, v102
	v_cmp_lt_f32_e64 s[12:13], v66, v102
	s_and_b64 s[18:19], s[18:19], s[64:65]
	s_or_b64 s[68:69], s[12:13], s[18:19]
	s_and_b64 s[12:13], s[68:69], exec
	v_cmp_nlg_f32_e64 s[22:23], v66, v102
	s_or_b64 s[18:19], s[66:67], s[12:13]
	s_and_saveexec_b64 s[66:67], s[22:23]
	s_cbranch_execz .LBB878_1275
; %bb.1277:                             ;   in Loop: Header=BB878_1276 Depth=2
	v_lshl_add_u64 v[18:19], v[18:19], 0, -1
	v_cmp_eq_u64_e64 s[12:13], 0, v[18:19]
	s_andn2_b64 s[22:23], s[62:63], exec
	s_and_b64 s[62:63], s[68:69], exec
	s_or_b64 s[62:63], s[22:23], s[62:63]
	s_andn2_b64 s[22:23], s[60:61], exec
	s_and_b64 s[12:13], s[12:13], exec
	v_lshl_add_u64 v[14:15], v[14:15], 0, 4
	v_lshl_add_u64 v[16:17], v[16:17], 0, 4
	s_andn2_b64 s[18:19], s[18:19], exec
	s_or_b64 s[60:61], s[22:23], s[12:13]
                                        ; implicit-def: $sgpr64_sgpr65
	s_branch .LBB878_1275
.LBB878_1278:                           ;   in Loop: Header=BB878_1215 Depth=1
	s_or_b64 exec, exec, s[56:57]
	s_xor_b64 s[12:13], s[58:59], -1
	s_andn2_b64 s[18:19], s[50:51], exec
	s_and_b64 s[12:13], s[12:13], exec
	s_or_b64 s[50:51], s[18:19], s[12:13]
.LBB878_1279:                           ;   in Loop: Header=BB878_1215 Depth=1
	s_or_b64 exec, exec, s[54:55]
	s_orn2_b64 s[50:51], s[50:51], exec
.LBB878_1280:                           ;   in Loop: Header=BB878_1215 Depth=1
	s_or_b64 exec, exec, s[52:53]
	v_cndmask_b32_e64 v14, v20, v21, s[50:51]
	v_cndmask_b32_e64 v15, v1, v70, s[50:51]
	v_add_u32_e32 v16, 1, v14
	v_add_u32_e32 v14, -1, v15
	v_min_u32_e32 v66, v16, v14
	v_lshl_add_u64 v[14:15], v[66:67], 3, v[10:11]
	flat_load_dwordx2 v[14:15], v[14:15]
	v_cndmask_b32_e64 v114, v16, v20, s[50:51]
	v_cndmask_b32_e64 v20, v21, v16, s[50:51]
	v_cmp_lt_u32_e64 s[12:13], v114, v1
	s_waitcnt vmcnt(0) lgkmcnt(0)
	v_cndmask_b32_e64 v102, v15, v98, s[50:51]
	v_cndmask_b32_e64 v103, v14, v99, s[50:51]
	;; [unrolled: 1-line block ×4, first 2 shown]
	s_and_saveexec_b64 s[52:53], s[12:13]
	s_cbranch_execz .LBB878_1288
; %bb.1281:                             ;   in Loop: Header=BB878_1215 Depth=1
	v_cmp_lt_u32_e64 s[48:49], v20, v70
	s_and_b64 s[12:13], s[48:49], s[28:29]
	s_and_saveexec_b64 s[54:55], s[12:13]
	s_cbranch_execz .LBB878_1287
; %bb.1282:                             ;   in Loop: Header=BB878_1215 Depth=1
	v_mad_u64_u32 v[14:15], s[12:13], v64, v113, v[8:9]
	v_mul_lo_u32 v16, v64, v112
	v_mul_lo_u32 v17, v65, v113
	v_add3_u32 v15, v17, v15, v16
	v_mad_u64_u32 v[16:17], s[12:13], v64, v103, v[8:9]
	v_mul_lo_u32 v18, v64, v102
	v_mul_lo_u32 v19, v65, v103
	v_add3_u32 v17, v19, v17, v18
	s_mov_b64 s[56:57], 0
	v_mov_b64_e32 v[18:19], v[6:7]
                                        ; implicit-def: $sgpr58_sgpr59
                                        ; implicit-def: $sgpr60_sgpr61
                                        ; implicit-def: $sgpr18_sgpr19
                                        ; implicit-def: $sgpr62_sgpr63
                                        ; implicit-def: $sgpr64_sgpr65
	s_branch .LBB878_1284
.LBB878_1283:                           ;   in Loop: Header=BB878_1284 Depth=2
	s_or_b64 exec, exec, s[66:67]
	s_and_b64 s[12:13], exec, s[60:61]
	s_or_b64 s[56:57], s[12:13], s[56:57]
	s_andn2_b64 s[12:13], s[64:65], exec
	s_and_b64 s[22:23], s[62:63], exec
	s_or_b64 s[64:65], s[12:13], s[22:23]
	s_andn2_b64 s[12:13], s[58:59], exec
	s_and_b64 s[22:23], s[18:19], exec
	s_or_b64 s[58:59], s[12:13], s[22:23]
	s_andn2_b64 exec, exec, s[56:57]
	s_cbranch_execz .LBB878_1286
.LBB878_1284:                           ;   Parent Loop BB878_1215 Depth=1
                                        ; =>  This Inner Loop Header: Depth=2
	flat_load_dword v21, v[16:17]
	flat_load_dword v66, v[14:15]
	s_andn2_b64 s[66:67], s[18:19], exec
	s_andn2_b64 s[62:63], s[62:63], exec
	s_or_b64 s[60:61], s[60:61], exec
	s_waitcnt vmcnt(0) lgkmcnt(0)
	v_cmp_ngt_f32_e64 s[18:19], v21, v66
	v_cmp_lt_f32_e64 s[12:13], v21, v66
	s_and_b64 s[18:19], s[18:19], s[64:65]
	s_or_b64 s[68:69], s[12:13], s[18:19]
	s_and_b64 s[12:13], s[68:69], exec
	v_cmp_nlg_f32_e64 s[22:23], v21, v66
	s_or_b64 s[18:19], s[66:67], s[12:13]
	s_and_saveexec_b64 s[66:67], s[22:23]
	s_cbranch_execz .LBB878_1283
; %bb.1285:                             ;   in Loop: Header=BB878_1284 Depth=2
	v_lshl_add_u64 v[18:19], v[18:19], 0, -1
	v_cmp_eq_u64_e64 s[12:13], 0, v[18:19]
	s_andn2_b64 s[22:23], s[62:63], exec
	s_and_b64 s[62:63], s[68:69], exec
	s_or_b64 s[62:63], s[22:23], s[62:63]
	s_andn2_b64 s[22:23], s[60:61], exec
	s_and_b64 s[12:13], s[12:13], exec
	v_lshl_add_u64 v[14:15], v[14:15], 0, 4
	v_lshl_add_u64 v[16:17], v[16:17], 0, 4
	s_andn2_b64 s[18:19], s[18:19], exec
	s_or_b64 s[60:61], s[22:23], s[12:13]
                                        ; implicit-def: $sgpr64_sgpr65
	s_branch .LBB878_1283
.LBB878_1286:                           ;   in Loop: Header=BB878_1215 Depth=1
	s_or_b64 exec, exec, s[56:57]
	s_xor_b64 s[12:13], s[58:59], -1
	s_andn2_b64 s[18:19], s[48:49], exec
	s_and_b64 s[12:13], s[12:13], exec
	s_or_b64 s[48:49], s[18:19], s[12:13]
.LBB878_1287:                           ;   in Loop: Header=BB878_1215 Depth=1
	s_or_b64 exec, exec, s[54:55]
	s_orn2_b64 s[48:49], s[48:49], exec
.LBB878_1288:                           ;   in Loop: Header=BB878_1215 Depth=1
	s_or_b64 exec, exec, s[52:53]
	v_cndmask_b32_e64 v14, v114, v20, s[48:49]
	v_cndmask_b32_e64 v15, v1, v70, s[48:49]
	v_add_u32_e32 v18, 1, v14
	v_add_u32_e32 v14, -1, v15
	v_min_u32_e32 v66, v18, v14
	v_lshl_add_u64 v[14:15], v[66:67], 3, v[10:11]
	flat_load_dwordx2 v[16:17], v[14:15]
	v_cndmask_b32_e64 v19, v18, v114, s[48:49]
	v_cmp_lt_u32_e64 s[12:13], v19, v1
	s_waitcnt vmcnt(0) lgkmcnt(0)
	v_cndmask_b32_e64 v15, v112, v17, s[48:49]
	v_cndmask_b32_e64 v14, v113, v16, s[48:49]
	s_and_saveexec_b64 s[52:53], s[12:13]
	s_cbranch_execz .LBB878_1213
; %bb.1289:                             ;   in Loop: Header=BB878_1215 Depth=1
	v_cndmask_b32_e64 v66, v16, v103, s[48:49]
	v_cndmask_b32_e64 v16, v20, v18, s[48:49]
	v_cmp_ge_u32_e64 s[12:13], v16, v70
	v_cndmask_b32_e64 v1, v17, v102, s[48:49]
	s_or_b64 s[18:19], s[12:13], s[8:9]
	v_cndmask_b32_e64 v17, v15, v1, s[12:13]
	s_xor_b64 s[18:19], s[18:19], -1
	v_cndmask_b32_e64 v16, v14, v66, s[12:13]
	s_and_saveexec_b64 s[54:55], s[18:19]
	s_cbranch_execz .LBB878_1212
; %bb.1290:                             ;   in Loop: Header=BB878_1215 Depth=1
	v_mad_u64_u32 v[16:17], s[12:13], v64, v14, v[8:9]
	v_mul_lo_u32 v18, v64, v15
	v_mul_lo_u32 v19, v65, v14
	v_add3_u32 v17, v19, v17, v18
	v_mad_u64_u32 v[18:19], s[12:13], v64, v66, v[8:9]
	v_mul_lo_u32 v20, v64, v1
	v_mul_lo_u32 v21, v65, v66
	v_add3_u32 v19, v21, v19, v20
	s_mov_b64 s[56:57], 0
	v_mov_b64_e32 v[20:21], v[6:7]
                                        ; implicit-def: $sgpr58_sgpr59
                                        ; implicit-def: $sgpr60_sgpr61
                                        ; implicit-def: $sgpr18_sgpr19
                                        ; implicit-def: $sgpr62_sgpr63
                                        ; implicit-def: $sgpr64_sgpr65
	s_branch .LBB878_1292
.LBB878_1291:                           ;   in Loop: Header=BB878_1292 Depth=2
	s_or_b64 exec, exec, s[66:67]
	s_and_b64 s[12:13], exec, s[60:61]
	s_or_b64 s[56:57], s[12:13], s[56:57]
	s_andn2_b64 s[12:13], s[64:65], exec
	s_and_b64 s[22:23], s[62:63], exec
	s_or_b64 s[64:65], s[12:13], s[22:23]
	s_andn2_b64 s[12:13], s[58:59], exec
	s_and_b64 s[22:23], s[18:19], exec
	s_or_b64 s[58:59], s[12:13], s[22:23]
	s_andn2_b64 exec, exec, s[56:57]
	s_cbranch_execz .LBB878_1211
.LBB878_1292:                           ;   Parent Loop BB878_1215 Depth=1
                                        ; =>  This Inner Loop Header: Depth=2
	flat_load_dword v70, v[18:19]
	flat_load_dword v114, v[16:17]
	s_andn2_b64 s[66:67], s[18:19], exec
	s_andn2_b64 s[62:63], s[62:63], exec
	s_or_b64 s[60:61], s[60:61], exec
	s_waitcnt vmcnt(0) lgkmcnt(0)
	v_cmp_ngt_f32_e64 s[18:19], v70, v114
	v_cmp_lt_f32_e64 s[12:13], v70, v114
	s_and_b64 s[18:19], s[18:19], s[64:65]
	s_or_b64 s[68:69], s[12:13], s[18:19]
	s_and_b64 s[12:13], s[68:69], exec
	v_cmp_nlg_f32_e64 s[22:23], v70, v114
	s_or_b64 s[18:19], s[66:67], s[12:13]
	s_and_saveexec_b64 s[66:67], s[22:23]
	s_cbranch_execz .LBB878_1291
; %bb.1293:                             ;   in Loop: Header=BB878_1292 Depth=2
	v_lshl_add_u64 v[20:21], v[20:21], 0, -1
	v_cmp_eq_u64_e64 s[12:13], 0, v[20:21]
	s_andn2_b64 s[22:23], s[62:63], exec
	s_and_b64 s[62:63], s[68:69], exec
	s_or_b64 s[62:63], s[22:23], s[62:63]
	s_andn2_b64 s[22:23], s[60:61], exec
	s_and_b64 s[12:13], s[12:13], exec
	v_lshl_add_u64 v[16:17], v[16:17], 0, 4
	v_lshl_add_u64 v[18:19], v[18:19], 0, 4
	s_andn2_b64 s[18:19], s[18:19], exec
	s_or_b64 s[60:61], s[22:23], s[12:13]
                                        ; implicit-def: $sgpr64_sgpr65
	s_branch .LBB878_1291
.LBB878_1294:
	s_or_b64 exec, exec, s[34:35]
.LBB878_1295:
	s_or_b64 exec, exec, s[30:31]
	s_barrier
	flat_store_dwordx4 v[54:55], v[24:27]
	flat_store_dwordx4 v[54:55], v[20:23] offset:16
	flat_store_dwordx4 v[54:55], v[16:19] offset:32
	;; [unrolled: 1-line block ×3, first 2 shown]
	s_waitcnt lgkmcnt(0)
	s_barrier
	flat_load_dwordx2 v[18:19], v[32:33] offset:2048
	flat_load_dwordx2 v[16:17], v[34:35]
	flat_load_dwordx2 v[14:15], v[36:37]
	;; [unrolled: 1-line block ×6, first 2 shown]
	v_mov_b32_e32 v31, 0
	v_lshl_add_u64 v[8:9], v[4:5], 0, v[30:31]
	s_and_saveexec_b64 s[8:9], vcc
	s_cbranch_execnz .LBB878_1304
; %bb.1296:
	s_or_b64 exec, exec, s[8:9]
	s_and_saveexec_b64 s[8:9], s[0:1]
	s_cbranch_execnz .LBB878_1305
.LBB878_1297:
	s_or_b64 exec, exec, s[8:9]
	s_and_saveexec_b64 s[0:1], s[2:3]
	s_cbranch_execnz .LBB878_1306
.LBB878_1298:
	s_or_b64 exec, exec, s[0:1]
	s_and_saveexec_b64 s[0:1], s[4:5]
	s_cbranch_execnz .LBB878_1307
.LBB878_1299:
	s_or_b64 exec, exec, s[0:1]
	s_and_saveexec_b64 s[0:1], s[6:7]
	s_cbranch_execnz .LBB878_1308
.LBB878_1300:
	s_or_b64 exec, exec, s[0:1]
	s_and_saveexec_b64 s[0:1], s[10:11]
	s_cbranch_execnz .LBB878_1309
.LBB878_1301:
	s_or_b64 exec, exec, s[0:1]
	s_and_saveexec_b64 s[0:1], s[20:21]
	s_cbranch_execz .LBB878_1303
.LBB878_1302:
	v_add_co_u32_e32 v2, vcc, 0x3000, v8
	s_nop 1
	v_addc_co_u32_e32 v3, vcc, 0, v9, vcc
	s_waitcnt vmcnt(0) lgkmcnt(0)
	flat_store_dwordx2 v[2:3], v[0:1]
.LBB878_1303:
	s_or_b64 exec, exec, s[0:1]
	s_andn2_b64 s[0:1], s[24:25], exec
	s_and_b64 s[2:3], s[14:15], exec
	s_or_b64 s[24:25], s[0:1], s[2:3]
	s_or_b64 exec, exec, s[26:27]
	s_and_saveexec_b64 s[0:1], s[24:25]
	s_cbranch_execnz .LBB878_3
	s_branch .LBB878_4
.LBB878_1304:
	flat_load_dwordx2 v[2:3], v[2:3]
	s_waitcnt vmcnt(0) lgkmcnt(0)
	flat_store_dwordx2 v[8:9], v[2:3]
	s_or_b64 exec, exec, s[8:9]
	s_and_saveexec_b64 s[8:9], s[0:1]
	s_cbranch_execz .LBB878_1297
.LBB878_1305:
	s_waitcnt vmcnt(0) lgkmcnt(0)
	flat_store_dwordx2 v[8:9], v[18:19] offset:2048
	s_or_b64 exec, exec, s[8:9]
	s_and_saveexec_b64 s[0:1], s[2:3]
	s_cbranch_execz .LBB878_1298
.LBB878_1306:
	v_add_co_u32_e32 v2, vcc, 0x1000, v8
	s_nop 1
	v_addc_co_u32_e32 v3, vcc, 0, v9, vcc
	s_waitcnt vmcnt(0) lgkmcnt(0)
	flat_store_dwordx2 v[2:3], v[16:17]
	s_or_b64 exec, exec, s[0:1]
	s_and_saveexec_b64 s[0:1], s[4:5]
	s_cbranch_execz .LBB878_1299
.LBB878_1307:
	v_add_co_u32_e32 v2, vcc, 0x1000, v8
	s_nop 1
	v_addc_co_u32_e32 v3, vcc, 0, v9, vcc
	s_waitcnt vmcnt(0) lgkmcnt(0)
	flat_store_dwordx2 v[2:3], v[14:15] offset:2048
	s_or_b64 exec, exec, s[0:1]
	s_and_saveexec_b64 s[0:1], s[6:7]
	s_cbranch_execz .LBB878_1300
.LBB878_1308:
	v_add_co_u32_e32 v2, vcc, 0x2000, v8
	s_nop 1
	v_addc_co_u32_e32 v3, vcc, 0, v9, vcc
	s_waitcnt vmcnt(0) lgkmcnt(0)
	flat_store_dwordx2 v[2:3], v[10:11]
	s_or_b64 exec, exec, s[0:1]
	s_and_saveexec_b64 s[0:1], s[10:11]
	s_cbranch_execz .LBB878_1301
.LBB878_1309:
	v_add_co_u32_e32 v2, vcc, 0x2000, v8
	s_nop 1
	v_addc_co_u32_e32 v3, vcc, 0, v9, vcc
	s_waitcnt vmcnt(0) lgkmcnt(0)
	flat_store_dwordx2 v[2:3], v[6:7] offset:2048
	s_or_b64 exec, exec, s[0:1]
	s_and_saveexec_b64 s[0:1], s[20:21]
	s_cbranch_execnz .LBB878_1302
	s_branch .LBB878_1303
.Lfunc_end878:
	.size	_ZN7rocprim17ROCPRIM_400000_NS6detail15block_sort_implIlNS0_10empty_typeELj256ELj8ELNS0_4arch9wavefront6targetE1EvE4sortIPlS9_PS3_SA_ZN2at6native12_GLOBAL__N_124unique_dim_cuda_templateIfEESt5tupleIJNSB_6TensorESG_SG_EERKSG_lbbbEUlllE_EEvjbT_T0_T1_T2_T3_RNS7_12storage_typeE, .Lfunc_end878-_ZN7rocprim17ROCPRIM_400000_NS6detail15block_sort_implIlNS0_10empty_typeELj256ELj8ELNS0_4arch9wavefront6targetE1EvE4sortIPlS9_PS3_SA_ZN2at6native12_GLOBAL__N_124unique_dim_cuda_templateIfEESt5tupleIJNSB_6TensorESG_SG_EERKSG_lbbbEUlllE_EEvjbT_T0_T1_T2_T3_RNS7_12storage_typeE
                                        ; -- End function
	.section	.AMDGPU.csdata,"",@progbits
; Function info:
; codeLenInByte = 66276
; NumSgprs: 77
; NumVgprs: 129
; NumAgprs: 0
; TotalNumVgprs: 129
; ScratchSize: 8
; MemoryBound: 1
	.section	.text._ZN7rocprim17ROCPRIM_400000_NS6detail17trampoline_kernelINS0_14default_configENS1_37merge_sort_block_sort_config_selectorIlNS0_10empty_typeEEEZNS1_21merge_sort_block_sortIS3_PlS8_PS5_S9_ZN2at6native12_GLOBAL__N_124unique_dim_cuda_templateIfEESt5tupleIJNSA_6TensorESF_SF_EERKSF_lbbbEUlllE_EE10hipError_tT0_T1_T2_T3_mRjT4_P12ihipStream_tbNS1_7vsmem_tEEUlT_E_NS1_11comp_targetILNS1_3genE5ELNS1_11target_archE942ELNS1_3gpuE9ELNS1_3repE0EEENS1_30default_config_static_selectorELNS0_4arch9wavefront6targetE1EEEvSM_,"axG",@progbits,_ZN7rocprim17ROCPRIM_400000_NS6detail17trampoline_kernelINS0_14default_configENS1_37merge_sort_block_sort_config_selectorIlNS0_10empty_typeEEEZNS1_21merge_sort_block_sortIS3_PlS8_PS5_S9_ZN2at6native12_GLOBAL__N_124unique_dim_cuda_templateIfEESt5tupleIJNSA_6TensorESF_SF_EERKSF_lbbbEUlllE_EE10hipError_tT0_T1_T2_T3_mRjT4_P12ihipStream_tbNS1_7vsmem_tEEUlT_E_NS1_11comp_targetILNS1_3genE5ELNS1_11target_archE942ELNS1_3gpuE9ELNS1_3repE0EEENS1_30default_config_static_selectorELNS0_4arch9wavefront6targetE1EEEvSM_,comdat
	.globl	_ZN7rocprim17ROCPRIM_400000_NS6detail17trampoline_kernelINS0_14default_configENS1_37merge_sort_block_sort_config_selectorIlNS0_10empty_typeEEEZNS1_21merge_sort_block_sortIS3_PlS8_PS5_S9_ZN2at6native12_GLOBAL__N_124unique_dim_cuda_templateIfEESt5tupleIJNSA_6TensorESF_SF_EERKSF_lbbbEUlllE_EE10hipError_tT0_T1_T2_T3_mRjT4_P12ihipStream_tbNS1_7vsmem_tEEUlT_E_NS1_11comp_targetILNS1_3genE5ELNS1_11target_archE942ELNS1_3gpuE9ELNS1_3repE0EEENS1_30default_config_static_selectorELNS0_4arch9wavefront6targetE1EEEvSM_ ; -- Begin function _ZN7rocprim17ROCPRIM_400000_NS6detail17trampoline_kernelINS0_14default_configENS1_37merge_sort_block_sort_config_selectorIlNS0_10empty_typeEEEZNS1_21merge_sort_block_sortIS3_PlS8_PS5_S9_ZN2at6native12_GLOBAL__N_124unique_dim_cuda_templateIfEESt5tupleIJNSA_6TensorESF_SF_EERKSF_lbbbEUlllE_EE10hipError_tT0_T1_T2_T3_mRjT4_P12ihipStream_tbNS1_7vsmem_tEEUlT_E_NS1_11comp_targetILNS1_3genE5ELNS1_11target_archE942ELNS1_3gpuE9ELNS1_3repE0EEENS1_30default_config_static_selectorELNS0_4arch9wavefront6targetE1EEEvSM_
	.p2align	8
	.type	_ZN7rocprim17ROCPRIM_400000_NS6detail17trampoline_kernelINS0_14default_configENS1_37merge_sort_block_sort_config_selectorIlNS0_10empty_typeEEEZNS1_21merge_sort_block_sortIS3_PlS8_PS5_S9_ZN2at6native12_GLOBAL__N_124unique_dim_cuda_templateIfEESt5tupleIJNSA_6TensorESF_SF_EERKSF_lbbbEUlllE_EE10hipError_tT0_T1_T2_T3_mRjT4_P12ihipStream_tbNS1_7vsmem_tEEUlT_E_NS1_11comp_targetILNS1_3genE5ELNS1_11target_archE942ELNS1_3gpuE9ELNS1_3repE0EEENS1_30default_config_static_selectorELNS0_4arch9wavefront6targetE1EEEvSM_,@function
_ZN7rocprim17ROCPRIM_400000_NS6detail17trampoline_kernelINS0_14default_configENS1_37merge_sort_block_sort_config_selectorIlNS0_10empty_typeEEEZNS1_21merge_sort_block_sortIS3_PlS8_PS5_S9_ZN2at6native12_GLOBAL__N_124unique_dim_cuda_templateIfEESt5tupleIJNSA_6TensorESF_SF_EERKSF_lbbbEUlllE_EE10hipError_tT0_T1_T2_T3_mRjT4_P12ihipStream_tbNS1_7vsmem_tEEUlT_E_NS1_11comp_targetILNS1_3genE5ELNS1_11target_archE942ELNS1_3gpuE9ELNS1_3repE0EEENS1_30default_config_static_selectorELNS0_4arch9wavefront6targetE1EEEvSM_: ; @_ZN7rocprim17ROCPRIM_400000_NS6detail17trampoline_kernelINS0_14default_configENS1_37merge_sort_block_sort_config_selectorIlNS0_10empty_typeEEEZNS1_21merge_sort_block_sortIS3_PlS8_PS5_S9_ZN2at6native12_GLOBAL__N_124unique_dim_cuda_templateIfEESt5tupleIJNSA_6TensorESF_SF_EERKSF_lbbbEUlllE_EE10hipError_tT0_T1_T2_T3_mRjT4_P12ihipStream_tbNS1_7vsmem_tEEUlT_E_NS1_11comp_targetILNS1_3genE5ELNS1_11target_archE942ELNS1_3gpuE9ELNS1_3repE0EEENS1_30default_config_static_selectorELNS0_4arch9wavefront6targetE1EEEvSM_
; %bb.0:
	s_load_dwordx2 s[6:7], s[0:1], 0x48
	s_load_dword s5, s[0:1], 0x0
	s_mov_b32 s32, 0
	s_waitcnt lgkmcnt(0)
	s_mul_i32 s4, s7, s4
	s_add_i32 s4, s4, s3
	s_mul_i32 s4, s4, s6
	s_add_i32 s4, s4, s2
	s_cmp_ge_u32 s4, s5
	s_cbranch_scc1 .LBB879_2
; %bb.1:
	s_load_dwordx4 s[8:11], s[0:1], 0x18
	s_load_dwordx2 s[6:7], s[0:1], 0x8
	s_load_dwordx4 s[16:19], s[0:1], 0x38
	s_mov_b32 s5, 0
	s_lshl_b64 s[12:13], s[4:5], 14
	s_waitcnt lgkmcnt(0)
	s_add_u32 s10, s10, s12
	s_addc_u32 s11, s11, s13
	s_add_u32 s14, s8, s12
	s_addc_u32 s15, s9, s13
	s_lshr_b64 s[8:9], s[6:7], 11
	s_cmp_eq_u64 s[8:9], s[4:5]
	s_cselect_b64 s[8:9], -1, 0
	s_lshl_b32 s4, s4, 11
	s_sub_i32 s6, s6, s4
	v_cndmask_b32_e64 v1, 0, 1, s[8:9]
	s_add_u32 s8, s0, 0x48
	s_addc_u32 s9, s1, 0
	s_mov_b64 s[0:1], src_shared_base
	s_mov_b32 s12, s2
	s_mov_b32 s13, s3
	v_mov_b32_e32 v31, v0
	v_mov_b32_e32 v0, s6
	v_mov_b32_e32 v2, s14
	v_mov_b32_e32 v3, s15
	v_mov_b32_e32 v4, s10
	v_mov_b32_e32 v5, s11
	v_mov_b32_e32 v6, s16
	v_mov_b32_e32 v7, s17
	v_mov_b32_e32 v8, s18
	v_mov_b32_e32 v9, s19
	v_mov_b32_e32 v10, 0
	v_mov_b32_e32 v11, s1
	s_getpc_b64 s[4:5]
	s_add_u32 s4, s4, _ZN7rocprim17ROCPRIM_400000_NS6detail15block_sort_implIlNS0_10empty_typeELj256ELj8ELNS0_4arch9wavefront6targetE1EvE4sortIPlS9_PS3_SA_ZN2at6native12_GLOBAL__N_124unique_dim_cuda_templateIfEESt5tupleIJNSB_6TensorESG_SG_EERKSG_lbbbEUlllE_EEvjbT_T0_T1_T2_T3_RNS7_12storage_typeE@rel32@lo+4
	s_addc_u32 s5, s5, _ZN7rocprim17ROCPRIM_400000_NS6detail15block_sort_implIlNS0_10empty_typeELj256ELj8ELNS0_4arch9wavefront6targetE1EvE4sortIPlS9_PS3_SA_ZN2at6native12_GLOBAL__N_124unique_dim_cuda_templateIfEESt5tupleIJNSB_6TensorESG_SG_EERKSG_lbbbEUlllE_EEvjbT_T0_T1_T2_T3_RNS7_12storage_typeE@rel32@hi+12
	s_swappc_b64 s[30:31], s[4:5]
.LBB879_2:
	s_endpgm
	.section	.rodata,"a",@progbits
	.p2align	6, 0x0
	.amdhsa_kernel _ZN7rocprim17ROCPRIM_400000_NS6detail17trampoline_kernelINS0_14default_configENS1_37merge_sort_block_sort_config_selectorIlNS0_10empty_typeEEEZNS1_21merge_sort_block_sortIS3_PlS8_PS5_S9_ZN2at6native12_GLOBAL__N_124unique_dim_cuda_templateIfEESt5tupleIJNSA_6TensorESF_SF_EERKSF_lbbbEUlllE_EE10hipError_tT0_T1_T2_T3_mRjT4_P12ihipStream_tbNS1_7vsmem_tEEUlT_E_NS1_11comp_targetILNS1_3genE5ELNS1_11target_archE942ELNS1_3gpuE9ELNS1_3repE0EEENS1_30default_config_static_selectorELNS0_4arch9wavefront6targetE1EEEvSM_
		.amdhsa_group_segment_fixed_size 16896
		.amdhsa_private_segment_fixed_size 8
		.amdhsa_kernarg_size 328
		.amdhsa_user_sgpr_count 2
		.amdhsa_user_sgpr_dispatch_ptr 0
		.amdhsa_user_sgpr_queue_ptr 0
		.amdhsa_user_sgpr_kernarg_segment_ptr 1
		.amdhsa_user_sgpr_dispatch_id 0
		.amdhsa_user_sgpr_kernarg_preload_length 0
		.amdhsa_user_sgpr_kernarg_preload_offset 0
		.amdhsa_user_sgpr_private_segment_size 0
		.amdhsa_uses_dynamic_stack 0
		.amdhsa_enable_private_segment 1
		.amdhsa_system_sgpr_workgroup_id_x 1
		.amdhsa_system_sgpr_workgroup_id_y 1
		.amdhsa_system_sgpr_workgroup_id_z 1
		.amdhsa_system_sgpr_workgroup_info 0
		.amdhsa_system_vgpr_workitem_id 2
		.amdhsa_next_free_vgpr 129
		.amdhsa_next_free_sgpr 71
		.amdhsa_accum_offset 132
		.amdhsa_reserve_vcc 1
		.amdhsa_float_round_mode_32 0
		.amdhsa_float_round_mode_16_64 0
		.amdhsa_float_denorm_mode_32 3
		.amdhsa_float_denorm_mode_16_64 3
		.amdhsa_dx10_clamp 1
		.amdhsa_ieee_mode 1
		.amdhsa_fp16_overflow 0
		.amdhsa_tg_split 0
		.amdhsa_exception_fp_ieee_invalid_op 0
		.amdhsa_exception_fp_denorm_src 0
		.amdhsa_exception_fp_ieee_div_zero 0
		.amdhsa_exception_fp_ieee_overflow 0
		.amdhsa_exception_fp_ieee_underflow 0
		.amdhsa_exception_fp_ieee_inexact 0
		.amdhsa_exception_int_div_zero 0
	.end_amdhsa_kernel
	.section	.text._ZN7rocprim17ROCPRIM_400000_NS6detail17trampoline_kernelINS0_14default_configENS1_37merge_sort_block_sort_config_selectorIlNS0_10empty_typeEEEZNS1_21merge_sort_block_sortIS3_PlS8_PS5_S9_ZN2at6native12_GLOBAL__N_124unique_dim_cuda_templateIfEESt5tupleIJNSA_6TensorESF_SF_EERKSF_lbbbEUlllE_EE10hipError_tT0_T1_T2_T3_mRjT4_P12ihipStream_tbNS1_7vsmem_tEEUlT_E_NS1_11comp_targetILNS1_3genE5ELNS1_11target_archE942ELNS1_3gpuE9ELNS1_3repE0EEENS1_30default_config_static_selectorELNS0_4arch9wavefront6targetE1EEEvSM_,"axG",@progbits,_ZN7rocprim17ROCPRIM_400000_NS6detail17trampoline_kernelINS0_14default_configENS1_37merge_sort_block_sort_config_selectorIlNS0_10empty_typeEEEZNS1_21merge_sort_block_sortIS3_PlS8_PS5_S9_ZN2at6native12_GLOBAL__N_124unique_dim_cuda_templateIfEESt5tupleIJNSA_6TensorESF_SF_EERKSF_lbbbEUlllE_EE10hipError_tT0_T1_T2_T3_mRjT4_P12ihipStream_tbNS1_7vsmem_tEEUlT_E_NS1_11comp_targetILNS1_3genE5ELNS1_11target_archE942ELNS1_3gpuE9ELNS1_3repE0EEENS1_30default_config_static_selectorELNS0_4arch9wavefront6targetE1EEEvSM_,comdat
.Lfunc_end879:
	.size	_ZN7rocprim17ROCPRIM_400000_NS6detail17trampoline_kernelINS0_14default_configENS1_37merge_sort_block_sort_config_selectorIlNS0_10empty_typeEEEZNS1_21merge_sort_block_sortIS3_PlS8_PS5_S9_ZN2at6native12_GLOBAL__N_124unique_dim_cuda_templateIfEESt5tupleIJNSA_6TensorESF_SF_EERKSF_lbbbEUlllE_EE10hipError_tT0_T1_T2_T3_mRjT4_P12ihipStream_tbNS1_7vsmem_tEEUlT_E_NS1_11comp_targetILNS1_3genE5ELNS1_11target_archE942ELNS1_3gpuE9ELNS1_3repE0EEENS1_30default_config_static_selectorELNS0_4arch9wavefront6targetE1EEEvSM_, .Lfunc_end879-_ZN7rocprim17ROCPRIM_400000_NS6detail17trampoline_kernelINS0_14default_configENS1_37merge_sort_block_sort_config_selectorIlNS0_10empty_typeEEEZNS1_21merge_sort_block_sortIS3_PlS8_PS5_S9_ZN2at6native12_GLOBAL__N_124unique_dim_cuda_templateIfEESt5tupleIJNSA_6TensorESF_SF_EERKSF_lbbbEUlllE_EE10hipError_tT0_T1_T2_T3_mRjT4_P12ihipStream_tbNS1_7vsmem_tEEUlT_E_NS1_11comp_targetILNS1_3genE5ELNS1_11target_archE942ELNS1_3gpuE9ELNS1_3repE0EEENS1_30default_config_static_selectorELNS0_4arch9wavefront6targetE1EEEvSM_
                                        ; -- End function
	.section	.AMDGPU.csdata,"",@progbits
; Kernel info:
; codeLenInByte = 228
; NumSgprs: 77
; NumVgprs: 129
; NumAgprs: 0
; TotalNumVgprs: 129
; ScratchSize: 8
; MemoryBound: 0
; FloatMode: 240
; IeeeMode: 1
; LDSByteSize: 16896 bytes/workgroup (compile time only)
; SGPRBlocks: 9
; VGPRBlocks: 16
; NumSGPRsForWavesPerEU: 77
; NumVGPRsForWavesPerEU: 129
; AccumOffset: 132
; Occupancy: 3
; WaveLimiterHint : 1
; COMPUTE_PGM_RSRC2:SCRATCH_EN: 1
; COMPUTE_PGM_RSRC2:USER_SGPR: 2
; COMPUTE_PGM_RSRC2:TRAP_HANDLER: 0
; COMPUTE_PGM_RSRC2:TGID_X_EN: 1
; COMPUTE_PGM_RSRC2:TGID_Y_EN: 1
; COMPUTE_PGM_RSRC2:TGID_Z_EN: 1
; COMPUTE_PGM_RSRC2:TIDIG_COMP_CNT: 2
; COMPUTE_PGM_RSRC3_GFX90A:ACCUM_OFFSET: 32
; COMPUTE_PGM_RSRC3_GFX90A:TG_SPLIT: 0
	.section	.text._ZN7rocprim17ROCPRIM_400000_NS6detail17trampoline_kernelINS0_14default_configENS1_37merge_sort_block_sort_config_selectorIlNS0_10empty_typeEEEZNS1_21merge_sort_block_sortIS3_PlS8_PS5_S9_ZN2at6native12_GLOBAL__N_124unique_dim_cuda_templateIfEESt5tupleIJNSA_6TensorESF_SF_EERKSF_lbbbEUlllE_EE10hipError_tT0_T1_T2_T3_mRjT4_P12ihipStream_tbNS1_7vsmem_tEEUlT_E_NS1_11comp_targetILNS1_3genE4ELNS1_11target_archE910ELNS1_3gpuE8ELNS1_3repE0EEENS1_30default_config_static_selectorELNS0_4arch9wavefront6targetE1EEEvSM_,"axG",@progbits,_ZN7rocprim17ROCPRIM_400000_NS6detail17trampoline_kernelINS0_14default_configENS1_37merge_sort_block_sort_config_selectorIlNS0_10empty_typeEEEZNS1_21merge_sort_block_sortIS3_PlS8_PS5_S9_ZN2at6native12_GLOBAL__N_124unique_dim_cuda_templateIfEESt5tupleIJNSA_6TensorESF_SF_EERKSF_lbbbEUlllE_EE10hipError_tT0_T1_T2_T3_mRjT4_P12ihipStream_tbNS1_7vsmem_tEEUlT_E_NS1_11comp_targetILNS1_3genE4ELNS1_11target_archE910ELNS1_3gpuE8ELNS1_3repE0EEENS1_30default_config_static_selectorELNS0_4arch9wavefront6targetE1EEEvSM_,comdat
	.globl	_ZN7rocprim17ROCPRIM_400000_NS6detail17trampoline_kernelINS0_14default_configENS1_37merge_sort_block_sort_config_selectorIlNS0_10empty_typeEEEZNS1_21merge_sort_block_sortIS3_PlS8_PS5_S9_ZN2at6native12_GLOBAL__N_124unique_dim_cuda_templateIfEESt5tupleIJNSA_6TensorESF_SF_EERKSF_lbbbEUlllE_EE10hipError_tT0_T1_T2_T3_mRjT4_P12ihipStream_tbNS1_7vsmem_tEEUlT_E_NS1_11comp_targetILNS1_3genE4ELNS1_11target_archE910ELNS1_3gpuE8ELNS1_3repE0EEENS1_30default_config_static_selectorELNS0_4arch9wavefront6targetE1EEEvSM_ ; -- Begin function _ZN7rocprim17ROCPRIM_400000_NS6detail17trampoline_kernelINS0_14default_configENS1_37merge_sort_block_sort_config_selectorIlNS0_10empty_typeEEEZNS1_21merge_sort_block_sortIS3_PlS8_PS5_S9_ZN2at6native12_GLOBAL__N_124unique_dim_cuda_templateIfEESt5tupleIJNSA_6TensorESF_SF_EERKSF_lbbbEUlllE_EE10hipError_tT0_T1_T2_T3_mRjT4_P12ihipStream_tbNS1_7vsmem_tEEUlT_E_NS1_11comp_targetILNS1_3genE4ELNS1_11target_archE910ELNS1_3gpuE8ELNS1_3repE0EEENS1_30default_config_static_selectorELNS0_4arch9wavefront6targetE1EEEvSM_
	.p2align	8
	.type	_ZN7rocprim17ROCPRIM_400000_NS6detail17trampoline_kernelINS0_14default_configENS1_37merge_sort_block_sort_config_selectorIlNS0_10empty_typeEEEZNS1_21merge_sort_block_sortIS3_PlS8_PS5_S9_ZN2at6native12_GLOBAL__N_124unique_dim_cuda_templateIfEESt5tupleIJNSA_6TensorESF_SF_EERKSF_lbbbEUlllE_EE10hipError_tT0_T1_T2_T3_mRjT4_P12ihipStream_tbNS1_7vsmem_tEEUlT_E_NS1_11comp_targetILNS1_3genE4ELNS1_11target_archE910ELNS1_3gpuE8ELNS1_3repE0EEENS1_30default_config_static_selectorELNS0_4arch9wavefront6targetE1EEEvSM_,@function
_ZN7rocprim17ROCPRIM_400000_NS6detail17trampoline_kernelINS0_14default_configENS1_37merge_sort_block_sort_config_selectorIlNS0_10empty_typeEEEZNS1_21merge_sort_block_sortIS3_PlS8_PS5_S9_ZN2at6native12_GLOBAL__N_124unique_dim_cuda_templateIfEESt5tupleIJNSA_6TensorESF_SF_EERKSF_lbbbEUlllE_EE10hipError_tT0_T1_T2_T3_mRjT4_P12ihipStream_tbNS1_7vsmem_tEEUlT_E_NS1_11comp_targetILNS1_3genE4ELNS1_11target_archE910ELNS1_3gpuE8ELNS1_3repE0EEENS1_30default_config_static_selectorELNS0_4arch9wavefront6targetE1EEEvSM_: ; @_ZN7rocprim17ROCPRIM_400000_NS6detail17trampoline_kernelINS0_14default_configENS1_37merge_sort_block_sort_config_selectorIlNS0_10empty_typeEEEZNS1_21merge_sort_block_sortIS3_PlS8_PS5_S9_ZN2at6native12_GLOBAL__N_124unique_dim_cuda_templateIfEESt5tupleIJNSA_6TensorESF_SF_EERKSF_lbbbEUlllE_EE10hipError_tT0_T1_T2_T3_mRjT4_P12ihipStream_tbNS1_7vsmem_tEEUlT_E_NS1_11comp_targetILNS1_3genE4ELNS1_11target_archE910ELNS1_3gpuE8ELNS1_3repE0EEENS1_30default_config_static_selectorELNS0_4arch9wavefront6targetE1EEEvSM_
; %bb.0:
	.section	.rodata,"a",@progbits
	.p2align	6, 0x0
	.amdhsa_kernel _ZN7rocprim17ROCPRIM_400000_NS6detail17trampoline_kernelINS0_14default_configENS1_37merge_sort_block_sort_config_selectorIlNS0_10empty_typeEEEZNS1_21merge_sort_block_sortIS3_PlS8_PS5_S9_ZN2at6native12_GLOBAL__N_124unique_dim_cuda_templateIfEESt5tupleIJNSA_6TensorESF_SF_EERKSF_lbbbEUlllE_EE10hipError_tT0_T1_T2_T3_mRjT4_P12ihipStream_tbNS1_7vsmem_tEEUlT_E_NS1_11comp_targetILNS1_3genE4ELNS1_11target_archE910ELNS1_3gpuE8ELNS1_3repE0EEENS1_30default_config_static_selectorELNS0_4arch9wavefront6targetE1EEEvSM_
		.amdhsa_group_segment_fixed_size 0
		.amdhsa_private_segment_fixed_size 0
		.amdhsa_kernarg_size 72
		.amdhsa_user_sgpr_count 2
		.amdhsa_user_sgpr_dispatch_ptr 0
		.amdhsa_user_sgpr_queue_ptr 0
		.amdhsa_user_sgpr_kernarg_segment_ptr 1
		.amdhsa_user_sgpr_dispatch_id 0
		.amdhsa_user_sgpr_kernarg_preload_length 0
		.amdhsa_user_sgpr_kernarg_preload_offset 0
		.amdhsa_user_sgpr_private_segment_size 0
		.amdhsa_uses_dynamic_stack 0
		.amdhsa_enable_private_segment 0
		.amdhsa_system_sgpr_workgroup_id_x 1
		.amdhsa_system_sgpr_workgroup_id_y 0
		.amdhsa_system_sgpr_workgroup_id_z 0
		.amdhsa_system_sgpr_workgroup_info 0
		.amdhsa_system_vgpr_workitem_id 0
		.amdhsa_next_free_vgpr 1
		.amdhsa_next_free_sgpr 0
		.amdhsa_accum_offset 4
		.amdhsa_reserve_vcc 0
		.amdhsa_float_round_mode_32 0
		.amdhsa_float_round_mode_16_64 0
		.amdhsa_float_denorm_mode_32 3
		.amdhsa_float_denorm_mode_16_64 3
		.amdhsa_dx10_clamp 1
		.amdhsa_ieee_mode 1
		.amdhsa_fp16_overflow 0
		.amdhsa_tg_split 0
		.amdhsa_exception_fp_ieee_invalid_op 0
		.amdhsa_exception_fp_denorm_src 0
		.amdhsa_exception_fp_ieee_div_zero 0
		.amdhsa_exception_fp_ieee_overflow 0
		.amdhsa_exception_fp_ieee_underflow 0
		.amdhsa_exception_fp_ieee_inexact 0
		.amdhsa_exception_int_div_zero 0
	.end_amdhsa_kernel
	.section	.text._ZN7rocprim17ROCPRIM_400000_NS6detail17trampoline_kernelINS0_14default_configENS1_37merge_sort_block_sort_config_selectorIlNS0_10empty_typeEEEZNS1_21merge_sort_block_sortIS3_PlS8_PS5_S9_ZN2at6native12_GLOBAL__N_124unique_dim_cuda_templateIfEESt5tupleIJNSA_6TensorESF_SF_EERKSF_lbbbEUlllE_EE10hipError_tT0_T1_T2_T3_mRjT4_P12ihipStream_tbNS1_7vsmem_tEEUlT_E_NS1_11comp_targetILNS1_3genE4ELNS1_11target_archE910ELNS1_3gpuE8ELNS1_3repE0EEENS1_30default_config_static_selectorELNS0_4arch9wavefront6targetE1EEEvSM_,"axG",@progbits,_ZN7rocprim17ROCPRIM_400000_NS6detail17trampoline_kernelINS0_14default_configENS1_37merge_sort_block_sort_config_selectorIlNS0_10empty_typeEEEZNS1_21merge_sort_block_sortIS3_PlS8_PS5_S9_ZN2at6native12_GLOBAL__N_124unique_dim_cuda_templateIfEESt5tupleIJNSA_6TensorESF_SF_EERKSF_lbbbEUlllE_EE10hipError_tT0_T1_T2_T3_mRjT4_P12ihipStream_tbNS1_7vsmem_tEEUlT_E_NS1_11comp_targetILNS1_3genE4ELNS1_11target_archE910ELNS1_3gpuE8ELNS1_3repE0EEENS1_30default_config_static_selectorELNS0_4arch9wavefront6targetE1EEEvSM_,comdat
.Lfunc_end880:
	.size	_ZN7rocprim17ROCPRIM_400000_NS6detail17trampoline_kernelINS0_14default_configENS1_37merge_sort_block_sort_config_selectorIlNS0_10empty_typeEEEZNS1_21merge_sort_block_sortIS3_PlS8_PS5_S9_ZN2at6native12_GLOBAL__N_124unique_dim_cuda_templateIfEESt5tupleIJNSA_6TensorESF_SF_EERKSF_lbbbEUlllE_EE10hipError_tT0_T1_T2_T3_mRjT4_P12ihipStream_tbNS1_7vsmem_tEEUlT_E_NS1_11comp_targetILNS1_3genE4ELNS1_11target_archE910ELNS1_3gpuE8ELNS1_3repE0EEENS1_30default_config_static_selectorELNS0_4arch9wavefront6targetE1EEEvSM_, .Lfunc_end880-_ZN7rocprim17ROCPRIM_400000_NS6detail17trampoline_kernelINS0_14default_configENS1_37merge_sort_block_sort_config_selectorIlNS0_10empty_typeEEEZNS1_21merge_sort_block_sortIS3_PlS8_PS5_S9_ZN2at6native12_GLOBAL__N_124unique_dim_cuda_templateIfEESt5tupleIJNSA_6TensorESF_SF_EERKSF_lbbbEUlllE_EE10hipError_tT0_T1_T2_T3_mRjT4_P12ihipStream_tbNS1_7vsmem_tEEUlT_E_NS1_11comp_targetILNS1_3genE4ELNS1_11target_archE910ELNS1_3gpuE8ELNS1_3repE0EEENS1_30default_config_static_selectorELNS0_4arch9wavefront6targetE1EEEvSM_
                                        ; -- End function
	.section	.AMDGPU.csdata,"",@progbits
; Kernel info:
; codeLenInByte = 0
; NumSgprs: 6
; NumVgprs: 0
; NumAgprs: 0
; TotalNumVgprs: 0
; ScratchSize: 0
; MemoryBound: 0
; FloatMode: 240
; IeeeMode: 1
; LDSByteSize: 0 bytes/workgroup (compile time only)
; SGPRBlocks: 0
; VGPRBlocks: 0
; NumSGPRsForWavesPerEU: 6
; NumVGPRsForWavesPerEU: 1
; AccumOffset: 4
; Occupancy: 8
; WaveLimiterHint : 0
; COMPUTE_PGM_RSRC2:SCRATCH_EN: 0
; COMPUTE_PGM_RSRC2:USER_SGPR: 2
; COMPUTE_PGM_RSRC2:TRAP_HANDLER: 0
; COMPUTE_PGM_RSRC2:TGID_X_EN: 1
; COMPUTE_PGM_RSRC2:TGID_Y_EN: 0
; COMPUTE_PGM_RSRC2:TGID_Z_EN: 0
; COMPUTE_PGM_RSRC2:TIDIG_COMP_CNT: 0
; COMPUTE_PGM_RSRC3_GFX90A:ACCUM_OFFSET: 0
; COMPUTE_PGM_RSRC3_GFX90A:TG_SPLIT: 0
	.section	.text._ZN7rocprim17ROCPRIM_400000_NS6detail17trampoline_kernelINS0_14default_configENS1_37merge_sort_block_sort_config_selectorIlNS0_10empty_typeEEEZNS1_21merge_sort_block_sortIS3_PlS8_PS5_S9_ZN2at6native12_GLOBAL__N_124unique_dim_cuda_templateIfEESt5tupleIJNSA_6TensorESF_SF_EERKSF_lbbbEUlllE_EE10hipError_tT0_T1_T2_T3_mRjT4_P12ihipStream_tbNS1_7vsmem_tEEUlT_E_NS1_11comp_targetILNS1_3genE3ELNS1_11target_archE908ELNS1_3gpuE7ELNS1_3repE0EEENS1_30default_config_static_selectorELNS0_4arch9wavefront6targetE1EEEvSM_,"axG",@progbits,_ZN7rocprim17ROCPRIM_400000_NS6detail17trampoline_kernelINS0_14default_configENS1_37merge_sort_block_sort_config_selectorIlNS0_10empty_typeEEEZNS1_21merge_sort_block_sortIS3_PlS8_PS5_S9_ZN2at6native12_GLOBAL__N_124unique_dim_cuda_templateIfEESt5tupleIJNSA_6TensorESF_SF_EERKSF_lbbbEUlllE_EE10hipError_tT0_T1_T2_T3_mRjT4_P12ihipStream_tbNS1_7vsmem_tEEUlT_E_NS1_11comp_targetILNS1_3genE3ELNS1_11target_archE908ELNS1_3gpuE7ELNS1_3repE0EEENS1_30default_config_static_selectorELNS0_4arch9wavefront6targetE1EEEvSM_,comdat
	.globl	_ZN7rocprim17ROCPRIM_400000_NS6detail17trampoline_kernelINS0_14default_configENS1_37merge_sort_block_sort_config_selectorIlNS0_10empty_typeEEEZNS1_21merge_sort_block_sortIS3_PlS8_PS5_S9_ZN2at6native12_GLOBAL__N_124unique_dim_cuda_templateIfEESt5tupleIJNSA_6TensorESF_SF_EERKSF_lbbbEUlllE_EE10hipError_tT0_T1_T2_T3_mRjT4_P12ihipStream_tbNS1_7vsmem_tEEUlT_E_NS1_11comp_targetILNS1_3genE3ELNS1_11target_archE908ELNS1_3gpuE7ELNS1_3repE0EEENS1_30default_config_static_selectorELNS0_4arch9wavefront6targetE1EEEvSM_ ; -- Begin function _ZN7rocprim17ROCPRIM_400000_NS6detail17trampoline_kernelINS0_14default_configENS1_37merge_sort_block_sort_config_selectorIlNS0_10empty_typeEEEZNS1_21merge_sort_block_sortIS3_PlS8_PS5_S9_ZN2at6native12_GLOBAL__N_124unique_dim_cuda_templateIfEESt5tupleIJNSA_6TensorESF_SF_EERKSF_lbbbEUlllE_EE10hipError_tT0_T1_T2_T3_mRjT4_P12ihipStream_tbNS1_7vsmem_tEEUlT_E_NS1_11comp_targetILNS1_3genE3ELNS1_11target_archE908ELNS1_3gpuE7ELNS1_3repE0EEENS1_30default_config_static_selectorELNS0_4arch9wavefront6targetE1EEEvSM_
	.p2align	8
	.type	_ZN7rocprim17ROCPRIM_400000_NS6detail17trampoline_kernelINS0_14default_configENS1_37merge_sort_block_sort_config_selectorIlNS0_10empty_typeEEEZNS1_21merge_sort_block_sortIS3_PlS8_PS5_S9_ZN2at6native12_GLOBAL__N_124unique_dim_cuda_templateIfEESt5tupleIJNSA_6TensorESF_SF_EERKSF_lbbbEUlllE_EE10hipError_tT0_T1_T2_T3_mRjT4_P12ihipStream_tbNS1_7vsmem_tEEUlT_E_NS1_11comp_targetILNS1_3genE3ELNS1_11target_archE908ELNS1_3gpuE7ELNS1_3repE0EEENS1_30default_config_static_selectorELNS0_4arch9wavefront6targetE1EEEvSM_,@function
_ZN7rocprim17ROCPRIM_400000_NS6detail17trampoline_kernelINS0_14default_configENS1_37merge_sort_block_sort_config_selectorIlNS0_10empty_typeEEEZNS1_21merge_sort_block_sortIS3_PlS8_PS5_S9_ZN2at6native12_GLOBAL__N_124unique_dim_cuda_templateIfEESt5tupleIJNSA_6TensorESF_SF_EERKSF_lbbbEUlllE_EE10hipError_tT0_T1_T2_T3_mRjT4_P12ihipStream_tbNS1_7vsmem_tEEUlT_E_NS1_11comp_targetILNS1_3genE3ELNS1_11target_archE908ELNS1_3gpuE7ELNS1_3repE0EEENS1_30default_config_static_selectorELNS0_4arch9wavefront6targetE1EEEvSM_: ; @_ZN7rocprim17ROCPRIM_400000_NS6detail17trampoline_kernelINS0_14default_configENS1_37merge_sort_block_sort_config_selectorIlNS0_10empty_typeEEEZNS1_21merge_sort_block_sortIS3_PlS8_PS5_S9_ZN2at6native12_GLOBAL__N_124unique_dim_cuda_templateIfEESt5tupleIJNSA_6TensorESF_SF_EERKSF_lbbbEUlllE_EE10hipError_tT0_T1_T2_T3_mRjT4_P12ihipStream_tbNS1_7vsmem_tEEUlT_E_NS1_11comp_targetILNS1_3genE3ELNS1_11target_archE908ELNS1_3gpuE7ELNS1_3repE0EEENS1_30default_config_static_selectorELNS0_4arch9wavefront6targetE1EEEvSM_
; %bb.0:
	.section	.rodata,"a",@progbits
	.p2align	6, 0x0
	.amdhsa_kernel _ZN7rocprim17ROCPRIM_400000_NS6detail17trampoline_kernelINS0_14default_configENS1_37merge_sort_block_sort_config_selectorIlNS0_10empty_typeEEEZNS1_21merge_sort_block_sortIS3_PlS8_PS5_S9_ZN2at6native12_GLOBAL__N_124unique_dim_cuda_templateIfEESt5tupleIJNSA_6TensorESF_SF_EERKSF_lbbbEUlllE_EE10hipError_tT0_T1_T2_T3_mRjT4_P12ihipStream_tbNS1_7vsmem_tEEUlT_E_NS1_11comp_targetILNS1_3genE3ELNS1_11target_archE908ELNS1_3gpuE7ELNS1_3repE0EEENS1_30default_config_static_selectorELNS0_4arch9wavefront6targetE1EEEvSM_
		.amdhsa_group_segment_fixed_size 0
		.amdhsa_private_segment_fixed_size 0
		.amdhsa_kernarg_size 72
		.amdhsa_user_sgpr_count 2
		.amdhsa_user_sgpr_dispatch_ptr 0
		.amdhsa_user_sgpr_queue_ptr 0
		.amdhsa_user_sgpr_kernarg_segment_ptr 1
		.amdhsa_user_sgpr_dispatch_id 0
		.amdhsa_user_sgpr_kernarg_preload_length 0
		.amdhsa_user_sgpr_kernarg_preload_offset 0
		.amdhsa_user_sgpr_private_segment_size 0
		.amdhsa_uses_dynamic_stack 0
		.amdhsa_enable_private_segment 0
		.amdhsa_system_sgpr_workgroup_id_x 1
		.amdhsa_system_sgpr_workgroup_id_y 0
		.amdhsa_system_sgpr_workgroup_id_z 0
		.amdhsa_system_sgpr_workgroup_info 0
		.amdhsa_system_vgpr_workitem_id 0
		.amdhsa_next_free_vgpr 1
		.amdhsa_next_free_sgpr 0
		.amdhsa_accum_offset 4
		.amdhsa_reserve_vcc 0
		.amdhsa_float_round_mode_32 0
		.amdhsa_float_round_mode_16_64 0
		.amdhsa_float_denorm_mode_32 3
		.amdhsa_float_denorm_mode_16_64 3
		.amdhsa_dx10_clamp 1
		.amdhsa_ieee_mode 1
		.amdhsa_fp16_overflow 0
		.amdhsa_tg_split 0
		.amdhsa_exception_fp_ieee_invalid_op 0
		.amdhsa_exception_fp_denorm_src 0
		.amdhsa_exception_fp_ieee_div_zero 0
		.amdhsa_exception_fp_ieee_overflow 0
		.amdhsa_exception_fp_ieee_underflow 0
		.amdhsa_exception_fp_ieee_inexact 0
		.amdhsa_exception_int_div_zero 0
	.end_amdhsa_kernel
	.section	.text._ZN7rocprim17ROCPRIM_400000_NS6detail17trampoline_kernelINS0_14default_configENS1_37merge_sort_block_sort_config_selectorIlNS0_10empty_typeEEEZNS1_21merge_sort_block_sortIS3_PlS8_PS5_S9_ZN2at6native12_GLOBAL__N_124unique_dim_cuda_templateIfEESt5tupleIJNSA_6TensorESF_SF_EERKSF_lbbbEUlllE_EE10hipError_tT0_T1_T2_T3_mRjT4_P12ihipStream_tbNS1_7vsmem_tEEUlT_E_NS1_11comp_targetILNS1_3genE3ELNS1_11target_archE908ELNS1_3gpuE7ELNS1_3repE0EEENS1_30default_config_static_selectorELNS0_4arch9wavefront6targetE1EEEvSM_,"axG",@progbits,_ZN7rocprim17ROCPRIM_400000_NS6detail17trampoline_kernelINS0_14default_configENS1_37merge_sort_block_sort_config_selectorIlNS0_10empty_typeEEEZNS1_21merge_sort_block_sortIS3_PlS8_PS5_S9_ZN2at6native12_GLOBAL__N_124unique_dim_cuda_templateIfEESt5tupleIJNSA_6TensorESF_SF_EERKSF_lbbbEUlllE_EE10hipError_tT0_T1_T2_T3_mRjT4_P12ihipStream_tbNS1_7vsmem_tEEUlT_E_NS1_11comp_targetILNS1_3genE3ELNS1_11target_archE908ELNS1_3gpuE7ELNS1_3repE0EEENS1_30default_config_static_selectorELNS0_4arch9wavefront6targetE1EEEvSM_,comdat
.Lfunc_end881:
	.size	_ZN7rocprim17ROCPRIM_400000_NS6detail17trampoline_kernelINS0_14default_configENS1_37merge_sort_block_sort_config_selectorIlNS0_10empty_typeEEEZNS1_21merge_sort_block_sortIS3_PlS8_PS5_S9_ZN2at6native12_GLOBAL__N_124unique_dim_cuda_templateIfEESt5tupleIJNSA_6TensorESF_SF_EERKSF_lbbbEUlllE_EE10hipError_tT0_T1_T2_T3_mRjT4_P12ihipStream_tbNS1_7vsmem_tEEUlT_E_NS1_11comp_targetILNS1_3genE3ELNS1_11target_archE908ELNS1_3gpuE7ELNS1_3repE0EEENS1_30default_config_static_selectorELNS0_4arch9wavefront6targetE1EEEvSM_, .Lfunc_end881-_ZN7rocprim17ROCPRIM_400000_NS6detail17trampoline_kernelINS0_14default_configENS1_37merge_sort_block_sort_config_selectorIlNS0_10empty_typeEEEZNS1_21merge_sort_block_sortIS3_PlS8_PS5_S9_ZN2at6native12_GLOBAL__N_124unique_dim_cuda_templateIfEESt5tupleIJNSA_6TensorESF_SF_EERKSF_lbbbEUlllE_EE10hipError_tT0_T1_T2_T3_mRjT4_P12ihipStream_tbNS1_7vsmem_tEEUlT_E_NS1_11comp_targetILNS1_3genE3ELNS1_11target_archE908ELNS1_3gpuE7ELNS1_3repE0EEENS1_30default_config_static_selectorELNS0_4arch9wavefront6targetE1EEEvSM_
                                        ; -- End function
	.section	.AMDGPU.csdata,"",@progbits
; Kernel info:
; codeLenInByte = 0
; NumSgprs: 6
; NumVgprs: 0
; NumAgprs: 0
; TotalNumVgprs: 0
; ScratchSize: 0
; MemoryBound: 0
; FloatMode: 240
; IeeeMode: 1
; LDSByteSize: 0 bytes/workgroup (compile time only)
; SGPRBlocks: 0
; VGPRBlocks: 0
; NumSGPRsForWavesPerEU: 6
; NumVGPRsForWavesPerEU: 1
; AccumOffset: 4
; Occupancy: 8
; WaveLimiterHint : 0
; COMPUTE_PGM_RSRC2:SCRATCH_EN: 0
; COMPUTE_PGM_RSRC2:USER_SGPR: 2
; COMPUTE_PGM_RSRC2:TRAP_HANDLER: 0
; COMPUTE_PGM_RSRC2:TGID_X_EN: 1
; COMPUTE_PGM_RSRC2:TGID_Y_EN: 0
; COMPUTE_PGM_RSRC2:TGID_Z_EN: 0
; COMPUTE_PGM_RSRC2:TIDIG_COMP_CNT: 0
; COMPUTE_PGM_RSRC3_GFX90A:ACCUM_OFFSET: 0
; COMPUTE_PGM_RSRC3_GFX90A:TG_SPLIT: 0
	.section	.text._ZN7rocprim17ROCPRIM_400000_NS6detail17trampoline_kernelINS0_14default_configENS1_37merge_sort_block_sort_config_selectorIlNS0_10empty_typeEEEZNS1_21merge_sort_block_sortIS3_PlS8_PS5_S9_ZN2at6native12_GLOBAL__N_124unique_dim_cuda_templateIfEESt5tupleIJNSA_6TensorESF_SF_EERKSF_lbbbEUlllE_EE10hipError_tT0_T1_T2_T3_mRjT4_P12ihipStream_tbNS1_7vsmem_tEEUlT_E_NS1_11comp_targetILNS1_3genE2ELNS1_11target_archE906ELNS1_3gpuE6ELNS1_3repE0EEENS1_30default_config_static_selectorELNS0_4arch9wavefront6targetE1EEEvSM_,"axG",@progbits,_ZN7rocprim17ROCPRIM_400000_NS6detail17trampoline_kernelINS0_14default_configENS1_37merge_sort_block_sort_config_selectorIlNS0_10empty_typeEEEZNS1_21merge_sort_block_sortIS3_PlS8_PS5_S9_ZN2at6native12_GLOBAL__N_124unique_dim_cuda_templateIfEESt5tupleIJNSA_6TensorESF_SF_EERKSF_lbbbEUlllE_EE10hipError_tT0_T1_T2_T3_mRjT4_P12ihipStream_tbNS1_7vsmem_tEEUlT_E_NS1_11comp_targetILNS1_3genE2ELNS1_11target_archE906ELNS1_3gpuE6ELNS1_3repE0EEENS1_30default_config_static_selectorELNS0_4arch9wavefront6targetE1EEEvSM_,comdat
	.globl	_ZN7rocprim17ROCPRIM_400000_NS6detail17trampoline_kernelINS0_14default_configENS1_37merge_sort_block_sort_config_selectorIlNS0_10empty_typeEEEZNS1_21merge_sort_block_sortIS3_PlS8_PS5_S9_ZN2at6native12_GLOBAL__N_124unique_dim_cuda_templateIfEESt5tupleIJNSA_6TensorESF_SF_EERKSF_lbbbEUlllE_EE10hipError_tT0_T1_T2_T3_mRjT4_P12ihipStream_tbNS1_7vsmem_tEEUlT_E_NS1_11comp_targetILNS1_3genE2ELNS1_11target_archE906ELNS1_3gpuE6ELNS1_3repE0EEENS1_30default_config_static_selectorELNS0_4arch9wavefront6targetE1EEEvSM_ ; -- Begin function _ZN7rocprim17ROCPRIM_400000_NS6detail17trampoline_kernelINS0_14default_configENS1_37merge_sort_block_sort_config_selectorIlNS0_10empty_typeEEEZNS1_21merge_sort_block_sortIS3_PlS8_PS5_S9_ZN2at6native12_GLOBAL__N_124unique_dim_cuda_templateIfEESt5tupleIJNSA_6TensorESF_SF_EERKSF_lbbbEUlllE_EE10hipError_tT0_T1_T2_T3_mRjT4_P12ihipStream_tbNS1_7vsmem_tEEUlT_E_NS1_11comp_targetILNS1_3genE2ELNS1_11target_archE906ELNS1_3gpuE6ELNS1_3repE0EEENS1_30default_config_static_selectorELNS0_4arch9wavefront6targetE1EEEvSM_
	.p2align	8
	.type	_ZN7rocprim17ROCPRIM_400000_NS6detail17trampoline_kernelINS0_14default_configENS1_37merge_sort_block_sort_config_selectorIlNS0_10empty_typeEEEZNS1_21merge_sort_block_sortIS3_PlS8_PS5_S9_ZN2at6native12_GLOBAL__N_124unique_dim_cuda_templateIfEESt5tupleIJNSA_6TensorESF_SF_EERKSF_lbbbEUlllE_EE10hipError_tT0_T1_T2_T3_mRjT4_P12ihipStream_tbNS1_7vsmem_tEEUlT_E_NS1_11comp_targetILNS1_3genE2ELNS1_11target_archE906ELNS1_3gpuE6ELNS1_3repE0EEENS1_30default_config_static_selectorELNS0_4arch9wavefront6targetE1EEEvSM_,@function
_ZN7rocprim17ROCPRIM_400000_NS6detail17trampoline_kernelINS0_14default_configENS1_37merge_sort_block_sort_config_selectorIlNS0_10empty_typeEEEZNS1_21merge_sort_block_sortIS3_PlS8_PS5_S9_ZN2at6native12_GLOBAL__N_124unique_dim_cuda_templateIfEESt5tupleIJNSA_6TensorESF_SF_EERKSF_lbbbEUlllE_EE10hipError_tT0_T1_T2_T3_mRjT4_P12ihipStream_tbNS1_7vsmem_tEEUlT_E_NS1_11comp_targetILNS1_3genE2ELNS1_11target_archE906ELNS1_3gpuE6ELNS1_3repE0EEENS1_30default_config_static_selectorELNS0_4arch9wavefront6targetE1EEEvSM_: ; @_ZN7rocprim17ROCPRIM_400000_NS6detail17trampoline_kernelINS0_14default_configENS1_37merge_sort_block_sort_config_selectorIlNS0_10empty_typeEEEZNS1_21merge_sort_block_sortIS3_PlS8_PS5_S9_ZN2at6native12_GLOBAL__N_124unique_dim_cuda_templateIfEESt5tupleIJNSA_6TensorESF_SF_EERKSF_lbbbEUlllE_EE10hipError_tT0_T1_T2_T3_mRjT4_P12ihipStream_tbNS1_7vsmem_tEEUlT_E_NS1_11comp_targetILNS1_3genE2ELNS1_11target_archE906ELNS1_3gpuE6ELNS1_3repE0EEENS1_30default_config_static_selectorELNS0_4arch9wavefront6targetE1EEEvSM_
; %bb.0:
	.section	.rodata,"a",@progbits
	.p2align	6, 0x0
	.amdhsa_kernel _ZN7rocprim17ROCPRIM_400000_NS6detail17trampoline_kernelINS0_14default_configENS1_37merge_sort_block_sort_config_selectorIlNS0_10empty_typeEEEZNS1_21merge_sort_block_sortIS3_PlS8_PS5_S9_ZN2at6native12_GLOBAL__N_124unique_dim_cuda_templateIfEESt5tupleIJNSA_6TensorESF_SF_EERKSF_lbbbEUlllE_EE10hipError_tT0_T1_T2_T3_mRjT4_P12ihipStream_tbNS1_7vsmem_tEEUlT_E_NS1_11comp_targetILNS1_3genE2ELNS1_11target_archE906ELNS1_3gpuE6ELNS1_3repE0EEENS1_30default_config_static_selectorELNS0_4arch9wavefront6targetE1EEEvSM_
		.amdhsa_group_segment_fixed_size 0
		.amdhsa_private_segment_fixed_size 0
		.amdhsa_kernarg_size 72
		.amdhsa_user_sgpr_count 2
		.amdhsa_user_sgpr_dispatch_ptr 0
		.amdhsa_user_sgpr_queue_ptr 0
		.amdhsa_user_sgpr_kernarg_segment_ptr 1
		.amdhsa_user_sgpr_dispatch_id 0
		.amdhsa_user_sgpr_kernarg_preload_length 0
		.amdhsa_user_sgpr_kernarg_preload_offset 0
		.amdhsa_user_sgpr_private_segment_size 0
		.amdhsa_uses_dynamic_stack 0
		.amdhsa_enable_private_segment 0
		.amdhsa_system_sgpr_workgroup_id_x 1
		.amdhsa_system_sgpr_workgroup_id_y 0
		.amdhsa_system_sgpr_workgroup_id_z 0
		.amdhsa_system_sgpr_workgroup_info 0
		.amdhsa_system_vgpr_workitem_id 0
		.amdhsa_next_free_vgpr 1
		.amdhsa_next_free_sgpr 0
		.amdhsa_accum_offset 4
		.amdhsa_reserve_vcc 0
		.amdhsa_float_round_mode_32 0
		.amdhsa_float_round_mode_16_64 0
		.amdhsa_float_denorm_mode_32 3
		.amdhsa_float_denorm_mode_16_64 3
		.amdhsa_dx10_clamp 1
		.amdhsa_ieee_mode 1
		.amdhsa_fp16_overflow 0
		.amdhsa_tg_split 0
		.amdhsa_exception_fp_ieee_invalid_op 0
		.amdhsa_exception_fp_denorm_src 0
		.amdhsa_exception_fp_ieee_div_zero 0
		.amdhsa_exception_fp_ieee_overflow 0
		.amdhsa_exception_fp_ieee_underflow 0
		.amdhsa_exception_fp_ieee_inexact 0
		.amdhsa_exception_int_div_zero 0
	.end_amdhsa_kernel
	.section	.text._ZN7rocprim17ROCPRIM_400000_NS6detail17trampoline_kernelINS0_14default_configENS1_37merge_sort_block_sort_config_selectorIlNS0_10empty_typeEEEZNS1_21merge_sort_block_sortIS3_PlS8_PS5_S9_ZN2at6native12_GLOBAL__N_124unique_dim_cuda_templateIfEESt5tupleIJNSA_6TensorESF_SF_EERKSF_lbbbEUlllE_EE10hipError_tT0_T1_T2_T3_mRjT4_P12ihipStream_tbNS1_7vsmem_tEEUlT_E_NS1_11comp_targetILNS1_3genE2ELNS1_11target_archE906ELNS1_3gpuE6ELNS1_3repE0EEENS1_30default_config_static_selectorELNS0_4arch9wavefront6targetE1EEEvSM_,"axG",@progbits,_ZN7rocprim17ROCPRIM_400000_NS6detail17trampoline_kernelINS0_14default_configENS1_37merge_sort_block_sort_config_selectorIlNS0_10empty_typeEEEZNS1_21merge_sort_block_sortIS3_PlS8_PS5_S9_ZN2at6native12_GLOBAL__N_124unique_dim_cuda_templateIfEESt5tupleIJNSA_6TensorESF_SF_EERKSF_lbbbEUlllE_EE10hipError_tT0_T1_T2_T3_mRjT4_P12ihipStream_tbNS1_7vsmem_tEEUlT_E_NS1_11comp_targetILNS1_3genE2ELNS1_11target_archE906ELNS1_3gpuE6ELNS1_3repE0EEENS1_30default_config_static_selectorELNS0_4arch9wavefront6targetE1EEEvSM_,comdat
.Lfunc_end882:
	.size	_ZN7rocprim17ROCPRIM_400000_NS6detail17trampoline_kernelINS0_14default_configENS1_37merge_sort_block_sort_config_selectorIlNS0_10empty_typeEEEZNS1_21merge_sort_block_sortIS3_PlS8_PS5_S9_ZN2at6native12_GLOBAL__N_124unique_dim_cuda_templateIfEESt5tupleIJNSA_6TensorESF_SF_EERKSF_lbbbEUlllE_EE10hipError_tT0_T1_T2_T3_mRjT4_P12ihipStream_tbNS1_7vsmem_tEEUlT_E_NS1_11comp_targetILNS1_3genE2ELNS1_11target_archE906ELNS1_3gpuE6ELNS1_3repE0EEENS1_30default_config_static_selectorELNS0_4arch9wavefront6targetE1EEEvSM_, .Lfunc_end882-_ZN7rocprim17ROCPRIM_400000_NS6detail17trampoline_kernelINS0_14default_configENS1_37merge_sort_block_sort_config_selectorIlNS0_10empty_typeEEEZNS1_21merge_sort_block_sortIS3_PlS8_PS5_S9_ZN2at6native12_GLOBAL__N_124unique_dim_cuda_templateIfEESt5tupleIJNSA_6TensorESF_SF_EERKSF_lbbbEUlllE_EE10hipError_tT0_T1_T2_T3_mRjT4_P12ihipStream_tbNS1_7vsmem_tEEUlT_E_NS1_11comp_targetILNS1_3genE2ELNS1_11target_archE906ELNS1_3gpuE6ELNS1_3repE0EEENS1_30default_config_static_selectorELNS0_4arch9wavefront6targetE1EEEvSM_
                                        ; -- End function
	.section	.AMDGPU.csdata,"",@progbits
; Kernel info:
; codeLenInByte = 0
; NumSgprs: 6
; NumVgprs: 0
; NumAgprs: 0
; TotalNumVgprs: 0
; ScratchSize: 0
; MemoryBound: 0
; FloatMode: 240
; IeeeMode: 1
; LDSByteSize: 0 bytes/workgroup (compile time only)
; SGPRBlocks: 0
; VGPRBlocks: 0
; NumSGPRsForWavesPerEU: 6
; NumVGPRsForWavesPerEU: 1
; AccumOffset: 4
; Occupancy: 8
; WaveLimiterHint : 0
; COMPUTE_PGM_RSRC2:SCRATCH_EN: 0
; COMPUTE_PGM_RSRC2:USER_SGPR: 2
; COMPUTE_PGM_RSRC2:TRAP_HANDLER: 0
; COMPUTE_PGM_RSRC2:TGID_X_EN: 1
; COMPUTE_PGM_RSRC2:TGID_Y_EN: 0
; COMPUTE_PGM_RSRC2:TGID_Z_EN: 0
; COMPUTE_PGM_RSRC2:TIDIG_COMP_CNT: 0
; COMPUTE_PGM_RSRC3_GFX90A:ACCUM_OFFSET: 0
; COMPUTE_PGM_RSRC3_GFX90A:TG_SPLIT: 0
	.section	.text._ZN7rocprim17ROCPRIM_400000_NS6detail17trampoline_kernelINS0_14default_configENS1_37merge_sort_block_sort_config_selectorIlNS0_10empty_typeEEEZNS1_21merge_sort_block_sortIS3_PlS8_PS5_S9_ZN2at6native12_GLOBAL__N_124unique_dim_cuda_templateIfEESt5tupleIJNSA_6TensorESF_SF_EERKSF_lbbbEUlllE_EE10hipError_tT0_T1_T2_T3_mRjT4_P12ihipStream_tbNS1_7vsmem_tEEUlT_E_NS1_11comp_targetILNS1_3genE10ELNS1_11target_archE1201ELNS1_3gpuE5ELNS1_3repE0EEENS1_30default_config_static_selectorELNS0_4arch9wavefront6targetE1EEEvSM_,"axG",@progbits,_ZN7rocprim17ROCPRIM_400000_NS6detail17trampoline_kernelINS0_14default_configENS1_37merge_sort_block_sort_config_selectorIlNS0_10empty_typeEEEZNS1_21merge_sort_block_sortIS3_PlS8_PS5_S9_ZN2at6native12_GLOBAL__N_124unique_dim_cuda_templateIfEESt5tupleIJNSA_6TensorESF_SF_EERKSF_lbbbEUlllE_EE10hipError_tT0_T1_T2_T3_mRjT4_P12ihipStream_tbNS1_7vsmem_tEEUlT_E_NS1_11comp_targetILNS1_3genE10ELNS1_11target_archE1201ELNS1_3gpuE5ELNS1_3repE0EEENS1_30default_config_static_selectorELNS0_4arch9wavefront6targetE1EEEvSM_,comdat
	.globl	_ZN7rocprim17ROCPRIM_400000_NS6detail17trampoline_kernelINS0_14default_configENS1_37merge_sort_block_sort_config_selectorIlNS0_10empty_typeEEEZNS1_21merge_sort_block_sortIS3_PlS8_PS5_S9_ZN2at6native12_GLOBAL__N_124unique_dim_cuda_templateIfEESt5tupleIJNSA_6TensorESF_SF_EERKSF_lbbbEUlllE_EE10hipError_tT0_T1_T2_T3_mRjT4_P12ihipStream_tbNS1_7vsmem_tEEUlT_E_NS1_11comp_targetILNS1_3genE10ELNS1_11target_archE1201ELNS1_3gpuE5ELNS1_3repE0EEENS1_30default_config_static_selectorELNS0_4arch9wavefront6targetE1EEEvSM_ ; -- Begin function _ZN7rocprim17ROCPRIM_400000_NS6detail17trampoline_kernelINS0_14default_configENS1_37merge_sort_block_sort_config_selectorIlNS0_10empty_typeEEEZNS1_21merge_sort_block_sortIS3_PlS8_PS5_S9_ZN2at6native12_GLOBAL__N_124unique_dim_cuda_templateIfEESt5tupleIJNSA_6TensorESF_SF_EERKSF_lbbbEUlllE_EE10hipError_tT0_T1_T2_T3_mRjT4_P12ihipStream_tbNS1_7vsmem_tEEUlT_E_NS1_11comp_targetILNS1_3genE10ELNS1_11target_archE1201ELNS1_3gpuE5ELNS1_3repE0EEENS1_30default_config_static_selectorELNS0_4arch9wavefront6targetE1EEEvSM_
	.p2align	8
	.type	_ZN7rocprim17ROCPRIM_400000_NS6detail17trampoline_kernelINS0_14default_configENS1_37merge_sort_block_sort_config_selectorIlNS0_10empty_typeEEEZNS1_21merge_sort_block_sortIS3_PlS8_PS5_S9_ZN2at6native12_GLOBAL__N_124unique_dim_cuda_templateIfEESt5tupleIJNSA_6TensorESF_SF_EERKSF_lbbbEUlllE_EE10hipError_tT0_T1_T2_T3_mRjT4_P12ihipStream_tbNS1_7vsmem_tEEUlT_E_NS1_11comp_targetILNS1_3genE10ELNS1_11target_archE1201ELNS1_3gpuE5ELNS1_3repE0EEENS1_30default_config_static_selectorELNS0_4arch9wavefront6targetE1EEEvSM_,@function
_ZN7rocprim17ROCPRIM_400000_NS6detail17trampoline_kernelINS0_14default_configENS1_37merge_sort_block_sort_config_selectorIlNS0_10empty_typeEEEZNS1_21merge_sort_block_sortIS3_PlS8_PS5_S9_ZN2at6native12_GLOBAL__N_124unique_dim_cuda_templateIfEESt5tupleIJNSA_6TensorESF_SF_EERKSF_lbbbEUlllE_EE10hipError_tT0_T1_T2_T3_mRjT4_P12ihipStream_tbNS1_7vsmem_tEEUlT_E_NS1_11comp_targetILNS1_3genE10ELNS1_11target_archE1201ELNS1_3gpuE5ELNS1_3repE0EEENS1_30default_config_static_selectorELNS0_4arch9wavefront6targetE1EEEvSM_: ; @_ZN7rocprim17ROCPRIM_400000_NS6detail17trampoline_kernelINS0_14default_configENS1_37merge_sort_block_sort_config_selectorIlNS0_10empty_typeEEEZNS1_21merge_sort_block_sortIS3_PlS8_PS5_S9_ZN2at6native12_GLOBAL__N_124unique_dim_cuda_templateIfEESt5tupleIJNSA_6TensorESF_SF_EERKSF_lbbbEUlllE_EE10hipError_tT0_T1_T2_T3_mRjT4_P12ihipStream_tbNS1_7vsmem_tEEUlT_E_NS1_11comp_targetILNS1_3genE10ELNS1_11target_archE1201ELNS1_3gpuE5ELNS1_3repE0EEENS1_30default_config_static_selectorELNS0_4arch9wavefront6targetE1EEEvSM_
; %bb.0:
	.section	.rodata,"a",@progbits
	.p2align	6, 0x0
	.amdhsa_kernel _ZN7rocprim17ROCPRIM_400000_NS6detail17trampoline_kernelINS0_14default_configENS1_37merge_sort_block_sort_config_selectorIlNS0_10empty_typeEEEZNS1_21merge_sort_block_sortIS3_PlS8_PS5_S9_ZN2at6native12_GLOBAL__N_124unique_dim_cuda_templateIfEESt5tupleIJNSA_6TensorESF_SF_EERKSF_lbbbEUlllE_EE10hipError_tT0_T1_T2_T3_mRjT4_P12ihipStream_tbNS1_7vsmem_tEEUlT_E_NS1_11comp_targetILNS1_3genE10ELNS1_11target_archE1201ELNS1_3gpuE5ELNS1_3repE0EEENS1_30default_config_static_selectorELNS0_4arch9wavefront6targetE1EEEvSM_
		.amdhsa_group_segment_fixed_size 0
		.amdhsa_private_segment_fixed_size 0
		.amdhsa_kernarg_size 72
		.amdhsa_user_sgpr_count 2
		.amdhsa_user_sgpr_dispatch_ptr 0
		.amdhsa_user_sgpr_queue_ptr 0
		.amdhsa_user_sgpr_kernarg_segment_ptr 1
		.amdhsa_user_sgpr_dispatch_id 0
		.amdhsa_user_sgpr_kernarg_preload_length 0
		.amdhsa_user_sgpr_kernarg_preload_offset 0
		.amdhsa_user_sgpr_private_segment_size 0
		.amdhsa_uses_dynamic_stack 0
		.amdhsa_enable_private_segment 0
		.amdhsa_system_sgpr_workgroup_id_x 1
		.amdhsa_system_sgpr_workgroup_id_y 0
		.amdhsa_system_sgpr_workgroup_id_z 0
		.amdhsa_system_sgpr_workgroup_info 0
		.amdhsa_system_vgpr_workitem_id 0
		.amdhsa_next_free_vgpr 1
		.amdhsa_next_free_sgpr 0
		.amdhsa_accum_offset 4
		.amdhsa_reserve_vcc 0
		.amdhsa_float_round_mode_32 0
		.amdhsa_float_round_mode_16_64 0
		.amdhsa_float_denorm_mode_32 3
		.amdhsa_float_denorm_mode_16_64 3
		.amdhsa_dx10_clamp 1
		.amdhsa_ieee_mode 1
		.amdhsa_fp16_overflow 0
		.amdhsa_tg_split 0
		.amdhsa_exception_fp_ieee_invalid_op 0
		.amdhsa_exception_fp_denorm_src 0
		.amdhsa_exception_fp_ieee_div_zero 0
		.amdhsa_exception_fp_ieee_overflow 0
		.amdhsa_exception_fp_ieee_underflow 0
		.amdhsa_exception_fp_ieee_inexact 0
		.amdhsa_exception_int_div_zero 0
	.end_amdhsa_kernel
	.section	.text._ZN7rocprim17ROCPRIM_400000_NS6detail17trampoline_kernelINS0_14default_configENS1_37merge_sort_block_sort_config_selectorIlNS0_10empty_typeEEEZNS1_21merge_sort_block_sortIS3_PlS8_PS5_S9_ZN2at6native12_GLOBAL__N_124unique_dim_cuda_templateIfEESt5tupleIJNSA_6TensorESF_SF_EERKSF_lbbbEUlllE_EE10hipError_tT0_T1_T2_T3_mRjT4_P12ihipStream_tbNS1_7vsmem_tEEUlT_E_NS1_11comp_targetILNS1_3genE10ELNS1_11target_archE1201ELNS1_3gpuE5ELNS1_3repE0EEENS1_30default_config_static_selectorELNS0_4arch9wavefront6targetE1EEEvSM_,"axG",@progbits,_ZN7rocprim17ROCPRIM_400000_NS6detail17trampoline_kernelINS0_14default_configENS1_37merge_sort_block_sort_config_selectorIlNS0_10empty_typeEEEZNS1_21merge_sort_block_sortIS3_PlS8_PS5_S9_ZN2at6native12_GLOBAL__N_124unique_dim_cuda_templateIfEESt5tupleIJNSA_6TensorESF_SF_EERKSF_lbbbEUlllE_EE10hipError_tT0_T1_T2_T3_mRjT4_P12ihipStream_tbNS1_7vsmem_tEEUlT_E_NS1_11comp_targetILNS1_3genE10ELNS1_11target_archE1201ELNS1_3gpuE5ELNS1_3repE0EEENS1_30default_config_static_selectorELNS0_4arch9wavefront6targetE1EEEvSM_,comdat
.Lfunc_end883:
	.size	_ZN7rocprim17ROCPRIM_400000_NS6detail17trampoline_kernelINS0_14default_configENS1_37merge_sort_block_sort_config_selectorIlNS0_10empty_typeEEEZNS1_21merge_sort_block_sortIS3_PlS8_PS5_S9_ZN2at6native12_GLOBAL__N_124unique_dim_cuda_templateIfEESt5tupleIJNSA_6TensorESF_SF_EERKSF_lbbbEUlllE_EE10hipError_tT0_T1_T2_T3_mRjT4_P12ihipStream_tbNS1_7vsmem_tEEUlT_E_NS1_11comp_targetILNS1_3genE10ELNS1_11target_archE1201ELNS1_3gpuE5ELNS1_3repE0EEENS1_30default_config_static_selectorELNS0_4arch9wavefront6targetE1EEEvSM_, .Lfunc_end883-_ZN7rocprim17ROCPRIM_400000_NS6detail17trampoline_kernelINS0_14default_configENS1_37merge_sort_block_sort_config_selectorIlNS0_10empty_typeEEEZNS1_21merge_sort_block_sortIS3_PlS8_PS5_S9_ZN2at6native12_GLOBAL__N_124unique_dim_cuda_templateIfEESt5tupleIJNSA_6TensorESF_SF_EERKSF_lbbbEUlllE_EE10hipError_tT0_T1_T2_T3_mRjT4_P12ihipStream_tbNS1_7vsmem_tEEUlT_E_NS1_11comp_targetILNS1_3genE10ELNS1_11target_archE1201ELNS1_3gpuE5ELNS1_3repE0EEENS1_30default_config_static_selectorELNS0_4arch9wavefront6targetE1EEEvSM_
                                        ; -- End function
	.section	.AMDGPU.csdata,"",@progbits
; Kernel info:
; codeLenInByte = 0
; NumSgprs: 6
; NumVgprs: 0
; NumAgprs: 0
; TotalNumVgprs: 0
; ScratchSize: 0
; MemoryBound: 0
; FloatMode: 240
; IeeeMode: 1
; LDSByteSize: 0 bytes/workgroup (compile time only)
; SGPRBlocks: 0
; VGPRBlocks: 0
; NumSGPRsForWavesPerEU: 6
; NumVGPRsForWavesPerEU: 1
; AccumOffset: 4
; Occupancy: 8
; WaveLimiterHint : 0
; COMPUTE_PGM_RSRC2:SCRATCH_EN: 0
; COMPUTE_PGM_RSRC2:USER_SGPR: 2
; COMPUTE_PGM_RSRC2:TRAP_HANDLER: 0
; COMPUTE_PGM_RSRC2:TGID_X_EN: 1
; COMPUTE_PGM_RSRC2:TGID_Y_EN: 0
; COMPUTE_PGM_RSRC2:TGID_Z_EN: 0
; COMPUTE_PGM_RSRC2:TIDIG_COMP_CNT: 0
; COMPUTE_PGM_RSRC3_GFX90A:ACCUM_OFFSET: 0
; COMPUTE_PGM_RSRC3_GFX90A:TG_SPLIT: 0
	.section	.text._ZN7rocprim17ROCPRIM_400000_NS6detail17trampoline_kernelINS0_14default_configENS1_37merge_sort_block_sort_config_selectorIlNS0_10empty_typeEEEZNS1_21merge_sort_block_sortIS3_PlS8_PS5_S9_ZN2at6native12_GLOBAL__N_124unique_dim_cuda_templateIfEESt5tupleIJNSA_6TensorESF_SF_EERKSF_lbbbEUlllE_EE10hipError_tT0_T1_T2_T3_mRjT4_P12ihipStream_tbNS1_7vsmem_tEEUlT_E_NS1_11comp_targetILNS1_3genE10ELNS1_11target_archE1200ELNS1_3gpuE4ELNS1_3repE0EEENS1_30default_config_static_selectorELNS0_4arch9wavefront6targetE1EEEvSM_,"axG",@progbits,_ZN7rocprim17ROCPRIM_400000_NS6detail17trampoline_kernelINS0_14default_configENS1_37merge_sort_block_sort_config_selectorIlNS0_10empty_typeEEEZNS1_21merge_sort_block_sortIS3_PlS8_PS5_S9_ZN2at6native12_GLOBAL__N_124unique_dim_cuda_templateIfEESt5tupleIJNSA_6TensorESF_SF_EERKSF_lbbbEUlllE_EE10hipError_tT0_T1_T2_T3_mRjT4_P12ihipStream_tbNS1_7vsmem_tEEUlT_E_NS1_11comp_targetILNS1_3genE10ELNS1_11target_archE1200ELNS1_3gpuE4ELNS1_3repE0EEENS1_30default_config_static_selectorELNS0_4arch9wavefront6targetE1EEEvSM_,comdat
	.globl	_ZN7rocprim17ROCPRIM_400000_NS6detail17trampoline_kernelINS0_14default_configENS1_37merge_sort_block_sort_config_selectorIlNS0_10empty_typeEEEZNS1_21merge_sort_block_sortIS3_PlS8_PS5_S9_ZN2at6native12_GLOBAL__N_124unique_dim_cuda_templateIfEESt5tupleIJNSA_6TensorESF_SF_EERKSF_lbbbEUlllE_EE10hipError_tT0_T1_T2_T3_mRjT4_P12ihipStream_tbNS1_7vsmem_tEEUlT_E_NS1_11comp_targetILNS1_3genE10ELNS1_11target_archE1200ELNS1_3gpuE4ELNS1_3repE0EEENS1_30default_config_static_selectorELNS0_4arch9wavefront6targetE1EEEvSM_ ; -- Begin function _ZN7rocprim17ROCPRIM_400000_NS6detail17trampoline_kernelINS0_14default_configENS1_37merge_sort_block_sort_config_selectorIlNS0_10empty_typeEEEZNS1_21merge_sort_block_sortIS3_PlS8_PS5_S9_ZN2at6native12_GLOBAL__N_124unique_dim_cuda_templateIfEESt5tupleIJNSA_6TensorESF_SF_EERKSF_lbbbEUlllE_EE10hipError_tT0_T1_T2_T3_mRjT4_P12ihipStream_tbNS1_7vsmem_tEEUlT_E_NS1_11comp_targetILNS1_3genE10ELNS1_11target_archE1200ELNS1_3gpuE4ELNS1_3repE0EEENS1_30default_config_static_selectorELNS0_4arch9wavefront6targetE1EEEvSM_
	.p2align	8
	.type	_ZN7rocprim17ROCPRIM_400000_NS6detail17trampoline_kernelINS0_14default_configENS1_37merge_sort_block_sort_config_selectorIlNS0_10empty_typeEEEZNS1_21merge_sort_block_sortIS3_PlS8_PS5_S9_ZN2at6native12_GLOBAL__N_124unique_dim_cuda_templateIfEESt5tupleIJNSA_6TensorESF_SF_EERKSF_lbbbEUlllE_EE10hipError_tT0_T1_T2_T3_mRjT4_P12ihipStream_tbNS1_7vsmem_tEEUlT_E_NS1_11comp_targetILNS1_3genE10ELNS1_11target_archE1200ELNS1_3gpuE4ELNS1_3repE0EEENS1_30default_config_static_selectorELNS0_4arch9wavefront6targetE1EEEvSM_,@function
_ZN7rocprim17ROCPRIM_400000_NS6detail17trampoline_kernelINS0_14default_configENS1_37merge_sort_block_sort_config_selectorIlNS0_10empty_typeEEEZNS1_21merge_sort_block_sortIS3_PlS8_PS5_S9_ZN2at6native12_GLOBAL__N_124unique_dim_cuda_templateIfEESt5tupleIJNSA_6TensorESF_SF_EERKSF_lbbbEUlllE_EE10hipError_tT0_T1_T2_T3_mRjT4_P12ihipStream_tbNS1_7vsmem_tEEUlT_E_NS1_11comp_targetILNS1_3genE10ELNS1_11target_archE1200ELNS1_3gpuE4ELNS1_3repE0EEENS1_30default_config_static_selectorELNS0_4arch9wavefront6targetE1EEEvSM_: ; @_ZN7rocprim17ROCPRIM_400000_NS6detail17trampoline_kernelINS0_14default_configENS1_37merge_sort_block_sort_config_selectorIlNS0_10empty_typeEEEZNS1_21merge_sort_block_sortIS3_PlS8_PS5_S9_ZN2at6native12_GLOBAL__N_124unique_dim_cuda_templateIfEESt5tupleIJNSA_6TensorESF_SF_EERKSF_lbbbEUlllE_EE10hipError_tT0_T1_T2_T3_mRjT4_P12ihipStream_tbNS1_7vsmem_tEEUlT_E_NS1_11comp_targetILNS1_3genE10ELNS1_11target_archE1200ELNS1_3gpuE4ELNS1_3repE0EEENS1_30default_config_static_selectorELNS0_4arch9wavefront6targetE1EEEvSM_
; %bb.0:
	.section	.rodata,"a",@progbits
	.p2align	6, 0x0
	.amdhsa_kernel _ZN7rocprim17ROCPRIM_400000_NS6detail17trampoline_kernelINS0_14default_configENS1_37merge_sort_block_sort_config_selectorIlNS0_10empty_typeEEEZNS1_21merge_sort_block_sortIS3_PlS8_PS5_S9_ZN2at6native12_GLOBAL__N_124unique_dim_cuda_templateIfEESt5tupleIJNSA_6TensorESF_SF_EERKSF_lbbbEUlllE_EE10hipError_tT0_T1_T2_T3_mRjT4_P12ihipStream_tbNS1_7vsmem_tEEUlT_E_NS1_11comp_targetILNS1_3genE10ELNS1_11target_archE1200ELNS1_3gpuE4ELNS1_3repE0EEENS1_30default_config_static_selectorELNS0_4arch9wavefront6targetE1EEEvSM_
		.amdhsa_group_segment_fixed_size 0
		.amdhsa_private_segment_fixed_size 0
		.amdhsa_kernarg_size 72
		.amdhsa_user_sgpr_count 2
		.amdhsa_user_sgpr_dispatch_ptr 0
		.amdhsa_user_sgpr_queue_ptr 0
		.amdhsa_user_sgpr_kernarg_segment_ptr 1
		.amdhsa_user_sgpr_dispatch_id 0
		.amdhsa_user_sgpr_kernarg_preload_length 0
		.amdhsa_user_sgpr_kernarg_preload_offset 0
		.amdhsa_user_sgpr_private_segment_size 0
		.amdhsa_uses_dynamic_stack 0
		.amdhsa_enable_private_segment 0
		.amdhsa_system_sgpr_workgroup_id_x 1
		.amdhsa_system_sgpr_workgroup_id_y 0
		.amdhsa_system_sgpr_workgroup_id_z 0
		.amdhsa_system_sgpr_workgroup_info 0
		.amdhsa_system_vgpr_workitem_id 0
		.amdhsa_next_free_vgpr 1
		.amdhsa_next_free_sgpr 0
		.amdhsa_accum_offset 4
		.amdhsa_reserve_vcc 0
		.amdhsa_float_round_mode_32 0
		.amdhsa_float_round_mode_16_64 0
		.amdhsa_float_denorm_mode_32 3
		.amdhsa_float_denorm_mode_16_64 3
		.amdhsa_dx10_clamp 1
		.amdhsa_ieee_mode 1
		.amdhsa_fp16_overflow 0
		.amdhsa_tg_split 0
		.amdhsa_exception_fp_ieee_invalid_op 0
		.amdhsa_exception_fp_denorm_src 0
		.amdhsa_exception_fp_ieee_div_zero 0
		.amdhsa_exception_fp_ieee_overflow 0
		.amdhsa_exception_fp_ieee_underflow 0
		.amdhsa_exception_fp_ieee_inexact 0
		.amdhsa_exception_int_div_zero 0
	.end_amdhsa_kernel
	.section	.text._ZN7rocprim17ROCPRIM_400000_NS6detail17trampoline_kernelINS0_14default_configENS1_37merge_sort_block_sort_config_selectorIlNS0_10empty_typeEEEZNS1_21merge_sort_block_sortIS3_PlS8_PS5_S9_ZN2at6native12_GLOBAL__N_124unique_dim_cuda_templateIfEESt5tupleIJNSA_6TensorESF_SF_EERKSF_lbbbEUlllE_EE10hipError_tT0_T1_T2_T3_mRjT4_P12ihipStream_tbNS1_7vsmem_tEEUlT_E_NS1_11comp_targetILNS1_3genE10ELNS1_11target_archE1200ELNS1_3gpuE4ELNS1_3repE0EEENS1_30default_config_static_selectorELNS0_4arch9wavefront6targetE1EEEvSM_,"axG",@progbits,_ZN7rocprim17ROCPRIM_400000_NS6detail17trampoline_kernelINS0_14default_configENS1_37merge_sort_block_sort_config_selectorIlNS0_10empty_typeEEEZNS1_21merge_sort_block_sortIS3_PlS8_PS5_S9_ZN2at6native12_GLOBAL__N_124unique_dim_cuda_templateIfEESt5tupleIJNSA_6TensorESF_SF_EERKSF_lbbbEUlllE_EE10hipError_tT0_T1_T2_T3_mRjT4_P12ihipStream_tbNS1_7vsmem_tEEUlT_E_NS1_11comp_targetILNS1_3genE10ELNS1_11target_archE1200ELNS1_3gpuE4ELNS1_3repE0EEENS1_30default_config_static_selectorELNS0_4arch9wavefront6targetE1EEEvSM_,comdat
.Lfunc_end884:
	.size	_ZN7rocprim17ROCPRIM_400000_NS6detail17trampoline_kernelINS0_14default_configENS1_37merge_sort_block_sort_config_selectorIlNS0_10empty_typeEEEZNS1_21merge_sort_block_sortIS3_PlS8_PS5_S9_ZN2at6native12_GLOBAL__N_124unique_dim_cuda_templateIfEESt5tupleIJNSA_6TensorESF_SF_EERKSF_lbbbEUlllE_EE10hipError_tT0_T1_T2_T3_mRjT4_P12ihipStream_tbNS1_7vsmem_tEEUlT_E_NS1_11comp_targetILNS1_3genE10ELNS1_11target_archE1200ELNS1_3gpuE4ELNS1_3repE0EEENS1_30default_config_static_selectorELNS0_4arch9wavefront6targetE1EEEvSM_, .Lfunc_end884-_ZN7rocprim17ROCPRIM_400000_NS6detail17trampoline_kernelINS0_14default_configENS1_37merge_sort_block_sort_config_selectorIlNS0_10empty_typeEEEZNS1_21merge_sort_block_sortIS3_PlS8_PS5_S9_ZN2at6native12_GLOBAL__N_124unique_dim_cuda_templateIfEESt5tupleIJNSA_6TensorESF_SF_EERKSF_lbbbEUlllE_EE10hipError_tT0_T1_T2_T3_mRjT4_P12ihipStream_tbNS1_7vsmem_tEEUlT_E_NS1_11comp_targetILNS1_3genE10ELNS1_11target_archE1200ELNS1_3gpuE4ELNS1_3repE0EEENS1_30default_config_static_selectorELNS0_4arch9wavefront6targetE1EEEvSM_
                                        ; -- End function
	.section	.AMDGPU.csdata,"",@progbits
; Kernel info:
; codeLenInByte = 0
; NumSgprs: 6
; NumVgprs: 0
; NumAgprs: 0
; TotalNumVgprs: 0
; ScratchSize: 0
; MemoryBound: 0
; FloatMode: 240
; IeeeMode: 1
; LDSByteSize: 0 bytes/workgroup (compile time only)
; SGPRBlocks: 0
; VGPRBlocks: 0
; NumSGPRsForWavesPerEU: 6
; NumVGPRsForWavesPerEU: 1
; AccumOffset: 4
; Occupancy: 8
; WaveLimiterHint : 0
; COMPUTE_PGM_RSRC2:SCRATCH_EN: 0
; COMPUTE_PGM_RSRC2:USER_SGPR: 2
; COMPUTE_PGM_RSRC2:TRAP_HANDLER: 0
; COMPUTE_PGM_RSRC2:TGID_X_EN: 1
; COMPUTE_PGM_RSRC2:TGID_Y_EN: 0
; COMPUTE_PGM_RSRC2:TGID_Z_EN: 0
; COMPUTE_PGM_RSRC2:TIDIG_COMP_CNT: 0
; COMPUTE_PGM_RSRC3_GFX90A:ACCUM_OFFSET: 0
; COMPUTE_PGM_RSRC3_GFX90A:TG_SPLIT: 0
	.section	.text._ZN7rocprim17ROCPRIM_400000_NS6detail17trampoline_kernelINS0_14default_configENS1_37merge_sort_block_sort_config_selectorIlNS0_10empty_typeEEEZNS1_21merge_sort_block_sortIS3_PlS8_PS5_S9_ZN2at6native12_GLOBAL__N_124unique_dim_cuda_templateIfEESt5tupleIJNSA_6TensorESF_SF_EERKSF_lbbbEUlllE_EE10hipError_tT0_T1_T2_T3_mRjT4_P12ihipStream_tbNS1_7vsmem_tEEUlT_E_NS1_11comp_targetILNS1_3genE9ELNS1_11target_archE1100ELNS1_3gpuE3ELNS1_3repE0EEENS1_30default_config_static_selectorELNS0_4arch9wavefront6targetE1EEEvSM_,"axG",@progbits,_ZN7rocprim17ROCPRIM_400000_NS6detail17trampoline_kernelINS0_14default_configENS1_37merge_sort_block_sort_config_selectorIlNS0_10empty_typeEEEZNS1_21merge_sort_block_sortIS3_PlS8_PS5_S9_ZN2at6native12_GLOBAL__N_124unique_dim_cuda_templateIfEESt5tupleIJNSA_6TensorESF_SF_EERKSF_lbbbEUlllE_EE10hipError_tT0_T1_T2_T3_mRjT4_P12ihipStream_tbNS1_7vsmem_tEEUlT_E_NS1_11comp_targetILNS1_3genE9ELNS1_11target_archE1100ELNS1_3gpuE3ELNS1_3repE0EEENS1_30default_config_static_selectorELNS0_4arch9wavefront6targetE1EEEvSM_,comdat
	.globl	_ZN7rocprim17ROCPRIM_400000_NS6detail17trampoline_kernelINS0_14default_configENS1_37merge_sort_block_sort_config_selectorIlNS0_10empty_typeEEEZNS1_21merge_sort_block_sortIS3_PlS8_PS5_S9_ZN2at6native12_GLOBAL__N_124unique_dim_cuda_templateIfEESt5tupleIJNSA_6TensorESF_SF_EERKSF_lbbbEUlllE_EE10hipError_tT0_T1_T2_T3_mRjT4_P12ihipStream_tbNS1_7vsmem_tEEUlT_E_NS1_11comp_targetILNS1_3genE9ELNS1_11target_archE1100ELNS1_3gpuE3ELNS1_3repE0EEENS1_30default_config_static_selectorELNS0_4arch9wavefront6targetE1EEEvSM_ ; -- Begin function _ZN7rocprim17ROCPRIM_400000_NS6detail17trampoline_kernelINS0_14default_configENS1_37merge_sort_block_sort_config_selectorIlNS0_10empty_typeEEEZNS1_21merge_sort_block_sortIS3_PlS8_PS5_S9_ZN2at6native12_GLOBAL__N_124unique_dim_cuda_templateIfEESt5tupleIJNSA_6TensorESF_SF_EERKSF_lbbbEUlllE_EE10hipError_tT0_T1_T2_T3_mRjT4_P12ihipStream_tbNS1_7vsmem_tEEUlT_E_NS1_11comp_targetILNS1_3genE9ELNS1_11target_archE1100ELNS1_3gpuE3ELNS1_3repE0EEENS1_30default_config_static_selectorELNS0_4arch9wavefront6targetE1EEEvSM_
	.p2align	8
	.type	_ZN7rocprim17ROCPRIM_400000_NS6detail17trampoline_kernelINS0_14default_configENS1_37merge_sort_block_sort_config_selectorIlNS0_10empty_typeEEEZNS1_21merge_sort_block_sortIS3_PlS8_PS5_S9_ZN2at6native12_GLOBAL__N_124unique_dim_cuda_templateIfEESt5tupleIJNSA_6TensorESF_SF_EERKSF_lbbbEUlllE_EE10hipError_tT0_T1_T2_T3_mRjT4_P12ihipStream_tbNS1_7vsmem_tEEUlT_E_NS1_11comp_targetILNS1_3genE9ELNS1_11target_archE1100ELNS1_3gpuE3ELNS1_3repE0EEENS1_30default_config_static_selectorELNS0_4arch9wavefront6targetE1EEEvSM_,@function
_ZN7rocprim17ROCPRIM_400000_NS6detail17trampoline_kernelINS0_14default_configENS1_37merge_sort_block_sort_config_selectorIlNS0_10empty_typeEEEZNS1_21merge_sort_block_sortIS3_PlS8_PS5_S9_ZN2at6native12_GLOBAL__N_124unique_dim_cuda_templateIfEESt5tupleIJNSA_6TensorESF_SF_EERKSF_lbbbEUlllE_EE10hipError_tT0_T1_T2_T3_mRjT4_P12ihipStream_tbNS1_7vsmem_tEEUlT_E_NS1_11comp_targetILNS1_3genE9ELNS1_11target_archE1100ELNS1_3gpuE3ELNS1_3repE0EEENS1_30default_config_static_selectorELNS0_4arch9wavefront6targetE1EEEvSM_: ; @_ZN7rocprim17ROCPRIM_400000_NS6detail17trampoline_kernelINS0_14default_configENS1_37merge_sort_block_sort_config_selectorIlNS0_10empty_typeEEEZNS1_21merge_sort_block_sortIS3_PlS8_PS5_S9_ZN2at6native12_GLOBAL__N_124unique_dim_cuda_templateIfEESt5tupleIJNSA_6TensorESF_SF_EERKSF_lbbbEUlllE_EE10hipError_tT0_T1_T2_T3_mRjT4_P12ihipStream_tbNS1_7vsmem_tEEUlT_E_NS1_11comp_targetILNS1_3genE9ELNS1_11target_archE1100ELNS1_3gpuE3ELNS1_3repE0EEENS1_30default_config_static_selectorELNS0_4arch9wavefront6targetE1EEEvSM_
; %bb.0:
	.section	.rodata,"a",@progbits
	.p2align	6, 0x0
	.amdhsa_kernel _ZN7rocprim17ROCPRIM_400000_NS6detail17trampoline_kernelINS0_14default_configENS1_37merge_sort_block_sort_config_selectorIlNS0_10empty_typeEEEZNS1_21merge_sort_block_sortIS3_PlS8_PS5_S9_ZN2at6native12_GLOBAL__N_124unique_dim_cuda_templateIfEESt5tupleIJNSA_6TensorESF_SF_EERKSF_lbbbEUlllE_EE10hipError_tT0_T1_T2_T3_mRjT4_P12ihipStream_tbNS1_7vsmem_tEEUlT_E_NS1_11comp_targetILNS1_3genE9ELNS1_11target_archE1100ELNS1_3gpuE3ELNS1_3repE0EEENS1_30default_config_static_selectorELNS0_4arch9wavefront6targetE1EEEvSM_
		.amdhsa_group_segment_fixed_size 0
		.amdhsa_private_segment_fixed_size 0
		.amdhsa_kernarg_size 72
		.amdhsa_user_sgpr_count 2
		.amdhsa_user_sgpr_dispatch_ptr 0
		.amdhsa_user_sgpr_queue_ptr 0
		.amdhsa_user_sgpr_kernarg_segment_ptr 1
		.amdhsa_user_sgpr_dispatch_id 0
		.amdhsa_user_sgpr_kernarg_preload_length 0
		.amdhsa_user_sgpr_kernarg_preload_offset 0
		.amdhsa_user_sgpr_private_segment_size 0
		.amdhsa_uses_dynamic_stack 0
		.amdhsa_enable_private_segment 0
		.amdhsa_system_sgpr_workgroup_id_x 1
		.amdhsa_system_sgpr_workgroup_id_y 0
		.amdhsa_system_sgpr_workgroup_id_z 0
		.amdhsa_system_sgpr_workgroup_info 0
		.amdhsa_system_vgpr_workitem_id 0
		.amdhsa_next_free_vgpr 1
		.amdhsa_next_free_sgpr 0
		.amdhsa_accum_offset 4
		.amdhsa_reserve_vcc 0
		.amdhsa_float_round_mode_32 0
		.amdhsa_float_round_mode_16_64 0
		.amdhsa_float_denorm_mode_32 3
		.amdhsa_float_denorm_mode_16_64 3
		.amdhsa_dx10_clamp 1
		.amdhsa_ieee_mode 1
		.amdhsa_fp16_overflow 0
		.amdhsa_tg_split 0
		.amdhsa_exception_fp_ieee_invalid_op 0
		.amdhsa_exception_fp_denorm_src 0
		.amdhsa_exception_fp_ieee_div_zero 0
		.amdhsa_exception_fp_ieee_overflow 0
		.amdhsa_exception_fp_ieee_underflow 0
		.amdhsa_exception_fp_ieee_inexact 0
		.amdhsa_exception_int_div_zero 0
	.end_amdhsa_kernel
	.section	.text._ZN7rocprim17ROCPRIM_400000_NS6detail17trampoline_kernelINS0_14default_configENS1_37merge_sort_block_sort_config_selectorIlNS0_10empty_typeEEEZNS1_21merge_sort_block_sortIS3_PlS8_PS5_S9_ZN2at6native12_GLOBAL__N_124unique_dim_cuda_templateIfEESt5tupleIJNSA_6TensorESF_SF_EERKSF_lbbbEUlllE_EE10hipError_tT0_T1_T2_T3_mRjT4_P12ihipStream_tbNS1_7vsmem_tEEUlT_E_NS1_11comp_targetILNS1_3genE9ELNS1_11target_archE1100ELNS1_3gpuE3ELNS1_3repE0EEENS1_30default_config_static_selectorELNS0_4arch9wavefront6targetE1EEEvSM_,"axG",@progbits,_ZN7rocprim17ROCPRIM_400000_NS6detail17trampoline_kernelINS0_14default_configENS1_37merge_sort_block_sort_config_selectorIlNS0_10empty_typeEEEZNS1_21merge_sort_block_sortIS3_PlS8_PS5_S9_ZN2at6native12_GLOBAL__N_124unique_dim_cuda_templateIfEESt5tupleIJNSA_6TensorESF_SF_EERKSF_lbbbEUlllE_EE10hipError_tT0_T1_T2_T3_mRjT4_P12ihipStream_tbNS1_7vsmem_tEEUlT_E_NS1_11comp_targetILNS1_3genE9ELNS1_11target_archE1100ELNS1_3gpuE3ELNS1_3repE0EEENS1_30default_config_static_selectorELNS0_4arch9wavefront6targetE1EEEvSM_,comdat
.Lfunc_end885:
	.size	_ZN7rocprim17ROCPRIM_400000_NS6detail17trampoline_kernelINS0_14default_configENS1_37merge_sort_block_sort_config_selectorIlNS0_10empty_typeEEEZNS1_21merge_sort_block_sortIS3_PlS8_PS5_S9_ZN2at6native12_GLOBAL__N_124unique_dim_cuda_templateIfEESt5tupleIJNSA_6TensorESF_SF_EERKSF_lbbbEUlllE_EE10hipError_tT0_T1_T2_T3_mRjT4_P12ihipStream_tbNS1_7vsmem_tEEUlT_E_NS1_11comp_targetILNS1_3genE9ELNS1_11target_archE1100ELNS1_3gpuE3ELNS1_3repE0EEENS1_30default_config_static_selectorELNS0_4arch9wavefront6targetE1EEEvSM_, .Lfunc_end885-_ZN7rocprim17ROCPRIM_400000_NS6detail17trampoline_kernelINS0_14default_configENS1_37merge_sort_block_sort_config_selectorIlNS0_10empty_typeEEEZNS1_21merge_sort_block_sortIS3_PlS8_PS5_S9_ZN2at6native12_GLOBAL__N_124unique_dim_cuda_templateIfEESt5tupleIJNSA_6TensorESF_SF_EERKSF_lbbbEUlllE_EE10hipError_tT0_T1_T2_T3_mRjT4_P12ihipStream_tbNS1_7vsmem_tEEUlT_E_NS1_11comp_targetILNS1_3genE9ELNS1_11target_archE1100ELNS1_3gpuE3ELNS1_3repE0EEENS1_30default_config_static_selectorELNS0_4arch9wavefront6targetE1EEEvSM_
                                        ; -- End function
	.section	.AMDGPU.csdata,"",@progbits
; Kernel info:
; codeLenInByte = 0
; NumSgprs: 6
; NumVgprs: 0
; NumAgprs: 0
; TotalNumVgprs: 0
; ScratchSize: 0
; MemoryBound: 0
; FloatMode: 240
; IeeeMode: 1
; LDSByteSize: 0 bytes/workgroup (compile time only)
; SGPRBlocks: 0
; VGPRBlocks: 0
; NumSGPRsForWavesPerEU: 6
; NumVGPRsForWavesPerEU: 1
; AccumOffset: 4
; Occupancy: 8
; WaveLimiterHint : 0
; COMPUTE_PGM_RSRC2:SCRATCH_EN: 0
; COMPUTE_PGM_RSRC2:USER_SGPR: 2
; COMPUTE_PGM_RSRC2:TRAP_HANDLER: 0
; COMPUTE_PGM_RSRC2:TGID_X_EN: 1
; COMPUTE_PGM_RSRC2:TGID_Y_EN: 0
; COMPUTE_PGM_RSRC2:TGID_Z_EN: 0
; COMPUTE_PGM_RSRC2:TIDIG_COMP_CNT: 0
; COMPUTE_PGM_RSRC3_GFX90A:ACCUM_OFFSET: 0
; COMPUTE_PGM_RSRC3_GFX90A:TG_SPLIT: 0
	.section	.text._ZN7rocprim17ROCPRIM_400000_NS6detail17trampoline_kernelINS0_14default_configENS1_37merge_sort_block_sort_config_selectorIlNS0_10empty_typeEEEZNS1_21merge_sort_block_sortIS3_PlS8_PS5_S9_ZN2at6native12_GLOBAL__N_124unique_dim_cuda_templateIfEESt5tupleIJNSA_6TensorESF_SF_EERKSF_lbbbEUlllE_EE10hipError_tT0_T1_T2_T3_mRjT4_P12ihipStream_tbNS1_7vsmem_tEEUlT_E_NS1_11comp_targetILNS1_3genE8ELNS1_11target_archE1030ELNS1_3gpuE2ELNS1_3repE0EEENS1_30default_config_static_selectorELNS0_4arch9wavefront6targetE1EEEvSM_,"axG",@progbits,_ZN7rocprim17ROCPRIM_400000_NS6detail17trampoline_kernelINS0_14default_configENS1_37merge_sort_block_sort_config_selectorIlNS0_10empty_typeEEEZNS1_21merge_sort_block_sortIS3_PlS8_PS5_S9_ZN2at6native12_GLOBAL__N_124unique_dim_cuda_templateIfEESt5tupleIJNSA_6TensorESF_SF_EERKSF_lbbbEUlllE_EE10hipError_tT0_T1_T2_T3_mRjT4_P12ihipStream_tbNS1_7vsmem_tEEUlT_E_NS1_11comp_targetILNS1_3genE8ELNS1_11target_archE1030ELNS1_3gpuE2ELNS1_3repE0EEENS1_30default_config_static_selectorELNS0_4arch9wavefront6targetE1EEEvSM_,comdat
	.globl	_ZN7rocprim17ROCPRIM_400000_NS6detail17trampoline_kernelINS0_14default_configENS1_37merge_sort_block_sort_config_selectorIlNS0_10empty_typeEEEZNS1_21merge_sort_block_sortIS3_PlS8_PS5_S9_ZN2at6native12_GLOBAL__N_124unique_dim_cuda_templateIfEESt5tupleIJNSA_6TensorESF_SF_EERKSF_lbbbEUlllE_EE10hipError_tT0_T1_T2_T3_mRjT4_P12ihipStream_tbNS1_7vsmem_tEEUlT_E_NS1_11comp_targetILNS1_3genE8ELNS1_11target_archE1030ELNS1_3gpuE2ELNS1_3repE0EEENS1_30default_config_static_selectorELNS0_4arch9wavefront6targetE1EEEvSM_ ; -- Begin function _ZN7rocprim17ROCPRIM_400000_NS6detail17trampoline_kernelINS0_14default_configENS1_37merge_sort_block_sort_config_selectorIlNS0_10empty_typeEEEZNS1_21merge_sort_block_sortIS3_PlS8_PS5_S9_ZN2at6native12_GLOBAL__N_124unique_dim_cuda_templateIfEESt5tupleIJNSA_6TensorESF_SF_EERKSF_lbbbEUlllE_EE10hipError_tT0_T1_T2_T3_mRjT4_P12ihipStream_tbNS1_7vsmem_tEEUlT_E_NS1_11comp_targetILNS1_3genE8ELNS1_11target_archE1030ELNS1_3gpuE2ELNS1_3repE0EEENS1_30default_config_static_selectorELNS0_4arch9wavefront6targetE1EEEvSM_
	.p2align	8
	.type	_ZN7rocprim17ROCPRIM_400000_NS6detail17trampoline_kernelINS0_14default_configENS1_37merge_sort_block_sort_config_selectorIlNS0_10empty_typeEEEZNS1_21merge_sort_block_sortIS3_PlS8_PS5_S9_ZN2at6native12_GLOBAL__N_124unique_dim_cuda_templateIfEESt5tupleIJNSA_6TensorESF_SF_EERKSF_lbbbEUlllE_EE10hipError_tT0_T1_T2_T3_mRjT4_P12ihipStream_tbNS1_7vsmem_tEEUlT_E_NS1_11comp_targetILNS1_3genE8ELNS1_11target_archE1030ELNS1_3gpuE2ELNS1_3repE0EEENS1_30default_config_static_selectorELNS0_4arch9wavefront6targetE1EEEvSM_,@function
_ZN7rocprim17ROCPRIM_400000_NS6detail17trampoline_kernelINS0_14default_configENS1_37merge_sort_block_sort_config_selectorIlNS0_10empty_typeEEEZNS1_21merge_sort_block_sortIS3_PlS8_PS5_S9_ZN2at6native12_GLOBAL__N_124unique_dim_cuda_templateIfEESt5tupleIJNSA_6TensorESF_SF_EERKSF_lbbbEUlllE_EE10hipError_tT0_T1_T2_T3_mRjT4_P12ihipStream_tbNS1_7vsmem_tEEUlT_E_NS1_11comp_targetILNS1_3genE8ELNS1_11target_archE1030ELNS1_3gpuE2ELNS1_3repE0EEENS1_30default_config_static_selectorELNS0_4arch9wavefront6targetE1EEEvSM_: ; @_ZN7rocprim17ROCPRIM_400000_NS6detail17trampoline_kernelINS0_14default_configENS1_37merge_sort_block_sort_config_selectorIlNS0_10empty_typeEEEZNS1_21merge_sort_block_sortIS3_PlS8_PS5_S9_ZN2at6native12_GLOBAL__N_124unique_dim_cuda_templateIfEESt5tupleIJNSA_6TensorESF_SF_EERKSF_lbbbEUlllE_EE10hipError_tT0_T1_T2_T3_mRjT4_P12ihipStream_tbNS1_7vsmem_tEEUlT_E_NS1_11comp_targetILNS1_3genE8ELNS1_11target_archE1030ELNS1_3gpuE2ELNS1_3repE0EEENS1_30default_config_static_selectorELNS0_4arch9wavefront6targetE1EEEvSM_
; %bb.0:
	.section	.rodata,"a",@progbits
	.p2align	6, 0x0
	.amdhsa_kernel _ZN7rocprim17ROCPRIM_400000_NS6detail17trampoline_kernelINS0_14default_configENS1_37merge_sort_block_sort_config_selectorIlNS0_10empty_typeEEEZNS1_21merge_sort_block_sortIS3_PlS8_PS5_S9_ZN2at6native12_GLOBAL__N_124unique_dim_cuda_templateIfEESt5tupleIJNSA_6TensorESF_SF_EERKSF_lbbbEUlllE_EE10hipError_tT0_T1_T2_T3_mRjT4_P12ihipStream_tbNS1_7vsmem_tEEUlT_E_NS1_11comp_targetILNS1_3genE8ELNS1_11target_archE1030ELNS1_3gpuE2ELNS1_3repE0EEENS1_30default_config_static_selectorELNS0_4arch9wavefront6targetE1EEEvSM_
		.amdhsa_group_segment_fixed_size 0
		.amdhsa_private_segment_fixed_size 0
		.amdhsa_kernarg_size 72
		.amdhsa_user_sgpr_count 2
		.amdhsa_user_sgpr_dispatch_ptr 0
		.amdhsa_user_sgpr_queue_ptr 0
		.amdhsa_user_sgpr_kernarg_segment_ptr 1
		.amdhsa_user_sgpr_dispatch_id 0
		.amdhsa_user_sgpr_kernarg_preload_length 0
		.amdhsa_user_sgpr_kernarg_preload_offset 0
		.amdhsa_user_sgpr_private_segment_size 0
		.amdhsa_uses_dynamic_stack 0
		.amdhsa_enable_private_segment 0
		.amdhsa_system_sgpr_workgroup_id_x 1
		.amdhsa_system_sgpr_workgroup_id_y 0
		.amdhsa_system_sgpr_workgroup_id_z 0
		.amdhsa_system_sgpr_workgroup_info 0
		.amdhsa_system_vgpr_workitem_id 0
		.amdhsa_next_free_vgpr 1
		.amdhsa_next_free_sgpr 0
		.amdhsa_accum_offset 4
		.amdhsa_reserve_vcc 0
		.amdhsa_float_round_mode_32 0
		.amdhsa_float_round_mode_16_64 0
		.amdhsa_float_denorm_mode_32 3
		.amdhsa_float_denorm_mode_16_64 3
		.amdhsa_dx10_clamp 1
		.amdhsa_ieee_mode 1
		.amdhsa_fp16_overflow 0
		.amdhsa_tg_split 0
		.amdhsa_exception_fp_ieee_invalid_op 0
		.amdhsa_exception_fp_denorm_src 0
		.amdhsa_exception_fp_ieee_div_zero 0
		.amdhsa_exception_fp_ieee_overflow 0
		.amdhsa_exception_fp_ieee_underflow 0
		.amdhsa_exception_fp_ieee_inexact 0
		.amdhsa_exception_int_div_zero 0
	.end_amdhsa_kernel
	.section	.text._ZN7rocprim17ROCPRIM_400000_NS6detail17trampoline_kernelINS0_14default_configENS1_37merge_sort_block_sort_config_selectorIlNS0_10empty_typeEEEZNS1_21merge_sort_block_sortIS3_PlS8_PS5_S9_ZN2at6native12_GLOBAL__N_124unique_dim_cuda_templateIfEESt5tupleIJNSA_6TensorESF_SF_EERKSF_lbbbEUlllE_EE10hipError_tT0_T1_T2_T3_mRjT4_P12ihipStream_tbNS1_7vsmem_tEEUlT_E_NS1_11comp_targetILNS1_3genE8ELNS1_11target_archE1030ELNS1_3gpuE2ELNS1_3repE0EEENS1_30default_config_static_selectorELNS0_4arch9wavefront6targetE1EEEvSM_,"axG",@progbits,_ZN7rocprim17ROCPRIM_400000_NS6detail17trampoline_kernelINS0_14default_configENS1_37merge_sort_block_sort_config_selectorIlNS0_10empty_typeEEEZNS1_21merge_sort_block_sortIS3_PlS8_PS5_S9_ZN2at6native12_GLOBAL__N_124unique_dim_cuda_templateIfEESt5tupleIJNSA_6TensorESF_SF_EERKSF_lbbbEUlllE_EE10hipError_tT0_T1_T2_T3_mRjT4_P12ihipStream_tbNS1_7vsmem_tEEUlT_E_NS1_11comp_targetILNS1_3genE8ELNS1_11target_archE1030ELNS1_3gpuE2ELNS1_3repE0EEENS1_30default_config_static_selectorELNS0_4arch9wavefront6targetE1EEEvSM_,comdat
.Lfunc_end886:
	.size	_ZN7rocprim17ROCPRIM_400000_NS6detail17trampoline_kernelINS0_14default_configENS1_37merge_sort_block_sort_config_selectorIlNS0_10empty_typeEEEZNS1_21merge_sort_block_sortIS3_PlS8_PS5_S9_ZN2at6native12_GLOBAL__N_124unique_dim_cuda_templateIfEESt5tupleIJNSA_6TensorESF_SF_EERKSF_lbbbEUlllE_EE10hipError_tT0_T1_T2_T3_mRjT4_P12ihipStream_tbNS1_7vsmem_tEEUlT_E_NS1_11comp_targetILNS1_3genE8ELNS1_11target_archE1030ELNS1_3gpuE2ELNS1_3repE0EEENS1_30default_config_static_selectorELNS0_4arch9wavefront6targetE1EEEvSM_, .Lfunc_end886-_ZN7rocprim17ROCPRIM_400000_NS6detail17trampoline_kernelINS0_14default_configENS1_37merge_sort_block_sort_config_selectorIlNS0_10empty_typeEEEZNS1_21merge_sort_block_sortIS3_PlS8_PS5_S9_ZN2at6native12_GLOBAL__N_124unique_dim_cuda_templateIfEESt5tupleIJNSA_6TensorESF_SF_EERKSF_lbbbEUlllE_EE10hipError_tT0_T1_T2_T3_mRjT4_P12ihipStream_tbNS1_7vsmem_tEEUlT_E_NS1_11comp_targetILNS1_3genE8ELNS1_11target_archE1030ELNS1_3gpuE2ELNS1_3repE0EEENS1_30default_config_static_selectorELNS0_4arch9wavefront6targetE1EEEvSM_
                                        ; -- End function
	.section	.AMDGPU.csdata,"",@progbits
; Kernel info:
; codeLenInByte = 0
; NumSgprs: 6
; NumVgprs: 0
; NumAgprs: 0
; TotalNumVgprs: 0
; ScratchSize: 0
; MemoryBound: 0
; FloatMode: 240
; IeeeMode: 1
; LDSByteSize: 0 bytes/workgroup (compile time only)
; SGPRBlocks: 0
; VGPRBlocks: 0
; NumSGPRsForWavesPerEU: 6
; NumVGPRsForWavesPerEU: 1
; AccumOffset: 4
; Occupancy: 8
; WaveLimiterHint : 0
; COMPUTE_PGM_RSRC2:SCRATCH_EN: 0
; COMPUTE_PGM_RSRC2:USER_SGPR: 2
; COMPUTE_PGM_RSRC2:TRAP_HANDLER: 0
; COMPUTE_PGM_RSRC2:TGID_X_EN: 1
; COMPUTE_PGM_RSRC2:TGID_Y_EN: 0
; COMPUTE_PGM_RSRC2:TGID_Z_EN: 0
; COMPUTE_PGM_RSRC2:TIDIG_COMP_CNT: 0
; COMPUTE_PGM_RSRC3_GFX90A:ACCUM_OFFSET: 0
; COMPUTE_PGM_RSRC3_GFX90A:TG_SPLIT: 0
	.section	.text._ZN7rocprim17ROCPRIM_400000_NS6detail17trampoline_kernelINS0_14default_configENS1_38merge_sort_block_merge_config_selectorIlNS0_10empty_typeEEEZZNS1_27merge_sort_block_merge_implIS3_PlPS5_mZN2at6native12_GLOBAL__N_124unique_dim_cuda_templateIfEESt5tupleIJNSA_6TensorESF_SF_EERKSF_lbbbEUlllE_EE10hipError_tT0_T1_T2_jT3_P12ihipStream_tbPNSt15iterator_traitsISL_E10value_typeEPNSR_ISM_E10value_typeEPSN_NS1_7vsmem_tEENKUlT_SL_SM_SN_E_clIS8_S8_S9_S9_EESK_S10_SL_SM_SN_EUlS10_E_NS1_11comp_targetILNS1_3genE0ELNS1_11target_archE4294967295ELNS1_3gpuE0ELNS1_3repE0EEENS1_48merge_mergepath_partition_config_static_selectorELNS0_4arch9wavefront6targetE1EEEvSM_,"axG",@progbits,_ZN7rocprim17ROCPRIM_400000_NS6detail17trampoline_kernelINS0_14default_configENS1_38merge_sort_block_merge_config_selectorIlNS0_10empty_typeEEEZZNS1_27merge_sort_block_merge_implIS3_PlPS5_mZN2at6native12_GLOBAL__N_124unique_dim_cuda_templateIfEESt5tupleIJNSA_6TensorESF_SF_EERKSF_lbbbEUlllE_EE10hipError_tT0_T1_T2_jT3_P12ihipStream_tbPNSt15iterator_traitsISL_E10value_typeEPNSR_ISM_E10value_typeEPSN_NS1_7vsmem_tEENKUlT_SL_SM_SN_E_clIS8_S8_S9_S9_EESK_S10_SL_SM_SN_EUlS10_E_NS1_11comp_targetILNS1_3genE0ELNS1_11target_archE4294967295ELNS1_3gpuE0ELNS1_3repE0EEENS1_48merge_mergepath_partition_config_static_selectorELNS0_4arch9wavefront6targetE1EEEvSM_,comdat
	.globl	_ZN7rocprim17ROCPRIM_400000_NS6detail17trampoline_kernelINS0_14default_configENS1_38merge_sort_block_merge_config_selectorIlNS0_10empty_typeEEEZZNS1_27merge_sort_block_merge_implIS3_PlPS5_mZN2at6native12_GLOBAL__N_124unique_dim_cuda_templateIfEESt5tupleIJNSA_6TensorESF_SF_EERKSF_lbbbEUlllE_EE10hipError_tT0_T1_T2_jT3_P12ihipStream_tbPNSt15iterator_traitsISL_E10value_typeEPNSR_ISM_E10value_typeEPSN_NS1_7vsmem_tEENKUlT_SL_SM_SN_E_clIS8_S8_S9_S9_EESK_S10_SL_SM_SN_EUlS10_E_NS1_11comp_targetILNS1_3genE0ELNS1_11target_archE4294967295ELNS1_3gpuE0ELNS1_3repE0EEENS1_48merge_mergepath_partition_config_static_selectorELNS0_4arch9wavefront6targetE1EEEvSM_ ; -- Begin function _ZN7rocprim17ROCPRIM_400000_NS6detail17trampoline_kernelINS0_14default_configENS1_38merge_sort_block_merge_config_selectorIlNS0_10empty_typeEEEZZNS1_27merge_sort_block_merge_implIS3_PlPS5_mZN2at6native12_GLOBAL__N_124unique_dim_cuda_templateIfEESt5tupleIJNSA_6TensorESF_SF_EERKSF_lbbbEUlllE_EE10hipError_tT0_T1_T2_jT3_P12ihipStream_tbPNSt15iterator_traitsISL_E10value_typeEPNSR_ISM_E10value_typeEPSN_NS1_7vsmem_tEENKUlT_SL_SM_SN_E_clIS8_S8_S9_S9_EESK_S10_SL_SM_SN_EUlS10_E_NS1_11comp_targetILNS1_3genE0ELNS1_11target_archE4294967295ELNS1_3gpuE0ELNS1_3repE0EEENS1_48merge_mergepath_partition_config_static_selectorELNS0_4arch9wavefront6targetE1EEEvSM_
	.p2align	8
	.type	_ZN7rocprim17ROCPRIM_400000_NS6detail17trampoline_kernelINS0_14default_configENS1_38merge_sort_block_merge_config_selectorIlNS0_10empty_typeEEEZZNS1_27merge_sort_block_merge_implIS3_PlPS5_mZN2at6native12_GLOBAL__N_124unique_dim_cuda_templateIfEESt5tupleIJNSA_6TensorESF_SF_EERKSF_lbbbEUlllE_EE10hipError_tT0_T1_T2_jT3_P12ihipStream_tbPNSt15iterator_traitsISL_E10value_typeEPNSR_ISM_E10value_typeEPSN_NS1_7vsmem_tEENKUlT_SL_SM_SN_E_clIS8_S8_S9_S9_EESK_S10_SL_SM_SN_EUlS10_E_NS1_11comp_targetILNS1_3genE0ELNS1_11target_archE4294967295ELNS1_3gpuE0ELNS1_3repE0EEENS1_48merge_mergepath_partition_config_static_selectorELNS0_4arch9wavefront6targetE1EEEvSM_,@function
_ZN7rocprim17ROCPRIM_400000_NS6detail17trampoline_kernelINS0_14default_configENS1_38merge_sort_block_merge_config_selectorIlNS0_10empty_typeEEEZZNS1_27merge_sort_block_merge_implIS3_PlPS5_mZN2at6native12_GLOBAL__N_124unique_dim_cuda_templateIfEESt5tupleIJNSA_6TensorESF_SF_EERKSF_lbbbEUlllE_EE10hipError_tT0_T1_T2_jT3_P12ihipStream_tbPNSt15iterator_traitsISL_E10value_typeEPNSR_ISM_E10value_typeEPSN_NS1_7vsmem_tEENKUlT_SL_SM_SN_E_clIS8_S8_S9_S9_EESK_S10_SL_SM_SN_EUlS10_E_NS1_11comp_targetILNS1_3genE0ELNS1_11target_archE4294967295ELNS1_3gpuE0ELNS1_3repE0EEENS1_48merge_mergepath_partition_config_static_selectorELNS0_4arch9wavefront6targetE1EEEvSM_: ; @_ZN7rocprim17ROCPRIM_400000_NS6detail17trampoline_kernelINS0_14default_configENS1_38merge_sort_block_merge_config_selectorIlNS0_10empty_typeEEEZZNS1_27merge_sort_block_merge_implIS3_PlPS5_mZN2at6native12_GLOBAL__N_124unique_dim_cuda_templateIfEESt5tupleIJNSA_6TensorESF_SF_EERKSF_lbbbEUlllE_EE10hipError_tT0_T1_T2_jT3_P12ihipStream_tbPNSt15iterator_traitsISL_E10value_typeEPNSR_ISM_E10value_typeEPSN_NS1_7vsmem_tEENKUlT_SL_SM_SN_E_clIS8_S8_S9_S9_EESK_S10_SL_SM_SN_EUlS10_E_NS1_11comp_targetILNS1_3genE0ELNS1_11target_archE4294967295ELNS1_3gpuE0ELNS1_3repE0EEENS1_48merge_mergepath_partition_config_static_selectorELNS0_4arch9wavefront6targetE1EEEvSM_
; %bb.0:
	.section	.rodata,"a",@progbits
	.p2align	6, 0x0
	.amdhsa_kernel _ZN7rocprim17ROCPRIM_400000_NS6detail17trampoline_kernelINS0_14default_configENS1_38merge_sort_block_merge_config_selectorIlNS0_10empty_typeEEEZZNS1_27merge_sort_block_merge_implIS3_PlPS5_mZN2at6native12_GLOBAL__N_124unique_dim_cuda_templateIfEESt5tupleIJNSA_6TensorESF_SF_EERKSF_lbbbEUlllE_EE10hipError_tT0_T1_T2_jT3_P12ihipStream_tbPNSt15iterator_traitsISL_E10value_typeEPNSR_ISM_E10value_typeEPSN_NS1_7vsmem_tEENKUlT_SL_SM_SN_E_clIS8_S8_S9_S9_EESK_S10_SL_SM_SN_EUlS10_E_NS1_11comp_targetILNS1_3genE0ELNS1_11target_archE4294967295ELNS1_3gpuE0ELNS1_3repE0EEENS1_48merge_mergepath_partition_config_static_selectorELNS0_4arch9wavefront6targetE1EEEvSM_
		.amdhsa_group_segment_fixed_size 0
		.amdhsa_private_segment_fixed_size 0
		.amdhsa_kernarg_size 56
		.amdhsa_user_sgpr_count 2
		.amdhsa_user_sgpr_dispatch_ptr 0
		.amdhsa_user_sgpr_queue_ptr 0
		.amdhsa_user_sgpr_kernarg_segment_ptr 1
		.amdhsa_user_sgpr_dispatch_id 0
		.amdhsa_user_sgpr_kernarg_preload_length 0
		.amdhsa_user_sgpr_kernarg_preload_offset 0
		.amdhsa_user_sgpr_private_segment_size 0
		.amdhsa_uses_dynamic_stack 0
		.amdhsa_enable_private_segment 0
		.amdhsa_system_sgpr_workgroup_id_x 1
		.amdhsa_system_sgpr_workgroup_id_y 0
		.amdhsa_system_sgpr_workgroup_id_z 0
		.amdhsa_system_sgpr_workgroup_info 0
		.amdhsa_system_vgpr_workitem_id 0
		.amdhsa_next_free_vgpr 1
		.amdhsa_next_free_sgpr 0
		.amdhsa_accum_offset 4
		.amdhsa_reserve_vcc 0
		.amdhsa_float_round_mode_32 0
		.amdhsa_float_round_mode_16_64 0
		.amdhsa_float_denorm_mode_32 3
		.amdhsa_float_denorm_mode_16_64 3
		.amdhsa_dx10_clamp 1
		.amdhsa_ieee_mode 1
		.amdhsa_fp16_overflow 0
		.amdhsa_tg_split 0
		.amdhsa_exception_fp_ieee_invalid_op 0
		.amdhsa_exception_fp_denorm_src 0
		.amdhsa_exception_fp_ieee_div_zero 0
		.amdhsa_exception_fp_ieee_overflow 0
		.amdhsa_exception_fp_ieee_underflow 0
		.amdhsa_exception_fp_ieee_inexact 0
		.amdhsa_exception_int_div_zero 0
	.end_amdhsa_kernel
	.section	.text._ZN7rocprim17ROCPRIM_400000_NS6detail17trampoline_kernelINS0_14default_configENS1_38merge_sort_block_merge_config_selectorIlNS0_10empty_typeEEEZZNS1_27merge_sort_block_merge_implIS3_PlPS5_mZN2at6native12_GLOBAL__N_124unique_dim_cuda_templateIfEESt5tupleIJNSA_6TensorESF_SF_EERKSF_lbbbEUlllE_EE10hipError_tT0_T1_T2_jT3_P12ihipStream_tbPNSt15iterator_traitsISL_E10value_typeEPNSR_ISM_E10value_typeEPSN_NS1_7vsmem_tEENKUlT_SL_SM_SN_E_clIS8_S8_S9_S9_EESK_S10_SL_SM_SN_EUlS10_E_NS1_11comp_targetILNS1_3genE0ELNS1_11target_archE4294967295ELNS1_3gpuE0ELNS1_3repE0EEENS1_48merge_mergepath_partition_config_static_selectorELNS0_4arch9wavefront6targetE1EEEvSM_,"axG",@progbits,_ZN7rocprim17ROCPRIM_400000_NS6detail17trampoline_kernelINS0_14default_configENS1_38merge_sort_block_merge_config_selectorIlNS0_10empty_typeEEEZZNS1_27merge_sort_block_merge_implIS3_PlPS5_mZN2at6native12_GLOBAL__N_124unique_dim_cuda_templateIfEESt5tupleIJNSA_6TensorESF_SF_EERKSF_lbbbEUlllE_EE10hipError_tT0_T1_T2_jT3_P12ihipStream_tbPNSt15iterator_traitsISL_E10value_typeEPNSR_ISM_E10value_typeEPSN_NS1_7vsmem_tEENKUlT_SL_SM_SN_E_clIS8_S8_S9_S9_EESK_S10_SL_SM_SN_EUlS10_E_NS1_11comp_targetILNS1_3genE0ELNS1_11target_archE4294967295ELNS1_3gpuE0ELNS1_3repE0EEENS1_48merge_mergepath_partition_config_static_selectorELNS0_4arch9wavefront6targetE1EEEvSM_,comdat
.Lfunc_end887:
	.size	_ZN7rocprim17ROCPRIM_400000_NS6detail17trampoline_kernelINS0_14default_configENS1_38merge_sort_block_merge_config_selectorIlNS0_10empty_typeEEEZZNS1_27merge_sort_block_merge_implIS3_PlPS5_mZN2at6native12_GLOBAL__N_124unique_dim_cuda_templateIfEESt5tupleIJNSA_6TensorESF_SF_EERKSF_lbbbEUlllE_EE10hipError_tT0_T1_T2_jT3_P12ihipStream_tbPNSt15iterator_traitsISL_E10value_typeEPNSR_ISM_E10value_typeEPSN_NS1_7vsmem_tEENKUlT_SL_SM_SN_E_clIS8_S8_S9_S9_EESK_S10_SL_SM_SN_EUlS10_E_NS1_11comp_targetILNS1_3genE0ELNS1_11target_archE4294967295ELNS1_3gpuE0ELNS1_3repE0EEENS1_48merge_mergepath_partition_config_static_selectorELNS0_4arch9wavefront6targetE1EEEvSM_, .Lfunc_end887-_ZN7rocprim17ROCPRIM_400000_NS6detail17trampoline_kernelINS0_14default_configENS1_38merge_sort_block_merge_config_selectorIlNS0_10empty_typeEEEZZNS1_27merge_sort_block_merge_implIS3_PlPS5_mZN2at6native12_GLOBAL__N_124unique_dim_cuda_templateIfEESt5tupleIJNSA_6TensorESF_SF_EERKSF_lbbbEUlllE_EE10hipError_tT0_T1_T2_jT3_P12ihipStream_tbPNSt15iterator_traitsISL_E10value_typeEPNSR_ISM_E10value_typeEPSN_NS1_7vsmem_tEENKUlT_SL_SM_SN_E_clIS8_S8_S9_S9_EESK_S10_SL_SM_SN_EUlS10_E_NS1_11comp_targetILNS1_3genE0ELNS1_11target_archE4294967295ELNS1_3gpuE0ELNS1_3repE0EEENS1_48merge_mergepath_partition_config_static_selectorELNS0_4arch9wavefront6targetE1EEEvSM_
                                        ; -- End function
	.section	.AMDGPU.csdata,"",@progbits
; Kernel info:
; codeLenInByte = 0
; NumSgprs: 6
; NumVgprs: 0
; NumAgprs: 0
; TotalNumVgprs: 0
; ScratchSize: 0
; MemoryBound: 0
; FloatMode: 240
; IeeeMode: 1
; LDSByteSize: 0 bytes/workgroup (compile time only)
; SGPRBlocks: 0
; VGPRBlocks: 0
; NumSGPRsForWavesPerEU: 6
; NumVGPRsForWavesPerEU: 1
; AccumOffset: 4
; Occupancy: 8
; WaveLimiterHint : 0
; COMPUTE_PGM_RSRC2:SCRATCH_EN: 0
; COMPUTE_PGM_RSRC2:USER_SGPR: 2
; COMPUTE_PGM_RSRC2:TRAP_HANDLER: 0
; COMPUTE_PGM_RSRC2:TGID_X_EN: 1
; COMPUTE_PGM_RSRC2:TGID_Y_EN: 0
; COMPUTE_PGM_RSRC2:TGID_Z_EN: 0
; COMPUTE_PGM_RSRC2:TIDIG_COMP_CNT: 0
; COMPUTE_PGM_RSRC3_GFX90A:ACCUM_OFFSET: 0
; COMPUTE_PGM_RSRC3_GFX90A:TG_SPLIT: 0
	.section	.text._ZN7rocprim17ROCPRIM_400000_NS6detail17trampoline_kernelINS0_14default_configENS1_38merge_sort_block_merge_config_selectorIlNS0_10empty_typeEEEZZNS1_27merge_sort_block_merge_implIS3_PlPS5_mZN2at6native12_GLOBAL__N_124unique_dim_cuda_templateIfEESt5tupleIJNSA_6TensorESF_SF_EERKSF_lbbbEUlllE_EE10hipError_tT0_T1_T2_jT3_P12ihipStream_tbPNSt15iterator_traitsISL_E10value_typeEPNSR_ISM_E10value_typeEPSN_NS1_7vsmem_tEENKUlT_SL_SM_SN_E_clIS8_S8_S9_S9_EESK_S10_SL_SM_SN_EUlS10_E_NS1_11comp_targetILNS1_3genE10ELNS1_11target_archE1201ELNS1_3gpuE5ELNS1_3repE0EEENS1_48merge_mergepath_partition_config_static_selectorELNS0_4arch9wavefront6targetE1EEEvSM_,"axG",@progbits,_ZN7rocprim17ROCPRIM_400000_NS6detail17trampoline_kernelINS0_14default_configENS1_38merge_sort_block_merge_config_selectorIlNS0_10empty_typeEEEZZNS1_27merge_sort_block_merge_implIS3_PlPS5_mZN2at6native12_GLOBAL__N_124unique_dim_cuda_templateIfEESt5tupleIJNSA_6TensorESF_SF_EERKSF_lbbbEUlllE_EE10hipError_tT0_T1_T2_jT3_P12ihipStream_tbPNSt15iterator_traitsISL_E10value_typeEPNSR_ISM_E10value_typeEPSN_NS1_7vsmem_tEENKUlT_SL_SM_SN_E_clIS8_S8_S9_S9_EESK_S10_SL_SM_SN_EUlS10_E_NS1_11comp_targetILNS1_3genE10ELNS1_11target_archE1201ELNS1_3gpuE5ELNS1_3repE0EEENS1_48merge_mergepath_partition_config_static_selectorELNS0_4arch9wavefront6targetE1EEEvSM_,comdat
	.globl	_ZN7rocprim17ROCPRIM_400000_NS6detail17trampoline_kernelINS0_14default_configENS1_38merge_sort_block_merge_config_selectorIlNS0_10empty_typeEEEZZNS1_27merge_sort_block_merge_implIS3_PlPS5_mZN2at6native12_GLOBAL__N_124unique_dim_cuda_templateIfEESt5tupleIJNSA_6TensorESF_SF_EERKSF_lbbbEUlllE_EE10hipError_tT0_T1_T2_jT3_P12ihipStream_tbPNSt15iterator_traitsISL_E10value_typeEPNSR_ISM_E10value_typeEPSN_NS1_7vsmem_tEENKUlT_SL_SM_SN_E_clIS8_S8_S9_S9_EESK_S10_SL_SM_SN_EUlS10_E_NS1_11comp_targetILNS1_3genE10ELNS1_11target_archE1201ELNS1_3gpuE5ELNS1_3repE0EEENS1_48merge_mergepath_partition_config_static_selectorELNS0_4arch9wavefront6targetE1EEEvSM_ ; -- Begin function _ZN7rocprim17ROCPRIM_400000_NS6detail17trampoline_kernelINS0_14default_configENS1_38merge_sort_block_merge_config_selectorIlNS0_10empty_typeEEEZZNS1_27merge_sort_block_merge_implIS3_PlPS5_mZN2at6native12_GLOBAL__N_124unique_dim_cuda_templateIfEESt5tupleIJNSA_6TensorESF_SF_EERKSF_lbbbEUlllE_EE10hipError_tT0_T1_T2_jT3_P12ihipStream_tbPNSt15iterator_traitsISL_E10value_typeEPNSR_ISM_E10value_typeEPSN_NS1_7vsmem_tEENKUlT_SL_SM_SN_E_clIS8_S8_S9_S9_EESK_S10_SL_SM_SN_EUlS10_E_NS1_11comp_targetILNS1_3genE10ELNS1_11target_archE1201ELNS1_3gpuE5ELNS1_3repE0EEENS1_48merge_mergepath_partition_config_static_selectorELNS0_4arch9wavefront6targetE1EEEvSM_
	.p2align	8
	.type	_ZN7rocprim17ROCPRIM_400000_NS6detail17trampoline_kernelINS0_14default_configENS1_38merge_sort_block_merge_config_selectorIlNS0_10empty_typeEEEZZNS1_27merge_sort_block_merge_implIS3_PlPS5_mZN2at6native12_GLOBAL__N_124unique_dim_cuda_templateIfEESt5tupleIJNSA_6TensorESF_SF_EERKSF_lbbbEUlllE_EE10hipError_tT0_T1_T2_jT3_P12ihipStream_tbPNSt15iterator_traitsISL_E10value_typeEPNSR_ISM_E10value_typeEPSN_NS1_7vsmem_tEENKUlT_SL_SM_SN_E_clIS8_S8_S9_S9_EESK_S10_SL_SM_SN_EUlS10_E_NS1_11comp_targetILNS1_3genE10ELNS1_11target_archE1201ELNS1_3gpuE5ELNS1_3repE0EEENS1_48merge_mergepath_partition_config_static_selectorELNS0_4arch9wavefront6targetE1EEEvSM_,@function
_ZN7rocprim17ROCPRIM_400000_NS6detail17trampoline_kernelINS0_14default_configENS1_38merge_sort_block_merge_config_selectorIlNS0_10empty_typeEEEZZNS1_27merge_sort_block_merge_implIS3_PlPS5_mZN2at6native12_GLOBAL__N_124unique_dim_cuda_templateIfEESt5tupleIJNSA_6TensorESF_SF_EERKSF_lbbbEUlllE_EE10hipError_tT0_T1_T2_jT3_P12ihipStream_tbPNSt15iterator_traitsISL_E10value_typeEPNSR_ISM_E10value_typeEPSN_NS1_7vsmem_tEENKUlT_SL_SM_SN_E_clIS8_S8_S9_S9_EESK_S10_SL_SM_SN_EUlS10_E_NS1_11comp_targetILNS1_3genE10ELNS1_11target_archE1201ELNS1_3gpuE5ELNS1_3repE0EEENS1_48merge_mergepath_partition_config_static_selectorELNS0_4arch9wavefront6targetE1EEEvSM_: ; @_ZN7rocprim17ROCPRIM_400000_NS6detail17trampoline_kernelINS0_14default_configENS1_38merge_sort_block_merge_config_selectorIlNS0_10empty_typeEEEZZNS1_27merge_sort_block_merge_implIS3_PlPS5_mZN2at6native12_GLOBAL__N_124unique_dim_cuda_templateIfEESt5tupleIJNSA_6TensorESF_SF_EERKSF_lbbbEUlllE_EE10hipError_tT0_T1_T2_jT3_P12ihipStream_tbPNSt15iterator_traitsISL_E10value_typeEPNSR_ISM_E10value_typeEPSN_NS1_7vsmem_tEENKUlT_SL_SM_SN_E_clIS8_S8_S9_S9_EESK_S10_SL_SM_SN_EUlS10_E_NS1_11comp_targetILNS1_3genE10ELNS1_11target_archE1201ELNS1_3gpuE5ELNS1_3repE0EEENS1_48merge_mergepath_partition_config_static_selectorELNS0_4arch9wavefront6targetE1EEEvSM_
; %bb.0:
	.section	.rodata,"a",@progbits
	.p2align	6, 0x0
	.amdhsa_kernel _ZN7rocprim17ROCPRIM_400000_NS6detail17trampoline_kernelINS0_14default_configENS1_38merge_sort_block_merge_config_selectorIlNS0_10empty_typeEEEZZNS1_27merge_sort_block_merge_implIS3_PlPS5_mZN2at6native12_GLOBAL__N_124unique_dim_cuda_templateIfEESt5tupleIJNSA_6TensorESF_SF_EERKSF_lbbbEUlllE_EE10hipError_tT0_T1_T2_jT3_P12ihipStream_tbPNSt15iterator_traitsISL_E10value_typeEPNSR_ISM_E10value_typeEPSN_NS1_7vsmem_tEENKUlT_SL_SM_SN_E_clIS8_S8_S9_S9_EESK_S10_SL_SM_SN_EUlS10_E_NS1_11comp_targetILNS1_3genE10ELNS1_11target_archE1201ELNS1_3gpuE5ELNS1_3repE0EEENS1_48merge_mergepath_partition_config_static_selectorELNS0_4arch9wavefront6targetE1EEEvSM_
		.amdhsa_group_segment_fixed_size 0
		.amdhsa_private_segment_fixed_size 0
		.amdhsa_kernarg_size 56
		.amdhsa_user_sgpr_count 2
		.amdhsa_user_sgpr_dispatch_ptr 0
		.amdhsa_user_sgpr_queue_ptr 0
		.amdhsa_user_sgpr_kernarg_segment_ptr 1
		.amdhsa_user_sgpr_dispatch_id 0
		.amdhsa_user_sgpr_kernarg_preload_length 0
		.amdhsa_user_sgpr_kernarg_preload_offset 0
		.amdhsa_user_sgpr_private_segment_size 0
		.amdhsa_uses_dynamic_stack 0
		.amdhsa_enable_private_segment 0
		.amdhsa_system_sgpr_workgroup_id_x 1
		.amdhsa_system_sgpr_workgroup_id_y 0
		.amdhsa_system_sgpr_workgroup_id_z 0
		.amdhsa_system_sgpr_workgroup_info 0
		.amdhsa_system_vgpr_workitem_id 0
		.amdhsa_next_free_vgpr 1
		.amdhsa_next_free_sgpr 0
		.amdhsa_accum_offset 4
		.amdhsa_reserve_vcc 0
		.amdhsa_float_round_mode_32 0
		.amdhsa_float_round_mode_16_64 0
		.amdhsa_float_denorm_mode_32 3
		.amdhsa_float_denorm_mode_16_64 3
		.amdhsa_dx10_clamp 1
		.amdhsa_ieee_mode 1
		.amdhsa_fp16_overflow 0
		.amdhsa_tg_split 0
		.amdhsa_exception_fp_ieee_invalid_op 0
		.amdhsa_exception_fp_denorm_src 0
		.amdhsa_exception_fp_ieee_div_zero 0
		.amdhsa_exception_fp_ieee_overflow 0
		.amdhsa_exception_fp_ieee_underflow 0
		.amdhsa_exception_fp_ieee_inexact 0
		.amdhsa_exception_int_div_zero 0
	.end_amdhsa_kernel
	.section	.text._ZN7rocprim17ROCPRIM_400000_NS6detail17trampoline_kernelINS0_14default_configENS1_38merge_sort_block_merge_config_selectorIlNS0_10empty_typeEEEZZNS1_27merge_sort_block_merge_implIS3_PlPS5_mZN2at6native12_GLOBAL__N_124unique_dim_cuda_templateIfEESt5tupleIJNSA_6TensorESF_SF_EERKSF_lbbbEUlllE_EE10hipError_tT0_T1_T2_jT3_P12ihipStream_tbPNSt15iterator_traitsISL_E10value_typeEPNSR_ISM_E10value_typeEPSN_NS1_7vsmem_tEENKUlT_SL_SM_SN_E_clIS8_S8_S9_S9_EESK_S10_SL_SM_SN_EUlS10_E_NS1_11comp_targetILNS1_3genE10ELNS1_11target_archE1201ELNS1_3gpuE5ELNS1_3repE0EEENS1_48merge_mergepath_partition_config_static_selectorELNS0_4arch9wavefront6targetE1EEEvSM_,"axG",@progbits,_ZN7rocprim17ROCPRIM_400000_NS6detail17trampoline_kernelINS0_14default_configENS1_38merge_sort_block_merge_config_selectorIlNS0_10empty_typeEEEZZNS1_27merge_sort_block_merge_implIS3_PlPS5_mZN2at6native12_GLOBAL__N_124unique_dim_cuda_templateIfEESt5tupleIJNSA_6TensorESF_SF_EERKSF_lbbbEUlllE_EE10hipError_tT0_T1_T2_jT3_P12ihipStream_tbPNSt15iterator_traitsISL_E10value_typeEPNSR_ISM_E10value_typeEPSN_NS1_7vsmem_tEENKUlT_SL_SM_SN_E_clIS8_S8_S9_S9_EESK_S10_SL_SM_SN_EUlS10_E_NS1_11comp_targetILNS1_3genE10ELNS1_11target_archE1201ELNS1_3gpuE5ELNS1_3repE0EEENS1_48merge_mergepath_partition_config_static_selectorELNS0_4arch9wavefront6targetE1EEEvSM_,comdat
.Lfunc_end888:
	.size	_ZN7rocprim17ROCPRIM_400000_NS6detail17trampoline_kernelINS0_14default_configENS1_38merge_sort_block_merge_config_selectorIlNS0_10empty_typeEEEZZNS1_27merge_sort_block_merge_implIS3_PlPS5_mZN2at6native12_GLOBAL__N_124unique_dim_cuda_templateIfEESt5tupleIJNSA_6TensorESF_SF_EERKSF_lbbbEUlllE_EE10hipError_tT0_T1_T2_jT3_P12ihipStream_tbPNSt15iterator_traitsISL_E10value_typeEPNSR_ISM_E10value_typeEPSN_NS1_7vsmem_tEENKUlT_SL_SM_SN_E_clIS8_S8_S9_S9_EESK_S10_SL_SM_SN_EUlS10_E_NS1_11comp_targetILNS1_3genE10ELNS1_11target_archE1201ELNS1_3gpuE5ELNS1_3repE0EEENS1_48merge_mergepath_partition_config_static_selectorELNS0_4arch9wavefront6targetE1EEEvSM_, .Lfunc_end888-_ZN7rocprim17ROCPRIM_400000_NS6detail17trampoline_kernelINS0_14default_configENS1_38merge_sort_block_merge_config_selectorIlNS0_10empty_typeEEEZZNS1_27merge_sort_block_merge_implIS3_PlPS5_mZN2at6native12_GLOBAL__N_124unique_dim_cuda_templateIfEESt5tupleIJNSA_6TensorESF_SF_EERKSF_lbbbEUlllE_EE10hipError_tT0_T1_T2_jT3_P12ihipStream_tbPNSt15iterator_traitsISL_E10value_typeEPNSR_ISM_E10value_typeEPSN_NS1_7vsmem_tEENKUlT_SL_SM_SN_E_clIS8_S8_S9_S9_EESK_S10_SL_SM_SN_EUlS10_E_NS1_11comp_targetILNS1_3genE10ELNS1_11target_archE1201ELNS1_3gpuE5ELNS1_3repE0EEENS1_48merge_mergepath_partition_config_static_selectorELNS0_4arch9wavefront6targetE1EEEvSM_
                                        ; -- End function
	.section	.AMDGPU.csdata,"",@progbits
; Kernel info:
; codeLenInByte = 0
; NumSgprs: 6
; NumVgprs: 0
; NumAgprs: 0
; TotalNumVgprs: 0
; ScratchSize: 0
; MemoryBound: 0
; FloatMode: 240
; IeeeMode: 1
; LDSByteSize: 0 bytes/workgroup (compile time only)
; SGPRBlocks: 0
; VGPRBlocks: 0
; NumSGPRsForWavesPerEU: 6
; NumVGPRsForWavesPerEU: 1
; AccumOffset: 4
; Occupancy: 8
; WaveLimiterHint : 0
; COMPUTE_PGM_RSRC2:SCRATCH_EN: 0
; COMPUTE_PGM_RSRC2:USER_SGPR: 2
; COMPUTE_PGM_RSRC2:TRAP_HANDLER: 0
; COMPUTE_PGM_RSRC2:TGID_X_EN: 1
; COMPUTE_PGM_RSRC2:TGID_Y_EN: 0
; COMPUTE_PGM_RSRC2:TGID_Z_EN: 0
; COMPUTE_PGM_RSRC2:TIDIG_COMP_CNT: 0
; COMPUTE_PGM_RSRC3_GFX90A:ACCUM_OFFSET: 0
; COMPUTE_PGM_RSRC3_GFX90A:TG_SPLIT: 0
	.section	.text._ZN7rocprim17ROCPRIM_400000_NS6detail17trampoline_kernelINS0_14default_configENS1_38merge_sort_block_merge_config_selectorIlNS0_10empty_typeEEEZZNS1_27merge_sort_block_merge_implIS3_PlPS5_mZN2at6native12_GLOBAL__N_124unique_dim_cuda_templateIfEESt5tupleIJNSA_6TensorESF_SF_EERKSF_lbbbEUlllE_EE10hipError_tT0_T1_T2_jT3_P12ihipStream_tbPNSt15iterator_traitsISL_E10value_typeEPNSR_ISM_E10value_typeEPSN_NS1_7vsmem_tEENKUlT_SL_SM_SN_E_clIS8_S8_S9_S9_EESK_S10_SL_SM_SN_EUlS10_E_NS1_11comp_targetILNS1_3genE5ELNS1_11target_archE942ELNS1_3gpuE9ELNS1_3repE0EEENS1_48merge_mergepath_partition_config_static_selectorELNS0_4arch9wavefront6targetE1EEEvSM_,"axG",@progbits,_ZN7rocprim17ROCPRIM_400000_NS6detail17trampoline_kernelINS0_14default_configENS1_38merge_sort_block_merge_config_selectorIlNS0_10empty_typeEEEZZNS1_27merge_sort_block_merge_implIS3_PlPS5_mZN2at6native12_GLOBAL__N_124unique_dim_cuda_templateIfEESt5tupleIJNSA_6TensorESF_SF_EERKSF_lbbbEUlllE_EE10hipError_tT0_T1_T2_jT3_P12ihipStream_tbPNSt15iterator_traitsISL_E10value_typeEPNSR_ISM_E10value_typeEPSN_NS1_7vsmem_tEENKUlT_SL_SM_SN_E_clIS8_S8_S9_S9_EESK_S10_SL_SM_SN_EUlS10_E_NS1_11comp_targetILNS1_3genE5ELNS1_11target_archE942ELNS1_3gpuE9ELNS1_3repE0EEENS1_48merge_mergepath_partition_config_static_selectorELNS0_4arch9wavefront6targetE1EEEvSM_,comdat
	.globl	_ZN7rocprim17ROCPRIM_400000_NS6detail17trampoline_kernelINS0_14default_configENS1_38merge_sort_block_merge_config_selectorIlNS0_10empty_typeEEEZZNS1_27merge_sort_block_merge_implIS3_PlPS5_mZN2at6native12_GLOBAL__N_124unique_dim_cuda_templateIfEESt5tupleIJNSA_6TensorESF_SF_EERKSF_lbbbEUlllE_EE10hipError_tT0_T1_T2_jT3_P12ihipStream_tbPNSt15iterator_traitsISL_E10value_typeEPNSR_ISM_E10value_typeEPSN_NS1_7vsmem_tEENKUlT_SL_SM_SN_E_clIS8_S8_S9_S9_EESK_S10_SL_SM_SN_EUlS10_E_NS1_11comp_targetILNS1_3genE5ELNS1_11target_archE942ELNS1_3gpuE9ELNS1_3repE0EEENS1_48merge_mergepath_partition_config_static_selectorELNS0_4arch9wavefront6targetE1EEEvSM_ ; -- Begin function _ZN7rocprim17ROCPRIM_400000_NS6detail17trampoline_kernelINS0_14default_configENS1_38merge_sort_block_merge_config_selectorIlNS0_10empty_typeEEEZZNS1_27merge_sort_block_merge_implIS3_PlPS5_mZN2at6native12_GLOBAL__N_124unique_dim_cuda_templateIfEESt5tupleIJNSA_6TensorESF_SF_EERKSF_lbbbEUlllE_EE10hipError_tT0_T1_T2_jT3_P12ihipStream_tbPNSt15iterator_traitsISL_E10value_typeEPNSR_ISM_E10value_typeEPSN_NS1_7vsmem_tEENKUlT_SL_SM_SN_E_clIS8_S8_S9_S9_EESK_S10_SL_SM_SN_EUlS10_E_NS1_11comp_targetILNS1_3genE5ELNS1_11target_archE942ELNS1_3gpuE9ELNS1_3repE0EEENS1_48merge_mergepath_partition_config_static_selectorELNS0_4arch9wavefront6targetE1EEEvSM_
	.p2align	8
	.type	_ZN7rocprim17ROCPRIM_400000_NS6detail17trampoline_kernelINS0_14default_configENS1_38merge_sort_block_merge_config_selectorIlNS0_10empty_typeEEEZZNS1_27merge_sort_block_merge_implIS3_PlPS5_mZN2at6native12_GLOBAL__N_124unique_dim_cuda_templateIfEESt5tupleIJNSA_6TensorESF_SF_EERKSF_lbbbEUlllE_EE10hipError_tT0_T1_T2_jT3_P12ihipStream_tbPNSt15iterator_traitsISL_E10value_typeEPNSR_ISM_E10value_typeEPSN_NS1_7vsmem_tEENKUlT_SL_SM_SN_E_clIS8_S8_S9_S9_EESK_S10_SL_SM_SN_EUlS10_E_NS1_11comp_targetILNS1_3genE5ELNS1_11target_archE942ELNS1_3gpuE9ELNS1_3repE0EEENS1_48merge_mergepath_partition_config_static_selectorELNS0_4arch9wavefront6targetE1EEEvSM_,@function
_ZN7rocprim17ROCPRIM_400000_NS6detail17trampoline_kernelINS0_14default_configENS1_38merge_sort_block_merge_config_selectorIlNS0_10empty_typeEEEZZNS1_27merge_sort_block_merge_implIS3_PlPS5_mZN2at6native12_GLOBAL__N_124unique_dim_cuda_templateIfEESt5tupleIJNSA_6TensorESF_SF_EERKSF_lbbbEUlllE_EE10hipError_tT0_T1_T2_jT3_P12ihipStream_tbPNSt15iterator_traitsISL_E10value_typeEPNSR_ISM_E10value_typeEPSN_NS1_7vsmem_tEENKUlT_SL_SM_SN_E_clIS8_S8_S9_S9_EESK_S10_SL_SM_SN_EUlS10_E_NS1_11comp_targetILNS1_3genE5ELNS1_11target_archE942ELNS1_3gpuE9ELNS1_3repE0EEENS1_48merge_mergepath_partition_config_static_selectorELNS0_4arch9wavefront6targetE1EEEvSM_: ; @_ZN7rocprim17ROCPRIM_400000_NS6detail17trampoline_kernelINS0_14default_configENS1_38merge_sort_block_merge_config_selectorIlNS0_10empty_typeEEEZZNS1_27merge_sort_block_merge_implIS3_PlPS5_mZN2at6native12_GLOBAL__N_124unique_dim_cuda_templateIfEESt5tupleIJNSA_6TensorESF_SF_EERKSF_lbbbEUlllE_EE10hipError_tT0_T1_T2_jT3_P12ihipStream_tbPNSt15iterator_traitsISL_E10value_typeEPNSR_ISM_E10value_typeEPSN_NS1_7vsmem_tEENKUlT_SL_SM_SN_E_clIS8_S8_S9_S9_EESK_S10_SL_SM_SN_EUlS10_E_NS1_11comp_targetILNS1_3genE5ELNS1_11target_archE942ELNS1_3gpuE9ELNS1_3repE0EEENS1_48merge_mergepath_partition_config_static_selectorELNS0_4arch9wavefront6targetE1EEEvSM_
; %bb.0:
	s_load_dword s3, s[0:1], 0x0
	v_lshl_or_b32 v0, s2, 7, v0
	s_waitcnt lgkmcnt(0)
	v_cmp_gt_u32_e32 vcc, s3, v0
	s_and_saveexec_b64 s[2:3], vcc
	s_cbranch_execz .LBB889_12
; %bb.1:
	s_load_dwordx4 s[12:15], s[0:1], 0x8
	s_load_dwordx8 s[4:11], s[0:1], 0x18
	v_mov_b32_e32 v5, 0
	v_mov_b32_e32 v7, v5
	s_waitcnt lgkmcnt(0)
	v_mov_b32_e32 v1, s12
	v_alignbit_b32 v1, s13, v1, 9
	v_and_b32_e32 v1, -2, v1
	v_add_u32_e32 v2, -1, v1
	v_sub_u32_e32 v1, 0, v1
	v_and_b32_e32 v4, v0, v1
	v_lshlrev_b64 v[8:9], 10, v[4:5]
	v_mov_b32_e32 v1, s15
	v_cmp_lt_u64_e32 vcc, s[14:15], v[8:9]
	v_mov_b32_e32 v4, s14
	v_and_b32_e32 v6, v2, v0
	v_cndmask_b32_e32 v3, v9, v1, vcc
	v_cndmask_b32_e32 v2, v8, v4, vcc
	v_lshl_add_u64 v[8:9], v[8:9], 0, s[12:13]
	v_cmp_lt_u64_e32 vcc, s[14:15], v[8:9]
	s_nop 1
	v_cndmask_b32_e32 v11, v9, v1, vcc
	v_cndmask_b32_e32 v10, v8, v4, vcc
	v_lshl_add_u64 v[8:9], v[10:11], 0, s[12:13]
	v_cmp_lt_u64_e32 vcc, s[14:15], v[8:9]
	s_nop 1
	v_cndmask_b32_e32 v14, v8, v4, vcc
	v_cndmask_b32_e32 v1, v9, v1, vcc
	v_sub_co_u32_e32 v8, vcc, v14, v2
	v_lshlrev_b64 v[4:5], 10, v[6:7]
	s_nop 0
	v_subb_co_u32_e32 v9, vcc, v1, v3, vcc
	v_cmp_lt_u64_e32 vcc, v[8:9], v[4:5]
	s_nop 1
	v_cndmask_b32_e32 v13, v5, v9, vcc
	v_cndmask_b32_e32 v12, v4, v8, vcc
	v_sub_co_u32_e32 v6, vcc, v10, v2
	s_nop 1
	v_subb_co_u32_e32 v7, vcc, v11, v3, vcc
	v_sub_co_u32_e32 v4, vcc, v10, v14
	s_nop 1
	v_subb_co_u32_e32 v5, vcc, v11, v1, vcc
	v_lshl_add_u64 v[4:5], v[12:13], 0, v[4:5]
	v_cmp_gt_u64_e32 vcc, v[4:5], v[12:13]
	s_nop 1
	v_cndmask_b32_e64 v5, v5, 0, vcc
	v_cndmask_b32_e64 v4, v4, 0, vcc
	v_cmp_lt_u64_e32 vcc, v[12:13], v[6:7]
	s_nop 1
	v_cndmask_b32_e32 v7, v7, v13, vcc
	v_cndmask_b32_e32 v6, v6, v12, vcc
	v_cmp_lt_u64_e32 vcc, v[4:5], v[6:7]
	s_and_saveexec_b64 s[12:13], vcc
	s_cbranch_execz .LBB889_11
; %bb.2:
	v_cmp_gt_i64_e64 s[0:1], s[6:7], 0
	v_lshl_add_u64 v[10:11], v[10:11], 3, s[4:5]
	v_lshl_add_u64 v[8:9], v[2:3], 3, s[4:5]
	v_cndmask_b32_e64 v1, 0, 1, s[0:1]
	s_mov_b64 s[14:15], 0
	v_lshl_add_u64 v[10:11], v[12:13], 3, v[10:11]
	s_lshl_b64 s[16:17], s[6:7], 2
	v_cmp_ne_u32_e64 s[0:1], 1, v1
	s_branch .LBB889_5
.LBB889_3:                              ;   in Loop: Header=BB889_5 Depth=1
	s_or_b64 exec, exec, s[20:21]
.LBB889_4:                              ;   in Loop: Header=BB889_5 Depth=1
	v_lshl_add_u64 v[14:15], v[12:13], 0, 1
	v_cndmask_b32_e64 v7, v7, v13, s[18:19]
	v_cndmask_b32_e64 v6, v6, v12, s[18:19]
	;; [unrolled: 1-line block ×4, first 2 shown]
	v_cmp_ge_u64_e32 vcc, v[4:5], v[6:7]
	s_or_b64 s[14:15], vcc, s[14:15]
	s_andn2_b64 exec, exec, s[14:15]
	s_cbranch_execz .LBB889_10
.LBB889_5:                              ; =>This Loop Header: Depth=1
                                        ;     Child Loop BB889_8 Depth 2
	v_lshl_add_u64 v[12:13], v[6:7], 0, v[4:5]
	v_lshrrev_b64 v[12:13], 1, v[12:13]
	s_and_b64 vcc, exec, s[0:1]
	s_mov_b64 s[18:19], 0
	s_cbranch_vccnz .LBB889_4
; %bb.6:                                ;   in Loop: Header=BB889_5 Depth=1
	v_not_b32_e32 v15, v13
	v_not_b32_e32 v14, v12
	v_lshl_add_u64 v[14:15], v[14:15], 3, v[10:11]
	v_lshl_add_u64 v[16:17], v[12:13], 3, v[8:9]
	global_load_dwordx2 v[14:15], v[14:15], off
	v_mov_b64_e32 v[18:19], s[8:9]
	global_load_dwordx2 v[16:17], v[16:17], off
	s_mov_b64 s[20:21], 0
	s_mov_b64 s[26:27], s[6:7]
                                        ; implicit-def: $sgpr18_sgpr19
                                        ; implicit-def: $sgpr22_sgpr23
                                        ; implicit-def: $sgpr24_sgpr25
                                        ; implicit-def: $sgpr2_sgpr3
                                        ; implicit-def: $sgpr28_sgpr29
	s_waitcnt vmcnt(1)
	v_mul_lo_u32 v1, s16, v15
	v_mul_lo_u32 v20, s17, v14
	v_mad_u64_u32 v[14:15], s[4:5], s16, v14, v[18:19]
	s_waitcnt vmcnt(0)
	v_mul_lo_u32 v21, s16, v17
	v_mul_lo_u32 v22, s17, v16
	v_mad_u64_u32 v[16:17], s[4:5], s16, v16, v[18:19]
	v_add3_u32 v15, v20, v15, v1
	v_add3_u32 v17, v22, v17, v21
	s_branch .LBB889_8
.LBB889_7:                              ;   in Loop: Header=BB889_8 Depth=2
	s_or_b64 exec, exec, s[30:31]
	s_and_b64 s[4:5], exec, s[22:23]
	s_or_b64 s[20:21], s[4:5], s[20:21]
	s_andn2_b64 s[4:5], s[28:29], exec
	s_and_b64 s[28:29], s[24:25], exec
	s_or_b64 s[28:29], s[4:5], s[28:29]
	s_andn2_b64 s[4:5], s[18:19], exec
	s_and_b64 s[18:19], s[2:3], exec
	s_or_b64 s[18:19], s[4:5], s[18:19]
	s_andn2_b64 exec, exec, s[20:21]
	s_cbranch_execz .LBB889_3
.LBB889_8:                              ;   Parent Loop BB889_5 Depth=1
                                        ; =>  This Inner Loop Header: Depth=2
	global_load_dword v1, v[14:15], off
	global_load_dword v18, v[16:17], off
	s_andn2_b64 s[30:31], s[2:3], exec
	s_andn2_b64 s[24:25], s[24:25], exec
	s_or_b64 s[22:23], s[22:23], exec
	s_waitcnt vmcnt(0)
	v_cmp_ngt_f32_e64 s[2:3], v1, v18
	v_cmp_lt_f32_e32 vcc, v1, v18
	s_and_b64 s[2:3], s[2:3], s[28:29]
	s_or_b64 s[34:35], vcc, s[2:3]
	s_and_b64 s[2:3], s[34:35], exec
	v_cmp_nlg_f32_e64 s[4:5], v1, v18
	s_or_b64 s[2:3], s[30:31], s[2:3]
	s_and_saveexec_b64 s[30:31], s[4:5]
	s_cbranch_execz .LBB889_7
; %bb.9:                                ;   in Loop: Header=BB889_8 Depth=2
	s_add_u32 s26, s26, -1
	s_addc_u32 s27, s27, -1
	s_cmp_eq_u64 s[26:27], 0
	s_cselect_b64 s[4:5], -1, 0
	s_andn2_b64 s[24:25], s[24:25], exec
	s_and_b64 s[28:29], s[34:35], exec
	s_andn2_b64 s[22:23], s[22:23], exec
	s_and_b64 s[4:5], s[4:5], exec
	v_lshl_add_u64 v[14:15], v[14:15], 0, 4
	v_lshl_add_u64 v[16:17], v[16:17], 0, 4
	s_andn2_b64 s[2:3], s[2:3], exec
	s_or_b64 s[24:25], s[24:25], s[28:29]
	s_or_b64 s[22:23], s[22:23], s[4:5]
                                        ; implicit-def: $sgpr28_sgpr29
	s_branch .LBB889_7
.LBB889_10:
	s_or_b64 exec, exec, s[14:15]
.LBB889_11:
	s_or_b64 exec, exec, s[12:13]
	v_mov_b32_e32 v6, s10
	v_mov_b32_e32 v7, s11
	;; [unrolled: 1-line block ×3, first 2 shown]
	v_lshl_add_u64 v[2:3], v[4:5], 0, v[2:3]
	v_lshl_add_u64 v[0:1], v[0:1], 3, v[6:7]
	global_store_dwordx2 v[0:1], v[2:3], off
.LBB889_12:
	s_endpgm
	.section	.rodata,"a",@progbits
	.p2align	6, 0x0
	.amdhsa_kernel _ZN7rocprim17ROCPRIM_400000_NS6detail17trampoline_kernelINS0_14default_configENS1_38merge_sort_block_merge_config_selectorIlNS0_10empty_typeEEEZZNS1_27merge_sort_block_merge_implIS3_PlPS5_mZN2at6native12_GLOBAL__N_124unique_dim_cuda_templateIfEESt5tupleIJNSA_6TensorESF_SF_EERKSF_lbbbEUlllE_EE10hipError_tT0_T1_T2_jT3_P12ihipStream_tbPNSt15iterator_traitsISL_E10value_typeEPNSR_ISM_E10value_typeEPSN_NS1_7vsmem_tEENKUlT_SL_SM_SN_E_clIS8_S8_S9_S9_EESK_S10_SL_SM_SN_EUlS10_E_NS1_11comp_targetILNS1_3genE5ELNS1_11target_archE942ELNS1_3gpuE9ELNS1_3repE0EEENS1_48merge_mergepath_partition_config_static_selectorELNS0_4arch9wavefront6targetE1EEEvSM_
		.amdhsa_group_segment_fixed_size 0
		.amdhsa_private_segment_fixed_size 0
		.amdhsa_kernarg_size 56
		.amdhsa_user_sgpr_count 2
		.amdhsa_user_sgpr_dispatch_ptr 0
		.amdhsa_user_sgpr_queue_ptr 0
		.amdhsa_user_sgpr_kernarg_segment_ptr 1
		.amdhsa_user_sgpr_dispatch_id 0
		.amdhsa_user_sgpr_kernarg_preload_length 0
		.amdhsa_user_sgpr_kernarg_preload_offset 0
		.amdhsa_user_sgpr_private_segment_size 0
		.amdhsa_uses_dynamic_stack 0
		.amdhsa_enable_private_segment 0
		.amdhsa_system_sgpr_workgroup_id_x 1
		.amdhsa_system_sgpr_workgroup_id_y 0
		.amdhsa_system_sgpr_workgroup_id_z 0
		.amdhsa_system_sgpr_workgroup_info 0
		.amdhsa_system_vgpr_workitem_id 0
		.amdhsa_next_free_vgpr 23
		.amdhsa_next_free_sgpr 36
		.amdhsa_accum_offset 24
		.amdhsa_reserve_vcc 1
		.amdhsa_float_round_mode_32 0
		.amdhsa_float_round_mode_16_64 0
		.amdhsa_float_denorm_mode_32 3
		.amdhsa_float_denorm_mode_16_64 3
		.amdhsa_dx10_clamp 1
		.amdhsa_ieee_mode 1
		.amdhsa_fp16_overflow 0
		.amdhsa_tg_split 0
		.amdhsa_exception_fp_ieee_invalid_op 0
		.amdhsa_exception_fp_denorm_src 0
		.amdhsa_exception_fp_ieee_div_zero 0
		.amdhsa_exception_fp_ieee_overflow 0
		.amdhsa_exception_fp_ieee_underflow 0
		.amdhsa_exception_fp_ieee_inexact 0
		.amdhsa_exception_int_div_zero 0
	.end_amdhsa_kernel
	.section	.text._ZN7rocprim17ROCPRIM_400000_NS6detail17trampoline_kernelINS0_14default_configENS1_38merge_sort_block_merge_config_selectorIlNS0_10empty_typeEEEZZNS1_27merge_sort_block_merge_implIS3_PlPS5_mZN2at6native12_GLOBAL__N_124unique_dim_cuda_templateIfEESt5tupleIJNSA_6TensorESF_SF_EERKSF_lbbbEUlllE_EE10hipError_tT0_T1_T2_jT3_P12ihipStream_tbPNSt15iterator_traitsISL_E10value_typeEPNSR_ISM_E10value_typeEPSN_NS1_7vsmem_tEENKUlT_SL_SM_SN_E_clIS8_S8_S9_S9_EESK_S10_SL_SM_SN_EUlS10_E_NS1_11comp_targetILNS1_3genE5ELNS1_11target_archE942ELNS1_3gpuE9ELNS1_3repE0EEENS1_48merge_mergepath_partition_config_static_selectorELNS0_4arch9wavefront6targetE1EEEvSM_,"axG",@progbits,_ZN7rocprim17ROCPRIM_400000_NS6detail17trampoline_kernelINS0_14default_configENS1_38merge_sort_block_merge_config_selectorIlNS0_10empty_typeEEEZZNS1_27merge_sort_block_merge_implIS3_PlPS5_mZN2at6native12_GLOBAL__N_124unique_dim_cuda_templateIfEESt5tupleIJNSA_6TensorESF_SF_EERKSF_lbbbEUlllE_EE10hipError_tT0_T1_T2_jT3_P12ihipStream_tbPNSt15iterator_traitsISL_E10value_typeEPNSR_ISM_E10value_typeEPSN_NS1_7vsmem_tEENKUlT_SL_SM_SN_E_clIS8_S8_S9_S9_EESK_S10_SL_SM_SN_EUlS10_E_NS1_11comp_targetILNS1_3genE5ELNS1_11target_archE942ELNS1_3gpuE9ELNS1_3repE0EEENS1_48merge_mergepath_partition_config_static_selectorELNS0_4arch9wavefront6targetE1EEEvSM_,comdat
.Lfunc_end889:
	.size	_ZN7rocprim17ROCPRIM_400000_NS6detail17trampoline_kernelINS0_14default_configENS1_38merge_sort_block_merge_config_selectorIlNS0_10empty_typeEEEZZNS1_27merge_sort_block_merge_implIS3_PlPS5_mZN2at6native12_GLOBAL__N_124unique_dim_cuda_templateIfEESt5tupleIJNSA_6TensorESF_SF_EERKSF_lbbbEUlllE_EE10hipError_tT0_T1_T2_jT3_P12ihipStream_tbPNSt15iterator_traitsISL_E10value_typeEPNSR_ISM_E10value_typeEPSN_NS1_7vsmem_tEENKUlT_SL_SM_SN_E_clIS8_S8_S9_S9_EESK_S10_SL_SM_SN_EUlS10_E_NS1_11comp_targetILNS1_3genE5ELNS1_11target_archE942ELNS1_3gpuE9ELNS1_3repE0EEENS1_48merge_mergepath_partition_config_static_selectorELNS0_4arch9wavefront6targetE1EEEvSM_, .Lfunc_end889-_ZN7rocprim17ROCPRIM_400000_NS6detail17trampoline_kernelINS0_14default_configENS1_38merge_sort_block_merge_config_selectorIlNS0_10empty_typeEEEZZNS1_27merge_sort_block_merge_implIS3_PlPS5_mZN2at6native12_GLOBAL__N_124unique_dim_cuda_templateIfEESt5tupleIJNSA_6TensorESF_SF_EERKSF_lbbbEUlllE_EE10hipError_tT0_T1_T2_jT3_P12ihipStream_tbPNSt15iterator_traitsISL_E10value_typeEPNSR_ISM_E10value_typeEPSN_NS1_7vsmem_tEENKUlT_SL_SM_SN_E_clIS8_S8_S9_S9_EESK_S10_SL_SM_SN_EUlS10_E_NS1_11comp_targetILNS1_3genE5ELNS1_11target_archE942ELNS1_3gpuE9ELNS1_3repE0EEENS1_48merge_mergepath_partition_config_static_selectorELNS0_4arch9wavefront6targetE1EEEvSM_
                                        ; -- End function
	.section	.AMDGPU.csdata,"",@progbits
; Kernel info:
; codeLenInByte = 796
; NumSgprs: 42
; NumVgprs: 23
; NumAgprs: 0
; TotalNumVgprs: 23
; ScratchSize: 0
; MemoryBound: 0
; FloatMode: 240
; IeeeMode: 1
; LDSByteSize: 0 bytes/workgroup (compile time only)
; SGPRBlocks: 5
; VGPRBlocks: 2
; NumSGPRsForWavesPerEU: 42
; NumVGPRsForWavesPerEU: 23
; AccumOffset: 24
; Occupancy: 8
; WaveLimiterHint : 0
; COMPUTE_PGM_RSRC2:SCRATCH_EN: 0
; COMPUTE_PGM_RSRC2:USER_SGPR: 2
; COMPUTE_PGM_RSRC2:TRAP_HANDLER: 0
; COMPUTE_PGM_RSRC2:TGID_X_EN: 1
; COMPUTE_PGM_RSRC2:TGID_Y_EN: 0
; COMPUTE_PGM_RSRC2:TGID_Z_EN: 0
; COMPUTE_PGM_RSRC2:TIDIG_COMP_CNT: 0
; COMPUTE_PGM_RSRC3_GFX90A:ACCUM_OFFSET: 5
; COMPUTE_PGM_RSRC3_GFX90A:TG_SPLIT: 0
	.section	.text._ZN7rocprim17ROCPRIM_400000_NS6detail17trampoline_kernelINS0_14default_configENS1_38merge_sort_block_merge_config_selectorIlNS0_10empty_typeEEEZZNS1_27merge_sort_block_merge_implIS3_PlPS5_mZN2at6native12_GLOBAL__N_124unique_dim_cuda_templateIfEESt5tupleIJNSA_6TensorESF_SF_EERKSF_lbbbEUlllE_EE10hipError_tT0_T1_T2_jT3_P12ihipStream_tbPNSt15iterator_traitsISL_E10value_typeEPNSR_ISM_E10value_typeEPSN_NS1_7vsmem_tEENKUlT_SL_SM_SN_E_clIS8_S8_S9_S9_EESK_S10_SL_SM_SN_EUlS10_E_NS1_11comp_targetILNS1_3genE4ELNS1_11target_archE910ELNS1_3gpuE8ELNS1_3repE0EEENS1_48merge_mergepath_partition_config_static_selectorELNS0_4arch9wavefront6targetE1EEEvSM_,"axG",@progbits,_ZN7rocprim17ROCPRIM_400000_NS6detail17trampoline_kernelINS0_14default_configENS1_38merge_sort_block_merge_config_selectorIlNS0_10empty_typeEEEZZNS1_27merge_sort_block_merge_implIS3_PlPS5_mZN2at6native12_GLOBAL__N_124unique_dim_cuda_templateIfEESt5tupleIJNSA_6TensorESF_SF_EERKSF_lbbbEUlllE_EE10hipError_tT0_T1_T2_jT3_P12ihipStream_tbPNSt15iterator_traitsISL_E10value_typeEPNSR_ISM_E10value_typeEPSN_NS1_7vsmem_tEENKUlT_SL_SM_SN_E_clIS8_S8_S9_S9_EESK_S10_SL_SM_SN_EUlS10_E_NS1_11comp_targetILNS1_3genE4ELNS1_11target_archE910ELNS1_3gpuE8ELNS1_3repE0EEENS1_48merge_mergepath_partition_config_static_selectorELNS0_4arch9wavefront6targetE1EEEvSM_,comdat
	.globl	_ZN7rocprim17ROCPRIM_400000_NS6detail17trampoline_kernelINS0_14default_configENS1_38merge_sort_block_merge_config_selectorIlNS0_10empty_typeEEEZZNS1_27merge_sort_block_merge_implIS3_PlPS5_mZN2at6native12_GLOBAL__N_124unique_dim_cuda_templateIfEESt5tupleIJNSA_6TensorESF_SF_EERKSF_lbbbEUlllE_EE10hipError_tT0_T1_T2_jT3_P12ihipStream_tbPNSt15iterator_traitsISL_E10value_typeEPNSR_ISM_E10value_typeEPSN_NS1_7vsmem_tEENKUlT_SL_SM_SN_E_clIS8_S8_S9_S9_EESK_S10_SL_SM_SN_EUlS10_E_NS1_11comp_targetILNS1_3genE4ELNS1_11target_archE910ELNS1_3gpuE8ELNS1_3repE0EEENS1_48merge_mergepath_partition_config_static_selectorELNS0_4arch9wavefront6targetE1EEEvSM_ ; -- Begin function _ZN7rocprim17ROCPRIM_400000_NS6detail17trampoline_kernelINS0_14default_configENS1_38merge_sort_block_merge_config_selectorIlNS0_10empty_typeEEEZZNS1_27merge_sort_block_merge_implIS3_PlPS5_mZN2at6native12_GLOBAL__N_124unique_dim_cuda_templateIfEESt5tupleIJNSA_6TensorESF_SF_EERKSF_lbbbEUlllE_EE10hipError_tT0_T1_T2_jT3_P12ihipStream_tbPNSt15iterator_traitsISL_E10value_typeEPNSR_ISM_E10value_typeEPSN_NS1_7vsmem_tEENKUlT_SL_SM_SN_E_clIS8_S8_S9_S9_EESK_S10_SL_SM_SN_EUlS10_E_NS1_11comp_targetILNS1_3genE4ELNS1_11target_archE910ELNS1_3gpuE8ELNS1_3repE0EEENS1_48merge_mergepath_partition_config_static_selectorELNS0_4arch9wavefront6targetE1EEEvSM_
	.p2align	8
	.type	_ZN7rocprim17ROCPRIM_400000_NS6detail17trampoline_kernelINS0_14default_configENS1_38merge_sort_block_merge_config_selectorIlNS0_10empty_typeEEEZZNS1_27merge_sort_block_merge_implIS3_PlPS5_mZN2at6native12_GLOBAL__N_124unique_dim_cuda_templateIfEESt5tupleIJNSA_6TensorESF_SF_EERKSF_lbbbEUlllE_EE10hipError_tT0_T1_T2_jT3_P12ihipStream_tbPNSt15iterator_traitsISL_E10value_typeEPNSR_ISM_E10value_typeEPSN_NS1_7vsmem_tEENKUlT_SL_SM_SN_E_clIS8_S8_S9_S9_EESK_S10_SL_SM_SN_EUlS10_E_NS1_11comp_targetILNS1_3genE4ELNS1_11target_archE910ELNS1_3gpuE8ELNS1_3repE0EEENS1_48merge_mergepath_partition_config_static_selectorELNS0_4arch9wavefront6targetE1EEEvSM_,@function
_ZN7rocprim17ROCPRIM_400000_NS6detail17trampoline_kernelINS0_14default_configENS1_38merge_sort_block_merge_config_selectorIlNS0_10empty_typeEEEZZNS1_27merge_sort_block_merge_implIS3_PlPS5_mZN2at6native12_GLOBAL__N_124unique_dim_cuda_templateIfEESt5tupleIJNSA_6TensorESF_SF_EERKSF_lbbbEUlllE_EE10hipError_tT0_T1_T2_jT3_P12ihipStream_tbPNSt15iterator_traitsISL_E10value_typeEPNSR_ISM_E10value_typeEPSN_NS1_7vsmem_tEENKUlT_SL_SM_SN_E_clIS8_S8_S9_S9_EESK_S10_SL_SM_SN_EUlS10_E_NS1_11comp_targetILNS1_3genE4ELNS1_11target_archE910ELNS1_3gpuE8ELNS1_3repE0EEENS1_48merge_mergepath_partition_config_static_selectorELNS0_4arch9wavefront6targetE1EEEvSM_: ; @_ZN7rocprim17ROCPRIM_400000_NS6detail17trampoline_kernelINS0_14default_configENS1_38merge_sort_block_merge_config_selectorIlNS0_10empty_typeEEEZZNS1_27merge_sort_block_merge_implIS3_PlPS5_mZN2at6native12_GLOBAL__N_124unique_dim_cuda_templateIfEESt5tupleIJNSA_6TensorESF_SF_EERKSF_lbbbEUlllE_EE10hipError_tT0_T1_T2_jT3_P12ihipStream_tbPNSt15iterator_traitsISL_E10value_typeEPNSR_ISM_E10value_typeEPSN_NS1_7vsmem_tEENKUlT_SL_SM_SN_E_clIS8_S8_S9_S9_EESK_S10_SL_SM_SN_EUlS10_E_NS1_11comp_targetILNS1_3genE4ELNS1_11target_archE910ELNS1_3gpuE8ELNS1_3repE0EEENS1_48merge_mergepath_partition_config_static_selectorELNS0_4arch9wavefront6targetE1EEEvSM_
; %bb.0:
	.section	.rodata,"a",@progbits
	.p2align	6, 0x0
	.amdhsa_kernel _ZN7rocprim17ROCPRIM_400000_NS6detail17trampoline_kernelINS0_14default_configENS1_38merge_sort_block_merge_config_selectorIlNS0_10empty_typeEEEZZNS1_27merge_sort_block_merge_implIS3_PlPS5_mZN2at6native12_GLOBAL__N_124unique_dim_cuda_templateIfEESt5tupleIJNSA_6TensorESF_SF_EERKSF_lbbbEUlllE_EE10hipError_tT0_T1_T2_jT3_P12ihipStream_tbPNSt15iterator_traitsISL_E10value_typeEPNSR_ISM_E10value_typeEPSN_NS1_7vsmem_tEENKUlT_SL_SM_SN_E_clIS8_S8_S9_S9_EESK_S10_SL_SM_SN_EUlS10_E_NS1_11comp_targetILNS1_3genE4ELNS1_11target_archE910ELNS1_3gpuE8ELNS1_3repE0EEENS1_48merge_mergepath_partition_config_static_selectorELNS0_4arch9wavefront6targetE1EEEvSM_
		.amdhsa_group_segment_fixed_size 0
		.amdhsa_private_segment_fixed_size 0
		.amdhsa_kernarg_size 56
		.amdhsa_user_sgpr_count 2
		.amdhsa_user_sgpr_dispatch_ptr 0
		.amdhsa_user_sgpr_queue_ptr 0
		.amdhsa_user_sgpr_kernarg_segment_ptr 1
		.amdhsa_user_sgpr_dispatch_id 0
		.amdhsa_user_sgpr_kernarg_preload_length 0
		.amdhsa_user_sgpr_kernarg_preload_offset 0
		.amdhsa_user_sgpr_private_segment_size 0
		.amdhsa_uses_dynamic_stack 0
		.amdhsa_enable_private_segment 0
		.amdhsa_system_sgpr_workgroup_id_x 1
		.amdhsa_system_sgpr_workgroup_id_y 0
		.amdhsa_system_sgpr_workgroup_id_z 0
		.amdhsa_system_sgpr_workgroup_info 0
		.amdhsa_system_vgpr_workitem_id 0
		.amdhsa_next_free_vgpr 1
		.amdhsa_next_free_sgpr 0
		.amdhsa_accum_offset 4
		.amdhsa_reserve_vcc 0
		.amdhsa_float_round_mode_32 0
		.amdhsa_float_round_mode_16_64 0
		.amdhsa_float_denorm_mode_32 3
		.amdhsa_float_denorm_mode_16_64 3
		.amdhsa_dx10_clamp 1
		.amdhsa_ieee_mode 1
		.amdhsa_fp16_overflow 0
		.amdhsa_tg_split 0
		.amdhsa_exception_fp_ieee_invalid_op 0
		.amdhsa_exception_fp_denorm_src 0
		.amdhsa_exception_fp_ieee_div_zero 0
		.amdhsa_exception_fp_ieee_overflow 0
		.amdhsa_exception_fp_ieee_underflow 0
		.amdhsa_exception_fp_ieee_inexact 0
		.amdhsa_exception_int_div_zero 0
	.end_amdhsa_kernel
	.section	.text._ZN7rocprim17ROCPRIM_400000_NS6detail17trampoline_kernelINS0_14default_configENS1_38merge_sort_block_merge_config_selectorIlNS0_10empty_typeEEEZZNS1_27merge_sort_block_merge_implIS3_PlPS5_mZN2at6native12_GLOBAL__N_124unique_dim_cuda_templateIfEESt5tupleIJNSA_6TensorESF_SF_EERKSF_lbbbEUlllE_EE10hipError_tT0_T1_T2_jT3_P12ihipStream_tbPNSt15iterator_traitsISL_E10value_typeEPNSR_ISM_E10value_typeEPSN_NS1_7vsmem_tEENKUlT_SL_SM_SN_E_clIS8_S8_S9_S9_EESK_S10_SL_SM_SN_EUlS10_E_NS1_11comp_targetILNS1_3genE4ELNS1_11target_archE910ELNS1_3gpuE8ELNS1_3repE0EEENS1_48merge_mergepath_partition_config_static_selectorELNS0_4arch9wavefront6targetE1EEEvSM_,"axG",@progbits,_ZN7rocprim17ROCPRIM_400000_NS6detail17trampoline_kernelINS0_14default_configENS1_38merge_sort_block_merge_config_selectorIlNS0_10empty_typeEEEZZNS1_27merge_sort_block_merge_implIS3_PlPS5_mZN2at6native12_GLOBAL__N_124unique_dim_cuda_templateIfEESt5tupleIJNSA_6TensorESF_SF_EERKSF_lbbbEUlllE_EE10hipError_tT0_T1_T2_jT3_P12ihipStream_tbPNSt15iterator_traitsISL_E10value_typeEPNSR_ISM_E10value_typeEPSN_NS1_7vsmem_tEENKUlT_SL_SM_SN_E_clIS8_S8_S9_S9_EESK_S10_SL_SM_SN_EUlS10_E_NS1_11comp_targetILNS1_3genE4ELNS1_11target_archE910ELNS1_3gpuE8ELNS1_3repE0EEENS1_48merge_mergepath_partition_config_static_selectorELNS0_4arch9wavefront6targetE1EEEvSM_,comdat
.Lfunc_end890:
	.size	_ZN7rocprim17ROCPRIM_400000_NS6detail17trampoline_kernelINS0_14default_configENS1_38merge_sort_block_merge_config_selectorIlNS0_10empty_typeEEEZZNS1_27merge_sort_block_merge_implIS3_PlPS5_mZN2at6native12_GLOBAL__N_124unique_dim_cuda_templateIfEESt5tupleIJNSA_6TensorESF_SF_EERKSF_lbbbEUlllE_EE10hipError_tT0_T1_T2_jT3_P12ihipStream_tbPNSt15iterator_traitsISL_E10value_typeEPNSR_ISM_E10value_typeEPSN_NS1_7vsmem_tEENKUlT_SL_SM_SN_E_clIS8_S8_S9_S9_EESK_S10_SL_SM_SN_EUlS10_E_NS1_11comp_targetILNS1_3genE4ELNS1_11target_archE910ELNS1_3gpuE8ELNS1_3repE0EEENS1_48merge_mergepath_partition_config_static_selectorELNS0_4arch9wavefront6targetE1EEEvSM_, .Lfunc_end890-_ZN7rocprim17ROCPRIM_400000_NS6detail17trampoline_kernelINS0_14default_configENS1_38merge_sort_block_merge_config_selectorIlNS0_10empty_typeEEEZZNS1_27merge_sort_block_merge_implIS3_PlPS5_mZN2at6native12_GLOBAL__N_124unique_dim_cuda_templateIfEESt5tupleIJNSA_6TensorESF_SF_EERKSF_lbbbEUlllE_EE10hipError_tT0_T1_T2_jT3_P12ihipStream_tbPNSt15iterator_traitsISL_E10value_typeEPNSR_ISM_E10value_typeEPSN_NS1_7vsmem_tEENKUlT_SL_SM_SN_E_clIS8_S8_S9_S9_EESK_S10_SL_SM_SN_EUlS10_E_NS1_11comp_targetILNS1_3genE4ELNS1_11target_archE910ELNS1_3gpuE8ELNS1_3repE0EEENS1_48merge_mergepath_partition_config_static_selectorELNS0_4arch9wavefront6targetE1EEEvSM_
                                        ; -- End function
	.section	.AMDGPU.csdata,"",@progbits
; Kernel info:
; codeLenInByte = 0
; NumSgprs: 6
; NumVgprs: 0
; NumAgprs: 0
; TotalNumVgprs: 0
; ScratchSize: 0
; MemoryBound: 0
; FloatMode: 240
; IeeeMode: 1
; LDSByteSize: 0 bytes/workgroup (compile time only)
; SGPRBlocks: 0
; VGPRBlocks: 0
; NumSGPRsForWavesPerEU: 6
; NumVGPRsForWavesPerEU: 1
; AccumOffset: 4
; Occupancy: 8
; WaveLimiterHint : 0
; COMPUTE_PGM_RSRC2:SCRATCH_EN: 0
; COMPUTE_PGM_RSRC2:USER_SGPR: 2
; COMPUTE_PGM_RSRC2:TRAP_HANDLER: 0
; COMPUTE_PGM_RSRC2:TGID_X_EN: 1
; COMPUTE_PGM_RSRC2:TGID_Y_EN: 0
; COMPUTE_PGM_RSRC2:TGID_Z_EN: 0
; COMPUTE_PGM_RSRC2:TIDIG_COMP_CNT: 0
; COMPUTE_PGM_RSRC3_GFX90A:ACCUM_OFFSET: 0
; COMPUTE_PGM_RSRC3_GFX90A:TG_SPLIT: 0
	.section	.text._ZN7rocprim17ROCPRIM_400000_NS6detail17trampoline_kernelINS0_14default_configENS1_38merge_sort_block_merge_config_selectorIlNS0_10empty_typeEEEZZNS1_27merge_sort_block_merge_implIS3_PlPS5_mZN2at6native12_GLOBAL__N_124unique_dim_cuda_templateIfEESt5tupleIJNSA_6TensorESF_SF_EERKSF_lbbbEUlllE_EE10hipError_tT0_T1_T2_jT3_P12ihipStream_tbPNSt15iterator_traitsISL_E10value_typeEPNSR_ISM_E10value_typeEPSN_NS1_7vsmem_tEENKUlT_SL_SM_SN_E_clIS8_S8_S9_S9_EESK_S10_SL_SM_SN_EUlS10_E_NS1_11comp_targetILNS1_3genE3ELNS1_11target_archE908ELNS1_3gpuE7ELNS1_3repE0EEENS1_48merge_mergepath_partition_config_static_selectorELNS0_4arch9wavefront6targetE1EEEvSM_,"axG",@progbits,_ZN7rocprim17ROCPRIM_400000_NS6detail17trampoline_kernelINS0_14default_configENS1_38merge_sort_block_merge_config_selectorIlNS0_10empty_typeEEEZZNS1_27merge_sort_block_merge_implIS3_PlPS5_mZN2at6native12_GLOBAL__N_124unique_dim_cuda_templateIfEESt5tupleIJNSA_6TensorESF_SF_EERKSF_lbbbEUlllE_EE10hipError_tT0_T1_T2_jT3_P12ihipStream_tbPNSt15iterator_traitsISL_E10value_typeEPNSR_ISM_E10value_typeEPSN_NS1_7vsmem_tEENKUlT_SL_SM_SN_E_clIS8_S8_S9_S9_EESK_S10_SL_SM_SN_EUlS10_E_NS1_11comp_targetILNS1_3genE3ELNS1_11target_archE908ELNS1_3gpuE7ELNS1_3repE0EEENS1_48merge_mergepath_partition_config_static_selectorELNS0_4arch9wavefront6targetE1EEEvSM_,comdat
	.globl	_ZN7rocprim17ROCPRIM_400000_NS6detail17trampoline_kernelINS0_14default_configENS1_38merge_sort_block_merge_config_selectorIlNS0_10empty_typeEEEZZNS1_27merge_sort_block_merge_implIS3_PlPS5_mZN2at6native12_GLOBAL__N_124unique_dim_cuda_templateIfEESt5tupleIJNSA_6TensorESF_SF_EERKSF_lbbbEUlllE_EE10hipError_tT0_T1_T2_jT3_P12ihipStream_tbPNSt15iterator_traitsISL_E10value_typeEPNSR_ISM_E10value_typeEPSN_NS1_7vsmem_tEENKUlT_SL_SM_SN_E_clIS8_S8_S9_S9_EESK_S10_SL_SM_SN_EUlS10_E_NS1_11comp_targetILNS1_3genE3ELNS1_11target_archE908ELNS1_3gpuE7ELNS1_3repE0EEENS1_48merge_mergepath_partition_config_static_selectorELNS0_4arch9wavefront6targetE1EEEvSM_ ; -- Begin function _ZN7rocprim17ROCPRIM_400000_NS6detail17trampoline_kernelINS0_14default_configENS1_38merge_sort_block_merge_config_selectorIlNS0_10empty_typeEEEZZNS1_27merge_sort_block_merge_implIS3_PlPS5_mZN2at6native12_GLOBAL__N_124unique_dim_cuda_templateIfEESt5tupleIJNSA_6TensorESF_SF_EERKSF_lbbbEUlllE_EE10hipError_tT0_T1_T2_jT3_P12ihipStream_tbPNSt15iterator_traitsISL_E10value_typeEPNSR_ISM_E10value_typeEPSN_NS1_7vsmem_tEENKUlT_SL_SM_SN_E_clIS8_S8_S9_S9_EESK_S10_SL_SM_SN_EUlS10_E_NS1_11comp_targetILNS1_3genE3ELNS1_11target_archE908ELNS1_3gpuE7ELNS1_3repE0EEENS1_48merge_mergepath_partition_config_static_selectorELNS0_4arch9wavefront6targetE1EEEvSM_
	.p2align	8
	.type	_ZN7rocprim17ROCPRIM_400000_NS6detail17trampoline_kernelINS0_14default_configENS1_38merge_sort_block_merge_config_selectorIlNS0_10empty_typeEEEZZNS1_27merge_sort_block_merge_implIS3_PlPS5_mZN2at6native12_GLOBAL__N_124unique_dim_cuda_templateIfEESt5tupleIJNSA_6TensorESF_SF_EERKSF_lbbbEUlllE_EE10hipError_tT0_T1_T2_jT3_P12ihipStream_tbPNSt15iterator_traitsISL_E10value_typeEPNSR_ISM_E10value_typeEPSN_NS1_7vsmem_tEENKUlT_SL_SM_SN_E_clIS8_S8_S9_S9_EESK_S10_SL_SM_SN_EUlS10_E_NS1_11comp_targetILNS1_3genE3ELNS1_11target_archE908ELNS1_3gpuE7ELNS1_3repE0EEENS1_48merge_mergepath_partition_config_static_selectorELNS0_4arch9wavefront6targetE1EEEvSM_,@function
_ZN7rocprim17ROCPRIM_400000_NS6detail17trampoline_kernelINS0_14default_configENS1_38merge_sort_block_merge_config_selectorIlNS0_10empty_typeEEEZZNS1_27merge_sort_block_merge_implIS3_PlPS5_mZN2at6native12_GLOBAL__N_124unique_dim_cuda_templateIfEESt5tupleIJNSA_6TensorESF_SF_EERKSF_lbbbEUlllE_EE10hipError_tT0_T1_T2_jT3_P12ihipStream_tbPNSt15iterator_traitsISL_E10value_typeEPNSR_ISM_E10value_typeEPSN_NS1_7vsmem_tEENKUlT_SL_SM_SN_E_clIS8_S8_S9_S9_EESK_S10_SL_SM_SN_EUlS10_E_NS1_11comp_targetILNS1_3genE3ELNS1_11target_archE908ELNS1_3gpuE7ELNS1_3repE0EEENS1_48merge_mergepath_partition_config_static_selectorELNS0_4arch9wavefront6targetE1EEEvSM_: ; @_ZN7rocprim17ROCPRIM_400000_NS6detail17trampoline_kernelINS0_14default_configENS1_38merge_sort_block_merge_config_selectorIlNS0_10empty_typeEEEZZNS1_27merge_sort_block_merge_implIS3_PlPS5_mZN2at6native12_GLOBAL__N_124unique_dim_cuda_templateIfEESt5tupleIJNSA_6TensorESF_SF_EERKSF_lbbbEUlllE_EE10hipError_tT0_T1_T2_jT3_P12ihipStream_tbPNSt15iterator_traitsISL_E10value_typeEPNSR_ISM_E10value_typeEPSN_NS1_7vsmem_tEENKUlT_SL_SM_SN_E_clIS8_S8_S9_S9_EESK_S10_SL_SM_SN_EUlS10_E_NS1_11comp_targetILNS1_3genE3ELNS1_11target_archE908ELNS1_3gpuE7ELNS1_3repE0EEENS1_48merge_mergepath_partition_config_static_selectorELNS0_4arch9wavefront6targetE1EEEvSM_
; %bb.0:
	.section	.rodata,"a",@progbits
	.p2align	6, 0x0
	.amdhsa_kernel _ZN7rocprim17ROCPRIM_400000_NS6detail17trampoline_kernelINS0_14default_configENS1_38merge_sort_block_merge_config_selectorIlNS0_10empty_typeEEEZZNS1_27merge_sort_block_merge_implIS3_PlPS5_mZN2at6native12_GLOBAL__N_124unique_dim_cuda_templateIfEESt5tupleIJNSA_6TensorESF_SF_EERKSF_lbbbEUlllE_EE10hipError_tT0_T1_T2_jT3_P12ihipStream_tbPNSt15iterator_traitsISL_E10value_typeEPNSR_ISM_E10value_typeEPSN_NS1_7vsmem_tEENKUlT_SL_SM_SN_E_clIS8_S8_S9_S9_EESK_S10_SL_SM_SN_EUlS10_E_NS1_11comp_targetILNS1_3genE3ELNS1_11target_archE908ELNS1_3gpuE7ELNS1_3repE0EEENS1_48merge_mergepath_partition_config_static_selectorELNS0_4arch9wavefront6targetE1EEEvSM_
		.amdhsa_group_segment_fixed_size 0
		.amdhsa_private_segment_fixed_size 0
		.amdhsa_kernarg_size 56
		.amdhsa_user_sgpr_count 2
		.amdhsa_user_sgpr_dispatch_ptr 0
		.amdhsa_user_sgpr_queue_ptr 0
		.amdhsa_user_sgpr_kernarg_segment_ptr 1
		.amdhsa_user_sgpr_dispatch_id 0
		.amdhsa_user_sgpr_kernarg_preload_length 0
		.amdhsa_user_sgpr_kernarg_preload_offset 0
		.amdhsa_user_sgpr_private_segment_size 0
		.amdhsa_uses_dynamic_stack 0
		.amdhsa_enable_private_segment 0
		.amdhsa_system_sgpr_workgroup_id_x 1
		.amdhsa_system_sgpr_workgroup_id_y 0
		.amdhsa_system_sgpr_workgroup_id_z 0
		.amdhsa_system_sgpr_workgroup_info 0
		.amdhsa_system_vgpr_workitem_id 0
		.amdhsa_next_free_vgpr 1
		.amdhsa_next_free_sgpr 0
		.amdhsa_accum_offset 4
		.amdhsa_reserve_vcc 0
		.amdhsa_float_round_mode_32 0
		.amdhsa_float_round_mode_16_64 0
		.amdhsa_float_denorm_mode_32 3
		.amdhsa_float_denorm_mode_16_64 3
		.amdhsa_dx10_clamp 1
		.amdhsa_ieee_mode 1
		.amdhsa_fp16_overflow 0
		.amdhsa_tg_split 0
		.amdhsa_exception_fp_ieee_invalid_op 0
		.amdhsa_exception_fp_denorm_src 0
		.amdhsa_exception_fp_ieee_div_zero 0
		.amdhsa_exception_fp_ieee_overflow 0
		.amdhsa_exception_fp_ieee_underflow 0
		.amdhsa_exception_fp_ieee_inexact 0
		.amdhsa_exception_int_div_zero 0
	.end_amdhsa_kernel
	.section	.text._ZN7rocprim17ROCPRIM_400000_NS6detail17trampoline_kernelINS0_14default_configENS1_38merge_sort_block_merge_config_selectorIlNS0_10empty_typeEEEZZNS1_27merge_sort_block_merge_implIS3_PlPS5_mZN2at6native12_GLOBAL__N_124unique_dim_cuda_templateIfEESt5tupleIJNSA_6TensorESF_SF_EERKSF_lbbbEUlllE_EE10hipError_tT0_T1_T2_jT3_P12ihipStream_tbPNSt15iterator_traitsISL_E10value_typeEPNSR_ISM_E10value_typeEPSN_NS1_7vsmem_tEENKUlT_SL_SM_SN_E_clIS8_S8_S9_S9_EESK_S10_SL_SM_SN_EUlS10_E_NS1_11comp_targetILNS1_3genE3ELNS1_11target_archE908ELNS1_3gpuE7ELNS1_3repE0EEENS1_48merge_mergepath_partition_config_static_selectorELNS0_4arch9wavefront6targetE1EEEvSM_,"axG",@progbits,_ZN7rocprim17ROCPRIM_400000_NS6detail17trampoline_kernelINS0_14default_configENS1_38merge_sort_block_merge_config_selectorIlNS0_10empty_typeEEEZZNS1_27merge_sort_block_merge_implIS3_PlPS5_mZN2at6native12_GLOBAL__N_124unique_dim_cuda_templateIfEESt5tupleIJNSA_6TensorESF_SF_EERKSF_lbbbEUlllE_EE10hipError_tT0_T1_T2_jT3_P12ihipStream_tbPNSt15iterator_traitsISL_E10value_typeEPNSR_ISM_E10value_typeEPSN_NS1_7vsmem_tEENKUlT_SL_SM_SN_E_clIS8_S8_S9_S9_EESK_S10_SL_SM_SN_EUlS10_E_NS1_11comp_targetILNS1_3genE3ELNS1_11target_archE908ELNS1_3gpuE7ELNS1_3repE0EEENS1_48merge_mergepath_partition_config_static_selectorELNS0_4arch9wavefront6targetE1EEEvSM_,comdat
.Lfunc_end891:
	.size	_ZN7rocprim17ROCPRIM_400000_NS6detail17trampoline_kernelINS0_14default_configENS1_38merge_sort_block_merge_config_selectorIlNS0_10empty_typeEEEZZNS1_27merge_sort_block_merge_implIS3_PlPS5_mZN2at6native12_GLOBAL__N_124unique_dim_cuda_templateIfEESt5tupleIJNSA_6TensorESF_SF_EERKSF_lbbbEUlllE_EE10hipError_tT0_T1_T2_jT3_P12ihipStream_tbPNSt15iterator_traitsISL_E10value_typeEPNSR_ISM_E10value_typeEPSN_NS1_7vsmem_tEENKUlT_SL_SM_SN_E_clIS8_S8_S9_S9_EESK_S10_SL_SM_SN_EUlS10_E_NS1_11comp_targetILNS1_3genE3ELNS1_11target_archE908ELNS1_3gpuE7ELNS1_3repE0EEENS1_48merge_mergepath_partition_config_static_selectorELNS0_4arch9wavefront6targetE1EEEvSM_, .Lfunc_end891-_ZN7rocprim17ROCPRIM_400000_NS6detail17trampoline_kernelINS0_14default_configENS1_38merge_sort_block_merge_config_selectorIlNS0_10empty_typeEEEZZNS1_27merge_sort_block_merge_implIS3_PlPS5_mZN2at6native12_GLOBAL__N_124unique_dim_cuda_templateIfEESt5tupleIJNSA_6TensorESF_SF_EERKSF_lbbbEUlllE_EE10hipError_tT0_T1_T2_jT3_P12ihipStream_tbPNSt15iterator_traitsISL_E10value_typeEPNSR_ISM_E10value_typeEPSN_NS1_7vsmem_tEENKUlT_SL_SM_SN_E_clIS8_S8_S9_S9_EESK_S10_SL_SM_SN_EUlS10_E_NS1_11comp_targetILNS1_3genE3ELNS1_11target_archE908ELNS1_3gpuE7ELNS1_3repE0EEENS1_48merge_mergepath_partition_config_static_selectorELNS0_4arch9wavefront6targetE1EEEvSM_
                                        ; -- End function
	.section	.AMDGPU.csdata,"",@progbits
; Kernel info:
; codeLenInByte = 0
; NumSgprs: 6
; NumVgprs: 0
; NumAgprs: 0
; TotalNumVgprs: 0
; ScratchSize: 0
; MemoryBound: 0
; FloatMode: 240
; IeeeMode: 1
; LDSByteSize: 0 bytes/workgroup (compile time only)
; SGPRBlocks: 0
; VGPRBlocks: 0
; NumSGPRsForWavesPerEU: 6
; NumVGPRsForWavesPerEU: 1
; AccumOffset: 4
; Occupancy: 8
; WaveLimiterHint : 0
; COMPUTE_PGM_RSRC2:SCRATCH_EN: 0
; COMPUTE_PGM_RSRC2:USER_SGPR: 2
; COMPUTE_PGM_RSRC2:TRAP_HANDLER: 0
; COMPUTE_PGM_RSRC2:TGID_X_EN: 1
; COMPUTE_PGM_RSRC2:TGID_Y_EN: 0
; COMPUTE_PGM_RSRC2:TGID_Z_EN: 0
; COMPUTE_PGM_RSRC2:TIDIG_COMP_CNT: 0
; COMPUTE_PGM_RSRC3_GFX90A:ACCUM_OFFSET: 0
; COMPUTE_PGM_RSRC3_GFX90A:TG_SPLIT: 0
	.section	.text._ZN7rocprim17ROCPRIM_400000_NS6detail17trampoline_kernelINS0_14default_configENS1_38merge_sort_block_merge_config_selectorIlNS0_10empty_typeEEEZZNS1_27merge_sort_block_merge_implIS3_PlPS5_mZN2at6native12_GLOBAL__N_124unique_dim_cuda_templateIfEESt5tupleIJNSA_6TensorESF_SF_EERKSF_lbbbEUlllE_EE10hipError_tT0_T1_T2_jT3_P12ihipStream_tbPNSt15iterator_traitsISL_E10value_typeEPNSR_ISM_E10value_typeEPSN_NS1_7vsmem_tEENKUlT_SL_SM_SN_E_clIS8_S8_S9_S9_EESK_S10_SL_SM_SN_EUlS10_E_NS1_11comp_targetILNS1_3genE2ELNS1_11target_archE906ELNS1_3gpuE6ELNS1_3repE0EEENS1_48merge_mergepath_partition_config_static_selectorELNS0_4arch9wavefront6targetE1EEEvSM_,"axG",@progbits,_ZN7rocprim17ROCPRIM_400000_NS6detail17trampoline_kernelINS0_14default_configENS1_38merge_sort_block_merge_config_selectorIlNS0_10empty_typeEEEZZNS1_27merge_sort_block_merge_implIS3_PlPS5_mZN2at6native12_GLOBAL__N_124unique_dim_cuda_templateIfEESt5tupleIJNSA_6TensorESF_SF_EERKSF_lbbbEUlllE_EE10hipError_tT0_T1_T2_jT3_P12ihipStream_tbPNSt15iterator_traitsISL_E10value_typeEPNSR_ISM_E10value_typeEPSN_NS1_7vsmem_tEENKUlT_SL_SM_SN_E_clIS8_S8_S9_S9_EESK_S10_SL_SM_SN_EUlS10_E_NS1_11comp_targetILNS1_3genE2ELNS1_11target_archE906ELNS1_3gpuE6ELNS1_3repE0EEENS1_48merge_mergepath_partition_config_static_selectorELNS0_4arch9wavefront6targetE1EEEvSM_,comdat
	.globl	_ZN7rocprim17ROCPRIM_400000_NS6detail17trampoline_kernelINS0_14default_configENS1_38merge_sort_block_merge_config_selectorIlNS0_10empty_typeEEEZZNS1_27merge_sort_block_merge_implIS3_PlPS5_mZN2at6native12_GLOBAL__N_124unique_dim_cuda_templateIfEESt5tupleIJNSA_6TensorESF_SF_EERKSF_lbbbEUlllE_EE10hipError_tT0_T1_T2_jT3_P12ihipStream_tbPNSt15iterator_traitsISL_E10value_typeEPNSR_ISM_E10value_typeEPSN_NS1_7vsmem_tEENKUlT_SL_SM_SN_E_clIS8_S8_S9_S9_EESK_S10_SL_SM_SN_EUlS10_E_NS1_11comp_targetILNS1_3genE2ELNS1_11target_archE906ELNS1_3gpuE6ELNS1_3repE0EEENS1_48merge_mergepath_partition_config_static_selectorELNS0_4arch9wavefront6targetE1EEEvSM_ ; -- Begin function _ZN7rocprim17ROCPRIM_400000_NS6detail17trampoline_kernelINS0_14default_configENS1_38merge_sort_block_merge_config_selectorIlNS0_10empty_typeEEEZZNS1_27merge_sort_block_merge_implIS3_PlPS5_mZN2at6native12_GLOBAL__N_124unique_dim_cuda_templateIfEESt5tupleIJNSA_6TensorESF_SF_EERKSF_lbbbEUlllE_EE10hipError_tT0_T1_T2_jT3_P12ihipStream_tbPNSt15iterator_traitsISL_E10value_typeEPNSR_ISM_E10value_typeEPSN_NS1_7vsmem_tEENKUlT_SL_SM_SN_E_clIS8_S8_S9_S9_EESK_S10_SL_SM_SN_EUlS10_E_NS1_11comp_targetILNS1_3genE2ELNS1_11target_archE906ELNS1_3gpuE6ELNS1_3repE0EEENS1_48merge_mergepath_partition_config_static_selectorELNS0_4arch9wavefront6targetE1EEEvSM_
	.p2align	8
	.type	_ZN7rocprim17ROCPRIM_400000_NS6detail17trampoline_kernelINS0_14default_configENS1_38merge_sort_block_merge_config_selectorIlNS0_10empty_typeEEEZZNS1_27merge_sort_block_merge_implIS3_PlPS5_mZN2at6native12_GLOBAL__N_124unique_dim_cuda_templateIfEESt5tupleIJNSA_6TensorESF_SF_EERKSF_lbbbEUlllE_EE10hipError_tT0_T1_T2_jT3_P12ihipStream_tbPNSt15iterator_traitsISL_E10value_typeEPNSR_ISM_E10value_typeEPSN_NS1_7vsmem_tEENKUlT_SL_SM_SN_E_clIS8_S8_S9_S9_EESK_S10_SL_SM_SN_EUlS10_E_NS1_11comp_targetILNS1_3genE2ELNS1_11target_archE906ELNS1_3gpuE6ELNS1_3repE0EEENS1_48merge_mergepath_partition_config_static_selectorELNS0_4arch9wavefront6targetE1EEEvSM_,@function
_ZN7rocprim17ROCPRIM_400000_NS6detail17trampoline_kernelINS0_14default_configENS1_38merge_sort_block_merge_config_selectorIlNS0_10empty_typeEEEZZNS1_27merge_sort_block_merge_implIS3_PlPS5_mZN2at6native12_GLOBAL__N_124unique_dim_cuda_templateIfEESt5tupleIJNSA_6TensorESF_SF_EERKSF_lbbbEUlllE_EE10hipError_tT0_T1_T2_jT3_P12ihipStream_tbPNSt15iterator_traitsISL_E10value_typeEPNSR_ISM_E10value_typeEPSN_NS1_7vsmem_tEENKUlT_SL_SM_SN_E_clIS8_S8_S9_S9_EESK_S10_SL_SM_SN_EUlS10_E_NS1_11comp_targetILNS1_3genE2ELNS1_11target_archE906ELNS1_3gpuE6ELNS1_3repE0EEENS1_48merge_mergepath_partition_config_static_selectorELNS0_4arch9wavefront6targetE1EEEvSM_: ; @_ZN7rocprim17ROCPRIM_400000_NS6detail17trampoline_kernelINS0_14default_configENS1_38merge_sort_block_merge_config_selectorIlNS0_10empty_typeEEEZZNS1_27merge_sort_block_merge_implIS3_PlPS5_mZN2at6native12_GLOBAL__N_124unique_dim_cuda_templateIfEESt5tupleIJNSA_6TensorESF_SF_EERKSF_lbbbEUlllE_EE10hipError_tT0_T1_T2_jT3_P12ihipStream_tbPNSt15iterator_traitsISL_E10value_typeEPNSR_ISM_E10value_typeEPSN_NS1_7vsmem_tEENKUlT_SL_SM_SN_E_clIS8_S8_S9_S9_EESK_S10_SL_SM_SN_EUlS10_E_NS1_11comp_targetILNS1_3genE2ELNS1_11target_archE906ELNS1_3gpuE6ELNS1_3repE0EEENS1_48merge_mergepath_partition_config_static_selectorELNS0_4arch9wavefront6targetE1EEEvSM_
; %bb.0:
	.section	.rodata,"a",@progbits
	.p2align	6, 0x0
	.amdhsa_kernel _ZN7rocprim17ROCPRIM_400000_NS6detail17trampoline_kernelINS0_14default_configENS1_38merge_sort_block_merge_config_selectorIlNS0_10empty_typeEEEZZNS1_27merge_sort_block_merge_implIS3_PlPS5_mZN2at6native12_GLOBAL__N_124unique_dim_cuda_templateIfEESt5tupleIJNSA_6TensorESF_SF_EERKSF_lbbbEUlllE_EE10hipError_tT0_T1_T2_jT3_P12ihipStream_tbPNSt15iterator_traitsISL_E10value_typeEPNSR_ISM_E10value_typeEPSN_NS1_7vsmem_tEENKUlT_SL_SM_SN_E_clIS8_S8_S9_S9_EESK_S10_SL_SM_SN_EUlS10_E_NS1_11comp_targetILNS1_3genE2ELNS1_11target_archE906ELNS1_3gpuE6ELNS1_3repE0EEENS1_48merge_mergepath_partition_config_static_selectorELNS0_4arch9wavefront6targetE1EEEvSM_
		.amdhsa_group_segment_fixed_size 0
		.amdhsa_private_segment_fixed_size 0
		.amdhsa_kernarg_size 56
		.amdhsa_user_sgpr_count 2
		.amdhsa_user_sgpr_dispatch_ptr 0
		.amdhsa_user_sgpr_queue_ptr 0
		.amdhsa_user_sgpr_kernarg_segment_ptr 1
		.amdhsa_user_sgpr_dispatch_id 0
		.amdhsa_user_sgpr_kernarg_preload_length 0
		.amdhsa_user_sgpr_kernarg_preload_offset 0
		.amdhsa_user_sgpr_private_segment_size 0
		.amdhsa_uses_dynamic_stack 0
		.amdhsa_enable_private_segment 0
		.amdhsa_system_sgpr_workgroup_id_x 1
		.amdhsa_system_sgpr_workgroup_id_y 0
		.amdhsa_system_sgpr_workgroup_id_z 0
		.amdhsa_system_sgpr_workgroup_info 0
		.amdhsa_system_vgpr_workitem_id 0
		.amdhsa_next_free_vgpr 1
		.amdhsa_next_free_sgpr 0
		.amdhsa_accum_offset 4
		.amdhsa_reserve_vcc 0
		.amdhsa_float_round_mode_32 0
		.amdhsa_float_round_mode_16_64 0
		.amdhsa_float_denorm_mode_32 3
		.amdhsa_float_denorm_mode_16_64 3
		.amdhsa_dx10_clamp 1
		.amdhsa_ieee_mode 1
		.amdhsa_fp16_overflow 0
		.amdhsa_tg_split 0
		.amdhsa_exception_fp_ieee_invalid_op 0
		.amdhsa_exception_fp_denorm_src 0
		.amdhsa_exception_fp_ieee_div_zero 0
		.amdhsa_exception_fp_ieee_overflow 0
		.amdhsa_exception_fp_ieee_underflow 0
		.amdhsa_exception_fp_ieee_inexact 0
		.amdhsa_exception_int_div_zero 0
	.end_amdhsa_kernel
	.section	.text._ZN7rocprim17ROCPRIM_400000_NS6detail17trampoline_kernelINS0_14default_configENS1_38merge_sort_block_merge_config_selectorIlNS0_10empty_typeEEEZZNS1_27merge_sort_block_merge_implIS3_PlPS5_mZN2at6native12_GLOBAL__N_124unique_dim_cuda_templateIfEESt5tupleIJNSA_6TensorESF_SF_EERKSF_lbbbEUlllE_EE10hipError_tT0_T1_T2_jT3_P12ihipStream_tbPNSt15iterator_traitsISL_E10value_typeEPNSR_ISM_E10value_typeEPSN_NS1_7vsmem_tEENKUlT_SL_SM_SN_E_clIS8_S8_S9_S9_EESK_S10_SL_SM_SN_EUlS10_E_NS1_11comp_targetILNS1_3genE2ELNS1_11target_archE906ELNS1_3gpuE6ELNS1_3repE0EEENS1_48merge_mergepath_partition_config_static_selectorELNS0_4arch9wavefront6targetE1EEEvSM_,"axG",@progbits,_ZN7rocprim17ROCPRIM_400000_NS6detail17trampoline_kernelINS0_14default_configENS1_38merge_sort_block_merge_config_selectorIlNS0_10empty_typeEEEZZNS1_27merge_sort_block_merge_implIS3_PlPS5_mZN2at6native12_GLOBAL__N_124unique_dim_cuda_templateIfEESt5tupleIJNSA_6TensorESF_SF_EERKSF_lbbbEUlllE_EE10hipError_tT0_T1_T2_jT3_P12ihipStream_tbPNSt15iterator_traitsISL_E10value_typeEPNSR_ISM_E10value_typeEPSN_NS1_7vsmem_tEENKUlT_SL_SM_SN_E_clIS8_S8_S9_S9_EESK_S10_SL_SM_SN_EUlS10_E_NS1_11comp_targetILNS1_3genE2ELNS1_11target_archE906ELNS1_3gpuE6ELNS1_3repE0EEENS1_48merge_mergepath_partition_config_static_selectorELNS0_4arch9wavefront6targetE1EEEvSM_,comdat
.Lfunc_end892:
	.size	_ZN7rocprim17ROCPRIM_400000_NS6detail17trampoline_kernelINS0_14default_configENS1_38merge_sort_block_merge_config_selectorIlNS0_10empty_typeEEEZZNS1_27merge_sort_block_merge_implIS3_PlPS5_mZN2at6native12_GLOBAL__N_124unique_dim_cuda_templateIfEESt5tupleIJNSA_6TensorESF_SF_EERKSF_lbbbEUlllE_EE10hipError_tT0_T1_T2_jT3_P12ihipStream_tbPNSt15iterator_traitsISL_E10value_typeEPNSR_ISM_E10value_typeEPSN_NS1_7vsmem_tEENKUlT_SL_SM_SN_E_clIS8_S8_S9_S9_EESK_S10_SL_SM_SN_EUlS10_E_NS1_11comp_targetILNS1_3genE2ELNS1_11target_archE906ELNS1_3gpuE6ELNS1_3repE0EEENS1_48merge_mergepath_partition_config_static_selectorELNS0_4arch9wavefront6targetE1EEEvSM_, .Lfunc_end892-_ZN7rocprim17ROCPRIM_400000_NS6detail17trampoline_kernelINS0_14default_configENS1_38merge_sort_block_merge_config_selectorIlNS0_10empty_typeEEEZZNS1_27merge_sort_block_merge_implIS3_PlPS5_mZN2at6native12_GLOBAL__N_124unique_dim_cuda_templateIfEESt5tupleIJNSA_6TensorESF_SF_EERKSF_lbbbEUlllE_EE10hipError_tT0_T1_T2_jT3_P12ihipStream_tbPNSt15iterator_traitsISL_E10value_typeEPNSR_ISM_E10value_typeEPSN_NS1_7vsmem_tEENKUlT_SL_SM_SN_E_clIS8_S8_S9_S9_EESK_S10_SL_SM_SN_EUlS10_E_NS1_11comp_targetILNS1_3genE2ELNS1_11target_archE906ELNS1_3gpuE6ELNS1_3repE0EEENS1_48merge_mergepath_partition_config_static_selectorELNS0_4arch9wavefront6targetE1EEEvSM_
                                        ; -- End function
	.section	.AMDGPU.csdata,"",@progbits
; Kernel info:
; codeLenInByte = 0
; NumSgprs: 6
; NumVgprs: 0
; NumAgprs: 0
; TotalNumVgprs: 0
; ScratchSize: 0
; MemoryBound: 0
; FloatMode: 240
; IeeeMode: 1
; LDSByteSize: 0 bytes/workgroup (compile time only)
; SGPRBlocks: 0
; VGPRBlocks: 0
; NumSGPRsForWavesPerEU: 6
; NumVGPRsForWavesPerEU: 1
; AccumOffset: 4
; Occupancy: 8
; WaveLimiterHint : 0
; COMPUTE_PGM_RSRC2:SCRATCH_EN: 0
; COMPUTE_PGM_RSRC2:USER_SGPR: 2
; COMPUTE_PGM_RSRC2:TRAP_HANDLER: 0
; COMPUTE_PGM_RSRC2:TGID_X_EN: 1
; COMPUTE_PGM_RSRC2:TGID_Y_EN: 0
; COMPUTE_PGM_RSRC2:TGID_Z_EN: 0
; COMPUTE_PGM_RSRC2:TIDIG_COMP_CNT: 0
; COMPUTE_PGM_RSRC3_GFX90A:ACCUM_OFFSET: 0
; COMPUTE_PGM_RSRC3_GFX90A:TG_SPLIT: 0
	.section	.text._ZN7rocprim17ROCPRIM_400000_NS6detail17trampoline_kernelINS0_14default_configENS1_38merge_sort_block_merge_config_selectorIlNS0_10empty_typeEEEZZNS1_27merge_sort_block_merge_implIS3_PlPS5_mZN2at6native12_GLOBAL__N_124unique_dim_cuda_templateIfEESt5tupleIJNSA_6TensorESF_SF_EERKSF_lbbbEUlllE_EE10hipError_tT0_T1_T2_jT3_P12ihipStream_tbPNSt15iterator_traitsISL_E10value_typeEPNSR_ISM_E10value_typeEPSN_NS1_7vsmem_tEENKUlT_SL_SM_SN_E_clIS8_S8_S9_S9_EESK_S10_SL_SM_SN_EUlS10_E_NS1_11comp_targetILNS1_3genE9ELNS1_11target_archE1100ELNS1_3gpuE3ELNS1_3repE0EEENS1_48merge_mergepath_partition_config_static_selectorELNS0_4arch9wavefront6targetE1EEEvSM_,"axG",@progbits,_ZN7rocprim17ROCPRIM_400000_NS6detail17trampoline_kernelINS0_14default_configENS1_38merge_sort_block_merge_config_selectorIlNS0_10empty_typeEEEZZNS1_27merge_sort_block_merge_implIS3_PlPS5_mZN2at6native12_GLOBAL__N_124unique_dim_cuda_templateIfEESt5tupleIJNSA_6TensorESF_SF_EERKSF_lbbbEUlllE_EE10hipError_tT0_T1_T2_jT3_P12ihipStream_tbPNSt15iterator_traitsISL_E10value_typeEPNSR_ISM_E10value_typeEPSN_NS1_7vsmem_tEENKUlT_SL_SM_SN_E_clIS8_S8_S9_S9_EESK_S10_SL_SM_SN_EUlS10_E_NS1_11comp_targetILNS1_3genE9ELNS1_11target_archE1100ELNS1_3gpuE3ELNS1_3repE0EEENS1_48merge_mergepath_partition_config_static_selectorELNS0_4arch9wavefront6targetE1EEEvSM_,comdat
	.globl	_ZN7rocprim17ROCPRIM_400000_NS6detail17trampoline_kernelINS0_14default_configENS1_38merge_sort_block_merge_config_selectorIlNS0_10empty_typeEEEZZNS1_27merge_sort_block_merge_implIS3_PlPS5_mZN2at6native12_GLOBAL__N_124unique_dim_cuda_templateIfEESt5tupleIJNSA_6TensorESF_SF_EERKSF_lbbbEUlllE_EE10hipError_tT0_T1_T2_jT3_P12ihipStream_tbPNSt15iterator_traitsISL_E10value_typeEPNSR_ISM_E10value_typeEPSN_NS1_7vsmem_tEENKUlT_SL_SM_SN_E_clIS8_S8_S9_S9_EESK_S10_SL_SM_SN_EUlS10_E_NS1_11comp_targetILNS1_3genE9ELNS1_11target_archE1100ELNS1_3gpuE3ELNS1_3repE0EEENS1_48merge_mergepath_partition_config_static_selectorELNS0_4arch9wavefront6targetE1EEEvSM_ ; -- Begin function _ZN7rocprim17ROCPRIM_400000_NS6detail17trampoline_kernelINS0_14default_configENS1_38merge_sort_block_merge_config_selectorIlNS0_10empty_typeEEEZZNS1_27merge_sort_block_merge_implIS3_PlPS5_mZN2at6native12_GLOBAL__N_124unique_dim_cuda_templateIfEESt5tupleIJNSA_6TensorESF_SF_EERKSF_lbbbEUlllE_EE10hipError_tT0_T1_T2_jT3_P12ihipStream_tbPNSt15iterator_traitsISL_E10value_typeEPNSR_ISM_E10value_typeEPSN_NS1_7vsmem_tEENKUlT_SL_SM_SN_E_clIS8_S8_S9_S9_EESK_S10_SL_SM_SN_EUlS10_E_NS1_11comp_targetILNS1_3genE9ELNS1_11target_archE1100ELNS1_3gpuE3ELNS1_3repE0EEENS1_48merge_mergepath_partition_config_static_selectorELNS0_4arch9wavefront6targetE1EEEvSM_
	.p2align	8
	.type	_ZN7rocprim17ROCPRIM_400000_NS6detail17trampoline_kernelINS0_14default_configENS1_38merge_sort_block_merge_config_selectorIlNS0_10empty_typeEEEZZNS1_27merge_sort_block_merge_implIS3_PlPS5_mZN2at6native12_GLOBAL__N_124unique_dim_cuda_templateIfEESt5tupleIJNSA_6TensorESF_SF_EERKSF_lbbbEUlllE_EE10hipError_tT0_T1_T2_jT3_P12ihipStream_tbPNSt15iterator_traitsISL_E10value_typeEPNSR_ISM_E10value_typeEPSN_NS1_7vsmem_tEENKUlT_SL_SM_SN_E_clIS8_S8_S9_S9_EESK_S10_SL_SM_SN_EUlS10_E_NS1_11comp_targetILNS1_3genE9ELNS1_11target_archE1100ELNS1_3gpuE3ELNS1_3repE0EEENS1_48merge_mergepath_partition_config_static_selectorELNS0_4arch9wavefront6targetE1EEEvSM_,@function
_ZN7rocprim17ROCPRIM_400000_NS6detail17trampoline_kernelINS0_14default_configENS1_38merge_sort_block_merge_config_selectorIlNS0_10empty_typeEEEZZNS1_27merge_sort_block_merge_implIS3_PlPS5_mZN2at6native12_GLOBAL__N_124unique_dim_cuda_templateIfEESt5tupleIJNSA_6TensorESF_SF_EERKSF_lbbbEUlllE_EE10hipError_tT0_T1_T2_jT3_P12ihipStream_tbPNSt15iterator_traitsISL_E10value_typeEPNSR_ISM_E10value_typeEPSN_NS1_7vsmem_tEENKUlT_SL_SM_SN_E_clIS8_S8_S9_S9_EESK_S10_SL_SM_SN_EUlS10_E_NS1_11comp_targetILNS1_3genE9ELNS1_11target_archE1100ELNS1_3gpuE3ELNS1_3repE0EEENS1_48merge_mergepath_partition_config_static_selectorELNS0_4arch9wavefront6targetE1EEEvSM_: ; @_ZN7rocprim17ROCPRIM_400000_NS6detail17trampoline_kernelINS0_14default_configENS1_38merge_sort_block_merge_config_selectorIlNS0_10empty_typeEEEZZNS1_27merge_sort_block_merge_implIS3_PlPS5_mZN2at6native12_GLOBAL__N_124unique_dim_cuda_templateIfEESt5tupleIJNSA_6TensorESF_SF_EERKSF_lbbbEUlllE_EE10hipError_tT0_T1_T2_jT3_P12ihipStream_tbPNSt15iterator_traitsISL_E10value_typeEPNSR_ISM_E10value_typeEPSN_NS1_7vsmem_tEENKUlT_SL_SM_SN_E_clIS8_S8_S9_S9_EESK_S10_SL_SM_SN_EUlS10_E_NS1_11comp_targetILNS1_3genE9ELNS1_11target_archE1100ELNS1_3gpuE3ELNS1_3repE0EEENS1_48merge_mergepath_partition_config_static_selectorELNS0_4arch9wavefront6targetE1EEEvSM_
; %bb.0:
	.section	.rodata,"a",@progbits
	.p2align	6, 0x0
	.amdhsa_kernel _ZN7rocprim17ROCPRIM_400000_NS6detail17trampoline_kernelINS0_14default_configENS1_38merge_sort_block_merge_config_selectorIlNS0_10empty_typeEEEZZNS1_27merge_sort_block_merge_implIS3_PlPS5_mZN2at6native12_GLOBAL__N_124unique_dim_cuda_templateIfEESt5tupleIJNSA_6TensorESF_SF_EERKSF_lbbbEUlllE_EE10hipError_tT0_T1_T2_jT3_P12ihipStream_tbPNSt15iterator_traitsISL_E10value_typeEPNSR_ISM_E10value_typeEPSN_NS1_7vsmem_tEENKUlT_SL_SM_SN_E_clIS8_S8_S9_S9_EESK_S10_SL_SM_SN_EUlS10_E_NS1_11comp_targetILNS1_3genE9ELNS1_11target_archE1100ELNS1_3gpuE3ELNS1_3repE0EEENS1_48merge_mergepath_partition_config_static_selectorELNS0_4arch9wavefront6targetE1EEEvSM_
		.amdhsa_group_segment_fixed_size 0
		.amdhsa_private_segment_fixed_size 0
		.amdhsa_kernarg_size 56
		.amdhsa_user_sgpr_count 2
		.amdhsa_user_sgpr_dispatch_ptr 0
		.amdhsa_user_sgpr_queue_ptr 0
		.amdhsa_user_sgpr_kernarg_segment_ptr 1
		.amdhsa_user_sgpr_dispatch_id 0
		.amdhsa_user_sgpr_kernarg_preload_length 0
		.amdhsa_user_sgpr_kernarg_preload_offset 0
		.amdhsa_user_sgpr_private_segment_size 0
		.amdhsa_uses_dynamic_stack 0
		.amdhsa_enable_private_segment 0
		.amdhsa_system_sgpr_workgroup_id_x 1
		.amdhsa_system_sgpr_workgroup_id_y 0
		.amdhsa_system_sgpr_workgroup_id_z 0
		.amdhsa_system_sgpr_workgroup_info 0
		.amdhsa_system_vgpr_workitem_id 0
		.amdhsa_next_free_vgpr 1
		.amdhsa_next_free_sgpr 0
		.amdhsa_accum_offset 4
		.amdhsa_reserve_vcc 0
		.amdhsa_float_round_mode_32 0
		.amdhsa_float_round_mode_16_64 0
		.amdhsa_float_denorm_mode_32 3
		.amdhsa_float_denorm_mode_16_64 3
		.amdhsa_dx10_clamp 1
		.amdhsa_ieee_mode 1
		.amdhsa_fp16_overflow 0
		.amdhsa_tg_split 0
		.amdhsa_exception_fp_ieee_invalid_op 0
		.amdhsa_exception_fp_denorm_src 0
		.amdhsa_exception_fp_ieee_div_zero 0
		.amdhsa_exception_fp_ieee_overflow 0
		.amdhsa_exception_fp_ieee_underflow 0
		.amdhsa_exception_fp_ieee_inexact 0
		.amdhsa_exception_int_div_zero 0
	.end_amdhsa_kernel
	.section	.text._ZN7rocprim17ROCPRIM_400000_NS6detail17trampoline_kernelINS0_14default_configENS1_38merge_sort_block_merge_config_selectorIlNS0_10empty_typeEEEZZNS1_27merge_sort_block_merge_implIS3_PlPS5_mZN2at6native12_GLOBAL__N_124unique_dim_cuda_templateIfEESt5tupleIJNSA_6TensorESF_SF_EERKSF_lbbbEUlllE_EE10hipError_tT0_T1_T2_jT3_P12ihipStream_tbPNSt15iterator_traitsISL_E10value_typeEPNSR_ISM_E10value_typeEPSN_NS1_7vsmem_tEENKUlT_SL_SM_SN_E_clIS8_S8_S9_S9_EESK_S10_SL_SM_SN_EUlS10_E_NS1_11comp_targetILNS1_3genE9ELNS1_11target_archE1100ELNS1_3gpuE3ELNS1_3repE0EEENS1_48merge_mergepath_partition_config_static_selectorELNS0_4arch9wavefront6targetE1EEEvSM_,"axG",@progbits,_ZN7rocprim17ROCPRIM_400000_NS6detail17trampoline_kernelINS0_14default_configENS1_38merge_sort_block_merge_config_selectorIlNS0_10empty_typeEEEZZNS1_27merge_sort_block_merge_implIS3_PlPS5_mZN2at6native12_GLOBAL__N_124unique_dim_cuda_templateIfEESt5tupleIJNSA_6TensorESF_SF_EERKSF_lbbbEUlllE_EE10hipError_tT0_T1_T2_jT3_P12ihipStream_tbPNSt15iterator_traitsISL_E10value_typeEPNSR_ISM_E10value_typeEPSN_NS1_7vsmem_tEENKUlT_SL_SM_SN_E_clIS8_S8_S9_S9_EESK_S10_SL_SM_SN_EUlS10_E_NS1_11comp_targetILNS1_3genE9ELNS1_11target_archE1100ELNS1_3gpuE3ELNS1_3repE0EEENS1_48merge_mergepath_partition_config_static_selectorELNS0_4arch9wavefront6targetE1EEEvSM_,comdat
.Lfunc_end893:
	.size	_ZN7rocprim17ROCPRIM_400000_NS6detail17trampoline_kernelINS0_14default_configENS1_38merge_sort_block_merge_config_selectorIlNS0_10empty_typeEEEZZNS1_27merge_sort_block_merge_implIS3_PlPS5_mZN2at6native12_GLOBAL__N_124unique_dim_cuda_templateIfEESt5tupleIJNSA_6TensorESF_SF_EERKSF_lbbbEUlllE_EE10hipError_tT0_T1_T2_jT3_P12ihipStream_tbPNSt15iterator_traitsISL_E10value_typeEPNSR_ISM_E10value_typeEPSN_NS1_7vsmem_tEENKUlT_SL_SM_SN_E_clIS8_S8_S9_S9_EESK_S10_SL_SM_SN_EUlS10_E_NS1_11comp_targetILNS1_3genE9ELNS1_11target_archE1100ELNS1_3gpuE3ELNS1_3repE0EEENS1_48merge_mergepath_partition_config_static_selectorELNS0_4arch9wavefront6targetE1EEEvSM_, .Lfunc_end893-_ZN7rocprim17ROCPRIM_400000_NS6detail17trampoline_kernelINS0_14default_configENS1_38merge_sort_block_merge_config_selectorIlNS0_10empty_typeEEEZZNS1_27merge_sort_block_merge_implIS3_PlPS5_mZN2at6native12_GLOBAL__N_124unique_dim_cuda_templateIfEESt5tupleIJNSA_6TensorESF_SF_EERKSF_lbbbEUlllE_EE10hipError_tT0_T1_T2_jT3_P12ihipStream_tbPNSt15iterator_traitsISL_E10value_typeEPNSR_ISM_E10value_typeEPSN_NS1_7vsmem_tEENKUlT_SL_SM_SN_E_clIS8_S8_S9_S9_EESK_S10_SL_SM_SN_EUlS10_E_NS1_11comp_targetILNS1_3genE9ELNS1_11target_archE1100ELNS1_3gpuE3ELNS1_3repE0EEENS1_48merge_mergepath_partition_config_static_selectorELNS0_4arch9wavefront6targetE1EEEvSM_
                                        ; -- End function
	.section	.AMDGPU.csdata,"",@progbits
; Kernel info:
; codeLenInByte = 0
; NumSgprs: 6
; NumVgprs: 0
; NumAgprs: 0
; TotalNumVgprs: 0
; ScratchSize: 0
; MemoryBound: 0
; FloatMode: 240
; IeeeMode: 1
; LDSByteSize: 0 bytes/workgroup (compile time only)
; SGPRBlocks: 0
; VGPRBlocks: 0
; NumSGPRsForWavesPerEU: 6
; NumVGPRsForWavesPerEU: 1
; AccumOffset: 4
; Occupancy: 8
; WaveLimiterHint : 0
; COMPUTE_PGM_RSRC2:SCRATCH_EN: 0
; COMPUTE_PGM_RSRC2:USER_SGPR: 2
; COMPUTE_PGM_RSRC2:TRAP_HANDLER: 0
; COMPUTE_PGM_RSRC2:TGID_X_EN: 1
; COMPUTE_PGM_RSRC2:TGID_Y_EN: 0
; COMPUTE_PGM_RSRC2:TGID_Z_EN: 0
; COMPUTE_PGM_RSRC2:TIDIG_COMP_CNT: 0
; COMPUTE_PGM_RSRC3_GFX90A:ACCUM_OFFSET: 0
; COMPUTE_PGM_RSRC3_GFX90A:TG_SPLIT: 0
	.section	.text._ZN7rocprim17ROCPRIM_400000_NS6detail17trampoline_kernelINS0_14default_configENS1_38merge_sort_block_merge_config_selectorIlNS0_10empty_typeEEEZZNS1_27merge_sort_block_merge_implIS3_PlPS5_mZN2at6native12_GLOBAL__N_124unique_dim_cuda_templateIfEESt5tupleIJNSA_6TensorESF_SF_EERKSF_lbbbEUlllE_EE10hipError_tT0_T1_T2_jT3_P12ihipStream_tbPNSt15iterator_traitsISL_E10value_typeEPNSR_ISM_E10value_typeEPSN_NS1_7vsmem_tEENKUlT_SL_SM_SN_E_clIS8_S8_S9_S9_EESK_S10_SL_SM_SN_EUlS10_E_NS1_11comp_targetILNS1_3genE8ELNS1_11target_archE1030ELNS1_3gpuE2ELNS1_3repE0EEENS1_48merge_mergepath_partition_config_static_selectorELNS0_4arch9wavefront6targetE1EEEvSM_,"axG",@progbits,_ZN7rocprim17ROCPRIM_400000_NS6detail17trampoline_kernelINS0_14default_configENS1_38merge_sort_block_merge_config_selectorIlNS0_10empty_typeEEEZZNS1_27merge_sort_block_merge_implIS3_PlPS5_mZN2at6native12_GLOBAL__N_124unique_dim_cuda_templateIfEESt5tupleIJNSA_6TensorESF_SF_EERKSF_lbbbEUlllE_EE10hipError_tT0_T1_T2_jT3_P12ihipStream_tbPNSt15iterator_traitsISL_E10value_typeEPNSR_ISM_E10value_typeEPSN_NS1_7vsmem_tEENKUlT_SL_SM_SN_E_clIS8_S8_S9_S9_EESK_S10_SL_SM_SN_EUlS10_E_NS1_11comp_targetILNS1_3genE8ELNS1_11target_archE1030ELNS1_3gpuE2ELNS1_3repE0EEENS1_48merge_mergepath_partition_config_static_selectorELNS0_4arch9wavefront6targetE1EEEvSM_,comdat
	.globl	_ZN7rocprim17ROCPRIM_400000_NS6detail17trampoline_kernelINS0_14default_configENS1_38merge_sort_block_merge_config_selectorIlNS0_10empty_typeEEEZZNS1_27merge_sort_block_merge_implIS3_PlPS5_mZN2at6native12_GLOBAL__N_124unique_dim_cuda_templateIfEESt5tupleIJNSA_6TensorESF_SF_EERKSF_lbbbEUlllE_EE10hipError_tT0_T1_T2_jT3_P12ihipStream_tbPNSt15iterator_traitsISL_E10value_typeEPNSR_ISM_E10value_typeEPSN_NS1_7vsmem_tEENKUlT_SL_SM_SN_E_clIS8_S8_S9_S9_EESK_S10_SL_SM_SN_EUlS10_E_NS1_11comp_targetILNS1_3genE8ELNS1_11target_archE1030ELNS1_3gpuE2ELNS1_3repE0EEENS1_48merge_mergepath_partition_config_static_selectorELNS0_4arch9wavefront6targetE1EEEvSM_ ; -- Begin function _ZN7rocprim17ROCPRIM_400000_NS6detail17trampoline_kernelINS0_14default_configENS1_38merge_sort_block_merge_config_selectorIlNS0_10empty_typeEEEZZNS1_27merge_sort_block_merge_implIS3_PlPS5_mZN2at6native12_GLOBAL__N_124unique_dim_cuda_templateIfEESt5tupleIJNSA_6TensorESF_SF_EERKSF_lbbbEUlllE_EE10hipError_tT0_T1_T2_jT3_P12ihipStream_tbPNSt15iterator_traitsISL_E10value_typeEPNSR_ISM_E10value_typeEPSN_NS1_7vsmem_tEENKUlT_SL_SM_SN_E_clIS8_S8_S9_S9_EESK_S10_SL_SM_SN_EUlS10_E_NS1_11comp_targetILNS1_3genE8ELNS1_11target_archE1030ELNS1_3gpuE2ELNS1_3repE0EEENS1_48merge_mergepath_partition_config_static_selectorELNS0_4arch9wavefront6targetE1EEEvSM_
	.p2align	8
	.type	_ZN7rocprim17ROCPRIM_400000_NS6detail17trampoline_kernelINS0_14default_configENS1_38merge_sort_block_merge_config_selectorIlNS0_10empty_typeEEEZZNS1_27merge_sort_block_merge_implIS3_PlPS5_mZN2at6native12_GLOBAL__N_124unique_dim_cuda_templateIfEESt5tupleIJNSA_6TensorESF_SF_EERKSF_lbbbEUlllE_EE10hipError_tT0_T1_T2_jT3_P12ihipStream_tbPNSt15iterator_traitsISL_E10value_typeEPNSR_ISM_E10value_typeEPSN_NS1_7vsmem_tEENKUlT_SL_SM_SN_E_clIS8_S8_S9_S9_EESK_S10_SL_SM_SN_EUlS10_E_NS1_11comp_targetILNS1_3genE8ELNS1_11target_archE1030ELNS1_3gpuE2ELNS1_3repE0EEENS1_48merge_mergepath_partition_config_static_selectorELNS0_4arch9wavefront6targetE1EEEvSM_,@function
_ZN7rocprim17ROCPRIM_400000_NS6detail17trampoline_kernelINS0_14default_configENS1_38merge_sort_block_merge_config_selectorIlNS0_10empty_typeEEEZZNS1_27merge_sort_block_merge_implIS3_PlPS5_mZN2at6native12_GLOBAL__N_124unique_dim_cuda_templateIfEESt5tupleIJNSA_6TensorESF_SF_EERKSF_lbbbEUlllE_EE10hipError_tT0_T1_T2_jT3_P12ihipStream_tbPNSt15iterator_traitsISL_E10value_typeEPNSR_ISM_E10value_typeEPSN_NS1_7vsmem_tEENKUlT_SL_SM_SN_E_clIS8_S8_S9_S9_EESK_S10_SL_SM_SN_EUlS10_E_NS1_11comp_targetILNS1_3genE8ELNS1_11target_archE1030ELNS1_3gpuE2ELNS1_3repE0EEENS1_48merge_mergepath_partition_config_static_selectorELNS0_4arch9wavefront6targetE1EEEvSM_: ; @_ZN7rocprim17ROCPRIM_400000_NS6detail17trampoline_kernelINS0_14default_configENS1_38merge_sort_block_merge_config_selectorIlNS0_10empty_typeEEEZZNS1_27merge_sort_block_merge_implIS3_PlPS5_mZN2at6native12_GLOBAL__N_124unique_dim_cuda_templateIfEESt5tupleIJNSA_6TensorESF_SF_EERKSF_lbbbEUlllE_EE10hipError_tT0_T1_T2_jT3_P12ihipStream_tbPNSt15iterator_traitsISL_E10value_typeEPNSR_ISM_E10value_typeEPSN_NS1_7vsmem_tEENKUlT_SL_SM_SN_E_clIS8_S8_S9_S9_EESK_S10_SL_SM_SN_EUlS10_E_NS1_11comp_targetILNS1_3genE8ELNS1_11target_archE1030ELNS1_3gpuE2ELNS1_3repE0EEENS1_48merge_mergepath_partition_config_static_selectorELNS0_4arch9wavefront6targetE1EEEvSM_
; %bb.0:
	.section	.rodata,"a",@progbits
	.p2align	6, 0x0
	.amdhsa_kernel _ZN7rocprim17ROCPRIM_400000_NS6detail17trampoline_kernelINS0_14default_configENS1_38merge_sort_block_merge_config_selectorIlNS0_10empty_typeEEEZZNS1_27merge_sort_block_merge_implIS3_PlPS5_mZN2at6native12_GLOBAL__N_124unique_dim_cuda_templateIfEESt5tupleIJNSA_6TensorESF_SF_EERKSF_lbbbEUlllE_EE10hipError_tT0_T1_T2_jT3_P12ihipStream_tbPNSt15iterator_traitsISL_E10value_typeEPNSR_ISM_E10value_typeEPSN_NS1_7vsmem_tEENKUlT_SL_SM_SN_E_clIS8_S8_S9_S9_EESK_S10_SL_SM_SN_EUlS10_E_NS1_11comp_targetILNS1_3genE8ELNS1_11target_archE1030ELNS1_3gpuE2ELNS1_3repE0EEENS1_48merge_mergepath_partition_config_static_selectorELNS0_4arch9wavefront6targetE1EEEvSM_
		.amdhsa_group_segment_fixed_size 0
		.amdhsa_private_segment_fixed_size 0
		.amdhsa_kernarg_size 56
		.amdhsa_user_sgpr_count 2
		.amdhsa_user_sgpr_dispatch_ptr 0
		.amdhsa_user_sgpr_queue_ptr 0
		.amdhsa_user_sgpr_kernarg_segment_ptr 1
		.amdhsa_user_sgpr_dispatch_id 0
		.amdhsa_user_sgpr_kernarg_preload_length 0
		.amdhsa_user_sgpr_kernarg_preload_offset 0
		.amdhsa_user_sgpr_private_segment_size 0
		.amdhsa_uses_dynamic_stack 0
		.amdhsa_enable_private_segment 0
		.amdhsa_system_sgpr_workgroup_id_x 1
		.amdhsa_system_sgpr_workgroup_id_y 0
		.amdhsa_system_sgpr_workgroup_id_z 0
		.amdhsa_system_sgpr_workgroup_info 0
		.amdhsa_system_vgpr_workitem_id 0
		.amdhsa_next_free_vgpr 1
		.amdhsa_next_free_sgpr 0
		.amdhsa_accum_offset 4
		.amdhsa_reserve_vcc 0
		.amdhsa_float_round_mode_32 0
		.amdhsa_float_round_mode_16_64 0
		.amdhsa_float_denorm_mode_32 3
		.amdhsa_float_denorm_mode_16_64 3
		.amdhsa_dx10_clamp 1
		.amdhsa_ieee_mode 1
		.amdhsa_fp16_overflow 0
		.amdhsa_tg_split 0
		.amdhsa_exception_fp_ieee_invalid_op 0
		.amdhsa_exception_fp_denorm_src 0
		.amdhsa_exception_fp_ieee_div_zero 0
		.amdhsa_exception_fp_ieee_overflow 0
		.amdhsa_exception_fp_ieee_underflow 0
		.amdhsa_exception_fp_ieee_inexact 0
		.amdhsa_exception_int_div_zero 0
	.end_amdhsa_kernel
	.section	.text._ZN7rocprim17ROCPRIM_400000_NS6detail17trampoline_kernelINS0_14default_configENS1_38merge_sort_block_merge_config_selectorIlNS0_10empty_typeEEEZZNS1_27merge_sort_block_merge_implIS3_PlPS5_mZN2at6native12_GLOBAL__N_124unique_dim_cuda_templateIfEESt5tupleIJNSA_6TensorESF_SF_EERKSF_lbbbEUlllE_EE10hipError_tT0_T1_T2_jT3_P12ihipStream_tbPNSt15iterator_traitsISL_E10value_typeEPNSR_ISM_E10value_typeEPSN_NS1_7vsmem_tEENKUlT_SL_SM_SN_E_clIS8_S8_S9_S9_EESK_S10_SL_SM_SN_EUlS10_E_NS1_11comp_targetILNS1_3genE8ELNS1_11target_archE1030ELNS1_3gpuE2ELNS1_3repE0EEENS1_48merge_mergepath_partition_config_static_selectorELNS0_4arch9wavefront6targetE1EEEvSM_,"axG",@progbits,_ZN7rocprim17ROCPRIM_400000_NS6detail17trampoline_kernelINS0_14default_configENS1_38merge_sort_block_merge_config_selectorIlNS0_10empty_typeEEEZZNS1_27merge_sort_block_merge_implIS3_PlPS5_mZN2at6native12_GLOBAL__N_124unique_dim_cuda_templateIfEESt5tupleIJNSA_6TensorESF_SF_EERKSF_lbbbEUlllE_EE10hipError_tT0_T1_T2_jT3_P12ihipStream_tbPNSt15iterator_traitsISL_E10value_typeEPNSR_ISM_E10value_typeEPSN_NS1_7vsmem_tEENKUlT_SL_SM_SN_E_clIS8_S8_S9_S9_EESK_S10_SL_SM_SN_EUlS10_E_NS1_11comp_targetILNS1_3genE8ELNS1_11target_archE1030ELNS1_3gpuE2ELNS1_3repE0EEENS1_48merge_mergepath_partition_config_static_selectorELNS0_4arch9wavefront6targetE1EEEvSM_,comdat
.Lfunc_end894:
	.size	_ZN7rocprim17ROCPRIM_400000_NS6detail17trampoline_kernelINS0_14default_configENS1_38merge_sort_block_merge_config_selectorIlNS0_10empty_typeEEEZZNS1_27merge_sort_block_merge_implIS3_PlPS5_mZN2at6native12_GLOBAL__N_124unique_dim_cuda_templateIfEESt5tupleIJNSA_6TensorESF_SF_EERKSF_lbbbEUlllE_EE10hipError_tT0_T1_T2_jT3_P12ihipStream_tbPNSt15iterator_traitsISL_E10value_typeEPNSR_ISM_E10value_typeEPSN_NS1_7vsmem_tEENKUlT_SL_SM_SN_E_clIS8_S8_S9_S9_EESK_S10_SL_SM_SN_EUlS10_E_NS1_11comp_targetILNS1_3genE8ELNS1_11target_archE1030ELNS1_3gpuE2ELNS1_3repE0EEENS1_48merge_mergepath_partition_config_static_selectorELNS0_4arch9wavefront6targetE1EEEvSM_, .Lfunc_end894-_ZN7rocprim17ROCPRIM_400000_NS6detail17trampoline_kernelINS0_14default_configENS1_38merge_sort_block_merge_config_selectorIlNS0_10empty_typeEEEZZNS1_27merge_sort_block_merge_implIS3_PlPS5_mZN2at6native12_GLOBAL__N_124unique_dim_cuda_templateIfEESt5tupleIJNSA_6TensorESF_SF_EERKSF_lbbbEUlllE_EE10hipError_tT0_T1_T2_jT3_P12ihipStream_tbPNSt15iterator_traitsISL_E10value_typeEPNSR_ISM_E10value_typeEPSN_NS1_7vsmem_tEENKUlT_SL_SM_SN_E_clIS8_S8_S9_S9_EESK_S10_SL_SM_SN_EUlS10_E_NS1_11comp_targetILNS1_3genE8ELNS1_11target_archE1030ELNS1_3gpuE2ELNS1_3repE0EEENS1_48merge_mergepath_partition_config_static_selectorELNS0_4arch9wavefront6targetE1EEEvSM_
                                        ; -- End function
	.section	.AMDGPU.csdata,"",@progbits
; Kernel info:
; codeLenInByte = 0
; NumSgprs: 6
; NumVgprs: 0
; NumAgprs: 0
; TotalNumVgprs: 0
; ScratchSize: 0
; MemoryBound: 0
; FloatMode: 240
; IeeeMode: 1
; LDSByteSize: 0 bytes/workgroup (compile time only)
; SGPRBlocks: 0
; VGPRBlocks: 0
; NumSGPRsForWavesPerEU: 6
; NumVGPRsForWavesPerEU: 1
; AccumOffset: 4
; Occupancy: 8
; WaveLimiterHint : 0
; COMPUTE_PGM_RSRC2:SCRATCH_EN: 0
; COMPUTE_PGM_RSRC2:USER_SGPR: 2
; COMPUTE_PGM_RSRC2:TRAP_HANDLER: 0
; COMPUTE_PGM_RSRC2:TGID_X_EN: 1
; COMPUTE_PGM_RSRC2:TGID_Y_EN: 0
; COMPUTE_PGM_RSRC2:TGID_Z_EN: 0
; COMPUTE_PGM_RSRC2:TIDIG_COMP_CNT: 0
; COMPUTE_PGM_RSRC3_GFX90A:ACCUM_OFFSET: 0
; COMPUTE_PGM_RSRC3_GFX90A:TG_SPLIT: 0
	.section	.text._ZN7rocprim17ROCPRIM_400000_NS6detail17trampoline_kernelINS0_14default_configENS1_38merge_sort_block_merge_config_selectorIlNS0_10empty_typeEEEZZNS1_27merge_sort_block_merge_implIS3_PlPS5_mZN2at6native12_GLOBAL__N_124unique_dim_cuda_templateIfEESt5tupleIJNSA_6TensorESF_SF_EERKSF_lbbbEUlllE_EE10hipError_tT0_T1_T2_jT3_P12ihipStream_tbPNSt15iterator_traitsISL_E10value_typeEPNSR_ISM_E10value_typeEPSN_NS1_7vsmem_tEENKUlT_SL_SM_SN_E_clIS8_S8_S9_S9_EESK_S10_SL_SM_SN_EUlS10_E0_NS1_11comp_targetILNS1_3genE0ELNS1_11target_archE4294967295ELNS1_3gpuE0ELNS1_3repE0EEENS1_38merge_mergepath_config_static_selectorELNS0_4arch9wavefront6targetE1EEEvSM_,"axG",@progbits,_ZN7rocprim17ROCPRIM_400000_NS6detail17trampoline_kernelINS0_14default_configENS1_38merge_sort_block_merge_config_selectorIlNS0_10empty_typeEEEZZNS1_27merge_sort_block_merge_implIS3_PlPS5_mZN2at6native12_GLOBAL__N_124unique_dim_cuda_templateIfEESt5tupleIJNSA_6TensorESF_SF_EERKSF_lbbbEUlllE_EE10hipError_tT0_T1_T2_jT3_P12ihipStream_tbPNSt15iterator_traitsISL_E10value_typeEPNSR_ISM_E10value_typeEPSN_NS1_7vsmem_tEENKUlT_SL_SM_SN_E_clIS8_S8_S9_S9_EESK_S10_SL_SM_SN_EUlS10_E0_NS1_11comp_targetILNS1_3genE0ELNS1_11target_archE4294967295ELNS1_3gpuE0ELNS1_3repE0EEENS1_38merge_mergepath_config_static_selectorELNS0_4arch9wavefront6targetE1EEEvSM_,comdat
	.globl	_ZN7rocprim17ROCPRIM_400000_NS6detail17trampoline_kernelINS0_14default_configENS1_38merge_sort_block_merge_config_selectorIlNS0_10empty_typeEEEZZNS1_27merge_sort_block_merge_implIS3_PlPS5_mZN2at6native12_GLOBAL__N_124unique_dim_cuda_templateIfEESt5tupleIJNSA_6TensorESF_SF_EERKSF_lbbbEUlllE_EE10hipError_tT0_T1_T2_jT3_P12ihipStream_tbPNSt15iterator_traitsISL_E10value_typeEPNSR_ISM_E10value_typeEPSN_NS1_7vsmem_tEENKUlT_SL_SM_SN_E_clIS8_S8_S9_S9_EESK_S10_SL_SM_SN_EUlS10_E0_NS1_11comp_targetILNS1_3genE0ELNS1_11target_archE4294967295ELNS1_3gpuE0ELNS1_3repE0EEENS1_38merge_mergepath_config_static_selectorELNS0_4arch9wavefront6targetE1EEEvSM_ ; -- Begin function _ZN7rocprim17ROCPRIM_400000_NS6detail17trampoline_kernelINS0_14default_configENS1_38merge_sort_block_merge_config_selectorIlNS0_10empty_typeEEEZZNS1_27merge_sort_block_merge_implIS3_PlPS5_mZN2at6native12_GLOBAL__N_124unique_dim_cuda_templateIfEESt5tupleIJNSA_6TensorESF_SF_EERKSF_lbbbEUlllE_EE10hipError_tT0_T1_T2_jT3_P12ihipStream_tbPNSt15iterator_traitsISL_E10value_typeEPNSR_ISM_E10value_typeEPSN_NS1_7vsmem_tEENKUlT_SL_SM_SN_E_clIS8_S8_S9_S9_EESK_S10_SL_SM_SN_EUlS10_E0_NS1_11comp_targetILNS1_3genE0ELNS1_11target_archE4294967295ELNS1_3gpuE0ELNS1_3repE0EEENS1_38merge_mergepath_config_static_selectorELNS0_4arch9wavefront6targetE1EEEvSM_
	.p2align	8
	.type	_ZN7rocprim17ROCPRIM_400000_NS6detail17trampoline_kernelINS0_14default_configENS1_38merge_sort_block_merge_config_selectorIlNS0_10empty_typeEEEZZNS1_27merge_sort_block_merge_implIS3_PlPS5_mZN2at6native12_GLOBAL__N_124unique_dim_cuda_templateIfEESt5tupleIJNSA_6TensorESF_SF_EERKSF_lbbbEUlllE_EE10hipError_tT0_T1_T2_jT3_P12ihipStream_tbPNSt15iterator_traitsISL_E10value_typeEPNSR_ISM_E10value_typeEPSN_NS1_7vsmem_tEENKUlT_SL_SM_SN_E_clIS8_S8_S9_S9_EESK_S10_SL_SM_SN_EUlS10_E0_NS1_11comp_targetILNS1_3genE0ELNS1_11target_archE4294967295ELNS1_3gpuE0ELNS1_3repE0EEENS1_38merge_mergepath_config_static_selectorELNS0_4arch9wavefront6targetE1EEEvSM_,@function
_ZN7rocprim17ROCPRIM_400000_NS6detail17trampoline_kernelINS0_14default_configENS1_38merge_sort_block_merge_config_selectorIlNS0_10empty_typeEEEZZNS1_27merge_sort_block_merge_implIS3_PlPS5_mZN2at6native12_GLOBAL__N_124unique_dim_cuda_templateIfEESt5tupleIJNSA_6TensorESF_SF_EERKSF_lbbbEUlllE_EE10hipError_tT0_T1_T2_jT3_P12ihipStream_tbPNSt15iterator_traitsISL_E10value_typeEPNSR_ISM_E10value_typeEPSN_NS1_7vsmem_tEENKUlT_SL_SM_SN_E_clIS8_S8_S9_S9_EESK_S10_SL_SM_SN_EUlS10_E0_NS1_11comp_targetILNS1_3genE0ELNS1_11target_archE4294967295ELNS1_3gpuE0ELNS1_3repE0EEENS1_38merge_mergepath_config_static_selectorELNS0_4arch9wavefront6targetE1EEEvSM_: ; @_ZN7rocprim17ROCPRIM_400000_NS6detail17trampoline_kernelINS0_14default_configENS1_38merge_sort_block_merge_config_selectorIlNS0_10empty_typeEEEZZNS1_27merge_sort_block_merge_implIS3_PlPS5_mZN2at6native12_GLOBAL__N_124unique_dim_cuda_templateIfEESt5tupleIJNSA_6TensorESF_SF_EERKSF_lbbbEUlllE_EE10hipError_tT0_T1_T2_jT3_P12ihipStream_tbPNSt15iterator_traitsISL_E10value_typeEPNSR_ISM_E10value_typeEPSN_NS1_7vsmem_tEENKUlT_SL_SM_SN_E_clIS8_S8_S9_S9_EESK_S10_SL_SM_SN_EUlS10_E0_NS1_11comp_targetILNS1_3genE0ELNS1_11target_archE4294967295ELNS1_3gpuE0ELNS1_3repE0EEENS1_38merge_mergepath_config_static_selectorELNS0_4arch9wavefront6targetE1EEEvSM_
; %bb.0:
	.section	.rodata,"a",@progbits
	.p2align	6, 0x0
	.amdhsa_kernel _ZN7rocprim17ROCPRIM_400000_NS6detail17trampoline_kernelINS0_14default_configENS1_38merge_sort_block_merge_config_selectorIlNS0_10empty_typeEEEZZNS1_27merge_sort_block_merge_implIS3_PlPS5_mZN2at6native12_GLOBAL__N_124unique_dim_cuda_templateIfEESt5tupleIJNSA_6TensorESF_SF_EERKSF_lbbbEUlllE_EE10hipError_tT0_T1_T2_jT3_P12ihipStream_tbPNSt15iterator_traitsISL_E10value_typeEPNSR_ISM_E10value_typeEPSN_NS1_7vsmem_tEENKUlT_SL_SM_SN_E_clIS8_S8_S9_S9_EESK_S10_SL_SM_SN_EUlS10_E0_NS1_11comp_targetILNS1_3genE0ELNS1_11target_archE4294967295ELNS1_3gpuE0ELNS1_3repE0EEENS1_38merge_mergepath_config_static_selectorELNS0_4arch9wavefront6targetE1EEEvSM_
		.amdhsa_group_segment_fixed_size 0
		.amdhsa_private_segment_fixed_size 0
		.amdhsa_kernarg_size 88
		.amdhsa_user_sgpr_count 2
		.amdhsa_user_sgpr_dispatch_ptr 0
		.amdhsa_user_sgpr_queue_ptr 0
		.amdhsa_user_sgpr_kernarg_segment_ptr 1
		.amdhsa_user_sgpr_dispatch_id 0
		.amdhsa_user_sgpr_kernarg_preload_length 0
		.amdhsa_user_sgpr_kernarg_preload_offset 0
		.amdhsa_user_sgpr_private_segment_size 0
		.amdhsa_uses_dynamic_stack 0
		.amdhsa_enable_private_segment 0
		.amdhsa_system_sgpr_workgroup_id_x 1
		.amdhsa_system_sgpr_workgroup_id_y 0
		.amdhsa_system_sgpr_workgroup_id_z 0
		.amdhsa_system_sgpr_workgroup_info 0
		.amdhsa_system_vgpr_workitem_id 0
		.amdhsa_next_free_vgpr 1
		.amdhsa_next_free_sgpr 0
		.amdhsa_accum_offset 4
		.amdhsa_reserve_vcc 0
		.amdhsa_float_round_mode_32 0
		.amdhsa_float_round_mode_16_64 0
		.amdhsa_float_denorm_mode_32 3
		.amdhsa_float_denorm_mode_16_64 3
		.amdhsa_dx10_clamp 1
		.amdhsa_ieee_mode 1
		.amdhsa_fp16_overflow 0
		.amdhsa_tg_split 0
		.amdhsa_exception_fp_ieee_invalid_op 0
		.amdhsa_exception_fp_denorm_src 0
		.amdhsa_exception_fp_ieee_div_zero 0
		.amdhsa_exception_fp_ieee_overflow 0
		.amdhsa_exception_fp_ieee_underflow 0
		.amdhsa_exception_fp_ieee_inexact 0
		.amdhsa_exception_int_div_zero 0
	.end_amdhsa_kernel
	.section	.text._ZN7rocprim17ROCPRIM_400000_NS6detail17trampoline_kernelINS0_14default_configENS1_38merge_sort_block_merge_config_selectorIlNS0_10empty_typeEEEZZNS1_27merge_sort_block_merge_implIS3_PlPS5_mZN2at6native12_GLOBAL__N_124unique_dim_cuda_templateIfEESt5tupleIJNSA_6TensorESF_SF_EERKSF_lbbbEUlllE_EE10hipError_tT0_T1_T2_jT3_P12ihipStream_tbPNSt15iterator_traitsISL_E10value_typeEPNSR_ISM_E10value_typeEPSN_NS1_7vsmem_tEENKUlT_SL_SM_SN_E_clIS8_S8_S9_S9_EESK_S10_SL_SM_SN_EUlS10_E0_NS1_11comp_targetILNS1_3genE0ELNS1_11target_archE4294967295ELNS1_3gpuE0ELNS1_3repE0EEENS1_38merge_mergepath_config_static_selectorELNS0_4arch9wavefront6targetE1EEEvSM_,"axG",@progbits,_ZN7rocprim17ROCPRIM_400000_NS6detail17trampoline_kernelINS0_14default_configENS1_38merge_sort_block_merge_config_selectorIlNS0_10empty_typeEEEZZNS1_27merge_sort_block_merge_implIS3_PlPS5_mZN2at6native12_GLOBAL__N_124unique_dim_cuda_templateIfEESt5tupleIJNSA_6TensorESF_SF_EERKSF_lbbbEUlllE_EE10hipError_tT0_T1_T2_jT3_P12ihipStream_tbPNSt15iterator_traitsISL_E10value_typeEPNSR_ISM_E10value_typeEPSN_NS1_7vsmem_tEENKUlT_SL_SM_SN_E_clIS8_S8_S9_S9_EESK_S10_SL_SM_SN_EUlS10_E0_NS1_11comp_targetILNS1_3genE0ELNS1_11target_archE4294967295ELNS1_3gpuE0ELNS1_3repE0EEENS1_38merge_mergepath_config_static_selectorELNS0_4arch9wavefront6targetE1EEEvSM_,comdat
.Lfunc_end895:
	.size	_ZN7rocprim17ROCPRIM_400000_NS6detail17trampoline_kernelINS0_14default_configENS1_38merge_sort_block_merge_config_selectorIlNS0_10empty_typeEEEZZNS1_27merge_sort_block_merge_implIS3_PlPS5_mZN2at6native12_GLOBAL__N_124unique_dim_cuda_templateIfEESt5tupleIJNSA_6TensorESF_SF_EERKSF_lbbbEUlllE_EE10hipError_tT0_T1_T2_jT3_P12ihipStream_tbPNSt15iterator_traitsISL_E10value_typeEPNSR_ISM_E10value_typeEPSN_NS1_7vsmem_tEENKUlT_SL_SM_SN_E_clIS8_S8_S9_S9_EESK_S10_SL_SM_SN_EUlS10_E0_NS1_11comp_targetILNS1_3genE0ELNS1_11target_archE4294967295ELNS1_3gpuE0ELNS1_3repE0EEENS1_38merge_mergepath_config_static_selectorELNS0_4arch9wavefront6targetE1EEEvSM_, .Lfunc_end895-_ZN7rocprim17ROCPRIM_400000_NS6detail17trampoline_kernelINS0_14default_configENS1_38merge_sort_block_merge_config_selectorIlNS0_10empty_typeEEEZZNS1_27merge_sort_block_merge_implIS3_PlPS5_mZN2at6native12_GLOBAL__N_124unique_dim_cuda_templateIfEESt5tupleIJNSA_6TensorESF_SF_EERKSF_lbbbEUlllE_EE10hipError_tT0_T1_T2_jT3_P12ihipStream_tbPNSt15iterator_traitsISL_E10value_typeEPNSR_ISM_E10value_typeEPSN_NS1_7vsmem_tEENKUlT_SL_SM_SN_E_clIS8_S8_S9_S9_EESK_S10_SL_SM_SN_EUlS10_E0_NS1_11comp_targetILNS1_3genE0ELNS1_11target_archE4294967295ELNS1_3gpuE0ELNS1_3repE0EEENS1_38merge_mergepath_config_static_selectorELNS0_4arch9wavefront6targetE1EEEvSM_
                                        ; -- End function
	.section	.AMDGPU.csdata,"",@progbits
; Kernel info:
; codeLenInByte = 0
; NumSgprs: 6
; NumVgprs: 0
; NumAgprs: 0
; TotalNumVgprs: 0
; ScratchSize: 0
; MemoryBound: 0
; FloatMode: 240
; IeeeMode: 1
; LDSByteSize: 0 bytes/workgroup (compile time only)
; SGPRBlocks: 0
; VGPRBlocks: 0
; NumSGPRsForWavesPerEU: 6
; NumVGPRsForWavesPerEU: 1
; AccumOffset: 4
; Occupancy: 8
; WaveLimiterHint : 0
; COMPUTE_PGM_RSRC2:SCRATCH_EN: 0
; COMPUTE_PGM_RSRC2:USER_SGPR: 2
; COMPUTE_PGM_RSRC2:TRAP_HANDLER: 0
; COMPUTE_PGM_RSRC2:TGID_X_EN: 1
; COMPUTE_PGM_RSRC2:TGID_Y_EN: 0
; COMPUTE_PGM_RSRC2:TGID_Z_EN: 0
; COMPUTE_PGM_RSRC2:TIDIG_COMP_CNT: 0
; COMPUTE_PGM_RSRC3_GFX90A:ACCUM_OFFSET: 0
; COMPUTE_PGM_RSRC3_GFX90A:TG_SPLIT: 0
	.section	.text._ZN7rocprim17ROCPRIM_400000_NS6detail17trampoline_kernelINS0_14default_configENS1_38merge_sort_block_merge_config_selectorIlNS0_10empty_typeEEEZZNS1_27merge_sort_block_merge_implIS3_PlPS5_mZN2at6native12_GLOBAL__N_124unique_dim_cuda_templateIfEESt5tupleIJNSA_6TensorESF_SF_EERKSF_lbbbEUlllE_EE10hipError_tT0_T1_T2_jT3_P12ihipStream_tbPNSt15iterator_traitsISL_E10value_typeEPNSR_ISM_E10value_typeEPSN_NS1_7vsmem_tEENKUlT_SL_SM_SN_E_clIS8_S8_S9_S9_EESK_S10_SL_SM_SN_EUlS10_E0_NS1_11comp_targetILNS1_3genE10ELNS1_11target_archE1201ELNS1_3gpuE5ELNS1_3repE0EEENS1_38merge_mergepath_config_static_selectorELNS0_4arch9wavefront6targetE1EEEvSM_,"axG",@progbits,_ZN7rocprim17ROCPRIM_400000_NS6detail17trampoline_kernelINS0_14default_configENS1_38merge_sort_block_merge_config_selectorIlNS0_10empty_typeEEEZZNS1_27merge_sort_block_merge_implIS3_PlPS5_mZN2at6native12_GLOBAL__N_124unique_dim_cuda_templateIfEESt5tupleIJNSA_6TensorESF_SF_EERKSF_lbbbEUlllE_EE10hipError_tT0_T1_T2_jT3_P12ihipStream_tbPNSt15iterator_traitsISL_E10value_typeEPNSR_ISM_E10value_typeEPSN_NS1_7vsmem_tEENKUlT_SL_SM_SN_E_clIS8_S8_S9_S9_EESK_S10_SL_SM_SN_EUlS10_E0_NS1_11comp_targetILNS1_3genE10ELNS1_11target_archE1201ELNS1_3gpuE5ELNS1_3repE0EEENS1_38merge_mergepath_config_static_selectorELNS0_4arch9wavefront6targetE1EEEvSM_,comdat
	.globl	_ZN7rocprim17ROCPRIM_400000_NS6detail17trampoline_kernelINS0_14default_configENS1_38merge_sort_block_merge_config_selectorIlNS0_10empty_typeEEEZZNS1_27merge_sort_block_merge_implIS3_PlPS5_mZN2at6native12_GLOBAL__N_124unique_dim_cuda_templateIfEESt5tupleIJNSA_6TensorESF_SF_EERKSF_lbbbEUlllE_EE10hipError_tT0_T1_T2_jT3_P12ihipStream_tbPNSt15iterator_traitsISL_E10value_typeEPNSR_ISM_E10value_typeEPSN_NS1_7vsmem_tEENKUlT_SL_SM_SN_E_clIS8_S8_S9_S9_EESK_S10_SL_SM_SN_EUlS10_E0_NS1_11comp_targetILNS1_3genE10ELNS1_11target_archE1201ELNS1_3gpuE5ELNS1_3repE0EEENS1_38merge_mergepath_config_static_selectorELNS0_4arch9wavefront6targetE1EEEvSM_ ; -- Begin function _ZN7rocprim17ROCPRIM_400000_NS6detail17trampoline_kernelINS0_14default_configENS1_38merge_sort_block_merge_config_selectorIlNS0_10empty_typeEEEZZNS1_27merge_sort_block_merge_implIS3_PlPS5_mZN2at6native12_GLOBAL__N_124unique_dim_cuda_templateIfEESt5tupleIJNSA_6TensorESF_SF_EERKSF_lbbbEUlllE_EE10hipError_tT0_T1_T2_jT3_P12ihipStream_tbPNSt15iterator_traitsISL_E10value_typeEPNSR_ISM_E10value_typeEPSN_NS1_7vsmem_tEENKUlT_SL_SM_SN_E_clIS8_S8_S9_S9_EESK_S10_SL_SM_SN_EUlS10_E0_NS1_11comp_targetILNS1_3genE10ELNS1_11target_archE1201ELNS1_3gpuE5ELNS1_3repE0EEENS1_38merge_mergepath_config_static_selectorELNS0_4arch9wavefront6targetE1EEEvSM_
	.p2align	8
	.type	_ZN7rocprim17ROCPRIM_400000_NS6detail17trampoline_kernelINS0_14default_configENS1_38merge_sort_block_merge_config_selectorIlNS0_10empty_typeEEEZZNS1_27merge_sort_block_merge_implIS3_PlPS5_mZN2at6native12_GLOBAL__N_124unique_dim_cuda_templateIfEESt5tupleIJNSA_6TensorESF_SF_EERKSF_lbbbEUlllE_EE10hipError_tT0_T1_T2_jT3_P12ihipStream_tbPNSt15iterator_traitsISL_E10value_typeEPNSR_ISM_E10value_typeEPSN_NS1_7vsmem_tEENKUlT_SL_SM_SN_E_clIS8_S8_S9_S9_EESK_S10_SL_SM_SN_EUlS10_E0_NS1_11comp_targetILNS1_3genE10ELNS1_11target_archE1201ELNS1_3gpuE5ELNS1_3repE0EEENS1_38merge_mergepath_config_static_selectorELNS0_4arch9wavefront6targetE1EEEvSM_,@function
_ZN7rocprim17ROCPRIM_400000_NS6detail17trampoline_kernelINS0_14default_configENS1_38merge_sort_block_merge_config_selectorIlNS0_10empty_typeEEEZZNS1_27merge_sort_block_merge_implIS3_PlPS5_mZN2at6native12_GLOBAL__N_124unique_dim_cuda_templateIfEESt5tupleIJNSA_6TensorESF_SF_EERKSF_lbbbEUlllE_EE10hipError_tT0_T1_T2_jT3_P12ihipStream_tbPNSt15iterator_traitsISL_E10value_typeEPNSR_ISM_E10value_typeEPSN_NS1_7vsmem_tEENKUlT_SL_SM_SN_E_clIS8_S8_S9_S9_EESK_S10_SL_SM_SN_EUlS10_E0_NS1_11comp_targetILNS1_3genE10ELNS1_11target_archE1201ELNS1_3gpuE5ELNS1_3repE0EEENS1_38merge_mergepath_config_static_selectorELNS0_4arch9wavefront6targetE1EEEvSM_: ; @_ZN7rocprim17ROCPRIM_400000_NS6detail17trampoline_kernelINS0_14default_configENS1_38merge_sort_block_merge_config_selectorIlNS0_10empty_typeEEEZZNS1_27merge_sort_block_merge_implIS3_PlPS5_mZN2at6native12_GLOBAL__N_124unique_dim_cuda_templateIfEESt5tupleIJNSA_6TensorESF_SF_EERKSF_lbbbEUlllE_EE10hipError_tT0_T1_T2_jT3_P12ihipStream_tbPNSt15iterator_traitsISL_E10value_typeEPNSR_ISM_E10value_typeEPSN_NS1_7vsmem_tEENKUlT_SL_SM_SN_E_clIS8_S8_S9_S9_EESK_S10_SL_SM_SN_EUlS10_E0_NS1_11comp_targetILNS1_3genE10ELNS1_11target_archE1201ELNS1_3gpuE5ELNS1_3repE0EEENS1_38merge_mergepath_config_static_selectorELNS0_4arch9wavefront6targetE1EEEvSM_
; %bb.0:
	.section	.rodata,"a",@progbits
	.p2align	6, 0x0
	.amdhsa_kernel _ZN7rocprim17ROCPRIM_400000_NS6detail17trampoline_kernelINS0_14default_configENS1_38merge_sort_block_merge_config_selectorIlNS0_10empty_typeEEEZZNS1_27merge_sort_block_merge_implIS3_PlPS5_mZN2at6native12_GLOBAL__N_124unique_dim_cuda_templateIfEESt5tupleIJNSA_6TensorESF_SF_EERKSF_lbbbEUlllE_EE10hipError_tT0_T1_T2_jT3_P12ihipStream_tbPNSt15iterator_traitsISL_E10value_typeEPNSR_ISM_E10value_typeEPSN_NS1_7vsmem_tEENKUlT_SL_SM_SN_E_clIS8_S8_S9_S9_EESK_S10_SL_SM_SN_EUlS10_E0_NS1_11comp_targetILNS1_3genE10ELNS1_11target_archE1201ELNS1_3gpuE5ELNS1_3repE0EEENS1_38merge_mergepath_config_static_selectorELNS0_4arch9wavefront6targetE1EEEvSM_
		.amdhsa_group_segment_fixed_size 0
		.amdhsa_private_segment_fixed_size 0
		.amdhsa_kernarg_size 88
		.amdhsa_user_sgpr_count 2
		.amdhsa_user_sgpr_dispatch_ptr 0
		.amdhsa_user_sgpr_queue_ptr 0
		.amdhsa_user_sgpr_kernarg_segment_ptr 1
		.amdhsa_user_sgpr_dispatch_id 0
		.amdhsa_user_sgpr_kernarg_preload_length 0
		.amdhsa_user_sgpr_kernarg_preload_offset 0
		.amdhsa_user_sgpr_private_segment_size 0
		.amdhsa_uses_dynamic_stack 0
		.amdhsa_enable_private_segment 0
		.amdhsa_system_sgpr_workgroup_id_x 1
		.amdhsa_system_sgpr_workgroup_id_y 0
		.amdhsa_system_sgpr_workgroup_id_z 0
		.amdhsa_system_sgpr_workgroup_info 0
		.amdhsa_system_vgpr_workitem_id 0
		.amdhsa_next_free_vgpr 1
		.amdhsa_next_free_sgpr 0
		.amdhsa_accum_offset 4
		.amdhsa_reserve_vcc 0
		.amdhsa_float_round_mode_32 0
		.amdhsa_float_round_mode_16_64 0
		.amdhsa_float_denorm_mode_32 3
		.amdhsa_float_denorm_mode_16_64 3
		.amdhsa_dx10_clamp 1
		.amdhsa_ieee_mode 1
		.amdhsa_fp16_overflow 0
		.amdhsa_tg_split 0
		.amdhsa_exception_fp_ieee_invalid_op 0
		.amdhsa_exception_fp_denorm_src 0
		.amdhsa_exception_fp_ieee_div_zero 0
		.amdhsa_exception_fp_ieee_overflow 0
		.amdhsa_exception_fp_ieee_underflow 0
		.amdhsa_exception_fp_ieee_inexact 0
		.amdhsa_exception_int_div_zero 0
	.end_amdhsa_kernel
	.section	.text._ZN7rocprim17ROCPRIM_400000_NS6detail17trampoline_kernelINS0_14default_configENS1_38merge_sort_block_merge_config_selectorIlNS0_10empty_typeEEEZZNS1_27merge_sort_block_merge_implIS3_PlPS5_mZN2at6native12_GLOBAL__N_124unique_dim_cuda_templateIfEESt5tupleIJNSA_6TensorESF_SF_EERKSF_lbbbEUlllE_EE10hipError_tT0_T1_T2_jT3_P12ihipStream_tbPNSt15iterator_traitsISL_E10value_typeEPNSR_ISM_E10value_typeEPSN_NS1_7vsmem_tEENKUlT_SL_SM_SN_E_clIS8_S8_S9_S9_EESK_S10_SL_SM_SN_EUlS10_E0_NS1_11comp_targetILNS1_3genE10ELNS1_11target_archE1201ELNS1_3gpuE5ELNS1_3repE0EEENS1_38merge_mergepath_config_static_selectorELNS0_4arch9wavefront6targetE1EEEvSM_,"axG",@progbits,_ZN7rocprim17ROCPRIM_400000_NS6detail17trampoline_kernelINS0_14default_configENS1_38merge_sort_block_merge_config_selectorIlNS0_10empty_typeEEEZZNS1_27merge_sort_block_merge_implIS3_PlPS5_mZN2at6native12_GLOBAL__N_124unique_dim_cuda_templateIfEESt5tupleIJNSA_6TensorESF_SF_EERKSF_lbbbEUlllE_EE10hipError_tT0_T1_T2_jT3_P12ihipStream_tbPNSt15iterator_traitsISL_E10value_typeEPNSR_ISM_E10value_typeEPSN_NS1_7vsmem_tEENKUlT_SL_SM_SN_E_clIS8_S8_S9_S9_EESK_S10_SL_SM_SN_EUlS10_E0_NS1_11comp_targetILNS1_3genE10ELNS1_11target_archE1201ELNS1_3gpuE5ELNS1_3repE0EEENS1_38merge_mergepath_config_static_selectorELNS0_4arch9wavefront6targetE1EEEvSM_,comdat
.Lfunc_end896:
	.size	_ZN7rocprim17ROCPRIM_400000_NS6detail17trampoline_kernelINS0_14default_configENS1_38merge_sort_block_merge_config_selectorIlNS0_10empty_typeEEEZZNS1_27merge_sort_block_merge_implIS3_PlPS5_mZN2at6native12_GLOBAL__N_124unique_dim_cuda_templateIfEESt5tupleIJNSA_6TensorESF_SF_EERKSF_lbbbEUlllE_EE10hipError_tT0_T1_T2_jT3_P12ihipStream_tbPNSt15iterator_traitsISL_E10value_typeEPNSR_ISM_E10value_typeEPSN_NS1_7vsmem_tEENKUlT_SL_SM_SN_E_clIS8_S8_S9_S9_EESK_S10_SL_SM_SN_EUlS10_E0_NS1_11comp_targetILNS1_3genE10ELNS1_11target_archE1201ELNS1_3gpuE5ELNS1_3repE0EEENS1_38merge_mergepath_config_static_selectorELNS0_4arch9wavefront6targetE1EEEvSM_, .Lfunc_end896-_ZN7rocprim17ROCPRIM_400000_NS6detail17trampoline_kernelINS0_14default_configENS1_38merge_sort_block_merge_config_selectorIlNS0_10empty_typeEEEZZNS1_27merge_sort_block_merge_implIS3_PlPS5_mZN2at6native12_GLOBAL__N_124unique_dim_cuda_templateIfEESt5tupleIJNSA_6TensorESF_SF_EERKSF_lbbbEUlllE_EE10hipError_tT0_T1_T2_jT3_P12ihipStream_tbPNSt15iterator_traitsISL_E10value_typeEPNSR_ISM_E10value_typeEPSN_NS1_7vsmem_tEENKUlT_SL_SM_SN_E_clIS8_S8_S9_S9_EESK_S10_SL_SM_SN_EUlS10_E0_NS1_11comp_targetILNS1_3genE10ELNS1_11target_archE1201ELNS1_3gpuE5ELNS1_3repE0EEENS1_38merge_mergepath_config_static_selectorELNS0_4arch9wavefront6targetE1EEEvSM_
                                        ; -- End function
	.section	.AMDGPU.csdata,"",@progbits
; Kernel info:
; codeLenInByte = 0
; NumSgprs: 6
; NumVgprs: 0
; NumAgprs: 0
; TotalNumVgprs: 0
; ScratchSize: 0
; MemoryBound: 0
; FloatMode: 240
; IeeeMode: 1
; LDSByteSize: 0 bytes/workgroup (compile time only)
; SGPRBlocks: 0
; VGPRBlocks: 0
; NumSGPRsForWavesPerEU: 6
; NumVGPRsForWavesPerEU: 1
; AccumOffset: 4
; Occupancy: 8
; WaveLimiterHint : 0
; COMPUTE_PGM_RSRC2:SCRATCH_EN: 0
; COMPUTE_PGM_RSRC2:USER_SGPR: 2
; COMPUTE_PGM_RSRC2:TRAP_HANDLER: 0
; COMPUTE_PGM_RSRC2:TGID_X_EN: 1
; COMPUTE_PGM_RSRC2:TGID_Y_EN: 0
; COMPUTE_PGM_RSRC2:TGID_Z_EN: 0
; COMPUTE_PGM_RSRC2:TIDIG_COMP_CNT: 0
; COMPUTE_PGM_RSRC3_GFX90A:ACCUM_OFFSET: 0
; COMPUTE_PGM_RSRC3_GFX90A:TG_SPLIT: 0
	.section	.text._ZN7rocprim17ROCPRIM_400000_NS6detail17trampoline_kernelINS0_14default_configENS1_38merge_sort_block_merge_config_selectorIlNS0_10empty_typeEEEZZNS1_27merge_sort_block_merge_implIS3_PlPS5_mZN2at6native12_GLOBAL__N_124unique_dim_cuda_templateIfEESt5tupleIJNSA_6TensorESF_SF_EERKSF_lbbbEUlllE_EE10hipError_tT0_T1_T2_jT3_P12ihipStream_tbPNSt15iterator_traitsISL_E10value_typeEPNSR_ISM_E10value_typeEPSN_NS1_7vsmem_tEENKUlT_SL_SM_SN_E_clIS8_S8_S9_S9_EESK_S10_SL_SM_SN_EUlS10_E0_NS1_11comp_targetILNS1_3genE5ELNS1_11target_archE942ELNS1_3gpuE9ELNS1_3repE0EEENS1_38merge_mergepath_config_static_selectorELNS0_4arch9wavefront6targetE1EEEvSM_,"axG",@progbits,_ZN7rocprim17ROCPRIM_400000_NS6detail17trampoline_kernelINS0_14default_configENS1_38merge_sort_block_merge_config_selectorIlNS0_10empty_typeEEEZZNS1_27merge_sort_block_merge_implIS3_PlPS5_mZN2at6native12_GLOBAL__N_124unique_dim_cuda_templateIfEESt5tupleIJNSA_6TensorESF_SF_EERKSF_lbbbEUlllE_EE10hipError_tT0_T1_T2_jT3_P12ihipStream_tbPNSt15iterator_traitsISL_E10value_typeEPNSR_ISM_E10value_typeEPSN_NS1_7vsmem_tEENKUlT_SL_SM_SN_E_clIS8_S8_S9_S9_EESK_S10_SL_SM_SN_EUlS10_E0_NS1_11comp_targetILNS1_3genE5ELNS1_11target_archE942ELNS1_3gpuE9ELNS1_3repE0EEENS1_38merge_mergepath_config_static_selectorELNS0_4arch9wavefront6targetE1EEEvSM_,comdat
	.globl	_ZN7rocprim17ROCPRIM_400000_NS6detail17trampoline_kernelINS0_14default_configENS1_38merge_sort_block_merge_config_selectorIlNS0_10empty_typeEEEZZNS1_27merge_sort_block_merge_implIS3_PlPS5_mZN2at6native12_GLOBAL__N_124unique_dim_cuda_templateIfEESt5tupleIJNSA_6TensorESF_SF_EERKSF_lbbbEUlllE_EE10hipError_tT0_T1_T2_jT3_P12ihipStream_tbPNSt15iterator_traitsISL_E10value_typeEPNSR_ISM_E10value_typeEPSN_NS1_7vsmem_tEENKUlT_SL_SM_SN_E_clIS8_S8_S9_S9_EESK_S10_SL_SM_SN_EUlS10_E0_NS1_11comp_targetILNS1_3genE5ELNS1_11target_archE942ELNS1_3gpuE9ELNS1_3repE0EEENS1_38merge_mergepath_config_static_selectorELNS0_4arch9wavefront6targetE1EEEvSM_ ; -- Begin function _ZN7rocprim17ROCPRIM_400000_NS6detail17trampoline_kernelINS0_14default_configENS1_38merge_sort_block_merge_config_selectorIlNS0_10empty_typeEEEZZNS1_27merge_sort_block_merge_implIS3_PlPS5_mZN2at6native12_GLOBAL__N_124unique_dim_cuda_templateIfEESt5tupleIJNSA_6TensorESF_SF_EERKSF_lbbbEUlllE_EE10hipError_tT0_T1_T2_jT3_P12ihipStream_tbPNSt15iterator_traitsISL_E10value_typeEPNSR_ISM_E10value_typeEPSN_NS1_7vsmem_tEENKUlT_SL_SM_SN_E_clIS8_S8_S9_S9_EESK_S10_SL_SM_SN_EUlS10_E0_NS1_11comp_targetILNS1_3genE5ELNS1_11target_archE942ELNS1_3gpuE9ELNS1_3repE0EEENS1_38merge_mergepath_config_static_selectorELNS0_4arch9wavefront6targetE1EEEvSM_
	.p2align	8
	.type	_ZN7rocprim17ROCPRIM_400000_NS6detail17trampoline_kernelINS0_14default_configENS1_38merge_sort_block_merge_config_selectorIlNS0_10empty_typeEEEZZNS1_27merge_sort_block_merge_implIS3_PlPS5_mZN2at6native12_GLOBAL__N_124unique_dim_cuda_templateIfEESt5tupleIJNSA_6TensorESF_SF_EERKSF_lbbbEUlllE_EE10hipError_tT0_T1_T2_jT3_P12ihipStream_tbPNSt15iterator_traitsISL_E10value_typeEPNSR_ISM_E10value_typeEPSN_NS1_7vsmem_tEENKUlT_SL_SM_SN_E_clIS8_S8_S9_S9_EESK_S10_SL_SM_SN_EUlS10_E0_NS1_11comp_targetILNS1_3genE5ELNS1_11target_archE942ELNS1_3gpuE9ELNS1_3repE0EEENS1_38merge_mergepath_config_static_selectorELNS0_4arch9wavefront6targetE1EEEvSM_,@function
_ZN7rocprim17ROCPRIM_400000_NS6detail17trampoline_kernelINS0_14default_configENS1_38merge_sort_block_merge_config_selectorIlNS0_10empty_typeEEEZZNS1_27merge_sort_block_merge_implIS3_PlPS5_mZN2at6native12_GLOBAL__N_124unique_dim_cuda_templateIfEESt5tupleIJNSA_6TensorESF_SF_EERKSF_lbbbEUlllE_EE10hipError_tT0_T1_T2_jT3_P12ihipStream_tbPNSt15iterator_traitsISL_E10value_typeEPNSR_ISM_E10value_typeEPSN_NS1_7vsmem_tEENKUlT_SL_SM_SN_E_clIS8_S8_S9_S9_EESK_S10_SL_SM_SN_EUlS10_E0_NS1_11comp_targetILNS1_3genE5ELNS1_11target_archE942ELNS1_3gpuE9ELNS1_3repE0EEENS1_38merge_mergepath_config_static_selectorELNS0_4arch9wavefront6targetE1EEEvSM_: ; @_ZN7rocprim17ROCPRIM_400000_NS6detail17trampoline_kernelINS0_14default_configENS1_38merge_sort_block_merge_config_selectorIlNS0_10empty_typeEEEZZNS1_27merge_sort_block_merge_implIS3_PlPS5_mZN2at6native12_GLOBAL__N_124unique_dim_cuda_templateIfEESt5tupleIJNSA_6TensorESF_SF_EERKSF_lbbbEUlllE_EE10hipError_tT0_T1_T2_jT3_P12ihipStream_tbPNSt15iterator_traitsISL_E10value_typeEPNSR_ISM_E10value_typeEPSN_NS1_7vsmem_tEENKUlT_SL_SM_SN_E_clIS8_S8_S9_S9_EESK_S10_SL_SM_SN_EUlS10_E0_NS1_11comp_targetILNS1_3genE5ELNS1_11target_archE942ELNS1_3gpuE9ELNS1_3repE0EEENS1_38merge_mergepath_config_static_selectorELNS0_4arch9wavefront6targetE1EEEvSM_
; %bb.0:
	s_load_dwordx2 s[24:25], s[0:1], 0x58
	s_load_dword s5, s[0:1], 0x38
	s_add_u32 s22, s0, 0x58
	s_addc_u32 s23, s1, 0
	s_waitcnt lgkmcnt(0)
	s_mul_i32 s4, s25, s4
	s_add_i32 s3, s4, s3
	s_mul_i32 s3, s3, s24
	s_add_i32 s20, s3, s2
	s_cmp_ge_u32 s20, s5
	s_cbranch_scc1 .LBB897_120
; %bb.1:
	s_load_dwordx2 s[4:5], s[0:1], 0x50
	s_load_dwordx4 s[12:15], s[0:1], 0x8
	s_load_dwordx4 s[8:11], s[0:1], 0x28
	s_mov_b32 s21, 0
	s_lshl_b64 s[6:7], s[20:21], 3
	s_waitcnt lgkmcnt(0)
	s_add_u32 s4, s4, s6
	s_addc_u32 s5, s5, s7
	v_mov_b32_e32 v1, s10
	v_alignbit_b32 v1, s11, v1, 9
	v_and_b32_e32 v1, -2, v1
	v_sub_u32_e32 v1, 0, v1
	s_load_dwordx4 s[16:19], s[4:5], 0x0
	v_and_b32_e32 v2, s20, v1
	v_mov_b32_e32 v3, 0
	v_lshlrev_b64 v[6:7], 10, v[2:3]
	s_lshl_b64 s[6:7], s[20:21], 10
	v_mov_b32_e32 v5, s7
	v_sub_co_u32_e32 v4, vcc, s6, v6
	v_lshlrev_b64 v[2:3], 11, v[2:3]
	s_nop 0
	v_subb_co_u32_e32 v5, vcc, v5, v7, vcc
	v_lshl_add_u64 v[8:9], v[2:3], 0, s[10:11]
	v_lshl_add_u64 v[2:3], v[8:9], 0, v[4:5]
	s_waitcnt lgkmcnt(0)
	v_mov_b32_e32 v5, s19
	v_subrev_co_u32_e32 v4, vcc, s18, v2
	s_mov_b64 s[4:5], 0x400
	s_nop 0
	v_subb_co_u32_e32 v5, vcc, v3, v5, vcc
	v_or_b32_e32 v1, s20, v1
	v_lshl_add_u64 v[10:11], v[4:5], 0, s[4:5]
	v_cmp_ne_u32_e32 vcc, -1, v1
	v_cmp_lt_u64_e64 s[4:5], s[8:9], v[10:11]
	s_cbranch_vccz .LBB897_3
; %bb.2:
	v_mov_b32_e32 v1, s8
	v_mov_b64_e32 v[4:5], s[18:19]
	v_cndmask_b32_e64 v6, v10, v1, s[4:5]
	s_branch .LBB897_4
.LBB897_3:
	v_sub_co_u32_e32 v6, vcc, v8, v6
	v_mov_b32_e32 v1, s8
	s_nop 0
	v_subb_co_u32_e32 v7, vcc, v9, v7, vcc
	v_cmp_lt_u64_e32 vcc, s[8:9], v[6:7]
	s_nop 1
	v_cndmask_b32_e32 v4, v6, v1, vcc
	v_lshl_add_u64 v[6:7], v[6:7], 0, s[10:11]
	v_cmp_lt_u64_e32 vcc, s[8:9], v[6:7]
	s_nop 1
	v_cndmask_b32_e32 v6, v6, v1, vcc
.LBB897_4:
	s_lshr_b64 s[18:19], s[8:9], 10
	s_cmp_lg_u64 s[18:19], s[20:21]
	s_cselect_b64 s[10:11], -1, 0
	s_lshl_b64 s[4:5], s[16:17], 3
	s_add_u32 s4, s12, s4
	s_addc_u32 s5, s13, s5
	s_cmp_lt_u32 s2, s24
	v_mov_b32_e32 v19, 0
	s_cselect_b32 s2, 12, 18
	global_load_dword v5, v19, s[22:23] offset:14
	s_add_u32 s2, s22, s2
	s_addc_u32 s3, s23, 0
	global_load_ushort v7, v19, s[2:3]
	v_mov_b32_e32 v8, s17
	v_subrev_co_u32_e32 v2, vcc, s16, v2
	v_mov_b32_e32 v9, s9
	s_nop 0
	v_subb_co_u32_e32 v3, vcc, v3, v8, vcc
	v_mov_b32_e32 v10, s8
	v_cmp_lt_u64_e32 vcc, s[8:9], v[2:3]
	v_subrev_u32_e32 v1, s16, v4
	s_cmp_eq_u64 s[18:19], s[20:21]
	v_cndmask_b32_e32 v3, v3, v9, vcc
	v_cndmask_b32_e32 v2, v2, v10, vcc
	v_sub_u32_e32 v25, v6, v2
	v_lshlrev_b64 v[2:3], 3, v[2:3]
	v_lshl_add_u64 v[20:21], s[12:13], 0, v[2:3]
	v_lshlrev_b32_e32 v18, 3, v0
	s_waitcnt vmcnt(1)
	v_lshrrev_b32_e32 v2, 16, v5
	v_and_b32_e32 v3, 0xffff, v5
	v_mul_lo_u32 v2, v3, v2
	s_waitcnt vmcnt(0)
	v_mul_lo_u32 v26, v2, v7
	s_cbranch_scc1 .LBB897_6
; %bb.5:
	v_sub_u32_e32 v4, v0, v1
	v_mov_b32_e32 v5, v19
	v_add_u32_e32 v6, v26, v0
	v_lshl_add_u64 v[2:3], s[4:5], 0, v[18:19]
	v_lshl_add_u64 v[4:5], v[4:5], 3, v[20:21]
	v_cmp_lt_u32_e32 vcc, v0, v1
	v_mov_b32_e32 v7, v19
	v_sub_u32_e32 v8, v6, v1
	v_mov_b32_e32 v9, v19
	v_cndmask_b32_e32 v3, v5, v3, vcc
	v_cndmask_b32_e32 v2, v4, v2, vcc
	v_lshl_add_u64 v[4:5], v[6:7], 3, s[4:5]
	v_lshl_add_u64 v[8:9], v[8:9], 3, v[20:21]
	v_cmp_lt_u32_e32 vcc, v6, v1
	v_mov_b32_e32 v11, v19
	v_mov_b32_e32 v13, v19
	v_cndmask_b32_e32 v4, v8, v4, vcc
	v_add_u32_e32 v8, v6, v26
	v_cndmask_b32_e32 v5, v9, v5, vcc
	v_mov_b32_e32 v9, v19
	v_sub_u32_e32 v10, v8, v1
	v_lshl_add_u64 v[6:7], v[8:9], 3, s[4:5]
	v_lshl_add_u64 v[10:11], v[10:11], 3, v[20:21]
	v_cmp_lt_u32_e32 vcc, v8, v1
	v_mov_b32_e32 v15, v19
	v_mov_b32_e32 v17, v19
	v_cndmask_b32_e32 v6, v10, v6, vcc
	v_add_u32_e32 v10, v8, v26
	v_cndmask_b32_e32 v7, v11, v7, vcc
	v_mov_b32_e32 v11, v19
	v_sub_u32_e32 v12, v10, v1
	;; [unrolled: 10-line block ×3, first 2 shown]
	v_lshl_add_u64 v[10:11], v[12:13], 3, s[4:5]
	v_lshl_add_u64 v[14:15], v[14:15], 3, v[20:21]
	v_cmp_lt_u32_e32 vcc, v12, v1
	global_load_dwordx2 v[2:3], v[2:3], off
	v_add_u32_e32 v24, v1, v25
	v_cndmask_b32_e32 v10, v14, v10, vcc
	v_add_u32_e32 v14, v12, v26
	v_cndmask_b32_e32 v11, v15, v11, vcc
	v_mov_b32_e32 v15, v19
	v_sub_u32_e32 v16, v14, v1
	v_lshl_add_u64 v[12:13], v[14:15], 3, s[4:5]
	v_lshl_add_u64 v[16:17], v[16:17], 3, v[20:21]
	v_cmp_lt_u32_e32 vcc, v14, v1
	global_load_dwordx2 v[4:5], v[4:5], off
	s_nop 0
	v_cndmask_b32_e32 v13, v17, v13, vcc
	v_cndmask_b32_e32 v12, v16, v12, vcc
	v_add_u32_e32 v16, v14, v26
	v_mov_b32_e32 v17, v19
	v_lshl_add_u64 v[14:15], v[16:17], 3, s[4:5]
	v_sub_u32_e32 v22, v16, v1
	v_cmp_lt_u32_e32 vcc, v16, v1
	v_add_u32_e32 v16, v16, v26
	v_lshl_add_u64 v[22:23], v[22:23], 3, v[20:21]
	v_sub_u32_e32 v28, v16, v1
	v_cndmask_b32_e32 v15, v23, v15, vcc
	v_cndmask_b32_e32 v14, v22, v14, vcc
	v_lshl_add_u64 v[22:23], v[16:17], 3, s[4:5]
	v_lshl_add_u64 v[28:29], v[28:29], 3, v[20:21]
	v_cmp_lt_u32_e32 vcc, v16, v1
	global_load_dwordx2 v[6:7], v[6:7], off
	s_nop 0
	v_cndmask_b32_e32 v17, v29, v23, vcc
	v_cndmask_b32_e32 v16, v28, v22, vcc
	global_load_dwordx2 v[8:9], v[8:9], off
	s_nop 0
	global_load_dwordx2 v[10:11], v[10:11], off
	s_nop 0
	;; [unrolled: 2-line block ×4, first 2 shown]
	global_load_dwordx2 v[16:17], v[16:17], off
	s_cbranch_execz .LBB897_7
	s_branch .LBB897_24
.LBB897_6:
                                        ; implicit-def: $vgpr2_vgpr3_vgpr4_vgpr5_vgpr6_vgpr7_vgpr8_vgpr9_vgpr10_vgpr11_vgpr12_vgpr13_vgpr14_vgpr15_vgpr16_vgpr17
                                        ; implicit-def: $vgpr24
.LBB897_7:
	v_add_u32_e32 v24, v1, v25
	v_cmp_lt_u32_e32 vcc, v0, v24
                                        ; implicit-def: $vgpr2_vgpr3_vgpr4_vgpr5_vgpr6_vgpr7_vgpr8_vgpr9_vgpr10_vgpr11_vgpr12_vgpr13_vgpr14_vgpr15_vgpr16_vgpr17
	s_and_saveexec_b64 s[2:3], vcc
	s_cbranch_execz .LBB897_9
; %bb.8:
	v_mov_b32_e32 v19, 0
	s_waitcnt vmcnt(6)
	v_sub_u32_e32 v4, v0, v1
	v_mov_b32_e32 v5, v19
	v_lshl_add_u64 v[2:3], s[4:5], 0, v[18:19]
	v_lshl_add_u64 v[4:5], v[4:5], 3, v[20:21]
	v_cmp_lt_u32_e32 vcc, v0, v1
	s_nop 1
	v_cndmask_b32_e32 v3, v5, v3, vcc
	v_cndmask_b32_e32 v2, v4, v2, vcc
	global_load_dwordx2 v[2:3], v[2:3], off
.LBB897_9:
	s_or_b64 exec, exec, s[2:3]
	v_add_u32_e32 v22, v26, v0
	v_cmp_lt_u32_e32 vcc, v22, v24
	s_and_saveexec_b64 s[2:3], vcc
	s_cbranch_execz .LBB897_11
; %bb.10:
	v_mov_b32_e32 v23, 0
	v_sub_u32_e32 v28, v22, v1
	v_mov_b32_e32 v29, v23
	s_waitcnt vmcnt(6)
	v_lshl_add_u64 v[4:5], v[22:23], 3, s[4:5]
	v_lshl_add_u64 v[28:29], v[28:29], 3, v[20:21]
	v_cmp_lt_u32_e32 vcc, v22, v1
	s_nop 1
	v_cndmask_b32_e32 v5, v29, v5, vcc
	v_cndmask_b32_e32 v4, v28, v4, vcc
	global_load_dwordx2 v[4:5], v[4:5], off
.LBB897_11:
	s_or_b64 exec, exec, s[2:3]
	v_add_u32_e32 v22, v22, v26
	v_cmp_lt_u32_e32 vcc, v22, v24
	s_and_saveexec_b64 s[2:3], vcc
	s_cbranch_execz .LBB897_13
; %bb.12:
	v_mov_b32_e32 v23, 0
	v_sub_u32_e32 v28, v22, v1
	v_mov_b32_e32 v29, v23
	s_waitcnt vmcnt(5)
	v_lshl_add_u64 v[6:7], v[22:23], 3, s[4:5]
	v_lshl_add_u64 v[28:29], v[28:29], 3, v[20:21]
	v_cmp_lt_u32_e32 vcc, v22, v1
	s_nop 1
	v_cndmask_b32_e32 v7, v29, v7, vcc
	v_cndmask_b32_e32 v6, v28, v6, vcc
	global_load_dwordx2 v[6:7], v[6:7], off
.LBB897_13:
	;; [unrolled: 18-line block ×6, first 2 shown]
	s_or_b64 exec, exec, s[2:3]
	v_add_u32_e32 v22, v22, v26
	v_cmp_lt_u32_e32 vcc, v22, v24
	s_and_saveexec_b64 s[2:3], vcc
	s_cbranch_execz .LBB897_23
; %bb.22:
	v_mov_b32_e32 v23, 0
	s_waitcnt vmcnt(0)
	v_lshl_add_u64 v[16:17], v[22:23], 3, s[4:5]
	v_cmp_lt_u32_e32 vcc, v22, v1
	v_sub_u32_e32 v22, v22, v1
	v_lshl_add_u64 v[20:21], v[22:23], 3, v[20:21]
	v_cndmask_b32_e32 v17, v21, v17, vcc
	v_cndmask_b32_e32 v16, v20, v16, vcc
	global_load_dwordx2 v[16:17], v[16:17], off
.LBB897_23:
	s_or_b64 exec, exec, s[2:3]
.LBB897_24:
	s_load_dwordx4 s[16:19], s[0:1], 0x40
	v_min_u32_e32 v19, v24, v18
	v_sub_u32_e64 v25, v19, v25 clamp
	v_min_u32_e32 v26, v19, v1
	v_cmp_lt_u32_e32 vcc, v25, v26
	s_waitcnt vmcnt(0)
	ds_write2st64_b64 v18, v[2:3], v[4:5] offset1:2
	ds_write2st64_b64 v18, v[6:7], v[8:9] offset0:4 offset1:6
	ds_write2st64_b64 v18, v[10:11], v[12:13] offset0:8 offset1:10
	;; [unrolled: 1-line block ×3, first 2 shown]
	s_waitcnt lgkmcnt(0)
	s_barrier
	s_and_saveexec_b64 s[12:13], vcc
	s_cbranch_execz .LBB897_34
; %bb.25:
	v_lshlrev_b32_e32 v20, 3, v19
	v_cmp_gt_i64_e64 s[0:1], s[16:17], 0
	v_lshl_add_u32 v27, v1, 3, v20
	s_mov_b64 s[20:21], 0
	v_cndmask_b32_e64 v20, 0, 1, s[0:1]
	s_lshl_b64 s[22:23], s[16:17], 2
	v_cmp_ne_u32_e64 s[0:1], 1, v20
	s_branch .LBB897_28
.LBB897_26:                             ;   in Loop: Header=BB897_28 Depth=1
	s_or_b64 exec, exec, s[26:27]
.LBB897_27:                             ;   in Loop: Header=BB897_28 Depth=1
	v_add_u32_e32 v20, 1, v28
	v_cndmask_b32_e64 v26, v26, v28, s[24:25]
	v_cndmask_b32_e64 v25, v20, v25, s[24:25]
	v_cmp_ge_u32_e32 vcc, v25, v26
	s_or_b64 s[20:21], vcc, s[20:21]
	s_andn2_b64 exec, exec, s[20:21]
	s_cbranch_execz .LBB897_33
.LBB897_28:                             ; =>This Loop Header: Depth=1
                                        ;     Child Loop BB897_31 Depth 2
	v_add_u32_e32 v20, v26, v25
	v_lshrrev_b32_e32 v28, 1, v20
	s_and_b64 vcc, exec, s[0:1]
	s_mov_b64 s[24:25], 0
	s_cbranch_vccnz .LBB897_27
; %bb.29:                               ;   in Loop: Header=BB897_28 Depth=1
	v_not_b32_e32 v20, v28
	v_lshl_add_u32 v20, v20, 3, v27
	ds_read_b64 v[20:21], v20
	v_lshlrev_b32_e32 v29, 3, v28
	ds_read_b64 v[30:31], v29
	v_mov_b64_e32 v[22:23], s[18:19]
	s_mov_b64 s[26:27], 0
	s_waitcnt lgkmcnt(1)
	v_mul_lo_u32 v29, s22, v21
	v_mul_lo_u32 v32, s23, v20
	v_mad_u64_u32 v[20:21], s[2:3], s22, v20, v[22:23]
	v_add3_u32 v21, v32, v21, v29
	s_waitcnt lgkmcnt(0)
	v_mul_lo_u32 v29, s22, v31
	v_mul_lo_u32 v31, s23, v30
	v_mad_u64_u32 v[22:23], s[2:3], s22, v30, v[22:23]
	v_add3_u32 v23, v31, v23, v29
	s_mov_b64 s[34:35], s[16:17]
                                        ; implicit-def: $sgpr24_sgpr25
                                        ; implicit-def: $sgpr28_sgpr29
                                        ; implicit-def: $sgpr30_sgpr31
                                        ; implicit-def: $sgpr2_sgpr3
                                        ; implicit-def: $sgpr36_sgpr37
	s_branch .LBB897_31
.LBB897_30:                             ;   in Loop: Header=BB897_31 Depth=2
	s_or_b64 exec, exec, s[38:39]
	s_and_b64 s[4:5], exec, s[28:29]
	s_or_b64 s[26:27], s[4:5], s[26:27]
	s_andn2_b64 s[4:5], s[36:37], exec
	s_and_b64 s[36:37], s[30:31], exec
	s_or_b64 s[36:37], s[4:5], s[36:37]
	s_andn2_b64 s[4:5], s[24:25], exec
	s_and_b64 s[24:25], s[2:3], exec
	s_or_b64 s[24:25], s[4:5], s[24:25]
	s_andn2_b64 exec, exec, s[26:27]
	s_cbranch_execz .LBB897_26
.LBB897_31:                             ;   Parent Loop BB897_28 Depth=1
                                        ; =>  This Inner Loop Header: Depth=2
	global_load_dword v29, v[20:21], off
	global_load_dword v30, v[22:23], off
	s_andn2_b64 s[38:39], s[2:3], exec
	s_andn2_b64 s[30:31], s[30:31], exec
	s_or_b64 s[28:29], s[28:29], exec
	s_waitcnt vmcnt(0)
	v_cmp_ngt_f32_e64 s[2:3], v29, v30
	v_cmp_lt_f32_e32 vcc, v29, v30
	s_and_b64 s[2:3], s[2:3], s[36:37]
	s_or_b64 s[40:41], vcc, s[2:3]
	s_and_b64 s[2:3], s[40:41], exec
	v_cmp_nlg_f32_e64 s[4:5], v29, v30
	s_or_b64 s[2:3], s[38:39], s[2:3]
	s_and_saveexec_b64 s[38:39], s[4:5]
	s_cbranch_execz .LBB897_30
; %bb.32:                               ;   in Loop: Header=BB897_31 Depth=2
	s_add_u32 s34, s34, -1
	s_addc_u32 s35, s35, -1
	s_cmp_eq_u64 s[34:35], 0
	s_cselect_b64 s[4:5], -1, 0
	s_andn2_b64 s[30:31], s[30:31], exec
	s_and_b64 s[36:37], s[40:41], exec
	s_andn2_b64 s[28:29], s[28:29], exec
	s_and_b64 s[4:5], s[4:5], exec
	v_lshl_add_u64 v[20:21], v[20:21], 0, 4
	v_lshl_add_u64 v[22:23], v[22:23], 0, 4
	s_andn2_b64 s[2:3], s[2:3], exec
	s_or_b64 s[30:31], s[30:31], s[36:37]
	s_or_b64 s[28:29], s[28:29], s[4:5]
                                        ; implicit-def: $sgpr36_sgpr37
	s_branch .LBB897_30
.LBB897_33:
	s_or_b64 exec, exec, s[20:21]
.LBB897_34:
	s_or_b64 exec, exec, s[12:13]
	v_sub_u32_e32 v19, v19, v25
	v_add_u32_e32 v23, v19, v1
	v_cmp_le_u32_e32 vcc, v25, v1
	v_cmp_le_u32_e64 s[0:1], v23, v24
	s_or_b64 s[0:1], vcc, s[0:1]
	s_and_saveexec_b64 s[4:5], s[0:1]
	s_cbranch_execz .LBB897_106
; %bb.35:
	v_cmp_ge_u32_e32 vcc, v25, v1
	v_cmp_lt_u32_e64 s[0:1], v25, v1
                                        ; implicit-def: $vgpr2_vgpr3
	s_and_saveexec_b64 s[2:3], s[0:1]
	s_cbranch_execz .LBB897_37
; %bb.36:
	v_lshlrev_b32_e32 v2, 3, v25
	ds_read_b64 v[2:3], v2
.LBB897_37:
	s_or_b64 exec, exec, s[2:3]
	v_cmp_ge_u32_e64 s[12:13], v23, v24
	v_cmp_lt_u32_e64 s[0:1], v23, v24
                                        ; implicit-def: $vgpr16_vgpr17
	s_and_saveexec_b64 s[2:3], s[0:1]
	s_cbranch_execz .LBB897_39
; %bb.38:
	v_lshlrev_b32_e32 v4, 3, v23
	ds_read_b64 v[16:17], v4
.LBB897_39:
	s_or_b64 exec, exec, s[2:3]
	s_or_b64 s[0:1], vcc, s[12:13]
	v_cmp_lt_i64_e64 s[20:21], s[16:17], 1
	s_mov_b64 s[24:25], 0
	v_cmp_gt_i64_e64 s[26:27], s[16:17], 0
	s_xor_b64 s[0:1], s[0:1], -1
	s_and_saveexec_b64 s[22:23], s[0:1]
	s_cbranch_execz .LBB897_47
; %bb.40:
	s_andn2_b64 vcc, exec, s[26:27]
	s_cbranch_vccnz .LBB897_46
; %bb.41:
	s_waitcnt lgkmcnt(0)
	v_mul_lo_u32 v6, v17, s16
	v_mul_lo_u32 v7, v16, s17
	v_mad_u64_u32 v[4:5], s[0:1], v16, s16, 0
	v_add3_u32 v5, v5, v7, v6
	v_mul_lo_u32 v8, v3, s16
	v_mul_lo_u32 v9, v2, s17
	v_mad_u64_u32 v[6:7], s[0:1], v2, s16, 0
	v_add3_u32 v7, v7, v9, v8
	v_lshl_add_u64 v[4:5], v[4:5], 2, s[18:19]
	v_lshl_add_u64 v[6:7], v[6:7], 2, s[18:19]
	s_mov_b64 s[28:29], 0
	s_mov_b64 s[36:37], s[16:17]
                                        ; implicit-def: $sgpr24_sgpr25
                                        ; implicit-def: $sgpr30_sgpr31
                                        ; implicit-def: $sgpr34_sgpr35
                                        ; implicit-def: $sgpr0_sgpr1
                                        ; implicit-def: $sgpr38_sgpr39
	s_branch .LBB897_43
.LBB897_42:                             ;   in Loop: Header=BB897_43 Depth=1
	s_or_b64 exec, exec, s[40:41]
	s_and_b64 s[2:3], exec, s[30:31]
	s_or_b64 s[28:29], s[2:3], s[28:29]
	s_andn2_b64 s[2:3], s[38:39], exec
	s_and_b64 s[38:39], s[34:35], exec
	s_or_b64 s[38:39], s[2:3], s[38:39]
	s_andn2_b64 s[2:3], s[24:25], exec
	s_and_b64 s[24:25], s[0:1], exec
	s_or_b64 s[24:25], s[2:3], s[24:25]
	s_andn2_b64 exec, exec, s[28:29]
	s_cbranch_execz .LBB897_45
.LBB897_43:                             ; =>This Inner Loop Header: Depth=1
	global_load_dword v8, v[4:5], off
	global_load_dword v9, v[6:7], off
	s_andn2_b64 s[40:41], s[0:1], exec
	s_andn2_b64 s[34:35], s[34:35], exec
	s_or_b64 s[30:31], s[30:31], exec
	s_waitcnt vmcnt(0)
	v_cmp_ngt_f32_e64 s[0:1], v8, v9
	v_cmp_lt_f32_e32 vcc, v8, v9
	s_and_b64 s[0:1], s[0:1], s[38:39]
	s_or_b64 s[42:43], vcc, s[0:1]
	s_and_b64 s[0:1], s[42:43], exec
	v_cmp_nlg_f32_e64 s[2:3], v8, v9
	s_or_b64 s[0:1], s[40:41], s[0:1]
	s_and_saveexec_b64 s[40:41], s[2:3]
	s_cbranch_execz .LBB897_42
; %bb.44:                               ;   in Loop: Header=BB897_43 Depth=1
	s_add_u32 s36, s36, -1
	s_addc_u32 s37, s37, -1
	s_cmp_eq_u64 s[36:37], 0
	s_cselect_b64 s[2:3], -1, 0
	s_andn2_b64 s[34:35], s[34:35], exec
	s_and_b64 s[38:39], s[42:43], exec
	s_andn2_b64 s[30:31], s[30:31], exec
	s_and_b64 s[2:3], s[2:3], exec
	v_lshl_add_u64 v[4:5], v[4:5], 0, 4
	v_lshl_add_u64 v[6:7], v[6:7], 0, 4
	s_andn2_b64 s[0:1], s[0:1], exec
	s_or_b64 s[34:35], s[34:35], s[38:39]
	s_or_b64 s[30:31], s[30:31], s[2:3]
                                        ; implicit-def: $sgpr38_sgpr39
	s_branch .LBB897_42
.LBB897_45:
	s_or_b64 exec, exec, s[28:29]
.LBB897_46:
	s_xor_b64 s[0:1], s[24:25], -1
	s_andn2_b64 s[2:3], s[12:13], exec
	s_and_b64 s[0:1], s[0:1], exec
	s_or_b64 s[12:13], s[2:3], s[0:1]
.LBB897_47:
	s_or_b64 exec, exec, s[22:23]
	v_cndmask_b32_e64 v4, v23, v25, s[12:13]
	v_cndmask_b32_e64 v5, v24, v1, s[12:13]
	v_add_u32_e32 v6, 1, v4
	v_add_u32_e32 v4, -1, v5
	v_min_u32_e32 v4, v6, v4
	v_lshlrev_b32_e32 v4, 3, v4
	ds_read_b64 v[4:5], v4
	v_cndmask_b32_e64 v8, v6, v23, s[12:13]
	v_cndmask_b32_e64 v9, v25, v6, s[12:13]
	v_cmp_lt_u32_e32 vcc, v8, v24
	s_mov_b64 s[22:23], -1
	s_waitcnt lgkmcnt(0)
	v_cndmask_b32_e64 v19, v5, v17, s[12:13]
	v_cndmask_b32_e64 v20, v4, v16, s[12:13]
	;; [unrolled: 1-line block ×4, first 2 shown]
	s_mov_b64 s[24:25], -1
	s_and_saveexec_b64 s[28:29], vcc
	s_cbranch_execz .LBB897_57
; %bb.48:
	v_cmp_lt_u32_e32 vcc, v9, v1
	s_mov_b64 s[0:1], 0
	s_and_saveexec_b64 s[24:25], vcc
	s_cbranch_execz .LBB897_56
; %bb.49:
	s_andn2_b64 vcc, exec, s[26:27]
	s_mov_b64 s[26:27], 0
	s_cbranch_vccnz .LBB897_55
; %bb.50:
	v_mul_lo_u32 v6, v19, s16
	v_mul_lo_u32 v7, v20, s17
	v_mad_u64_u32 v[4:5], s[0:1], v20, s16, 0
	v_add3_u32 v5, v5, v7, v6
	v_mul_lo_u32 v10, v21, s16
	v_mul_lo_u32 v11, v22, s17
	v_mad_u64_u32 v[6:7], s[0:1], v22, s16, 0
	v_add3_u32 v7, v7, v11, v10
	v_lshl_add_u64 v[4:5], v[4:5], 2, s[18:19]
	v_lshl_add_u64 v[6:7], v[6:7], 2, s[18:19]
	s_mov_b64 s[30:31], 0
	s_mov_b64 s[38:39], s[16:17]
                                        ; implicit-def: $sgpr26_sgpr27
                                        ; implicit-def: $sgpr34_sgpr35
                                        ; implicit-def: $sgpr36_sgpr37
                                        ; implicit-def: $sgpr0_sgpr1
                                        ; implicit-def: $sgpr40_sgpr41
	s_branch .LBB897_52
.LBB897_51:                             ;   in Loop: Header=BB897_52 Depth=1
	s_or_b64 exec, exec, s[42:43]
	s_and_b64 s[2:3], exec, s[34:35]
	s_or_b64 s[30:31], s[2:3], s[30:31]
	s_andn2_b64 s[2:3], s[40:41], exec
	s_and_b64 s[40:41], s[36:37], exec
	s_or_b64 s[40:41], s[2:3], s[40:41]
	s_andn2_b64 s[2:3], s[26:27], exec
	s_and_b64 s[26:27], s[0:1], exec
	s_or_b64 s[26:27], s[2:3], s[26:27]
	s_andn2_b64 exec, exec, s[30:31]
	s_cbranch_execz .LBB897_54
.LBB897_52:                             ; =>This Inner Loop Header: Depth=1
	global_load_dword v10, v[4:5], off
	global_load_dword v11, v[6:7], off
	s_andn2_b64 s[42:43], s[0:1], exec
	s_andn2_b64 s[36:37], s[36:37], exec
	s_or_b64 s[34:35], s[34:35], exec
	s_waitcnt vmcnt(0)
	v_cmp_ngt_f32_e64 s[0:1], v10, v11
	v_cmp_lt_f32_e32 vcc, v10, v11
	s_and_b64 s[0:1], s[0:1], s[40:41]
	s_or_b64 s[44:45], vcc, s[0:1]
	s_and_b64 s[0:1], s[44:45], exec
	v_cmp_nlg_f32_e64 s[2:3], v10, v11
	s_or_b64 s[0:1], s[42:43], s[0:1]
	s_and_saveexec_b64 s[42:43], s[2:3]
	s_cbranch_execz .LBB897_51
; %bb.53:                               ;   in Loop: Header=BB897_52 Depth=1
	s_add_u32 s38, s38, -1
	s_addc_u32 s39, s39, -1
	s_cmp_eq_u64 s[38:39], 0
	s_cselect_b64 s[2:3], -1, 0
	s_andn2_b64 s[36:37], s[36:37], exec
	s_and_b64 s[40:41], s[44:45], exec
	s_andn2_b64 s[34:35], s[34:35], exec
	s_and_b64 s[2:3], s[2:3], exec
	v_lshl_add_u64 v[4:5], v[4:5], 0, 4
	v_lshl_add_u64 v[6:7], v[6:7], 0, 4
	s_andn2_b64 s[0:1], s[0:1], exec
	s_or_b64 s[36:37], s[36:37], s[40:41]
	s_or_b64 s[34:35], s[34:35], s[2:3]
                                        ; implicit-def: $sgpr40_sgpr41
	s_branch .LBB897_51
.LBB897_54:
	s_or_b64 exec, exec, s[30:31]
.LBB897_55:
	s_xor_b64 s[0:1], s[26:27], -1
	s_and_b64 s[0:1], s[0:1], exec
.LBB897_56:
	s_or_b64 exec, exec, s[24:25]
	s_orn2_b64 s[24:25], s[0:1], exec
.LBB897_57:
	s_or_b64 exec, exec, s[28:29]
	v_cndmask_b32_e64 v4, v8, v9, s[24:25]
	v_cndmask_b32_e64 v5, v24, v1, s[24:25]
	v_add_u32_e32 v6, 1, v4
	v_add_u32_e32 v4, -1, v5
	v_min_u32_e32 v4, v6, v4
	v_lshlrev_b32_e32 v4, 3, v4
	ds_read_b64 v[4:5], v4
	v_cndmask_b32_e64 v10, v6, v8, s[24:25]
	v_cndmask_b32_e64 v11, v9, v6, s[24:25]
	v_cmp_lt_u32_e32 vcc, v10, v24
	s_waitcnt lgkmcnt(0)
	v_cndmask_b32_e64 v23, v5, v19, s[24:25]
	v_cndmask_b32_e64 v25, v4, v20, s[24:25]
	;; [unrolled: 1-line block ×4, first 2 shown]
	s_and_saveexec_b64 s[26:27], vcc
	s_cbranch_execz .LBB897_65
; %bb.58:
	v_cmp_lt_u32_e64 s[22:23], v11, v1
	s_xor_b64 s[0:1], s[20:21], -1
	s_and_b64 s[0:1], s[22:23], s[0:1]
	s_and_saveexec_b64 s[28:29], s[0:1]
	s_cbranch_execz .LBB897_64
; %bb.59:
	v_mul_lo_u32 v6, v23, s16
	v_mul_lo_u32 v7, v25, s17
	v_mad_u64_u32 v[4:5], s[0:1], v25, s16, 0
	v_add3_u32 v5, v5, v7, v6
	v_mul_lo_u32 v8, v26, s16
	v_mul_lo_u32 v9, v27, s17
	v_mad_u64_u32 v[6:7], s[0:1], v27, s16, 0
	v_add3_u32 v7, v7, v9, v8
	v_lshl_add_u64 v[4:5], v[4:5], 2, s[18:19]
	v_lshl_add_u64 v[6:7], v[6:7], 2, s[18:19]
	s_mov_b64 s[30:31], 0
	s_mov_b64 s[40:41], s[16:17]
                                        ; implicit-def: $sgpr34_sgpr35
                                        ; implicit-def: $sgpr36_sgpr37
                                        ; implicit-def: $sgpr0_sgpr1
                                        ; implicit-def: $sgpr38_sgpr39
                                        ; implicit-def: $sgpr42_sgpr43
	s_branch .LBB897_61
.LBB897_60:                             ;   in Loop: Header=BB897_61 Depth=1
	s_or_b64 exec, exec, s[44:45]
	s_and_b64 s[2:3], exec, s[36:37]
	s_or_b64 s[30:31], s[2:3], s[30:31]
	s_andn2_b64 s[2:3], s[42:43], exec
	s_and_b64 s[42:43], s[38:39], exec
	s_or_b64 s[42:43], s[2:3], s[42:43]
	s_andn2_b64 s[2:3], s[34:35], exec
	s_and_b64 s[34:35], s[0:1], exec
	s_or_b64 s[34:35], s[2:3], s[34:35]
	s_andn2_b64 exec, exec, s[30:31]
	s_cbranch_execz .LBB897_63
.LBB897_61:                             ; =>This Inner Loop Header: Depth=1
	global_load_dword v8, v[4:5], off
	global_load_dword v9, v[6:7], off
	s_andn2_b64 s[44:45], s[0:1], exec
	s_andn2_b64 s[38:39], s[38:39], exec
	s_or_b64 s[36:37], s[36:37], exec
	s_waitcnt vmcnt(0)
	v_cmp_ngt_f32_e64 s[0:1], v8, v9
	v_cmp_lt_f32_e32 vcc, v8, v9
	s_and_b64 s[0:1], s[0:1], s[42:43]
	s_or_b64 s[46:47], vcc, s[0:1]
	s_and_b64 s[0:1], s[46:47], exec
	v_cmp_nlg_f32_e64 s[2:3], v8, v9
	s_or_b64 s[0:1], s[44:45], s[0:1]
	s_and_saveexec_b64 s[44:45], s[2:3]
	s_cbranch_execz .LBB897_60
; %bb.62:                               ;   in Loop: Header=BB897_61 Depth=1
	s_add_u32 s40, s40, -1
	s_addc_u32 s41, s41, -1
	s_cmp_eq_u64 s[40:41], 0
	s_cselect_b64 s[2:3], -1, 0
	s_andn2_b64 s[38:39], s[38:39], exec
	s_and_b64 s[42:43], s[46:47], exec
	s_andn2_b64 s[36:37], s[36:37], exec
	s_and_b64 s[2:3], s[2:3], exec
	v_lshl_add_u64 v[4:5], v[4:5], 0, 4
	v_lshl_add_u64 v[6:7], v[6:7], 0, 4
	s_or_b64 s[38:39], s[38:39], s[42:43]
	s_andn2_b64 s[0:1], s[0:1], exec
	s_or_b64 s[36:37], s[36:37], s[2:3]
                                        ; implicit-def: $sgpr42_sgpr43
	s_branch .LBB897_60
.LBB897_63:
	s_or_b64 exec, exec, s[30:31]
	s_xor_b64 s[0:1], s[34:35], -1
	s_andn2_b64 s[2:3], s[22:23], exec
	s_and_b64 s[0:1], s[0:1], exec
	s_or_b64 s[22:23], s[2:3], s[0:1]
.LBB897_64:
	s_or_b64 exec, exec, s[28:29]
	s_orn2_b64 s[22:23], s[22:23], exec
.LBB897_65:
	s_or_b64 exec, exec, s[26:27]
	v_cndmask_b32_e64 v4, v10, v11, s[22:23]
	v_cndmask_b32_e64 v5, v24, v1, s[22:23]
	v_add_u32_e32 v6, 1, v4
	v_add_u32_e32 v4, -1, v5
	v_min_u32_e32 v4, v6, v4
	v_lshlrev_b32_e32 v4, 3, v4
	ds_read_b64 v[4:5], v4
	v_cndmask_b32_e64 v12, v6, v10, s[22:23]
	v_cndmask_b32_e64 v13, v11, v6, s[22:23]
	v_cmp_lt_u32_e32 vcc, v12, v24
	s_mov_b64 s[28:29], -1
	s_waitcnt lgkmcnt(0)
	v_cndmask_b32_e64 v8, v5, v23, s[22:23]
	v_cndmask_b32_e64 v28, v4, v25, s[22:23]
	;; [unrolled: 1-line block ×4, first 2 shown]
	s_mov_b64 s[26:27], -1
	s_and_saveexec_b64 s[30:31], vcc
	s_cbranch_execz .LBB897_73
; %bb.66:
	v_cmp_lt_u32_e64 s[26:27], v13, v1
	s_xor_b64 s[0:1], s[20:21], -1
	s_and_b64 s[0:1], s[26:27], s[0:1]
	s_and_saveexec_b64 s[34:35], s[0:1]
	s_cbranch_execz .LBB897_72
; %bb.67:
	v_mul_lo_u32 v6, v8, s16
	v_mul_lo_u32 v7, v28, s17
	v_mad_u64_u32 v[4:5], s[0:1], v28, s16, 0
	v_add3_u32 v5, v5, v7, v6
	v_mul_lo_u32 v10, v9, s16
	v_mul_lo_u32 v11, v29, s17
	v_mad_u64_u32 v[6:7], s[0:1], v29, s16, 0
	v_add3_u32 v7, v7, v11, v10
	v_lshl_add_u64 v[4:5], v[4:5], 2, s[18:19]
	v_lshl_add_u64 v[6:7], v[6:7], 2, s[18:19]
	s_mov_b64 s[36:37], 0
	s_mov_b64 s[44:45], s[16:17]
                                        ; implicit-def: $sgpr38_sgpr39
                                        ; implicit-def: $sgpr40_sgpr41
                                        ; implicit-def: $sgpr0_sgpr1
                                        ; implicit-def: $sgpr42_sgpr43
                                        ; implicit-def: $sgpr46_sgpr47
	s_branch .LBB897_69
.LBB897_68:                             ;   in Loop: Header=BB897_69 Depth=1
	s_or_b64 exec, exec, s[48:49]
	s_and_b64 s[2:3], exec, s[40:41]
	s_or_b64 s[36:37], s[2:3], s[36:37]
	s_andn2_b64 s[2:3], s[46:47], exec
	s_and_b64 s[46:47], s[42:43], exec
	s_or_b64 s[46:47], s[2:3], s[46:47]
	s_andn2_b64 s[2:3], s[38:39], exec
	s_and_b64 s[38:39], s[0:1], exec
	s_or_b64 s[38:39], s[2:3], s[38:39]
	s_andn2_b64 exec, exec, s[36:37]
	s_cbranch_execz .LBB897_71
.LBB897_69:                             ; =>This Inner Loop Header: Depth=1
	global_load_dword v10, v[4:5], off
	global_load_dword v11, v[6:7], off
	s_andn2_b64 s[48:49], s[0:1], exec
	s_andn2_b64 s[42:43], s[42:43], exec
	s_or_b64 s[40:41], s[40:41], exec
	s_waitcnt vmcnt(0)
	v_cmp_ngt_f32_e64 s[0:1], v10, v11
	v_cmp_lt_f32_e32 vcc, v10, v11
	s_and_b64 s[0:1], s[0:1], s[46:47]
	s_or_b64 s[50:51], vcc, s[0:1]
	s_and_b64 s[0:1], s[50:51], exec
	v_cmp_nlg_f32_e64 s[2:3], v10, v11
	s_or_b64 s[0:1], s[48:49], s[0:1]
	s_and_saveexec_b64 s[48:49], s[2:3]
	s_cbranch_execz .LBB897_68
; %bb.70:                               ;   in Loop: Header=BB897_69 Depth=1
	s_add_u32 s44, s44, -1
	s_addc_u32 s45, s45, -1
	s_cmp_eq_u64 s[44:45], 0
	s_cselect_b64 s[2:3], -1, 0
	s_andn2_b64 s[42:43], s[42:43], exec
	s_and_b64 s[46:47], s[50:51], exec
	s_andn2_b64 s[40:41], s[40:41], exec
	s_and_b64 s[2:3], s[2:3], exec
	v_lshl_add_u64 v[4:5], v[4:5], 0, 4
	v_lshl_add_u64 v[6:7], v[6:7], 0, 4
	s_or_b64 s[42:43], s[42:43], s[46:47]
	s_andn2_b64 s[0:1], s[0:1], exec
	s_or_b64 s[40:41], s[40:41], s[2:3]
                                        ; implicit-def: $sgpr46_sgpr47
	s_branch .LBB897_68
.LBB897_71:
	s_or_b64 exec, exec, s[36:37]
	s_xor_b64 s[0:1], s[38:39], -1
	s_andn2_b64 s[2:3], s[26:27], exec
	s_and_b64 s[0:1], s[0:1], exec
	s_or_b64 s[26:27], s[2:3], s[0:1]
.LBB897_72:
	s_or_b64 exec, exec, s[34:35]
	s_orn2_b64 s[26:27], s[26:27], exec
.LBB897_73:
	s_or_b64 exec, exec, s[30:31]
	v_cndmask_b32_e64 v4, v12, v13, s[26:27]
	v_cndmask_b32_e64 v5, v24, v1, s[26:27]
	v_add_u32_e32 v6, 1, v4
	v_add_u32_e32 v4, -1, v5
	v_min_u32_e32 v4, v6, v4
	v_lshlrev_b32_e32 v4, 3, v4
	ds_read_b64 v[4:5], v4
	v_cndmask_b32_e64 v14, v6, v12, s[26:27]
	v_cndmask_b32_e64 v15, v13, v6, s[26:27]
	v_cmp_lt_u32_e32 vcc, v14, v24
	s_waitcnt lgkmcnt(0)
	v_cndmask_b32_e64 v10, v5, v8, s[26:27]
	v_cndmask_b32_e64 v30, v4, v28, s[26:27]
	;; [unrolled: 1-line block ×4, first 2 shown]
	s_and_saveexec_b64 s[30:31], vcc
	s_cbranch_execz .LBB897_81
; %bb.74:
	v_cmp_lt_u32_e64 s[28:29], v15, v1
	s_xor_b64 s[0:1], s[20:21], -1
	s_and_b64 s[0:1], s[28:29], s[0:1]
	s_and_saveexec_b64 s[34:35], s[0:1]
	s_cbranch_execz .LBB897_80
; %bb.75:
	v_mul_lo_u32 v6, v10, s16
	v_mul_lo_u32 v7, v30, s17
	v_mad_u64_u32 v[4:5], s[0:1], v30, s16, 0
	v_add3_u32 v5, v5, v7, v6
	v_mul_lo_u32 v12, v11, s16
	v_mul_lo_u32 v13, v31, s17
	v_mad_u64_u32 v[6:7], s[0:1], v31, s16, 0
	v_add3_u32 v7, v7, v13, v12
	v_lshl_add_u64 v[4:5], v[4:5], 2, s[18:19]
	v_lshl_add_u64 v[6:7], v[6:7], 2, s[18:19]
	s_mov_b64 s[36:37], 0
	s_mov_b64 s[44:45], s[16:17]
                                        ; implicit-def: $sgpr38_sgpr39
                                        ; implicit-def: $sgpr40_sgpr41
                                        ; implicit-def: $sgpr0_sgpr1
                                        ; implicit-def: $sgpr42_sgpr43
                                        ; implicit-def: $sgpr46_sgpr47
	s_branch .LBB897_77
.LBB897_76:                             ;   in Loop: Header=BB897_77 Depth=1
	s_or_b64 exec, exec, s[48:49]
	s_and_b64 s[2:3], exec, s[40:41]
	s_or_b64 s[36:37], s[2:3], s[36:37]
	s_andn2_b64 s[2:3], s[46:47], exec
	s_and_b64 s[46:47], s[42:43], exec
	s_or_b64 s[46:47], s[2:3], s[46:47]
	s_andn2_b64 s[2:3], s[38:39], exec
	s_and_b64 s[38:39], s[0:1], exec
	s_or_b64 s[38:39], s[2:3], s[38:39]
	s_andn2_b64 exec, exec, s[36:37]
	s_cbranch_execz .LBB897_79
.LBB897_77:                             ; =>This Inner Loop Header: Depth=1
	global_load_dword v12, v[4:5], off
	global_load_dword v13, v[6:7], off
	s_andn2_b64 s[48:49], s[0:1], exec
	s_andn2_b64 s[42:43], s[42:43], exec
	s_or_b64 s[40:41], s[40:41], exec
	s_waitcnt vmcnt(0)
	v_cmp_ngt_f32_e64 s[0:1], v12, v13
	v_cmp_lt_f32_e32 vcc, v12, v13
	s_and_b64 s[0:1], s[0:1], s[46:47]
	s_or_b64 s[50:51], vcc, s[0:1]
	s_and_b64 s[0:1], s[50:51], exec
	v_cmp_nlg_f32_e64 s[2:3], v12, v13
	s_or_b64 s[0:1], s[48:49], s[0:1]
	s_and_saveexec_b64 s[48:49], s[2:3]
	s_cbranch_execz .LBB897_76
; %bb.78:                               ;   in Loop: Header=BB897_77 Depth=1
	s_add_u32 s44, s44, -1
	s_addc_u32 s45, s45, -1
	s_cmp_eq_u64 s[44:45], 0
	s_cselect_b64 s[2:3], -1, 0
	s_andn2_b64 s[42:43], s[42:43], exec
	s_and_b64 s[46:47], s[50:51], exec
	s_andn2_b64 s[40:41], s[40:41], exec
	s_and_b64 s[2:3], s[2:3], exec
	v_lshl_add_u64 v[4:5], v[4:5], 0, 4
	v_lshl_add_u64 v[6:7], v[6:7], 0, 4
	s_or_b64 s[42:43], s[42:43], s[46:47]
	s_andn2_b64 s[0:1], s[0:1], exec
	s_or_b64 s[40:41], s[40:41], s[2:3]
                                        ; implicit-def: $sgpr46_sgpr47
	s_branch .LBB897_76
.LBB897_79:
	s_or_b64 exec, exec, s[36:37]
	s_xor_b64 s[0:1], s[38:39], -1
	s_andn2_b64 s[2:3], s[28:29], exec
	s_and_b64 s[0:1], s[0:1], exec
	s_or_b64 s[28:29], s[2:3], s[0:1]
.LBB897_80:
	s_or_b64 exec, exec, s[34:35]
	s_orn2_b64 s[28:29], s[28:29], exec
.LBB897_81:
	s_or_b64 exec, exec, s[30:31]
	v_cndmask_b32_e64 v4, v14, v15, s[28:29]
	v_cndmask_b32_e64 v5, v24, v1, s[28:29]
	v_add_u32_e32 v6, 1, v4
	v_add_u32_e32 v4, -1, v5
	v_min_u32_e32 v4, v6, v4
	v_lshlrev_b32_e32 v4, 3, v4
	ds_read_b64 v[4:5], v4
	v_cndmask_b32_e64 v36, v6, v14, s[28:29]
	v_cndmask_b32_e64 v37, v15, v6, s[28:29]
	v_cmp_lt_u32_e32 vcc, v36, v24
	s_mov_b64 s[34:35], -1
	s_waitcnt lgkmcnt(0)
	v_cndmask_b32_e64 v12, v5, v10, s[28:29]
	v_cndmask_b32_e64 v32, v4, v30, s[28:29]
	;; [unrolled: 1-line block ×4, first 2 shown]
	s_mov_b64 s[30:31], -1
	s_and_saveexec_b64 s[36:37], vcc
	s_cbranch_execz .LBB897_89
; %bb.82:
	v_cmp_lt_u32_e64 s[30:31], v37, v1
	s_xor_b64 s[0:1], s[20:21], -1
	s_and_b64 s[0:1], s[30:31], s[0:1]
	s_and_saveexec_b64 s[38:39], s[0:1]
	s_cbranch_execz .LBB897_88
; %bb.83:
	v_mul_lo_u32 v6, v12, s16
	v_mul_lo_u32 v7, v32, s17
	v_mad_u64_u32 v[4:5], s[0:1], v32, s16, 0
	v_add3_u32 v5, v5, v7, v6
	v_mul_lo_u32 v14, v13, s16
	v_mul_lo_u32 v15, v33, s17
	v_mad_u64_u32 v[6:7], s[0:1], v33, s16, 0
	v_add3_u32 v7, v7, v15, v14
	v_lshl_add_u64 v[4:5], v[4:5], 2, s[18:19]
	v_lshl_add_u64 v[6:7], v[6:7], 2, s[18:19]
	s_mov_b64 s[40:41], 0
	s_mov_b64 s[48:49], s[16:17]
                                        ; implicit-def: $sgpr42_sgpr43
                                        ; implicit-def: $sgpr44_sgpr45
                                        ; implicit-def: $sgpr0_sgpr1
                                        ; implicit-def: $sgpr46_sgpr47
                                        ; implicit-def: $sgpr50_sgpr51
	s_branch .LBB897_85
.LBB897_84:                             ;   in Loop: Header=BB897_85 Depth=1
	s_or_b64 exec, exec, s[52:53]
	s_and_b64 s[2:3], exec, s[44:45]
	s_or_b64 s[40:41], s[2:3], s[40:41]
	s_andn2_b64 s[2:3], s[50:51], exec
	s_and_b64 s[50:51], s[46:47], exec
	s_or_b64 s[50:51], s[2:3], s[50:51]
	s_andn2_b64 s[2:3], s[42:43], exec
	s_and_b64 s[42:43], s[0:1], exec
	s_or_b64 s[42:43], s[2:3], s[42:43]
	s_andn2_b64 exec, exec, s[40:41]
	s_cbranch_execz .LBB897_87
.LBB897_85:                             ; =>This Inner Loop Header: Depth=1
	global_load_dword v14, v[4:5], off
	global_load_dword v15, v[6:7], off
	s_andn2_b64 s[52:53], s[0:1], exec
	s_andn2_b64 s[46:47], s[46:47], exec
	s_or_b64 s[44:45], s[44:45], exec
	s_waitcnt vmcnt(0)
	v_cmp_ngt_f32_e64 s[0:1], v14, v15
	v_cmp_lt_f32_e32 vcc, v14, v15
	s_and_b64 s[0:1], s[0:1], s[50:51]
	s_or_b64 s[54:55], vcc, s[0:1]
	s_and_b64 s[0:1], s[54:55], exec
	v_cmp_nlg_f32_e64 s[2:3], v14, v15
	s_or_b64 s[0:1], s[52:53], s[0:1]
	s_and_saveexec_b64 s[52:53], s[2:3]
	s_cbranch_execz .LBB897_84
; %bb.86:                               ;   in Loop: Header=BB897_85 Depth=1
	s_add_u32 s48, s48, -1
	s_addc_u32 s49, s49, -1
	s_cmp_eq_u64 s[48:49], 0
	s_cselect_b64 s[2:3], -1, 0
	s_andn2_b64 s[46:47], s[46:47], exec
	s_and_b64 s[50:51], s[54:55], exec
	s_andn2_b64 s[44:45], s[44:45], exec
	s_and_b64 s[2:3], s[2:3], exec
	v_lshl_add_u64 v[4:5], v[4:5], 0, 4
	v_lshl_add_u64 v[6:7], v[6:7], 0, 4
	s_or_b64 s[46:47], s[46:47], s[50:51]
	s_andn2_b64 s[0:1], s[0:1], exec
	s_or_b64 s[44:45], s[44:45], s[2:3]
                                        ; implicit-def: $sgpr50_sgpr51
	s_branch .LBB897_84
.LBB897_87:
	s_or_b64 exec, exec, s[40:41]
	s_xor_b64 s[0:1], s[42:43], -1
	s_andn2_b64 s[2:3], s[30:31], exec
	s_and_b64 s[0:1], s[0:1], exec
	s_or_b64 s[30:31], s[2:3], s[0:1]
.LBB897_88:
	s_or_b64 exec, exec, s[38:39]
	s_orn2_b64 s[30:31], s[30:31], exec
.LBB897_89:
	s_or_b64 exec, exec, s[36:37]
	v_cndmask_b32_e64 v4, v36, v37, s[30:31]
	v_cndmask_b32_e64 v5, v24, v1, s[30:31]
	v_add_u32_e32 v6, 1, v4
	v_add_u32_e32 v4, -1, v5
	v_min_u32_e32 v4, v6, v4
	v_lshlrev_b32_e32 v4, 3, v4
	ds_read_b64 v[4:5], v4
	v_cndmask_b32_e64 v41, v6, v36, s[30:31]
	v_cndmask_b32_e64 v40, v37, v6, s[30:31]
	v_cmp_lt_u32_e32 vcc, v41, v24
	s_waitcnt lgkmcnt(0)
	v_cndmask_b32_e64 v14, v5, v12, s[30:31]
	v_cndmask_b32_e64 v34, v4, v32, s[30:31]
	;; [unrolled: 1-line block ×4, first 2 shown]
	s_and_saveexec_b64 s[36:37], vcc
	s_cbranch_execz .LBB897_97
; %bb.90:
	v_cmp_lt_u32_e64 s[34:35], v40, v1
	s_xor_b64 s[0:1], s[20:21], -1
	s_and_b64 s[0:1], s[34:35], s[0:1]
	s_and_saveexec_b64 s[38:39], s[0:1]
	s_cbranch_execz .LBB897_96
; %bb.91:
	v_mul_lo_u32 v6, v14, s16
	v_mul_lo_u32 v7, v34, s17
	v_mad_u64_u32 v[4:5], s[0:1], v34, s16, 0
	v_add3_u32 v5, v5, v7, v6
	v_mul_lo_u32 v36, v15, s16
	v_mul_lo_u32 v37, v35, s17
	v_mad_u64_u32 v[6:7], s[0:1], v35, s16, 0
	v_add3_u32 v7, v7, v37, v36
	v_lshl_add_u64 v[4:5], v[4:5], 2, s[18:19]
	v_lshl_add_u64 v[6:7], v[6:7], 2, s[18:19]
	s_mov_b64 s[40:41], 0
	s_mov_b64 s[48:49], s[16:17]
                                        ; implicit-def: $sgpr42_sgpr43
                                        ; implicit-def: $sgpr44_sgpr45
                                        ; implicit-def: $sgpr0_sgpr1
                                        ; implicit-def: $sgpr46_sgpr47
                                        ; implicit-def: $sgpr50_sgpr51
	s_branch .LBB897_93
.LBB897_92:                             ;   in Loop: Header=BB897_93 Depth=1
	s_or_b64 exec, exec, s[52:53]
	s_and_b64 s[2:3], exec, s[44:45]
	s_or_b64 s[40:41], s[2:3], s[40:41]
	s_andn2_b64 s[2:3], s[50:51], exec
	s_and_b64 s[50:51], s[46:47], exec
	s_or_b64 s[50:51], s[2:3], s[50:51]
	s_andn2_b64 s[2:3], s[42:43], exec
	s_and_b64 s[42:43], s[0:1], exec
	s_or_b64 s[42:43], s[2:3], s[42:43]
	s_andn2_b64 exec, exec, s[40:41]
	s_cbranch_execz .LBB897_95
.LBB897_93:                             ; =>This Inner Loop Header: Depth=1
	global_load_dword v36, v[4:5], off
	global_load_dword v37, v[6:7], off
	s_andn2_b64 s[52:53], s[0:1], exec
	s_andn2_b64 s[46:47], s[46:47], exec
	s_or_b64 s[44:45], s[44:45], exec
	s_waitcnt vmcnt(0)
	v_cmp_ngt_f32_e64 s[0:1], v36, v37
	v_cmp_lt_f32_e32 vcc, v36, v37
	s_and_b64 s[0:1], s[0:1], s[50:51]
	s_or_b64 s[54:55], vcc, s[0:1]
	s_and_b64 s[0:1], s[54:55], exec
	v_cmp_nlg_f32_e64 s[2:3], v36, v37
	s_or_b64 s[0:1], s[52:53], s[0:1]
	s_and_saveexec_b64 s[52:53], s[2:3]
	s_cbranch_execz .LBB897_92
; %bb.94:                               ;   in Loop: Header=BB897_93 Depth=1
	s_add_u32 s48, s48, -1
	s_addc_u32 s49, s49, -1
	s_cmp_eq_u64 s[48:49], 0
	s_cselect_b64 s[2:3], -1, 0
	s_andn2_b64 s[46:47], s[46:47], exec
	s_and_b64 s[50:51], s[54:55], exec
	s_andn2_b64 s[44:45], s[44:45], exec
	s_and_b64 s[2:3], s[2:3], exec
	v_lshl_add_u64 v[4:5], v[4:5], 0, 4
	v_lshl_add_u64 v[6:7], v[6:7], 0, 4
	s_or_b64 s[46:47], s[46:47], s[50:51]
	s_andn2_b64 s[0:1], s[0:1], exec
	s_or_b64 s[44:45], s[44:45], s[2:3]
                                        ; implicit-def: $sgpr50_sgpr51
	s_branch .LBB897_92
.LBB897_95:
	s_or_b64 exec, exec, s[40:41]
	s_xor_b64 s[0:1], s[42:43], -1
	s_andn2_b64 s[2:3], s[34:35], exec
	s_and_b64 s[0:1], s[0:1], exec
	s_or_b64 s[34:35], s[2:3], s[0:1]
.LBB897_96:
	s_or_b64 exec, exec, s[38:39]
	s_orn2_b64 s[34:35], s[34:35], exec
.LBB897_97:
	s_or_b64 exec, exec, s[36:37]
	v_cndmask_b32_e64 v4, v41, v40, s[34:35]
	v_cndmask_b32_e64 v5, v24, v1, s[34:35]
	v_add_u32_e32 v4, 1, v4
	v_add_u32_e32 v5, -1, v5
	v_min_u32_e32 v5, v4, v5
	v_lshlrev_b32_e32 v5, 3, v5
	ds_read_b64 v[6:7], v5
	v_cndmask_b32_e64 v5, v4, v41, s[34:35]
	v_cmp_lt_u32_e32 vcc, v5, v24
	s_mov_b64 s[0:1], -1
	s_waitcnt lgkmcnt(0)
	v_cndmask_b32_e64 v36, v7, v14, s[34:35]
	v_cndmask_b32_e64 v37, v6, v34, s[34:35]
	;; [unrolled: 1-line block ×4, first 2 shown]
	s_and_saveexec_b64 s[36:37], vcc
	s_cbranch_execz .LBB897_105
; %bb.98:
	v_cndmask_b32_e64 v4, v40, v4, s[34:35]
	v_cmp_lt_u32_e64 s[38:39], v4, v1
	s_xor_b64 s[0:1], s[20:21], -1
	s_and_b64 s[0:1], s[38:39], s[0:1]
	s_and_saveexec_b64 s[20:21], s[0:1]
	s_cbranch_execz .LBB897_104
; %bb.99:
	v_mul_lo_u32 v1, v36, s16
	v_mul_lo_u32 v6, v37, s17
	v_mad_u64_u32 v[4:5], s[0:1], v37, s16, 0
	v_add3_u32 v5, v5, v6, v1
	v_mul_lo_u32 v1, v38, s16
	v_mul_lo_u32 v24, v39, s17
	v_mad_u64_u32 v[6:7], s[0:1], v39, s16, 0
	v_add3_u32 v7, v7, v24, v1
	v_lshl_add_u64 v[4:5], v[4:5], 2, s[18:19]
	v_lshl_add_u64 v[6:7], v[6:7], 2, s[18:19]
	s_mov_b64 s[18:19], 0
                                        ; implicit-def: $sgpr40_sgpr41
                                        ; implicit-def: $sgpr42_sgpr43
                                        ; implicit-def: $sgpr0_sgpr1
                                        ; implicit-def: $sgpr44_sgpr45
                                        ; implicit-def: $sgpr46_sgpr47
	s_branch .LBB897_101
.LBB897_100:                            ;   in Loop: Header=BB897_101 Depth=1
	s_or_b64 exec, exec, s[48:49]
	s_and_b64 s[2:3], exec, s[42:43]
	s_or_b64 s[18:19], s[2:3], s[18:19]
	s_andn2_b64 s[2:3], s[46:47], exec
	s_and_b64 s[46:47], s[44:45], exec
	s_or_b64 s[46:47], s[2:3], s[46:47]
	s_andn2_b64 s[2:3], s[40:41], exec
	s_and_b64 s[40:41], s[0:1], exec
	s_or_b64 s[40:41], s[2:3], s[40:41]
	s_andn2_b64 exec, exec, s[18:19]
	s_cbranch_execz .LBB897_103
.LBB897_101:                            ; =>This Inner Loop Header: Depth=1
	global_load_dword v1, v[4:5], off
	global_load_dword v24, v[6:7], off
	s_andn2_b64 s[48:49], s[0:1], exec
	s_andn2_b64 s[44:45], s[44:45], exec
	s_or_b64 s[42:43], s[42:43], exec
	s_waitcnt vmcnt(0)
	v_cmp_ngt_f32_e64 s[0:1], v1, v24
	v_cmp_lt_f32_e32 vcc, v1, v24
	s_and_b64 s[0:1], s[0:1], s[46:47]
	s_or_b64 s[50:51], vcc, s[0:1]
	s_and_b64 s[0:1], s[50:51], exec
	v_cmp_nlg_f32_e64 s[2:3], v1, v24
	s_or_b64 s[0:1], s[48:49], s[0:1]
	s_and_saveexec_b64 s[48:49], s[2:3]
	s_cbranch_execz .LBB897_100
; %bb.102:                              ;   in Loop: Header=BB897_101 Depth=1
	s_add_u32 s16, s16, -1
	s_addc_u32 s17, s17, -1
	s_cmp_eq_u64 s[16:17], 0
	s_cselect_b64 s[2:3], -1, 0
	s_andn2_b64 s[44:45], s[44:45], exec
	s_and_b64 s[46:47], s[50:51], exec
	s_andn2_b64 s[42:43], s[42:43], exec
	s_and_b64 s[2:3], s[2:3], exec
	v_lshl_add_u64 v[4:5], v[4:5], 0, 4
	v_lshl_add_u64 v[6:7], v[6:7], 0, 4
	s_or_b64 s[44:45], s[44:45], s[46:47]
	s_andn2_b64 s[0:1], s[0:1], exec
	s_or_b64 s[42:43], s[42:43], s[2:3]
                                        ; implicit-def: $sgpr46_sgpr47
	s_branch .LBB897_100
.LBB897_103:
	s_or_b64 exec, exec, s[18:19]
	s_xor_b64 s[0:1], s[40:41], -1
	s_andn2_b64 s[2:3], s[38:39], exec
	s_and_b64 s[0:1], s[0:1], exec
	s_or_b64 s[38:39], s[2:3], s[0:1]
.LBB897_104:
	s_or_b64 exec, exec, s[20:21]
	s_orn2_b64 s[0:1], s[38:39], exec
.LBB897_105:
	s_or_b64 exec, exec, s[36:37]
	v_cndmask_b32_e64 v15, v14, v15, s[34:35]
	v_cndmask_b32_e64 v14, v34, v35, s[34:35]
	;; [unrolled: 1-line block ×16, first 2 shown]
.LBB897_106:
	s_or_b64 exec, exec, s[4:5]
	v_lshrrev_b32_e32 v1, 2, v0
	v_lshlrev_b32_e32 v19, 3, v18
	v_lshl_add_u32 v19, v1, 3, v19
	v_and_b32_e32 v1, 24, v1
	v_or_b32_e32 v25, 0x80, v0
	v_add_u32_e32 v26, v18, v1
	v_lshrrev_b32_e32 v1, 2, v25
	v_and_b32_e32 v1, 56, v1
	v_or_b32_e32 v24, 0x100, v0
	s_barrier
	s_barrier
	ds_write2_b64 v19, v[2:3], v[4:5] offset1:1
	ds_write2_b64 v19, v[6:7], v[8:9] offset0:2 offset1:3
	ds_write2_b64 v19, v[10:11], v[12:13] offset0:4 offset1:5
	;; [unrolled: 1-line block ×3, first 2 shown]
	v_add_u32_e32 v6, v18, v1
	v_lshrrev_b32_e32 v1, 2, v24
	v_and_b32_e32 v1, 0x58, v1
	v_or_b32_e32 v23, 0x180, v0
	v_add_u32_e32 v7, v18, v1
	v_lshrrev_b32_e32 v1, 2, v23
	v_and_b32_e32 v1, 0x78, v1
	v_or_b32_e32 v22, 0x200, v0
	;; [unrolled: 4-line block ×4, first 2 shown]
	v_add_u32_e32 v27, v18, v1
	v_lshrrev_b32_e32 v1, 2, v20
	v_and_b32_e32 v1, 0xd8, v1
	s_lshl_b64 s[0:1], s[6:7], 3
	v_add_u32_e32 v28, v18, v1
	v_or_b32_e32 v1, 0x380, v0
	s_add_u32 s0, s14, s0
	v_lshrrev_b32_e32 v2, 2, v1
	s_addc_u32 s1, s15, s1
	v_and_b32_e32 v2, 0xf8, v2
	v_mov_b32_e32 v19, 0
	v_add_u32_e32 v29, v18, v2
	v_lshl_add_u64 v[2:3], s[0:1], 0, v[18:19]
	s_and_b64 vcc, exec, s[10:11]
	s_waitcnt lgkmcnt(0)
	s_cbranch_vccz .LBB897_108
; %bb.107:
	s_barrier
	ds_read_b64 v[10:11], v26
	ds_read_b64 v[12:13], v6 offset:1024
	ds_read_b64 v[14:15], v7 offset:2048
	;; [unrolled: 1-line block ×7, first 2 shown]
	s_waitcnt lgkmcnt(7)
	global_store_dwordx2 v[2:3], v[10:11], off
	s_waitcnt lgkmcnt(6)
	global_store_dwordx2 v[2:3], v[12:13], off offset:1024
	s_waitcnt lgkmcnt(5)
	global_store_dwordx2 v[2:3], v[14:15], off offset:2048
	s_waitcnt lgkmcnt(4)
	global_store_dwordx2 v[2:3], v[16:17], off offset:3072
	v_add_co_u32_e32 v10, vcc, 0x1000, v2
	s_nop 1
	v_addc_co_u32_e32 v11, vcc, 0, v3, vcc
	s_waitcnt lgkmcnt(3)
	global_store_dwordx2 v[10:11], v[18:19], off
	s_waitcnt lgkmcnt(2)
	global_store_dwordx2 v[10:11], v[30:31], off offset:1024
	s_waitcnt lgkmcnt(1)
	global_store_dwordx2 v[10:11], v[32:33], off offset:2048
	s_mov_b64 s[0:1], -1
	s_cbranch_execz .LBB897_109
	s_branch .LBB897_118
.LBB897_108:
	s_mov_b64 s[0:1], 0
                                        ; implicit-def: $vgpr4_vgpr5
.LBB897_109:
	s_barrier
	s_waitcnt lgkmcnt(0)
	ds_read_b64 v[16:17], v6 offset:1024
	ds_read_b64 v[14:15], v7 offset:2048
	;; [unrolled: 1-line block ×7, first 2 shown]
	s_sub_i32 s2, s8, s6
	v_cmp_gt_u32_e32 vcc, s2, v0
	s_and_saveexec_b64 s[0:1], vcc
	s_cbranch_execnz .LBB897_121
; %bb.110:
	s_or_b64 exec, exec, s[0:1]
	v_cmp_gt_u32_e32 vcc, s2, v25
	s_and_saveexec_b64 s[0:1], vcc
	s_cbranch_execnz .LBB897_122
.LBB897_111:
	s_or_b64 exec, exec, s[0:1]
	v_cmp_gt_u32_e32 vcc, s2, v24
	s_and_saveexec_b64 s[0:1], vcc
	s_cbranch_execnz .LBB897_123
.LBB897_112:
	s_or_b64 exec, exec, s[0:1]
	v_cmp_gt_u32_e32 vcc, s2, v23
	s_and_saveexec_b64 s[0:1], vcc
	s_cbranch_execnz .LBB897_124
.LBB897_113:
	s_or_b64 exec, exec, s[0:1]
	v_cmp_gt_u32_e32 vcc, s2, v22
	s_and_saveexec_b64 s[0:1], vcc
	s_cbranch_execnz .LBB897_125
.LBB897_114:
	s_or_b64 exec, exec, s[0:1]
	v_cmp_gt_u32_e32 vcc, s2, v21
	s_and_saveexec_b64 s[0:1], vcc
	s_cbranch_execnz .LBB897_126
.LBB897_115:
	s_or_b64 exec, exec, s[0:1]
	v_cmp_gt_u32_e32 vcc, s2, v20
	s_and_saveexec_b64 s[0:1], vcc
	s_cbranch_execz .LBB897_117
.LBB897_116:
	s_waitcnt lgkmcnt(2)
	v_add_co_u32_e32 v8, vcc, 0x1000, v2
	s_nop 1
	v_addc_co_u32_e32 v9, vcc, 0, v3, vcc
	s_waitcnt lgkmcnt(1)
	global_store_dwordx2 v[8:9], v[6:7], off offset:2048
.LBB897_117:
	s_or_b64 exec, exec, s[0:1]
	v_cmp_gt_u32_e64 s[0:1], s2, v1
.LBB897_118:
	s_and_saveexec_b64 s[2:3], s[0:1]
	s_cbranch_execz .LBB897_120
; %bb.119:
	v_add_co_u32_e32 v0, vcc, 0x1000, v2
	s_nop 1
	v_addc_co_u32_e32 v1, vcc, 0, v3, vcc
	s_waitcnt lgkmcnt(0)
	global_store_dwordx2 v[0:1], v[4:5], off offset:3072
.LBB897_120:
	s_endpgm
.LBB897_121:
	ds_read_b64 v[18:19], v26
	s_waitcnt lgkmcnt(0)
	global_store_dwordx2 v[2:3], v[18:19], off
	s_or_b64 exec, exec, s[0:1]
	v_cmp_gt_u32_e32 vcc, s2, v25
	s_and_saveexec_b64 s[0:1], vcc
	s_cbranch_execz .LBB897_111
.LBB897_122:
	s_waitcnt lgkmcnt(6)
	global_store_dwordx2 v[2:3], v[16:17], off offset:1024
	s_or_b64 exec, exec, s[0:1]
	v_cmp_gt_u32_e32 vcc, s2, v24
	s_and_saveexec_b64 s[0:1], vcc
	s_cbranch_execz .LBB897_112
.LBB897_123:
	s_waitcnt lgkmcnt(5)
	global_store_dwordx2 v[2:3], v[14:15], off offset:2048
	s_or_b64 exec, exec, s[0:1]
	v_cmp_gt_u32_e32 vcc, s2, v23
	s_and_saveexec_b64 s[0:1], vcc
	s_cbranch_execz .LBB897_113
.LBB897_124:
	s_waitcnt lgkmcnt(4)
	global_store_dwordx2 v[2:3], v[12:13], off offset:3072
	s_or_b64 exec, exec, s[0:1]
	v_cmp_gt_u32_e32 vcc, s2, v22
	s_and_saveexec_b64 s[0:1], vcc
	s_cbranch_execz .LBB897_114
.LBB897_125:
	s_waitcnt lgkmcnt(4)
	v_add_co_u32_e32 v12, vcc, 0x1000, v2
	s_nop 1
	v_addc_co_u32_e32 v13, vcc, 0, v3, vcc
	s_waitcnt lgkmcnt(3)
	global_store_dwordx2 v[12:13], v[10:11], off
	s_or_b64 exec, exec, s[0:1]
	v_cmp_gt_u32_e32 vcc, s2, v21
	s_and_saveexec_b64 s[0:1], vcc
	s_cbranch_execz .LBB897_115
.LBB897_126:
	s_waitcnt lgkmcnt(3)
	v_add_co_u32_e32 v10, vcc, 0x1000, v2
	s_nop 1
	v_addc_co_u32_e32 v11, vcc, 0, v3, vcc
	s_waitcnt lgkmcnt(2)
	global_store_dwordx2 v[10:11], v[8:9], off offset:1024
	s_or_b64 exec, exec, s[0:1]
	v_cmp_gt_u32_e32 vcc, s2, v20
	s_and_saveexec_b64 s[0:1], vcc
	s_cbranch_execnz .LBB897_116
	s_branch .LBB897_117
	.section	.rodata,"a",@progbits
	.p2align	6, 0x0
	.amdhsa_kernel _ZN7rocprim17ROCPRIM_400000_NS6detail17trampoline_kernelINS0_14default_configENS1_38merge_sort_block_merge_config_selectorIlNS0_10empty_typeEEEZZNS1_27merge_sort_block_merge_implIS3_PlPS5_mZN2at6native12_GLOBAL__N_124unique_dim_cuda_templateIfEESt5tupleIJNSA_6TensorESF_SF_EERKSF_lbbbEUlllE_EE10hipError_tT0_T1_T2_jT3_P12ihipStream_tbPNSt15iterator_traitsISL_E10value_typeEPNSR_ISM_E10value_typeEPSN_NS1_7vsmem_tEENKUlT_SL_SM_SN_E_clIS8_S8_S9_S9_EESK_S10_SL_SM_SN_EUlS10_E0_NS1_11comp_targetILNS1_3genE5ELNS1_11target_archE942ELNS1_3gpuE9ELNS1_3repE0EEENS1_38merge_mergepath_config_static_selectorELNS0_4arch9wavefront6targetE1EEEvSM_
		.amdhsa_group_segment_fixed_size 8448
		.amdhsa_private_segment_fixed_size 0
		.amdhsa_kernarg_size 344
		.amdhsa_user_sgpr_count 2
		.amdhsa_user_sgpr_dispatch_ptr 0
		.amdhsa_user_sgpr_queue_ptr 0
		.amdhsa_user_sgpr_kernarg_segment_ptr 1
		.amdhsa_user_sgpr_dispatch_id 0
		.amdhsa_user_sgpr_kernarg_preload_length 0
		.amdhsa_user_sgpr_kernarg_preload_offset 0
		.amdhsa_user_sgpr_private_segment_size 0
		.amdhsa_uses_dynamic_stack 0
		.amdhsa_enable_private_segment 0
		.amdhsa_system_sgpr_workgroup_id_x 1
		.amdhsa_system_sgpr_workgroup_id_y 1
		.amdhsa_system_sgpr_workgroup_id_z 1
		.amdhsa_system_sgpr_workgroup_info 0
		.amdhsa_system_vgpr_workitem_id 0
		.amdhsa_next_free_vgpr 42
		.amdhsa_next_free_sgpr 56
		.amdhsa_accum_offset 44
		.amdhsa_reserve_vcc 1
		.amdhsa_float_round_mode_32 0
		.amdhsa_float_round_mode_16_64 0
		.amdhsa_float_denorm_mode_32 3
		.amdhsa_float_denorm_mode_16_64 3
		.amdhsa_dx10_clamp 1
		.amdhsa_ieee_mode 1
		.amdhsa_fp16_overflow 0
		.amdhsa_tg_split 0
		.amdhsa_exception_fp_ieee_invalid_op 0
		.amdhsa_exception_fp_denorm_src 0
		.amdhsa_exception_fp_ieee_div_zero 0
		.amdhsa_exception_fp_ieee_overflow 0
		.amdhsa_exception_fp_ieee_underflow 0
		.amdhsa_exception_fp_ieee_inexact 0
		.amdhsa_exception_int_div_zero 0
	.end_amdhsa_kernel
	.section	.text._ZN7rocprim17ROCPRIM_400000_NS6detail17trampoline_kernelINS0_14default_configENS1_38merge_sort_block_merge_config_selectorIlNS0_10empty_typeEEEZZNS1_27merge_sort_block_merge_implIS3_PlPS5_mZN2at6native12_GLOBAL__N_124unique_dim_cuda_templateIfEESt5tupleIJNSA_6TensorESF_SF_EERKSF_lbbbEUlllE_EE10hipError_tT0_T1_T2_jT3_P12ihipStream_tbPNSt15iterator_traitsISL_E10value_typeEPNSR_ISM_E10value_typeEPSN_NS1_7vsmem_tEENKUlT_SL_SM_SN_E_clIS8_S8_S9_S9_EESK_S10_SL_SM_SN_EUlS10_E0_NS1_11comp_targetILNS1_3genE5ELNS1_11target_archE942ELNS1_3gpuE9ELNS1_3repE0EEENS1_38merge_mergepath_config_static_selectorELNS0_4arch9wavefront6targetE1EEEvSM_,"axG",@progbits,_ZN7rocprim17ROCPRIM_400000_NS6detail17trampoline_kernelINS0_14default_configENS1_38merge_sort_block_merge_config_selectorIlNS0_10empty_typeEEEZZNS1_27merge_sort_block_merge_implIS3_PlPS5_mZN2at6native12_GLOBAL__N_124unique_dim_cuda_templateIfEESt5tupleIJNSA_6TensorESF_SF_EERKSF_lbbbEUlllE_EE10hipError_tT0_T1_T2_jT3_P12ihipStream_tbPNSt15iterator_traitsISL_E10value_typeEPNSR_ISM_E10value_typeEPSN_NS1_7vsmem_tEENKUlT_SL_SM_SN_E_clIS8_S8_S9_S9_EESK_S10_SL_SM_SN_EUlS10_E0_NS1_11comp_targetILNS1_3genE5ELNS1_11target_archE942ELNS1_3gpuE9ELNS1_3repE0EEENS1_38merge_mergepath_config_static_selectorELNS0_4arch9wavefront6targetE1EEEvSM_,comdat
.Lfunc_end897:
	.size	_ZN7rocprim17ROCPRIM_400000_NS6detail17trampoline_kernelINS0_14default_configENS1_38merge_sort_block_merge_config_selectorIlNS0_10empty_typeEEEZZNS1_27merge_sort_block_merge_implIS3_PlPS5_mZN2at6native12_GLOBAL__N_124unique_dim_cuda_templateIfEESt5tupleIJNSA_6TensorESF_SF_EERKSF_lbbbEUlllE_EE10hipError_tT0_T1_T2_jT3_P12ihipStream_tbPNSt15iterator_traitsISL_E10value_typeEPNSR_ISM_E10value_typeEPSN_NS1_7vsmem_tEENKUlT_SL_SM_SN_E_clIS8_S8_S9_S9_EESK_S10_SL_SM_SN_EUlS10_E0_NS1_11comp_targetILNS1_3genE5ELNS1_11target_archE942ELNS1_3gpuE9ELNS1_3repE0EEENS1_38merge_mergepath_config_static_selectorELNS0_4arch9wavefront6targetE1EEEvSM_, .Lfunc_end897-_ZN7rocprim17ROCPRIM_400000_NS6detail17trampoline_kernelINS0_14default_configENS1_38merge_sort_block_merge_config_selectorIlNS0_10empty_typeEEEZZNS1_27merge_sort_block_merge_implIS3_PlPS5_mZN2at6native12_GLOBAL__N_124unique_dim_cuda_templateIfEESt5tupleIJNSA_6TensorESF_SF_EERKSF_lbbbEUlllE_EE10hipError_tT0_T1_T2_jT3_P12ihipStream_tbPNSt15iterator_traitsISL_E10value_typeEPNSR_ISM_E10value_typeEPSN_NS1_7vsmem_tEENKUlT_SL_SM_SN_E_clIS8_S8_S9_S9_EESK_S10_SL_SM_SN_EUlS10_E0_NS1_11comp_targetILNS1_3genE5ELNS1_11target_archE942ELNS1_3gpuE9ELNS1_3repE0EEENS1_38merge_mergepath_config_static_selectorELNS0_4arch9wavefront6targetE1EEEvSM_
                                        ; -- End function
	.section	.AMDGPU.csdata,"",@progbits
; Kernel info:
; codeLenInByte = 6608
; NumSgprs: 62
; NumVgprs: 42
; NumAgprs: 0
; TotalNumVgprs: 42
; ScratchSize: 0
; MemoryBound: 0
; FloatMode: 240
; IeeeMode: 1
; LDSByteSize: 8448 bytes/workgroup (compile time only)
; SGPRBlocks: 7
; VGPRBlocks: 5
; NumSGPRsForWavesPerEU: 62
; NumVGPRsForWavesPerEU: 42
; AccumOffset: 44
; Occupancy: 4
; WaveLimiterHint : 1
; COMPUTE_PGM_RSRC2:SCRATCH_EN: 0
; COMPUTE_PGM_RSRC2:USER_SGPR: 2
; COMPUTE_PGM_RSRC2:TRAP_HANDLER: 0
; COMPUTE_PGM_RSRC2:TGID_X_EN: 1
; COMPUTE_PGM_RSRC2:TGID_Y_EN: 1
; COMPUTE_PGM_RSRC2:TGID_Z_EN: 1
; COMPUTE_PGM_RSRC2:TIDIG_COMP_CNT: 0
; COMPUTE_PGM_RSRC3_GFX90A:ACCUM_OFFSET: 10
; COMPUTE_PGM_RSRC3_GFX90A:TG_SPLIT: 0
	.section	.text._ZN7rocprim17ROCPRIM_400000_NS6detail17trampoline_kernelINS0_14default_configENS1_38merge_sort_block_merge_config_selectorIlNS0_10empty_typeEEEZZNS1_27merge_sort_block_merge_implIS3_PlPS5_mZN2at6native12_GLOBAL__N_124unique_dim_cuda_templateIfEESt5tupleIJNSA_6TensorESF_SF_EERKSF_lbbbEUlllE_EE10hipError_tT0_T1_T2_jT3_P12ihipStream_tbPNSt15iterator_traitsISL_E10value_typeEPNSR_ISM_E10value_typeEPSN_NS1_7vsmem_tEENKUlT_SL_SM_SN_E_clIS8_S8_S9_S9_EESK_S10_SL_SM_SN_EUlS10_E0_NS1_11comp_targetILNS1_3genE4ELNS1_11target_archE910ELNS1_3gpuE8ELNS1_3repE0EEENS1_38merge_mergepath_config_static_selectorELNS0_4arch9wavefront6targetE1EEEvSM_,"axG",@progbits,_ZN7rocprim17ROCPRIM_400000_NS6detail17trampoline_kernelINS0_14default_configENS1_38merge_sort_block_merge_config_selectorIlNS0_10empty_typeEEEZZNS1_27merge_sort_block_merge_implIS3_PlPS5_mZN2at6native12_GLOBAL__N_124unique_dim_cuda_templateIfEESt5tupleIJNSA_6TensorESF_SF_EERKSF_lbbbEUlllE_EE10hipError_tT0_T1_T2_jT3_P12ihipStream_tbPNSt15iterator_traitsISL_E10value_typeEPNSR_ISM_E10value_typeEPSN_NS1_7vsmem_tEENKUlT_SL_SM_SN_E_clIS8_S8_S9_S9_EESK_S10_SL_SM_SN_EUlS10_E0_NS1_11comp_targetILNS1_3genE4ELNS1_11target_archE910ELNS1_3gpuE8ELNS1_3repE0EEENS1_38merge_mergepath_config_static_selectorELNS0_4arch9wavefront6targetE1EEEvSM_,comdat
	.globl	_ZN7rocprim17ROCPRIM_400000_NS6detail17trampoline_kernelINS0_14default_configENS1_38merge_sort_block_merge_config_selectorIlNS0_10empty_typeEEEZZNS1_27merge_sort_block_merge_implIS3_PlPS5_mZN2at6native12_GLOBAL__N_124unique_dim_cuda_templateIfEESt5tupleIJNSA_6TensorESF_SF_EERKSF_lbbbEUlllE_EE10hipError_tT0_T1_T2_jT3_P12ihipStream_tbPNSt15iterator_traitsISL_E10value_typeEPNSR_ISM_E10value_typeEPSN_NS1_7vsmem_tEENKUlT_SL_SM_SN_E_clIS8_S8_S9_S9_EESK_S10_SL_SM_SN_EUlS10_E0_NS1_11comp_targetILNS1_3genE4ELNS1_11target_archE910ELNS1_3gpuE8ELNS1_3repE0EEENS1_38merge_mergepath_config_static_selectorELNS0_4arch9wavefront6targetE1EEEvSM_ ; -- Begin function _ZN7rocprim17ROCPRIM_400000_NS6detail17trampoline_kernelINS0_14default_configENS1_38merge_sort_block_merge_config_selectorIlNS0_10empty_typeEEEZZNS1_27merge_sort_block_merge_implIS3_PlPS5_mZN2at6native12_GLOBAL__N_124unique_dim_cuda_templateIfEESt5tupleIJNSA_6TensorESF_SF_EERKSF_lbbbEUlllE_EE10hipError_tT0_T1_T2_jT3_P12ihipStream_tbPNSt15iterator_traitsISL_E10value_typeEPNSR_ISM_E10value_typeEPSN_NS1_7vsmem_tEENKUlT_SL_SM_SN_E_clIS8_S8_S9_S9_EESK_S10_SL_SM_SN_EUlS10_E0_NS1_11comp_targetILNS1_3genE4ELNS1_11target_archE910ELNS1_3gpuE8ELNS1_3repE0EEENS1_38merge_mergepath_config_static_selectorELNS0_4arch9wavefront6targetE1EEEvSM_
	.p2align	8
	.type	_ZN7rocprim17ROCPRIM_400000_NS6detail17trampoline_kernelINS0_14default_configENS1_38merge_sort_block_merge_config_selectorIlNS0_10empty_typeEEEZZNS1_27merge_sort_block_merge_implIS3_PlPS5_mZN2at6native12_GLOBAL__N_124unique_dim_cuda_templateIfEESt5tupleIJNSA_6TensorESF_SF_EERKSF_lbbbEUlllE_EE10hipError_tT0_T1_T2_jT3_P12ihipStream_tbPNSt15iterator_traitsISL_E10value_typeEPNSR_ISM_E10value_typeEPSN_NS1_7vsmem_tEENKUlT_SL_SM_SN_E_clIS8_S8_S9_S9_EESK_S10_SL_SM_SN_EUlS10_E0_NS1_11comp_targetILNS1_3genE4ELNS1_11target_archE910ELNS1_3gpuE8ELNS1_3repE0EEENS1_38merge_mergepath_config_static_selectorELNS0_4arch9wavefront6targetE1EEEvSM_,@function
_ZN7rocprim17ROCPRIM_400000_NS6detail17trampoline_kernelINS0_14default_configENS1_38merge_sort_block_merge_config_selectorIlNS0_10empty_typeEEEZZNS1_27merge_sort_block_merge_implIS3_PlPS5_mZN2at6native12_GLOBAL__N_124unique_dim_cuda_templateIfEESt5tupleIJNSA_6TensorESF_SF_EERKSF_lbbbEUlllE_EE10hipError_tT0_T1_T2_jT3_P12ihipStream_tbPNSt15iterator_traitsISL_E10value_typeEPNSR_ISM_E10value_typeEPSN_NS1_7vsmem_tEENKUlT_SL_SM_SN_E_clIS8_S8_S9_S9_EESK_S10_SL_SM_SN_EUlS10_E0_NS1_11comp_targetILNS1_3genE4ELNS1_11target_archE910ELNS1_3gpuE8ELNS1_3repE0EEENS1_38merge_mergepath_config_static_selectorELNS0_4arch9wavefront6targetE1EEEvSM_: ; @_ZN7rocprim17ROCPRIM_400000_NS6detail17trampoline_kernelINS0_14default_configENS1_38merge_sort_block_merge_config_selectorIlNS0_10empty_typeEEEZZNS1_27merge_sort_block_merge_implIS3_PlPS5_mZN2at6native12_GLOBAL__N_124unique_dim_cuda_templateIfEESt5tupleIJNSA_6TensorESF_SF_EERKSF_lbbbEUlllE_EE10hipError_tT0_T1_T2_jT3_P12ihipStream_tbPNSt15iterator_traitsISL_E10value_typeEPNSR_ISM_E10value_typeEPSN_NS1_7vsmem_tEENKUlT_SL_SM_SN_E_clIS8_S8_S9_S9_EESK_S10_SL_SM_SN_EUlS10_E0_NS1_11comp_targetILNS1_3genE4ELNS1_11target_archE910ELNS1_3gpuE8ELNS1_3repE0EEENS1_38merge_mergepath_config_static_selectorELNS0_4arch9wavefront6targetE1EEEvSM_
; %bb.0:
	.section	.rodata,"a",@progbits
	.p2align	6, 0x0
	.amdhsa_kernel _ZN7rocprim17ROCPRIM_400000_NS6detail17trampoline_kernelINS0_14default_configENS1_38merge_sort_block_merge_config_selectorIlNS0_10empty_typeEEEZZNS1_27merge_sort_block_merge_implIS3_PlPS5_mZN2at6native12_GLOBAL__N_124unique_dim_cuda_templateIfEESt5tupleIJNSA_6TensorESF_SF_EERKSF_lbbbEUlllE_EE10hipError_tT0_T1_T2_jT3_P12ihipStream_tbPNSt15iterator_traitsISL_E10value_typeEPNSR_ISM_E10value_typeEPSN_NS1_7vsmem_tEENKUlT_SL_SM_SN_E_clIS8_S8_S9_S9_EESK_S10_SL_SM_SN_EUlS10_E0_NS1_11comp_targetILNS1_3genE4ELNS1_11target_archE910ELNS1_3gpuE8ELNS1_3repE0EEENS1_38merge_mergepath_config_static_selectorELNS0_4arch9wavefront6targetE1EEEvSM_
		.amdhsa_group_segment_fixed_size 0
		.amdhsa_private_segment_fixed_size 0
		.amdhsa_kernarg_size 88
		.amdhsa_user_sgpr_count 2
		.amdhsa_user_sgpr_dispatch_ptr 0
		.amdhsa_user_sgpr_queue_ptr 0
		.amdhsa_user_sgpr_kernarg_segment_ptr 1
		.amdhsa_user_sgpr_dispatch_id 0
		.amdhsa_user_sgpr_kernarg_preload_length 0
		.amdhsa_user_sgpr_kernarg_preload_offset 0
		.amdhsa_user_sgpr_private_segment_size 0
		.amdhsa_uses_dynamic_stack 0
		.amdhsa_enable_private_segment 0
		.amdhsa_system_sgpr_workgroup_id_x 1
		.amdhsa_system_sgpr_workgroup_id_y 0
		.amdhsa_system_sgpr_workgroup_id_z 0
		.amdhsa_system_sgpr_workgroup_info 0
		.amdhsa_system_vgpr_workitem_id 0
		.amdhsa_next_free_vgpr 1
		.amdhsa_next_free_sgpr 0
		.amdhsa_accum_offset 4
		.amdhsa_reserve_vcc 0
		.amdhsa_float_round_mode_32 0
		.amdhsa_float_round_mode_16_64 0
		.amdhsa_float_denorm_mode_32 3
		.amdhsa_float_denorm_mode_16_64 3
		.amdhsa_dx10_clamp 1
		.amdhsa_ieee_mode 1
		.amdhsa_fp16_overflow 0
		.amdhsa_tg_split 0
		.amdhsa_exception_fp_ieee_invalid_op 0
		.amdhsa_exception_fp_denorm_src 0
		.amdhsa_exception_fp_ieee_div_zero 0
		.amdhsa_exception_fp_ieee_overflow 0
		.amdhsa_exception_fp_ieee_underflow 0
		.amdhsa_exception_fp_ieee_inexact 0
		.amdhsa_exception_int_div_zero 0
	.end_amdhsa_kernel
	.section	.text._ZN7rocprim17ROCPRIM_400000_NS6detail17trampoline_kernelINS0_14default_configENS1_38merge_sort_block_merge_config_selectorIlNS0_10empty_typeEEEZZNS1_27merge_sort_block_merge_implIS3_PlPS5_mZN2at6native12_GLOBAL__N_124unique_dim_cuda_templateIfEESt5tupleIJNSA_6TensorESF_SF_EERKSF_lbbbEUlllE_EE10hipError_tT0_T1_T2_jT3_P12ihipStream_tbPNSt15iterator_traitsISL_E10value_typeEPNSR_ISM_E10value_typeEPSN_NS1_7vsmem_tEENKUlT_SL_SM_SN_E_clIS8_S8_S9_S9_EESK_S10_SL_SM_SN_EUlS10_E0_NS1_11comp_targetILNS1_3genE4ELNS1_11target_archE910ELNS1_3gpuE8ELNS1_3repE0EEENS1_38merge_mergepath_config_static_selectorELNS0_4arch9wavefront6targetE1EEEvSM_,"axG",@progbits,_ZN7rocprim17ROCPRIM_400000_NS6detail17trampoline_kernelINS0_14default_configENS1_38merge_sort_block_merge_config_selectorIlNS0_10empty_typeEEEZZNS1_27merge_sort_block_merge_implIS3_PlPS5_mZN2at6native12_GLOBAL__N_124unique_dim_cuda_templateIfEESt5tupleIJNSA_6TensorESF_SF_EERKSF_lbbbEUlllE_EE10hipError_tT0_T1_T2_jT3_P12ihipStream_tbPNSt15iterator_traitsISL_E10value_typeEPNSR_ISM_E10value_typeEPSN_NS1_7vsmem_tEENKUlT_SL_SM_SN_E_clIS8_S8_S9_S9_EESK_S10_SL_SM_SN_EUlS10_E0_NS1_11comp_targetILNS1_3genE4ELNS1_11target_archE910ELNS1_3gpuE8ELNS1_3repE0EEENS1_38merge_mergepath_config_static_selectorELNS0_4arch9wavefront6targetE1EEEvSM_,comdat
.Lfunc_end898:
	.size	_ZN7rocprim17ROCPRIM_400000_NS6detail17trampoline_kernelINS0_14default_configENS1_38merge_sort_block_merge_config_selectorIlNS0_10empty_typeEEEZZNS1_27merge_sort_block_merge_implIS3_PlPS5_mZN2at6native12_GLOBAL__N_124unique_dim_cuda_templateIfEESt5tupleIJNSA_6TensorESF_SF_EERKSF_lbbbEUlllE_EE10hipError_tT0_T1_T2_jT3_P12ihipStream_tbPNSt15iterator_traitsISL_E10value_typeEPNSR_ISM_E10value_typeEPSN_NS1_7vsmem_tEENKUlT_SL_SM_SN_E_clIS8_S8_S9_S9_EESK_S10_SL_SM_SN_EUlS10_E0_NS1_11comp_targetILNS1_3genE4ELNS1_11target_archE910ELNS1_3gpuE8ELNS1_3repE0EEENS1_38merge_mergepath_config_static_selectorELNS0_4arch9wavefront6targetE1EEEvSM_, .Lfunc_end898-_ZN7rocprim17ROCPRIM_400000_NS6detail17trampoline_kernelINS0_14default_configENS1_38merge_sort_block_merge_config_selectorIlNS0_10empty_typeEEEZZNS1_27merge_sort_block_merge_implIS3_PlPS5_mZN2at6native12_GLOBAL__N_124unique_dim_cuda_templateIfEESt5tupleIJNSA_6TensorESF_SF_EERKSF_lbbbEUlllE_EE10hipError_tT0_T1_T2_jT3_P12ihipStream_tbPNSt15iterator_traitsISL_E10value_typeEPNSR_ISM_E10value_typeEPSN_NS1_7vsmem_tEENKUlT_SL_SM_SN_E_clIS8_S8_S9_S9_EESK_S10_SL_SM_SN_EUlS10_E0_NS1_11comp_targetILNS1_3genE4ELNS1_11target_archE910ELNS1_3gpuE8ELNS1_3repE0EEENS1_38merge_mergepath_config_static_selectorELNS0_4arch9wavefront6targetE1EEEvSM_
                                        ; -- End function
	.section	.AMDGPU.csdata,"",@progbits
; Kernel info:
; codeLenInByte = 0
; NumSgprs: 6
; NumVgprs: 0
; NumAgprs: 0
; TotalNumVgprs: 0
; ScratchSize: 0
; MemoryBound: 0
; FloatMode: 240
; IeeeMode: 1
; LDSByteSize: 0 bytes/workgroup (compile time only)
; SGPRBlocks: 0
; VGPRBlocks: 0
; NumSGPRsForWavesPerEU: 6
; NumVGPRsForWavesPerEU: 1
; AccumOffset: 4
; Occupancy: 8
; WaveLimiterHint : 0
; COMPUTE_PGM_RSRC2:SCRATCH_EN: 0
; COMPUTE_PGM_RSRC2:USER_SGPR: 2
; COMPUTE_PGM_RSRC2:TRAP_HANDLER: 0
; COMPUTE_PGM_RSRC2:TGID_X_EN: 1
; COMPUTE_PGM_RSRC2:TGID_Y_EN: 0
; COMPUTE_PGM_RSRC2:TGID_Z_EN: 0
; COMPUTE_PGM_RSRC2:TIDIG_COMP_CNT: 0
; COMPUTE_PGM_RSRC3_GFX90A:ACCUM_OFFSET: 0
; COMPUTE_PGM_RSRC3_GFX90A:TG_SPLIT: 0
	.section	.text._ZN7rocprim17ROCPRIM_400000_NS6detail17trampoline_kernelINS0_14default_configENS1_38merge_sort_block_merge_config_selectorIlNS0_10empty_typeEEEZZNS1_27merge_sort_block_merge_implIS3_PlPS5_mZN2at6native12_GLOBAL__N_124unique_dim_cuda_templateIfEESt5tupleIJNSA_6TensorESF_SF_EERKSF_lbbbEUlllE_EE10hipError_tT0_T1_T2_jT3_P12ihipStream_tbPNSt15iterator_traitsISL_E10value_typeEPNSR_ISM_E10value_typeEPSN_NS1_7vsmem_tEENKUlT_SL_SM_SN_E_clIS8_S8_S9_S9_EESK_S10_SL_SM_SN_EUlS10_E0_NS1_11comp_targetILNS1_3genE3ELNS1_11target_archE908ELNS1_3gpuE7ELNS1_3repE0EEENS1_38merge_mergepath_config_static_selectorELNS0_4arch9wavefront6targetE1EEEvSM_,"axG",@progbits,_ZN7rocprim17ROCPRIM_400000_NS6detail17trampoline_kernelINS0_14default_configENS1_38merge_sort_block_merge_config_selectorIlNS0_10empty_typeEEEZZNS1_27merge_sort_block_merge_implIS3_PlPS5_mZN2at6native12_GLOBAL__N_124unique_dim_cuda_templateIfEESt5tupleIJNSA_6TensorESF_SF_EERKSF_lbbbEUlllE_EE10hipError_tT0_T1_T2_jT3_P12ihipStream_tbPNSt15iterator_traitsISL_E10value_typeEPNSR_ISM_E10value_typeEPSN_NS1_7vsmem_tEENKUlT_SL_SM_SN_E_clIS8_S8_S9_S9_EESK_S10_SL_SM_SN_EUlS10_E0_NS1_11comp_targetILNS1_3genE3ELNS1_11target_archE908ELNS1_3gpuE7ELNS1_3repE0EEENS1_38merge_mergepath_config_static_selectorELNS0_4arch9wavefront6targetE1EEEvSM_,comdat
	.globl	_ZN7rocprim17ROCPRIM_400000_NS6detail17trampoline_kernelINS0_14default_configENS1_38merge_sort_block_merge_config_selectorIlNS0_10empty_typeEEEZZNS1_27merge_sort_block_merge_implIS3_PlPS5_mZN2at6native12_GLOBAL__N_124unique_dim_cuda_templateIfEESt5tupleIJNSA_6TensorESF_SF_EERKSF_lbbbEUlllE_EE10hipError_tT0_T1_T2_jT3_P12ihipStream_tbPNSt15iterator_traitsISL_E10value_typeEPNSR_ISM_E10value_typeEPSN_NS1_7vsmem_tEENKUlT_SL_SM_SN_E_clIS8_S8_S9_S9_EESK_S10_SL_SM_SN_EUlS10_E0_NS1_11comp_targetILNS1_3genE3ELNS1_11target_archE908ELNS1_3gpuE7ELNS1_3repE0EEENS1_38merge_mergepath_config_static_selectorELNS0_4arch9wavefront6targetE1EEEvSM_ ; -- Begin function _ZN7rocprim17ROCPRIM_400000_NS6detail17trampoline_kernelINS0_14default_configENS1_38merge_sort_block_merge_config_selectorIlNS0_10empty_typeEEEZZNS1_27merge_sort_block_merge_implIS3_PlPS5_mZN2at6native12_GLOBAL__N_124unique_dim_cuda_templateIfEESt5tupleIJNSA_6TensorESF_SF_EERKSF_lbbbEUlllE_EE10hipError_tT0_T1_T2_jT3_P12ihipStream_tbPNSt15iterator_traitsISL_E10value_typeEPNSR_ISM_E10value_typeEPSN_NS1_7vsmem_tEENKUlT_SL_SM_SN_E_clIS8_S8_S9_S9_EESK_S10_SL_SM_SN_EUlS10_E0_NS1_11comp_targetILNS1_3genE3ELNS1_11target_archE908ELNS1_3gpuE7ELNS1_3repE0EEENS1_38merge_mergepath_config_static_selectorELNS0_4arch9wavefront6targetE1EEEvSM_
	.p2align	8
	.type	_ZN7rocprim17ROCPRIM_400000_NS6detail17trampoline_kernelINS0_14default_configENS1_38merge_sort_block_merge_config_selectorIlNS0_10empty_typeEEEZZNS1_27merge_sort_block_merge_implIS3_PlPS5_mZN2at6native12_GLOBAL__N_124unique_dim_cuda_templateIfEESt5tupleIJNSA_6TensorESF_SF_EERKSF_lbbbEUlllE_EE10hipError_tT0_T1_T2_jT3_P12ihipStream_tbPNSt15iterator_traitsISL_E10value_typeEPNSR_ISM_E10value_typeEPSN_NS1_7vsmem_tEENKUlT_SL_SM_SN_E_clIS8_S8_S9_S9_EESK_S10_SL_SM_SN_EUlS10_E0_NS1_11comp_targetILNS1_3genE3ELNS1_11target_archE908ELNS1_3gpuE7ELNS1_3repE0EEENS1_38merge_mergepath_config_static_selectorELNS0_4arch9wavefront6targetE1EEEvSM_,@function
_ZN7rocprim17ROCPRIM_400000_NS6detail17trampoline_kernelINS0_14default_configENS1_38merge_sort_block_merge_config_selectorIlNS0_10empty_typeEEEZZNS1_27merge_sort_block_merge_implIS3_PlPS5_mZN2at6native12_GLOBAL__N_124unique_dim_cuda_templateIfEESt5tupleIJNSA_6TensorESF_SF_EERKSF_lbbbEUlllE_EE10hipError_tT0_T1_T2_jT3_P12ihipStream_tbPNSt15iterator_traitsISL_E10value_typeEPNSR_ISM_E10value_typeEPSN_NS1_7vsmem_tEENKUlT_SL_SM_SN_E_clIS8_S8_S9_S9_EESK_S10_SL_SM_SN_EUlS10_E0_NS1_11comp_targetILNS1_3genE3ELNS1_11target_archE908ELNS1_3gpuE7ELNS1_3repE0EEENS1_38merge_mergepath_config_static_selectorELNS0_4arch9wavefront6targetE1EEEvSM_: ; @_ZN7rocprim17ROCPRIM_400000_NS6detail17trampoline_kernelINS0_14default_configENS1_38merge_sort_block_merge_config_selectorIlNS0_10empty_typeEEEZZNS1_27merge_sort_block_merge_implIS3_PlPS5_mZN2at6native12_GLOBAL__N_124unique_dim_cuda_templateIfEESt5tupleIJNSA_6TensorESF_SF_EERKSF_lbbbEUlllE_EE10hipError_tT0_T1_T2_jT3_P12ihipStream_tbPNSt15iterator_traitsISL_E10value_typeEPNSR_ISM_E10value_typeEPSN_NS1_7vsmem_tEENKUlT_SL_SM_SN_E_clIS8_S8_S9_S9_EESK_S10_SL_SM_SN_EUlS10_E0_NS1_11comp_targetILNS1_3genE3ELNS1_11target_archE908ELNS1_3gpuE7ELNS1_3repE0EEENS1_38merge_mergepath_config_static_selectorELNS0_4arch9wavefront6targetE1EEEvSM_
; %bb.0:
	.section	.rodata,"a",@progbits
	.p2align	6, 0x0
	.amdhsa_kernel _ZN7rocprim17ROCPRIM_400000_NS6detail17trampoline_kernelINS0_14default_configENS1_38merge_sort_block_merge_config_selectorIlNS0_10empty_typeEEEZZNS1_27merge_sort_block_merge_implIS3_PlPS5_mZN2at6native12_GLOBAL__N_124unique_dim_cuda_templateIfEESt5tupleIJNSA_6TensorESF_SF_EERKSF_lbbbEUlllE_EE10hipError_tT0_T1_T2_jT3_P12ihipStream_tbPNSt15iterator_traitsISL_E10value_typeEPNSR_ISM_E10value_typeEPSN_NS1_7vsmem_tEENKUlT_SL_SM_SN_E_clIS8_S8_S9_S9_EESK_S10_SL_SM_SN_EUlS10_E0_NS1_11comp_targetILNS1_3genE3ELNS1_11target_archE908ELNS1_3gpuE7ELNS1_3repE0EEENS1_38merge_mergepath_config_static_selectorELNS0_4arch9wavefront6targetE1EEEvSM_
		.amdhsa_group_segment_fixed_size 0
		.amdhsa_private_segment_fixed_size 0
		.amdhsa_kernarg_size 88
		.amdhsa_user_sgpr_count 2
		.amdhsa_user_sgpr_dispatch_ptr 0
		.amdhsa_user_sgpr_queue_ptr 0
		.amdhsa_user_sgpr_kernarg_segment_ptr 1
		.amdhsa_user_sgpr_dispatch_id 0
		.amdhsa_user_sgpr_kernarg_preload_length 0
		.amdhsa_user_sgpr_kernarg_preload_offset 0
		.amdhsa_user_sgpr_private_segment_size 0
		.amdhsa_uses_dynamic_stack 0
		.amdhsa_enable_private_segment 0
		.amdhsa_system_sgpr_workgroup_id_x 1
		.amdhsa_system_sgpr_workgroup_id_y 0
		.amdhsa_system_sgpr_workgroup_id_z 0
		.amdhsa_system_sgpr_workgroup_info 0
		.amdhsa_system_vgpr_workitem_id 0
		.amdhsa_next_free_vgpr 1
		.amdhsa_next_free_sgpr 0
		.amdhsa_accum_offset 4
		.amdhsa_reserve_vcc 0
		.amdhsa_float_round_mode_32 0
		.amdhsa_float_round_mode_16_64 0
		.amdhsa_float_denorm_mode_32 3
		.amdhsa_float_denorm_mode_16_64 3
		.amdhsa_dx10_clamp 1
		.amdhsa_ieee_mode 1
		.amdhsa_fp16_overflow 0
		.amdhsa_tg_split 0
		.amdhsa_exception_fp_ieee_invalid_op 0
		.amdhsa_exception_fp_denorm_src 0
		.amdhsa_exception_fp_ieee_div_zero 0
		.amdhsa_exception_fp_ieee_overflow 0
		.amdhsa_exception_fp_ieee_underflow 0
		.amdhsa_exception_fp_ieee_inexact 0
		.amdhsa_exception_int_div_zero 0
	.end_amdhsa_kernel
	.section	.text._ZN7rocprim17ROCPRIM_400000_NS6detail17trampoline_kernelINS0_14default_configENS1_38merge_sort_block_merge_config_selectorIlNS0_10empty_typeEEEZZNS1_27merge_sort_block_merge_implIS3_PlPS5_mZN2at6native12_GLOBAL__N_124unique_dim_cuda_templateIfEESt5tupleIJNSA_6TensorESF_SF_EERKSF_lbbbEUlllE_EE10hipError_tT0_T1_T2_jT3_P12ihipStream_tbPNSt15iterator_traitsISL_E10value_typeEPNSR_ISM_E10value_typeEPSN_NS1_7vsmem_tEENKUlT_SL_SM_SN_E_clIS8_S8_S9_S9_EESK_S10_SL_SM_SN_EUlS10_E0_NS1_11comp_targetILNS1_3genE3ELNS1_11target_archE908ELNS1_3gpuE7ELNS1_3repE0EEENS1_38merge_mergepath_config_static_selectorELNS0_4arch9wavefront6targetE1EEEvSM_,"axG",@progbits,_ZN7rocprim17ROCPRIM_400000_NS6detail17trampoline_kernelINS0_14default_configENS1_38merge_sort_block_merge_config_selectorIlNS0_10empty_typeEEEZZNS1_27merge_sort_block_merge_implIS3_PlPS5_mZN2at6native12_GLOBAL__N_124unique_dim_cuda_templateIfEESt5tupleIJNSA_6TensorESF_SF_EERKSF_lbbbEUlllE_EE10hipError_tT0_T1_T2_jT3_P12ihipStream_tbPNSt15iterator_traitsISL_E10value_typeEPNSR_ISM_E10value_typeEPSN_NS1_7vsmem_tEENKUlT_SL_SM_SN_E_clIS8_S8_S9_S9_EESK_S10_SL_SM_SN_EUlS10_E0_NS1_11comp_targetILNS1_3genE3ELNS1_11target_archE908ELNS1_3gpuE7ELNS1_3repE0EEENS1_38merge_mergepath_config_static_selectorELNS0_4arch9wavefront6targetE1EEEvSM_,comdat
.Lfunc_end899:
	.size	_ZN7rocprim17ROCPRIM_400000_NS6detail17trampoline_kernelINS0_14default_configENS1_38merge_sort_block_merge_config_selectorIlNS0_10empty_typeEEEZZNS1_27merge_sort_block_merge_implIS3_PlPS5_mZN2at6native12_GLOBAL__N_124unique_dim_cuda_templateIfEESt5tupleIJNSA_6TensorESF_SF_EERKSF_lbbbEUlllE_EE10hipError_tT0_T1_T2_jT3_P12ihipStream_tbPNSt15iterator_traitsISL_E10value_typeEPNSR_ISM_E10value_typeEPSN_NS1_7vsmem_tEENKUlT_SL_SM_SN_E_clIS8_S8_S9_S9_EESK_S10_SL_SM_SN_EUlS10_E0_NS1_11comp_targetILNS1_3genE3ELNS1_11target_archE908ELNS1_3gpuE7ELNS1_3repE0EEENS1_38merge_mergepath_config_static_selectorELNS0_4arch9wavefront6targetE1EEEvSM_, .Lfunc_end899-_ZN7rocprim17ROCPRIM_400000_NS6detail17trampoline_kernelINS0_14default_configENS1_38merge_sort_block_merge_config_selectorIlNS0_10empty_typeEEEZZNS1_27merge_sort_block_merge_implIS3_PlPS5_mZN2at6native12_GLOBAL__N_124unique_dim_cuda_templateIfEESt5tupleIJNSA_6TensorESF_SF_EERKSF_lbbbEUlllE_EE10hipError_tT0_T1_T2_jT3_P12ihipStream_tbPNSt15iterator_traitsISL_E10value_typeEPNSR_ISM_E10value_typeEPSN_NS1_7vsmem_tEENKUlT_SL_SM_SN_E_clIS8_S8_S9_S9_EESK_S10_SL_SM_SN_EUlS10_E0_NS1_11comp_targetILNS1_3genE3ELNS1_11target_archE908ELNS1_3gpuE7ELNS1_3repE0EEENS1_38merge_mergepath_config_static_selectorELNS0_4arch9wavefront6targetE1EEEvSM_
                                        ; -- End function
	.section	.AMDGPU.csdata,"",@progbits
; Kernel info:
; codeLenInByte = 0
; NumSgprs: 6
; NumVgprs: 0
; NumAgprs: 0
; TotalNumVgprs: 0
; ScratchSize: 0
; MemoryBound: 0
; FloatMode: 240
; IeeeMode: 1
; LDSByteSize: 0 bytes/workgroup (compile time only)
; SGPRBlocks: 0
; VGPRBlocks: 0
; NumSGPRsForWavesPerEU: 6
; NumVGPRsForWavesPerEU: 1
; AccumOffset: 4
; Occupancy: 8
; WaveLimiterHint : 0
; COMPUTE_PGM_RSRC2:SCRATCH_EN: 0
; COMPUTE_PGM_RSRC2:USER_SGPR: 2
; COMPUTE_PGM_RSRC2:TRAP_HANDLER: 0
; COMPUTE_PGM_RSRC2:TGID_X_EN: 1
; COMPUTE_PGM_RSRC2:TGID_Y_EN: 0
; COMPUTE_PGM_RSRC2:TGID_Z_EN: 0
; COMPUTE_PGM_RSRC2:TIDIG_COMP_CNT: 0
; COMPUTE_PGM_RSRC3_GFX90A:ACCUM_OFFSET: 0
; COMPUTE_PGM_RSRC3_GFX90A:TG_SPLIT: 0
	.section	.text._ZN7rocprim17ROCPRIM_400000_NS6detail17trampoline_kernelINS0_14default_configENS1_38merge_sort_block_merge_config_selectorIlNS0_10empty_typeEEEZZNS1_27merge_sort_block_merge_implIS3_PlPS5_mZN2at6native12_GLOBAL__N_124unique_dim_cuda_templateIfEESt5tupleIJNSA_6TensorESF_SF_EERKSF_lbbbEUlllE_EE10hipError_tT0_T1_T2_jT3_P12ihipStream_tbPNSt15iterator_traitsISL_E10value_typeEPNSR_ISM_E10value_typeEPSN_NS1_7vsmem_tEENKUlT_SL_SM_SN_E_clIS8_S8_S9_S9_EESK_S10_SL_SM_SN_EUlS10_E0_NS1_11comp_targetILNS1_3genE2ELNS1_11target_archE906ELNS1_3gpuE6ELNS1_3repE0EEENS1_38merge_mergepath_config_static_selectorELNS0_4arch9wavefront6targetE1EEEvSM_,"axG",@progbits,_ZN7rocprim17ROCPRIM_400000_NS6detail17trampoline_kernelINS0_14default_configENS1_38merge_sort_block_merge_config_selectorIlNS0_10empty_typeEEEZZNS1_27merge_sort_block_merge_implIS3_PlPS5_mZN2at6native12_GLOBAL__N_124unique_dim_cuda_templateIfEESt5tupleIJNSA_6TensorESF_SF_EERKSF_lbbbEUlllE_EE10hipError_tT0_T1_T2_jT3_P12ihipStream_tbPNSt15iterator_traitsISL_E10value_typeEPNSR_ISM_E10value_typeEPSN_NS1_7vsmem_tEENKUlT_SL_SM_SN_E_clIS8_S8_S9_S9_EESK_S10_SL_SM_SN_EUlS10_E0_NS1_11comp_targetILNS1_3genE2ELNS1_11target_archE906ELNS1_3gpuE6ELNS1_3repE0EEENS1_38merge_mergepath_config_static_selectorELNS0_4arch9wavefront6targetE1EEEvSM_,comdat
	.globl	_ZN7rocprim17ROCPRIM_400000_NS6detail17trampoline_kernelINS0_14default_configENS1_38merge_sort_block_merge_config_selectorIlNS0_10empty_typeEEEZZNS1_27merge_sort_block_merge_implIS3_PlPS5_mZN2at6native12_GLOBAL__N_124unique_dim_cuda_templateIfEESt5tupleIJNSA_6TensorESF_SF_EERKSF_lbbbEUlllE_EE10hipError_tT0_T1_T2_jT3_P12ihipStream_tbPNSt15iterator_traitsISL_E10value_typeEPNSR_ISM_E10value_typeEPSN_NS1_7vsmem_tEENKUlT_SL_SM_SN_E_clIS8_S8_S9_S9_EESK_S10_SL_SM_SN_EUlS10_E0_NS1_11comp_targetILNS1_3genE2ELNS1_11target_archE906ELNS1_3gpuE6ELNS1_3repE0EEENS1_38merge_mergepath_config_static_selectorELNS0_4arch9wavefront6targetE1EEEvSM_ ; -- Begin function _ZN7rocprim17ROCPRIM_400000_NS6detail17trampoline_kernelINS0_14default_configENS1_38merge_sort_block_merge_config_selectorIlNS0_10empty_typeEEEZZNS1_27merge_sort_block_merge_implIS3_PlPS5_mZN2at6native12_GLOBAL__N_124unique_dim_cuda_templateIfEESt5tupleIJNSA_6TensorESF_SF_EERKSF_lbbbEUlllE_EE10hipError_tT0_T1_T2_jT3_P12ihipStream_tbPNSt15iterator_traitsISL_E10value_typeEPNSR_ISM_E10value_typeEPSN_NS1_7vsmem_tEENKUlT_SL_SM_SN_E_clIS8_S8_S9_S9_EESK_S10_SL_SM_SN_EUlS10_E0_NS1_11comp_targetILNS1_3genE2ELNS1_11target_archE906ELNS1_3gpuE6ELNS1_3repE0EEENS1_38merge_mergepath_config_static_selectorELNS0_4arch9wavefront6targetE1EEEvSM_
	.p2align	8
	.type	_ZN7rocprim17ROCPRIM_400000_NS6detail17trampoline_kernelINS0_14default_configENS1_38merge_sort_block_merge_config_selectorIlNS0_10empty_typeEEEZZNS1_27merge_sort_block_merge_implIS3_PlPS5_mZN2at6native12_GLOBAL__N_124unique_dim_cuda_templateIfEESt5tupleIJNSA_6TensorESF_SF_EERKSF_lbbbEUlllE_EE10hipError_tT0_T1_T2_jT3_P12ihipStream_tbPNSt15iterator_traitsISL_E10value_typeEPNSR_ISM_E10value_typeEPSN_NS1_7vsmem_tEENKUlT_SL_SM_SN_E_clIS8_S8_S9_S9_EESK_S10_SL_SM_SN_EUlS10_E0_NS1_11comp_targetILNS1_3genE2ELNS1_11target_archE906ELNS1_3gpuE6ELNS1_3repE0EEENS1_38merge_mergepath_config_static_selectorELNS0_4arch9wavefront6targetE1EEEvSM_,@function
_ZN7rocprim17ROCPRIM_400000_NS6detail17trampoline_kernelINS0_14default_configENS1_38merge_sort_block_merge_config_selectorIlNS0_10empty_typeEEEZZNS1_27merge_sort_block_merge_implIS3_PlPS5_mZN2at6native12_GLOBAL__N_124unique_dim_cuda_templateIfEESt5tupleIJNSA_6TensorESF_SF_EERKSF_lbbbEUlllE_EE10hipError_tT0_T1_T2_jT3_P12ihipStream_tbPNSt15iterator_traitsISL_E10value_typeEPNSR_ISM_E10value_typeEPSN_NS1_7vsmem_tEENKUlT_SL_SM_SN_E_clIS8_S8_S9_S9_EESK_S10_SL_SM_SN_EUlS10_E0_NS1_11comp_targetILNS1_3genE2ELNS1_11target_archE906ELNS1_3gpuE6ELNS1_3repE0EEENS1_38merge_mergepath_config_static_selectorELNS0_4arch9wavefront6targetE1EEEvSM_: ; @_ZN7rocprim17ROCPRIM_400000_NS6detail17trampoline_kernelINS0_14default_configENS1_38merge_sort_block_merge_config_selectorIlNS0_10empty_typeEEEZZNS1_27merge_sort_block_merge_implIS3_PlPS5_mZN2at6native12_GLOBAL__N_124unique_dim_cuda_templateIfEESt5tupleIJNSA_6TensorESF_SF_EERKSF_lbbbEUlllE_EE10hipError_tT0_T1_T2_jT3_P12ihipStream_tbPNSt15iterator_traitsISL_E10value_typeEPNSR_ISM_E10value_typeEPSN_NS1_7vsmem_tEENKUlT_SL_SM_SN_E_clIS8_S8_S9_S9_EESK_S10_SL_SM_SN_EUlS10_E0_NS1_11comp_targetILNS1_3genE2ELNS1_11target_archE906ELNS1_3gpuE6ELNS1_3repE0EEENS1_38merge_mergepath_config_static_selectorELNS0_4arch9wavefront6targetE1EEEvSM_
; %bb.0:
	.section	.rodata,"a",@progbits
	.p2align	6, 0x0
	.amdhsa_kernel _ZN7rocprim17ROCPRIM_400000_NS6detail17trampoline_kernelINS0_14default_configENS1_38merge_sort_block_merge_config_selectorIlNS0_10empty_typeEEEZZNS1_27merge_sort_block_merge_implIS3_PlPS5_mZN2at6native12_GLOBAL__N_124unique_dim_cuda_templateIfEESt5tupleIJNSA_6TensorESF_SF_EERKSF_lbbbEUlllE_EE10hipError_tT0_T1_T2_jT3_P12ihipStream_tbPNSt15iterator_traitsISL_E10value_typeEPNSR_ISM_E10value_typeEPSN_NS1_7vsmem_tEENKUlT_SL_SM_SN_E_clIS8_S8_S9_S9_EESK_S10_SL_SM_SN_EUlS10_E0_NS1_11comp_targetILNS1_3genE2ELNS1_11target_archE906ELNS1_3gpuE6ELNS1_3repE0EEENS1_38merge_mergepath_config_static_selectorELNS0_4arch9wavefront6targetE1EEEvSM_
		.amdhsa_group_segment_fixed_size 0
		.amdhsa_private_segment_fixed_size 0
		.amdhsa_kernarg_size 88
		.amdhsa_user_sgpr_count 2
		.amdhsa_user_sgpr_dispatch_ptr 0
		.amdhsa_user_sgpr_queue_ptr 0
		.amdhsa_user_sgpr_kernarg_segment_ptr 1
		.amdhsa_user_sgpr_dispatch_id 0
		.amdhsa_user_sgpr_kernarg_preload_length 0
		.amdhsa_user_sgpr_kernarg_preload_offset 0
		.amdhsa_user_sgpr_private_segment_size 0
		.amdhsa_uses_dynamic_stack 0
		.amdhsa_enable_private_segment 0
		.amdhsa_system_sgpr_workgroup_id_x 1
		.amdhsa_system_sgpr_workgroup_id_y 0
		.amdhsa_system_sgpr_workgroup_id_z 0
		.amdhsa_system_sgpr_workgroup_info 0
		.amdhsa_system_vgpr_workitem_id 0
		.amdhsa_next_free_vgpr 1
		.amdhsa_next_free_sgpr 0
		.amdhsa_accum_offset 4
		.amdhsa_reserve_vcc 0
		.amdhsa_float_round_mode_32 0
		.amdhsa_float_round_mode_16_64 0
		.amdhsa_float_denorm_mode_32 3
		.amdhsa_float_denorm_mode_16_64 3
		.amdhsa_dx10_clamp 1
		.amdhsa_ieee_mode 1
		.amdhsa_fp16_overflow 0
		.amdhsa_tg_split 0
		.amdhsa_exception_fp_ieee_invalid_op 0
		.amdhsa_exception_fp_denorm_src 0
		.amdhsa_exception_fp_ieee_div_zero 0
		.amdhsa_exception_fp_ieee_overflow 0
		.amdhsa_exception_fp_ieee_underflow 0
		.amdhsa_exception_fp_ieee_inexact 0
		.amdhsa_exception_int_div_zero 0
	.end_amdhsa_kernel
	.section	.text._ZN7rocprim17ROCPRIM_400000_NS6detail17trampoline_kernelINS0_14default_configENS1_38merge_sort_block_merge_config_selectorIlNS0_10empty_typeEEEZZNS1_27merge_sort_block_merge_implIS3_PlPS5_mZN2at6native12_GLOBAL__N_124unique_dim_cuda_templateIfEESt5tupleIJNSA_6TensorESF_SF_EERKSF_lbbbEUlllE_EE10hipError_tT0_T1_T2_jT3_P12ihipStream_tbPNSt15iterator_traitsISL_E10value_typeEPNSR_ISM_E10value_typeEPSN_NS1_7vsmem_tEENKUlT_SL_SM_SN_E_clIS8_S8_S9_S9_EESK_S10_SL_SM_SN_EUlS10_E0_NS1_11comp_targetILNS1_3genE2ELNS1_11target_archE906ELNS1_3gpuE6ELNS1_3repE0EEENS1_38merge_mergepath_config_static_selectorELNS0_4arch9wavefront6targetE1EEEvSM_,"axG",@progbits,_ZN7rocprim17ROCPRIM_400000_NS6detail17trampoline_kernelINS0_14default_configENS1_38merge_sort_block_merge_config_selectorIlNS0_10empty_typeEEEZZNS1_27merge_sort_block_merge_implIS3_PlPS5_mZN2at6native12_GLOBAL__N_124unique_dim_cuda_templateIfEESt5tupleIJNSA_6TensorESF_SF_EERKSF_lbbbEUlllE_EE10hipError_tT0_T1_T2_jT3_P12ihipStream_tbPNSt15iterator_traitsISL_E10value_typeEPNSR_ISM_E10value_typeEPSN_NS1_7vsmem_tEENKUlT_SL_SM_SN_E_clIS8_S8_S9_S9_EESK_S10_SL_SM_SN_EUlS10_E0_NS1_11comp_targetILNS1_3genE2ELNS1_11target_archE906ELNS1_3gpuE6ELNS1_3repE0EEENS1_38merge_mergepath_config_static_selectorELNS0_4arch9wavefront6targetE1EEEvSM_,comdat
.Lfunc_end900:
	.size	_ZN7rocprim17ROCPRIM_400000_NS6detail17trampoline_kernelINS0_14default_configENS1_38merge_sort_block_merge_config_selectorIlNS0_10empty_typeEEEZZNS1_27merge_sort_block_merge_implIS3_PlPS5_mZN2at6native12_GLOBAL__N_124unique_dim_cuda_templateIfEESt5tupleIJNSA_6TensorESF_SF_EERKSF_lbbbEUlllE_EE10hipError_tT0_T1_T2_jT3_P12ihipStream_tbPNSt15iterator_traitsISL_E10value_typeEPNSR_ISM_E10value_typeEPSN_NS1_7vsmem_tEENKUlT_SL_SM_SN_E_clIS8_S8_S9_S9_EESK_S10_SL_SM_SN_EUlS10_E0_NS1_11comp_targetILNS1_3genE2ELNS1_11target_archE906ELNS1_3gpuE6ELNS1_3repE0EEENS1_38merge_mergepath_config_static_selectorELNS0_4arch9wavefront6targetE1EEEvSM_, .Lfunc_end900-_ZN7rocprim17ROCPRIM_400000_NS6detail17trampoline_kernelINS0_14default_configENS1_38merge_sort_block_merge_config_selectorIlNS0_10empty_typeEEEZZNS1_27merge_sort_block_merge_implIS3_PlPS5_mZN2at6native12_GLOBAL__N_124unique_dim_cuda_templateIfEESt5tupleIJNSA_6TensorESF_SF_EERKSF_lbbbEUlllE_EE10hipError_tT0_T1_T2_jT3_P12ihipStream_tbPNSt15iterator_traitsISL_E10value_typeEPNSR_ISM_E10value_typeEPSN_NS1_7vsmem_tEENKUlT_SL_SM_SN_E_clIS8_S8_S9_S9_EESK_S10_SL_SM_SN_EUlS10_E0_NS1_11comp_targetILNS1_3genE2ELNS1_11target_archE906ELNS1_3gpuE6ELNS1_3repE0EEENS1_38merge_mergepath_config_static_selectorELNS0_4arch9wavefront6targetE1EEEvSM_
                                        ; -- End function
	.section	.AMDGPU.csdata,"",@progbits
; Kernel info:
; codeLenInByte = 0
; NumSgprs: 6
; NumVgprs: 0
; NumAgprs: 0
; TotalNumVgprs: 0
; ScratchSize: 0
; MemoryBound: 0
; FloatMode: 240
; IeeeMode: 1
; LDSByteSize: 0 bytes/workgroup (compile time only)
; SGPRBlocks: 0
; VGPRBlocks: 0
; NumSGPRsForWavesPerEU: 6
; NumVGPRsForWavesPerEU: 1
; AccumOffset: 4
; Occupancy: 8
; WaveLimiterHint : 0
; COMPUTE_PGM_RSRC2:SCRATCH_EN: 0
; COMPUTE_PGM_RSRC2:USER_SGPR: 2
; COMPUTE_PGM_RSRC2:TRAP_HANDLER: 0
; COMPUTE_PGM_RSRC2:TGID_X_EN: 1
; COMPUTE_PGM_RSRC2:TGID_Y_EN: 0
; COMPUTE_PGM_RSRC2:TGID_Z_EN: 0
; COMPUTE_PGM_RSRC2:TIDIG_COMP_CNT: 0
; COMPUTE_PGM_RSRC3_GFX90A:ACCUM_OFFSET: 0
; COMPUTE_PGM_RSRC3_GFX90A:TG_SPLIT: 0
	.section	.text._ZN7rocprim17ROCPRIM_400000_NS6detail17trampoline_kernelINS0_14default_configENS1_38merge_sort_block_merge_config_selectorIlNS0_10empty_typeEEEZZNS1_27merge_sort_block_merge_implIS3_PlPS5_mZN2at6native12_GLOBAL__N_124unique_dim_cuda_templateIfEESt5tupleIJNSA_6TensorESF_SF_EERKSF_lbbbEUlllE_EE10hipError_tT0_T1_T2_jT3_P12ihipStream_tbPNSt15iterator_traitsISL_E10value_typeEPNSR_ISM_E10value_typeEPSN_NS1_7vsmem_tEENKUlT_SL_SM_SN_E_clIS8_S8_S9_S9_EESK_S10_SL_SM_SN_EUlS10_E0_NS1_11comp_targetILNS1_3genE9ELNS1_11target_archE1100ELNS1_3gpuE3ELNS1_3repE0EEENS1_38merge_mergepath_config_static_selectorELNS0_4arch9wavefront6targetE1EEEvSM_,"axG",@progbits,_ZN7rocprim17ROCPRIM_400000_NS6detail17trampoline_kernelINS0_14default_configENS1_38merge_sort_block_merge_config_selectorIlNS0_10empty_typeEEEZZNS1_27merge_sort_block_merge_implIS3_PlPS5_mZN2at6native12_GLOBAL__N_124unique_dim_cuda_templateIfEESt5tupleIJNSA_6TensorESF_SF_EERKSF_lbbbEUlllE_EE10hipError_tT0_T1_T2_jT3_P12ihipStream_tbPNSt15iterator_traitsISL_E10value_typeEPNSR_ISM_E10value_typeEPSN_NS1_7vsmem_tEENKUlT_SL_SM_SN_E_clIS8_S8_S9_S9_EESK_S10_SL_SM_SN_EUlS10_E0_NS1_11comp_targetILNS1_3genE9ELNS1_11target_archE1100ELNS1_3gpuE3ELNS1_3repE0EEENS1_38merge_mergepath_config_static_selectorELNS0_4arch9wavefront6targetE1EEEvSM_,comdat
	.globl	_ZN7rocprim17ROCPRIM_400000_NS6detail17trampoline_kernelINS0_14default_configENS1_38merge_sort_block_merge_config_selectorIlNS0_10empty_typeEEEZZNS1_27merge_sort_block_merge_implIS3_PlPS5_mZN2at6native12_GLOBAL__N_124unique_dim_cuda_templateIfEESt5tupleIJNSA_6TensorESF_SF_EERKSF_lbbbEUlllE_EE10hipError_tT0_T1_T2_jT3_P12ihipStream_tbPNSt15iterator_traitsISL_E10value_typeEPNSR_ISM_E10value_typeEPSN_NS1_7vsmem_tEENKUlT_SL_SM_SN_E_clIS8_S8_S9_S9_EESK_S10_SL_SM_SN_EUlS10_E0_NS1_11comp_targetILNS1_3genE9ELNS1_11target_archE1100ELNS1_3gpuE3ELNS1_3repE0EEENS1_38merge_mergepath_config_static_selectorELNS0_4arch9wavefront6targetE1EEEvSM_ ; -- Begin function _ZN7rocprim17ROCPRIM_400000_NS6detail17trampoline_kernelINS0_14default_configENS1_38merge_sort_block_merge_config_selectorIlNS0_10empty_typeEEEZZNS1_27merge_sort_block_merge_implIS3_PlPS5_mZN2at6native12_GLOBAL__N_124unique_dim_cuda_templateIfEESt5tupleIJNSA_6TensorESF_SF_EERKSF_lbbbEUlllE_EE10hipError_tT0_T1_T2_jT3_P12ihipStream_tbPNSt15iterator_traitsISL_E10value_typeEPNSR_ISM_E10value_typeEPSN_NS1_7vsmem_tEENKUlT_SL_SM_SN_E_clIS8_S8_S9_S9_EESK_S10_SL_SM_SN_EUlS10_E0_NS1_11comp_targetILNS1_3genE9ELNS1_11target_archE1100ELNS1_3gpuE3ELNS1_3repE0EEENS1_38merge_mergepath_config_static_selectorELNS0_4arch9wavefront6targetE1EEEvSM_
	.p2align	8
	.type	_ZN7rocprim17ROCPRIM_400000_NS6detail17trampoline_kernelINS0_14default_configENS1_38merge_sort_block_merge_config_selectorIlNS0_10empty_typeEEEZZNS1_27merge_sort_block_merge_implIS3_PlPS5_mZN2at6native12_GLOBAL__N_124unique_dim_cuda_templateIfEESt5tupleIJNSA_6TensorESF_SF_EERKSF_lbbbEUlllE_EE10hipError_tT0_T1_T2_jT3_P12ihipStream_tbPNSt15iterator_traitsISL_E10value_typeEPNSR_ISM_E10value_typeEPSN_NS1_7vsmem_tEENKUlT_SL_SM_SN_E_clIS8_S8_S9_S9_EESK_S10_SL_SM_SN_EUlS10_E0_NS1_11comp_targetILNS1_3genE9ELNS1_11target_archE1100ELNS1_3gpuE3ELNS1_3repE0EEENS1_38merge_mergepath_config_static_selectorELNS0_4arch9wavefront6targetE1EEEvSM_,@function
_ZN7rocprim17ROCPRIM_400000_NS6detail17trampoline_kernelINS0_14default_configENS1_38merge_sort_block_merge_config_selectorIlNS0_10empty_typeEEEZZNS1_27merge_sort_block_merge_implIS3_PlPS5_mZN2at6native12_GLOBAL__N_124unique_dim_cuda_templateIfEESt5tupleIJNSA_6TensorESF_SF_EERKSF_lbbbEUlllE_EE10hipError_tT0_T1_T2_jT3_P12ihipStream_tbPNSt15iterator_traitsISL_E10value_typeEPNSR_ISM_E10value_typeEPSN_NS1_7vsmem_tEENKUlT_SL_SM_SN_E_clIS8_S8_S9_S9_EESK_S10_SL_SM_SN_EUlS10_E0_NS1_11comp_targetILNS1_3genE9ELNS1_11target_archE1100ELNS1_3gpuE3ELNS1_3repE0EEENS1_38merge_mergepath_config_static_selectorELNS0_4arch9wavefront6targetE1EEEvSM_: ; @_ZN7rocprim17ROCPRIM_400000_NS6detail17trampoline_kernelINS0_14default_configENS1_38merge_sort_block_merge_config_selectorIlNS0_10empty_typeEEEZZNS1_27merge_sort_block_merge_implIS3_PlPS5_mZN2at6native12_GLOBAL__N_124unique_dim_cuda_templateIfEESt5tupleIJNSA_6TensorESF_SF_EERKSF_lbbbEUlllE_EE10hipError_tT0_T1_T2_jT3_P12ihipStream_tbPNSt15iterator_traitsISL_E10value_typeEPNSR_ISM_E10value_typeEPSN_NS1_7vsmem_tEENKUlT_SL_SM_SN_E_clIS8_S8_S9_S9_EESK_S10_SL_SM_SN_EUlS10_E0_NS1_11comp_targetILNS1_3genE9ELNS1_11target_archE1100ELNS1_3gpuE3ELNS1_3repE0EEENS1_38merge_mergepath_config_static_selectorELNS0_4arch9wavefront6targetE1EEEvSM_
; %bb.0:
	.section	.rodata,"a",@progbits
	.p2align	6, 0x0
	.amdhsa_kernel _ZN7rocprim17ROCPRIM_400000_NS6detail17trampoline_kernelINS0_14default_configENS1_38merge_sort_block_merge_config_selectorIlNS0_10empty_typeEEEZZNS1_27merge_sort_block_merge_implIS3_PlPS5_mZN2at6native12_GLOBAL__N_124unique_dim_cuda_templateIfEESt5tupleIJNSA_6TensorESF_SF_EERKSF_lbbbEUlllE_EE10hipError_tT0_T1_T2_jT3_P12ihipStream_tbPNSt15iterator_traitsISL_E10value_typeEPNSR_ISM_E10value_typeEPSN_NS1_7vsmem_tEENKUlT_SL_SM_SN_E_clIS8_S8_S9_S9_EESK_S10_SL_SM_SN_EUlS10_E0_NS1_11comp_targetILNS1_3genE9ELNS1_11target_archE1100ELNS1_3gpuE3ELNS1_3repE0EEENS1_38merge_mergepath_config_static_selectorELNS0_4arch9wavefront6targetE1EEEvSM_
		.amdhsa_group_segment_fixed_size 0
		.amdhsa_private_segment_fixed_size 0
		.amdhsa_kernarg_size 88
		.amdhsa_user_sgpr_count 2
		.amdhsa_user_sgpr_dispatch_ptr 0
		.amdhsa_user_sgpr_queue_ptr 0
		.amdhsa_user_sgpr_kernarg_segment_ptr 1
		.amdhsa_user_sgpr_dispatch_id 0
		.amdhsa_user_sgpr_kernarg_preload_length 0
		.amdhsa_user_sgpr_kernarg_preload_offset 0
		.amdhsa_user_sgpr_private_segment_size 0
		.amdhsa_uses_dynamic_stack 0
		.amdhsa_enable_private_segment 0
		.amdhsa_system_sgpr_workgroup_id_x 1
		.amdhsa_system_sgpr_workgroup_id_y 0
		.amdhsa_system_sgpr_workgroup_id_z 0
		.amdhsa_system_sgpr_workgroup_info 0
		.amdhsa_system_vgpr_workitem_id 0
		.amdhsa_next_free_vgpr 1
		.amdhsa_next_free_sgpr 0
		.amdhsa_accum_offset 4
		.amdhsa_reserve_vcc 0
		.amdhsa_float_round_mode_32 0
		.amdhsa_float_round_mode_16_64 0
		.amdhsa_float_denorm_mode_32 3
		.amdhsa_float_denorm_mode_16_64 3
		.amdhsa_dx10_clamp 1
		.amdhsa_ieee_mode 1
		.amdhsa_fp16_overflow 0
		.amdhsa_tg_split 0
		.amdhsa_exception_fp_ieee_invalid_op 0
		.amdhsa_exception_fp_denorm_src 0
		.amdhsa_exception_fp_ieee_div_zero 0
		.amdhsa_exception_fp_ieee_overflow 0
		.amdhsa_exception_fp_ieee_underflow 0
		.amdhsa_exception_fp_ieee_inexact 0
		.amdhsa_exception_int_div_zero 0
	.end_amdhsa_kernel
	.section	.text._ZN7rocprim17ROCPRIM_400000_NS6detail17trampoline_kernelINS0_14default_configENS1_38merge_sort_block_merge_config_selectorIlNS0_10empty_typeEEEZZNS1_27merge_sort_block_merge_implIS3_PlPS5_mZN2at6native12_GLOBAL__N_124unique_dim_cuda_templateIfEESt5tupleIJNSA_6TensorESF_SF_EERKSF_lbbbEUlllE_EE10hipError_tT0_T1_T2_jT3_P12ihipStream_tbPNSt15iterator_traitsISL_E10value_typeEPNSR_ISM_E10value_typeEPSN_NS1_7vsmem_tEENKUlT_SL_SM_SN_E_clIS8_S8_S9_S9_EESK_S10_SL_SM_SN_EUlS10_E0_NS1_11comp_targetILNS1_3genE9ELNS1_11target_archE1100ELNS1_3gpuE3ELNS1_3repE0EEENS1_38merge_mergepath_config_static_selectorELNS0_4arch9wavefront6targetE1EEEvSM_,"axG",@progbits,_ZN7rocprim17ROCPRIM_400000_NS6detail17trampoline_kernelINS0_14default_configENS1_38merge_sort_block_merge_config_selectorIlNS0_10empty_typeEEEZZNS1_27merge_sort_block_merge_implIS3_PlPS5_mZN2at6native12_GLOBAL__N_124unique_dim_cuda_templateIfEESt5tupleIJNSA_6TensorESF_SF_EERKSF_lbbbEUlllE_EE10hipError_tT0_T1_T2_jT3_P12ihipStream_tbPNSt15iterator_traitsISL_E10value_typeEPNSR_ISM_E10value_typeEPSN_NS1_7vsmem_tEENKUlT_SL_SM_SN_E_clIS8_S8_S9_S9_EESK_S10_SL_SM_SN_EUlS10_E0_NS1_11comp_targetILNS1_3genE9ELNS1_11target_archE1100ELNS1_3gpuE3ELNS1_3repE0EEENS1_38merge_mergepath_config_static_selectorELNS0_4arch9wavefront6targetE1EEEvSM_,comdat
.Lfunc_end901:
	.size	_ZN7rocprim17ROCPRIM_400000_NS6detail17trampoline_kernelINS0_14default_configENS1_38merge_sort_block_merge_config_selectorIlNS0_10empty_typeEEEZZNS1_27merge_sort_block_merge_implIS3_PlPS5_mZN2at6native12_GLOBAL__N_124unique_dim_cuda_templateIfEESt5tupleIJNSA_6TensorESF_SF_EERKSF_lbbbEUlllE_EE10hipError_tT0_T1_T2_jT3_P12ihipStream_tbPNSt15iterator_traitsISL_E10value_typeEPNSR_ISM_E10value_typeEPSN_NS1_7vsmem_tEENKUlT_SL_SM_SN_E_clIS8_S8_S9_S9_EESK_S10_SL_SM_SN_EUlS10_E0_NS1_11comp_targetILNS1_3genE9ELNS1_11target_archE1100ELNS1_3gpuE3ELNS1_3repE0EEENS1_38merge_mergepath_config_static_selectorELNS0_4arch9wavefront6targetE1EEEvSM_, .Lfunc_end901-_ZN7rocprim17ROCPRIM_400000_NS6detail17trampoline_kernelINS0_14default_configENS1_38merge_sort_block_merge_config_selectorIlNS0_10empty_typeEEEZZNS1_27merge_sort_block_merge_implIS3_PlPS5_mZN2at6native12_GLOBAL__N_124unique_dim_cuda_templateIfEESt5tupleIJNSA_6TensorESF_SF_EERKSF_lbbbEUlllE_EE10hipError_tT0_T1_T2_jT3_P12ihipStream_tbPNSt15iterator_traitsISL_E10value_typeEPNSR_ISM_E10value_typeEPSN_NS1_7vsmem_tEENKUlT_SL_SM_SN_E_clIS8_S8_S9_S9_EESK_S10_SL_SM_SN_EUlS10_E0_NS1_11comp_targetILNS1_3genE9ELNS1_11target_archE1100ELNS1_3gpuE3ELNS1_3repE0EEENS1_38merge_mergepath_config_static_selectorELNS0_4arch9wavefront6targetE1EEEvSM_
                                        ; -- End function
	.section	.AMDGPU.csdata,"",@progbits
; Kernel info:
; codeLenInByte = 0
; NumSgprs: 6
; NumVgprs: 0
; NumAgprs: 0
; TotalNumVgprs: 0
; ScratchSize: 0
; MemoryBound: 0
; FloatMode: 240
; IeeeMode: 1
; LDSByteSize: 0 bytes/workgroup (compile time only)
; SGPRBlocks: 0
; VGPRBlocks: 0
; NumSGPRsForWavesPerEU: 6
; NumVGPRsForWavesPerEU: 1
; AccumOffset: 4
; Occupancy: 8
; WaveLimiterHint : 0
; COMPUTE_PGM_RSRC2:SCRATCH_EN: 0
; COMPUTE_PGM_RSRC2:USER_SGPR: 2
; COMPUTE_PGM_RSRC2:TRAP_HANDLER: 0
; COMPUTE_PGM_RSRC2:TGID_X_EN: 1
; COMPUTE_PGM_RSRC2:TGID_Y_EN: 0
; COMPUTE_PGM_RSRC2:TGID_Z_EN: 0
; COMPUTE_PGM_RSRC2:TIDIG_COMP_CNT: 0
; COMPUTE_PGM_RSRC3_GFX90A:ACCUM_OFFSET: 0
; COMPUTE_PGM_RSRC3_GFX90A:TG_SPLIT: 0
	.section	.text._ZN7rocprim17ROCPRIM_400000_NS6detail17trampoline_kernelINS0_14default_configENS1_38merge_sort_block_merge_config_selectorIlNS0_10empty_typeEEEZZNS1_27merge_sort_block_merge_implIS3_PlPS5_mZN2at6native12_GLOBAL__N_124unique_dim_cuda_templateIfEESt5tupleIJNSA_6TensorESF_SF_EERKSF_lbbbEUlllE_EE10hipError_tT0_T1_T2_jT3_P12ihipStream_tbPNSt15iterator_traitsISL_E10value_typeEPNSR_ISM_E10value_typeEPSN_NS1_7vsmem_tEENKUlT_SL_SM_SN_E_clIS8_S8_S9_S9_EESK_S10_SL_SM_SN_EUlS10_E0_NS1_11comp_targetILNS1_3genE8ELNS1_11target_archE1030ELNS1_3gpuE2ELNS1_3repE0EEENS1_38merge_mergepath_config_static_selectorELNS0_4arch9wavefront6targetE1EEEvSM_,"axG",@progbits,_ZN7rocprim17ROCPRIM_400000_NS6detail17trampoline_kernelINS0_14default_configENS1_38merge_sort_block_merge_config_selectorIlNS0_10empty_typeEEEZZNS1_27merge_sort_block_merge_implIS3_PlPS5_mZN2at6native12_GLOBAL__N_124unique_dim_cuda_templateIfEESt5tupleIJNSA_6TensorESF_SF_EERKSF_lbbbEUlllE_EE10hipError_tT0_T1_T2_jT3_P12ihipStream_tbPNSt15iterator_traitsISL_E10value_typeEPNSR_ISM_E10value_typeEPSN_NS1_7vsmem_tEENKUlT_SL_SM_SN_E_clIS8_S8_S9_S9_EESK_S10_SL_SM_SN_EUlS10_E0_NS1_11comp_targetILNS1_3genE8ELNS1_11target_archE1030ELNS1_3gpuE2ELNS1_3repE0EEENS1_38merge_mergepath_config_static_selectorELNS0_4arch9wavefront6targetE1EEEvSM_,comdat
	.globl	_ZN7rocprim17ROCPRIM_400000_NS6detail17trampoline_kernelINS0_14default_configENS1_38merge_sort_block_merge_config_selectorIlNS0_10empty_typeEEEZZNS1_27merge_sort_block_merge_implIS3_PlPS5_mZN2at6native12_GLOBAL__N_124unique_dim_cuda_templateIfEESt5tupleIJNSA_6TensorESF_SF_EERKSF_lbbbEUlllE_EE10hipError_tT0_T1_T2_jT3_P12ihipStream_tbPNSt15iterator_traitsISL_E10value_typeEPNSR_ISM_E10value_typeEPSN_NS1_7vsmem_tEENKUlT_SL_SM_SN_E_clIS8_S8_S9_S9_EESK_S10_SL_SM_SN_EUlS10_E0_NS1_11comp_targetILNS1_3genE8ELNS1_11target_archE1030ELNS1_3gpuE2ELNS1_3repE0EEENS1_38merge_mergepath_config_static_selectorELNS0_4arch9wavefront6targetE1EEEvSM_ ; -- Begin function _ZN7rocprim17ROCPRIM_400000_NS6detail17trampoline_kernelINS0_14default_configENS1_38merge_sort_block_merge_config_selectorIlNS0_10empty_typeEEEZZNS1_27merge_sort_block_merge_implIS3_PlPS5_mZN2at6native12_GLOBAL__N_124unique_dim_cuda_templateIfEESt5tupleIJNSA_6TensorESF_SF_EERKSF_lbbbEUlllE_EE10hipError_tT0_T1_T2_jT3_P12ihipStream_tbPNSt15iterator_traitsISL_E10value_typeEPNSR_ISM_E10value_typeEPSN_NS1_7vsmem_tEENKUlT_SL_SM_SN_E_clIS8_S8_S9_S9_EESK_S10_SL_SM_SN_EUlS10_E0_NS1_11comp_targetILNS1_3genE8ELNS1_11target_archE1030ELNS1_3gpuE2ELNS1_3repE0EEENS1_38merge_mergepath_config_static_selectorELNS0_4arch9wavefront6targetE1EEEvSM_
	.p2align	8
	.type	_ZN7rocprim17ROCPRIM_400000_NS6detail17trampoline_kernelINS0_14default_configENS1_38merge_sort_block_merge_config_selectorIlNS0_10empty_typeEEEZZNS1_27merge_sort_block_merge_implIS3_PlPS5_mZN2at6native12_GLOBAL__N_124unique_dim_cuda_templateIfEESt5tupleIJNSA_6TensorESF_SF_EERKSF_lbbbEUlllE_EE10hipError_tT0_T1_T2_jT3_P12ihipStream_tbPNSt15iterator_traitsISL_E10value_typeEPNSR_ISM_E10value_typeEPSN_NS1_7vsmem_tEENKUlT_SL_SM_SN_E_clIS8_S8_S9_S9_EESK_S10_SL_SM_SN_EUlS10_E0_NS1_11comp_targetILNS1_3genE8ELNS1_11target_archE1030ELNS1_3gpuE2ELNS1_3repE0EEENS1_38merge_mergepath_config_static_selectorELNS0_4arch9wavefront6targetE1EEEvSM_,@function
_ZN7rocprim17ROCPRIM_400000_NS6detail17trampoline_kernelINS0_14default_configENS1_38merge_sort_block_merge_config_selectorIlNS0_10empty_typeEEEZZNS1_27merge_sort_block_merge_implIS3_PlPS5_mZN2at6native12_GLOBAL__N_124unique_dim_cuda_templateIfEESt5tupleIJNSA_6TensorESF_SF_EERKSF_lbbbEUlllE_EE10hipError_tT0_T1_T2_jT3_P12ihipStream_tbPNSt15iterator_traitsISL_E10value_typeEPNSR_ISM_E10value_typeEPSN_NS1_7vsmem_tEENKUlT_SL_SM_SN_E_clIS8_S8_S9_S9_EESK_S10_SL_SM_SN_EUlS10_E0_NS1_11comp_targetILNS1_3genE8ELNS1_11target_archE1030ELNS1_3gpuE2ELNS1_3repE0EEENS1_38merge_mergepath_config_static_selectorELNS0_4arch9wavefront6targetE1EEEvSM_: ; @_ZN7rocprim17ROCPRIM_400000_NS6detail17trampoline_kernelINS0_14default_configENS1_38merge_sort_block_merge_config_selectorIlNS0_10empty_typeEEEZZNS1_27merge_sort_block_merge_implIS3_PlPS5_mZN2at6native12_GLOBAL__N_124unique_dim_cuda_templateIfEESt5tupleIJNSA_6TensorESF_SF_EERKSF_lbbbEUlllE_EE10hipError_tT0_T1_T2_jT3_P12ihipStream_tbPNSt15iterator_traitsISL_E10value_typeEPNSR_ISM_E10value_typeEPSN_NS1_7vsmem_tEENKUlT_SL_SM_SN_E_clIS8_S8_S9_S9_EESK_S10_SL_SM_SN_EUlS10_E0_NS1_11comp_targetILNS1_3genE8ELNS1_11target_archE1030ELNS1_3gpuE2ELNS1_3repE0EEENS1_38merge_mergepath_config_static_selectorELNS0_4arch9wavefront6targetE1EEEvSM_
; %bb.0:
	.section	.rodata,"a",@progbits
	.p2align	6, 0x0
	.amdhsa_kernel _ZN7rocprim17ROCPRIM_400000_NS6detail17trampoline_kernelINS0_14default_configENS1_38merge_sort_block_merge_config_selectorIlNS0_10empty_typeEEEZZNS1_27merge_sort_block_merge_implIS3_PlPS5_mZN2at6native12_GLOBAL__N_124unique_dim_cuda_templateIfEESt5tupleIJNSA_6TensorESF_SF_EERKSF_lbbbEUlllE_EE10hipError_tT0_T1_T2_jT3_P12ihipStream_tbPNSt15iterator_traitsISL_E10value_typeEPNSR_ISM_E10value_typeEPSN_NS1_7vsmem_tEENKUlT_SL_SM_SN_E_clIS8_S8_S9_S9_EESK_S10_SL_SM_SN_EUlS10_E0_NS1_11comp_targetILNS1_3genE8ELNS1_11target_archE1030ELNS1_3gpuE2ELNS1_3repE0EEENS1_38merge_mergepath_config_static_selectorELNS0_4arch9wavefront6targetE1EEEvSM_
		.amdhsa_group_segment_fixed_size 0
		.amdhsa_private_segment_fixed_size 0
		.amdhsa_kernarg_size 88
		.amdhsa_user_sgpr_count 2
		.amdhsa_user_sgpr_dispatch_ptr 0
		.amdhsa_user_sgpr_queue_ptr 0
		.amdhsa_user_sgpr_kernarg_segment_ptr 1
		.amdhsa_user_sgpr_dispatch_id 0
		.amdhsa_user_sgpr_kernarg_preload_length 0
		.amdhsa_user_sgpr_kernarg_preload_offset 0
		.amdhsa_user_sgpr_private_segment_size 0
		.amdhsa_uses_dynamic_stack 0
		.amdhsa_enable_private_segment 0
		.amdhsa_system_sgpr_workgroup_id_x 1
		.amdhsa_system_sgpr_workgroup_id_y 0
		.amdhsa_system_sgpr_workgroup_id_z 0
		.amdhsa_system_sgpr_workgroup_info 0
		.amdhsa_system_vgpr_workitem_id 0
		.amdhsa_next_free_vgpr 1
		.amdhsa_next_free_sgpr 0
		.amdhsa_accum_offset 4
		.amdhsa_reserve_vcc 0
		.amdhsa_float_round_mode_32 0
		.amdhsa_float_round_mode_16_64 0
		.amdhsa_float_denorm_mode_32 3
		.amdhsa_float_denorm_mode_16_64 3
		.amdhsa_dx10_clamp 1
		.amdhsa_ieee_mode 1
		.amdhsa_fp16_overflow 0
		.amdhsa_tg_split 0
		.amdhsa_exception_fp_ieee_invalid_op 0
		.amdhsa_exception_fp_denorm_src 0
		.amdhsa_exception_fp_ieee_div_zero 0
		.amdhsa_exception_fp_ieee_overflow 0
		.amdhsa_exception_fp_ieee_underflow 0
		.amdhsa_exception_fp_ieee_inexact 0
		.amdhsa_exception_int_div_zero 0
	.end_amdhsa_kernel
	.section	.text._ZN7rocprim17ROCPRIM_400000_NS6detail17trampoline_kernelINS0_14default_configENS1_38merge_sort_block_merge_config_selectorIlNS0_10empty_typeEEEZZNS1_27merge_sort_block_merge_implIS3_PlPS5_mZN2at6native12_GLOBAL__N_124unique_dim_cuda_templateIfEESt5tupleIJNSA_6TensorESF_SF_EERKSF_lbbbEUlllE_EE10hipError_tT0_T1_T2_jT3_P12ihipStream_tbPNSt15iterator_traitsISL_E10value_typeEPNSR_ISM_E10value_typeEPSN_NS1_7vsmem_tEENKUlT_SL_SM_SN_E_clIS8_S8_S9_S9_EESK_S10_SL_SM_SN_EUlS10_E0_NS1_11comp_targetILNS1_3genE8ELNS1_11target_archE1030ELNS1_3gpuE2ELNS1_3repE0EEENS1_38merge_mergepath_config_static_selectorELNS0_4arch9wavefront6targetE1EEEvSM_,"axG",@progbits,_ZN7rocprim17ROCPRIM_400000_NS6detail17trampoline_kernelINS0_14default_configENS1_38merge_sort_block_merge_config_selectorIlNS0_10empty_typeEEEZZNS1_27merge_sort_block_merge_implIS3_PlPS5_mZN2at6native12_GLOBAL__N_124unique_dim_cuda_templateIfEESt5tupleIJNSA_6TensorESF_SF_EERKSF_lbbbEUlllE_EE10hipError_tT0_T1_T2_jT3_P12ihipStream_tbPNSt15iterator_traitsISL_E10value_typeEPNSR_ISM_E10value_typeEPSN_NS1_7vsmem_tEENKUlT_SL_SM_SN_E_clIS8_S8_S9_S9_EESK_S10_SL_SM_SN_EUlS10_E0_NS1_11comp_targetILNS1_3genE8ELNS1_11target_archE1030ELNS1_3gpuE2ELNS1_3repE0EEENS1_38merge_mergepath_config_static_selectorELNS0_4arch9wavefront6targetE1EEEvSM_,comdat
.Lfunc_end902:
	.size	_ZN7rocprim17ROCPRIM_400000_NS6detail17trampoline_kernelINS0_14default_configENS1_38merge_sort_block_merge_config_selectorIlNS0_10empty_typeEEEZZNS1_27merge_sort_block_merge_implIS3_PlPS5_mZN2at6native12_GLOBAL__N_124unique_dim_cuda_templateIfEESt5tupleIJNSA_6TensorESF_SF_EERKSF_lbbbEUlllE_EE10hipError_tT0_T1_T2_jT3_P12ihipStream_tbPNSt15iterator_traitsISL_E10value_typeEPNSR_ISM_E10value_typeEPSN_NS1_7vsmem_tEENKUlT_SL_SM_SN_E_clIS8_S8_S9_S9_EESK_S10_SL_SM_SN_EUlS10_E0_NS1_11comp_targetILNS1_3genE8ELNS1_11target_archE1030ELNS1_3gpuE2ELNS1_3repE0EEENS1_38merge_mergepath_config_static_selectorELNS0_4arch9wavefront6targetE1EEEvSM_, .Lfunc_end902-_ZN7rocprim17ROCPRIM_400000_NS6detail17trampoline_kernelINS0_14default_configENS1_38merge_sort_block_merge_config_selectorIlNS0_10empty_typeEEEZZNS1_27merge_sort_block_merge_implIS3_PlPS5_mZN2at6native12_GLOBAL__N_124unique_dim_cuda_templateIfEESt5tupleIJNSA_6TensorESF_SF_EERKSF_lbbbEUlllE_EE10hipError_tT0_T1_T2_jT3_P12ihipStream_tbPNSt15iterator_traitsISL_E10value_typeEPNSR_ISM_E10value_typeEPSN_NS1_7vsmem_tEENKUlT_SL_SM_SN_E_clIS8_S8_S9_S9_EESK_S10_SL_SM_SN_EUlS10_E0_NS1_11comp_targetILNS1_3genE8ELNS1_11target_archE1030ELNS1_3gpuE2ELNS1_3repE0EEENS1_38merge_mergepath_config_static_selectorELNS0_4arch9wavefront6targetE1EEEvSM_
                                        ; -- End function
	.section	.AMDGPU.csdata,"",@progbits
; Kernel info:
; codeLenInByte = 0
; NumSgprs: 6
; NumVgprs: 0
; NumAgprs: 0
; TotalNumVgprs: 0
; ScratchSize: 0
; MemoryBound: 0
; FloatMode: 240
; IeeeMode: 1
; LDSByteSize: 0 bytes/workgroup (compile time only)
; SGPRBlocks: 0
; VGPRBlocks: 0
; NumSGPRsForWavesPerEU: 6
; NumVGPRsForWavesPerEU: 1
; AccumOffset: 4
; Occupancy: 8
; WaveLimiterHint : 0
; COMPUTE_PGM_RSRC2:SCRATCH_EN: 0
; COMPUTE_PGM_RSRC2:USER_SGPR: 2
; COMPUTE_PGM_RSRC2:TRAP_HANDLER: 0
; COMPUTE_PGM_RSRC2:TGID_X_EN: 1
; COMPUTE_PGM_RSRC2:TGID_Y_EN: 0
; COMPUTE_PGM_RSRC2:TGID_Z_EN: 0
; COMPUTE_PGM_RSRC2:TIDIG_COMP_CNT: 0
; COMPUTE_PGM_RSRC3_GFX90A:ACCUM_OFFSET: 0
; COMPUTE_PGM_RSRC3_GFX90A:TG_SPLIT: 0
	.section	.text._ZN7rocprim17ROCPRIM_400000_NS6detail17trampoline_kernelINS0_14default_configENS1_38merge_sort_block_merge_config_selectorIlNS0_10empty_typeEEEZZNS1_27merge_sort_block_merge_implIS3_PlPS5_mZN2at6native12_GLOBAL__N_124unique_dim_cuda_templateIfEESt5tupleIJNSA_6TensorESF_SF_EERKSF_lbbbEUlllE_EE10hipError_tT0_T1_T2_jT3_P12ihipStream_tbPNSt15iterator_traitsISL_E10value_typeEPNSR_ISM_E10value_typeEPSN_NS1_7vsmem_tEENKUlT_SL_SM_SN_E_clIS8_S8_S9_S9_EESK_S10_SL_SM_SN_EUlS10_E1_NS1_11comp_targetILNS1_3genE0ELNS1_11target_archE4294967295ELNS1_3gpuE0ELNS1_3repE0EEENS1_36merge_oddeven_config_static_selectorELNS0_4arch9wavefront6targetE1EEEvSM_,"axG",@progbits,_ZN7rocprim17ROCPRIM_400000_NS6detail17trampoline_kernelINS0_14default_configENS1_38merge_sort_block_merge_config_selectorIlNS0_10empty_typeEEEZZNS1_27merge_sort_block_merge_implIS3_PlPS5_mZN2at6native12_GLOBAL__N_124unique_dim_cuda_templateIfEESt5tupleIJNSA_6TensorESF_SF_EERKSF_lbbbEUlllE_EE10hipError_tT0_T1_T2_jT3_P12ihipStream_tbPNSt15iterator_traitsISL_E10value_typeEPNSR_ISM_E10value_typeEPSN_NS1_7vsmem_tEENKUlT_SL_SM_SN_E_clIS8_S8_S9_S9_EESK_S10_SL_SM_SN_EUlS10_E1_NS1_11comp_targetILNS1_3genE0ELNS1_11target_archE4294967295ELNS1_3gpuE0ELNS1_3repE0EEENS1_36merge_oddeven_config_static_selectorELNS0_4arch9wavefront6targetE1EEEvSM_,comdat
	.globl	_ZN7rocprim17ROCPRIM_400000_NS6detail17trampoline_kernelINS0_14default_configENS1_38merge_sort_block_merge_config_selectorIlNS0_10empty_typeEEEZZNS1_27merge_sort_block_merge_implIS3_PlPS5_mZN2at6native12_GLOBAL__N_124unique_dim_cuda_templateIfEESt5tupleIJNSA_6TensorESF_SF_EERKSF_lbbbEUlllE_EE10hipError_tT0_T1_T2_jT3_P12ihipStream_tbPNSt15iterator_traitsISL_E10value_typeEPNSR_ISM_E10value_typeEPSN_NS1_7vsmem_tEENKUlT_SL_SM_SN_E_clIS8_S8_S9_S9_EESK_S10_SL_SM_SN_EUlS10_E1_NS1_11comp_targetILNS1_3genE0ELNS1_11target_archE4294967295ELNS1_3gpuE0ELNS1_3repE0EEENS1_36merge_oddeven_config_static_selectorELNS0_4arch9wavefront6targetE1EEEvSM_ ; -- Begin function _ZN7rocprim17ROCPRIM_400000_NS6detail17trampoline_kernelINS0_14default_configENS1_38merge_sort_block_merge_config_selectorIlNS0_10empty_typeEEEZZNS1_27merge_sort_block_merge_implIS3_PlPS5_mZN2at6native12_GLOBAL__N_124unique_dim_cuda_templateIfEESt5tupleIJNSA_6TensorESF_SF_EERKSF_lbbbEUlllE_EE10hipError_tT0_T1_T2_jT3_P12ihipStream_tbPNSt15iterator_traitsISL_E10value_typeEPNSR_ISM_E10value_typeEPSN_NS1_7vsmem_tEENKUlT_SL_SM_SN_E_clIS8_S8_S9_S9_EESK_S10_SL_SM_SN_EUlS10_E1_NS1_11comp_targetILNS1_3genE0ELNS1_11target_archE4294967295ELNS1_3gpuE0ELNS1_3repE0EEENS1_36merge_oddeven_config_static_selectorELNS0_4arch9wavefront6targetE1EEEvSM_
	.p2align	8
	.type	_ZN7rocprim17ROCPRIM_400000_NS6detail17trampoline_kernelINS0_14default_configENS1_38merge_sort_block_merge_config_selectorIlNS0_10empty_typeEEEZZNS1_27merge_sort_block_merge_implIS3_PlPS5_mZN2at6native12_GLOBAL__N_124unique_dim_cuda_templateIfEESt5tupleIJNSA_6TensorESF_SF_EERKSF_lbbbEUlllE_EE10hipError_tT0_T1_T2_jT3_P12ihipStream_tbPNSt15iterator_traitsISL_E10value_typeEPNSR_ISM_E10value_typeEPSN_NS1_7vsmem_tEENKUlT_SL_SM_SN_E_clIS8_S8_S9_S9_EESK_S10_SL_SM_SN_EUlS10_E1_NS1_11comp_targetILNS1_3genE0ELNS1_11target_archE4294967295ELNS1_3gpuE0ELNS1_3repE0EEENS1_36merge_oddeven_config_static_selectorELNS0_4arch9wavefront6targetE1EEEvSM_,@function
_ZN7rocprim17ROCPRIM_400000_NS6detail17trampoline_kernelINS0_14default_configENS1_38merge_sort_block_merge_config_selectorIlNS0_10empty_typeEEEZZNS1_27merge_sort_block_merge_implIS3_PlPS5_mZN2at6native12_GLOBAL__N_124unique_dim_cuda_templateIfEESt5tupleIJNSA_6TensorESF_SF_EERKSF_lbbbEUlllE_EE10hipError_tT0_T1_T2_jT3_P12ihipStream_tbPNSt15iterator_traitsISL_E10value_typeEPNSR_ISM_E10value_typeEPSN_NS1_7vsmem_tEENKUlT_SL_SM_SN_E_clIS8_S8_S9_S9_EESK_S10_SL_SM_SN_EUlS10_E1_NS1_11comp_targetILNS1_3genE0ELNS1_11target_archE4294967295ELNS1_3gpuE0ELNS1_3repE0EEENS1_36merge_oddeven_config_static_selectorELNS0_4arch9wavefront6targetE1EEEvSM_: ; @_ZN7rocprim17ROCPRIM_400000_NS6detail17trampoline_kernelINS0_14default_configENS1_38merge_sort_block_merge_config_selectorIlNS0_10empty_typeEEEZZNS1_27merge_sort_block_merge_implIS3_PlPS5_mZN2at6native12_GLOBAL__N_124unique_dim_cuda_templateIfEESt5tupleIJNSA_6TensorESF_SF_EERKSF_lbbbEUlllE_EE10hipError_tT0_T1_T2_jT3_P12ihipStream_tbPNSt15iterator_traitsISL_E10value_typeEPNSR_ISM_E10value_typeEPSN_NS1_7vsmem_tEENKUlT_SL_SM_SN_E_clIS8_S8_S9_S9_EESK_S10_SL_SM_SN_EUlS10_E1_NS1_11comp_targetILNS1_3genE0ELNS1_11target_archE4294967295ELNS1_3gpuE0ELNS1_3repE0EEENS1_36merge_oddeven_config_static_selectorELNS0_4arch9wavefront6targetE1EEEvSM_
; %bb.0:
	.section	.rodata,"a",@progbits
	.p2align	6, 0x0
	.amdhsa_kernel _ZN7rocprim17ROCPRIM_400000_NS6detail17trampoline_kernelINS0_14default_configENS1_38merge_sort_block_merge_config_selectorIlNS0_10empty_typeEEEZZNS1_27merge_sort_block_merge_implIS3_PlPS5_mZN2at6native12_GLOBAL__N_124unique_dim_cuda_templateIfEESt5tupleIJNSA_6TensorESF_SF_EERKSF_lbbbEUlllE_EE10hipError_tT0_T1_T2_jT3_P12ihipStream_tbPNSt15iterator_traitsISL_E10value_typeEPNSR_ISM_E10value_typeEPSN_NS1_7vsmem_tEENKUlT_SL_SM_SN_E_clIS8_S8_S9_S9_EESK_S10_SL_SM_SN_EUlS10_E1_NS1_11comp_targetILNS1_3genE0ELNS1_11target_archE4294967295ELNS1_3gpuE0ELNS1_3repE0EEENS1_36merge_oddeven_config_static_selectorELNS0_4arch9wavefront6targetE1EEEvSM_
		.amdhsa_group_segment_fixed_size 0
		.amdhsa_private_segment_fixed_size 0
		.amdhsa_kernarg_size 64
		.amdhsa_user_sgpr_count 2
		.amdhsa_user_sgpr_dispatch_ptr 0
		.amdhsa_user_sgpr_queue_ptr 0
		.amdhsa_user_sgpr_kernarg_segment_ptr 1
		.amdhsa_user_sgpr_dispatch_id 0
		.amdhsa_user_sgpr_kernarg_preload_length 0
		.amdhsa_user_sgpr_kernarg_preload_offset 0
		.amdhsa_user_sgpr_private_segment_size 0
		.amdhsa_uses_dynamic_stack 0
		.amdhsa_enable_private_segment 0
		.amdhsa_system_sgpr_workgroup_id_x 1
		.amdhsa_system_sgpr_workgroup_id_y 0
		.amdhsa_system_sgpr_workgroup_id_z 0
		.amdhsa_system_sgpr_workgroup_info 0
		.amdhsa_system_vgpr_workitem_id 0
		.amdhsa_next_free_vgpr 1
		.amdhsa_next_free_sgpr 0
		.amdhsa_accum_offset 4
		.amdhsa_reserve_vcc 0
		.amdhsa_float_round_mode_32 0
		.amdhsa_float_round_mode_16_64 0
		.amdhsa_float_denorm_mode_32 3
		.amdhsa_float_denorm_mode_16_64 3
		.amdhsa_dx10_clamp 1
		.amdhsa_ieee_mode 1
		.amdhsa_fp16_overflow 0
		.amdhsa_tg_split 0
		.amdhsa_exception_fp_ieee_invalid_op 0
		.amdhsa_exception_fp_denorm_src 0
		.amdhsa_exception_fp_ieee_div_zero 0
		.amdhsa_exception_fp_ieee_overflow 0
		.amdhsa_exception_fp_ieee_underflow 0
		.amdhsa_exception_fp_ieee_inexact 0
		.amdhsa_exception_int_div_zero 0
	.end_amdhsa_kernel
	.section	.text._ZN7rocprim17ROCPRIM_400000_NS6detail17trampoline_kernelINS0_14default_configENS1_38merge_sort_block_merge_config_selectorIlNS0_10empty_typeEEEZZNS1_27merge_sort_block_merge_implIS3_PlPS5_mZN2at6native12_GLOBAL__N_124unique_dim_cuda_templateIfEESt5tupleIJNSA_6TensorESF_SF_EERKSF_lbbbEUlllE_EE10hipError_tT0_T1_T2_jT3_P12ihipStream_tbPNSt15iterator_traitsISL_E10value_typeEPNSR_ISM_E10value_typeEPSN_NS1_7vsmem_tEENKUlT_SL_SM_SN_E_clIS8_S8_S9_S9_EESK_S10_SL_SM_SN_EUlS10_E1_NS1_11comp_targetILNS1_3genE0ELNS1_11target_archE4294967295ELNS1_3gpuE0ELNS1_3repE0EEENS1_36merge_oddeven_config_static_selectorELNS0_4arch9wavefront6targetE1EEEvSM_,"axG",@progbits,_ZN7rocprim17ROCPRIM_400000_NS6detail17trampoline_kernelINS0_14default_configENS1_38merge_sort_block_merge_config_selectorIlNS0_10empty_typeEEEZZNS1_27merge_sort_block_merge_implIS3_PlPS5_mZN2at6native12_GLOBAL__N_124unique_dim_cuda_templateIfEESt5tupleIJNSA_6TensorESF_SF_EERKSF_lbbbEUlllE_EE10hipError_tT0_T1_T2_jT3_P12ihipStream_tbPNSt15iterator_traitsISL_E10value_typeEPNSR_ISM_E10value_typeEPSN_NS1_7vsmem_tEENKUlT_SL_SM_SN_E_clIS8_S8_S9_S9_EESK_S10_SL_SM_SN_EUlS10_E1_NS1_11comp_targetILNS1_3genE0ELNS1_11target_archE4294967295ELNS1_3gpuE0ELNS1_3repE0EEENS1_36merge_oddeven_config_static_selectorELNS0_4arch9wavefront6targetE1EEEvSM_,comdat
.Lfunc_end903:
	.size	_ZN7rocprim17ROCPRIM_400000_NS6detail17trampoline_kernelINS0_14default_configENS1_38merge_sort_block_merge_config_selectorIlNS0_10empty_typeEEEZZNS1_27merge_sort_block_merge_implIS3_PlPS5_mZN2at6native12_GLOBAL__N_124unique_dim_cuda_templateIfEESt5tupleIJNSA_6TensorESF_SF_EERKSF_lbbbEUlllE_EE10hipError_tT0_T1_T2_jT3_P12ihipStream_tbPNSt15iterator_traitsISL_E10value_typeEPNSR_ISM_E10value_typeEPSN_NS1_7vsmem_tEENKUlT_SL_SM_SN_E_clIS8_S8_S9_S9_EESK_S10_SL_SM_SN_EUlS10_E1_NS1_11comp_targetILNS1_3genE0ELNS1_11target_archE4294967295ELNS1_3gpuE0ELNS1_3repE0EEENS1_36merge_oddeven_config_static_selectorELNS0_4arch9wavefront6targetE1EEEvSM_, .Lfunc_end903-_ZN7rocprim17ROCPRIM_400000_NS6detail17trampoline_kernelINS0_14default_configENS1_38merge_sort_block_merge_config_selectorIlNS0_10empty_typeEEEZZNS1_27merge_sort_block_merge_implIS3_PlPS5_mZN2at6native12_GLOBAL__N_124unique_dim_cuda_templateIfEESt5tupleIJNSA_6TensorESF_SF_EERKSF_lbbbEUlllE_EE10hipError_tT0_T1_T2_jT3_P12ihipStream_tbPNSt15iterator_traitsISL_E10value_typeEPNSR_ISM_E10value_typeEPSN_NS1_7vsmem_tEENKUlT_SL_SM_SN_E_clIS8_S8_S9_S9_EESK_S10_SL_SM_SN_EUlS10_E1_NS1_11comp_targetILNS1_3genE0ELNS1_11target_archE4294967295ELNS1_3gpuE0ELNS1_3repE0EEENS1_36merge_oddeven_config_static_selectorELNS0_4arch9wavefront6targetE1EEEvSM_
                                        ; -- End function
	.section	.AMDGPU.csdata,"",@progbits
; Kernel info:
; codeLenInByte = 0
; NumSgprs: 6
; NumVgprs: 0
; NumAgprs: 0
; TotalNumVgprs: 0
; ScratchSize: 0
; MemoryBound: 0
; FloatMode: 240
; IeeeMode: 1
; LDSByteSize: 0 bytes/workgroup (compile time only)
; SGPRBlocks: 0
; VGPRBlocks: 0
; NumSGPRsForWavesPerEU: 6
; NumVGPRsForWavesPerEU: 1
; AccumOffset: 4
; Occupancy: 8
; WaveLimiterHint : 0
; COMPUTE_PGM_RSRC2:SCRATCH_EN: 0
; COMPUTE_PGM_RSRC2:USER_SGPR: 2
; COMPUTE_PGM_RSRC2:TRAP_HANDLER: 0
; COMPUTE_PGM_RSRC2:TGID_X_EN: 1
; COMPUTE_PGM_RSRC2:TGID_Y_EN: 0
; COMPUTE_PGM_RSRC2:TGID_Z_EN: 0
; COMPUTE_PGM_RSRC2:TIDIG_COMP_CNT: 0
; COMPUTE_PGM_RSRC3_GFX90A:ACCUM_OFFSET: 0
; COMPUTE_PGM_RSRC3_GFX90A:TG_SPLIT: 0
	.section	.text._ZN7rocprim17ROCPRIM_400000_NS6detail17trampoline_kernelINS0_14default_configENS1_38merge_sort_block_merge_config_selectorIlNS0_10empty_typeEEEZZNS1_27merge_sort_block_merge_implIS3_PlPS5_mZN2at6native12_GLOBAL__N_124unique_dim_cuda_templateIfEESt5tupleIJNSA_6TensorESF_SF_EERKSF_lbbbEUlllE_EE10hipError_tT0_T1_T2_jT3_P12ihipStream_tbPNSt15iterator_traitsISL_E10value_typeEPNSR_ISM_E10value_typeEPSN_NS1_7vsmem_tEENKUlT_SL_SM_SN_E_clIS8_S8_S9_S9_EESK_S10_SL_SM_SN_EUlS10_E1_NS1_11comp_targetILNS1_3genE10ELNS1_11target_archE1201ELNS1_3gpuE5ELNS1_3repE0EEENS1_36merge_oddeven_config_static_selectorELNS0_4arch9wavefront6targetE1EEEvSM_,"axG",@progbits,_ZN7rocprim17ROCPRIM_400000_NS6detail17trampoline_kernelINS0_14default_configENS1_38merge_sort_block_merge_config_selectorIlNS0_10empty_typeEEEZZNS1_27merge_sort_block_merge_implIS3_PlPS5_mZN2at6native12_GLOBAL__N_124unique_dim_cuda_templateIfEESt5tupleIJNSA_6TensorESF_SF_EERKSF_lbbbEUlllE_EE10hipError_tT0_T1_T2_jT3_P12ihipStream_tbPNSt15iterator_traitsISL_E10value_typeEPNSR_ISM_E10value_typeEPSN_NS1_7vsmem_tEENKUlT_SL_SM_SN_E_clIS8_S8_S9_S9_EESK_S10_SL_SM_SN_EUlS10_E1_NS1_11comp_targetILNS1_3genE10ELNS1_11target_archE1201ELNS1_3gpuE5ELNS1_3repE0EEENS1_36merge_oddeven_config_static_selectorELNS0_4arch9wavefront6targetE1EEEvSM_,comdat
	.globl	_ZN7rocprim17ROCPRIM_400000_NS6detail17trampoline_kernelINS0_14default_configENS1_38merge_sort_block_merge_config_selectorIlNS0_10empty_typeEEEZZNS1_27merge_sort_block_merge_implIS3_PlPS5_mZN2at6native12_GLOBAL__N_124unique_dim_cuda_templateIfEESt5tupleIJNSA_6TensorESF_SF_EERKSF_lbbbEUlllE_EE10hipError_tT0_T1_T2_jT3_P12ihipStream_tbPNSt15iterator_traitsISL_E10value_typeEPNSR_ISM_E10value_typeEPSN_NS1_7vsmem_tEENKUlT_SL_SM_SN_E_clIS8_S8_S9_S9_EESK_S10_SL_SM_SN_EUlS10_E1_NS1_11comp_targetILNS1_3genE10ELNS1_11target_archE1201ELNS1_3gpuE5ELNS1_3repE0EEENS1_36merge_oddeven_config_static_selectorELNS0_4arch9wavefront6targetE1EEEvSM_ ; -- Begin function _ZN7rocprim17ROCPRIM_400000_NS6detail17trampoline_kernelINS0_14default_configENS1_38merge_sort_block_merge_config_selectorIlNS0_10empty_typeEEEZZNS1_27merge_sort_block_merge_implIS3_PlPS5_mZN2at6native12_GLOBAL__N_124unique_dim_cuda_templateIfEESt5tupleIJNSA_6TensorESF_SF_EERKSF_lbbbEUlllE_EE10hipError_tT0_T1_T2_jT3_P12ihipStream_tbPNSt15iterator_traitsISL_E10value_typeEPNSR_ISM_E10value_typeEPSN_NS1_7vsmem_tEENKUlT_SL_SM_SN_E_clIS8_S8_S9_S9_EESK_S10_SL_SM_SN_EUlS10_E1_NS1_11comp_targetILNS1_3genE10ELNS1_11target_archE1201ELNS1_3gpuE5ELNS1_3repE0EEENS1_36merge_oddeven_config_static_selectorELNS0_4arch9wavefront6targetE1EEEvSM_
	.p2align	8
	.type	_ZN7rocprim17ROCPRIM_400000_NS6detail17trampoline_kernelINS0_14default_configENS1_38merge_sort_block_merge_config_selectorIlNS0_10empty_typeEEEZZNS1_27merge_sort_block_merge_implIS3_PlPS5_mZN2at6native12_GLOBAL__N_124unique_dim_cuda_templateIfEESt5tupleIJNSA_6TensorESF_SF_EERKSF_lbbbEUlllE_EE10hipError_tT0_T1_T2_jT3_P12ihipStream_tbPNSt15iterator_traitsISL_E10value_typeEPNSR_ISM_E10value_typeEPSN_NS1_7vsmem_tEENKUlT_SL_SM_SN_E_clIS8_S8_S9_S9_EESK_S10_SL_SM_SN_EUlS10_E1_NS1_11comp_targetILNS1_3genE10ELNS1_11target_archE1201ELNS1_3gpuE5ELNS1_3repE0EEENS1_36merge_oddeven_config_static_selectorELNS0_4arch9wavefront6targetE1EEEvSM_,@function
_ZN7rocprim17ROCPRIM_400000_NS6detail17trampoline_kernelINS0_14default_configENS1_38merge_sort_block_merge_config_selectorIlNS0_10empty_typeEEEZZNS1_27merge_sort_block_merge_implIS3_PlPS5_mZN2at6native12_GLOBAL__N_124unique_dim_cuda_templateIfEESt5tupleIJNSA_6TensorESF_SF_EERKSF_lbbbEUlllE_EE10hipError_tT0_T1_T2_jT3_P12ihipStream_tbPNSt15iterator_traitsISL_E10value_typeEPNSR_ISM_E10value_typeEPSN_NS1_7vsmem_tEENKUlT_SL_SM_SN_E_clIS8_S8_S9_S9_EESK_S10_SL_SM_SN_EUlS10_E1_NS1_11comp_targetILNS1_3genE10ELNS1_11target_archE1201ELNS1_3gpuE5ELNS1_3repE0EEENS1_36merge_oddeven_config_static_selectorELNS0_4arch9wavefront6targetE1EEEvSM_: ; @_ZN7rocprim17ROCPRIM_400000_NS6detail17trampoline_kernelINS0_14default_configENS1_38merge_sort_block_merge_config_selectorIlNS0_10empty_typeEEEZZNS1_27merge_sort_block_merge_implIS3_PlPS5_mZN2at6native12_GLOBAL__N_124unique_dim_cuda_templateIfEESt5tupleIJNSA_6TensorESF_SF_EERKSF_lbbbEUlllE_EE10hipError_tT0_T1_T2_jT3_P12ihipStream_tbPNSt15iterator_traitsISL_E10value_typeEPNSR_ISM_E10value_typeEPSN_NS1_7vsmem_tEENKUlT_SL_SM_SN_E_clIS8_S8_S9_S9_EESK_S10_SL_SM_SN_EUlS10_E1_NS1_11comp_targetILNS1_3genE10ELNS1_11target_archE1201ELNS1_3gpuE5ELNS1_3repE0EEENS1_36merge_oddeven_config_static_selectorELNS0_4arch9wavefront6targetE1EEEvSM_
; %bb.0:
	.section	.rodata,"a",@progbits
	.p2align	6, 0x0
	.amdhsa_kernel _ZN7rocprim17ROCPRIM_400000_NS6detail17trampoline_kernelINS0_14default_configENS1_38merge_sort_block_merge_config_selectorIlNS0_10empty_typeEEEZZNS1_27merge_sort_block_merge_implIS3_PlPS5_mZN2at6native12_GLOBAL__N_124unique_dim_cuda_templateIfEESt5tupleIJNSA_6TensorESF_SF_EERKSF_lbbbEUlllE_EE10hipError_tT0_T1_T2_jT3_P12ihipStream_tbPNSt15iterator_traitsISL_E10value_typeEPNSR_ISM_E10value_typeEPSN_NS1_7vsmem_tEENKUlT_SL_SM_SN_E_clIS8_S8_S9_S9_EESK_S10_SL_SM_SN_EUlS10_E1_NS1_11comp_targetILNS1_3genE10ELNS1_11target_archE1201ELNS1_3gpuE5ELNS1_3repE0EEENS1_36merge_oddeven_config_static_selectorELNS0_4arch9wavefront6targetE1EEEvSM_
		.amdhsa_group_segment_fixed_size 0
		.amdhsa_private_segment_fixed_size 0
		.amdhsa_kernarg_size 64
		.amdhsa_user_sgpr_count 2
		.amdhsa_user_sgpr_dispatch_ptr 0
		.amdhsa_user_sgpr_queue_ptr 0
		.amdhsa_user_sgpr_kernarg_segment_ptr 1
		.amdhsa_user_sgpr_dispatch_id 0
		.amdhsa_user_sgpr_kernarg_preload_length 0
		.amdhsa_user_sgpr_kernarg_preload_offset 0
		.amdhsa_user_sgpr_private_segment_size 0
		.amdhsa_uses_dynamic_stack 0
		.amdhsa_enable_private_segment 0
		.amdhsa_system_sgpr_workgroup_id_x 1
		.amdhsa_system_sgpr_workgroup_id_y 0
		.amdhsa_system_sgpr_workgroup_id_z 0
		.amdhsa_system_sgpr_workgroup_info 0
		.amdhsa_system_vgpr_workitem_id 0
		.amdhsa_next_free_vgpr 1
		.amdhsa_next_free_sgpr 0
		.amdhsa_accum_offset 4
		.amdhsa_reserve_vcc 0
		.amdhsa_float_round_mode_32 0
		.amdhsa_float_round_mode_16_64 0
		.amdhsa_float_denorm_mode_32 3
		.amdhsa_float_denorm_mode_16_64 3
		.amdhsa_dx10_clamp 1
		.amdhsa_ieee_mode 1
		.amdhsa_fp16_overflow 0
		.amdhsa_tg_split 0
		.amdhsa_exception_fp_ieee_invalid_op 0
		.amdhsa_exception_fp_denorm_src 0
		.amdhsa_exception_fp_ieee_div_zero 0
		.amdhsa_exception_fp_ieee_overflow 0
		.amdhsa_exception_fp_ieee_underflow 0
		.amdhsa_exception_fp_ieee_inexact 0
		.amdhsa_exception_int_div_zero 0
	.end_amdhsa_kernel
	.section	.text._ZN7rocprim17ROCPRIM_400000_NS6detail17trampoline_kernelINS0_14default_configENS1_38merge_sort_block_merge_config_selectorIlNS0_10empty_typeEEEZZNS1_27merge_sort_block_merge_implIS3_PlPS5_mZN2at6native12_GLOBAL__N_124unique_dim_cuda_templateIfEESt5tupleIJNSA_6TensorESF_SF_EERKSF_lbbbEUlllE_EE10hipError_tT0_T1_T2_jT3_P12ihipStream_tbPNSt15iterator_traitsISL_E10value_typeEPNSR_ISM_E10value_typeEPSN_NS1_7vsmem_tEENKUlT_SL_SM_SN_E_clIS8_S8_S9_S9_EESK_S10_SL_SM_SN_EUlS10_E1_NS1_11comp_targetILNS1_3genE10ELNS1_11target_archE1201ELNS1_3gpuE5ELNS1_3repE0EEENS1_36merge_oddeven_config_static_selectorELNS0_4arch9wavefront6targetE1EEEvSM_,"axG",@progbits,_ZN7rocprim17ROCPRIM_400000_NS6detail17trampoline_kernelINS0_14default_configENS1_38merge_sort_block_merge_config_selectorIlNS0_10empty_typeEEEZZNS1_27merge_sort_block_merge_implIS3_PlPS5_mZN2at6native12_GLOBAL__N_124unique_dim_cuda_templateIfEESt5tupleIJNSA_6TensorESF_SF_EERKSF_lbbbEUlllE_EE10hipError_tT0_T1_T2_jT3_P12ihipStream_tbPNSt15iterator_traitsISL_E10value_typeEPNSR_ISM_E10value_typeEPSN_NS1_7vsmem_tEENKUlT_SL_SM_SN_E_clIS8_S8_S9_S9_EESK_S10_SL_SM_SN_EUlS10_E1_NS1_11comp_targetILNS1_3genE10ELNS1_11target_archE1201ELNS1_3gpuE5ELNS1_3repE0EEENS1_36merge_oddeven_config_static_selectorELNS0_4arch9wavefront6targetE1EEEvSM_,comdat
.Lfunc_end904:
	.size	_ZN7rocprim17ROCPRIM_400000_NS6detail17trampoline_kernelINS0_14default_configENS1_38merge_sort_block_merge_config_selectorIlNS0_10empty_typeEEEZZNS1_27merge_sort_block_merge_implIS3_PlPS5_mZN2at6native12_GLOBAL__N_124unique_dim_cuda_templateIfEESt5tupleIJNSA_6TensorESF_SF_EERKSF_lbbbEUlllE_EE10hipError_tT0_T1_T2_jT3_P12ihipStream_tbPNSt15iterator_traitsISL_E10value_typeEPNSR_ISM_E10value_typeEPSN_NS1_7vsmem_tEENKUlT_SL_SM_SN_E_clIS8_S8_S9_S9_EESK_S10_SL_SM_SN_EUlS10_E1_NS1_11comp_targetILNS1_3genE10ELNS1_11target_archE1201ELNS1_3gpuE5ELNS1_3repE0EEENS1_36merge_oddeven_config_static_selectorELNS0_4arch9wavefront6targetE1EEEvSM_, .Lfunc_end904-_ZN7rocprim17ROCPRIM_400000_NS6detail17trampoline_kernelINS0_14default_configENS1_38merge_sort_block_merge_config_selectorIlNS0_10empty_typeEEEZZNS1_27merge_sort_block_merge_implIS3_PlPS5_mZN2at6native12_GLOBAL__N_124unique_dim_cuda_templateIfEESt5tupleIJNSA_6TensorESF_SF_EERKSF_lbbbEUlllE_EE10hipError_tT0_T1_T2_jT3_P12ihipStream_tbPNSt15iterator_traitsISL_E10value_typeEPNSR_ISM_E10value_typeEPSN_NS1_7vsmem_tEENKUlT_SL_SM_SN_E_clIS8_S8_S9_S9_EESK_S10_SL_SM_SN_EUlS10_E1_NS1_11comp_targetILNS1_3genE10ELNS1_11target_archE1201ELNS1_3gpuE5ELNS1_3repE0EEENS1_36merge_oddeven_config_static_selectorELNS0_4arch9wavefront6targetE1EEEvSM_
                                        ; -- End function
	.section	.AMDGPU.csdata,"",@progbits
; Kernel info:
; codeLenInByte = 0
; NumSgprs: 6
; NumVgprs: 0
; NumAgprs: 0
; TotalNumVgprs: 0
; ScratchSize: 0
; MemoryBound: 0
; FloatMode: 240
; IeeeMode: 1
; LDSByteSize: 0 bytes/workgroup (compile time only)
; SGPRBlocks: 0
; VGPRBlocks: 0
; NumSGPRsForWavesPerEU: 6
; NumVGPRsForWavesPerEU: 1
; AccumOffset: 4
; Occupancy: 8
; WaveLimiterHint : 0
; COMPUTE_PGM_RSRC2:SCRATCH_EN: 0
; COMPUTE_PGM_RSRC2:USER_SGPR: 2
; COMPUTE_PGM_RSRC2:TRAP_HANDLER: 0
; COMPUTE_PGM_RSRC2:TGID_X_EN: 1
; COMPUTE_PGM_RSRC2:TGID_Y_EN: 0
; COMPUTE_PGM_RSRC2:TGID_Z_EN: 0
; COMPUTE_PGM_RSRC2:TIDIG_COMP_CNT: 0
; COMPUTE_PGM_RSRC3_GFX90A:ACCUM_OFFSET: 0
; COMPUTE_PGM_RSRC3_GFX90A:TG_SPLIT: 0
	.section	.text._ZN7rocprim17ROCPRIM_400000_NS6detail17trampoline_kernelINS0_14default_configENS1_38merge_sort_block_merge_config_selectorIlNS0_10empty_typeEEEZZNS1_27merge_sort_block_merge_implIS3_PlPS5_mZN2at6native12_GLOBAL__N_124unique_dim_cuda_templateIfEESt5tupleIJNSA_6TensorESF_SF_EERKSF_lbbbEUlllE_EE10hipError_tT0_T1_T2_jT3_P12ihipStream_tbPNSt15iterator_traitsISL_E10value_typeEPNSR_ISM_E10value_typeEPSN_NS1_7vsmem_tEENKUlT_SL_SM_SN_E_clIS8_S8_S9_S9_EESK_S10_SL_SM_SN_EUlS10_E1_NS1_11comp_targetILNS1_3genE5ELNS1_11target_archE942ELNS1_3gpuE9ELNS1_3repE0EEENS1_36merge_oddeven_config_static_selectorELNS0_4arch9wavefront6targetE1EEEvSM_,"axG",@progbits,_ZN7rocprim17ROCPRIM_400000_NS6detail17trampoline_kernelINS0_14default_configENS1_38merge_sort_block_merge_config_selectorIlNS0_10empty_typeEEEZZNS1_27merge_sort_block_merge_implIS3_PlPS5_mZN2at6native12_GLOBAL__N_124unique_dim_cuda_templateIfEESt5tupleIJNSA_6TensorESF_SF_EERKSF_lbbbEUlllE_EE10hipError_tT0_T1_T2_jT3_P12ihipStream_tbPNSt15iterator_traitsISL_E10value_typeEPNSR_ISM_E10value_typeEPSN_NS1_7vsmem_tEENKUlT_SL_SM_SN_E_clIS8_S8_S9_S9_EESK_S10_SL_SM_SN_EUlS10_E1_NS1_11comp_targetILNS1_3genE5ELNS1_11target_archE942ELNS1_3gpuE9ELNS1_3repE0EEENS1_36merge_oddeven_config_static_selectorELNS0_4arch9wavefront6targetE1EEEvSM_,comdat
	.globl	_ZN7rocprim17ROCPRIM_400000_NS6detail17trampoline_kernelINS0_14default_configENS1_38merge_sort_block_merge_config_selectorIlNS0_10empty_typeEEEZZNS1_27merge_sort_block_merge_implIS3_PlPS5_mZN2at6native12_GLOBAL__N_124unique_dim_cuda_templateIfEESt5tupleIJNSA_6TensorESF_SF_EERKSF_lbbbEUlllE_EE10hipError_tT0_T1_T2_jT3_P12ihipStream_tbPNSt15iterator_traitsISL_E10value_typeEPNSR_ISM_E10value_typeEPSN_NS1_7vsmem_tEENKUlT_SL_SM_SN_E_clIS8_S8_S9_S9_EESK_S10_SL_SM_SN_EUlS10_E1_NS1_11comp_targetILNS1_3genE5ELNS1_11target_archE942ELNS1_3gpuE9ELNS1_3repE0EEENS1_36merge_oddeven_config_static_selectorELNS0_4arch9wavefront6targetE1EEEvSM_ ; -- Begin function _ZN7rocprim17ROCPRIM_400000_NS6detail17trampoline_kernelINS0_14default_configENS1_38merge_sort_block_merge_config_selectorIlNS0_10empty_typeEEEZZNS1_27merge_sort_block_merge_implIS3_PlPS5_mZN2at6native12_GLOBAL__N_124unique_dim_cuda_templateIfEESt5tupleIJNSA_6TensorESF_SF_EERKSF_lbbbEUlllE_EE10hipError_tT0_T1_T2_jT3_P12ihipStream_tbPNSt15iterator_traitsISL_E10value_typeEPNSR_ISM_E10value_typeEPSN_NS1_7vsmem_tEENKUlT_SL_SM_SN_E_clIS8_S8_S9_S9_EESK_S10_SL_SM_SN_EUlS10_E1_NS1_11comp_targetILNS1_3genE5ELNS1_11target_archE942ELNS1_3gpuE9ELNS1_3repE0EEENS1_36merge_oddeven_config_static_selectorELNS0_4arch9wavefront6targetE1EEEvSM_
	.p2align	8
	.type	_ZN7rocprim17ROCPRIM_400000_NS6detail17trampoline_kernelINS0_14default_configENS1_38merge_sort_block_merge_config_selectorIlNS0_10empty_typeEEEZZNS1_27merge_sort_block_merge_implIS3_PlPS5_mZN2at6native12_GLOBAL__N_124unique_dim_cuda_templateIfEESt5tupleIJNSA_6TensorESF_SF_EERKSF_lbbbEUlllE_EE10hipError_tT0_T1_T2_jT3_P12ihipStream_tbPNSt15iterator_traitsISL_E10value_typeEPNSR_ISM_E10value_typeEPSN_NS1_7vsmem_tEENKUlT_SL_SM_SN_E_clIS8_S8_S9_S9_EESK_S10_SL_SM_SN_EUlS10_E1_NS1_11comp_targetILNS1_3genE5ELNS1_11target_archE942ELNS1_3gpuE9ELNS1_3repE0EEENS1_36merge_oddeven_config_static_selectorELNS0_4arch9wavefront6targetE1EEEvSM_,@function
_ZN7rocprim17ROCPRIM_400000_NS6detail17trampoline_kernelINS0_14default_configENS1_38merge_sort_block_merge_config_selectorIlNS0_10empty_typeEEEZZNS1_27merge_sort_block_merge_implIS3_PlPS5_mZN2at6native12_GLOBAL__N_124unique_dim_cuda_templateIfEESt5tupleIJNSA_6TensorESF_SF_EERKSF_lbbbEUlllE_EE10hipError_tT0_T1_T2_jT3_P12ihipStream_tbPNSt15iterator_traitsISL_E10value_typeEPNSR_ISM_E10value_typeEPSN_NS1_7vsmem_tEENKUlT_SL_SM_SN_E_clIS8_S8_S9_S9_EESK_S10_SL_SM_SN_EUlS10_E1_NS1_11comp_targetILNS1_3genE5ELNS1_11target_archE942ELNS1_3gpuE9ELNS1_3repE0EEENS1_36merge_oddeven_config_static_selectorELNS0_4arch9wavefront6targetE1EEEvSM_: ; @_ZN7rocprim17ROCPRIM_400000_NS6detail17trampoline_kernelINS0_14default_configENS1_38merge_sort_block_merge_config_selectorIlNS0_10empty_typeEEEZZNS1_27merge_sort_block_merge_implIS3_PlPS5_mZN2at6native12_GLOBAL__N_124unique_dim_cuda_templateIfEESt5tupleIJNSA_6TensorESF_SF_EERKSF_lbbbEUlllE_EE10hipError_tT0_T1_T2_jT3_P12ihipStream_tbPNSt15iterator_traitsISL_E10value_typeEPNSR_ISM_E10value_typeEPSN_NS1_7vsmem_tEENKUlT_SL_SM_SN_E_clIS8_S8_S9_S9_EESK_S10_SL_SM_SN_EUlS10_E1_NS1_11comp_targetILNS1_3genE5ELNS1_11target_archE942ELNS1_3gpuE9ELNS1_3repE0EEENS1_36merge_oddeven_config_static_selectorELNS0_4arch9wavefront6targetE1EEEvSM_
; %bb.0:
	s_load_dword s22, s[0:1], 0x20
	s_waitcnt lgkmcnt(0)
	s_lshr_b32 s3, s22, 8
	s_cmp_lg_u32 s2, s3
	s_cselect_b64 s[12:13], -1, 0
	s_cmp_eq_u32 s2, s3
	s_cselect_b64 s[6:7], -1, 0
	s_lshl_b32 s20, s2, 8
	s_sub_i32 s3, s22, s20
	v_cmp_gt_u32_e64 s[4:5], s3, v0
	s_or_b64 s[8:9], s[12:13], s[4:5]
	s_and_saveexec_b64 s[10:11], s[8:9]
	s_cbranch_execz .LBB905_54
; %bb.1:
	s_load_dwordx4 s[8:11], s[0:1], 0x0
	s_load_dword s23, s[0:1], 0x28
	s_mov_b32 s21, 0
	s_lshl_b64 s[14:15], s[20:21], 3
	v_lshlrev_b32_e32 v1, 3, v0
	s_waitcnt lgkmcnt(0)
	s_add_u32 s14, s8, s14
	s_addc_u32 s15, s9, s15
	global_load_dwordx2 v[2:3], v1, s[14:15]
	s_lshr_b32 s3, s23, 8
	s_sub_i32 s14, 0, s3
	s_and_b32 s2, s2, s14
	s_and_b32 s3, s2, s3
	s_cmp_lg_u32 s3, 0
	s_cselect_b64 s[16:17], -1, 0
	s_lshl_b32 s21, s2, 8
	s_sub_i32 s2, 0, s23
	s_cmp_eq_u32 s3, 0
	s_cselect_b32 s33, s23, s2
	s_add_i32 s33, s33, s21
	s_cmp_lt_u32 s33, s22
	s_cbranch_scc1 .LBB905_3
; %bb.2:
	v_add_u32_e32 v4, s20, v0
	v_cmp_gt_u32_e32 vcc, s22, v4
	s_or_b64 s[12:13], vcc, s[12:13]
	s_and_b64 s[18:19], s[12:13], exec
	s_cbranch_execz .LBB905_4
	s_branch .LBB905_52
.LBB905_3:
	s_mov_b64 s[18:19], 0
                                        ; implicit-def: $vgpr4
.LBB905_4:
	s_load_dwordx4 s[12:15], s[0:1], 0x30
	s_min_u32 s44, s33, s22
	s_add_i32 s0, s44, s23
	s_min_u32 s45, s0, s22
	s_min_u32 s0, s21, s44
	v_add_u32_e32 v0, s20, v0
	s_add_i32 s21, s21, s44
	v_subrev_u32_e32 v0, s21, v0
	v_add_u32_e32 v14, s0, v0
	s_and_b64 vcc, exec, s[6:7]
	s_cbranch_vccz .LBB905_26
; %bb.5:
                                        ; implicit-def: $vgpr4
	s_and_saveexec_b64 s[20:21], s[4:5]
	s_cbranch_execz .LBB905_29
; %bb.6:
	s_cmp_ge_u32 s33, s45
	v_mov_b32_e32 v15, s44
	s_cbranch_scc1 .LBB905_28
; %bb.7:
	s_waitcnt vmcnt(0) lgkmcnt(0)
	v_mul_lo_u32 v0, v3, s12
	v_mul_lo_u32 v1, v2, s13
	v_mad_u64_u32 v[4:5], s[0:1], v2, s12, 0
	v_cndmask_b32_e64 v6, 0, 1, s[16:17]
	v_cmp_gt_i64_e64 s[2:3], s[12:13], 0
	v_add3_u32 v5, v5, v1, v0
	v_cmp_ne_u32_e64 s[0:1], 1, v6
	v_cndmask_b32_e64 v6, 0, 1, s[2:3]
	s_mov_b64 s[22:23], 0
	v_mov_b64_e32 v[0:1], s[14:15]
	v_lshl_add_u64 v[4:5], v[4:5], 2, s[14:15]
	s_lshl_b64 s[24:25], s[12:13], 2
	v_mov_b32_e32 v16, s45
	v_mov_b32_e32 v15, s44
	;; [unrolled: 1-line block ×3, first 2 shown]
	v_cmp_ne_u32_e64 s[2:3], 1, v6
	s_branch .LBB905_10
.LBB905_8:                              ;   in Loop: Header=BB905_10 Depth=1
	s_or_b64 exec, exec, s[28:29]
.LBB905_9:                              ;   in Loop: Header=BB905_10 Depth=1
	s_waitcnt vmcnt(0)
	v_add_u32_e32 v8, 1, v6
	v_cndmask_b32_e64 v16, v6, v16, s[26:27]
	v_cndmask_b32_e64 v15, v15, v8, s[26:27]
	v_cmp_ge_u32_e32 vcc, v15, v16
	s_or_b64 s[22:23], vcc, s[22:23]
	s_andn2_b64 exec, exec, s[22:23]
	s_cbranch_execz .LBB905_27
.LBB905_10:                             ; =>This Loop Header: Depth=1
                                        ;     Child Loop BB905_14 Depth 2
                                        ;     Child Loop BB905_23 Depth 2
	v_add_u32_e32 v6, v15, v16
	v_lshrrev_b32_e32 v6, 1, v6
	v_lshl_add_u64 v[8:9], v[6:7], 3, s[8:9]
	global_load_dwordx2 v[8:9], v[8:9], off
	s_and_b64 vcc, exec, s[0:1]
	s_mov_b64 s[4:5], -1
                                        ; implicit-def: $sgpr26_sgpr27
	s_cbranch_vccnz .LBB905_19
; %bb.11:                               ;   in Loop: Header=BB905_10 Depth=1
	s_and_b64 vcc, exec, s[2:3]
	s_cbranch_vccnz .LBB905_17
; %bb.12:                               ;   in Loop: Header=BB905_10 Depth=1
	s_waitcnt vmcnt(0)
	v_mad_u64_u32 v[10:11], s[4:5], s24, v8, v[0:1]
	v_mul_lo_u32 v12, s24, v9
	v_mul_lo_u32 v13, s25, v8
	v_add3_u32 v11, v13, v11, v12
	s_mov_b64 s[28:29], 0
	s_mov_b64 s[36:37], s[12:13]
	v_mov_b64_e32 v[12:13], v[4:5]
                                        ; implicit-def: $sgpr26_sgpr27
                                        ; implicit-def: $sgpr30_sgpr31
                                        ; implicit-def: $sgpr34_sgpr35
                                        ; implicit-def: $sgpr4_sgpr5
                                        ; implicit-def: $sgpr38_sgpr39
	s_branch .LBB905_14
.LBB905_13:                             ;   in Loop: Header=BB905_14 Depth=2
	s_or_b64 exec, exec, s[40:41]
	s_and_b64 s[6:7], exec, s[30:31]
	s_or_b64 s[28:29], s[6:7], s[28:29]
	s_andn2_b64 s[6:7], s[38:39], exec
	s_and_b64 s[38:39], s[34:35], exec
	s_or_b64 s[38:39], s[6:7], s[38:39]
	s_andn2_b64 s[6:7], s[26:27], exec
	s_and_b64 s[26:27], s[4:5], exec
	s_or_b64 s[26:27], s[6:7], s[26:27]
	s_andn2_b64 exec, exec, s[28:29]
	s_cbranch_execz .LBB905_16
.LBB905_14:                             ;   Parent Loop BB905_10 Depth=1
                                        ; =>  This Inner Loop Header: Depth=2
	global_load_dword v17, v[12:13], off
	global_load_dword v18, v[10:11], off
	s_andn2_b64 s[40:41], s[4:5], exec
	s_andn2_b64 s[34:35], s[34:35], exec
	s_or_b64 s[30:31], s[30:31], exec
	s_waitcnt vmcnt(0)
	v_cmp_ngt_f32_e64 s[4:5], v17, v18
	v_cmp_lt_f32_e32 vcc, v17, v18
	s_and_b64 s[4:5], s[4:5], s[38:39]
	s_or_b64 s[42:43], vcc, s[4:5]
	s_and_b64 s[4:5], s[42:43], exec
	v_cmp_nlg_f32_e64 s[6:7], v17, v18
	s_or_b64 s[4:5], s[40:41], s[4:5]
	s_and_saveexec_b64 s[40:41], s[6:7]
	s_cbranch_execz .LBB905_13
; %bb.15:                               ;   in Loop: Header=BB905_14 Depth=2
	s_add_u32 s36, s36, -1
	s_addc_u32 s37, s37, -1
	s_cmp_eq_u64 s[36:37], 0
	s_cselect_b64 s[6:7], -1, 0
	s_andn2_b64 s[34:35], s[34:35], exec
	s_and_b64 s[38:39], s[42:43], exec
	s_andn2_b64 s[30:31], s[30:31], exec
	s_and_b64 s[6:7], s[6:7], exec
	v_lshl_add_u64 v[12:13], v[12:13], 0, 4
	v_lshl_add_u64 v[10:11], v[10:11], 0, 4
	s_andn2_b64 s[4:5], s[4:5], exec
	s_or_b64 s[34:35], s[34:35], s[38:39]
	s_or_b64 s[30:31], s[30:31], s[6:7]
                                        ; implicit-def: $sgpr38_sgpr39
	s_branch .LBB905_13
.LBB905_16:                             ;   in Loop: Header=BB905_10 Depth=1
	s_or_b64 exec, exec, s[28:29]
	s_branch .LBB905_18
.LBB905_17:                             ;   in Loop: Header=BB905_10 Depth=1
	s_mov_b64 s[26:27], 0
.LBB905_18:                             ;   in Loop: Header=BB905_10 Depth=1
	s_xor_b64 s[26:27], s[26:27], -1
	s_mov_b64 s[4:5], 0
.LBB905_19:                             ;   in Loop: Header=BB905_10 Depth=1
	s_and_b64 vcc, exec, s[4:5]
	s_cbranch_vccz .LBB905_9
; %bb.20:                               ;   in Loop: Header=BB905_10 Depth=1
	s_and_b64 vcc, exec, s[2:3]
	s_cbranch_vccnz .LBB905_25
; %bb.21:                               ;   in Loop: Header=BB905_10 Depth=1
	s_waitcnt vmcnt(0)
	v_mad_u64_u32 v[10:11], s[4:5], s24, v8, v[0:1]
	v_mul_lo_u32 v9, s24, v9
	v_mul_lo_u32 v8, s25, v8
	v_add3_u32 v11, v8, v11, v9
	s_mov_b64 s[28:29], 0
	s_mov_b64 s[36:37], s[12:13]
	v_mov_b64_e32 v[8:9], v[4:5]
                                        ; implicit-def: $sgpr26_sgpr27
                                        ; implicit-def: $sgpr30_sgpr31
                                        ; implicit-def: $sgpr34_sgpr35
                                        ; implicit-def: $sgpr4_sgpr5
                                        ; implicit-def: $sgpr38_sgpr39
	s_branch .LBB905_23
.LBB905_22:                             ;   in Loop: Header=BB905_23 Depth=2
	s_or_b64 exec, exec, s[40:41]
	s_and_b64 s[6:7], exec, s[30:31]
	s_or_b64 s[28:29], s[6:7], s[28:29]
	s_andn2_b64 s[6:7], s[38:39], exec
	s_and_b64 s[38:39], s[34:35], exec
	s_or_b64 s[38:39], s[6:7], s[38:39]
	s_andn2_b64 s[6:7], s[26:27], exec
	s_and_b64 s[26:27], s[4:5], exec
	s_or_b64 s[26:27], s[6:7], s[26:27]
	s_andn2_b64 exec, exec, s[28:29]
	s_cbranch_execz .LBB905_8
.LBB905_23:                             ;   Parent Loop BB905_10 Depth=1
                                        ; =>  This Inner Loop Header: Depth=2
	global_load_dword v12, v[10:11], off
	global_load_dword v13, v[8:9], off
	s_andn2_b64 s[40:41], s[4:5], exec
	s_andn2_b64 s[34:35], s[34:35], exec
	s_or_b64 s[30:31], s[30:31], exec
	s_waitcnt vmcnt(0)
	v_cmp_ngt_f32_e64 s[4:5], v12, v13
	v_cmp_lt_f32_e32 vcc, v12, v13
	s_and_b64 s[4:5], s[4:5], s[38:39]
	s_or_b64 s[42:43], vcc, s[4:5]
	s_and_b64 s[4:5], s[42:43], exec
	v_cmp_nlg_f32_e64 s[6:7], v12, v13
	s_or_b64 s[4:5], s[40:41], s[4:5]
	s_and_saveexec_b64 s[40:41], s[6:7]
	s_cbranch_execz .LBB905_22
; %bb.24:                               ;   in Loop: Header=BB905_23 Depth=2
	s_add_u32 s36, s36, -1
	s_addc_u32 s37, s37, -1
	s_cmp_eq_u64 s[36:37], 0
	s_cselect_b64 s[6:7], -1, 0
	s_andn2_b64 s[34:35], s[34:35], exec
	s_and_b64 s[38:39], s[42:43], exec
	s_andn2_b64 s[30:31], s[30:31], exec
	s_and_b64 s[6:7], s[6:7], exec
	v_lshl_add_u64 v[10:11], v[10:11], 0, 4
	v_lshl_add_u64 v[8:9], v[8:9], 0, 4
	s_andn2_b64 s[4:5], s[4:5], exec
	s_or_b64 s[34:35], s[34:35], s[38:39]
	s_or_b64 s[30:31], s[30:31], s[6:7]
                                        ; implicit-def: $sgpr38_sgpr39
	s_branch .LBB905_22
.LBB905_25:                             ;   in Loop: Header=BB905_10 Depth=1
	s_mov_b64 s[26:27], 0
	s_branch .LBB905_9
.LBB905_26:
                                        ; implicit-def: $vgpr4
	s_cbranch_execnz .LBB905_30
	s_branch .LBB905_52
.LBB905_27:
	s_or_b64 exec, exec, s[22:23]
.LBB905_28:
	v_add_u32_e32 v4, v15, v14
	s_or_b64 s[18:19], s[18:19], exec
.LBB905_29:
	s_or_b64 exec, exec, s[20:21]
	s_branch .LBB905_52
.LBB905_30:
	s_cmp_ge_u32 s33, s45
	v_mov_b32_e32 v15, s44
	s_cbranch_scc1 .LBB905_51
; %bb.31:
	s_waitcnt vmcnt(0) lgkmcnt(0)
	v_mul_lo_u32 v0, v3, s12
	v_mul_lo_u32 v1, v2, s13
	v_mad_u64_u32 v[4:5], s[0:1], v2, s12, 0
	v_cndmask_b32_e64 v6, 0, 1, s[16:17]
	v_cmp_gt_i64_e64 s[2:3], s[12:13], 0
	v_add3_u32 v5, v5, v1, v0
	v_cmp_ne_u32_e64 s[0:1], 1, v6
	v_cndmask_b32_e64 v6, 0, 1, s[2:3]
	s_mov_b64 s[18:19], 0
	v_mov_b64_e32 v[0:1], s[14:15]
	v_lshl_add_u64 v[4:5], v[4:5], 2, s[14:15]
	s_lshl_b64 s[14:15], s[12:13], 2
	v_mov_b32_e32 v16, s45
	v_mov_b32_e32 v15, s44
	v_mov_b32_e32 v7, 0
	v_cmp_ne_u32_e64 s[2:3], 1, v6
	s_branch .LBB905_34
.LBB905_32:                             ;   in Loop: Header=BB905_34 Depth=1
	s_or_b64 exec, exec, s[20:21]
.LBB905_33:                             ;   in Loop: Header=BB905_34 Depth=1
	s_waitcnt vmcnt(0)
	v_add_u32_e32 v8, 1, v6
	v_cndmask_b32_e64 v16, v6, v16, s[16:17]
	v_cndmask_b32_e64 v15, v15, v8, s[16:17]
	v_cmp_ge_u32_e32 vcc, v15, v16
	s_or_b64 s[18:19], vcc, s[18:19]
	s_andn2_b64 exec, exec, s[18:19]
	s_cbranch_execz .LBB905_50
.LBB905_34:                             ; =>This Loop Header: Depth=1
                                        ;     Child Loop BB905_38 Depth 2
                                        ;     Child Loop BB905_47 Depth 2
	v_add_u32_e32 v6, v15, v16
	v_lshrrev_b32_e32 v6, 1, v6
	v_lshl_add_u64 v[8:9], v[6:7], 3, s[8:9]
	global_load_dwordx2 v[8:9], v[8:9], off
	s_and_b64 vcc, exec, s[0:1]
	s_mov_b64 s[4:5], -1
                                        ; implicit-def: $sgpr16_sgpr17
	s_cbranch_vccnz .LBB905_43
; %bb.35:                               ;   in Loop: Header=BB905_34 Depth=1
	s_and_b64 vcc, exec, s[2:3]
	s_cbranch_vccnz .LBB905_41
; %bb.36:                               ;   in Loop: Header=BB905_34 Depth=1
	s_waitcnt vmcnt(0)
	v_mad_u64_u32 v[10:11], s[4:5], s14, v8, v[0:1]
	v_mul_lo_u32 v12, s14, v9
	v_mul_lo_u32 v13, s15, v8
	v_add3_u32 v11, v13, v11, v12
	s_mov_b64 s[20:21], 0
	s_mov_b64 s[26:27], s[12:13]
	v_mov_b64_e32 v[12:13], v[4:5]
                                        ; implicit-def: $sgpr16_sgpr17
                                        ; implicit-def: $sgpr22_sgpr23
                                        ; implicit-def: $sgpr24_sgpr25
                                        ; implicit-def: $sgpr4_sgpr5
                                        ; implicit-def: $sgpr28_sgpr29
	s_branch .LBB905_38
.LBB905_37:                             ;   in Loop: Header=BB905_38 Depth=2
	s_or_b64 exec, exec, s[30:31]
	s_and_b64 s[6:7], exec, s[22:23]
	s_or_b64 s[20:21], s[6:7], s[20:21]
	s_andn2_b64 s[6:7], s[28:29], exec
	s_and_b64 s[28:29], s[24:25], exec
	s_or_b64 s[28:29], s[6:7], s[28:29]
	s_andn2_b64 s[6:7], s[16:17], exec
	s_and_b64 s[16:17], s[4:5], exec
	s_or_b64 s[16:17], s[6:7], s[16:17]
	s_andn2_b64 exec, exec, s[20:21]
	s_cbranch_execz .LBB905_40
.LBB905_38:                             ;   Parent Loop BB905_34 Depth=1
                                        ; =>  This Inner Loop Header: Depth=2
	global_load_dword v17, v[12:13], off
	global_load_dword v18, v[10:11], off
	s_andn2_b64 s[30:31], s[4:5], exec
	s_andn2_b64 s[24:25], s[24:25], exec
	s_or_b64 s[22:23], s[22:23], exec
	s_waitcnt vmcnt(0)
	v_cmp_ngt_f32_e64 s[4:5], v17, v18
	v_cmp_lt_f32_e32 vcc, v17, v18
	s_and_b64 s[4:5], s[4:5], s[28:29]
	s_or_b64 s[34:35], vcc, s[4:5]
	s_and_b64 s[4:5], s[34:35], exec
	v_cmp_nlg_f32_e64 s[6:7], v17, v18
	s_or_b64 s[4:5], s[30:31], s[4:5]
	s_and_saveexec_b64 s[30:31], s[6:7]
	s_cbranch_execz .LBB905_37
; %bb.39:                               ;   in Loop: Header=BB905_38 Depth=2
	s_add_u32 s26, s26, -1
	s_addc_u32 s27, s27, -1
	s_cmp_eq_u64 s[26:27], 0
	s_cselect_b64 s[6:7], -1, 0
	s_andn2_b64 s[24:25], s[24:25], exec
	s_and_b64 s[28:29], s[34:35], exec
	s_andn2_b64 s[22:23], s[22:23], exec
	s_and_b64 s[6:7], s[6:7], exec
	v_lshl_add_u64 v[12:13], v[12:13], 0, 4
	v_lshl_add_u64 v[10:11], v[10:11], 0, 4
	s_andn2_b64 s[4:5], s[4:5], exec
	s_or_b64 s[24:25], s[24:25], s[28:29]
	s_or_b64 s[22:23], s[22:23], s[6:7]
                                        ; implicit-def: $sgpr28_sgpr29
	s_branch .LBB905_37
.LBB905_40:                             ;   in Loop: Header=BB905_34 Depth=1
	s_or_b64 exec, exec, s[20:21]
	s_branch .LBB905_42
.LBB905_41:                             ;   in Loop: Header=BB905_34 Depth=1
	s_mov_b64 s[16:17], 0
.LBB905_42:                             ;   in Loop: Header=BB905_34 Depth=1
	s_xor_b64 s[16:17], s[16:17], -1
	s_mov_b64 s[4:5], 0
.LBB905_43:                             ;   in Loop: Header=BB905_34 Depth=1
	s_and_b64 vcc, exec, s[4:5]
	s_cbranch_vccz .LBB905_33
; %bb.44:                               ;   in Loop: Header=BB905_34 Depth=1
	s_and_b64 vcc, exec, s[2:3]
	s_cbranch_vccnz .LBB905_49
; %bb.45:                               ;   in Loop: Header=BB905_34 Depth=1
	s_waitcnt vmcnt(0)
	v_mad_u64_u32 v[10:11], s[4:5], s14, v8, v[0:1]
	v_mul_lo_u32 v9, s14, v9
	v_mul_lo_u32 v8, s15, v8
	v_add3_u32 v11, v8, v11, v9
	s_mov_b64 s[20:21], 0
	s_mov_b64 s[26:27], s[12:13]
	v_mov_b64_e32 v[8:9], v[4:5]
                                        ; implicit-def: $sgpr16_sgpr17
                                        ; implicit-def: $sgpr22_sgpr23
                                        ; implicit-def: $sgpr24_sgpr25
                                        ; implicit-def: $sgpr4_sgpr5
                                        ; implicit-def: $sgpr28_sgpr29
	s_branch .LBB905_47
.LBB905_46:                             ;   in Loop: Header=BB905_47 Depth=2
	s_or_b64 exec, exec, s[30:31]
	s_and_b64 s[6:7], exec, s[22:23]
	s_or_b64 s[20:21], s[6:7], s[20:21]
	s_andn2_b64 s[6:7], s[28:29], exec
	s_and_b64 s[28:29], s[24:25], exec
	s_or_b64 s[28:29], s[6:7], s[28:29]
	s_andn2_b64 s[6:7], s[16:17], exec
	s_and_b64 s[16:17], s[4:5], exec
	s_or_b64 s[16:17], s[6:7], s[16:17]
	s_andn2_b64 exec, exec, s[20:21]
	s_cbranch_execz .LBB905_32
.LBB905_47:                             ;   Parent Loop BB905_34 Depth=1
                                        ; =>  This Inner Loop Header: Depth=2
	global_load_dword v12, v[10:11], off
	global_load_dword v13, v[8:9], off
	s_andn2_b64 s[30:31], s[4:5], exec
	s_andn2_b64 s[24:25], s[24:25], exec
	s_or_b64 s[22:23], s[22:23], exec
	s_waitcnt vmcnt(0)
	v_cmp_ngt_f32_e64 s[4:5], v12, v13
	v_cmp_lt_f32_e32 vcc, v12, v13
	s_and_b64 s[4:5], s[4:5], s[28:29]
	s_or_b64 s[34:35], vcc, s[4:5]
	s_and_b64 s[4:5], s[34:35], exec
	v_cmp_nlg_f32_e64 s[6:7], v12, v13
	s_or_b64 s[4:5], s[30:31], s[4:5]
	s_and_saveexec_b64 s[30:31], s[6:7]
	s_cbranch_execz .LBB905_46
; %bb.48:                               ;   in Loop: Header=BB905_47 Depth=2
	s_add_u32 s26, s26, -1
	s_addc_u32 s27, s27, -1
	s_cmp_eq_u64 s[26:27], 0
	s_cselect_b64 s[6:7], -1, 0
	s_andn2_b64 s[24:25], s[24:25], exec
	s_and_b64 s[28:29], s[34:35], exec
	s_andn2_b64 s[22:23], s[22:23], exec
	s_and_b64 s[6:7], s[6:7], exec
	v_lshl_add_u64 v[10:11], v[10:11], 0, 4
	v_lshl_add_u64 v[8:9], v[8:9], 0, 4
	s_andn2_b64 s[4:5], s[4:5], exec
	s_or_b64 s[24:25], s[24:25], s[28:29]
	s_or_b64 s[22:23], s[22:23], s[6:7]
                                        ; implicit-def: $sgpr28_sgpr29
	s_branch .LBB905_46
.LBB905_49:                             ;   in Loop: Header=BB905_34 Depth=1
	s_mov_b64 s[16:17], 0
	s_branch .LBB905_33
.LBB905_50:
	s_or_b64 exec, exec, s[18:19]
.LBB905_51:
	v_add_u32_e32 v4, v15, v14
	s_mov_b64 s[18:19], -1
.LBB905_52:
	s_and_b64 exec, exec, s[18:19]
	s_cbranch_execz .LBB905_54
; %bb.53:
	v_mov_b32_e32 v0, s10
	v_mov_b32_e32 v1, s11
	;; [unrolled: 1-line block ×3, first 2 shown]
	v_lshl_add_u64 v[0:1], v[4:5], 3, v[0:1]
	s_waitcnt vmcnt(0)
	global_store_dwordx2 v[0:1], v[2:3], off
.LBB905_54:
	s_endpgm
	.section	.rodata,"a",@progbits
	.p2align	6, 0x0
	.amdhsa_kernel _ZN7rocprim17ROCPRIM_400000_NS6detail17trampoline_kernelINS0_14default_configENS1_38merge_sort_block_merge_config_selectorIlNS0_10empty_typeEEEZZNS1_27merge_sort_block_merge_implIS3_PlPS5_mZN2at6native12_GLOBAL__N_124unique_dim_cuda_templateIfEESt5tupleIJNSA_6TensorESF_SF_EERKSF_lbbbEUlllE_EE10hipError_tT0_T1_T2_jT3_P12ihipStream_tbPNSt15iterator_traitsISL_E10value_typeEPNSR_ISM_E10value_typeEPSN_NS1_7vsmem_tEENKUlT_SL_SM_SN_E_clIS8_S8_S9_S9_EESK_S10_SL_SM_SN_EUlS10_E1_NS1_11comp_targetILNS1_3genE5ELNS1_11target_archE942ELNS1_3gpuE9ELNS1_3repE0EEENS1_36merge_oddeven_config_static_selectorELNS0_4arch9wavefront6targetE1EEEvSM_
		.amdhsa_group_segment_fixed_size 0
		.amdhsa_private_segment_fixed_size 0
		.amdhsa_kernarg_size 64
		.amdhsa_user_sgpr_count 2
		.amdhsa_user_sgpr_dispatch_ptr 0
		.amdhsa_user_sgpr_queue_ptr 0
		.amdhsa_user_sgpr_kernarg_segment_ptr 1
		.amdhsa_user_sgpr_dispatch_id 0
		.amdhsa_user_sgpr_kernarg_preload_length 0
		.amdhsa_user_sgpr_kernarg_preload_offset 0
		.amdhsa_user_sgpr_private_segment_size 0
		.amdhsa_uses_dynamic_stack 0
		.amdhsa_enable_private_segment 0
		.amdhsa_system_sgpr_workgroup_id_x 1
		.amdhsa_system_sgpr_workgroup_id_y 0
		.amdhsa_system_sgpr_workgroup_id_z 0
		.amdhsa_system_sgpr_workgroup_info 0
		.amdhsa_system_vgpr_workitem_id 0
		.amdhsa_next_free_vgpr 19
		.amdhsa_next_free_sgpr 46
		.amdhsa_accum_offset 20
		.amdhsa_reserve_vcc 1
		.amdhsa_float_round_mode_32 0
		.amdhsa_float_round_mode_16_64 0
		.amdhsa_float_denorm_mode_32 3
		.amdhsa_float_denorm_mode_16_64 3
		.amdhsa_dx10_clamp 1
		.amdhsa_ieee_mode 1
		.amdhsa_fp16_overflow 0
		.amdhsa_tg_split 0
		.amdhsa_exception_fp_ieee_invalid_op 0
		.amdhsa_exception_fp_denorm_src 0
		.amdhsa_exception_fp_ieee_div_zero 0
		.amdhsa_exception_fp_ieee_overflow 0
		.amdhsa_exception_fp_ieee_underflow 0
		.amdhsa_exception_fp_ieee_inexact 0
		.amdhsa_exception_int_div_zero 0
	.end_amdhsa_kernel
	.section	.text._ZN7rocprim17ROCPRIM_400000_NS6detail17trampoline_kernelINS0_14default_configENS1_38merge_sort_block_merge_config_selectorIlNS0_10empty_typeEEEZZNS1_27merge_sort_block_merge_implIS3_PlPS5_mZN2at6native12_GLOBAL__N_124unique_dim_cuda_templateIfEESt5tupleIJNSA_6TensorESF_SF_EERKSF_lbbbEUlllE_EE10hipError_tT0_T1_T2_jT3_P12ihipStream_tbPNSt15iterator_traitsISL_E10value_typeEPNSR_ISM_E10value_typeEPSN_NS1_7vsmem_tEENKUlT_SL_SM_SN_E_clIS8_S8_S9_S9_EESK_S10_SL_SM_SN_EUlS10_E1_NS1_11comp_targetILNS1_3genE5ELNS1_11target_archE942ELNS1_3gpuE9ELNS1_3repE0EEENS1_36merge_oddeven_config_static_selectorELNS0_4arch9wavefront6targetE1EEEvSM_,"axG",@progbits,_ZN7rocprim17ROCPRIM_400000_NS6detail17trampoline_kernelINS0_14default_configENS1_38merge_sort_block_merge_config_selectorIlNS0_10empty_typeEEEZZNS1_27merge_sort_block_merge_implIS3_PlPS5_mZN2at6native12_GLOBAL__N_124unique_dim_cuda_templateIfEESt5tupleIJNSA_6TensorESF_SF_EERKSF_lbbbEUlllE_EE10hipError_tT0_T1_T2_jT3_P12ihipStream_tbPNSt15iterator_traitsISL_E10value_typeEPNSR_ISM_E10value_typeEPSN_NS1_7vsmem_tEENKUlT_SL_SM_SN_E_clIS8_S8_S9_S9_EESK_S10_SL_SM_SN_EUlS10_E1_NS1_11comp_targetILNS1_3genE5ELNS1_11target_archE942ELNS1_3gpuE9ELNS1_3repE0EEENS1_36merge_oddeven_config_static_selectorELNS0_4arch9wavefront6targetE1EEEvSM_,comdat
.Lfunc_end905:
	.size	_ZN7rocprim17ROCPRIM_400000_NS6detail17trampoline_kernelINS0_14default_configENS1_38merge_sort_block_merge_config_selectorIlNS0_10empty_typeEEEZZNS1_27merge_sort_block_merge_implIS3_PlPS5_mZN2at6native12_GLOBAL__N_124unique_dim_cuda_templateIfEESt5tupleIJNSA_6TensorESF_SF_EERKSF_lbbbEUlllE_EE10hipError_tT0_T1_T2_jT3_P12ihipStream_tbPNSt15iterator_traitsISL_E10value_typeEPNSR_ISM_E10value_typeEPSN_NS1_7vsmem_tEENKUlT_SL_SM_SN_E_clIS8_S8_S9_S9_EESK_S10_SL_SM_SN_EUlS10_E1_NS1_11comp_targetILNS1_3genE5ELNS1_11target_archE942ELNS1_3gpuE9ELNS1_3repE0EEENS1_36merge_oddeven_config_static_selectorELNS0_4arch9wavefront6targetE1EEEvSM_, .Lfunc_end905-_ZN7rocprim17ROCPRIM_400000_NS6detail17trampoline_kernelINS0_14default_configENS1_38merge_sort_block_merge_config_selectorIlNS0_10empty_typeEEEZZNS1_27merge_sort_block_merge_implIS3_PlPS5_mZN2at6native12_GLOBAL__N_124unique_dim_cuda_templateIfEESt5tupleIJNSA_6TensorESF_SF_EERKSF_lbbbEUlllE_EE10hipError_tT0_T1_T2_jT3_P12ihipStream_tbPNSt15iterator_traitsISL_E10value_typeEPNSR_ISM_E10value_typeEPSN_NS1_7vsmem_tEENKUlT_SL_SM_SN_E_clIS8_S8_S9_S9_EESK_S10_SL_SM_SN_EUlS10_E1_NS1_11comp_targetILNS1_3genE5ELNS1_11target_archE942ELNS1_3gpuE9ELNS1_3repE0EEENS1_36merge_oddeven_config_static_selectorELNS0_4arch9wavefront6targetE1EEEvSM_
                                        ; -- End function
	.section	.AMDGPU.csdata,"",@progbits
; Kernel info:
; codeLenInByte = 1784
; NumSgprs: 52
; NumVgprs: 19
; NumAgprs: 0
; TotalNumVgprs: 19
; ScratchSize: 0
; MemoryBound: 0
; FloatMode: 240
; IeeeMode: 1
; LDSByteSize: 0 bytes/workgroup (compile time only)
; SGPRBlocks: 6
; VGPRBlocks: 2
; NumSGPRsForWavesPerEU: 52
; NumVGPRsForWavesPerEU: 19
; AccumOffset: 20
; Occupancy: 8
; WaveLimiterHint : 0
; COMPUTE_PGM_RSRC2:SCRATCH_EN: 0
; COMPUTE_PGM_RSRC2:USER_SGPR: 2
; COMPUTE_PGM_RSRC2:TRAP_HANDLER: 0
; COMPUTE_PGM_RSRC2:TGID_X_EN: 1
; COMPUTE_PGM_RSRC2:TGID_Y_EN: 0
; COMPUTE_PGM_RSRC2:TGID_Z_EN: 0
; COMPUTE_PGM_RSRC2:TIDIG_COMP_CNT: 0
; COMPUTE_PGM_RSRC3_GFX90A:ACCUM_OFFSET: 4
; COMPUTE_PGM_RSRC3_GFX90A:TG_SPLIT: 0
	.section	.text._ZN7rocprim17ROCPRIM_400000_NS6detail17trampoline_kernelINS0_14default_configENS1_38merge_sort_block_merge_config_selectorIlNS0_10empty_typeEEEZZNS1_27merge_sort_block_merge_implIS3_PlPS5_mZN2at6native12_GLOBAL__N_124unique_dim_cuda_templateIfEESt5tupleIJNSA_6TensorESF_SF_EERKSF_lbbbEUlllE_EE10hipError_tT0_T1_T2_jT3_P12ihipStream_tbPNSt15iterator_traitsISL_E10value_typeEPNSR_ISM_E10value_typeEPSN_NS1_7vsmem_tEENKUlT_SL_SM_SN_E_clIS8_S8_S9_S9_EESK_S10_SL_SM_SN_EUlS10_E1_NS1_11comp_targetILNS1_3genE4ELNS1_11target_archE910ELNS1_3gpuE8ELNS1_3repE0EEENS1_36merge_oddeven_config_static_selectorELNS0_4arch9wavefront6targetE1EEEvSM_,"axG",@progbits,_ZN7rocprim17ROCPRIM_400000_NS6detail17trampoline_kernelINS0_14default_configENS1_38merge_sort_block_merge_config_selectorIlNS0_10empty_typeEEEZZNS1_27merge_sort_block_merge_implIS3_PlPS5_mZN2at6native12_GLOBAL__N_124unique_dim_cuda_templateIfEESt5tupleIJNSA_6TensorESF_SF_EERKSF_lbbbEUlllE_EE10hipError_tT0_T1_T2_jT3_P12ihipStream_tbPNSt15iterator_traitsISL_E10value_typeEPNSR_ISM_E10value_typeEPSN_NS1_7vsmem_tEENKUlT_SL_SM_SN_E_clIS8_S8_S9_S9_EESK_S10_SL_SM_SN_EUlS10_E1_NS1_11comp_targetILNS1_3genE4ELNS1_11target_archE910ELNS1_3gpuE8ELNS1_3repE0EEENS1_36merge_oddeven_config_static_selectorELNS0_4arch9wavefront6targetE1EEEvSM_,comdat
	.globl	_ZN7rocprim17ROCPRIM_400000_NS6detail17trampoline_kernelINS0_14default_configENS1_38merge_sort_block_merge_config_selectorIlNS0_10empty_typeEEEZZNS1_27merge_sort_block_merge_implIS3_PlPS5_mZN2at6native12_GLOBAL__N_124unique_dim_cuda_templateIfEESt5tupleIJNSA_6TensorESF_SF_EERKSF_lbbbEUlllE_EE10hipError_tT0_T1_T2_jT3_P12ihipStream_tbPNSt15iterator_traitsISL_E10value_typeEPNSR_ISM_E10value_typeEPSN_NS1_7vsmem_tEENKUlT_SL_SM_SN_E_clIS8_S8_S9_S9_EESK_S10_SL_SM_SN_EUlS10_E1_NS1_11comp_targetILNS1_3genE4ELNS1_11target_archE910ELNS1_3gpuE8ELNS1_3repE0EEENS1_36merge_oddeven_config_static_selectorELNS0_4arch9wavefront6targetE1EEEvSM_ ; -- Begin function _ZN7rocprim17ROCPRIM_400000_NS6detail17trampoline_kernelINS0_14default_configENS1_38merge_sort_block_merge_config_selectorIlNS0_10empty_typeEEEZZNS1_27merge_sort_block_merge_implIS3_PlPS5_mZN2at6native12_GLOBAL__N_124unique_dim_cuda_templateIfEESt5tupleIJNSA_6TensorESF_SF_EERKSF_lbbbEUlllE_EE10hipError_tT0_T1_T2_jT3_P12ihipStream_tbPNSt15iterator_traitsISL_E10value_typeEPNSR_ISM_E10value_typeEPSN_NS1_7vsmem_tEENKUlT_SL_SM_SN_E_clIS8_S8_S9_S9_EESK_S10_SL_SM_SN_EUlS10_E1_NS1_11comp_targetILNS1_3genE4ELNS1_11target_archE910ELNS1_3gpuE8ELNS1_3repE0EEENS1_36merge_oddeven_config_static_selectorELNS0_4arch9wavefront6targetE1EEEvSM_
	.p2align	8
	.type	_ZN7rocprim17ROCPRIM_400000_NS6detail17trampoline_kernelINS0_14default_configENS1_38merge_sort_block_merge_config_selectorIlNS0_10empty_typeEEEZZNS1_27merge_sort_block_merge_implIS3_PlPS5_mZN2at6native12_GLOBAL__N_124unique_dim_cuda_templateIfEESt5tupleIJNSA_6TensorESF_SF_EERKSF_lbbbEUlllE_EE10hipError_tT0_T1_T2_jT3_P12ihipStream_tbPNSt15iterator_traitsISL_E10value_typeEPNSR_ISM_E10value_typeEPSN_NS1_7vsmem_tEENKUlT_SL_SM_SN_E_clIS8_S8_S9_S9_EESK_S10_SL_SM_SN_EUlS10_E1_NS1_11comp_targetILNS1_3genE4ELNS1_11target_archE910ELNS1_3gpuE8ELNS1_3repE0EEENS1_36merge_oddeven_config_static_selectorELNS0_4arch9wavefront6targetE1EEEvSM_,@function
_ZN7rocprim17ROCPRIM_400000_NS6detail17trampoline_kernelINS0_14default_configENS1_38merge_sort_block_merge_config_selectorIlNS0_10empty_typeEEEZZNS1_27merge_sort_block_merge_implIS3_PlPS5_mZN2at6native12_GLOBAL__N_124unique_dim_cuda_templateIfEESt5tupleIJNSA_6TensorESF_SF_EERKSF_lbbbEUlllE_EE10hipError_tT0_T1_T2_jT3_P12ihipStream_tbPNSt15iterator_traitsISL_E10value_typeEPNSR_ISM_E10value_typeEPSN_NS1_7vsmem_tEENKUlT_SL_SM_SN_E_clIS8_S8_S9_S9_EESK_S10_SL_SM_SN_EUlS10_E1_NS1_11comp_targetILNS1_3genE4ELNS1_11target_archE910ELNS1_3gpuE8ELNS1_3repE0EEENS1_36merge_oddeven_config_static_selectorELNS0_4arch9wavefront6targetE1EEEvSM_: ; @_ZN7rocprim17ROCPRIM_400000_NS6detail17trampoline_kernelINS0_14default_configENS1_38merge_sort_block_merge_config_selectorIlNS0_10empty_typeEEEZZNS1_27merge_sort_block_merge_implIS3_PlPS5_mZN2at6native12_GLOBAL__N_124unique_dim_cuda_templateIfEESt5tupleIJNSA_6TensorESF_SF_EERKSF_lbbbEUlllE_EE10hipError_tT0_T1_T2_jT3_P12ihipStream_tbPNSt15iterator_traitsISL_E10value_typeEPNSR_ISM_E10value_typeEPSN_NS1_7vsmem_tEENKUlT_SL_SM_SN_E_clIS8_S8_S9_S9_EESK_S10_SL_SM_SN_EUlS10_E1_NS1_11comp_targetILNS1_3genE4ELNS1_11target_archE910ELNS1_3gpuE8ELNS1_3repE0EEENS1_36merge_oddeven_config_static_selectorELNS0_4arch9wavefront6targetE1EEEvSM_
; %bb.0:
	.section	.rodata,"a",@progbits
	.p2align	6, 0x0
	.amdhsa_kernel _ZN7rocprim17ROCPRIM_400000_NS6detail17trampoline_kernelINS0_14default_configENS1_38merge_sort_block_merge_config_selectorIlNS0_10empty_typeEEEZZNS1_27merge_sort_block_merge_implIS3_PlPS5_mZN2at6native12_GLOBAL__N_124unique_dim_cuda_templateIfEESt5tupleIJNSA_6TensorESF_SF_EERKSF_lbbbEUlllE_EE10hipError_tT0_T1_T2_jT3_P12ihipStream_tbPNSt15iterator_traitsISL_E10value_typeEPNSR_ISM_E10value_typeEPSN_NS1_7vsmem_tEENKUlT_SL_SM_SN_E_clIS8_S8_S9_S9_EESK_S10_SL_SM_SN_EUlS10_E1_NS1_11comp_targetILNS1_3genE4ELNS1_11target_archE910ELNS1_3gpuE8ELNS1_3repE0EEENS1_36merge_oddeven_config_static_selectorELNS0_4arch9wavefront6targetE1EEEvSM_
		.amdhsa_group_segment_fixed_size 0
		.amdhsa_private_segment_fixed_size 0
		.amdhsa_kernarg_size 64
		.amdhsa_user_sgpr_count 2
		.amdhsa_user_sgpr_dispatch_ptr 0
		.amdhsa_user_sgpr_queue_ptr 0
		.amdhsa_user_sgpr_kernarg_segment_ptr 1
		.amdhsa_user_sgpr_dispatch_id 0
		.amdhsa_user_sgpr_kernarg_preload_length 0
		.amdhsa_user_sgpr_kernarg_preload_offset 0
		.amdhsa_user_sgpr_private_segment_size 0
		.amdhsa_uses_dynamic_stack 0
		.amdhsa_enable_private_segment 0
		.amdhsa_system_sgpr_workgroup_id_x 1
		.amdhsa_system_sgpr_workgroup_id_y 0
		.amdhsa_system_sgpr_workgroup_id_z 0
		.amdhsa_system_sgpr_workgroup_info 0
		.amdhsa_system_vgpr_workitem_id 0
		.amdhsa_next_free_vgpr 1
		.amdhsa_next_free_sgpr 0
		.amdhsa_accum_offset 4
		.amdhsa_reserve_vcc 0
		.amdhsa_float_round_mode_32 0
		.amdhsa_float_round_mode_16_64 0
		.amdhsa_float_denorm_mode_32 3
		.amdhsa_float_denorm_mode_16_64 3
		.amdhsa_dx10_clamp 1
		.amdhsa_ieee_mode 1
		.amdhsa_fp16_overflow 0
		.amdhsa_tg_split 0
		.amdhsa_exception_fp_ieee_invalid_op 0
		.amdhsa_exception_fp_denorm_src 0
		.amdhsa_exception_fp_ieee_div_zero 0
		.amdhsa_exception_fp_ieee_overflow 0
		.amdhsa_exception_fp_ieee_underflow 0
		.amdhsa_exception_fp_ieee_inexact 0
		.amdhsa_exception_int_div_zero 0
	.end_amdhsa_kernel
	.section	.text._ZN7rocprim17ROCPRIM_400000_NS6detail17trampoline_kernelINS0_14default_configENS1_38merge_sort_block_merge_config_selectorIlNS0_10empty_typeEEEZZNS1_27merge_sort_block_merge_implIS3_PlPS5_mZN2at6native12_GLOBAL__N_124unique_dim_cuda_templateIfEESt5tupleIJNSA_6TensorESF_SF_EERKSF_lbbbEUlllE_EE10hipError_tT0_T1_T2_jT3_P12ihipStream_tbPNSt15iterator_traitsISL_E10value_typeEPNSR_ISM_E10value_typeEPSN_NS1_7vsmem_tEENKUlT_SL_SM_SN_E_clIS8_S8_S9_S9_EESK_S10_SL_SM_SN_EUlS10_E1_NS1_11comp_targetILNS1_3genE4ELNS1_11target_archE910ELNS1_3gpuE8ELNS1_3repE0EEENS1_36merge_oddeven_config_static_selectorELNS0_4arch9wavefront6targetE1EEEvSM_,"axG",@progbits,_ZN7rocprim17ROCPRIM_400000_NS6detail17trampoline_kernelINS0_14default_configENS1_38merge_sort_block_merge_config_selectorIlNS0_10empty_typeEEEZZNS1_27merge_sort_block_merge_implIS3_PlPS5_mZN2at6native12_GLOBAL__N_124unique_dim_cuda_templateIfEESt5tupleIJNSA_6TensorESF_SF_EERKSF_lbbbEUlllE_EE10hipError_tT0_T1_T2_jT3_P12ihipStream_tbPNSt15iterator_traitsISL_E10value_typeEPNSR_ISM_E10value_typeEPSN_NS1_7vsmem_tEENKUlT_SL_SM_SN_E_clIS8_S8_S9_S9_EESK_S10_SL_SM_SN_EUlS10_E1_NS1_11comp_targetILNS1_3genE4ELNS1_11target_archE910ELNS1_3gpuE8ELNS1_3repE0EEENS1_36merge_oddeven_config_static_selectorELNS0_4arch9wavefront6targetE1EEEvSM_,comdat
.Lfunc_end906:
	.size	_ZN7rocprim17ROCPRIM_400000_NS6detail17trampoline_kernelINS0_14default_configENS1_38merge_sort_block_merge_config_selectorIlNS0_10empty_typeEEEZZNS1_27merge_sort_block_merge_implIS3_PlPS5_mZN2at6native12_GLOBAL__N_124unique_dim_cuda_templateIfEESt5tupleIJNSA_6TensorESF_SF_EERKSF_lbbbEUlllE_EE10hipError_tT0_T1_T2_jT3_P12ihipStream_tbPNSt15iterator_traitsISL_E10value_typeEPNSR_ISM_E10value_typeEPSN_NS1_7vsmem_tEENKUlT_SL_SM_SN_E_clIS8_S8_S9_S9_EESK_S10_SL_SM_SN_EUlS10_E1_NS1_11comp_targetILNS1_3genE4ELNS1_11target_archE910ELNS1_3gpuE8ELNS1_3repE0EEENS1_36merge_oddeven_config_static_selectorELNS0_4arch9wavefront6targetE1EEEvSM_, .Lfunc_end906-_ZN7rocprim17ROCPRIM_400000_NS6detail17trampoline_kernelINS0_14default_configENS1_38merge_sort_block_merge_config_selectorIlNS0_10empty_typeEEEZZNS1_27merge_sort_block_merge_implIS3_PlPS5_mZN2at6native12_GLOBAL__N_124unique_dim_cuda_templateIfEESt5tupleIJNSA_6TensorESF_SF_EERKSF_lbbbEUlllE_EE10hipError_tT0_T1_T2_jT3_P12ihipStream_tbPNSt15iterator_traitsISL_E10value_typeEPNSR_ISM_E10value_typeEPSN_NS1_7vsmem_tEENKUlT_SL_SM_SN_E_clIS8_S8_S9_S9_EESK_S10_SL_SM_SN_EUlS10_E1_NS1_11comp_targetILNS1_3genE4ELNS1_11target_archE910ELNS1_3gpuE8ELNS1_3repE0EEENS1_36merge_oddeven_config_static_selectorELNS0_4arch9wavefront6targetE1EEEvSM_
                                        ; -- End function
	.section	.AMDGPU.csdata,"",@progbits
; Kernel info:
; codeLenInByte = 0
; NumSgprs: 6
; NumVgprs: 0
; NumAgprs: 0
; TotalNumVgprs: 0
; ScratchSize: 0
; MemoryBound: 0
; FloatMode: 240
; IeeeMode: 1
; LDSByteSize: 0 bytes/workgroup (compile time only)
; SGPRBlocks: 0
; VGPRBlocks: 0
; NumSGPRsForWavesPerEU: 6
; NumVGPRsForWavesPerEU: 1
; AccumOffset: 4
; Occupancy: 8
; WaveLimiterHint : 0
; COMPUTE_PGM_RSRC2:SCRATCH_EN: 0
; COMPUTE_PGM_RSRC2:USER_SGPR: 2
; COMPUTE_PGM_RSRC2:TRAP_HANDLER: 0
; COMPUTE_PGM_RSRC2:TGID_X_EN: 1
; COMPUTE_PGM_RSRC2:TGID_Y_EN: 0
; COMPUTE_PGM_RSRC2:TGID_Z_EN: 0
; COMPUTE_PGM_RSRC2:TIDIG_COMP_CNT: 0
; COMPUTE_PGM_RSRC3_GFX90A:ACCUM_OFFSET: 0
; COMPUTE_PGM_RSRC3_GFX90A:TG_SPLIT: 0
	.section	.text._ZN7rocprim17ROCPRIM_400000_NS6detail17trampoline_kernelINS0_14default_configENS1_38merge_sort_block_merge_config_selectorIlNS0_10empty_typeEEEZZNS1_27merge_sort_block_merge_implIS3_PlPS5_mZN2at6native12_GLOBAL__N_124unique_dim_cuda_templateIfEESt5tupleIJNSA_6TensorESF_SF_EERKSF_lbbbEUlllE_EE10hipError_tT0_T1_T2_jT3_P12ihipStream_tbPNSt15iterator_traitsISL_E10value_typeEPNSR_ISM_E10value_typeEPSN_NS1_7vsmem_tEENKUlT_SL_SM_SN_E_clIS8_S8_S9_S9_EESK_S10_SL_SM_SN_EUlS10_E1_NS1_11comp_targetILNS1_3genE3ELNS1_11target_archE908ELNS1_3gpuE7ELNS1_3repE0EEENS1_36merge_oddeven_config_static_selectorELNS0_4arch9wavefront6targetE1EEEvSM_,"axG",@progbits,_ZN7rocprim17ROCPRIM_400000_NS6detail17trampoline_kernelINS0_14default_configENS1_38merge_sort_block_merge_config_selectorIlNS0_10empty_typeEEEZZNS1_27merge_sort_block_merge_implIS3_PlPS5_mZN2at6native12_GLOBAL__N_124unique_dim_cuda_templateIfEESt5tupleIJNSA_6TensorESF_SF_EERKSF_lbbbEUlllE_EE10hipError_tT0_T1_T2_jT3_P12ihipStream_tbPNSt15iterator_traitsISL_E10value_typeEPNSR_ISM_E10value_typeEPSN_NS1_7vsmem_tEENKUlT_SL_SM_SN_E_clIS8_S8_S9_S9_EESK_S10_SL_SM_SN_EUlS10_E1_NS1_11comp_targetILNS1_3genE3ELNS1_11target_archE908ELNS1_3gpuE7ELNS1_3repE0EEENS1_36merge_oddeven_config_static_selectorELNS0_4arch9wavefront6targetE1EEEvSM_,comdat
	.globl	_ZN7rocprim17ROCPRIM_400000_NS6detail17trampoline_kernelINS0_14default_configENS1_38merge_sort_block_merge_config_selectorIlNS0_10empty_typeEEEZZNS1_27merge_sort_block_merge_implIS3_PlPS5_mZN2at6native12_GLOBAL__N_124unique_dim_cuda_templateIfEESt5tupleIJNSA_6TensorESF_SF_EERKSF_lbbbEUlllE_EE10hipError_tT0_T1_T2_jT3_P12ihipStream_tbPNSt15iterator_traitsISL_E10value_typeEPNSR_ISM_E10value_typeEPSN_NS1_7vsmem_tEENKUlT_SL_SM_SN_E_clIS8_S8_S9_S9_EESK_S10_SL_SM_SN_EUlS10_E1_NS1_11comp_targetILNS1_3genE3ELNS1_11target_archE908ELNS1_3gpuE7ELNS1_3repE0EEENS1_36merge_oddeven_config_static_selectorELNS0_4arch9wavefront6targetE1EEEvSM_ ; -- Begin function _ZN7rocprim17ROCPRIM_400000_NS6detail17trampoline_kernelINS0_14default_configENS1_38merge_sort_block_merge_config_selectorIlNS0_10empty_typeEEEZZNS1_27merge_sort_block_merge_implIS3_PlPS5_mZN2at6native12_GLOBAL__N_124unique_dim_cuda_templateIfEESt5tupleIJNSA_6TensorESF_SF_EERKSF_lbbbEUlllE_EE10hipError_tT0_T1_T2_jT3_P12ihipStream_tbPNSt15iterator_traitsISL_E10value_typeEPNSR_ISM_E10value_typeEPSN_NS1_7vsmem_tEENKUlT_SL_SM_SN_E_clIS8_S8_S9_S9_EESK_S10_SL_SM_SN_EUlS10_E1_NS1_11comp_targetILNS1_3genE3ELNS1_11target_archE908ELNS1_3gpuE7ELNS1_3repE0EEENS1_36merge_oddeven_config_static_selectorELNS0_4arch9wavefront6targetE1EEEvSM_
	.p2align	8
	.type	_ZN7rocprim17ROCPRIM_400000_NS6detail17trampoline_kernelINS0_14default_configENS1_38merge_sort_block_merge_config_selectorIlNS0_10empty_typeEEEZZNS1_27merge_sort_block_merge_implIS3_PlPS5_mZN2at6native12_GLOBAL__N_124unique_dim_cuda_templateIfEESt5tupleIJNSA_6TensorESF_SF_EERKSF_lbbbEUlllE_EE10hipError_tT0_T1_T2_jT3_P12ihipStream_tbPNSt15iterator_traitsISL_E10value_typeEPNSR_ISM_E10value_typeEPSN_NS1_7vsmem_tEENKUlT_SL_SM_SN_E_clIS8_S8_S9_S9_EESK_S10_SL_SM_SN_EUlS10_E1_NS1_11comp_targetILNS1_3genE3ELNS1_11target_archE908ELNS1_3gpuE7ELNS1_3repE0EEENS1_36merge_oddeven_config_static_selectorELNS0_4arch9wavefront6targetE1EEEvSM_,@function
_ZN7rocprim17ROCPRIM_400000_NS6detail17trampoline_kernelINS0_14default_configENS1_38merge_sort_block_merge_config_selectorIlNS0_10empty_typeEEEZZNS1_27merge_sort_block_merge_implIS3_PlPS5_mZN2at6native12_GLOBAL__N_124unique_dim_cuda_templateIfEESt5tupleIJNSA_6TensorESF_SF_EERKSF_lbbbEUlllE_EE10hipError_tT0_T1_T2_jT3_P12ihipStream_tbPNSt15iterator_traitsISL_E10value_typeEPNSR_ISM_E10value_typeEPSN_NS1_7vsmem_tEENKUlT_SL_SM_SN_E_clIS8_S8_S9_S9_EESK_S10_SL_SM_SN_EUlS10_E1_NS1_11comp_targetILNS1_3genE3ELNS1_11target_archE908ELNS1_3gpuE7ELNS1_3repE0EEENS1_36merge_oddeven_config_static_selectorELNS0_4arch9wavefront6targetE1EEEvSM_: ; @_ZN7rocprim17ROCPRIM_400000_NS6detail17trampoline_kernelINS0_14default_configENS1_38merge_sort_block_merge_config_selectorIlNS0_10empty_typeEEEZZNS1_27merge_sort_block_merge_implIS3_PlPS5_mZN2at6native12_GLOBAL__N_124unique_dim_cuda_templateIfEESt5tupleIJNSA_6TensorESF_SF_EERKSF_lbbbEUlllE_EE10hipError_tT0_T1_T2_jT3_P12ihipStream_tbPNSt15iterator_traitsISL_E10value_typeEPNSR_ISM_E10value_typeEPSN_NS1_7vsmem_tEENKUlT_SL_SM_SN_E_clIS8_S8_S9_S9_EESK_S10_SL_SM_SN_EUlS10_E1_NS1_11comp_targetILNS1_3genE3ELNS1_11target_archE908ELNS1_3gpuE7ELNS1_3repE0EEENS1_36merge_oddeven_config_static_selectorELNS0_4arch9wavefront6targetE1EEEvSM_
; %bb.0:
	.section	.rodata,"a",@progbits
	.p2align	6, 0x0
	.amdhsa_kernel _ZN7rocprim17ROCPRIM_400000_NS6detail17trampoline_kernelINS0_14default_configENS1_38merge_sort_block_merge_config_selectorIlNS0_10empty_typeEEEZZNS1_27merge_sort_block_merge_implIS3_PlPS5_mZN2at6native12_GLOBAL__N_124unique_dim_cuda_templateIfEESt5tupleIJNSA_6TensorESF_SF_EERKSF_lbbbEUlllE_EE10hipError_tT0_T1_T2_jT3_P12ihipStream_tbPNSt15iterator_traitsISL_E10value_typeEPNSR_ISM_E10value_typeEPSN_NS1_7vsmem_tEENKUlT_SL_SM_SN_E_clIS8_S8_S9_S9_EESK_S10_SL_SM_SN_EUlS10_E1_NS1_11comp_targetILNS1_3genE3ELNS1_11target_archE908ELNS1_3gpuE7ELNS1_3repE0EEENS1_36merge_oddeven_config_static_selectorELNS0_4arch9wavefront6targetE1EEEvSM_
		.amdhsa_group_segment_fixed_size 0
		.amdhsa_private_segment_fixed_size 0
		.amdhsa_kernarg_size 64
		.amdhsa_user_sgpr_count 2
		.amdhsa_user_sgpr_dispatch_ptr 0
		.amdhsa_user_sgpr_queue_ptr 0
		.amdhsa_user_sgpr_kernarg_segment_ptr 1
		.amdhsa_user_sgpr_dispatch_id 0
		.amdhsa_user_sgpr_kernarg_preload_length 0
		.amdhsa_user_sgpr_kernarg_preload_offset 0
		.amdhsa_user_sgpr_private_segment_size 0
		.amdhsa_uses_dynamic_stack 0
		.amdhsa_enable_private_segment 0
		.amdhsa_system_sgpr_workgroup_id_x 1
		.amdhsa_system_sgpr_workgroup_id_y 0
		.amdhsa_system_sgpr_workgroup_id_z 0
		.amdhsa_system_sgpr_workgroup_info 0
		.amdhsa_system_vgpr_workitem_id 0
		.amdhsa_next_free_vgpr 1
		.amdhsa_next_free_sgpr 0
		.amdhsa_accum_offset 4
		.amdhsa_reserve_vcc 0
		.amdhsa_float_round_mode_32 0
		.amdhsa_float_round_mode_16_64 0
		.amdhsa_float_denorm_mode_32 3
		.amdhsa_float_denorm_mode_16_64 3
		.amdhsa_dx10_clamp 1
		.amdhsa_ieee_mode 1
		.amdhsa_fp16_overflow 0
		.amdhsa_tg_split 0
		.amdhsa_exception_fp_ieee_invalid_op 0
		.amdhsa_exception_fp_denorm_src 0
		.amdhsa_exception_fp_ieee_div_zero 0
		.amdhsa_exception_fp_ieee_overflow 0
		.amdhsa_exception_fp_ieee_underflow 0
		.amdhsa_exception_fp_ieee_inexact 0
		.amdhsa_exception_int_div_zero 0
	.end_amdhsa_kernel
	.section	.text._ZN7rocprim17ROCPRIM_400000_NS6detail17trampoline_kernelINS0_14default_configENS1_38merge_sort_block_merge_config_selectorIlNS0_10empty_typeEEEZZNS1_27merge_sort_block_merge_implIS3_PlPS5_mZN2at6native12_GLOBAL__N_124unique_dim_cuda_templateIfEESt5tupleIJNSA_6TensorESF_SF_EERKSF_lbbbEUlllE_EE10hipError_tT0_T1_T2_jT3_P12ihipStream_tbPNSt15iterator_traitsISL_E10value_typeEPNSR_ISM_E10value_typeEPSN_NS1_7vsmem_tEENKUlT_SL_SM_SN_E_clIS8_S8_S9_S9_EESK_S10_SL_SM_SN_EUlS10_E1_NS1_11comp_targetILNS1_3genE3ELNS1_11target_archE908ELNS1_3gpuE7ELNS1_3repE0EEENS1_36merge_oddeven_config_static_selectorELNS0_4arch9wavefront6targetE1EEEvSM_,"axG",@progbits,_ZN7rocprim17ROCPRIM_400000_NS6detail17trampoline_kernelINS0_14default_configENS1_38merge_sort_block_merge_config_selectorIlNS0_10empty_typeEEEZZNS1_27merge_sort_block_merge_implIS3_PlPS5_mZN2at6native12_GLOBAL__N_124unique_dim_cuda_templateIfEESt5tupleIJNSA_6TensorESF_SF_EERKSF_lbbbEUlllE_EE10hipError_tT0_T1_T2_jT3_P12ihipStream_tbPNSt15iterator_traitsISL_E10value_typeEPNSR_ISM_E10value_typeEPSN_NS1_7vsmem_tEENKUlT_SL_SM_SN_E_clIS8_S8_S9_S9_EESK_S10_SL_SM_SN_EUlS10_E1_NS1_11comp_targetILNS1_3genE3ELNS1_11target_archE908ELNS1_3gpuE7ELNS1_3repE0EEENS1_36merge_oddeven_config_static_selectorELNS0_4arch9wavefront6targetE1EEEvSM_,comdat
.Lfunc_end907:
	.size	_ZN7rocprim17ROCPRIM_400000_NS6detail17trampoline_kernelINS0_14default_configENS1_38merge_sort_block_merge_config_selectorIlNS0_10empty_typeEEEZZNS1_27merge_sort_block_merge_implIS3_PlPS5_mZN2at6native12_GLOBAL__N_124unique_dim_cuda_templateIfEESt5tupleIJNSA_6TensorESF_SF_EERKSF_lbbbEUlllE_EE10hipError_tT0_T1_T2_jT3_P12ihipStream_tbPNSt15iterator_traitsISL_E10value_typeEPNSR_ISM_E10value_typeEPSN_NS1_7vsmem_tEENKUlT_SL_SM_SN_E_clIS8_S8_S9_S9_EESK_S10_SL_SM_SN_EUlS10_E1_NS1_11comp_targetILNS1_3genE3ELNS1_11target_archE908ELNS1_3gpuE7ELNS1_3repE0EEENS1_36merge_oddeven_config_static_selectorELNS0_4arch9wavefront6targetE1EEEvSM_, .Lfunc_end907-_ZN7rocprim17ROCPRIM_400000_NS6detail17trampoline_kernelINS0_14default_configENS1_38merge_sort_block_merge_config_selectorIlNS0_10empty_typeEEEZZNS1_27merge_sort_block_merge_implIS3_PlPS5_mZN2at6native12_GLOBAL__N_124unique_dim_cuda_templateIfEESt5tupleIJNSA_6TensorESF_SF_EERKSF_lbbbEUlllE_EE10hipError_tT0_T1_T2_jT3_P12ihipStream_tbPNSt15iterator_traitsISL_E10value_typeEPNSR_ISM_E10value_typeEPSN_NS1_7vsmem_tEENKUlT_SL_SM_SN_E_clIS8_S8_S9_S9_EESK_S10_SL_SM_SN_EUlS10_E1_NS1_11comp_targetILNS1_3genE3ELNS1_11target_archE908ELNS1_3gpuE7ELNS1_3repE0EEENS1_36merge_oddeven_config_static_selectorELNS0_4arch9wavefront6targetE1EEEvSM_
                                        ; -- End function
	.section	.AMDGPU.csdata,"",@progbits
; Kernel info:
; codeLenInByte = 0
; NumSgprs: 6
; NumVgprs: 0
; NumAgprs: 0
; TotalNumVgprs: 0
; ScratchSize: 0
; MemoryBound: 0
; FloatMode: 240
; IeeeMode: 1
; LDSByteSize: 0 bytes/workgroup (compile time only)
; SGPRBlocks: 0
; VGPRBlocks: 0
; NumSGPRsForWavesPerEU: 6
; NumVGPRsForWavesPerEU: 1
; AccumOffset: 4
; Occupancy: 8
; WaveLimiterHint : 0
; COMPUTE_PGM_RSRC2:SCRATCH_EN: 0
; COMPUTE_PGM_RSRC2:USER_SGPR: 2
; COMPUTE_PGM_RSRC2:TRAP_HANDLER: 0
; COMPUTE_PGM_RSRC2:TGID_X_EN: 1
; COMPUTE_PGM_RSRC2:TGID_Y_EN: 0
; COMPUTE_PGM_RSRC2:TGID_Z_EN: 0
; COMPUTE_PGM_RSRC2:TIDIG_COMP_CNT: 0
; COMPUTE_PGM_RSRC3_GFX90A:ACCUM_OFFSET: 0
; COMPUTE_PGM_RSRC3_GFX90A:TG_SPLIT: 0
	.section	.text._ZN7rocprim17ROCPRIM_400000_NS6detail17trampoline_kernelINS0_14default_configENS1_38merge_sort_block_merge_config_selectorIlNS0_10empty_typeEEEZZNS1_27merge_sort_block_merge_implIS3_PlPS5_mZN2at6native12_GLOBAL__N_124unique_dim_cuda_templateIfEESt5tupleIJNSA_6TensorESF_SF_EERKSF_lbbbEUlllE_EE10hipError_tT0_T1_T2_jT3_P12ihipStream_tbPNSt15iterator_traitsISL_E10value_typeEPNSR_ISM_E10value_typeEPSN_NS1_7vsmem_tEENKUlT_SL_SM_SN_E_clIS8_S8_S9_S9_EESK_S10_SL_SM_SN_EUlS10_E1_NS1_11comp_targetILNS1_3genE2ELNS1_11target_archE906ELNS1_3gpuE6ELNS1_3repE0EEENS1_36merge_oddeven_config_static_selectorELNS0_4arch9wavefront6targetE1EEEvSM_,"axG",@progbits,_ZN7rocprim17ROCPRIM_400000_NS6detail17trampoline_kernelINS0_14default_configENS1_38merge_sort_block_merge_config_selectorIlNS0_10empty_typeEEEZZNS1_27merge_sort_block_merge_implIS3_PlPS5_mZN2at6native12_GLOBAL__N_124unique_dim_cuda_templateIfEESt5tupleIJNSA_6TensorESF_SF_EERKSF_lbbbEUlllE_EE10hipError_tT0_T1_T2_jT3_P12ihipStream_tbPNSt15iterator_traitsISL_E10value_typeEPNSR_ISM_E10value_typeEPSN_NS1_7vsmem_tEENKUlT_SL_SM_SN_E_clIS8_S8_S9_S9_EESK_S10_SL_SM_SN_EUlS10_E1_NS1_11comp_targetILNS1_3genE2ELNS1_11target_archE906ELNS1_3gpuE6ELNS1_3repE0EEENS1_36merge_oddeven_config_static_selectorELNS0_4arch9wavefront6targetE1EEEvSM_,comdat
	.globl	_ZN7rocprim17ROCPRIM_400000_NS6detail17trampoline_kernelINS0_14default_configENS1_38merge_sort_block_merge_config_selectorIlNS0_10empty_typeEEEZZNS1_27merge_sort_block_merge_implIS3_PlPS5_mZN2at6native12_GLOBAL__N_124unique_dim_cuda_templateIfEESt5tupleIJNSA_6TensorESF_SF_EERKSF_lbbbEUlllE_EE10hipError_tT0_T1_T2_jT3_P12ihipStream_tbPNSt15iterator_traitsISL_E10value_typeEPNSR_ISM_E10value_typeEPSN_NS1_7vsmem_tEENKUlT_SL_SM_SN_E_clIS8_S8_S9_S9_EESK_S10_SL_SM_SN_EUlS10_E1_NS1_11comp_targetILNS1_3genE2ELNS1_11target_archE906ELNS1_3gpuE6ELNS1_3repE0EEENS1_36merge_oddeven_config_static_selectorELNS0_4arch9wavefront6targetE1EEEvSM_ ; -- Begin function _ZN7rocprim17ROCPRIM_400000_NS6detail17trampoline_kernelINS0_14default_configENS1_38merge_sort_block_merge_config_selectorIlNS0_10empty_typeEEEZZNS1_27merge_sort_block_merge_implIS3_PlPS5_mZN2at6native12_GLOBAL__N_124unique_dim_cuda_templateIfEESt5tupleIJNSA_6TensorESF_SF_EERKSF_lbbbEUlllE_EE10hipError_tT0_T1_T2_jT3_P12ihipStream_tbPNSt15iterator_traitsISL_E10value_typeEPNSR_ISM_E10value_typeEPSN_NS1_7vsmem_tEENKUlT_SL_SM_SN_E_clIS8_S8_S9_S9_EESK_S10_SL_SM_SN_EUlS10_E1_NS1_11comp_targetILNS1_3genE2ELNS1_11target_archE906ELNS1_3gpuE6ELNS1_3repE0EEENS1_36merge_oddeven_config_static_selectorELNS0_4arch9wavefront6targetE1EEEvSM_
	.p2align	8
	.type	_ZN7rocprim17ROCPRIM_400000_NS6detail17trampoline_kernelINS0_14default_configENS1_38merge_sort_block_merge_config_selectorIlNS0_10empty_typeEEEZZNS1_27merge_sort_block_merge_implIS3_PlPS5_mZN2at6native12_GLOBAL__N_124unique_dim_cuda_templateIfEESt5tupleIJNSA_6TensorESF_SF_EERKSF_lbbbEUlllE_EE10hipError_tT0_T1_T2_jT3_P12ihipStream_tbPNSt15iterator_traitsISL_E10value_typeEPNSR_ISM_E10value_typeEPSN_NS1_7vsmem_tEENKUlT_SL_SM_SN_E_clIS8_S8_S9_S9_EESK_S10_SL_SM_SN_EUlS10_E1_NS1_11comp_targetILNS1_3genE2ELNS1_11target_archE906ELNS1_3gpuE6ELNS1_3repE0EEENS1_36merge_oddeven_config_static_selectorELNS0_4arch9wavefront6targetE1EEEvSM_,@function
_ZN7rocprim17ROCPRIM_400000_NS6detail17trampoline_kernelINS0_14default_configENS1_38merge_sort_block_merge_config_selectorIlNS0_10empty_typeEEEZZNS1_27merge_sort_block_merge_implIS3_PlPS5_mZN2at6native12_GLOBAL__N_124unique_dim_cuda_templateIfEESt5tupleIJNSA_6TensorESF_SF_EERKSF_lbbbEUlllE_EE10hipError_tT0_T1_T2_jT3_P12ihipStream_tbPNSt15iterator_traitsISL_E10value_typeEPNSR_ISM_E10value_typeEPSN_NS1_7vsmem_tEENKUlT_SL_SM_SN_E_clIS8_S8_S9_S9_EESK_S10_SL_SM_SN_EUlS10_E1_NS1_11comp_targetILNS1_3genE2ELNS1_11target_archE906ELNS1_3gpuE6ELNS1_3repE0EEENS1_36merge_oddeven_config_static_selectorELNS0_4arch9wavefront6targetE1EEEvSM_: ; @_ZN7rocprim17ROCPRIM_400000_NS6detail17trampoline_kernelINS0_14default_configENS1_38merge_sort_block_merge_config_selectorIlNS0_10empty_typeEEEZZNS1_27merge_sort_block_merge_implIS3_PlPS5_mZN2at6native12_GLOBAL__N_124unique_dim_cuda_templateIfEESt5tupleIJNSA_6TensorESF_SF_EERKSF_lbbbEUlllE_EE10hipError_tT0_T1_T2_jT3_P12ihipStream_tbPNSt15iterator_traitsISL_E10value_typeEPNSR_ISM_E10value_typeEPSN_NS1_7vsmem_tEENKUlT_SL_SM_SN_E_clIS8_S8_S9_S9_EESK_S10_SL_SM_SN_EUlS10_E1_NS1_11comp_targetILNS1_3genE2ELNS1_11target_archE906ELNS1_3gpuE6ELNS1_3repE0EEENS1_36merge_oddeven_config_static_selectorELNS0_4arch9wavefront6targetE1EEEvSM_
; %bb.0:
	.section	.rodata,"a",@progbits
	.p2align	6, 0x0
	.amdhsa_kernel _ZN7rocprim17ROCPRIM_400000_NS6detail17trampoline_kernelINS0_14default_configENS1_38merge_sort_block_merge_config_selectorIlNS0_10empty_typeEEEZZNS1_27merge_sort_block_merge_implIS3_PlPS5_mZN2at6native12_GLOBAL__N_124unique_dim_cuda_templateIfEESt5tupleIJNSA_6TensorESF_SF_EERKSF_lbbbEUlllE_EE10hipError_tT0_T1_T2_jT3_P12ihipStream_tbPNSt15iterator_traitsISL_E10value_typeEPNSR_ISM_E10value_typeEPSN_NS1_7vsmem_tEENKUlT_SL_SM_SN_E_clIS8_S8_S9_S9_EESK_S10_SL_SM_SN_EUlS10_E1_NS1_11comp_targetILNS1_3genE2ELNS1_11target_archE906ELNS1_3gpuE6ELNS1_3repE0EEENS1_36merge_oddeven_config_static_selectorELNS0_4arch9wavefront6targetE1EEEvSM_
		.amdhsa_group_segment_fixed_size 0
		.amdhsa_private_segment_fixed_size 0
		.amdhsa_kernarg_size 64
		.amdhsa_user_sgpr_count 2
		.amdhsa_user_sgpr_dispatch_ptr 0
		.amdhsa_user_sgpr_queue_ptr 0
		.amdhsa_user_sgpr_kernarg_segment_ptr 1
		.amdhsa_user_sgpr_dispatch_id 0
		.amdhsa_user_sgpr_kernarg_preload_length 0
		.amdhsa_user_sgpr_kernarg_preload_offset 0
		.amdhsa_user_sgpr_private_segment_size 0
		.amdhsa_uses_dynamic_stack 0
		.amdhsa_enable_private_segment 0
		.amdhsa_system_sgpr_workgroup_id_x 1
		.amdhsa_system_sgpr_workgroup_id_y 0
		.amdhsa_system_sgpr_workgroup_id_z 0
		.amdhsa_system_sgpr_workgroup_info 0
		.amdhsa_system_vgpr_workitem_id 0
		.amdhsa_next_free_vgpr 1
		.amdhsa_next_free_sgpr 0
		.amdhsa_accum_offset 4
		.amdhsa_reserve_vcc 0
		.amdhsa_float_round_mode_32 0
		.amdhsa_float_round_mode_16_64 0
		.amdhsa_float_denorm_mode_32 3
		.amdhsa_float_denorm_mode_16_64 3
		.amdhsa_dx10_clamp 1
		.amdhsa_ieee_mode 1
		.amdhsa_fp16_overflow 0
		.amdhsa_tg_split 0
		.amdhsa_exception_fp_ieee_invalid_op 0
		.amdhsa_exception_fp_denorm_src 0
		.amdhsa_exception_fp_ieee_div_zero 0
		.amdhsa_exception_fp_ieee_overflow 0
		.amdhsa_exception_fp_ieee_underflow 0
		.amdhsa_exception_fp_ieee_inexact 0
		.amdhsa_exception_int_div_zero 0
	.end_amdhsa_kernel
	.section	.text._ZN7rocprim17ROCPRIM_400000_NS6detail17trampoline_kernelINS0_14default_configENS1_38merge_sort_block_merge_config_selectorIlNS0_10empty_typeEEEZZNS1_27merge_sort_block_merge_implIS3_PlPS5_mZN2at6native12_GLOBAL__N_124unique_dim_cuda_templateIfEESt5tupleIJNSA_6TensorESF_SF_EERKSF_lbbbEUlllE_EE10hipError_tT0_T1_T2_jT3_P12ihipStream_tbPNSt15iterator_traitsISL_E10value_typeEPNSR_ISM_E10value_typeEPSN_NS1_7vsmem_tEENKUlT_SL_SM_SN_E_clIS8_S8_S9_S9_EESK_S10_SL_SM_SN_EUlS10_E1_NS1_11comp_targetILNS1_3genE2ELNS1_11target_archE906ELNS1_3gpuE6ELNS1_3repE0EEENS1_36merge_oddeven_config_static_selectorELNS0_4arch9wavefront6targetE1EEEvSM_,"axG",@progbits,_ZN7rocprim17ROCPRIM_400000_NS6detail17trampoline_kernelINS0_14default_configENS1_38merge_sort_block_merge_config_selectorIlNS0_10empty_typeEEEZZNS1_27merge_sort_block_merge_implIS3_PlPS5_mZN2at6native12_GLOBAL__N_124unique_dim_cuda_templateIfEESt5tupleIJNSA_6TensorESF_SF_EERKSF_lbbbEUlllE_EE10hipError_tT0_T1_T2_jT3_P12ihipStream_tbPNSt15iterator_traitsISL_E10value_typeEPNSR_ISM_E10value_typeEPSN_NS1_7vsmem_tEENKUlT_SL_SM_SN_E_clIS8_S8_S9_S9_EESK_S10_SL_SM_SN_EUlS10_E1_NS1_11comp_targetILNS1_3genE2ELNS1_11target_archE906ELNS1_3gpuE6ELNS1_3repE0EEENS1_36merge_oddeven_config_static_selectorELNS0_4arch9wavefront6targetE1EEEvSM_,comdat
.Lfunc_end908:
	.size	_ZN7rocprim17ROCPRIM_400000_NS6detail17trampoline_kernelINS0_14default_configENS1_38merge_sort_block_merge_config_selectorIlNS0_10empty_typeEEEZZNS1_27merge_sort_block_merge_implIS3_PlPS5_mZN2at6native12_GLOBAL__N_124unique_dim_cuda_templateIfEESt5tupleIJNSA_6TensorESF_SF_EERKSF_lbbbEUlllE_EE10hipError_tT0_T1_T2_jT3_P12ihipStream_tbPNSt15iterator_traitsISL_E10value_typeEPNSR_ISM_E10value_typeEPSN_NS1_7vsmem_tEENKUlT_SL_SM_SN_E_clIS8_S8_S9_S9_EESK_S10_SL_SM_SN_EUlS10_E1_NS1_11comp_targetILNS1_3genE2ELNS1_11target_archE906ELNS1_3gpuE6ELNS1_3repE0EEENS1_36merge_oddeven_config_static_selectorELNS0_4arch9wavefront6targetE1EEEvSM_, .Lfunc_end908-_ZN7rocprim17ROCPRIM_400000_NS6detail17trampoline_kernelINS0_14default_configENS1_38merge_sort_block_merge_config_selectorIlNS0_10empty_typeEEEZZNS1_27merge_sort_block_merge_implIS3_PlPS5_mZN2at6native12_GLOBAL__N_124unique_dim_cuda_templateIfEESt5tupleIJNSA_6TensorESF_SF_EERKSF_lbbbEUlllE_EE10hipError_tT0_T1_T2_jT3_P12ihipStream_tbPNSt15iterator_traitsISL_E10value_typeEPNSR_ISM_E10value_typeEPSN_NS1_7vsmem_tEENKUlT_SL_SM_SN_E_clIS8_S8_S9_S9_EESK_S10_SL_SM_SN_EUlS10_E1_NS1_11comp_targetILNS1_3genE2ELNS1_11target_archE906ELNS1_3gpuE6ELNS1_3repE0EEENS1_36merge_oddeven_config_static_selectorELNS0_4arch9wavefront6targetE1EEEvSM_
                                        ; -- End function
	.section	.AMDGPU.csdata,"",@progbits
; Kernel info:
; codeLenInByte = 0
; NumSgprs: 6
; NumVgprs: 0
; NumAgprs: 0
; TotalNumVgprs: 0
; ScratchSize: 0
; MemoryBound: 0
; FloatMode: 240
; IeeeMode: 1
; LDSByteSize: 0 bytes/workgroup (compile time only)
; SGPRBlocks: 0
; VGPRBlocks: 0
; NumSGPRsForWavesPerEU: 6
; NumVGPRsForWavesPerEU: 1
; AccumOffset: 4
; Occupancy: 8
; WaveLimiterHint : 0
; COMPUTE_PGM_RSRC2:SCRATCH_EN: 0
; COMPUTE_PGM_RSRC2:USER_SGPR: 2
; COMPUTE_PGM_RSRC2:TRAP_HANDLER: 0
; COMPUTE_PGM_RSRC2:TGID_X_EN: 1
; COMPUTE_PGM_RSRC2:TGID_Y_EN: 0
; COMPUTE_PGM_RSRC2:TGID_Z_EN: 0
; COMPUTE_PGM_RSRC2:TIDIG_COMP_CNT: 0
; COMPUTE_PGM_RSRC3_GFX90A:ACCUM_OFFSET: 0
; COMPUTE_PGM_RSRC3_GFX90A:TG_SPLIT: 0
	.section	.text._ZN7rocprim17ROCPRIM_400000_NS6detail17trampoline_kernelINS0_14default_configENS1_38merge_sort_block_merge_config_selectorIlNS0_10empty_typeEEEZZNS1_27merge_sort_block_merge_implIS3_PlPS5_mZN2at6native12_GLOBAL__N_124unique_dim_cuda_templateIfEESt5tupleIJNSA_6TensorESF_SF_EERKSF_lbbbEUlllE_EE10hipError_tT0_T1_T2_jT3_P12ihipStream_tbPNSt15iterator_traitsISL_E10value_typeEPNSR_ISM_E10value_typeEPSN_NS1_7vsmem_tEENKUlT_SL_SM_SN_E_clIS8_S8_S9_S9_EESK_S10_SL_SM_SN_EUlS10_E1_NS1_11comp_targetILNS1_3genE9ELNS1_11target_archE1100ELNS1_3gpuE3ELNS1_3repE0EEENS1_36merge_oddeven_config_static_selectorELNS0_4arch9wavefront6targetE1EEEvSM_,"axG",@progbits,_ZN7rocprim17ROCPRIM_400000_NS6detail17trampoline_kernelINS0_14default_configENS1_38merge_sort_block_merge_config_selectorIlNS0_10empty_typeEEEZZNS1_27merge_sort_block_merge_implIS3_PlPS5_mZN2at6native12_GLOBAL__N_124unique_dim_cuda_templateIfEESt5tupleIJNSA_6TensorESF_SF_EERKSF_lbbbEUlllE_EE10hipError_tT0_T1_T2_jT3_P12ihipStream_tbPNSt15iterator_traitsISL_E10value_typeEPNSR_ISM_E10value_typeEPSN_NS1_7vsmem_tEENKUlT_SL_SM_SN_E_clIS8_S8_S9_S9_EESK_S10_SL_SM_SN_EUlS10_E1_NS1_11comp_targetILNS1_3genE9ELNS1_11target_archE1100ELNS1_3gpuE3ELNS1_3repE0EEENS1_36merge_oddeven_config_static_selectorELNS0_4arch9wavefront6targetE1EEEvSM_,comdat
	.globl	_ZN7rocprim17ROCPRIM_400000_NS6detail17trampoline_kernelINS0_14default_configENS1_38merge_sort_block_merge_config_selectorIlNS0_10empty_typeEEEZZNS1_27merge_sort_block_merge_implIS3_PlPS5_mZN2at6native12_GLOBAL__N_124unique_dim_cuda_templateIfEESt5tupleIJNSA_6TensorESF_SF_EERKSF_lbbbEUlllE_EE10hipError_tT0_T1_T2_jT3_P12ihipStream_tbPNSt15iterator_traitsISL_E10value_typeEPNSR_ISM_E10value_typeEPSN_NS1_7vsmem_tEENKUlT_SL_SM_SN_E_clIS8_S8_S9_S9_EESK_S10_SL_SM_SN_EUlS10_E1_NS1_11comp_targetILNS1_3genE9ELNS1_11target_archE1100ELNS1_3gpuE3ELNS1_3repE0EEENS1_36merge_oddeven_config_static_selectorELNS0_4arch9wavefront6targetE1EEEvSM_ ; -- Begin function _ZN7rocprim17ROCPRIM_400000_NS6detail17trampoline_kernelINS0_14default_configENS1_38merge_sort_block_merge_config_selectorIlNS0_10empty_typeEEEZZNS1_27merge_sort_block_merge_implIS3_PlPS5_mZN2at6native12_GLOBAL__N_124unique_dim_cuda_templateIfEESt5tupleIJNSA_6TensorESF_SF_EERKSF_lbbbEUlllE_EE10hipError_tT0_T1_T2_jT3_P12ihipStream_tbPNSt15iterator_traitsISL_E10value_typeEPNSR_ISM_E10value_typeEPSN_NS1_7vsmem_tEENKUlT_SL_SM_SN_E_clIS8_S8_S9_S9_EESK_S10_SL_SM_SN_EUlS10_E1_NS1_11comp_targetILNS1_3genE9ELNS1_11target_archE1100ELNS1_3gpuE3ELNS1_3repE0EEENS1_36merge_oddeven_config_static_selectorELNS0_4arch9wavefront6targetE1EEEvSM_
	.p2align	8
	.type	_ZN7rocprim17ROCPRIM_400000_NS6detail17trampoline_kernelINS0_14default_configENS1_38merge_sort_block_merge_config_selectorIlNS0_10empty_typeEEEZZNS1_27merge_sort_block_merge_implIS3_PlPS5_mZN2at6native12_GLOBAL__N_124unique_dim_cuda_templateIfEESt5tupleIJNSA_6TensorESF_SF_EERKSF_lbbbEUlllE_EE10hipError_tT0_T1_T2_jT3_P12ihipStream_tbPNSt15iterator_traitsISL_E10value_typeEPNSR_ISM_E10value_typeEPSN_NS1_7vsmem_tEENKUlT_SL_SM_SN_E_clIS8_S8_S9_S9_EESK_S10_SL_SM_SN_EUlS10_E1_NS1_11comp_targetILNS1_3genE9ELNS1_11target_archE1100ELNS1_3gpuE3ELNS1_3repE0EEENS1_36merge_oddeven_config_static_selectorELNS0_4arch9wavefront6targetE1EEEvSM_,@function
_ZN7rocprim17ROCPRIM_400000_NS6detail17trampoline_kernelINS0_14default_configENS1_38merge_sort_block_merge_config_selectorIlNS0_10empty_typeEEEZZNS1_27merge_sort_block_merge_implIS3_PlPS5_mZN2at6native12_GLOBAL__N_124unique_dim_cuda_templateIfEESt5tupleIJNSA_6TensorESF_SF_EERKSF_lbbbEUlllE_EE10hipError_tT0_T1_T2_jT3_P12ihipStream_tbPNSt15iterator_traitsISL_E10value_typeEPNSR_ISM_E10value_typeEPSN_NS1_7vsmem_tEENKUlT_SL_SM_SN_E_clIS8_S8_S9_S9_EESK_S10_SL_SM_SN_EUlS10_E1_NS1_11comp_targetILNS1_3genE9ELNS1_11target_archE1100ELNS1_3gpuE3ELNS1_3repE0EEENS1_36merge_oddeven_config_static_selectorELNS0_4arch9wavefront6targetE1EEEvSM_: ; @_ZN7rocprim17ROCPRIM_400000_NS6detail17trampoline_kernelINS0_14default_configENS1_38merge_sort_block_merge_config_selectorIlNS0_10empty_typeEEEZZNS1_27merge_sort_block_merge_implIS3_PlPS5_mZN2at6native12_GLOBAL__N_124unique_dim_cuda_templateIfEESt5tupleIJNSA_6TensorESF_SF_EERKSF_lbbbEUlllE_EE10hipError_tT0_T1_T2_jT3_P12ihipStream_tbPNSt15iterator_traitsISL_E10value_typeEPNSR_ISM_E10value_typeEPSN_NS1_7vsmem_tEENKUlT_SL_SM_SN_E_clIS8_S8_S9_S9_EESK_S10_SL_SM_SN_EUlS10_E1_NS1_11comp_targetILNS1_3genE9ELNS1_11target_archE1100ELNS1_3gpuE3ELNS1_3repE0EEENS1_36merge_oddeven_config_static_selectorELNS0_4arch9wavefront6targetE1EEEvSM_
; %bb.0:
	.section	.rodata,"a",@progbits
	.p2align	6, 0x0
	.amdhsa_kernel _ZN7rocprim17ROCPRIM_400000_NS6detail17trampoline_kernelINS0_14default_configENS1_38merge_sort_block_merge_config_selectorIlNS0_10empty_typeEEEZZNS1_27merge_sort_block_merge_implIS3_PlPS5_mZN2at6native12_GLOBAL__N_124unique_dim_cuda_templateIfEESt5tupleIJNSA_6TensorESF_SF_EERKSF_lbbbEUlllE_EE10hipError_tT0_T1_T2_jT3_P12ihipStream_tbPNSt15iterator_traitsISL_E10value_typeEPNSR_ISM_E10value_typeEPSN_NS1_7vsmem_tEENKUlT_SL_SM_SN_E_clIS8_S8_S9_S9_EESK_S10_SL_SM_SN_EUlS10_E1_NS1_11comp_targetILNS1_3genE9ELNS1_11target_archE1100ELNS1_3gpuE3ELNS1_3repE0EEENS1_36merge_oddeven_config_static_selectorELNS0_4arch9wavefront6targetE1EEEvSM_
		.amdhsa_group_segment_fixed_size 0
		.amdhsa_private_segment_fixed_size 0
		.amdhsa_kernarg_size 64
		.amdhsa_user_sgpr_count 2
		.amdhsa_user_sgpr_dispatch_ptr 0
		.amdhsa_user_sgpr_queue_ptr 0
		.amdhsa_user_sgpr_kernarg_segment_ptr 1
		.amdhsa_user_sgpr_dispatch_id 0
		.amdhsa_user_sgpr_kernarg_preload_length 0
		.amdhsa_user_sgpr_kernarg_preload_offset 0
		.amdhsa_user_sgpr_private_segment_size 0
		.amdhsa_uses_dynamic_stack 0
		.amdhsa_enable_private_segment 0
		.amdhsa_system_sgpr_workgroup_id_x 1
		.amdhsa_system_sgpr_workgroup_id_y 0
		.amdhsa_system_sgpr_workgroup_id_z 0
		.amdhsa_system_sgpr_workgroup_info 0
		.amdhsa_system_vgpr_workitem_id 0
		.amdhsa_next_free_vgpr 1
		.amdhsa_next_free_sgpr 0
		.amdhsa_accum_offset 4
		.amdhsa_reserve_vcc 0
		.amdhsa_float_round_mode_32 0
		.amdhsa_float_round_mode_16_64 0
		.amdhsa_float_denorm_mode_32 3
		.amdhsa_float_denorm_mode_16_64 3
		.amdhsa_dx10_clamp 1
		.amdhsa_ieee_mode 1
		.amdhsa_fp16_overflow 0
		.amdhsa_tg_split 0
		.amdhsa_exception_fp_ieee_invalid_op 0
		.amdhsa_exception_fp_denorm_src 0
		.amdhsa_exception_fp_ieee_div_zero 0
		.amdhsa_exception_fp_ieee_overflow 0
		.amdhsa_exception_fp_ieee_underflow 0
		.amdhsa_exception_fp_ieee_inexact 0
		.amdhsa_exception_int_div_zero 0
	.end_amdhsa_kernel
	.section	.text._ZN7rocprim17ROCPRIM_400000_NS6detail17trampoline_kernelINS0_14default_configENS1_38merge_sort_block_merge_config_selectorIlNS0_10empty_typeEEEZZNS1_27merge_sort_block_merge_implIS3_PlPS5_mZN2at6native12_GLOBAL__N_124unique_dim_cuda_templateIfEESt5tupleIJNSA_6TensorESF_SF_EERKSF_lbbbEUlllE_EE10hipError_tT0_T1_T2_jT3_P12ihipStream_tbPNSt15iterator_traitsISL_E10value_typeEPNSR_ISM_E10value_typeEPSN_NS1_7vsmem_tEENKUlT_SL_SM_SN_E_clIS8_S8_S9_S9_EESK_S10_SL_SM_SN_EUlS10_E1_NS1_11comp_targetILNS1_3genE9ELNS1_11target_archE1100ELNS1_3gpuE3ELNS1_3repE0EEENS1_36merge_oddeven_config_static_selectorELNS0_4arch9wavefront6targetE1EEEvSM_,"axG",@progbits,_ZN7rocprim17ROCPRIM_400000_NS6detail17trampoline_kernelINS0_14default_configENS1_38merge_sort_block_merge_config_selectorIlNS0_10empty_typeEEEZZNS1_27merge_sort_block_merge_implIS3_PlPS5_mZN2at6native12_GLOBAL__N_124unique_dim_cuda_templateIfEESt5tupleIJNSA_6TensorESF_SF_EERKSF_lbbbEUlllE_EE10hipError_tT0_T1_T2_jT3_P12ihipStream_tbPNSt15iterator_traitsISL_E10value_typeEPNSR_ISM_E10value_typeEPSN_NS1_7vsmem_tEENKUlT_SL_SM_SN_E_clIS8_S8_S9_S9_EESK_S10_SL_SM_SN_EUlS10_E1_NS1_11comp_targetILNS1_3genE9ELNS1_11target_archE1100ELNS1_3gpuE3ELNS1_3repE0EEENS1_36merge_oddeven_config_static_selectorELNS0_4arch9wavefront6targetE1EEEvSM_,comdat
.Lfunc_end909:
	.size	_ZN7rocprim17ROCPRIM_400000_NS6detail17trampoline_kernelINS0_14default_configENS1_38merge_sort_block_merge_config_selectorIlNS0_10empty_typeEEEZZNS1_27merge_sort_block_merge_implIS3_PlPS5_mZN2at6native12_GLOBAL__N_124unique_dim_cuda_templateIfEESt5tupleIJNSA_6TensorESF_SF_EERKSF_lbbbEUlllE_EE10hipError_tT0_T1_T2_jT3_P12ihipStream_tbPNSt15iterator_traitsISL_E10value_typeEPNSR_ISM_E10value_typeEPSN_NS1_7vsmem_tEENKUlT_SL_SM_SN_E_clIS8_S8_S9_S9_EESK_S10_SL_SM_SN_EUlS10_E1_NS1_11comp_targetILNS1_3genE9ELNS1_11target_archE1100ELNS1_3gpuE3ELNS1_3repE0EEENS1_36merge_oddeven_config_static_selectorELNS0_4arch9wavefront6targetE1EEEvSM_, .Lfunc_end909-_ZN7rocprim17ROCPRIM_400000_NS6detail17trampoline_kernelINS0_14default_configENS1_38merge_sort_block_merge_config_selectorIlNS0_10empty_typeEEEZZNS1_27merge_sort_block_merge_implIS3_PlPS5_mZN2at6native12_GLOBAL__N_124unique_dim_cuda_templateIfEESt5tupleIJNSA_6TensorESF_SF_EERKSF_lbbbEUlllE_EE10hipError_tT0_T1_T2_jT3_P12ihipStream_tbPNSt15iterator_traitsISL_E10value_typeEPNSR_ISM_E10value_typeEPSN_NS1_7vsmem_tEENKUlT_SL_SM_SN_E_clIS8_S8_S9_S9_EESK_S10_SL_SM_SN_EUlS10_E1_NS1_11comp_targetILNS1_3genE9ELNS1_11target_archE1100ELNS1_3gpuE3ELNS1_3repE0EEENS1_36merge_oddeven_config_static_selectorELNS0_4arch9wavefront6targetE1EEEvSM_
                                        ; -- End function
	.section	.AMDGPU.csdata,"",@progbits
; Kernel info:
; codeLenInByte = 0
; NumSgprs: 6
; NumVgprs: 0
; NumAgprs: 0
; TotalNumVgprs: 0
; ScratchSize: 0
; MemoryBound: 0
; FloatMode: 240
; IeeeMode: 1
; LDSByteSize: 0 bytes/workgroup (compile time only)
; SGPRBlocks: 0
; VGPRBlocks: 0
; NumSGPRsForWavesPerEU: 6
; NumVGPRsForWavesPerEU: 1
; AccumOffset: 4
; Occupancy: 8
; WaveLimiterHint : 0
; COMPUTE_PGM_RSRC2:SCRATCH_EN: 0
; COMPUTE_PGM_RSRC2:USER_SGPR: 2
; COMPUTE_PGM_RSRC2:TRAP_HANDLER: 0
; COMPUTE_PGM_RSRC2:TGID_X_EN: 1
; COMPUTE_PGM_RSRC2:TGID_Y_EN: 0
; COMPUTE_PGM_RSRC2:TGID_Z_EN: 0
; COMPUTE_PGM_RSRC2:TIDIG_COMP_CNT: 0
; COMPUTE_PGM_RSRC3_GFX90A:ACCUM_OFFSET: 0
; COMPUTE_PGM_RSRC3_GFX90A:TG_SPLIT: 0
	.section	.text._ZN7rocprim17ROCPRIM_400000_NS6detail17trampoline_kernelINS0_14default_configENS1_38merge_sort_block_merge_config_selectorIlNS0_10empty_typeEEEZZNS1_27merge_sort_block_merge_implIS3_PlPS5_mZN2at6native12_GLOBAL__N_124unique_dim_cuda_templateIfEESt5tupleIJNSA_6TensorESF_SF_EERKSF_lbbbEUlllE_EE10hipError_tT0_T1_T2_jT3_P12ihipStream_tbPNSt15iterator_traitsISL_E10value_typeEPNSR_ISM_E10value_typeEPSN_NS1_7vsmem_tEENKUlT_SL_SM_SN_E_clIS8_S8_S9_S9_EESK_S10_SL_SM_SN_EUlS10_E1_NS1_11comp_targetILNS1_3genE8ELNS1_11target_archE1030ELNS1_3gpuE2ELNS1_3repE0EEENS1_36merge_oddeven_config_static_selectorELNS0_4arch9wavefront6targetE1EEEvSM_,"axG",@progbits,_ZN7rocprim17ROCPRIM_400000_NS6detail17trampoline_kernelINS0_14default_configENS1_38merge_sort_block_merge_config_selectorIlNS0_10empty_typeEEEZZNS1_27merge_sort_block_merge_implIS3_PlPS5_mZN2at6native12_GLOBAL__N_124unique_dim_cuda_templateIfEESt5tupleIJNSA_6TensorESF_SF_EERKSF_lbbbEUlllE_EE10hipError_tT0_T1_T2_jT3_P12ihipStream_tbPNSt15iterator_traitsISL_E10value_typeEPNSR_ISM_E10value_typeEPSN_NS1_7vsmem_tEENKUlT_SL_SM_SN_E_clIS8_S8_S9_S9_EESK_S10_SL_SM_SN_EUlS10_E1_NS1_11comp_targetILNS1_3genE8ELNS1_11target_archE1030ELNS1_3gpuE2ELNS1_3repE0EEENS1_36merge_oddeven_config_static_selectorELNS0_4arch9wavefront6targetE1EEEvSM_,comdat
	.globl	_ZN7rocprim17ROCPRIM_400000_NS6detail17trampoline_kernelINS0_14default_configENS1_38merge_sort_block_merge_config_selectorIlNS0_10empty_typeEEEZZNS1_27merge_sort_block_merge_implIS3_PlPS5_mZN2at6native12_GLOBAL__N_124unique_dim_cuda_templateIfEESt5tupleIJNSA_6TensorESF_SF_EERKSF_lbbbEUlllE_EE10hipError_tT0_T1_T2_jT3_P12ihipStream_tbPNSt15iterator_traitsISL_E10value_typeEPNSR_ISM_E10value_typeEPSN_NS1_7vsmem_tEENKUlT_SL_SM_SN_E_clIS8_S8_S9_S9_EESK_S10_SL_SM_SN_EUlS10_E1_NS1_11comp_targetILNS1_3genE8ELNS1_11target_archE1030ELNS1_3gpuE2ELNS1_3repE0EEENS1_36merge_oddeven_config_static_selectorELNS0_4arch9wavefront6targetE1EEEvSM_ ; -- Begin function _ZN7rocprim17ROCPRIM_400000_NS6detail17trampoline_kernelINS0_14default_configENS1_38merge_sort_block_merge_config_selectorIlNS0_10empty_typeEEEZZNS1_27merge_sort_block_merge_implIS3_PlPS5_mZN2at6native12_GLOBAL__N_124unique_dim_cuda_templateIfEESt5tupleIJNSA_6TensorESF_SF_EERKSF_lbbbEUlllE_EE10hipError_tT0_T1_T2_jT3_P12ihipStream_tbPNSt15iterator_traitsISL_E10value_typeEPNSR_ISM_E10value_typeEPSN_NS1_7vsmem_tEENKUlT_SL_SM_SN_E_clIS8_S8_S9_S9_EESK_S10_SL_SM_SN_EUlS10_E1_NS1_11comp_targetILNS1_3genE8ELNS1_11target_archE1030ELNS1_3gpuE2ELNS1_3repE0EEENS1_36merge_oddeven_config_static_selectorELNS0_4arch9wavefront6targetE1EEEvSM_
	.p2align	8
	.type	_ZN7rocprim17ROCPRIM_400000_NS6detail17trampoline_kernelINS0_14default_configENS1_38merge_sort_block_merge_config_selectorIlNS0_10empty_typeEEEZZNS1_27merge_sort_block_merge_implIS3_PlPS5_mZN2at6native12_GLOBAL__N_124unique_dim_cuda_templateIfEESt5tupleIJNSA_6TensorESF_SF_EERKSF_lbbbEUlllE_EE10hipError_tT0_T1_T2_jT3_P12ihipStream_tbPNSt15iterator_traitsISL_E10value_typeEPNSR_ISM_E10value_typeEPSN_NS1_7vsmem_tEENKUlT_SL_SM_SN_E_clIS8_S8_S9_S9_EESK_S10_SL_SM_SN_EUlS10_E1_NS1_11comp_targetILNS1_3genE8ELNS1_11target_archE1030ELNS1_3gpuE2ELNS1_3repE0EEENS1_36merge_oddeven_config_static_selectorELNS0_4arch9wavefront6targetE1EEEvSM_,@function
_ZN7rocprim17ROCPRIM_400000_NS6detail17trampoline_kernelINS0_14default_configENS1_38merge_sort_block_merge_config_selectorIlNS0_10empty_typeEEEZZNS1_27merge_sort_block_merge_implIS3_PlPS5_mZN2at6native12_GLOBAL__N_124unique_dim_cuda_templateIfEESt5tupleIJNSA_6TensorESF_SF_EERKSF_lbbbEUlllE_EE10hipError_tT0_T1_T2_jT3_P12ihipStream_tbPNSt15iterator_traitsISL_E10value_typeEPNSR_ISM_E10value_typeEPSN_NS1_7vsmem_tEENKUlT_SL_SM_SN_E_clIS8_S8_S9_S9_EESK_S10_SL_SM_SN_EUlS10_E1_NS1_11comp_targetILNS1_3genE8ELNS1_11target_archE1030ELNS1_3gpuE2ELNS1_3repE0EEENS1_36merge_oddeven_config_static_selectorELNS0_4arch9wavefront6targetE1EEEvSM_: ; @_ZN7rocprim17ROCPRIM_400000_NS6detail17trampoline_kernelINS0_14default_configENS1_38merge_sort_block_merge_config_selectorIlNS0_10empty_typeEEEZZNS1_27merge_sort_block_merge_implIS3_PlPS5_mZN2at6native12_GLOBAL__N_124unique_dim_cuda_templateIfEESt5tupleIJNSA_6TensorESF_SF_EERKSF_lbbbEUlllE_EE10hipError_tT0_T1_T2_jT3_P12ihipStream_tbPNSt15iterator_traitsISL_E10value_typeEPNSR_ISM_E10value_typeEPSN_NS1_7vsmem_tEENKUlT_SL_SM_SN_E_clIS8_S8_S9_S9_EESK_S10_SL_SM_SN_EUlS10_E1_NS1_11comp_targetILNS1_3genE8ELNS1_11target_archE1030ELNS1_3gpuE2ELNS1_3repE0EEENS1_36merge_oddeven_config_static_selectorELNS0_4arch9wavefront6targetE1EEEvSM_
; %bb.0:
	.section	.rodata,"a",@progbits
	.p2align	6, 0x0
	.amdhsa_kernel _ZN7rocprim17ROCPRIM_400000_NS6detail17trampoline_kernelINS0_14default_configENS1_38merge_sort_block_merge_config_selectorIlNS0_10empty_typeEEEZZNS1_27merge_sort_block_merge_implIS3_PlPS5_mZN2at6native12_GLOBAL__N_124unique_dim_cuda_templateIfEESt5tupleIJNSA_6TensorESF_SF_EERKSF_lbbbEUlllE_EE10hipError_tT0_T1_T2_jT3_P12ihipStream_tbPNSt15iterator_traitsISL_E10value_typeEPNSR_ISM_E10value_typeEPSN_NS1_7vsmem_tEENKUlT_SL_SM_SN_E_clIS8_S8_S9_S9_EESK_S10_SL_SM_SN_EUlS10_E1_NS1_11comp_targetILNS1_3genE8ELNS1_11target_archE1030ELNS1_3gpuE2ELNS1_3repE0EEENS1_36merge_oddeven_config_static_selectorELNS0_4arch9wavefront6targetE1EEEvSM_
		.amdhsa_group_segment_fixed_size 0
		.amdhsa_private_segment_fixed_size 0
		.amdhsa_kernarg_size 64
		.amdhsa_user_sgpr_count 2
		.amdhsa_user_sgpr_dispatch_ptr 0
		.amdhsa_user_sgpr_queue_ptr 0
		.amdhsa_user_sgpr_kernarg_segment_ptr 1
		.amdhsa_user_sgpr_dispatch_id 0
		.amdhsa_user_sgpr_kernarg_preload_length 0
		.amdhsa_user_sgpr_kernarg_preload_offset 0
		.amdhsa_user_sgpr_private_segment_size 0
		.amdhsa_uses_dynamic_stack 0
		.amdhsa_enable_private_segment 0
		.amdhsa_system_sgpr_workgroup_id_x 1
		.amdhsa_system_sgpr_workgroup_id_y 0
		.amdhsa_system_sgpr_workgroup_id_z 0
		.amdhsa_system_sgpr_workgroup_info 0
		.amdhsa_system_vgpr_workitem_id 0
		.amdhsa_next_free_vgpr 1
		.amdhsa_next_free_sgpr 0
		.amdhsa_accum_offset 4
		.amdhsa_reserve_vcc 0
		.amdhsa_float_round_mode_32 0
		.amdhsa_float_round_mode_16_64 0
		.amdhsa_float_denorm_mode_32 3
		.amdhsa_float_denorm_mode_16_64 3
		.amdhsa_dx10_clamp 1
		.amdhsa_ieee_mode 1
		.amdhsa_fp16_overflow 0
		.amdhsa_tg_split 0
		.amdhsa_exception_fp_ieee_invalid_op 0
		.amdhsa_exception_fp_denorm_src 0
		.amdhsa_exception_fp_ieee_div_zero 0
		.amdhsa_exception_fp_ieee_overflow 0
		.amdhsa_exception_fp_ieee_underflow 0
		.amdhsa_exception_fp_ieee_inexact 0
		.amdhsa_exception_int_div_zero 0
	.end_amdhsa_kernel
	.section	.text._ZN7rocprim17ROCPRIM_400000_NS6detail17trampoline_kernelINS0_14default_configENS1_38merge_sort_block_merge_config_selectorIlNS0_10empty_typeEEEZZNS1_27merge_sort_block_merge_implIS3_PlPS5_mZN2at6native12_GLOBAL__N_124unique_dim_cuda_templateIfEESt5tupleIJNSA_6TensorESF_SF_EERKSF_lbbbEUlllE_EE10hipError_tT0_T1_T2_jT3_P12ihipStream_tbPNSt15iterator_traitsISL_E10value_typeEPNSR_ISM_E10value_typeEPSN_NS1_7vsmem_tEENKUlT_SL_SM_SN_E_clIS8_S8_S9_S9_EESK_S10_SL_SM_SN_EUlS10_E1_NS1_11comp_targetILNS1_3genE8ELNS1_11target_archE1030ELNS1_3gpuE2ELNS1_3repE0EEENS1_36merge_oddeven_config_static_selectorELNS0_4arch9wavefront6targetE1EEEvSM_,"axG",@progbits,_ZN7rocprim17ROCPRIM_400000_NS6detail17trampoline_kernelINS0_14default_configENS1_38merge_sort_block_merge_config_selectorIlNS0_10empty_typeEEEZZNS1_27merge_sort_block_merge_implIS3_PlPS5_mZN2at6native12_GLOBAL__N_124unique_dim_cuda_templateIfEESt5tupleIJNSA_6TensorESF_SF_EERKSF_lbbbEUlllE_EE10hipError_tT0_T1_T2_jT3_P12ihipStream_tbPNSt15iterator_traitsISL_E10value_typeEPNSR_ISM_E10value_typeEPSN_NS1_7vsmem_tEENKUlT_SL_SM_SN_E_clIS8_S8_S9_S9_EESK_S10_SL_SM_SN_EUlS10_E1_NS1_11comp_targetILNS1_3genE8ELNS1_11target_archE1030ELNS1_3gpuE2ELNS1_3repE0EEENS1_36merge_oddeven_config_static_selectorELNS0_4arch9wavefront6targetE1EEEvSM_,comdat
.Lfunc_end910:
	.size	_ZN7rocprim17ROCPRIM_400000_NS6detail17trampoline_kernelINS0_14default_configENS1_38merge_sort_block_merge_config_selectorIlNS0_10empty_typeEEEZZNS1_27merge_sort_block_merge_implIS3_PlPS5_mZN2at6native12_GLOBAL__N_124unique_dim_cuda_templateIfEESt5tupleIJNSA_6TensorESF_SF_EERKSF_lbbbEUlllE_EE10hipError_tT0_T1_T2_jT3_P12ihipStream_tbPNSt15iterator_traitsISL_E10value_typeEPNSR_ISM_E10value_typeEPSN_NS1_7vsmem_tEENKUlT_SL_SM_SN_E_clIS8_S8_S9_S9_EESK_S10_SL_SM_SN_EUlS10_E1_NS1_11comp_targetILNS1_3genE8ELNS1_11target_archE1030ELNS1_3gpuE2ELNS1_3repE0EEENS1_36merge_oddeven_config_static_selectorELNS0_4arch9wavefront6targetE1EEEvSM_, .Lfunc_end910-_ZN7rocprim17ROCPRIM_400000_NS6detail17trampoline_kernelINS0_14default_configENS1_38merge_sort_block_merge_config_selectorIlNS0_10empty_typeEEEZZNS1_27merge_sort_block_merge_implIS3_PlPS5_mZN2at6native12_GLOBAL__N_124unique_dim_cuda_templateIfEESt5tupleIJNSA_6TensorESF_SF_EERKSF_lbbbEUlllE_EE10hipError_tT0_T1_T2_jT3_P12ihipStream_tbPNSt15iterator_traitsISL_E10value_typeEPNSR_ISM_E10value_typeEPSN_NS1_7vsmem_tEENKUlT_SL_SM_SN_E_clIS8_S8_S9_S9_EESK_S10_SL_SM_SN_EUlS10_E1_NS1_11comp_targetILNS1_3genE8ELNS1_11target_archE1030ELNS1_3gpuE2ELNS1_3repE0EEENS1_36merge_oddeven_config_static_selectorELNS0_4arch9wavefront6targetE1EEEvSM_
                                        ; -- End function
	.section	.AMDGPU.csdata,"",@progbits
; Kernel info:
; codeLenInByte = 0
; NumSgprs: 6
; NumVgprs: 0
; NumAgprs: 0
; TotalNumVgprs: 0
; ScratchSize: 0
; MemoryBound: 0
; FloatMode: 240
; IeeeMode: 1
; LDSByteSize: 0 bytes/workgroup (compile time only)
; SGPRBlocks: 0
; VGPRBlocks: 0
; NumSGPRsForWavesPerEU: 6
; NumVGPRsForWavesPerEU: 1
; AccumOffset: 4
; Occupancy: 8
; WaveLimiterHint : 0
; COMPUTE_PGM_RSRC2:SCRATCH_EN: 0
; COMPUTE_PGM_RSRC2:USER_SGPR: 2
; COMPUTE_PGM_RSRC2:TRAP_HANDLER: 0
; COMPUTE_PGM_RSRC2:TGID_X_EN: 1
; COMPUTE_PGM_RSRC2:TGID_Y_EN: 0
; COMPUTE_PGM_RSRC2:TGID_Z_EN: 0
; COMPUTE_PGM_RSRC2:TIDIG_COMP_CNT: 0
; COMPUTE_PGM_RSRC3_GFX90A:ACCUM_OFFSET: 0
; COMPUTE_PGM_RSRC3_GFX90A:TG_SPLIT: 0
	.section	.text._ZN7rocprim17ROCPRIM_400000_NS6detail17trampoline_kernelINS0_14default_configENS1_35adjacent_difference_config_selectorILb0ElEEZNS1_24adjacent_difference_implIS3_Lb0ELb0EPlS7_ZN2at6native12_GLOBAL__N_124unique_dim_cuda_templateIfEESt5tupleIJNS8_6TensorESD_SD_EERKSD_lbbbEUlllE1_EE10hipError_tPvRmT2_T3_mT4_P12ihipStream_tbEUlT_E_NS1_11comp_targetILNS1_3genE0ELNS1_11target_archE4294967295ELNS1_3gpuE0ELNS1_3repE0EEENS1_30default_config_static_selectorELNS0_4arch9wavefront6targetE1EEEvT1_,"axG",@progbits,_ZN7rocprim17ROCPRIM_400000_NS6detail17trampoline_kernelINS0_14default_configENS1_35adjacent_difference_config_selectorILb0ElEEZNS1_24adjacent_difference_implIS3_Lb0ELb0EPlS7_ZN2at6native12_GLOBAL__N_124unique_dim_cuda_templateIfEESt5tupleIJNS8_6TensorESD_SD_EERKSD_lbbbEUlllE1_EE10hipError_tPvRmT2_T3_mT4_P12ihipStream_tbEUlT_E_NS1_11comp_targetILNS1_3genE0ELNS1_11target_archE4294967295ELNS1_3gpuE0ELNS1_3repE0EEENS1_30default_config_static_selectorELNS0_4arch9wavefront6targetE1EEEvT1_,comdat
	.globl	_ZN7rocprim17ROCPRIM_400000_NS6detail17trampoline_kernelINS0_14default_configENS1_35adjacent_difference_config_selectorILb0ElEEZNS1_24adjacent_difference_implIS3_Lb0ELb0EPlS7_ZN2at6native12_GLOBAL__N_124unique_dim_cuda_templateIfEESt5tupleIJNS8_6TensorESD_SD_EERKSD_lbbbEUlllE1_EE10hipError_tPvRmT2_T3_mT4_P12ihipStream_tbEUlT_E_NS1_11comp_targetILNS1_3genE0ELNS1_11target_archE4294967295ELNS1_3gpuE0ELNS1_3repE0EEENS1_30default_config_static_selectorELNS0_4arch9wavefront6targetE1EEEvT1_ ; -- Begin function _ZN7rocprim17ROCPRIM_400000_NS6detail17trampoline_kernelINS0_14default_configENS1_35adjacent_difference_config_selectorILb0ElEEZNS1_24adjacent_difference_implIS3_Lb0ELb0EPlS7_ZN2at6native12_GLOBAL__N_124unique_dim_cuda_templateIfEESt5tupleIJNS8_6TensorESD_SD_EERKSD_lbbbEUlllE1_EE10hipError_tPvRmT2_T3_mT4_P12ihipStream_tbEUlT_E_NS1_11comp_targetILNS1_3genE0ELNS1_11target_archE4294967295ELNS1_3gpuE0ELNS1_3repE0EEENS1_30default_config_static_selectorELNS0_4arch9wavefront6targetE1EEEvT1_
	.p2align	8
	.type	_ZN7rocprim17ROCPRIM_400000_NS6detail17trampoline_kernelINS0_14default_configENS1_35adjacent_difference_config_selectorILb0ElEEZNS1_24adjacent_difference_implIS3_Lb0ELb0EPlS7_ZN2at6native12_GLOBAL__N_124unique_dim_cuda_templateIfEESt5tupleIJNS8_6TensorESD_SD_EERKSD_lbbbEUlllE1_EE10hipError_tPvRmT2_T3_mT4_P12ihipStream_tbEUlT_E_NS1_11comp_targetILNS1_3genE0ELNS1_11target_archE4294967295ELNS1_3gpuE0ELNS1_3repE0EEENS1_30default_config_static_selectorELNS0_4arch9wavefront6targetE1EEEvT1_,@function
_ZN7rocprim17ROCPRIM_400000_NS6detail17trampoline_kernelINS0_14default_configENS1_35adjacent_difference_config_selectorILb0ElEEZNS1_24adjacent_difference_implIS3_Lb0ELb0EPlS7_ZN2at6native12_GLOBAL__N_124unique_dim_cuda_templateIfEESt5tupleIJNS8_6TensorESD_SD_EERKSD_lbbbEUlllE1_EE10hipError_tPvRmT2_T3_mT4_P12ihipStream_tbEUlT_E_NS1_11comp_targetILNS1_3genE0ELNS1_11target_archE4294967295ELNS1_3gpuE0ELNS1_3repE0EEENS1_30default_config_static_selectorELNS0_4arch9wavefront6targetE1EEEvT1_: ; @_ZN7rocprim17ROCPRIM_400000_NS6detail17trampoline_kernelINS0_14default_configENS1_35adjacent_difference_config_selectorILb0ElEEZNS1_24adjacent_difference_implIS3_Lb0ELb0EPlS7_ZN2at6native12_GLOBAL__N_124unique_dim_cuda_templateIfEESt5tupleIJNS8_6TensorESD_SD_EERKSD_lbbbEUlllE1_EE10hipError_tPvRmT2_T3_mT4_P12ihipStream_tbEUlT_E_NS1_11comp_targetILNS1_3genE0ELNS1_11target_archE4294967295ELNS1_3gpuE0ELNS1_3repE0EEENS1_30default_config_static_selectorELNS0_4arch9wavefront6targetE1EEEvT1_
; %bb.0:
	.section	.rodata,"a",@progbits
	.p2align	6, 0x0
	.amdhsa_kernel _ZN7rocprim17ROCPRIM_400000_NS6detail17trampoline_kernelINS0_14default_configENS1_35adjacent_difference_config_selectorILb0ElEEZNS1_24adjacent_difference_implIS3_Lb0ELb0EPlS7_ZN2at6native12_GLOBAL__N_124unique_dim_cuda_templateIfEESt5tupleIJNS8_6TensorESD_SD_EERKSD_lbbbEUlllE1_EE10hipError_tPvRmT2_T3_mT4_P12ihipStream_tbEUlT_E_NS1_11comp_targetILNS1_3genE0ELNS1_11target_archE4294967295ELNS1_3gpuE0ELNS1_3repE0EEENS1_30default_config_static_selectorELNS0_4arch9wavefront6targetE1EEEvT1_
		.amdhsa_group_segment_fixed_size 0
		.amdhsa_private_segment_fixed_size 0
		.amdhsa_kernarg_size 64
		.amdhsa_user_sgpr_count 2
		.amdhsa_user_sgpr_dispatch_ptr 0
		.amdhsa_user_sgpr_queue_ptr 0
		.amdhsa_user_sgpr_kernarg_segment_ptr 1
		.amdhsa_user_sgpr_dispatch_id 0
		.amdhsa_user_sgpr_kernarg_preload_length 0
		.amdhsa_user_sgpr_kernarg_preload_offset 0
		.amdhsa_user_sgpr_private_segment_size 0
		.amdhsa_uses_dynamic_stack 0
		.amdhsa_enable_private_segment 0
		.amdhsa_system_sgpr_workgroup_id_x 1
		.amdhsa_system_sgpr_workgroup_id_y 0
		.amdhsa_system_sgpr_workgroup_id_z 0
		.amdhsa_system_sgpr_workgroup_info 0
		.amdhsa_system_vgpr_workitem_id 0
		.amdhsa_next_free_vgpr 1
		.amdhsa_next_free_sgpr 0
		.amdhsa_accum_offset 4
		.amdhsa_reserve_vcc 0
		.amdhsa_float_round_mode_32 0
		.amdhsa_float_round_mode_16_64 0
		.amdhsa_float_denorm_mode_32 3
		.amdhsa_float_denorm_mode_16_64 3
		.amdhsa_dx10_clamp 1
		.amdhsa_ieee_mode 1
		.amdhsa_fp16_overflow 0
		.amdhsa_tg_split 0
		.amdhsa_exception_fp_ieee_invalid_op 0
		.amdhsa_exception_fp_denorm_src 0
		.amdhsa_exception_fp_ieee_div_zero 0
		.amdhsa_exception_fp_ieee_overflow 0
		.amdhsa_exception_fp_ieee_underflow 0
		.amdhsa_exception_fp_ieee_inexact 0
		.amdhsa_exception_int_div_zero 0
	.end_amdhsa_kernel
	.section	.text._ZN7rocprim17ROCPRIM_400000_NS6detail17trampoline_kernelINS0_14default_configENS1_35adjacent_difference_config_selectorILb0ElEEZNS1_24adjacent_difference_implIS3_Lb0ELb0EPlS7_ZN2at6native12_GLOBAL__N_124unique_dim_cuda_templateIfEESt5tupleIJNS8_6TensorESD_SD_EERKSD_lbbbEUlllE1_EE10hipError_tPvRmT2_T3_mT4_P12ihipStream_tbEUlT_E_NS1_11comp_targetILNS1_3genE0ELNS1_11target_archE4294967295ELNS1_3gpuE0ELNS1_3repE0EEENS1_30default_config_static_selectorELNS0_4arch9wavefront6targetE1EEEvT1_,"axG",@progbits,_ZN7rocprim17ROCPRIM_400000_NS6detail17trampoline_kernelINS0_14default_configENS1_35adjacent_difference_config_selectorILb0ElEEZNS1_24adjacent_difference_implIS3_Lb0ELb0EPlS7_ZN2at6native12_GLOBAL__N_124unique_dim_cuda_templateIfEESt5tupleIJNS8_6TensorESD_SD_EERKSD_lbbbEUlllE1_EE10hipError_tPvRmT2_T3_mT4_P12ihipStream_tbEUlT_E_NS1_11comp_targetILNS1_3genE0ELNS1_11target_archE4294967295ELNS1_3gpuE0ELNS1_3repE0EEENS1_30default_config_static_selectorELNS0_4arch9wavefront6targetE1EEEvT1_,comdat
.Lfunc_end911:
	.size	_ZN7rocprim17ROCPRIM_400000_NS6detail17trampoline_kernelINS0_14default_configENS1_35adjacent_difference_config_selectorILb0ElEEZNS1_24adjacent_difference_implIS3_Lb0ELb0EPlS7_ZN2at6native12_GLOBAL__N_124unique_dim_cuda_templateIfEESt5tupleIJNS8_6TensorESD_SD_EERKSD_lbbbEUlllE1_EE10hipError_tPvRmT2_T3_mT4_P12ihipStream_tbEUlT_E_NS1_11comp_targetILNS1_3genE0ELNS1_11target_archE4294967295ELNS1_3gpuE0ELNS1_3repE0EEENS1_30default_config_static_selectorELNS0_4arch9wavefront6targetE1EEEvT1_, .Lfunc_end911-_ZN7rocprim17ROCPRIM_400000_NS6detail17trampoline_kernelINS0_14default_configENS1_35adjacent_difference_config_selectorILb0ElEEZNS1_24adjacent_difference_implIS3_Lb0ELb0EPlS7_ZN2at6native12_GLOBAL__N_124unique_dim_cuda_templateIfEESt5tupleIJNS8_6TensorESD_SD_EERKSD_lbbbEUlllE1_EE10hipError_tPvRmT2_T3_mT4_P12ihipStream_tbEUlT_E_NS1_11comp_targetILNS1_3genE0ELNS1_11target_archE4294967295ELNS1_3gpuE0ELNS1_3repE0EEENS1_30default_config_static_selectorELNS0_4arch9wavefront6targetE1EEEvT1_
                                        ; -- End function
	.section	.AMDGPU.csdata,"",@progbits
; Kernel info:
; codeLenInByte = 0
; NumSgprs: 6
; NumVgprs: 0
; NumAgprs: 0
; TotalNumVgprs: 0
; ScratchSize: 0
; MemoryBound: 0
; FloatMode: 240
; IeeeMode: 1
; LDSByteSize: 0 bytes/workgroup (compile time only)
; SGPRBlocks: 0
; VGPRBlocks: 0
; NumSGPRsForWavesPerEU: 6
; NumVGPRsForWavesPerEU: 1
; AccumOffset: 4
; Occupancy: 8
; WaveLimiterHint : 0
; COMPUTE_PGM_RSRC2:SCRATCH_EN: 0
; COMPUTE_PGM_RSRC2:USER_SGPR: 2
; COMPUTE_PGM_RSRC2:TRAP_HANDLER: 0
; COMPUTE_PGM_RSRC2:TGID_X_EN: 1
; COMPUTE_PGM_RSRC2:TGID_Y_EN: 0
; COMPUTE_PGM_RSRC2:TGID_Z_EN: 0
; COMPUTE_PGM_RSRC2:TIDIG_COMP_CNT: 0
; COMPUTE_PGM_RSRC3_GFX90A:ACCUM_OFFSET: 0
; COMPUTE_PGM_RSRC3_GFX90A:TG_SPLIT: 0
	.section	.text._ZN7rocprim17ROCPRIM_400000_NS6detail17trampoline_kernelINS0_14default_configENS1_35adjacent_difference_config_selectorILb0ElEEZNS1_24adjacent_difference_implIS3_Lb0ELb0EPlS7_ZN2at6native12_GLOBAL__N_124unique_dim_cuda_templateIfEESt5tupleIJNS8_6TensorESD_SD_EERKSD_lbbbEUlllE1_EE10hipError_tPvRmT2_T3_mT4_P12ihipStream_tbEUlT_E_NS1_11comp_targetILNS1_3genE10ELNS1_11target_archE1201ELNS1_3gpuE5ELNS1_3repE0EEENS1_30default_config_static_selectorELNS0_4arch9wavefront6targetE1EEEvT1_,"axG",@progbits,_ZN7rocprim17ROCPRIM_400000_NS6detail17trampoline_kernelINS0_14default_configENS1_35adjacent_difference_config_selectorILb0ElEEZNS1_24adjacent_difference_implIS3_Lb0ELb0EPlS7_ZN2at6native12_GLOBAL__N_124unique_dim_cuda_templateIfEESt5tupleIJNS8_6TensorESD_SD_EERKSD_lbbbEUlllE1_EE10hipError_tPvRmT2_T3_mT4_P12ihipStream_tbEUlT_E_NS1_11comp_targetILNS1_3genE10ELNS1_11target_archE1201ELNS1_3gpuE5ELNS1_3repE0EEENS1_30default_config_static_selectorELNS0_4arch9wavefront6targetE1EEEvT1_,comdat
	.globl	_ZN7rocprim17ROCPRIM_400000_NS6detail17trampoline_kernelINS0_14default_configENS1_35adjacent_difference_config_selectorILb0ElEEZNS1_24adjacent_difference_implIS3_Lb0ELb0EPlS7_ZN2at6native12_GLOBAL__N_124unique_dim_cuda_templateIfEESt5tupleIJNS8_6TensorESD_SD_EERKSD_lbbbEUlllE1_EE10hipError_tPvRmT2_T3_mT4_P12ihipStream_tbEUlT_E_NS1_11comp_targetILNS1_3genE10ELNS1_11target_archE1201ELNS1_3gpuE5ELNS1_3repE0EEENS1_30default_config_static_selectorELNS0_4arch9wavefront6targetE1EEEvT1_ ; -- Begin function _ZN7rocprim17ROCPRIM_400000_NS6detail17trampoline_kernelINS0_14default_configENS1_35adjacent_difference_config_selectorILb0ElEEZNS1_24adjacent_difference_implIS3_Lb0ELb0EPlS7_ZN2at6native12_GLOBAL__N_124unique_dim_cuda_templateIfEESt5tupleIJNS8_6TensorESD_SD_EERKSD_lbbbEUlllE1_EE10hipError_tPvRmT2_T3_mT4_P12ihipStream_tbEUlT_E_NS1_11comp_targetILNS1_3genE10ELNS1_11target_archE1201ELNS1_3gpuE5ELNS1_3repE0EEENS1_30default_config_static_selectorELNS0_4arch9wavefront6targetE1EEEvT1_
	.p2align	8
	.type	_ZN7rocprim17ROCPRIM_400000_NS6detail17trampoline_kernelINS0_14default_configENS1_35adjacent_difference_config_selectorILb0ElEEZNS1_24adjacent_difference_implIS3_Lb0ELb0EPlS7_ZN2at6native12_GLOBAL__N_124unique_dim_cuda_templateIfEESt5tupleIJNS8_6TensorESD_SD_EERKSD_lbbbEUlllE1_EE10hipError_tPvRmT2_T3_mT4_P12ihipStream_tbEUlT_E_NS1_11comp_targetILNS1_3genE10ELNS1_11target_archE1201ELNS1_3gpuE5ELNS1_3repE0EEENS1_30default_config_static_selectorELNS0_4arch9wavefront6targetE1EEEvT1_,@function
_ZN7rocprim17ROCPRIM_400000_NS6detail17trampoline_kernelINS0_14default_configENS1_35adjacent_difference_config_selectorILb0ElEEZNS1_24adjacent_difference_implIS3_Lb0ELb0EPlS7_ZN2at6native12_GLOBAL__N_124unique_dim_cuda_templateIfEESt5tupleIJNS8_6TensorESD_SD_EERKSD_lbbbEUlllE1_EE10hipError_tPvRmT2_T3_mT4_P12ihipStream_tbEUlT_E_NS1_11comp_targetILNS1_3genE10ELNS1_11target_archE1201ELNS1_3gpuE5ELNS1_3repE0EEENS1_30default_config_static_selectorELNS0_4arch9wavefront6targetE1EEEvT1_: ; @_ZN7rocprim17ROCPRIM_400000_NS6detail17trampoline_kernelINS0_14default_configENS1_35adjacent_difference_config_selectorILb0ElEEZNS1_24adjacent_difference_implIS3_Lb0ELb0EPlS7_ZN2at6native12_GLOBAL__N_124unique_dim_cuda_templateIfEESt5tupleIJNS8_6TensorESD_SD_EERKSD_lbbbEUlllE1_EE10hipError_tPvRmT2_T3_mT4_P12ihipStream_tbEUlT_E_NS1_11comp_targetILNS1_3genE10ELNS1_11target_archE1201ELNS1_3gpuE5ELNS1_3repE0EEENS1_30default_config_static_selectorELNS0_4arch9wavefront6targetE1EEEvT1_
; %bb.0:
	.section	.rodata,"a",@progbits
	.p2align	6, 0x0
	.amdhsa_kernel _ZN7rocprim17ROCPRIM_400000_NS6detail17trampoline_kernelINS0_14default_configENS1_35adjacent_difference_config_selectorILb0ElEEZNS1_24adjacent_difference_implIS3_Lb0ELb0EPlS7_ZN2at6native12_GLOBAL__N_124unique_dim_cuda_templateIfEESt5tupleIJNS8_6TensorESD_SD_EERKSD_lbbbEUlllE1_EE10hipError_tPvRmT2_T3_mT4_P12ihipStream_tbEUlT_E_NS1_11comp_targetILNS1_3genE10ELNS1_11target_archE1201ELNS1_3gpuE5ELNS1_3repE0EEENS1_30default_config_static_selectorELNS0_4arch9wavefront6targetE1EEEvT1_
		.amdhsa_group_segment_fixed_size 0
		.amdhsa_private_segment_fixed_size 0
		.amdhsa_kernarg_size 64
		.amdhsa_user_sgpr_count 2
		.amdhsa_user_sgpr_dispatch_ptr 0
		.amdhsa_user_sgpr_queue_ptr 0
		.amdhsa_user_sgpr_kernarg_segment_ptr 1
		.amdhsa_user_sgpr_dispatch_id 0
		.amdhsa_user_sgpr_kernarg_preload_length 0
		.amdhsa_user_sgpr_kernarg_preload_offset 0
		.amdhsa_user_sgpr_private_segment_size 0
		.amdhsa_uses_dynamic_stack 0
		.amdhsa_enable_private_segment 0
		.amdhsa_system_sgpr_workgroup_id_x 1
		.amdhsa_system_sgpr_workgroup_id_y 0
		.amdhsa_system_sgpr_workgroup_id_z 0
		.amdhsa_system_sgpr_workgroup_info 0
		.amdhsa_system_vgpr_workitem_id 0
		.amdhsa_next_free_vgpr 1
		.amdhsa_next_free_sgpr 0
		.amdhsa_accum_offset 4
		.amdhsa_reserve_vcc 0
		.amdhsa_float_round_mode_32 0
		.amdhsa_float_round_mode_16_64 0
		.amdhsa_float_denorm_mode_32 3
		.amdhsa_float_denorm_mode_16_64 3
		.amdhsa_dx10_clamp 1
		.amdhsa_ieee_mode 1
		.amdhsa_fp16_overflow 0
		.amdhsa_tg_split 0
		.amdhsa_exception_fp_ieee_invalid_op 0
		.amdhsa_exception_fp_denorm_src 0
		.amdhsa_exception_fp_ieee_div_zero 0
		.amdhsa_exception_fp_ieee_overflow 0
		.amdhsa_exception_fp_ieee_underflow 0
		.amdhsa_exception_fp_ieee_inexact 0
		.amdhsa_exception_int_div_zero 0
	.end_amdhsa_kernel
	.section	.text._ZN7rocprim17ROCPRIM_400000_NS6detail17trampoline_kernelINS0_14default_configENS1_35adjacent_difference_config_selectorILb0ElEEZNS1_24adjacent_difference_implIS3_Lb0ELb0EPlS7_ZN2at6native12_GLOBAL__N_124unique_dim_cuda_templateIfEESt5tupleIJNS8_6TensorESD_SD_EERKSD_lbbbEUlllE1_EE10hipError_tPvRmT2_T3_mT4_P12ihipStream_tbEUlT_E_NS1_11comp_targetILNS1_3genE10ELNS1_11target_archE1201ELNS1_3gpuE5ELNS1_3repE0EEENS1_30default_config_static_selectorELNS0_4arch9wavefront6targetE1EEEvT1_,"axG",@progbits,_ZN7rocprim17ROCPRIM_400000_NS6detail17trampoline_kernelINS0_14default_configENS1_35adjacent_difference_config_selectorILb0ElEEZNS1_24adjacent_difference_implIS3_Lb0ELb0EPlS7_ZN2at6native12_GLOBAL__N_124unique_dim_cuda_templateIfEESt5tupleIJNS8_6TensorESD_SD_EERKSD_lbbbEUlllE1_EE10hipError_tPvRmT2_T3_mT4_P12ihipStream_tbEUlT_E_NS1_11comp_targetILNS1_3genE10ELNS1_11target_archE1201ELNS1_3gpuE5ELNS1_3repE0EEENS1_30default_config_static_selectorELNS0_4arch9wavefront6targetE1EEEvT1_,comdat
.Lfunc_end912:
	.size	_ZN7rocprim17ROCPRIM_400000_NS6detail17trampoline_kernelINS0_14default_configENS1_35adjacent_difference_config_selectorILb0ElEEZNS1_24adjacent_difference_implIS3_Lb0ELb0EPlS7_ZN2at6native12_GLOBAL__N_124unique_dim_cuda_templateIfEESt5tupleIJNS8_6TensorESD_SD_EERKSD_lbbbEUlllE1_EE10hipError_tPvRmT2_T3_mT4_P12ihipStream_tbEUlT_E_NS1_11comp_targetILNS1_3genE10ELNS1_11target_archE1201ELNS1_3gpuE5ELNS1_3repE0EEENS1_30default_config_static_selectorELNS0_4arch9wavefront6targetE1EEEvT1_, .Lfunc_end912-_ZN7rocprim17ROCPRIM_400000_NS6detail17trampoline_kernelINS0_14default_configENS1_35adjacent_difference_config_selectorILb0ElEEZNS1_24adjacent_difference_implIS3_Lb0ELb0EPlS7_ZN2at6native12_GLOBAL__N_124unique_dim_cuda_templateIfEESt5tupleIJNS8_6TensorESD_SD_EERKSD_lbbbEUlllE1_EE10hipError_tPvRmT2_T3_mT4_P12ihipStream_tbEUlT_E_NS1_11comp_targetILNS1_3genE10ELNS1_11target_archE1201ELNS1_3gpuE5ELNS1_3repE0EEENS1_30default_config_static_selectorELNS0_4arch9wavefront6targetE1EEEvT1_
                                        ; -- End function
	.section	.AMDGPU.csdata,"",@progbits
; Kernel info:
; codeLenInByte = 0
; NumSgprs: 6
; NumVgprs: 0
; NumAgprs: 0
; TotalNumVgprs: 0
; ScratchSize: 0
; MemoryBound: 0
; FloatMode: 240
; IeeeMode: 1
; LDSByteSize: 0 bytes/workgroup (compile time only)
; SGPRBlocks: 0
; VGPRBlocks: 0
; NumSGPRsForWavesPerEU: 6
; NumVGPRsForWavesPerEU: 1
; AccumOffset: 4
; Occupancy: 8
; WaveLimiterHint : 0
; COMPUTE_PGM_RSRC2:SCRATCH_EN: 0
; COMPUTE_PGM_RSRC2:USER_SGPR: 2
; COMPUTE_PGM_RSRC2:TRAP_HANDLER: 0
; COMPUTE_PGM_RSRC2:TGID_X_EN: 1
; COMPUTE_PGM_RSRC2:TGID_Y_EN: 0
; COMPUTE_PGM_RSRC2:TGID_Z_EN: 0
; COMPUTE_PGM_RSRC2:TIDIG_COMP_CNT: 0
; COMPUTE_PGM_RSRC3_GFX90A:ACCUM_OFFSET: 0
; COMPUTE_PGM_RSRC3_GFX90A:TG_SPLIT: 0
	.section	.text._ZN7rocprim17ROCPRIM_400000_NS6detail17trampoline_kernelINS0_14default_configENS1_35adjacent_difference_config_selectorILb0ElEEZNS1_24adjacent_difference_implIS3_Lb0ELb0EPlS7_ZN2at6native12_GLOBAL__N_124unique_dim_cuda_templateIfEESt5tupleIJNS8_6TensorESD_SD_EERKSD_lbbbEUlllE1_EE10hipError_tPvRmT2_T3_mT4_P12ihipStream_tbEUlT_E_NS1_11comp_targetILNS1_3genE5ELNS1_11target_archE942ELNS1_3gpuE9ELNS1_3repE0EEENS1_30default_config_static_selectorELNS0_4arch9wavefront6targetE1EEEvT1_,"axG",@progbits,_ZN7rocprim17ROCPRIM_400000_NS6detail17trampoline_kernelINS0_14default_configENS1_35adjacent_difference_config_selectorILb0ElEEZNS1_24adjacent_difference_implIS3_Lb0ELb0EPlS7_ZN2at6native12_GLOBAL__N_124unique_dim_cuda_templateIfEESt5tupleIJNS8_6TensorESD_SD_EERKSD_lbbbEUlllE1_EE10hipError_tPvRmT2_T3_mT4_P12ihipStream_tbEUlT_E_NS1_11comp_targetILNS1_3genE5ELNS1_11target_archE942ELNS1_3gpuE9ELNS1_3repE0EEENS1_30default_config_static_selectorELNS0_4arch9wavefront6targetE1EEEvT1_,comdat
	.globl	_ZN7rocprim17ROCPRIM_400000_NS6detail17trampoline_kernelINS0_14default_configENS1_35adjacent_difference_config_selectorILb0ElEEZNS1_24adjacent_difference_implIS3_Lb0ELb0EPlS7_ZN2at6native12_GLOBAL__N_124unique_dim_cuda_templateIfEESt5tupleIJNS8_6TensorESD_SD_EERKSD_lbbbEUlllE1_EE10hipError_tPvRmT2_T3_mT4_P12ihipStream_tbEUlT_E_NS1_11comp_targetILNS1_3genE5ELNS1_11target_archE942ELNS1_3gpuE9ELNS1_3repE0EEENS1_30default_config_static_selectorELNS0_4arch9wavefront6targetE1EEEvT1_ ; -- Begin function _ZN7rocprim17ROCPRIM_400000_NS6detail17trampoline_kernelINS0_14default_configENS1_35adjacent_difference_config_selectorILb0ElEEZNS1_24adjacent_difference_implIS3_Lb0ELb0EPlS7_ZN2at6native12_GLOBAL__N_124unique_dim_cuda_templateIfEESt5tupleIJNS8_6TensorESD_SD_EERKSD_lbbbEUlllE1_EE10hipError_tPvRmT2_T3_mT4_P12ihipStream_tbEUlT_E_NS1_11comp_targetILNS1_3genE5ELNS1_11target_archE942ELNS1_3gpuE9ELNS1_3repE0EEENS1_30default_config_static_selectorELNS0_4arch9wavefront6targetE1EEEvT1_
	.p2align	8
	.type	_ZN7rocprim17ROCPRIM_400000_NS6detail17trampoline_kernelINS0_14default_configENS1_35adjacent_difference_config_selectorILb0ElEEZNS1_24adjacent_difference_implIS3_Lb0ELb0EPlS7_ZN2at6native12_GLOBAL__N_124unique_dim_cuda_templateIfEESt5tupleIJNS8_6TensorESD_SD_EERKSD_lbbbEUlllE1_EE10hipError_tPvRmT2_T3_mT4_P12ihipStream_tbEUlT_E_NS1_11comp_targetILNS1_3genE5ELNS1_11target_archE942ELNS1_3gpuE9ELNS1_3repE0EEENS1_30default_config_static_selectorELNS0_4arch9wavefront6targetE1EEEvT1_,@function
_ZN7rocprim17ROCPRIM_400000_NS6detail17trampoline_kernelINS0_14default_configENS1_35adjacent_difference_config_selectorILb0ElEEZNS1_24adjacent_difference_implIS3_Lb0ELb0EPlS7_ZN2at6native12_GLOBAL__N_124unique_dim_cuda_templateIfEESt5tupleIJNS8_6TensorESD_SD_EERKSD_lbbbEUlllE1_EE10hipError_tPvRmT2_T3_mT4_P12ihipStream_tbEUlT_E_NS1_11comp_targetILNS1_3genE5ELNS1_11target_archE942ELNS1_3gpuE9ELNS1_3repE0EEENS1_30default_config_static_selectorELNS0_4arch9wavefront6targetE1EEEvT1_: ; @_ZN7rocprim17ROCPRIM_400000_NS6detail17trampoline_kernelINS0_14default_configENS1_35adjacent_difference_config_selectorILb0ElEEZNS1_24adjacent_difference_implIS3_Lb0ELb0EPlS7_ZN2at6native12_GLOBAL__N_124unique_dim_cuda_templateIfEESt5tupleIJNS8_6TensorESD_SD_EERKSD_lbbbEUlllE1_EE10hipError_tPvRmT2_T3_mT4_P12ihipStream_tbEUlT_E_NS1_11comp_targetILNS1_3genE5ELNS1_11target_archE942ELNS1_3gpuE9ELNS1_3repE0EEENS1_30default_config_static_selectorELNS0_4arch9wavefront6targetE1EEEvT1_
; %bb.0:
	s_load_dwordx8 s[4:11], s[0:1], 0x0
	s_load_dwordx4 s[12:15], s[0:1], 0x20
	s_load_dwordx2 s[18:19], s[0:1], 0x38
	s_mov_b32 s1, 0xcec4e8e0
	v_bfrev_b32_e32 v1, 1
	s_waitcnt lgkmcnt(0)
	s_lshl_b64 s[16:17], s[6:7], 3
	s_add_u32 s24, s4, s16
	s_addc_u32 s25, s5, s17
	s_add_u32 s1, 0x150, s1
	s_addc_u32 s3, 0, 0
	v_add_co_u32_e32 v1, vcc, s1, v1
	s_cmp_lg_u64 vcc, 0
	v_readfirstlane_b32 s4, v1
	s_addc_u32 s1, s3, 0x4ec4eb
	s_mul_hi_u32 s5, s4, 0xfffffcc0
	s_mul_i32 s3, s1, 0xfffffcc0
	s_sub_i32 s5, s5, s4
	s_add_i32 s5, s5, s3
	s_mul_i32 s21, s4, 0xfffffcc0
	s_mul_hi_u32 s3, s4, s5
	s_mul_i32 s20, s4, s5
	s_mul_hi_u32 s4, s4, s21
	s_add_u32 s4, s4, s20
	s_addc_u32 s3, 0, s3
	s_mul_hi_u32 s22, s1, s21
	s_mul_i32 s21, s1, s21
	s_add_u32 s4, s4, s21
	s_mul_hi_u32 s20, s1, s5
	s_addc_u32 s3, s3, s22
	s_addc_u32 s4, s20, 0
	s_mul_i32 s5, s1, s5
	s_add_u32 s3, s3, s5
	s_addc_u32 s4, 0, s4
	v_add_co_u32_e32 v1, vcc, s3, v1
	s_cmp_lg_u64 vcc, 0
	s_addc_u32 s1, s1, s4
	v_readfirstlane_b32 s5, v1
	s_mul_i32 s4, s10, s1
	s_mul_hi_u32 s20, s10, s5
	s_mul_hi_u32 s3, s10, s1
	s_add_u32 s4, s20, s4
	s_addc_u32 s3, 0, s3
	s_mul_hi_u32 s21, s11, s5
	s_mul_i32 s5, s11, s5
	s_add_u32 s4, s4, s5
	s_mul_hi_u32 s20, s11, s1
	s_addc_u32 s3, s3, s21
	s_addc_u32 s4, s20, 0
	s_mul_i32 s1, s11, s1
	s_add_u32 s1, s3, s1
	s_addc_u32 s3, 0, s4
	s_add_u32 s4, s1, 1
	s_addc_u32 s5, s3, 0
	s_add_u32 s20, s1, 2
	s_mul_i32 s22, s3, 0x340
	s_mul_hi_u32 s23, s1, 0x340
	s_addc_u32 s21, s3, 0
	s_add_i32 s23, s23, s22
	s_mul_i32 s22, s1, 0x340
	v_mov_b32_e32 v1, s22
	v_sub_co_u32_e32 v1, vcc, s10, v1
	s_movk_i32 s0, 0x340
	s_cmp_lg_u64 vcc, 0
	s_subb_u32 s22, s11, s23
	v_subrev_co_u32_e32 v2, vcc, s0, v1
	s_cmp_lg_u64 vcc, 0
	s_subb_u32 s0, s22, 0
	v_readfirstlane_b32 s23, v2
	s_cmpk_gt_u32 s23, 0x33f
	s_cselect_b32 s23, -1, 0
	s_cmp_eq_u32 s0, 0
	s_cselect_b32 s0, s23, -1
	s_cmp_lg_u32 s0, 0
	s_cselect_b32 s0, s20, s4
	s_cselect_b32 s4, s21, s5
	v_readfirstlane_b32 s5, v1
	s_cmpk_gt_u32 s5, 0x33f
	s_cselect_b32 s5, -1, 0
	s_cmp_eq_u32 s22, 0
	s_cselect_b32 s5, s5, -1
	s_cmp_lg_u32 s5, 0
	s_cselect_b32 s3, s4, s3
	s_cselect_b32 s4, s0, s1
	s_mul_i32 s0, s3, 0x340
	s_mul_hi_u32 s1, s4, 0x340
	s_add_i32 s1, s1, s0
	s_mul_i32 s0, s4, 0x340
	s_sub_u32 s0, s10, s0
	s_subb_u32 s1, s11, s1
	s_cmp_lg_u64 s[0:1], 0
	s_cselect_b64 s[0:1], -1, 0
	v_cndmask_b32_e64 v1, 0, 1, s[0:1]
	s_mul_i32 s6, s2, 0x340
	v_readfirstlane_b32 s0, v1
	s_add_u32 s4, s4, s0
	s_addc_u32 s5, s3, 0
	s_add_u32 s22, s18, s2
	s_addc_u32 s23, s19, 0
	s_add_u32 s2, s4, -1
	s_addc_u32 s3, s5, -1
	v_mov_b64_e32 v[2:3], s[2:3]
	v_cmp_ge_u64_e64 s[0:1], s[22:23], v[2:3]
	s_mov_b32 s7, 0
	s_mov_b64 s[18:19], -1
	s_and_b64 vcc, exec, s[0:1]
	s_mul_i32 s11, s2, 0xfffffcc0
	s_cbranch_vccz .LBB913_28
; %bb.1:
	s_add_i32 s26, s11, s10
	s_lshl_b64 s[18:19], s[6:7], 3
	s_add_u32 s18, s24, s18
	s_addc_u32 s19, s25, s19
	v_cmp_gt_u32_e32 vcc, s26, v0
                                        ; implicit-def: $vgpr2_vgpr3_vgpr4_vgpr5_vgpr6_vgpr7_vgpr8_vgpr9_vgpr10_vgpr11_vgpr12_vgpr13_vgpr14_vgpr15_vgpr16_vgpr17_vgpr18_vgpr19_vgpr20_vgpr21_vgpr22_vgpr23_vgpr24_vgpr25_vgpr26_vgpr27_vgpr28_vgpr29_vgpr30_vgpr31_vgpr32_vgpr33
	s_and_saveexec_b64 s[20:21], vcc
	s_cbranch_execz .LBB913_3
; %bb.2:
	v_lshlrev_b32_e32 v1, 3, v0
	global_load_dwordx2 v[2:3], v1, s[18:19]
.LBB913_3:
	s_or_b64 exec, exec, s[20:21]
	v_or_b32_e32 v1, 64, v0
	v_cmp_gt_u32_e32 vcc, s26, v1
	s_and_saveexec_b64 s[20:21], vcc
	s_cbranch_execz .LBB913_5
; %bb.4:
	v_lshlrev_b32_e32 v1, 3, v0
	global_load_dwordx2 v[4:5], v1, s[18:19] offset:512
.LBB913_5:
	s_or_b64 exec, exec, s[20:21]
	v_or_b32_e32 v1, 0x80, v0
	v_cmp_gt_u32_e32 vcc, s26, v1
	s_and_saveexec_b64 s[20:21], vcc
	s_cbranch_execz .LBB913_7
; %bb.6:
	v_lshlrev_b32_e32 v1, 3, v0
	global_load_dwordx2 v[6:7], v1, s[18:19] offset:1024
.LBB913_7:
	;; [unrolled: 9-line block ×7, first 2 shown]
	s_or_b64 exec, exec, s[20:21]
	v_or_b32_e32 v1, 0x200, v0
	v_cmp_gt_u32_e32 vcc, s26, v1
	s_and_saveexec_b64 s[20:21], vcc
	s_cbranch_execz .LBB913_19
; %bb.18:
	v_lshlrev_b32_e32 v1, 3, v1
	global_load_dwordx2 v[18:19], v1, s[18:19]
.LBB913_19:
	s_or_b64 exec, exec, s[20:21]
	v_or_b32_e32 v1, 0x240, v0
	v_cmp_gt_u32_e32 vcc, s26, v1
	s_and_saveexec_b64 s[20:21], vcc
	s_cbranch_execz .LBB913_21
; %bb.20:
	v_lshlrev_b32_e32 v1, 3, v1
	global_load_dwordx2 v[20:21], v1, s[18:19]
.LBB913_21:
	;; [unrolled: 9-line block ×5, first 2 shown]
	s_or_b64 exec, exec, s[20:21]
	v_lshlrev_b32_e32 v1, 3, v0
	s_mov_b64 s[18:19], 0
	s_waitcnt vmcnt(0)
	ds_write2st64_b64 v1, v[2:3], v[4:5] offset1:1
	ds_write2st64_b64 v1, v[6:7], v[8:9] offset0:2 offset1:3
	ds_write2st64_b64 v1, v[10:11], v[12:13] offset0:4 offset1:5
	;; [unrolled: 1-line block ×5, first 2 shown]
	ds_write_b64 v1, v[26:27] offset:6144
	s_waitcnt lgkmcnt(0)
	; wave barrier
.LBB913_28:
	s_and_b64 vcc, exec, s[18:19]
	v_lshlrev_b32_e32 v48, 3, v0
	s_cbranch_vccz .LBB913_30
; %bb.29:
	s_lshl_b64 s[18:19], s[6:7], 3
	s_add_u32 s18, s24, s18
	s_addc_u32 s19, s25, s19
	v_mov_b32_e32 v49, 0
	v_lshl_add_u64 v[2:3], s[18:19], 0, v[48:49]
	s_movk_i32 s7, 0x1000
	v_add_co_u32_e32 v2, vcc, s7, v2
	global_load_dwordx2 v[4:5], v48, s[18:19]
	global_load_dwordx2 v[6:7], v48, s[18:19] offset:512
	global_load_dwordx2 v[8:9], v48, s[18:19] offset:1024
	;; [unrolled: 1-line block ×7, first 2 shown]
	v_addc_co_u32_e32 v3, vcc, 0, v3, vcc
	global_load_dwordx2 v[20:21], v[2:3], off
	global_load_dwordx2 v[22:23], v[2:3], off offset:512
	global_load_dwordx2 v[24:25], v[2:3], off offset:1024
	;; [unrolled: 1-line block ×4, first 2 shown]
	s_waitcnt vmcnt(11)
	ds_write2st64_b64 v48, v[4:5], v[6:7] offset1:1
	s_waitcnt vmcnt(9)
	ds_write2st64_b64 v48, v[8:9], v[10:11] offset0:2 offset1:3
	s_waitcnt vmcnt(7)
	ds_write2st64_b64 v48, v[12:13], v[14:15] offset0:4 offset1:5
	;; [unrolled: 2-line block ×5, first 2 shown]
	s_waitcnt vmcnt(0)
	ds_write_b64 v48, v[28:29] offset:6144
	s_waitcnt lgkmcnt(0)
	; wave barrier
.LBB913_30:
	v_mul_u32_u24_e32 v1, 13, v0
	v_lshlrev_b32_e32 v1, 3, v1
	s_waitcnt lgkmcnt(0)
	ds_read2_b64 v[2:5], v1 offset1:1
	ds_read2_b64 v[6:9], v1 offset0:2 offset1:3
	ds_read2_b64 v[10:13], v1 offset0:4 offset1:5
	;; [unrolled: 1-line block ×5, first 2 shown]
	ds_read_b64 v[44:45], v1 offset:96
	s_cmp_eq_u64 s[22:23], 0
	s_mov_b64 s[18:19], 0
	s_waitcnt lgkmcnt(0)
	; wave barrier
	s_waitcnt lgkmcnt(0)
	s_cbranch_scc1 .LBB913_39
; %bb.31:
	s_mov_b32 s7, 0
	s_lshl_b64 s[20:21], s[6:7], 3
	s_add_u32 s7, s24, s20
	s_addc_u32 s21, s25, s21
	s_add_u32 s20, s7, -8
	s_addc_u32 s21, s21, -1
	s_load_dwordx2 s[20:21], s[20:21], 0x0
	s_cmp_lg_u64 s[22:23], s[2:3]
	s_cbranch_scc0 .LBB913_40
; %bb.32:
	v_mul_lo_u32 v1, v25, s12
	v_mul_lo_u32 v28, v24, s13
	v_mad_u64_u32 v[26:27], s[24:25], v24, s12, 0
	v_mov_b64_e32 v[46:47], 0
	v_cmp_lt_i64_e64 s[2:3], s[12:13], 1
	v_add3_u32 v27, v27, v28, v1
	v_cmp_gt_i64_e64 s[18:19], s[12:13], 0
	s_and_b64 vcc, exec, s[2:3]
	v_lshl_add_u64 v[26:27], v[26:27], 2, s[14:15]
	v_mov_b64_e32 v[50:51], v[46:47]
	ds_write_b64 v48, v[44:45]
	s_cbranch_vccnz .LBB913_44
; %bb.33:
	v_mul_lo_u32 v1, v45, s12
	v_mul_lo_u32 v30, v44, s13
	v_mad_u64_u32 v[28:29], s[2:3], v44, s12, 0
	v_add3_u32 v29, v29, v30, v1
	v_lshl_add_u64 v[30:31], v[28:29], 2, s[14:15]
	global_load_dword v1, v[30:31], off
	global_load_dword v28, v[26:27], off
	v_mov_b64_e32 v[50:51], 1
	s_waitcnt vmcnt(0)
	v_cmp_eq_f32_e32 vcc, v1, v28
	s_and_saveexec_b64 s[2:3], vcc
	s_cbranch_execz .LBB913_43
; %bb.34:
	s_add_u32 s24, s12, -1
	v_lshl_add_u64 v[28:29], v[26:27], 0, 4
	v_lshl_add_u64 v[30:31], v[30:31], 0, 4
	s_addc_u32 s25, s13, -1
	s_mov_b64 s[26:27], 0
	s_mov_b64 s[30:31], 0
                                        ; implicit-def: $sgpr28_sgpr29
	s_branch .LBB913_37
.LBB913_35:                             ;   in Loop: Header=BB913_37 Depth=1
	global_load_dword v1, v[30:31], off
	global_load_dword v32, v[28:29], off
	s_add_u32 s30, s30, 1
	s_addc_u32 s31, s31, 0
	s_andn2_b64 s[28:29], s[28:29], exec
	v_lshl_add_u64 v[28:29], v[28:29], 0, 4
	v_lshl_add_u64 v[30:31], v[30:31], 0, 4
	s_waitcnt vmcnt(0)
	v_cmp_neq_f32_e32 vcc, v1, v32
	s_and_b64 s[34:35], vcc, exec
	s_or_b64 s[28:29], s[28:29], s[34:35]
.LBB913_36:                             ;   in Loop: Header=BB913_37 Depth=1
	s_and_b64 s[34:35], exec, s[28:29]
	s_or_b64 s[26:27], s[34:35], s[26:27]
	v_mov_b64_e32 v[32:33], s[30:31]
	s_andn2_b64 exec, exec, s[26:27]
	s_cbranch_execz .LBB913_42
.LBB913_37:                             ; =>This Inner Loop Header: Depth=1
	s_or_b64 s[28:29], s[28:29], exec
	s_cmp_eq_u64 s[24:25], s[30:31]
	s_cbranch_scc0 .LBB913_35
; %bb.38:                               ;   in Loop: Header=BB913_37 Depth=1
                                        ; implicit-def: $vgpr28_vgpr29
                                        ; implicit-def: $vgpr30_vgpr31
	s_mov_b64 s[30:31], s[12:13]
	s_branch .LBB913_36
.LBB913_39:
                                        ; implicit-def: $vgpr26_vgpr27_vgpr28_vgpr29
                                        ; implicit-def: $sgpr24_sgpr25
                                        ; implicit-def: $vgpr50_vgpr51
                                        ; implicit-def: $vgpr52_vgpr53
                                        ; implicit-def: $vgpr46_vgpr47
                                        ; implicit-def: $vgpr70_vgpr71
                                        ; implicit-def: $vgpr68_vgpr69
                                        ; implicit-def: $vgpr66_vgpr67
                                        ; implicit-def: $vgpr64_vgpr65
                                        ; implicit-def: $vgpr62_vgpr63
                                        ; implicit-def: $vgpr60_vgpr61
                                        ; implicit-def: $vgpr58_vgpr59
                                        ; implicit-def: $vgpr56_vgpr57
                                        ; implicit-def: $vgpr54_vgpr55
                                        ; implicit-def: $vgpr72_vgpr73
                                        ; implicit-def: $vgpr82_vgpr83
                                        ; implicit-def: $vgpr74_vgpr75
                                        ; implicit-def: $vgpr76_vgpr77
                                        ; implicit-def: $vgpr78_vgpr79
                                        ; implicit-def: $vgpr80_vgpr81
                                        ; implicit-def: $vgpr28_vgpr29_vgpr30_vgpr31
                                        ; implicit-def: $vgpr32_vgpr33_vgpr34_vgpr35
                                        ; implicit-def: $vgpr36_vgpr37_vgpr38_vgpr39
                                        ; implicit-def: $vgpr40_vgpr41_vgpr42_vgpr43
	s_cbranch_execnz .LBB913_303
	s_branch .LBB913_572
.LBB913_40:
                                        ; implicit-def: $sgpr24_sgpr25
                                        ; implicit-def: $vgpr50_vgpr51
                                        ; implicit-def: $vgpr52_vgpr53
                                        ; implicit-def: $vgpr46_vgpr47
                                        ; implicit-def: $vgpr70_vgpr71
                                        ; implicit-def: $vgpr68_vgpr69
                                        ; implicit-def: $vgpr66_vgpr67
                                        ; implicit-def: $vgpr64_vgpr65
                                        ; implicit-def: $vgpr62_vgpr63
                                        ; implicit-def: $vgpr60_vgpr61
                                        ; implicit-def: $vgpr58_vgpr59
                                        ; implicit-def: $vgpr56_vgpr57
                                        ; implicit-def: $vgpr54_vgpr55
	s_cbranch_execnz .LBB913_156
.LBB913_41:
                                        ; implicit-def: $vgpr26_vgpr27_vgpr28_vgpr29
                                        ; implicit-def: $vgpr72_vgpr73
                                        ; implicit-def: $vgpr82_vgpr83
                                        ; implicit-def: $vgpr74_vgpr75
                                        ; implicit-def: $vgpr76_vgpr77
                                        ; implicit-def: $vgpr78_vgpr79
                                        ; implicit-def: $vgpr80_vgpr81
                                        ; implicit-def: $vgpr32_vgpr33_vgpr34_vgpr35
                                        ; implicit-def: $vgpr36_vgpr37_vgpr38_vgpr39
                                        ; implicit-def: $vgpr40_vgpr41_vgpr42_vgpr43
                                        ; implicit-def: $vgpr28_vgpr29_vgpr30_vgpr31
	s_branch .LBB913_572
.LBB913_42:
	s_or_b64 exec, exec, s[26:27]
	v_cmp_gt_i64_e32 vcc, s[12:13], v[32:33]
	s_mov_b32 s7, 0
	v_mov_b32_e32 v51, s7
	v_cndmask_b32_e64 v50, 0, 1, vcc
.LBB913_43:
	s_or_b64 exec, exec, s[2:3]
.LBB913_44:
	v_mul_lo_u32 v1, v23, s12
	v_mul_lo_u32 v30, v22, s13
	v_mad_u64_u32 v[28:29], s[2:3], v22, s12, 0
	v_add3_u32 v29, v29, v30, v1
	v_cndmask_b32_e64 v1, 0, 1, s[18:19]
	v_cmp_ne_u32_e64 s[2:3], 1, v1
	s_andn2_b64 vcc, exec, s[18:19]
	v_lshl_add_u64 v[28:29], v[28:29], 2, s[14:15]
	v_mov_b64_e32 v[52:53], v[46:47]
	s_cbranch_vccnz .LBB913_53
; %bb.45:
	global_load_dword v1, v[26:27], off
	global_load_dword v30, v[28:29], off
	v_mov_b64_e32 v[52:53], 1
	s_waitcnt vmcnt(0)
	v_cmp_eq_f32_e32 vcc, v1, v30
	s_and_saveexec_b64 s[18:19], vcc
	s_cbranch_execz .LBB913_52
; %bb.46:
	s_add_u32 s24, s12, -1
	v_lshl_add_u64 v[30:31], v[28:29], 0, 4
	v_lshl_add_u64 v[26:27], v[26:27], 0, 4
	s_addc_u32 s25, s13, -1
	s_mov_b64 s[26:27], 0
	s_mov_b64 s[30:31], 0
                                        ; implicit-def: $sgpr28_sgpr29
	s_branch .LBB913_49
.LBB913_47:                             ;   in Loop: Header=BB913_49 Depth=1
	global_load_dword v1, v[26:27], off
	global_load_dword v32, v[30:31], off
	s_add_u32 s30, s30, 1
	s_addc_u32 s31, s31, 0
	s_andn2_b64 s[28:29], s[28:29], exec
	v_lshl_add_u64 v[30:31], v[30:31], 0, 4
	v_lshl_add_u64 v[26:27], v[26:27], 0, 4
	s_waitcnt vmcnt(0)
	v_cmp_neq_f32_e32 vcc, v1, v32
	s_and_b64 s[34:35], vcc, exec
	s_or_b64 s[28:29], s[28:29], s[34:35]
.LBB913_48:                             ;   in Loop: Header=BB913_49 Depth=1
	s_and_b64 s[34:35], exec, s[28:29]
	s_or_b64 s[26:27], s[34:35], s[26:27]
	v_mov_b64_e32 v[32:33], s[30:31]
	s_andn2_b64 exec, exec, s[26:27]
	s_cbranch_execz .LBB913_51
.LBB913_49:                             ; =>This Inner Loop Header: Depth=1
	s_or_b64 s[28:29], s[28:29], exec
	s_cmp_eq_u64 s[24:25], s[30:31]
	s_cbranch_scc0 .LBB913_47
; %bb.50:                               ;   in Loop: Header=BB913_49 Depth=1
                                        ; implicit-def: $vgpr30_vgpr31
                                        ; implicit-def: $vgpr26_vgpr27
	s_mov_b64 s[30:31], s[12:13]
	s_branch .LBB913_48
.LBB913_51:
	s_or_b64 exec, exec, s[26:27]
	v_cmp_gt_i64_e32 vcc, s[12:13], v[32:33]
	s_mov_b32 s7, 0
	v_mov_b32_e32 v53, s7
	v_cndmask_b32_e64 v52, 0, 1, vcc
.LBB913_52:
	s_or_b64 exec, exec, s[18:19]
.LBB913_53:
	v_mul_lo_u32 v1, v21, s12
	v_mul_lo_u32 v30, v20, s13
	v_mad_u64_u32 v[26:27], s[18:19], v20, s12, 0
	v_add3_u32 v27, v27, v30, v1
	s_and_b64 vcc, exec, s[2:3]
	v_lshl_add_u64 v[26:27], v[26:27], 2, s[14:15]
	s_cbranch_vccnz .LBB913_62
; %bb.54:
	global_load_dword v1, v[28:29], off
	global_load_dword v30, v[26:27], off
	v_mov_b64_e32 v[46:47], 1
	s_waitcnt vmcnt(0)
	v_cmp_eq_f32_e32 vcc, v1, v30
	s_and_saveexec_b64 s[18:19], vcc
	s_cbranch_execz .LBB913_61
; %bb.55:
	s_add_u32 s24, s12, -1
	v_lshl_add_u64 v[30:31], v[26:27], 0, 4
	v_lshl_add_u64 v[28:29], v[28:29], 0, 4
	s_addc_u32 s25, s13, -1
	s_mov_b64 s[26:27], 0
	s_mov_b64 s[30:31], 0
                                        ; implicit-def: $sgpr28_sgpr29
	s_branch .LBB913_58
.LBB913_56:                             ;   in Loop: Header=BB913_58 Depth=1
	global_load_dword v1, v[28:29], off
	global_load_dword v32, v[30:31], off
	s_add_u32 s30, s30, 1
	s_addc_u32 s31, s31, 0
	s_andn2_b64 s[28:29], s[28:29], exec
	v_lshl_add_u64 v[30:31], v[30:31], 0, 4
	v_lshl_add_u64 v[28:29], v[28:29], 0, 4
	s_waitcnt vmcnt(0)
	v_cmp_neq_f32_e32 vcc, v1, v32
	s_and_b64 s[34:35], vcc, exec
	s_or_b64 s[28:29], s[28:29], s[34:35]
.LBB913_57:                             ;   in Loop: Header=BB913_58 Depth=1
	s_and_b64 s[34:35], exec, s[28:29]
	s_or_b64 s[26:27], s[34:35], s[26:27]
	v_mov_b64_e32 v[32:33], s[30:31]
	s_andn2_b64 exec, exec, s[26:27]
	s_cbranch_execz .LBB913_60
.LBB913_58:                             ; =>This Inner Loop Header: Depth=1
	s_or_b64 s[28:29], s[28:29], exec
	s_cmp_eq_u64 s[24:25], s[30:31]
	s_cbranch_scc0 .LBB913_56
; %bb.59:                               ;   in Loop: Header=BB913_58 Depth=1
                                        ; implicit-def: $vgpr30_vgpr31
                                        ; implicit-def: $vgpr28_vgpr29
	s_mov_b64 s[30:31], s[12:13]
	s_branch .LBB913_57
.LBB913_60:
	s_or_b64 exec, exec, s[26:27]
	v_cmp_gt_i64_e32 vcc, s[12:13], v[32:33]
	s_mov_b32 s7, 0
	v_mov_b32_e32 v47, s7
	v_cndmask_b32_e64 v46, 0, 1, vcc
.LBB913_61:
	s_or_b64 exec, exec, s[18:19]
.LBB913_62:
	v_mul_lo_u32 v1, v19, s12
	v_mul_lo_u32 v30, v18, s13
	v_mad_u64_u32 v[28:29], s[18:19], v18, s12, 0
	v_add3_u32 v29, v29, v30, v1
	v_mov_b64_e32 v[56:57], 0
	s_and_b64 vcc, exec, s[2:3]
	v_lshl_add_u64 v[28:29], v[28:29], 2, s[14:15]
	v_mov_b64_e32 v[54:55], v[56:57]
	s_cbranch_vccnz .LBB913_71
; %bb.63:
	global_load_dword v1, v[26:27], off
	global_load_dword v30, v[28:29], off
	v_mov_b64_e32 v[54:55], 1
	s_waitcnt vmcnt(0)
	v_cmp_eq_f32_e32 vcc, v1, v30
	s_and_saveexec_b64 s[18:19], vcc
	s_cbranch_execz .LBB913_70
; %bb.64:
	s_add_u32 s24, s12, -1
	v_lshl_add_u64 v[30:31], v[28:29], 0, 4
	v_lshl_add_u64 v[26:27], v[26:27], 0, 4
	s_addc_u32 s25, s13, -1
	s_mov_b64 s[26:27], 0
	s_mov_b64 s[30:31], 0
                                        ; implicit-def: $sgpr28_sgpr29
	s_branch .LBB913_67
.LBB913_65:                             ;   in Loop: Header=BB913_67 Depth=1
	global_load_dword v1, v[26:27], off
	global_load_dword v32, v[30:31], off
	s_add_u32 s30, s30, 1
	s_addc_u32 s31, s31, 0
	s_andn2_b64 s[28:29], s[28:29], exec
	v_lshl_add_u64 v[30:31], v[30:31], 0, 4
	v_lshl_add_u64 v[26:27], v[26:27], 0, 4
	s_waitcnt vmcnt(0)
	v_cmp_neq_f32_e32 vcc, v1, v32
	s_and_b64 s[34:35], vcc, exec
	s_or_b64 s[28:29], s[28:29], s[34:35]
.LBB913_66:                             ;   in Loop: Header=BB913_67 Depth=1
	s_and_b64 s[34:35], exec, s[28:29]
	s_or_b64 s[26:27], s[34:35], s[26:27]
	v_mov_b64_e32 v[32:33], s[30:31]
	s_andn2_b64 exec, exec, s[26:27]
	s_cbranch_execz .LBB913_69
.LBB913_67:                             ; =>This Inner Loop Header: Depth=1
	s_or_b64 s[28:29], s[28:29], exec
	s_cmp_eq_u64 s[24:25], s[30:31]
	s_cbranch_scc0 .LBB913_65
; %bb.68:                               ;   in Loop: Header=BB913_67 Depth=1
                                        ; implicit-def: $vgpr30_vgpr31
                                        ; implicit-def: $vgpr26_vgpr27
	s_mov_b64 s[30:31], s[12:13]
	s_branch .LBB913_66
.LBB913_69:
	s_or_b64 exec, exec, s[26:27]
	v_cmp_gt_i64_e32 vcc, s[12:13], v[32:33]
	s_mov_b32 s7, 0
	v_mov_b32_e32 v55, s7
	v_cndmask_b32_e64 v54, 0, 1, vcc
.LBB913_70:
	s_or_b64 exec, exec, s[18:19]
.LBB913_71:
	v_mul_lo_u32 v1, v17, s12
	v_mul_lo_u32 v30, v16, s13
	v_mad_u64_u32 v[26:27], s[18:19], v16, s12, 0
	v_add3_u32 v27, v27, v30, v1
	s_and_b64 vcc, exec, s[2:3]
	v_lshl_add_u64 v[26:27], v[26:27], 2, s[14:15]
	s_cbranch_vccnz .LBB913_80
; %bb.72:
	global_load_dword v1, v[28:29], off
	global_load_dword v30, v[26:27], off
	v_mov_b64_e32 v[56:57], 1
	s_waitcnt vmcnt(0)
	v_cmp_eq_f32_e32 vcc, v1, v30
	s_and_saveexec_b64 s[18:19], vcc
	s_cbranch_execz .LBB913_79
; %bb.73:
	s_add_u32 s24, s12, -1
	v_lshl_add_u64 v[30:31], v[26:27], 0, 4
	v_lshl_add_u64 v[28:29], v[28:29], 0, 4
	s_addc_u32 s25, s13, -1
	s_mov_b64 s[26:27], 0
	s_mov_b64 s[30:31], 0
                                        ; implicit-def: $sgpr28_sgpr29
	s_branch .LBB913_76
.LBB913_74:                             ;   in Loop: Header=BB913_76 Depth=1
	global_load_dword v1, v[28:29], off
	global_load_dword v32, v[30:31], off
	s_add_u32 s30, s30, 1
	s_addc_u32 s31, s31, 0
	s_andn2_b64 s[28:29], s[28:29], exec
	v_lshl_add_u64 v[30:31], v[30:31], 0, 4
	v_lshl_add_u64 v[28:29], v[28:29], 0, 4
	s_waitcnt vmcnt(0)
	v_cmp_neq_f32_e32 vcc, v1, v32
	s_and_b64 s[34:35], vcc, exec
	s_or_b64 s[28:29], s[28:29], s[34:35]
.LBB913_75:                             ;   in Loop: Header=BB913_76 Depth=1
	s_and_b64 s[34:35], exec, s[28:29]
	s_or_b64 s[26:27], s[34:35], s[26:27]
	v_mov_b64_e32 v[32:33], s[30:31]
	s_andn2_b64 exec, exec, s[26:27]
	s_cbranch_execz .LBB913_78
.LBB913_76:                             ; =>This Inner Loop Header: Depth=1
	s_or_b64 s[28:29], s[28:29], exec
	s_cmp_eq_u64 s[24:25], s[30:31]
	s_cbranch_scc0 .LBB913_74
; %bb.77:                               ;   in Loop: Header=BB913_76 Depth=1
                                        ; implicit-def: $vgpr30_vgpr31
                                        ; implicit-def: $vgpr28_vgpr29
	s_mov_b64 s[30:31], s[12:13]
	s_branch .LBB913_75
.LBB913_78:
	s_or_b64 exec, exec, s[26:27]
	v_cmp_gt_i64_e32 vcc, s[12:13], v[32:33]
	s_mov_b32 s7, 0
	v_mov_b32_e32 v57, s7
	v_cndmask_b32_e64 v56, 0, 1, vcc
.LBB913_79:
	s_or_b64 exec, exec, s[18:19]
.LBB913_80:
	v_mul_lo_u32 v1, v15, s12
	v_mul_lo_u32 v30, v14, s13
	v_mad_u64_u32 v[28:29], s[18:19], v14, s12, 0
	v_add3_u32 v29, v29, v30, v1
	v_mov_b64_e32 v[60:61], 0
	s_and_b64 vcc, exec, s[2:3]
	v_lshl_add_u64 v[28:29], v[28:29], 2, s[14:15]
	v_mov_b64_e32 v[58:59], v[60:61]
	s_cbranch_vccnz .LBB913_89
; %bb.81:
	global_load_dword v1, v[26:27], off
	global_load_dword v30, v[28:29], off
	v_mov_b64_e32 v[58:59], 1
	s_waitcnt vmcnt(0)
	v_cmp_eq_f32_e32 vcc, v1, v30
	s_and_saveexec_b64 s[18:19], vcc
	s_cbranch_execz .LBB913_88
; %bb.82:
	s_add_u32 s24, s12, -1
	v_lshl_add_u64 v[30:31], v[28:29], 0, 4
	v_lshl_add_u64 v[26:27], v[26:27], 0, 4
	s_addc_u32 s25, s13, -1
	s_mov_b64 s[26:27], 0
	s_mov_b64 s[30:31], 0
                                        ; implicit-def: $sgpr28_sgpr29
	s_branch .LBB913_85
.LBB913_83:                             ;   in Loop: Header=BB913_85 Depth=1
	global_load_dword v1, v[26:27], off
	global_load_dword v32, v[30:31], off
	s_add_u32 s30, s30, 1
	s_addc_u32 s31, s31, 0
	s_andn2_b64 s[28:29], s[28:29], exec
	v_lshl_add_u64 v[30:31], v[30:31], 0, 4
	v_lshl_add_u64 v[26:27], v[26:27], 0, 4
	s_waitcnt vmcnt(0)
	v_cmp_neq_f32_e32 vcc, v1, v32
	s_and_b64 s[34:35], vcc, exec
	s_or_b64 s[28:29], s[28:29], s[34:35]
.LBB913_84:                             ;   in Loop: Header=BB913_85 Depth=1
	s_and_b64 s[34:35], exec, s[28:29]
	s_or_b64 s[26:27], s[34:35], s[26:27]
	v_mov_b64_e32 v[32:33], s[30:31]
	s_andn2_b64 exec, exec, s[26:27]
	s_cbranch_execz .LBB913_87
.LBB913_85:                             ; =>This Inner Loop Header: Depth=1
	s_or_b64 s[28:29], s[28:29], exec
	s_cmp_eq_u64 s[24:25], s[30:31]
	s_cbranch_scc0 .LBB913_83
; %bb.86:                               ;   in Loop: Header=BB913_85 Depth=1
                                        ; implicit-def: $vgpr30_vgpr31
                                        ; implicit-def: $vgpr26_vgpr27
	s_mov_b64 s[30:31], s[12:13]
	s_branch .LBB913_84
.LBB913_87:
	s_or_b64 exec, exec, s[26:27]
	v_cmp_gt_i64_e32 vcc, s[12:13], v[32:33]
	s_mov_b32 s7, 0
	v_mov_b32_e32 v59, s7
	v_cndmask_b32_e64 v58, 0, 1, vcc
.LBB913_88:
	s_or_b64 exec, exec, s[18:19]
.LBB913_89:
	v_mul_lo_u32 v1, v13, s12
	v_mul_lo_u32 v30, v12, s13
	v_mad_u64_u32 v[26:27], s[18:19], v12, s12, 0
	v_add3_u32 v27, v27, v30, v1
	s_and_b64 vcc, exec, s[2:3]
	v_lshl_add_u64 v[26:27], v[26:27], 2, s[14:15]
	s_cbranch_vccnz .LBB913_98
; %bb.90:
	global_load_dword v1, v[28:29], off
	global_load_dword v30, v[26:27], off
	v_mov_b64_e32 v[60:61], 1
	s_waitcnt vmcnt(0)
	v_cmp_eq_f32_e32 vcc, v1, v30
	s_and_saveexec_b64 s[18:19], vcc
	s_cbranch_execz .LBB913_97
; %bb.91:
	s_add_u32 s24, s12, -1
	v_lshl_add_u64 v[30:31], v[26:27], 0, 4
	v_lshl_add_u64 v[28:29], v[28:29], 0, 4
	s_addc_u32 s25, s13, -1
	s_mov_b64 s[26:27], 0
	s_mov_b64 s[30:31], 0
                                        ; implicit-def: $sgpr28_sgpr29
	s_branch .LBB913_94
.LBB913_92:                             ;   in Loop: Header=BB913_94 Depth=1
	global_load_dword v1, v[28:29], off
	global_load_dword v32, v[30:31], off
	s_add_u32 s30, s30, 1
	s_addc_u32 s31, s31, 0
	s_andn2_b64 s[28:29], s[28:29], exec
	v_lshl_add_u64 v[30:31], v[30:31], 0, 4
	v_lshl_add_u64 v[28:29], v[28:29], 0, 4
	s_waitcnt vmcnt(0)
	v_cmp_neq_f32_e32 vcc, v1, v32
	s_and_b64 s[34:35], vcc, exec
	s_or_b64 s[28:29], s[28:29], s[34:35]
.LBB913_93:                             ;   in Loop: Header=BB913_94 Depth=1
	s_and_b64 s[34:35], exec, s[28:29]
	s_or_b64 s[26:27], s[34:35], s[26:27]
	v_mov_b64_e32 v[32:33], s[30:31]
	s_andn2_b64 exec, exec, s[26:27]
	s_cbranch_execz .LBB913_96
.LBB913_94:                             ; =>This Inner Loop Header: Depth=1
	s_or_b64 s[28:29], s[28:29], exec
	s_cmp_eq_u64 s[24:25], s[30:31]
	s_cbranch_scc0 .LBB913_92
; %bb.95:                               ;   in Loop: Header=BB913_94 Depth=1
                                        ; implicit-def: $vgpr30_vgpr31
                                        ; implicit-def: $vgpr28_vgpr29
	s_mov_b64 s[30:31], s[12:13]
	s_branch .LBB913_93
.LBB913_96:
	s_or_b64 exec, exec, s[26:27]
	v_cmp_gt_i64_e32 vcc, s[12:13], v[32:33]
	s_mov_b32 s7, 0
	v_mov_b32_e32 v61, s7
	v_cndmask_b32_e64 v60, 0, 1, vcc
.LBB913_97:
	s_or_b64 exec, exec, s[18:19]
.LBB913_98:
	v_mul_lo_u32 v1, v11, s12
	v_mul_lo_u32 v30, v10, s13
	v_mad_u64_u32 v[28:29], s[18:19], v10, s12, 0
	v_add3_u32 v29, v29, v30, v1
	v_mov_b64_e32 v[64:65], 0
	s_and_b64 vcc, exec, s[2:3]
	v_lshl_add_u64 v[28:29], v[28:29], 2, s[14:15]
	v_mov_b64_e32 v[62:63], v[64:65]
	s_cbranch_vccnz .LBB913_107
; %bb.99:
	global_load_dword v1, v[26:27], off
	global_load_dword v30, v[28:29], off
	v_mov_b64_e32 v[62:63], 1
	s_waitcnt vmcnt(0)
	v_cmp_eq_f32_e32 vcc, v1, v30
	s_and_saveexec_b64 s[18:19], vcc
	s_cbranch_execz .LBB913_106
; %bb.100:
	s_add_u32 s24, s12, -1
	v_lshl_add_u64 v[30:31], v[28:29], 0, 4
	v_lshl_add_u64 v[26:27], v[26:27], 0, 4
	s_addc_u32 s25, s13, -1
	s_mov_b64 s[26:27], 0
	s_mov_b64 s[30:31], 0
                                        ; implicit-def: $sgpr28_sgpr29
	s_branch .LBB913_103
.LBB913_101:                            ;   in Loop: Header=BB913_103 Depth=1
	global_load_dword v1, v[26:27], off
	global_load_dword v32, v[30:31], off
	s_add_u32 s30, s30, 1
	s_addc_u32 s31, s31, 0
	s_andn2_b64 s[28:29], s[28:29], exec
	v_lshl_add_u64 v[30:31], v[30:31], 0, 4
	v_lshl_add_u64 v[26:27], v[26:27], 0, 4
	s_waitcnt vmcnt(0)
	v_cmp_neq_f32_e32 vcc, v1, v32
	s_and_b64 s[34:35], vcc, exec
	s_or_b64 s[28:29], s[28:29], s[34:35]
.LBB913_102:                            ;   in Loop: Header=BB913_103 Depth=1
	s_and_b64 s[34:35], exec, s[28:29]
	s_or_b64 s[26:27], s[34:35], s[26:27]
	v_mov_b64_e32 v[32:33], s[30:31]
	s_andn2_b64 exec, exec, s[26:27]
	s_cbranch_execz .LBB913_105
.LBB913_103:                            ; =>This Inner Loop Header: Depth=1
	s_or_b64 s[28:29], s[28:29], exec
	s_cmp_eq_u64 s[24:25], s[30:31]
	s_cbranch_scc0 .LBB913_101
; %bb.104:                              ;   in Loop: Header=BB913_103 Depth=1
                                        ; implicit-def: $vgpr30_vgpr31
                                        ; implicit-def: $vgpr26_vgpr27
	s_mov_b64 s[30:31], s[12:13]
	s_branch .LBB913_102
.LBB913_105:
	s_or_b64 exec, exec, s[26:27]
	v_cmp_gt_i64_e32 vcc, s[12:13], v[32:33]
	s_mov_b32 s7, 0
	v_mov_b32_e32 v63, s7
	v_cndmask_b32_e64 v62, 0, 1, vcc
.LBB913_106:
	s_or_b64 exec, exec, s[18:19]
.LBB913_107:
	v_mul_lo_u32 v1, v9, s12
	v_mul_lo_u32 v30, v8, s13
	v_mad_u64_u32 v[26:27], s[18:19], v8, s12, 0
	v_add3_u32 v27, v27, v30, v1
	s_and_b64 vcc, exec, s[2:3]
	v_lshl_add_u64 v[26:27], v[26:27], 2, s[14:15]
	s_cbranch_vccnz .LBB913_116
; %bb.108:
	global_load_dword v1, v[28:29], off
	global_load_dword v30, v[26:27], off
	v_mov_b64_e32 v[64:65], 1
	s_waitcnt vmcnt(0)
	v_cmp_eq_f32_e32 vcc, v1, v30
	s_and_saveexec_b64 s[18:19], vcc
	s_cbranch_execz .LBB913_115
; %bb.109:
	s_add_u32 s24, s12, -1
	v_lshl_add_u64 v[30:31], v[26:27], 0, 4
	v_lshl_add_u64 v[28:29], v[28:29], 0, 4
	s_addc_u32 s25, s13, -1
	s_mov_b64 s[26:27], 0
	s_mov_b64 s[30:31], 0
                                        ; implicit-def: $sgpr28_sgpr29
	s_branch .LBB913_112
.LBB913_110:                            ;   in Loop: Header=BB913_112 Depth=1
	global_load_dword v1, v[28:29], off
	global_load_dword v32, v[30:31], off
	s_add_u32 s30, s30, 1
	s_addc_u32 s31, s31, 0
	s_andn2_b64 s[28:29], s[28:29], exec
	v_lshl_add_u64 v[30:31], v[30:31], 0, 4
	v_lshl_add_u64 v[28:29], v[28:29], 0, 4
	s_waitcnt vmcnt(0)
	v_cmp_neq_f32_e32 vcc, v1, v32
	s_and_b64 s[34:35], vcc, exec
	s_or_b64 s[28:29], s[28:29], s[34:35]
.LBB913_111:                            ;   in Loop: Header=BB913_112 Depth=1
	s_and_b64 s[34:35], exec, s[28:29]
	s_or_b64 s[26:27], s[34:35], s[26:27]
	v_mov_b64_e32 v[32:33], s[30:31]
	s_andn2_b64 exec, exec, s[26:27]
	s_cbranch_execz .LBB913_114
.LBB913_112:                            ; =>This Inner Loop Header: Depth=1
	s_or_b64 s[28:29], s[28:29], exec
	s_cmp_eq_u64 s[24:25], s[30:31]
	s_cbranch_scc0 .LBB913_110
; %bb.113:                              ;   in Loop: Header=BB913_112 Depth=1
                                        ; implicit-def: $vgpr30_vgpr31
                                        ; implicit-def: $vgpr28_vgpr29
	s_mov_b64 s[30:31], s[12:13]
	s_branch .LBB913_111
.LBB913_114:
	s_or_b64 exec, exec, s[26:27]
	v_cmp_gt_i64_e32 vcc, s[12:13], v[32:33]
	s_mov_b32 s7, 0
	v_mov_b32_e32 v65, s7
	v_cndmask_b32_e64 v64, 0, 1, vcc
.LBB913_115:
	s_or_b64 exec, exec, s[18:19]
.LBB913_116:
	v_mul_lo_u32 v1, v7, s12
	v_mul_lo_u32 v30, v6, s13
	v_mad_u64_u32 v[28:29], s[18:19], v6, s12, 0
	v_add3_u32 v29, v29, v30, v1
	v_mov_b64_e32 v[68:69], 0
	s_and_b64 vcc, exec, s[2:3]
	v_lshl_add_u64 v[28:29], v[28:29], 2, s[14:15]
	v_mov_b64_e32 v[66:67], v[68:69]
	s_cbranch_vccnz .LBB913_125
; %bb.117:
	global_load_dword v1, v[26:27], off
	global_load_dword v30, v[28:29], off
	v_mov_b64_e32 v[66:67], 1
	s_waitcnt vmcnt(0)
	v_cmp_eq_f32_e32 vcc, v1, v30
	s_and_saveexec_b64 s[18:19], vcc
	s_cbranch_execz .LBB913_124
; %bb.118:
	s_add_u32 s24, s12, -1
	v_lshl_add_u64 v[30:31], v[28:29], 0, 4
	v_lshl_add_u64 v[26:27], v[26:27], 0, 4
	s_addc_u32 s25, s13, -1
	s_mov_b64 s[26:27], 0
	s_mov_b64 s[30:31], 0
                                        ; implicit-def: $sgpr28_sgpr29
	s_branch .LBB913_121
.LBB913_119:                            ;   in Loop: Header=BB913_121 Depth=1
	global_load_dword v1, v[26:27], off
	global_load_dword v32, v[30:31], off
	s_add_u32 s30, s30, 1
	s_addc_u32 s31, s31, 0
	s_andn2_b64 s[28:29], s[28:29], exec
	v_lshl_add_u64 v[30:31], v[30:31], 0, 4
	v_lshl_add_u64 v[26:27], v[26:27], 0, 4
	s_waitcnt vmcnt(0)
	v_cmp_neq_f32_e32 vcc, v1, v32
	s_and_b64 s[34:35], vcc, exec
	s_or_b64 s[28:29], s[28:29], s[34:35]
.LBB913_120:                            ;   in Loop: Header=BB913_121 Depth=1
	s_and_b64 s[34:35], exec, s[28:29]
	s_or_b64 s[26:27], s[34:35], s[26:27]
	v_mov_b64_e32 v[32:33], s[30:31]
	s_andn2_b64 exec, exec, s[26:27]
	s_cbranch_execz .LBB913_123
.LBB913_121:                            ; =>This Inner Loop Header: Depth=1
	s_or_b64 s[28:29], s[28:29], exec
	s_cmp_eq_u64 s[24:25], s[30:31]
	s_cbranch_scc0 .LBB913_119
; %bb.122:                              ;   in Loop: Header=BB913_121 Depth=1
                                        ; implicit-def: $vgpr30_vgpr31
                                        ; implicit-def: $vgpr26_vgpr27
	s_mov_b64 s[30:31], s[12:13]
	s_branch .LBB913_120
.LBB913_123:
	s_or_b64 exec, exec, s[26:27]
	v_cmp_gt_i64_e32 vcc, s[12:13], v[32:33]
	s_mov_b32 s7, 0
	v_mov_b32_e32 v67, s7
	v_cndmask_b32_e64 v66, 0, 1, vcc
.LBB913_124:
	s_or_b64 exec, exec, s[18:19]
.LBB913_125:
	v_mul_lo_u32 v1, v5, s12
	v_mul_lo_u32 v30, v4, s13
	v_mad_u64_u32 v[26:27], s[18:19], v4, s12, 0
	v_add3_u32 v27, v27, v30, v1
	s_and_b64 vcc, exec, s[2:3]
	v_lshl_add_u64 v[26:27], v[26:27], 2, s[14:15]
	s_cbranch_vccnz .LBB913_134
; %bb.126:
	global_load_dword v1, v[28:29], off
	global_load_dword v30, v[26:27], off
	v_mov_b64_e32 v[68:69], 1
	s_waitcnt vmcnt(0)
	v_cmp_eq_f32_e32 vcc, v1, v30
	s_and_saveexec_b64 s[18:19], vcc
	s_cbranch_execz .LBB913_133
; %bb.127:
	s_add_u32 s24, s12, -1
	v_lshl_add_u64 v[30:31], v[26:27], 0, 4
	v_lshl_add_u64 v[28:29], v[28:29], 0, 4
	s_addc_u32 s25, s13, -1
	s_mov_b64 s[26:27], 0
	s_mov_b64 s[30:31], 0
                                        ; implicit-def: $sgpr28_sgpr29
	s_branch .LBB913_130
.LBB913_128:                            ;   in Loop: Header=BB913_130 Depth=1
	global_load_dword v1, v[28:29], off
	global_load_dword v32, v[30:31], off
	s_add_u32 s30, s30, 1
	s_addc_u32 s31, s31, 0
	s_andn2_b64 s[28:29], s[28:29], exec
	v_lshl_add_u64 v[30:31], v[30:31], 0, 4
	v_lshl_add_u64 v[28:29], v[28:29], 0, 4
	s_waitcnt vmcnt(0)
	v_cmp_neq_f32_e32 vcc, v1, v32
	s_and_b64 s[34:35], vcc, exec
	s_or_b64 s[28:29], s[28:29], s[34:35]
.LBB913_129:                            ;   in Loop: Header=BB913_130 Depth=1
	s_and_b64 s[34:35], exec, s[28:29]
	s_or_b64 s[26:27], s[34:35], s[26:27]
	v_mov_b64_e32 v[32:33], s[30:31]
	s_andn2_b64 exec, exec, s[26:27]
	s_cbranch_execz .LBB913_132
.LBB913_130:                            ; =>This Inner Loop Header: Depth=1
	s_or_b64 s[28:29], s[28:29], exec
	s_cmp_eq_u64 s[24:25], s[30:31]
	s_cbranch_scc0 .LBB913_128
; %bb.131:                              ;   in Loop: Header=BB913_130 Depth=1
                                        ; implicit-def: $vgpr30_vgpr31
                                        ; implicit-def: $vgpr28_vgpr29
	s_mov_b64 s[30:31], s[12:13]
	s_branch .LBB913_129
.LBB913_132:
	s_or_b64 exec, exec, s[26:27]
	v_cmp_gt_i64_e32 vcc, s[12:13], v[32:33]
	s_mov_b32 s7, 0
	v_mov_b32_e32 v69, s7
	v_cndmask_b32_e64 v68, 0, 1, vcc
.LBB913_133:
	s_or_b64 exec, exec, s[18:19]
.LBB913_134:
	s_and_b64 vcc, exec, s[2:3]
	s_cbranch_vccnz .LBB913_141
; %bb.135:
	v_mul_lo_u32 v1, v3, s12
	v_mul_lo_u32 v30, v2, s13
	v_mad_u64_u32 v[28:29], s[18:19], v2, s12, 0
	v_add3_u32 v29, v29, v30, v1
	v_lshl_add_u64 v[28:29], v[28:29], 2, s[14:15]
	global_load_dword v1, v[26:27], off
	global_load_dword v30, v[28:29], off
	v_mov_b64_e32 v[70:71], 1
	s_waitcnt vmcnt(0)
	v_cmp_eq_f32_e32 vcc, v1, v30
	s_and_saveexec_b64 s[18:19], vcc
	s_cbranch_execz .LBB913_143
; %bb.136:
	s_add_u32 s24, s12, -1
	v_lshl_add_u64 v[28:29], v[28:29], 0, 4
	v_lshl_add_u64 v[26:27], v[26:27], 0, 4
	s_addc_u32 s25, s13, -1
	s_mov_b64 s[26:27], 0
	s_mov_b64 s[30:31], 0
                                        ; implicit-def: $sgpr28_sgpr29
	s_branch .LBB913_139
.LBB913_137:                            ;   in Loop: Header=BB913_139 Depth=1
	global_load_dword v1, v[26:27], off
	global_load_dword v30, v[28:29], off
	s_add_u32 s30, s30, 1
	s_addc_u32 s31, s31, 0
	s_andn2_b64 s[28:29], s[28:29], exec
	v_lshl_add_u64 v[28:29], v[28:29], 0, 4
	v_lshl_add_u64 v[26:27], v[26:27], 0, 4
	s_waitcnt vmcnt(0)
	v_cmp_neq_f32_e32 vcc, v1, v30
	s_and_b64 s[34:35], vcc, exec
	s_or_b64 s[28:29], s[28:29], s[34:35]
.LBB913_138:                            ;   in Loop: Header=BB913_139 Depth=1
	s_and_b64 s[34:35], exec, s[28:29]
	s_or_b64 s[26:27], s[34:35], s[26:27]
	v_mov_b64_e32 v[30:31], s[30:31]
	s_andn2_b64 exec, exec, s[26:27]
	s_cbranch_execz .LBB913_142
.LBB913_139:                            ; =>This Inner Loop Header: Depth=1
	s_or_b64 s[28:29], s[28:29], exec
	s_cmp_eq_u64 s[24:25], s[30:31]
	s_cbranch_scc0 .LBB913_137
; %bb.140:                              ;   in Loop: Header=BB913_139 Depth=1
                                        ; implicit-def: $vgpr28_vgpr29
                                        ; implicit-def: $vgpr26_vgpr27
	s_mov_b64 s[30:31], s[12:13]
	s_branch .LBB913_138
.LBB913_141:
	v_mov_b64_e32 v[70:71], 0
	s_branch .LBB913_144
.LBB913_142:
	s_or_b64 exec, exec, s[26:27]
	v_cmp_gt_i64_e32 vcc, s[12:13], v[30:31]
	s_mov_b32 s7, 0
	v_mov_b32_e32 v71, s7
	v_cndmask_b32_e64 v70, 0, 1, vcc
.LBB913_143:
	s_or_b64 exec, exec, s[18:19]
.LBB913_144:
	v_cmp_ne_u32_e32 vcc, 0, v0
	s_waitcnt lgkmcnt(0)
	v_mov_b64_e32 v[26:27], s[20:21]
	s_waitcnt lgkmcnt(0)
	; wave barrier
	s_and_saveexec_b64 s[18:19], vcc
	s_cbranch_execz .LBB913_146
; %bb.145:
	v_add_u32_e32 v1, -8, v48
	ds_read_b64 v[26:27], v1
.LBB913_146:
	s_or_b64 exec, exec, s[18:19]
	s_mov_b64 s[26:27], 0
	s_and_b64 vcc, exec, s[2:3]
	s_mov_b64 s[24:25], 0
	s_cbranch_vccnz .LBB913_155
; %bb.147:
	v_mul_lo_u32 v1, v3, s12
	v_mul_lo_u32 v30, v2, s13
	v_mad_u64_u32 v[28:29], s[2:3], v2, s12, 0
	v_add3_u32 v29, v29, v30, v1
	s_waitcnt lgkmcnt(0)
	v_mul_lo_u32 v1, v27, s12
	v_mul_lo_u32 v30, v26, s13
	v_mad_u64_u32 v[26:27], s[2:3], v26, s12, 0
	v_add3_u32 v27, v27, v30, v1
	v_lshl_add_u64 v[28:29], v[28:29], 2, s[14:15]
	v_lshl_add_u64 v[26:27], v[26:27], 2, s[14:15]
	global_load_dword v1, v[28:29], off
	global_load_dword v30, v[26:27], off
	s_mov_b64 s[24:25], -1
	s_waitcnt vmcnt(0)
	v_cmp_eq_f32_e32 vcc, v1, v30
	s_and_saveexec_b64 s[2:3], vcc
	s_cbranch_execz .LBB913_154
; %bb.148:
	s_add_u32 s18, s12, -1
	v_lshl_add_u64 v[26:27], v[26:27], 0, 4
	v_lshl_add_u64 v[28:29], v[28:29], 0, 4
	s_addc_u32 s19, s13, -1
	s_mov_b64 s[24:25], 0
	s_mov_b64 s[30:31], 0
                                        ; implicit-def: $sgpr28_sgpr29
	s_branch .LBB913_151
.LBB913_149:                            ;   in Loop: Header=BB913_151 Depth=1
	global_load_dword v1, v[28:29], off
	global_load_dword v30, v[26:27], off
	s_add_u32 s30, s30, 1
	s_addc_u32 s31, s31, 0
	s_andn2_b64 s[28:29], s[28:29], exec
	v_lshl_add_u64 v[26:27], v[26:27], 0, 4
	v_lshl_add_u64 v[28:29], v[28:29], 0, 4
	s_waitcnt vmcnt(0)
	v_cmp_neq_f32_e32 vcc, v1, v30
	s_and_b64 s[34:35], vcc, exec
	s_or_b64 s[28:29], s[28:29], s[34:35]
.LBB913_150:                            ;   in Loop: Header=BB913_151 Depth=1
	s_and_b64 s[34:35], exec, s[28:29]
	s_or_b64 s[24:25], s[34:35], s[24:25]
	v_mov_b64_e32 v[30:31], s[30:31]
	s_andn2_b64 exec, exec, s[24:25]
	s_cbranch_execz .LBB913_153
.LBB913_151:                            ; =>This Inner Loop Header: Depth=1
	s_or_b64 s[28:29], s[28:29], exec
	s_cmp_eq_u64 s[18:19], s[30:31]
	s_cbranch_scc0 .LBB913_149
; %bb.152:                              ;   in Loop: Header=BB913_151 Depth=1
                                        ; implicit-def: $vgpr26_vgpr27
                                        ; implicit-def: $vgpr28_vgpr29
	s_mov_b64 s[30:31], s[12:13]
	s_branch .LBB913_150
.LBB913_153:
	s_or_b64 exec, exec, s[24:25]
	v_cmp_gt_i64_e32 vcc, s[12:13], v[30:31]
	s_orn2_b64 s[24:25], vcc, exec
.LBB913_154:
	s_or_b64 exec, exec, s[2:3]
.LBB913_155:
	s_mov_b64 s[18:19], -1
	s_and_b64 vcc, exec, s[26:27]
	s_cbranch_vccz .LBB913_41
.LBB913_156:
	s_mul_i32 s7, s22, 0xfffffcc0
	s_add_i32 s7, s7, s10
	s_waitcnt lgkmcnt(0)
	v_mad_u32_u24 v26, v0, 13, 12
	v_cmp_gt_i64_e64 s[2:3], s[12:13], 0
	v_cmp_gt_u32_e32 vcc, s7, v26
	v_mul_u32_u24_e32 v1, 13, v0
	v_cndmask_b32_e64 v26, 0, 1, s[2:3]
	v_cmp_ne_u32_e64 s[2:3], 1, v26
	v_mov_b64_e32 v[50:51], v[44:45]
	ds_write_b64 v48, v[44:45]
	s_and_saveexec_b64 s[22:23], vcc
	s_cbranch_execz .LBB913_167
; %bb.157:
	s_and_b64 vcc, exec, s[2:3]
	s_cbranch_vccnz .LBB913_164
; %bb.158:
	v_mul_lo_u32 v28, v45, s12
	v_mul_lo_u32 v29, v44, s13
	v_mad_u64_u32 v[26:27], s[24:25], v44, s12, 0
	v_add3_u32 v27, v27, v29, v28
	v_mul_lo_u32 v28, v25, s12
	v_mul_lo_u32 v29, v24, s13
	v_mad_u64_u32 v[30:31], s[24:25], v24, s12, 0
	v_add3_u32 v31, v31, v29, v28
	v_lshl_add_u64 v[28:29], v[26:27], 2, s[14:15]
	v_lshl_add_u64 v[26:27], v[30:31], 2, s[14:15]
	global_load_dword v30, v[28:29], off
	global_load_dword v31, v[26:27], off
	v_mov_b64_e32 v[50:51], 1
	s_waitcnt vmcnt(0)
	v_cmp_eq_f32_e32 vcc, v30, v31
	s_and_saveexec_b64 s[24:25], vcc
	s_cbranch_execz .LBB913_166
; %bb.159:
	s_add_u32 s26, s12, -1
	v_lshl_add_u64 v[26:27], v[26:27], 0, 4
	v_lshl_add_u64 v[28:29], v[28:29], 0, 4
	s_addc_u32 s27, s13, -1
	s_mov_b64 s[28:29], 0
	s_mov_b64 s[34:35], 0
                                        ; implicit-def: $sgpr30_sgpr31
	s_branch .LBB913_162
.LBB913_160:                            ;   in Loop: Header=BB913_162 Depth=1
	global_load_dword v30, v[28:29], off
	global_load_dword v31, v[26:27], off
	s_add_u32 s34, s34, 1
	s_addc_u32 s35, s35, 0
	s_andn2_b64 s[30:31], s[30:31], exec
	v_lshl_add_u64 v[26:27], v[26:27], 0, 4
	v_lshl_add_u64 v[28:29], v[28:29], 0, 4
	s_waitcnt vmcnt(0)
	v_cmp_neq_f32_e32 vcc, v30, v31
	s_and_b64 s[36:37], vcc, exec
	s_or_b64 s[30:31], s[30:31], s[36:37]
.LBB913_161:                            ;   in Loop: Header=BB913_162 Depth=1
	s_and_b64 s[36:37], exec, s[30:31]
	s_or_b64 s[28:29], s[36:37], s[28:29]
	v_mov_b64_e32 v[30:31], s[34:35]
	s_andn2_b64 exec, exec, s[28:29]
	s_cbranch_execz .LBB913_165
.LBB913_162:                            ; =>This Inner Loop Header: Depth=1
	s_or_b64 s[30:31], s[30:31], exec
	s_cmp_eq_u64 s[26:27], s[34:35]
	s_cbranch_scc0 .LBB913_160
; %bb.163:                              ;   in Loop: Header=BB913_162 Depth=1
                                        ; implicit-def: $vgpr26_vgpr27
                                        ; implicit-def: $vgpr28_vgpr29
	s_mov_b64 s[34:35], s[12:13]
	s_branch .LBB913_161
.LBB913_164:
	v_mov_b64_e32 v[50:51], 0
	s_branch .LBB913_167
.LBB913_165:
	s_or_b64 exec, exec, s[28:29]
	v_cmp_gt_i64_e32 vcc, s[12:13], v[30:31]
	s_mov_b32 s26, 0
	v_mov_b32_e32 v51, s26
	v_cndmask_b32_e64 v50, 0, 1, vcc
.LBB913_166:
	s_or_b64 exec, exec, s[24:25]
.LBB913_167:
	s_or_b64 exec, exec, s[22:23]
	v_add_u32_e32 v26, 11, v1
	v_cmp_gt_u32_e32 vcc, s7, v26
	v_mov_b64_e32 v[52:53], v[24:25]
	s_and_saveexec_b64 s[22:23], vcc
	s_cbranch_execz .LBB913_178
; %bb.168:
	s_and_b64 vcc, exec, s[2:3]
	s_cbranch_vccnz .LBB913_175
; %bb.169:
	v_mul_lo_u32 v28, v25, s12
	v_mul_lo_u32 v29, v24, s13
	v_mad_u64_u32 v[26:27], s[24:25], v24, s12, 0
	v_add3_u32 v27, v27, v29, v28
	v_mul_lo_u32 v28, v23, s12
	v_mul_lo_u32 v29, v22, s13
	v_mad_u64_u32 v[30:31], s[24:25], v22, s12, 0
	v_add3_u32 v31, v31, v29, v28
	v_lshl_add_u64 v[28:29], v[26:27], 2, s[14:15]
	v_lshl_add_u64 v[26:27], v[30:31], 2, s[14:15]
	global_load_dword v30, v[28:29], off
	global_load_dword v31, v[26:27], off
	v_mov_b64_e32 v[52:53], 1
	s_waitcnt vmcnt(0)
	v_cmp_eq_f32_e32 vcc, v30, v31
	s_and_saveexec_b64 s[24:25], vcc
	s_cbranch_execz .LBB913_177
; %bb.170:
	s_add_u32 s26, s12, -1
	v_lshl_add_u64 v[26:27], v[26:27], 0, 4
	v_lshl_add_u64 v[28:29], v[28:29], 0, 4
	s_addc_u32 s27, s13, -1
	s_mov_b64 s[28:29], 0
	s_mov_b64 s[34:35], 0
                                        ; implicit-def: $sgpr30_sgpr31
	s_branch .LBB913_173
.LBB913_171:                            ;   in Loop: Header=BB913_173 Depth=1
	global_load_dword v30, v[28:29], off
	global_load_dword v31, v[26:27], off
	s_add_u32 s34, s34, 1
	s_addc_u32 s35, s35, 0
	s_andn2_b64 s[30:31], s[30:31], exec
	v_lshl_add_u64 v[26:27], v[26:27], 0, 4
	v_lshl_add_u64 v[28:29], v[28:29], 0, 4
	s_waitcnt vmcnt(0)
	v_cmp_neq_f32_e32 vcc, v30, v31
	s_and_b64 s[36:37], vcc, exec
	s_or_b64 s[30:31], s[30:31], s[36:37]
.LBB913_172:                            ;   in Loop: Header=BB913_173 Depth=1
	s_and_b64 s[36:37], exec, s[30:31]
	s_or_b64 s[28:29], s[36:37], s[28:29]
	v_mov_b64_e32 v[30:31], s[34:35]
	s_andn2_b64 exec, exec, s[28:29]
	s_cbranch_execz .LBB913_176
.LBB913_173:                            ; =>This Inner Loop Header: Depth=1
	s_or_b64 s[30:31], s[30:31], exec
	s_cmp_eq_u64 s[26:27], s[34:35]
	s_cbranch_scc0 .LBB913_171
; %bb.174:                              ;   in Loop: Header=BB913_173 Depth=1
                                        ; implicit-def: $vgpr26_vgpr27
                                        ; implicit-def: $vgpr28_vgpr29
	s_mov_b64 s[34:35], s[12:13]
	s_branch .LBB913_172
.LBB913_175:
	v_mov_b64_e32 v[52:53], 0
	s_branch .LBB913_178
.LBB913_176:
	s_or_b64 exec, exec, s[28:29]
	v_cmp_gt_i64_e32 vcc, s[12:13], v[30:31]
	s_mov_b32 s26, 0
	v_mov_b32_e32 v53, s26
	v_cndmask_b32_e64 v52, 0, 1, vcc
.LBB913_177:
	s_or_b64 exec, exec, s[24:25]
.LBB913_178:
	s_or_b64 exec, exec, s[22:23]
	v_add_u32_e32 v26, 10, v1
	v_cmp_gt_u32_e32 vcc, s7, v26
	v_mov_b64_e32 v[46:47], v[22:23]
	s_and_saveexec_b64 s[22:23], vcc
	s_cbranch_execz .LBB913_189
; %bb.179:
	s_and_b64 vcc, exec, s[2:3]
	s_cbranch_vccnz .LBB913_186
; %bb.180:
	v_mul_lo_u32 v28, v23, s12
	v_mul_lo_u32 v29, v22, s13
	v_mad_u64_u32 v[26:27], s[24:25], v22, s12, 0
	v_add3_u32 v27, v27, v29, v28
	v_mul_lo_u32 v28, v21, s12
	v_mul_lo_u32 v29, v20, s13
	v_mad_u64_u32 v[30:31], s[24:25], v20, s12, 0
	v_add3_u32 v31, v31, v29, v28
	v_lshl_add_u64 v[28:29], v[26:27], 2, s[14:15]
	v_lshl_add_u64 v[26:27], v[30:31], 2, s[14:15]
	global_load_dword v30, v[28:29], off
	global_load_dword v31, v[26:27], off
	v_mov_b64_e32 v[46:47], 1
	s_waitcnt vmcnt(0)
	v_cmp_eq_f32_e32 vcc, v30, v31
	s_and_saveexec_b64 s[24:25], vcc
	s_cbranch_execz .LBB913_188
; %bb.181:
	s_add_u32 s26, s12, -1
	v_lshl_add_u64 v[26:27], v[26:27], 0, 4
	v_lshl_add_u64 v[28:29], v[28:29], 0, 4
	s_addc_u32 s27, s13, -1
	s_mov_b64 s[28:29], 0
	s_mov_b64 s[34:35], 0
                                        ; implicit-def: $sgpr30_sgpr31
	s_branch .LBB913_184
.LBB913_182:                            ;   in Loop: Header=BB913_184 Depth=1
	global_load_dword v30, v[28:29], off
	global_load_dword v31, v[26:27], off
	s_add_u32 s34, s34, 1
	s_addc_u32 s35, s35, 0
	s_andn2_b64 s[30:31], s[30:31], exec
	v_lshl_add_u64 v[26:27], v[26:27], 0, 4
	v_lshl_add_u64 v[28:29], v[28:29], 0, 4
	s_waitcnt vmcnt(0)
	v_cmp_neq_f32_e32 vcc, v30, v31
	s_and_b64 s[36:37], vcc, exec
	s_or_b64 s[30:31], s[30:31], s[36:37]
.LBB913_183:                            ;   in Loop: Header=BB913_184 Depth=1
	s_and_b64 s[36:37], exec, s[30:31]
	s_or_b64 s[28:29], s[36:37], s[28:29]
	v_mov_b64_e32 v[30:31], s[34:35]
	s_andn2_b64 exec, exec, s[28:29]
	s_cbranch_execz .LBB913_187
.LBB913_184:                            ; =>This Inner Loop Header: Depth=1
	s_or_b64 s[30:31], s[30:31], exec
	s_cmp_eq_u64 s[26:27], s[34:35]
	s_cbranch_scc0 .LBB913_182
; %bb.185:                              ;   in Loop: Header=BB913_184 Depth=1
                                        ; implicit-def: $vgpr26_vgpr27
                                        ; implicit-def: $vgpr28_vgpr29
	s_mov_b64 s[34:35], s[12:13]
	s_branch .LBB913_183
.LBB913_186:
	v_mov_b64_e32 v[46:47], 0
	s_branch .LBB913_189
.LBB913_187:
	s_or_b64 exec, exec, s[28:29]
	v_cmp_gt_i64_e32 vcc, s[12:13], v[30:31]
	s_mov_b32 s26, 0
	v_mov_b32_e32 v47, s26
	v_cndmask_b32_e64 v46, 0, 1, vcc
.LBB913_188:
	s_or_b64 exec, exec, s[24:25]
.LBB913_189:
	s_or_b64 exec, exec, s[22:23]
	v_add_u32_e32 v26, 9, v1
	v_cmp_gt_u32_e32 vcc, s7, v26
	v_mov_b64_e32 v[54:55], v[20:21]
	s_and_saveexec_b64 s[22:23], vcc
	s_cbranch_execz .LBB913_200
; %bb.190:
	s_and_b64 vcc, exec, s[2:3]
	s_cbranch_vccnz .LBB913_197
; %bb.191:
	v_mul_lo_u32 v28, v21, s12
	v_mul_lo_u32 v29, v20, s13
	v_mad_u64_u32 v[26:27], s[24:25], v20, s12, 0
	v_add3_u32 v27, v27, v29, v28
	v_mul_lo_u32 v28, v19, s12
	v_mul_lo_u32 v29, v18, s13
	v_mad_u64_u32 v[30:31], s[24:25], v18, s12, 0
	v_add3_u32 v31, v31, v29, v28
	v_lshl_add_u64 v[28:29], v[26:27], 2, s[14:15]
	v_lshl_add_u64 v[26:27], v[30:31], 2, s[14:15]
	global_load_dword v30, v[28:29], off
	global_load_dword v31, v[26:27], off
	v_mov_b64_e32 v[54:55], 1
	s_waitcnt vmcnt(0)
	v_cmp_eq_f32_e32 vcc, v30, v31
	s_and_saveexec_b64 s[24:25], vcc
	s_cbranch_execz .LBB913_199
; %bb.192:
	s_add_u32 s26, s12, -1
	v_lshl_add_u64 v[26:27], v[26:27], 0, 4
	v_lshl_add_u64 v[28:29], v[28:29], 0, 4
	s_addc_u32 s27, s13, -1
	s_mov_b64 s[28:29], 0
	s_mov_b64 s[34:35], 0
                                        ; implicit-def: $sgpr30_sgpr31
	s_branch .LBB913_195
.LBB913_193:                            ;   in Loop: Header=BB913_195 Depth=1
	global_load_dword v30, v[28:29], off
	global_load_dword v31, v[26:27], off
	s_add_u32 s34, s34, 1
	s_addc_u32 s35, s35, 0
	s_andn2_b64 s[30:31], s[30:31], exec
	v_lshl_add_u64 v[26:27], v[26:27], 0, 4
	v_lshl_add_u64 v[28:29], v[28:29], 0, 4
	s_waitcnt vmcnt(0)
	v_cmp_neq_f32_e32 vcc, v30, v31
	s_and_b64 s[36:37], vcc, exec
	s_or_b64 s[30:31], s[30:31], s[36:37]
.LBB913_194:                            ;   in Loop: Header=BB913_195 Depth=1
	s_and_b64 s[36:37], exec, s[30:31]
	s_or_b64 s[28:29], s[36:37], s[28:29]
	v_mov_b64_e32 v[30:31], s[34:35]
	s_andn2_b64 exec, exec, s[28:29]
	s_cbranch_execz .LBB913_198
.LBB913_195:                            ; =>This Inner Loop Header: Depth=1
	s_or_b64 s[30:31], s[30:31], exec
	s_cmp_eq_u64 s[26:27], s[34:35]
	s_cbranch_scc0 .LBB913_193
; %bb.196:                              ;   in Loop: Header=BB913_195 Depth=1
                                        ; implicit-def: $vgpr26_vgpr27
                                        ; implicit-def: $vgpr28_vgpr29
	s_mov_b64 s[34:35], s[12:13]
	s_branch .LBB913_194
.LBB913_197:
	v_mov_b64_e32 v[54:55], 0
	s_branch .LBB913_200
.LBB913_198:
	s_or_b64 exec, exec, s[28:29]
	v_cmp_gt_i64_e32 vcc, s[12:13], v[30:31]
	s_mov_b32 s26, 0
	v_mov_b32_e32 v55, s26
	v_cndmask_b32_e64 v54, 0, 1, vcc
.LBB913_199:
	s_or_b64 exec, exec, s[24:25]
.LBB913_200:
	s_or_b64 exec, exec, s[22:23]
	v_add_u32_e32 v26, 8, v1
	v_cmp_gt_u32_e32 vcc, s7, v26
	v_mov_b64_e32 v[56:57], v[18:19]
	s_and_saveexec_b64 s[22:23], vcc
	s_cbranch_execz .LBB913_211
; %bb.201:
	s_and_b64 vcc, exec, s[2:3]
	s_cbranch_vccnz .LBB913_208
; %bb.202:
	v_mul_lo_u32 v28, v19, s12
	v_mul_lo_u32 v29, v18, s13
	v_mad_u64_u32 v[26:27], s[24:25], v18, s12, 0
	v_add3_u32 v27, v27, v29, v28
	v_mul_lo_u32 v28, v17, s12
	v_mul_lo_u32 v29, v16, s13
	v_mad_u64_u32 v[30:31], s[24:25], v16, s12, 0
	v_add3_u32 v31, v31, v29, v28
	v_lshl_add_u64 v[28:29], v[26:27], 2, s[14:15]
	v_lshl_add_u64 v[26:27], v[30:31], 2, s[14:15]
	global_load_dword v30, v[28:29], off
	global_load_dword v31, v[26:27], off
	v_mov_b64_e32 v[56:57], 1
	s_waitcnt vmcnt(0)
	v_cmp_eq_f32_e32 vcc, v30, v31
	s_and_saveexec_b64 s[24:25], vcc
	s_cbranch_execz .LBB913_210
; %bb.203:
	s_add_u32 s26, s12, -1
	v_lshl_add_u64 v[26:27], v[26:27], 0, 4
	v_lshl_add_u64 v[28:29], v[28:29], 0, 4
	s_addc_u32 s27, s13, -1
	s_mov_b64 s[28:29], 0
	s_mov_b64 s[34:35], 0
                                        ; implicit-def: $sgpr30_sgpr31
	s_branch .LBB913_206
.LBB913_204:                            ;   in Loop: Header=BB913_206 Depth=1
	global_load_dword v30, v[28:29], off
	global_load_dword v31, v[26:27], off
	s_add_u32 s34, s34, 1
	s_addc_u32 s35, s35, 0
	s_andn2_b64 s[30:31], s[30:31], exec
	v_lshl_add_u64 v[26:27], v[26:27], 0, 4
	v_lshl_add_u64 v[28:29], v[28:29], 0, 4
	s_waitcnt vmcnt(0)
	v_cmp_neq_f32_e32 vcc, v30, v31
	s_and_b64 s[36:37], vcc, exec
	s_or_b64 s[30:31], s[30:31], s[36:37]
.LBB913_205:                            ;   in Loop: Header=BB913_206 Depth=1
	s_and_b64 s[36:37], exec, s[30:31]
	s_or_b64 s[28:29], s[36:37], s[28:29]
	v_mov_b64_e32 v[30:31], s[34:35]
	s_andn2_b64 exec, exec, s[28:29]
	s_cbranch_execz .LBB913_209
.LBB913_206:                            ; =>This Inner Loop Header: Depth=1
	s_or_b64 s[30:31], s[30:31], exec
	s_cmp_eq_u64 s[26:27], s[34:35]
	s_cbranch_scc0 .LBB913_204
; %bb.207:                              ;   in Loop: Header=BB913_206 Depth=1
                                        ; implicit-def: $vgpr26_vgpr27
                                        ; implicit-def: $vgpr28_vgpr29
	s_mov_b64 s[34:35], s[12:13]
	s_branch .LBB913_205
.LBB913_208:
	v_mov_b64_e32 v[56:57], 0
	s_branch .LBB913_211
.LBB913_209:
	s_or_b64 exec, exec, s[28:29]
	v_cmp_gt_i64_e32 vcc, s[12:13], v[30:31]
	s_mov_b32 s26, 0
	v_mov_b32_e32 v57, s26
	v_cndmask_b32_e64 v56, 0, 1, vcc
.LBB913_210:
	s_or_b64 exec, exec, s[24:25]
.LBB913_211:
	s_or_b64 exec, exec, s[22:23]
	v_add_u32_e32 v26, 7, v1
	v_cmp_gt_u32_e32 vcc, s7, v26
	v_mov_b64_e32 v[58:59], v[16:17]
	s_and_saveexec_b64 s[22:23], vcc
	s_cbranch_execz .LBB913_222
; %bb.212:
	s_and_b64 vcc, exec, s[2:3]
	s_cbranch_vccnz .LBB913_219
; %bb.213:
	v_mul_lo_u32 v28, v17, s12
	v_mul_lo_u32 v29, v16, s13
	v_mad_u64_u32 v[26:27], s[24:25], v16, s12, 0
	v_add3_u32 v27, v27, v29, v28
	v_mul_lo_u32 v28, v15, s12
	v_mul_lo_u32 v29, v14, s13
	v_mad_u64_u32 v[30:31], s[24:25], v14, s12, 0
	v_add3_u32 v31, v31, v29, v28
	v_lshl_add_u64 v[28:29], v[26:27], 2, s[14:15]
	v_lshl_add_u64 v[26:27], v[30:31], 2, s[14:15]
	global_load_dword v30, v[28:29], off
	global_load_dword v31, v[26:27], off
	v_mov_b64_e32 v[58:59], 1
	s_waitcnt vmcnt(0)
	v_cmp_eq_f32_e32 vcc, v30, v31
	s_and_saveexec_b64 s[24:25], vcc
	s_cbranch_execz .LBB913_221
; %bb.214:
	s_add_u32 s26, s12, -1
	v_lshl_add_u64 v[26:27], v[26:27], 0, 4
	v_lshl_add_u64 v[28:29], v[28:29], 0, 4
	s_addc_u32 s27, s13, -1
	s_mov_b64 s[28:29], 0
	s_mov_b64 s[34:35], 0
                                        ; implicit-def: $sgpr30_sgpr31
	s_branch .LBB913_217
.LBB913_215:                            ;   in Loop: Header=BB913_217 Depth=1
	global_load_dword v30, v[28:29], off
	global_load_dword v31, v[26:27], off
	s_add_u32 s34, s34, 1
	s_addc_u32 s35, s35, 0
	s_andn2_b64 s[30:31], s[30:31], exec
	v_lshl_add_u64 v[26:27], v[26:27], 0, 4
	v_lshl_add_u64 v[28:29], v[28:29], 0, 4
	s_waitcnt vmcnt(0)
	v_cmp_neq_f32_e32 vcc, v30, v31
	s_and_b64 s[36:37], vcc, exec
	s_or_b64 s[30:31], s[30:31], s[36:37]
.LBB913_216:                            ;   in Loop: Header=BB913_217 Depth=1
	s_and_b64 s[36:37], exec, s[30:31]
	s_or_b64 s[28:29], s[36:37], s[28:29]
	v_mov_b64_e32 v[30:31], s[34:35]
	s_andn2_b64 exec, exec, s[28:29]
	s_cbranch_execz .LBB913_220
.LBB913_217:                            ; =>This Inner Loop Header: Depth=1
	s_or_b64 s[30:31], s[30:31], exec
	s_cmp_eq_u64 s[26:27], s[34:35]
	s_cbranch_scc0 .LBB913_215
; %bb.218:                              ;   in Loop: Header=BB913_217 Depth=1
                                        ; implicit-def: $vgpr26_vgpr27
                                        ; implicit-def: $vgpr28_vgpr29
	s_mov_b64 s[34:35], s[12:13]
	s_branch .LBB913_216
.LBB913_219:
	v_mov_b64_e32 v[58:59], 0
	s_branch .LBB913_222
.LBB913_220:
	s_or_b64 exec, exec, s[28:29]
	v_cmp_gt_i64_e32 vcc, s[12:13], v[30:31]
	s_mov_b32 s26, 0
	v_mov_b32_e32 v59, s26
	v_cndmask_b32_e64 v58, 0, 1, vcc
.LBB913_221:
	s_or_b64 exec, exec, s[24:25]
.LBB913_222:
	s_or_b64 exec, exec, s[22:23]
	v_add_u32_e32 v26, 6, v1
	v_cmp_gt_u32_e32 vcc, s7, v26
	v_mov_b64_e32 v[60:61], v[14:15]
	s_and_saveexec_b64 s[22:23], vcc
	s_cbranch_execz .LBB913_233
; %bb.223:
	s_and_b64 vcc, exec, s[2:3]
	s_cbranch_vccnz .LBB913_230
; %bb.224:
	v_mul_lo_u32 v28, v15, s12
	v_mul_lo_u32 v29, v14, s13
	v_mad_u64_u32 v[26:27], s[24:25], v14, s12, 0
	v_add3_u32 v27, v27, v29, v28
	v_mul_lo_u32 v28, v13, s12
	v_mul_lo_u32 v29, v12, s13
	v_mad_u64_u32 v[30:31], s[24:25], v12, s12, 0
	v_add3_u32 v31, v31, v29, v28
	v_lshl_add_u64 v[28:29], v[26:27], 2, s[14:15]
	v_lshl_add_u64 v[26:27], v[30:31], 2, s[14:15]
	global_load_dword v30, v[28:29], off
	global_load_dword v31, v[26:27], off
	v_mov_b64_e32 v[60:61], 1
	s_waitcnt vmcnt(0)
	v_cmp_eq_f32_e32 vcc, v30, v31
	s_and_saveexec_b64 s[24:25], vcc
	s_cbranch_execz .LBB913_232
; %bb.225:
	s_add_u32 s26, s12, -1
	v_lshl_add_u64 v[26:27], v[26:27], 0, 4
	v_lshl_add_u64 v[28:29], v[28:29], 0, 4
	s_addc_u32 s27, s13, -1
	s_mov_b64 s[28:29], 0
	s_mov_b64 s[34:35], 0
                                        ; implicit-def: $sgpr30_sgpr31
	s_branch .LBB913_228
.LBB913_226:                            ;   in Loop: Header=BB913_228 Depth=1
	global_load_dword v30, v[28:29], off
	global_load_dword v31, v[26:27], off
	s_add_u32 s34, s34, 1
	s_addc_u32 s35, s35, 0
	s_andn2_b64 s[30:31], s[30:31], exec
	v_lshl_add_u64 v[26:27], v[26:27], 0, 4
	v_lshl_add_u64 v[28:29], v[28:29], 0, 4
	s_waitcnt vmcnt(0)
	v_cmp_neq_f32_e32 vcc, v30, v31
	s_and_b64 s[36:37], vcc, exec
	s_or_b64 s[30:31], s[30:31], s[36:37]
.LBB913_227:                            ;   in Loop: Header=BB913_228 Depth=1
	s_and_b64 s[36:37], exec, s[30:31]
	s_or_b64 s[28:29], s[36:37], s[28:29]
	v_mov_b64_e32 v[30:31], s[34:35]
	s_andn2_b64 exec, exec, s[28:29]
	s_cbranch_execz .LBB913_231
.LBB913_228:                            ; =>This Inner Loop Header: Depth=1
	s_or_b64 s[30:31], s[30:31], exec
	s_cmp_eq_u64 s[26:27], s[34:35]
	s_cbranch_scc0 .LBB913_226
; %bb.229:                              ;   in Loop: Header=BB913_228 Depth=1
                                        ; implicit-def: $vgpr26_vgpr27
                                        ; implicit-def: $vgpr28_vgpr29
	s_mov_b64 s[34:35], s[12:13]
	s_branch .LBB913_227
.LBB913_230:
	v_mov_b64_e32 v[60:61], 0
	s_branch .LBB913_233
.LBB913_231:
	s_or_b64 exec, exec, s[28:29]
	v_cmp_gt_i64_e32 vcc, s[12:13], v[30:31]
	s_mov_b32 s26, 0
	v_mov_b32_e32 v61, s26
	v_cndmask_b32_e64 v60, 0, 1, vcc
.LBB913_232:
	s_or_b64 exec, exec, s[24:25]
.LBB913_233:
	s_or_b64 exec, exec, s[22:23]
	v_add_u32_e32 v26, 5, v1
	v_cmp_gt_u32_e32 vcc, s7, v26
	v_mov_b64_e32 v[62:63], v[12:13]
	s_and_saveexec_b64 s[22:23], vcc
	s_cbranch_execz .LBB913_244
; %bb.234:
	s_and_b64 vcc, exec, s[2:3]
	s_cbranch_vccnz .LBB913_241
; %bb.235:
	v_mul_lo_u32 v28, v13, s12
	v_mul_lo_u32 v29, v12, s13
	v_mad_u64_u32 v[26:27], s[24:25], v12, s12, 0
	v_add3_u32 v27, v27, v29, v28
	v_mul_lo_u32 v28, v11, s12
	v_mul_lo_u32 v29, v10, s13
	v_mad_u64_u32 v[30:31], s[24:25], v10, s12, 0
	v_add3_u32 v31, v31, v29, v28
	v_lshl_add_u64 v[28:29], v[26:27], 2, s[14:15]
	v_lshl_add_u64 v[26:27], v[30:31], 2, s[14:15]
	global_load_dword v30, v[28:29], off
	global_load_dword v31, v[26:27], off
	v_mov_b64_e32 v[62:63], 1
	s_waitcnt vmcnt(0)
	v_cmp_eq_f32_e32 vcc, v30, v31
	s_and_saveexec_b64 s[24:25], vcc
	s_cbranch_execz .LBB913_243
; %bb.236:
	s_add_u32 s26, s12, -1
	v_lshl_add_u64 v[26:27], v[26:27], 0, 4
	v_lshl_add_u64 v[28:29], v[28:29], 0, 4
	s_addc_u32 s27, s13, -1
	s_mov_b64 s[28:29], 0
	s_mov_b64 s[34:35], 0
                                        ; implicit-def: $sgpr30_sgpr31
	s_branch .LBB913_239
.LBB913_237:                            ;   in Loop: Header=BB913_239 Depth=1
	global_load_dword v30, v[28:29], off
	global_load_dword v31, v[26:27], off
	s_add_u32 s34, s34, 1
	s_addc_u32 s35, s35, 0
	s_andn2_b64 s[30:31], s[30:31], exec
	v_lshl_add_u64 v[26:27], v[26:27], 0, 4
	v_lshl_add_u64 v[28:29], v[28:29], 0, 4
	s_waitcnt vmcnt(0)
	v_cmp_neq_f32_e32 vcc, v30, v31
	s_and_b64 s[36:37], vcc, exec
	s_or_b64 s[30:31], s[30:31], s[36:37]
.LBB913_238:                            ;   in Loop: Header=BB913_239 Depth=1
	s_and_b64 s[36:37], exec, s[30:31]
	s_or_b64 s[28:29], s[36:37], s[28:29]
	v_mov_b64_e32 v[30:31], s[34:35]
	s_andn2_b64 exec, exec, s[28:29]
	s_cbranch_execz .LBB913_242
.LBB913_239:                            ; =>This Inner Loop Header: Depth=1
	s_or_b64 s[30:31], s[30:31], exec
	s_cmp_eq_u64 s[26:27], s[34:35]
	s_cbranch_scc0 .LBB913_237
; %bb.240:                              ;   in Loop: Header=BB913_239 Depth=1
                                        ; implicit-def: $vgpr26_vgpr27
                                        ; implicit-def: $vgpr28_vgpr29
	s_mov_b64 s[34:35], s[12:13]
	s_branch .LBB913_238
.LBB913_241:
	v_mov_b64_e32 v[62:63], 0
	s_branch .LBB913_244
.LBB913_242:
	s_or_b64 exec, exec, s[28:29]
	v_cmp_gt_i64_e32 vcc, s[12:13], v[30:31]
	s_mov_b32 s26, 0
	v_mov_b32_e32 v63, s26
	v_cndmask_b32_e64 v62, 0, 1, vcc
.LBB913_243:
	s_or_b64 exec, exec, s[24:25]
.LBB913_244:
	s_or_b64 exec, exec, s[22:23]
	v_add_u32_e32 v26, 4, v1
	v_cmp_gt_u32_e32 vcc, s7, v26
	v_mov_b64_e32 v[64:65], v[10:11]
	s_and_saveexec_b64 s[22:23], vcc
	s_cbranch_execz .LBB913_255
; %bb.245:
	s_and_b64 vcc, exec, s[2:3]
	s_cbranch_vccnz .LBB913_252
; %bb.246:
	v_mul_lo_u32 v28, v11, s12
	v_mul_lo_u32 v29, v10, s13
	v_mad_u64_u32 v[26:27], s[24:25], v10, s12, 0
	v_add3_u32 v27, v27, v29, v28
	v_mul_lo_u32 v28, v9, s12
	v_mul_lo_u32 v29, v8, s13
	v_mad_u64_u32 v[30:31], s[24:25], v8, s12, 0
	v_add3_u32 v31, v31, v29, v28
	v_lshl_add_u64 v[28:29], v[26:27], 2, s[14:15]
	v_lshl_add_u64 v[26:27], v[30:31], 2, s[14:15]
	global_load_dword v30, v[28:29], off
	global_load_dword v31, v[26:27], off
	v_mov_b64_e32 v[64:65], 1
	s_waitcnt vmcnt(0)
	v_cmp_eq_f32_e32 vcc, v30, v31
	s_and_saveexec_b64 s[24:25], vcc
	s_cbranch_execz .LBB913_254
; %bb.247:
	s_add_u32 s26, s12, -1
	v_lshl_add_u64 v[26:27], v[26:27], 0, 4
	v_lshl_add_u64 v[28:29], v[28:29], 0, 4
	s_addc_u32 s27, s13, -1
	s_mov_b64 s[28:29], 0
	s_mov_b64 s[34:35], 0
                                        ; implicit-def: $sgpr30_sgpr31
	s_branch .LBB913_250
.LBB913_248:                            ;   in Loop: Header=BB913_250 Depth=1
	global_load_dword v30, v[28:29], off
	global_load_dword v31, v[26:27], off
	s_add_u32 s34, s34, 1
	s_addc_u32 s35, s35, 0
	s_andn2_b64 s[30:31], s[30:31], exec
	v_lshl_add_u64 v[26:27], v[26:27], 0, 4
	v_lshl_add_u64 v[28:29], v[28:29], 0, 4
	s_waitcnt vmcnt(0)
	v_cmp_neq_f32_e32 vcc, v30, v31
	s_and_b64 s[36:37], vcc, exec
	s_or_b64 s[30:31], s[30:31], s[36:37]
.LBB913_249:                            ;   in Loop: Header=BB913_250 Depth=1
	s_and_b64 s[36:37], exec, s[30:31]
	s_or_b64 s[28:29], s[36:37], s[28:29]
	v_mov_b64_e32 v[30:31], s[34:35]
	s_andn2_b64 exec, exec, s[28:29]
	s_cbranch_execz .LBB913_253
.LBB913_250:                            ; =>This Inner Loop Header: Depth=1
	s_or_b64 s[30:31], s[30:31], exec
	s_cmp_eq_u64 s[26:27], s[34:35]
	s_cbranch_scc0 .LBB913_248
; %bb.251:                              ;   in Loop: Header=BB913_250 Depth=1
                                        ; implicit-def: $vgpr26_vgpr27
                                        ; implicit-def: $vgpr28_vgpr29
	s_mov_b64 s[34:35], s[12:13]
	s_branch .LBB913_249
.LBB913_252:
	v_mov_b64_e32 v[64:65], 0
	s_branch .LBB913_255
.LBB913_253:
	s_or_b64 exec, exec, s[28:29]
	v_cmp_gt_i64_e32 vcc, s[12:13], v[30:31]
	s_mov_b32 s26, 0
	v_mov_b32_e32 v65, s26
	v_cndmask_b32_e64 v64, 0, 1, vcc
.LBB913_254:
	s_or_b64 exec, exec, s[24:25]
.LBB913_255:
	s_or_b64 exec, exec, s[22:23]
	v_add_u32_e32 v26, 3, v1
	v_cmp_gt_u32_e32 vcc, s7, v26
	v_mov_b64_e32 v[66:67], v[8:9]
	s_and_saveexec_b64 s[22:23], vcc
	s_cbranch_execz .LBB913_266
; %bb.256:
	s_and_b64 vcc, exec, s[2:3]
	s_cbranch_vccnz .LBB913_263
; %bb.257:
	v_mul_lo_u32 v28, v9, s12
	v_mul_lo_u32 v29, v8, s13
	v_mad_u64_u32 v[26:27], s[24:25], v8, s12, 0
	v_add3_u32 v27, v27, v29, v28
	v_mul_lo_u32 v28, v7, s12
	v_mul_lo_u32 v29, v6, s13
	v_mad_u64_u32 v[30:31], s[24:25], v6, s12, 0
	v_add3_u32 v31, v31, v29, v28
	v_lshl_add_u64 v[28:29], v[26:27], 2, s[14:15]
	v_lshl_add_u64 v[26:27], v[30:31], 2, s[14:15]
	global_load_dword v30, v[28:29], off
	global_load_dword v31, v[26:27], off
	v_mov_b64_e32 v[66:67], 1
	s_waitcnt vmcnt(0)
	v_cmp_eq_f32_e32 vcc, v30, v31
	s_and_saveexec_b64 s[24:25], vcc
	s_cbranch_execz .LBB913_265
; %bb.258:
	s_add_u32 s26, s12, -1
	v_lshl_add_u64 v[26:27], v[26:27], 0, 4
	v_lshl_add_u64 v[28:29], v[28:29], 0, 4
	s_addc_u32 s27, s13, -1
	s_mov_b64 s[28:29], 0
	s_mov_b64 s[34:35], 0
                                        ; implicit-def: $sgpr30_sgpr31
	s_branch .LBB913_261
.LBB913_259:                            ;   in Loop: Header=BB913_261 Depth=1
	global_load_dword v30, v[28:29], off
	global_load_dword v31, v[26:27], off
	s_add_u32 s34, s34, 1
	s_addc_u32 s35, s35, 0
	s_andn2_b64 s[30:31], s[30:31], exec
	v_lshl_add_u64 v[26:27], v[26:27], 0, 4
	v_lshl_add_u64 v[28:29], v[28:29], 0, 4
	s_waitcnt vmcnt(0)
	v_cmp_neq_f32_e32 vcc, v30, v31
	s_and_b64 s[36:37], vcc, exec
	s_or_b64 s[30:31], s[30:31], s[36:37]
.LBB913_260:                            ;   in Loop: Header=BB913_261 Depth=1
	s_and_b64 s[36:37], exec, s[30:31]
	s_or_b64 s[28:29], s[36:37], s[28:29]
	v_mov_b64_e32 v[30:31], s[34:35]
	s_andn2_b64 exec, exec, s[28:29]
	s_cbranch_execz .LBB913_264
.LBB913_261:                            ; =>This Inner Loop Header: Depth=1
	s_or_b64 s[30:31], s[30:31], exec
	s_cmp_eq_u64 s[26:27], s[34:35]
	s_cbranch_scc0 .LBB913_259
; %bb.262:                              ;   in Loop: Header=BB913_261 Depth=1
                                        ; implicit-def: $vgpr26_vgpr27
                                        ; implicit-def: $vgpr28_vgpr29
	s_mov_b64 s[34:35], s[12:13]
	s_branch .LBB913_260
.LBB913_263:
	v_mov_b64_e32 v[66:67], 0
	s_branch .LBB913_266
.LBB913_264:
	s_or_b64 exec, exec, s[28:29]
	v_cmp_gt_i64_e32 vcc, s[12:13], v[30:31]
	s_mov_b32 s26, 0
	v_mov_b32_e32 v67, s26
	v_cndmask_b32_e64 v66, 0, 1, vcc
.LBB913_265:
	s_or_b64 exec, exec, s[24:25]
.LBB913_266:
	s_or_b64 exec, exec, s[22:23]
	v_add_u32_e32 v26, 2, v1
	v_cmp_gt_u32_e32 vcc, s7, v26
	v_mov_b64_e32 v[68:69], v[6:7]
	s_and_saveexec_b64 s[22:23], vcc
	s_cbranch_execz .LBB913_277
; %bb.267:
	s_and_b64 vcc, exec, s[2:3]
	s_cbranch_vccnz .LBB913_274
; %bb.268:
	v_mul_lo_u32 v28, v7, s12
	v_mul_lo_u32 v29, v6, s13
	v_mad_u64_u32 v[26:27], s[24:25], v6, s12, 0
	v_add3_u32 v27, v27, v29, v28
	v_mul_lo_u32 v28, v5, s12
	v_mul_lo_u32 v29, v4, s13
	v_mad_u64_u32 v[30:31], s[24:25], v4, s12, 0
	v_add3_u32 v31, v31, v29, v28
	v_lshl_add_u64 v[28:29], v[26:27], 2, s[14:15]
	v_lshl_add_u64 v[26:27], v[30:31], 2, s[14:15]
	global_load_dword v30, v[28:29], off
	global_load_dword v31, v[26:27], off
	v_mov_b64_e32 v[68:69], 1
	s_waitcnt vmcnt(0)
	v_cmp_eq_f32_e32 vcc, v30, v31
	s_and_saveexec_b64 s[24:25], vcc
	s_cbranch_execz .LBB913_276
; %bb.269:
	s_add_u32 s26, s12, -1
	v_lshl_add_u64 v[26:27], v[26:27], 0, 4
	v_lshl_add_u64 v[28:29], v[28:29], 0, 4
	s_addc_u32 s27, s13, -1
	s_mov_b64 s[28:29], 0
	s_mov_b64 s[34:35], 0
                                        ; implicit-def: $sgpr30_sgpr31
	s_branch .LBB913_272
.LBB913_270:                            ;   in Loop: Header=BB913_272 Depth=1
	global_load_dword v30, v[28:29], off
	global_load_dword v31, v[26:27], off
	s_add_u32 s34, s34, 1
	s_addc_u32 s35, s35, 0
	s_andn2_b64 s[30:31], s[30:31], exec
	v_lshl_add_u64 v[26:27], v[26:27], 0, 4
	v_lshl_add_u64 v[28:29], v[28:29], 0, 4
	s_waitcnt vmcnt(0)
	v_cmp_neq_f32_e32 vcc, v30, v31
	s_and_b64 s[36:37], vcc, exec
	s_or_b64 s[30:31], s[30:31], s[36:37]
.LBB913_271:                            ;   in Loop: Header=BB913_272 Depth=1
	s_and_b64 s[36:37], exec, s[30:31]
	s_or_b64 s[28:29], s[36:37], s[28:29]
	v_mov_b64_e32 v[30:31], s[34:35]
	s_andn2_b64 exec, exec, s[28:29]
	s_cbranch_execz .LBB913_275
.LBB913_272:                            ; =>This Inner Loop Header: Depth=1
	s_or_b64 s[30:31], s[30:31], exec
	s_cmp_eq_u64 s[26:27], s[34:35]
	s_cbranch_scc0 .LBB913_270
; %bb.273:                              ;   in Loop: Header=BB913_272 Depth=1
                                        ; implicit-def: $vgpr26_vgpr27
                                        ; implicit-def: $vgpr28_vgpr29
	s_mov_b64 s[34:35], s[12:13]
	s_branch .LBB913_271
.LBB913_274:
	v_mov_b64_e32 v[68:69], 0
	s_branch .LBB913_277
.LBB913_275:
	s_or_b64 exec, exec, s[28:29]
	v_cmp_gt_i64_e32 vcc, s[12:13], v[30:31]
	s_mov_b32 s26, 0
	v_mov_b32_e32 v69, s26
	v_cndmask_b32_e64 v68, 0, 1, vcc
.LBB913_276:
	s_or_b64 exec, exec, s[24:25]
.LBB913_277:
	s_or_b64 exec, exec, s[22:23]
	v_add_u32_e32 v26, 1, v1
	v_cmp_gt_u32_e32 vcc, s7, v26
	v_mov_b64_e32 v[70:71], v[4:5]
	s_and_saveexec_b64 s[22:23], vcc
	s_cbranch_execz .LBB913_288
; %bb.278:
	s_and_b64 vcc, exec, s[2:3]
	s_cbranch_vccnz .LBB913_285
; %bb.279:
	v_mul_lo_u32 v28, v5, s12
	v_mul_lo_u32 v29, v4, s13
	v_mad_u64_u32 v[26:27], s[24:25], v4, s12, 0
	v_add3_u32 v27, v27, v29, v28
	v_mul_lo_u32 v28, v3, s12
	v_mul_lo_u32 v29, v2, s13
	v_mad_u64_u32 v[30:31], s[24:25], v2, s12, 0
	v_add3_u32 v31, v31, v29, v28
	v_lshl_add_u64 v[28:29], v[26:27], 2, s[14:15]
	v_lshl_add_u64 v[26:27], v[30:31], 2, s[14:15]
	global_load_dword v30, v[28:29], off
	global_load_dword v31, v[26:27], off
	v_mov_b64_e32 v[70:71], 1
	s_waitcnt vmcnt(0)
	v_cmp_eq_f32_e32 vcc, v30, v31
	s_and_saveexec_b64 s[24:25], vcc
	s_cbranch_execz .LBB913_287
; %bb.280:
	s_add_u32 s26, s12, -1
	v_lshl_add_u64 v[26:27], v[26:27], 0, 4
	v_lshl_add_u64 v[28:29], v[28:29], 0, 4
	s_addc_u32 s27, s13, -1
	s_mov_b64 s[28:29], 0
	s_mov_b64 s[34:35], 0
                                        ; implicit-def: $sgpr30_sgpr31
	s_branch .LBB913_283
.LBB913_281:                            ;   in Loop: Header=BB913_283 Depth=1
	global_load_dword v30, v[28:29], off
	global_load_dword v31, v[26:27], off
	s_add_u32 s34, s34, 1
	s_addc_u32 s35, s35, 0
	s_andn2_b64 s[30:31], s[30:31], exec
	v_lshl_add_u64 v[26:27], v[26:27], 0, 4
	v_lshl_add_u64 v[28:29], v[28:29], 0, 4
	s_waitcnt vmcnt(0)
	v_cmp_neq_f32_e32 vcc, v30, v31
	s_and_b64 s[36:37], vcc, exec
	s_or_b64 s[30:31], s[30:31], s[36:37]
.LBB913_282:                            ;   in Loop: Header=BB913_283 Depth=1
	s_and_b64 s[36:37], exec, s[30:31]
	s_or_b64 s[28:29], s[36:37], s[28:29]
	v_mov_b64_e32 v[30:31], s[34:35]
	s_andn2_b64 exec, exec, s[28:29]
	s_cbranch_execz .LBB913_286
.LBB913_283:                            ; =>This Inner Loop Header: Depth=1
	s_or_b64 s[30:31], s[30:31], exec
	s_cmp_eq_u64 s[26:27], s[34:35]
	s_cbranch_scc0 .LBB913_281
; %bb.284:                              ;   in Loop: Header=BB913_283 Depth=1
                                        ; implicit-def: $vgpr26_vgpr27
                                        ; implicit-def: $vgpr28_vgpr29
	s_mov_b64 s[34:35], s[12:13]
	s_branch .LBB913_282
.LBB913_285:
	v_mov_b64_e32 v[70:71], 0
	s_branch .LBB913_288
.LBB913_286:
	s_or_b64 exec, exec, s[28:29]
	v_cmp_gt_i64_e32 vcc, s[12:13], v[30:31]
	s_mov_b32 s26, 0
	v_mov_b32_e32 v71, s26
	v_cndmask_b32_e64 v70, 0, 1, vcc
.LBB913_287:
	s_or_b64 exec, exec, s[24:25]
.LBB913_288:
	s_or_b64 exec, exec, s[22:23]
	v_cmp_ne_u32_e32 vcc, 0, v0
	v_mov_b64_e32 v[26:27], s[20:21]
	s_waitcnt lgkmcnt(0)
	; wave barrier
	s_waitcnt lgkmcnt(0)
	s_and_saveexec_b64 s[20:21], vcc
	s_cbranch_execz .LBB913_290
; %bb.289:
	v_add_u32_e32 v26, -8, v48
	ds_read_b64 v[26:27], v26
.LBB913_290:
	s_or_b64 exec, exec, s[20:21]
	v_cmp_gt_u32_e32 vcc, s7, v1
                                        ; implicit-def: $sgpr24_sgpr25
	s_and_saveexec_b64 s[20:21], vcc
	s_cbranch_execz .LBB913_302
; %bb.291:
	s_and_b64 vcc, exec, s[2:3]
	s_cbranch_vccnz .LBB913_298
; %bb.292:
	v_mul_lo_u32 v1, v3, s12
	v_mul_lo_u32 v30, v2, s13
	v_mad_u64_u32 v[28:29], s[2:3], v2, s12, 0
	v_add3_u32 v29, v29, v30, v1
	s_waitcnt lgkmcnt(0)
	v_mul_lo_u32 v1, v27, s12
	v_mul_lo_u32 v30, v26, s13
	v_mad_u64_u32 v[26:27], s[2:3], v26, s12, 0
	v_add3_u32 v27, v27, v30, v1
	v_lshl_add_u64 v[28:29], v[28:29], 2, s[14:15]
	v_lshl_add_u64 v[26:27], v[26:27], 2, s[14:15]
	global_load_dword v1, v[28:29], off
	global_load_dword v30, v[26:27], off
	s_mov_b64 s[22:23], -1
	s_waitcnt vmcnt(0)
	v_cmp_eq_f32_e32 vcc, v1, v30
	s_and_saveexec_b64 s[2:3], vcc
	s_cbranch_execz .LBB913_300
; %bb.293:
	s_add_u32 s22, s12, -1
	v_lshl_add_u64 v[26:27], v[26:27], 0, 4
	v_lshl_add_u64 v[28:29], v[28:29], 0, 4
	s_addc_u32 s23, s13, -1
	s_mov_b64 s[24:25], 0
	s_mov_b64 s[28:29], 0
                                        ; implicit-def: $sgpr26_sgpr27
	s_branch .LBB913_296
.LBB913_294:                            ;   in Loop: Header=BB913_296 Depth=1
	global_load_dword v1, v[28:29], off
	global_load_dword v30, v[26:27], off
	s_add_u32 s28, s28, 1
	s_addc_u32 s29, s29, 0
	s_andn2_b64 s[26:27], s[26:27], exec
	v_lshl_add_u64 v[26:27], v[26:27], 0, 4
	v_lshl_add_u64 v[28:29], v[28:29], 0, 4
	s_waitcnt vmcnt(0)
	v_cmp_neq_f32_e32 vcc, v1, v30
	s_and_b64 s[30:31], vcc, exec
	s_or_b64 s[26:27], s[26:27], s[30:31]
.LBB913_295:                            ;   in Loop: Header=BB913_296 Depth=1
	s_and_b64 s[30:31], exec, s[26:27]
	s_or_b64 s[24:25], s[30:31], s[24:25]
	v_mov_b64_e32 v[30:31], s[28:29]
	s_andn2_b64 exec, exec, s[24:25]
	s_cbranch_execz .LBB913_299
.LBB913_296:                            ; =>This Inner Loop Header: Depth=1
	s_or_b64 s[26:27], s[26:27], exec
	s_cmp_eq_u64 s[22:23], s[28:29]
	s_cbranch_scc0 .LBB913_294
; %bb.297:                              ;   in Loop: Header=BB913_296 Depth=1
                                        ; implicit-def: $vgpr26_vgpr27
                                        ; implicit-def: $vgpr28_vgpr29
	s_mov_b64 s[28:29], s[12:13]
	s_branch .LBB913_295
.LBB913_298:
	s_mov_b64 s[22:23], 0
	s_branch .LBB913_301
.LBB913_299:
	s_or_b64 exec, exec, s[24:25]
	v_cmp_gt_i64_e32 vcc, s[12:13], v[30:31]
	s_orn2_b64 s[22:23], vcc, exec
.LBB913_300:
	s_or_b64 exec, exec, s[2:3]
.LBB913_301:
	s_and_b64 s[24:25], s[22:23], exec
	s_or_b64 s[18:19], s[18:19], exec
.LBB913_302:
	s_or_b64 exec, exec, s[20:21]
	v_mov_b64_e32 v[72:73], v[52:53]
	s_waitcnt lgkmcnt(0)
	v_mov_b64_e32 v[26:27], v[46:47]
	v_mov_b64_e32 v[82:83], v[70:71]
	;; [unrolled: 1-line block ×10, first 2 shown]
	s_branch .LBB913_572
.LBB913_303:
	s_cmp_lg_u64 s[4:5], 1
	s_cbranch_scc0 .LBB913_311
; %bb.304:
	v_mul_lo_u32 v1, v25, s12
	v_mul_lo_u32 v28, v24, s13
	s_waitcnt lgkmcnt(0)
	v_mad_u64_u32 v[26:27], s[20:21], v24, s12, 0
	v_mov_b64_e32 v[46:47], 0
	v_cmp_lt_i64_e64 s[2:3], s[12:13], 1
	v_add3_u32 v27, v27, v28, v1
	v_cmp_gt_i64_e64 s[4:5], s[12:13], 0
	s_and_b64 vcc, exec, s[2:3]
	v_lshl_add_u64 v[26:27], v[26:27], 2, s[14:15]
	v_mov_b64_e32 v[50:51], v[46:47]
	ds_write_b64 v48, v[44:45]
	s_cbranch_vccnz .LBB913_314
; %bb.305:
	v_mul_lo_u32 v1, v45, s12
	v_mul_lo_u32 v30, v44, s13
	v_mad_u64_u32 v[28:29], s[2:3], v44, s12, 0
	v_add3_u32 v29, v29, v30, v1
	v_lshl_add_u64 v[30:31], v[28:29], 2, s[14:15]
	global_load_dword v1, v[30:31], off
	global_load_dword v28, v[26:27], off
	v_mov_b64_e32 v[50:51], 1
	s_waitcnt vmcnt(0)
	v_cmp_eq_f32_e32 vcc, v1, v28
	s_and_saveexec_b64 s[2:3], vcc
	s_cbranch_execz .LBB913_313
; %bb.306:
	s_add_u32 s20, s12, -1
	v_lshl_add_u64 v[28:29], v[26:27], 0, 4
	v_lshl_add_u64 v[30:31], v[30:31], 0, 4
	s_addc_u32 s21, s13, -1
	s_mov_b64 s[22:23], 0
	s_mov_b64 s[26:27], 0
                                        ; implicit-def: $sgpr24_sgpr25
	s_branch .LBB913_309
.LBB913_307:                            ;   in Loop: Header=BB913_309 Depth=1
	global_load_dword v1, v[30:31], off
	global_load_dword v32, v[28:29], off
	s_add_u32 s26, s26, 1
	s_addc_u32 s27, s27, 0
	s_andn2_b64 s[24:25], s[24:25], exec
	v_lshl_add_u64 v[28:29], v[28:29], 0, 4
	v_lshl_add_u64 v[30:31], v[30:31], 0, 4
	s_waitcnt vmcnt(0)
	v_cmp_neq_f32_e32 vcc, v1, v32
	s_and_b64 s[28:29], vcc, exec
	s_or_b64 s[24:25], s[24:25], s[28:29]
.LBB913_308:                            ;   in Loop: Header=BB913_309 Depth=1
	s_and_b64 s[28:29], exec, s[24:25]
	s_or_b64 s[22:23], s[28:29], s[22:23]
	v_mov_b64_e32 v[32:33], s[26:27]
	s_andn2_b64 exec, exec, s[22:23]
	s_cbranch_execz .LBB913_312
.LBB913_309:                            ; =>This Inner Loop Header: Depth=1
	s_or_b64 s[24:25], s[24:25], exec
	s_cmp_eq_u64 s[20:21], s[26:27]
	s_cbranch_scc0 .LBB913_307
; %bb.310:                              ;   in Loop: Header=BB913_309 Depth=1
                                        ; implicit-def: $vgpr28_vgpr29
                                        ; implicit-def: $vgpr30_vgpr31
	s_mov_b64 s[26:27], s[12:13]
	s_branch .LBB913_308
.LBB913_311:
                                        ; implicit-def: $vgpr26_vgpr27_vgpr28_vgpr29
                                        ; implicit-def: $sgpr24_sgpr25
                                        ; implicit-def: $vgpr50_vgpr51
                                        ; implicit-def: $vgpr52_vgpr53
                                        ; implicit-def: $vgpr46_vgpr47
                                        ; implicit-def: $vgpr70_vgpr71
                                        ; implicit-def: $vgpr68_vgpr69
                                        ; implicit-def: $vgpr66_vgpr67
                                        ; implicit-def: $vgpr64_vgpr65
                                        ; implicit-def: $vgpr62_vgpr63
                                        ; implicit-def: $vgpr60_vgpr61
                                        ; implicit-def: $vgpr58_vgpr59
                                        ; implicit-def: $vgpr56_vgpr57
                                        ; implicit-def: $vgpr54_vgpr55
                                        ; implicit-def: $vgpr72_vgpr73
                                        ; implicit-def: $vgpr82_vgpr83
                                        ; implicit-def: $vgpr74_vgpr75
                                        ; implicit-def: $vgpr76_vgpr77
                                        ; implicit-def: $vgpr78_vgpr79
                                        ; implicit-def: $vgpr80_vgpr81
                                        ; implicit-def: $vgpr28_vgpr29_vgpr30_vgpr31
                                        ; implicit-def: $vgpr32_vgpr33_vgpr34_vgpr35
                                        ; implicit-def: $vgpr36_vgpr37_vgpr38_vgpr39
                                        ; implicit-def: $vgpr40_vgpr41_vgpr42_vgpr43
	s_cbranch_execnz .LBB913_427
	s_branch .LBB913_572
.LBB913_312:
	s_or_b64 exec, exec, s[22:23]
	v_cmp_gt_i64_e32 vcc, s[12:13], v[32:33]
	s_mov_b32 s7, 0
	v_mov_b32_e32 v51, s7
	v_cndmask_b32_e64 v50, 0, 1, vcc
.LBB913_313:
	s_or_b64 exec, exec, s[2:3]
.LBB913_314:
	v_mul_lo_u32 v1, v23, s12
	v_mul_lo_u32 v30, v22, s13
	v_mad_u64_u32 v[28:29], s[2:3], v22, s12, 0
	v_add3_u32 v29, v29, v30, v1
	v_cndmask_b32_e64 v1, 0, 1, s[4:5]
	v_cmp_ne_u32_e64 s[2:3], 1, v1
	s_andn2_b64 vcc, exec, s[4:5]
	v_lshl_add_u64 v[28:29], v[28:29], 2, s[14:15]
	v_mov_b64_e32 v[52:53], v[46:47]
	s_cbranch_vccnz .LBB913_323
; %bb.315:
	global_load_dword v1, v[26:27], off
	global_load_dword v30, v[28:29], off
	v_mov_b64_e32 v[52:53], 1
	s_waitcnt vmcnt(0)
	v_cmp_eq_f32_e32 vcc, v1, v30
	s_and_saveexec_b64 s[4:5], vcc
	s_cbranch_execz .LBB913_322
; %bb.316:
	s_add_u32 s20, s12, -1
	v_lshl_add_u64 v[30:31], v[28:29], 0, 4
	v_lshl_add_u64 v[26:27], v[26:27], 0, 4
	s_addc_u32 s21, s13, -1
	s_mov_b64 s[22:23], 0
	s_mov_b64 s[26:27], 0
                                        ; implicit-def: $sgpr24_sgpr25
	s_branch .LBB913_319
.LBB913_317:                            ;   in Loop: Header=BB913_319 Depth=1
	global_load_dword v1, v[26:27], off
	global_load_dword v32, v[30:31], off
	s_add_u32 s26, s26, 1
	s_addc_u32 s27, s27, 0
	s_andn2_b64 s[24:25], s[24:25], exec
	v_lshl_add_u64 v[30:31], v[30:31], 0, 4
	v_lshl_add_u64 v[26:27], v[26:27], 0, 4
	s_waitcnt vmcnt(0)
	v_cmp_neq_f32_e32 vcc, v1, v32
	s_and_b64 s[28:29], vcc, exec
	s_or_b64 s[24:25], s[24:25], s[28:29]
.LBB913_318:                            ;   in Loop: Header=BB913_319 Depth=1
	s_and_b64 s[28:29], exec, s[24:25]
	s_or_b64 s[22:23], s[28:29], s[22:23]
	v_mov_b64_e32 v[32:33], s[26:27]
	s_andn2_b64 exec, exec, s[22:23]
	s_cbranch_execz .LBB913_321
.LBB913_319:                            ; =>This Inner Loop Header: Depth=1
	s_or_b64 s[24:25], s[24:25], exec
	s_cmp_eq_u64 s[20:21], s[26:27]
	s_cbranch_scc0 .LBB913_317
; %bb.320:                              ;   in Loop: Header=BB913_319 Depth=1
                                        ; implicit-def: $vgpr30_vgpr31
                                        ; implicit-def: $vgpr26_vgpr27
	s_mov_b64 s[26:27], s[12:13]
	s_branch .LBB913_318
.LBB913_321:
	s_or_b64 exec, exec, s[22:23]
	v_cmp_gt_i64_e32 vcc, s[12:13], v[32:33]
	s_mov_b32 s7, 0
	v_mov_b32_e32 v53, s7
	v_cndmask_b32_e64 v52, 0, 1, vcc
.LBB913_322:
	s_or_b64 exec, exec, s[4:5]
.LBB913_323:
	v_mul_lo_u32 v1, v21, s12
	v_mul_lo_u32 v30, v20, s13
	v_mad_u64_u32 v[26:27], s[4:5], v20, s12, 0
	v_add3_u32 v27, v27, v30, v1
	s_and_b64 vcc, exec, s[2:3]
	v_lshl_add_u64 v[26:27], v[26:27], 2, s[14:15]
	s_cbranch_vccnz .LBB913_332
; %bb.324:
	global_load_dword v1, v[28:29], off
	global_load_dword v30, v[26:27], off
	v_mov_b64_e32 v[46:47], 1
	s_waitcnt vmcnt(0)
	v_cmp_eq_f32_e32 vcc, v1, v30
	s_and_saveexec_b64 s[4:5], vcc
	s_cbranch_execz .LBB913_331
; %bb.325:
	s_add_u32 s20, s12, -1
	v_lshl_add_u64 v[30:31], v[26:27], 0, 4
	v_lshl_add_u64 v[28:29], v[28:29], 0, 4
	s_addc_u32 s21, s13, -1
	s_mov_b64 s[22:23], 0
	s_mov_b64 s[26:27], 0
                                        ; implicit-def: $sgpr24_sgpr25
	s_branch .LBB913_328
.LBB913_326:                            ;   in Loop: Header=BB913_328 Depth=1
	global_load_dword v1, v[28:29], off
	global_load_dword v32, v[30:31], off
	s_add_u32 s26, s26, 1
	s_addc_u32 s27, s27, 0
	s_andn2_b64 s[24:25], s[24:25], exec
	v_lshl_add_u64 v[30:31], v[30:31], 0, 4
	v_lshl_add_u64 v[28:29], v[28:29], 0, 4
	s_waitcnt vmcnt(0)
	v_cmp_neq_f32_e32 vcc, v1, v32
	s_and_b64 s[28:29], vcc, exec
	s_or_b64 s[24:25], s[24:25], s[28:29]
.LBB913_327:                            ;   in Loop: Header=BB913_328 Depth=1
	s_and_b64 s[28:29], exec, s[24:25]
	s_or_b64 s[22:23], s[28:29], s[22:23]
	v_mov_b64_e32 v[32:33], s[26:27]
	s_andn2_b64 exec, exec, s[22:23]
	s_cbranch_execz .LBB913_330
.LBB913_328:                            ; =>This Inner Loop Header: Depth=1
	s_or_b64 s[24:25], s[24:25], exec
	s_cmp_eq_u64 s[20:21], s[26:27]
	s_cbranch_scc0 .LBB913_326
; %bb.329:                              ;   in Loop: Header=BB913_328 Depth=1
                                        ; implicit-def: $vgpr30_vgpr31
                                        ; implicit-def: $vgpr28_vgpr29
	s_mov_b64 s[26:27], s[12:13]
	s_branch .LBB913_327
.LBB913_330:
	s_or_b64 exec, exec, s[22:23]
	v_cmp_gt_i64_e32 vcc, s[12:13], v[32:33]
	s_mov_b32 s7, 0
	v_mov_b32_e32 v47, s7
	v_cndmask_b32_e64 v46, 0, 1, vcc
.LBB913_331:
	s_or_b64 exec, exec, s[4:5]
.LBB913_332:
	v_mul_lo_u32 v1, v19, s12
	v_mul_lo_u32 v30, v18, s13
	v_mad_u64_u32 v[28:29], s[4:5], v18, s12, 0
	v_add3_u32 v29, v29, v30, v1
	v_mov_b64_e32 v[56:57], 0
	s_and_b64 vcc, exec, s[2:3]
	v_lshl_add_u64 v[28:29], v[28:29], 2, s[14:15]
	v_mov_b64_e32 v[54:55], v[56:57]
	s_cbranch_vccnz .LBB913_341
; %bb.333:
	global_load_dword v1, v[26:27], off
	global_load_dword v30, v[28:29], off
	v_mov_b64_e32 v[54:55], 1
	s_waitcnt vmcnt(0)
	v_cmp_eq_f32_e32 vcc, v1, v30
	s_and_saveexec_b64 s[4:5], vcc
	s_cbranch_execz .LBB913_340
; %bb.334:
	s_add_u32 s20, s12, -1
	v_lshl_add_u64 v[30:31], v[28:29], 0, 4
	v_lshl_add_u64 v[26:27], v[26:27], 0, 4
	s_addc_u32 s21, s13, -1
	s_mov_b64 s[22:23], 0
	s_mov_b64 s[26:27], 0
                                        ; implicit-def: $sgpr24_sgpr25
	s_branch .LBB913_337
.LBB913_335:                            ;   in Loop: Header=BB913_337 Depth=1
	global_load_dword v1, v[26:27], off
	global_load_dword v32, v[30:31], off
	s_add_u32 s26, s26, 1
	s_addc_u32 s27, s27, 0
	s_andn2_b64 s[24:25], s[24:25], exec
	v_lshl_add_u64 v[30:31], v[30:31], 0, 4
	v_lshl_add_u64 v[26:27], v[26:27], 0, 4
	s_waitcnt vmcnt(0)
	v_cmp_neq_f32_e32 vcc, v1, v32
	s_and_b64 s[28:29], vcc, exec
	s_or_b64 s[24:25], s[24:25], s[28:29]
.LBB913_336:                            ;   in Loop: Header=BB913_337 Depth=1
	s_and_b64 s[28:29], exec, s[24:25]
	s_or_b64 s[22:23], s[28:29], s[22:23]
	v_mov_b64_e32 v[32:33], s[26:27]
	s_andn2_b64 exec, exec, s[22:23]
	s_cbranch_execz .LBB913_339
.LBB913_337:                            ; =>This Inner Loop Header: Depth=1
	s_or_b64 s[24:25], s[24:25], exec
	s_cmp_eq_u64 s[20:21], s[26:27]
	s_cbranch_scc0 .LBB913_335
; %bb.338:                              ;   in Loop: Header=BB913_337 Depth=1
                                        ; implicit-def: $vgpr30_vgpr31
                                        ; implicit-def: $vgpr26_vgpr27
	s_mov_b64 s[26:27], s[12:13]
	s_branch .LBB913_336
.LBB913_339:
	s_or_b64 exec, exec, s[22:23]
	v_cmp_gt_i64_e32 vcc, s[12:13], v[32:33]
	s_mov_b32 s7, 0
	v_mov_b32_e32 v55, s7
	v_cndmask_b32_e64 v54, 0, 1, vcc
.LBB913_340:
	s_or_b64 exec, exec, s[4:5]
.LBB913_341:
	v_mul_lo_u32 v1, v17, s12
	v_mul_lo_u32 v30, v16, s13
	v_mad_u64_u32 v[26:27], s[4:5], v16, s12, 0
	v_add3_u32 v27, v27, v30, v1
	s_and_b64 vcc, exec, s[2:3]
	v_lshl_add_u64 v[26:27], v[26:27], 2, s[14:15]
	s_cbranch_vccnz .LBB913_350
; %bb.342:
	global_load_dword v1, v[28:29], off
	global_load_dword v30, v[26:27], off
	v_mov_b64_e32 v[56:57], 1
	s_waitcnt vmcnt(0)
	v_cmp_eq_f32_e32 vcc, v1, v30
	s_and_saveexec_b64 s[4:5], vcc
	s_cbranch_execz .LBB913_349
; %bb.343:
	s_add_u32 s20, s12, -1
	v_lshl_add_u64 v[30:31], v[26:27], 0, 4
	v_lshl_add_u64 v[28:29], v[28:29], 0, 4
	s_addc_u32 s21, s13, -1
	s_mov_b64 s[22:23], 0
	s_mov_b64 s[26:27], 0
                                        ; implicit-def: $sgpr24_sgpr25
	s_branch .LBB913_346
.LBB913_344:                            ;   in Loop: Header=BB913_346 Depth=1
	global_load_dword v1, v[28:29], off
	global_load_dword v32, v[30:31], off
	s_add_u32 s26, s26, 1
	s_addc_u32 s27, s27, 0
	s_andn2_b64 s[24:25], s[24:25], exec
	v_lshl_add_u64 v[30:31], v[30:31], 0, 4
	v_lshl_add_u64 v[28:29], v[28:29], 0, 4
	s_waitcnt vmcnt(0)
	v_cmp_neq_f32_e32 vcc, v1, v32
	s_and_b64 s[28:29], vcc, exec
	s_or_b64 s[24:25], s[24:25], s[28:29]
.LBB913_345:                            ;   in Loop: Header=BB913_346 Depth=1
	s_and_b64 s[28:29], exec, s[24:25]
	s_or_b64 s[22:23], s[28:29], s[22:23]
	v_mov_b64_e32 v[32:33], s[26:27]
	s_andn2_b64 exec, exec, s[22:23]
	s_cbranch_execz .LBB913_348
.LBB913_346:                            ; =>This Inner Loop Header: Depth=1
	s_or_b64 s[24:25], s[24:25], exec
	s_cmp_eq_u64 s[20:21], s[26:27]
	s_cbranch_scc0 .LBB913_344
; %bb.347:                              ;   in Loop: Header=BB913_346 Depth=1
                                        ; implicit-def: $vgpr30_vgpr31
                                        ; implicit-def: $vgpr28_vgpr29
	s_mov_b64 s[26:27], s[12:13]
	s_branch .LBB913_345
.LBB913_348:
	s_or_b64 exec, exec, s[22:23]
	v_cmp_gt_i64_e32 vcc, s[12:13], v[32:33]
	s_mov_b32 s7, 0
	v_mov_b32_e32 v57, s7
	v_cndmask_b32_e64 v56, 0, 1, vcc
.LBB913_349:
	s_or_b64 exec, exec, s[4:5]
.LBB913_350:
	v_mul_lo_u32 v1, v15, s12
	v_mul_lo_u32 v30, v14, s13
	v_mad_u64_u32 v[28:29], s[4:5], v14, s12, 0
	v_add3_u32 v29, v29, v30, v1
	v_mov_b64_e32 v[60:61], 0
	s_and_b64 vcc, exec, s[2:3]
	v_lshl_add_u64 v[28:29], v[28:29], 2, s[14:15]
	v_mov_b64_e32 v[58:59], v[60:61]
	s_cbranch_vccnz .LBB913_359
; %bb.351:
	global_load_dword v1, v[26:27], off
	global_load_dword v30, v[28:29], off
	v_mov_b64_e32 v[58:59], 1
	s_waitcnt vmcnt(0)
	v_cmp_eq_f32_e32 vcc, v1, v30
	s_and_saveexec_b64 s[4:5], vcc
	s_cbranch_execz .LBB913_358
; %bb.352:
	s_add_u32 s20, s12, -1
	v_lshl_add_u64 v[30:31], v[28:29], 0, 4
	v_lshl_add_u64 v[26:27], v[26:27], 0, 4
	s_addc_u32 s21, s13, -1
	s_mov_b64 s[22:23], 0
	s_mov_b64 s[26:27], 0
                                        ; implicit-def: $sgpr24_sgpr25
	s_branch .LBB913_355
.LBB913_353:                            ;   in Loop: Header=BB913_355 Depth=1
	global_load_dword v1, v[26:27], off
	global_load_dword v32, v[30:31], off
	s_add_u32 s26, s26, 1
	s_addc_u32 s27, s27, 0
	s_andn2_b64 s[24:25], s[24:25], exec
	v_lshl_add_u64 v[30:31], v[30:31], 0, 4
	v_lshl_add_u64 v[26:27], v[26:27], 0, 4
	s_waitcnt vmcnt(0)
	v_cmp_neq_f32_e32 vcc, v1, v32
	s_and_b64 s[28:29], vcc, exec
	s_or_b64 s[24:25], s[24:25], s[28:29]
.LBB913_354:                            ;   in Loop: Header=BB913_355 Depth=1
	s_and_b64 s[28:29], exec, s[24:25]
	s_or_b64 s[22:23], s[28:29], s[22:23]
	v_mov_b64_e32 v[32:33], s[26:27]
	s_andn2_b64 exec, exec, s[22:23]
	s_cbranch_execz .LBB913_357
.LBB913_355:                            ; =>This Inner Loop Header: Depth=1
	s_or_b64 s[24:25], s[24:25], exec
	s_cmp_eq_u64 s[20:21], s[26:27]
	s_cbranch_scc0 .LBB913_353
; %bb.356:                              ;   in Loop: Header=BB913_355 Depth=1
                                        ; implicit-def: $vgpr30_vgpr31
                                        ; implicit-def: $vgpr26_vgpr27
	s_mov_b64 s[26:27], s[12:13]
	s_branch .LBB913_354
.LBB913_357:
	s_or_b64 exec, exec, s[22:23]
	v_cmp_gt_i64_e32 vcc, s[12:13], v[32:33]
	s_mov_b32 s7, 0
	v_mov_b32_e32 v59, s7
	v_cndmask_b32_e64 v58, 0, 1, vcc
.LBB913_358:
	s_or_b64 exec, exec, s[4:5]
.LBB913_359:
	v_mul_lo_u32 v1, v13, s12
	v_mul_lo_u32 v30, v12, s13
	v_mad_u64_u32 v[26:27], s[4:5], v12, s12, 0
	v_add3_u32 v27, v27, v30, v1
	s_and_b64 vcc, exec, s[2:3]
	v_lshl_add_u64 v[26:27], v[26:27], 2, s[14:15]
	s_cbranch_vccnz .LBB913_368
; %bb.360:
	global_load_dword v1, v[28:29], off
	global_load_dword v30, v[26:27], off
	v_mov_b64_e32 v[60:61], 1
	s_waitcnt vmcnt(0)
	v_cmp_eq_f32_e32 vcc, v1, v30
	s_and_saveexec_b64 s[4:5], vcc
	s_cbranch_execz .LBB913_367
; %bb.361:
	s_add_u32 s20, s12, -1
	v_lshl_add_u64 v[30:31], v[26:27], 0, 4
	v_lshl_add_u64 v[28:29], v[28:29], 0, 4
	s_addc_u32 s21, s13, -1
	s_mov_b64 s[22:23], 0
	s_mov_b64 s[26:27], 0
                                        ; implicit-def: $sgpr24_sgpr25
	s_branch .LBB913_364
.LBB913_362:                            ;   in Loop: Header=BB913_364 Depth=1
	global_load_dword v1, v[28:29], off
	global_load_dword v32, v[30:31], off
	s_add_u32 s26, s26, 1
	s_addc_u32 s27, s27, 0
	s_andn2_b64 s[24:25], s[24:25], exec
	v_lshl_add_u64 v[30:31], v[30:31], 0, 4
	v_lshl_add_u64 v[28:29], v[28:29], 0, 4
	s_waitcnt vmcnt(0)
	v_cmp_neq_f32_e32 vcc, v1, v32
	s_and_b64 s[28:29], vcc, exec
	s_or_b64 s[24:25], s[24:25], s[28:29]
.LBB913_363:                            ;   in Loop: Header=BB913_364 Depth=1
	s_and_b64 s[28:29], exec, s[24:25]
	s_or_b64 s[22:23], s[28:29], s[22:23]
	v_mov_b64_e32 v[32:33], s[26:27]
	s_andn2_b64 exec, exec, s[22:23]
	s_cbranch_execz .LBB913_366
.LBB913_364:                            ; =>This Inner Loop Header: Depth=1
	s_or_b64 s[24:25], s[24:25], exec
	s_cmp_eq_u64 s[20:21], s[26:27]
	s_cbranch_scc0 .LBB913_362
; %bb.365:                              ;   in Loop: Header=BB913_364 Depth=1
                                        ; implicit-def: $vgpr30_vgpr31
                                        ; implicit-def: $vgpr28_vgpr29
	s_mov_b64 s[26:27], s[12:13]
	s_branch .LBB913_363
.LBB913_366:
	s_or_b64 exec, exec, s[22:23]
	v_cmp_gt_i64_e32 vcc, s[12:13], v[32:33]
	s_mov_b32 s7, 0
	v_mov_b32_e32 v61, s7
	v_cndmask_b32_e64 v60, 0, 1, vcc
.LBB913_367:
	s_or_b64 exec, exec, s[4:5]
.LBB913_368:
	v_mul_lo_u32 v1, v11, s12
	v_mul_lo_u32 v30, v10, s13
	v_mad_u64_u32 v[28:29], s[4:5], v10, s12, 0
	v_add3_u32 v29, v29, v30, v1
	v_mov_b64_e32 v[64:65], 0
	s_and_b64 vcc, exec, s[2:3]
	v_lshl_add_u64 v[28:29], v[28:29], 2, s[14:15]
	v_mov_b64_e32 v[62:63], v[64:65]
	s_cbranch_vccnz .LBB913_377
; %bb.369:
	global_load_dword v1, v[26:27], off
	global_load_dword v30, v[28:29], off
	v_mov_b64_e32 v[62:63], 1
	s_waitcnt vmcnt(0)
	v_cmp_eq_f32_e32 vcc, v1, v30
	s_and_saveexec_b64 s[4:5], vcc
	s_cbranch_execz .LBB913_376
; %bb.370:
	s_add_u32 s20, s12, -1
	v_lshl_add_u64 v[30:31], v[28:29], 0, 4
	v_lshl_add_u64 v[26:27], v[26:27], 0, 4
	s_addc_u32 s21, s13, -1
	s_mov_b64 s[22:23], 0
	s_mov_b64 s[26:27], 0
                                        ; implicit-def: $sgpr24_sgpr25
	s_branch .LBB913_373
.LBB913_371:                            ;   in Loop: Header=BB913_373 Depth=1
	global_load_dword v1, v[26:27], off
	global_load_dword v32, v[30:31], off
	s_add_u32 s26, s26, 1
	s_addc_u32 s27, s27, 0
	s_andn2_b64 s[24:25], s[24:25], exec
	v_lshl_add_u64 v[30:31], v[30:31], 0, 4
	v_lshl_add_u64 v[26:27], v[26:27], 0, 4
	s_waitcnt vmcnt(0)
	v_cmp_neq_f32_e32 vcc, v1, v32
	s_and_b64 s[28:29], vcc, exec
	s_or_b64 s[24:25], s[24:25], s[28:29]
.LBB913_372:                            ;   in Loop: Header=BB913_373 Depth=1
	s_and_b64 s[28:29], exec, s[24:25]
	s_or_b64 s[22:23], s[28:29], s[22:23]
	v_mov_b64_e32 v[32:33], s[26:27]
	s_andn2_b64 exec, exec, s[22:23]
	s_cbranch_execz .LBB913_375
.LBB913_373:                            ; =>This Inner Loop Header: Depth=1
	s_or_b64 s[24:25], s[24:25], exec
	s_cmp_eq_u64 s[20:21], s[26:27]
	s_cbranch_scc0 .LBB913_371
; %bb.374:                              ;   in Loop: Header=BB913_373 Depth=1
                                        ; implicit-def: $vgpr30_vgpr31
                                        ; implicit-def: $vgpr26_vgpr27
	s_mov_b64 s[26:27], s[12:13]
	s_branch .LBB913_372
.LBB913_375:
	s_or_b64 exec, exec, s[22:23]
	v_cmp_gt_i64_e32 vcc, s[12:13], v[32:33]
	s_mov_b32 s7, 0
	v_mov_b32_e32 v63, s7
	v_cndmask_b32_e64 v62, 0, 1, vcc
.LBB913_376:
	s_or_b64 exec, exec, s[4:5]
.LBB913_377:
	v_mul_lo_u32 v1, v9, s12
	v_mul_lo_u32 v30, v8, s13
	v_mad_u64_u32 v[26:27], s[4:5], v8, s12, 0
	v_add3_u32 v27, v27, v30, v1
	s_and_b64 vcc, exec, s[2:3]
	v_lshl_add_u64 v[26:27], v[26:27], 2, s[14:15]
	s_cbranch_vccnz .LBB913_386
; %bb.378:
	global_load_dword v1, v[28:29], off
	global_load_dword v30, v[26:27], off
	v_mov_b64_e32 v[64:65], 1
	s_waitcnt vmcnt(0)
	v_cmp_eq_f32_e32 vcc, v1, v30
	s_and_saveexec_b64 s[4:5], vcc
	s_cbranch_execz .LBB913_385
; %bb.379:
	s_add_u32 s20, s12, -1
	v_lshl_add_u64 v[30:31], v[26:27], 0, 4
	v_lshl_add_u64 v[28:29], v[28:29], 0, 4
	s_addc_u32 s21, s13, -1
	s_mov_b64 s[22:23], 0
	s_mov_b64 s[26:27], 0
                                        ; implicit-def: $sgpr24_sgpr25
	s_branch .LBB913_382
.LBB913_380:                            ;   in Loop: Header=BB913_382 Depth=1
	global_load_dword v1, v[28:29], off
	global_load_dword v32, v[30:31], off
	s_add_u32 s26, s26, 1
	s_addc_u32 s27, s27, 0
	s_andn2_b64 s[24:25], s[24:25], exec
	v_lshl_add_u64 v[30:31], v[30:31], 0, 4
	v_lshl_add_u64 v[28:29], v[28:29], 0, 4
	s_waitcnt vmcnt(0)
	v_cmp_neq_f32_e32 vcc, v1, v32
	s_and_b64 s[28:29], vcc, exec
	s_or_b64 s[24:25], s[24:25], s[28:29]
.LBB913_381:                            ;   in Loop: Header=BB913_382 Depth=1
	s_and_b64 s[28:29], exec, s[24:25]
	s_or_b64 s[22:23], s[28:29], s[22:23]
	v_mov_b64_e32 v[32:33], s[26:27]
	s_andn2_b64 exec, exec, s[22:23]
	s_cbranch_execz .LBB913_384
.LBB913_382:                            ; =>This Inner Loop Header: Depth=1
	s_or_b64 s[24:25], s[24:25], exec
	s_cmp_eq_u64 s[20:21], s[26:27]
	s_cbranch_scc0 .LBB913_380
; %bb.383:                              ;   in Loop: Header=BB913_382 Depth=1
                                        ; implicit-def: $vgpr30_vgpr31
                                        ; implicit-def: $vgpr28_vgpr29
	s_mov_b64 s[26:27], s[12:13]
	s_branch .LBB913_381
.LBB913_384:
	s_or_b64 exec, exec, s[22:23]
	v_cmp_gt_i64_e32 vcc, s[12:13], v[32:33]
	s_mov_b32 s7, 0
	v_mov_b32_e32 v65, s7
	v_cndmask_b32_e64 v64, 0, 1, vcc
.LBB913_385:
	s_or_b64 exec, exec, s[4:5]
.LBB913_386:
	v_mul_lo_u32 v1, v7, s12
	v_mul_lo_u32 v30, v6, s13
	v_mad_u64_u32 v[28:29], s[4:5], v6, s12, 0
	v_add3_u32 v29, v29, v30, v1
	v_mov_b64_e32 v[68:69], 0
	s_and_b64 vcc, exec, s[2:3]
	v_lshl_add_u64 v[28:29], v[28:29], 2, s[14:15]
	v_mov_b64_e32 v[66:67], v[68:69]
	s_cbranch_vccnz .LBB913_395
; %bb.387:
	global_load_dword v1, v[26:27], off
	global_load_dword v30, v[28:29], off
	v_mov_b64_e32 v[66:67], 1
	s_waitcnt vmcnt(0)
	v_cmp_eq_f32_e32 vcc, v1, v30
	s_and_saveexec_b64 s[4:5], vcc
	s_cbranch_execz .LBB913_394
; %bb.388:
	s_add_u32 s20, s12, -1
	v_lshl_add_u64 v[30:31], v[28:29], 0, 4
	v_lshl_add_u64 v[26:27], v[26:27], 0, 4
	s_addc_u32 s21, s13, -1
	s_mov_b64 s[22:23], 0
	s_mov_b64 s[26:27], 0
                                        ; implicit-def: $sgpr24_sgpr25
	s_branch .LBB913_391
.LBB913_389:                            ;   in Loop: Header=BB913_391 Depth=1
	global_load_dword v1, v[26:27], off
	global_load_dword v32, v[30:31], off
	s_add_u32 s26, s26, 1
	s_addc_u32 s27, s27, 0
	s_andn2_b64 s[24:25], s[24:25], exec
	v_lshl_add_u64 v[30:31], v[30:31], 0, 4
	v_lshl_add_u64 v[26:27], v[26:27], 0, 4
	s_waitcnt vmcnt(0)
	v_cmp_neq_f32_e32 vcc, v1, v32
	s_and_b64 s[28:29], vcc, exec
	s_or_b64 s[24:25], s[24:25], s[28:29]
.LBB913_390:                            ;   in Loop: Header=BB913_391 Depth=1
	s_and_b64 s[28:29], exec, s[24:25]
	s_or_b64 s[22:23], s[28:29], s[22:23]
	v_mov_b64_e32 v[32:33], s[26:27]
	s_andn2_b64 exec, exec, s[22:23]
	s_cbranch_execz .LBB913_393
.LBB913_391:                            ; =>This Inner Loop Header: Depth=1
	s_or_b64 s[24:25], s[24:25], exec
	s_cmp_eq_u64 s[20:21], s[26:27]
	s_cbranch_scc0 .LBB913_389
; %bb.392:                              ;   in Loop: Header=BB913_391 Depth=1
                                        ; implicit-def: $vgpr30_vgpr31
                                        ; implicit-def: $vgpr26_vgpr27
	s_mov_b64 s[26:27], s[12:13]
	s_branch .LBB913_390
.LBB913_393:
	s_or_b64 exec, exec, s[22:23]
	v_cmp_gt_i64_e32 vcc, s[12:13], v[32:33]
	s_mov_b32 s7, 0
	v_mov_b32_e32 v67, s7
	v_cndmask_b32_e64 v66, 0, 1, vcc
.LBB913_394:
	s_or_b64 exec, exec, s[4:5]
.LBB913_395:
	v_mul_lo_u32 v1, v5, s12
	v_mul_lo_u32 v30, v4, s13
	v_mad_u64_u32 v[26:27], s[4:5], v4, s12, 0
	v_add3_u32 v27, v27, v30, v1
	s_and_b64 vcc, exec, s[2:3]
	v_lshl_add_u64 v[26:27], v[26:27], 2, s[14:15]
	s_cbranch_vccnz .LBB913_404
; %bb.396:
	global_load_dword v1, v[28:29], off
	global_load_dword v30, v[26:27], off
	v_mov_b64_e32 v[68:69], 1
	s_waitcnt vmcnt(0)
	v_cmp_eq_f32_e32 vcc, v1, v30
	s_and_saveexec_b64 s[4:5], vcc
	s_cbranch_execz .LBB913_403
; %bb.397:
	s_add_u32 s20, s12, -1
	v_lshl_add_u64 v[30:31], v[26:27], 0, 4
	v_lshl_add_u64 v[28:29], v[28:29], 0, 4
	s_addc_u32 s21, s13, -1
	s_mov_b64 s[22:23], 0
	s_mov_b64 s[26:27], 0
                                        ; implicit-def: $sgpr24_sgpr25
	s_branch .LBB913_400
.LBB913_398:                            ;   in Loop: Header=BB913_400 Depth=1
	global_load_dword v1, v[28:29], off
	global_load_dword v32, v[30:31], off
	s_add_u32 s26, s26, 1
	s_addc_u32 s27, s27, 0
	s_andn2_b64 s[24:25], s[24:25], exec
	v_lshl_add_u64 v[30:31], v[30:31], 0, 4
	v_lshl_add_u64 v[28:29], v[28:29], 0, 4
	s_waitcnt vmcnt(0)
	v_cmp_neq_f32_e32 vcc, v1, v32
	s_and_b64 s[28:29], vcc, exec
	s_or_b64 s[24:25], s[24:25], s[28:29]
.LBB913_399:                            ;   in Loop: Header=BB913_400 Depth=1
	s_and_b64 s[28:29], exec, s[24:25]
	s_or_b64 s[22:23], s[28:29], s[22:23]
	v_mov_b64_e32 v[32:33], s[26:27]
	s_andn2_b64 exec, exec, s[22:23]
	s_cbranch_execz .LBB913_402
.LBB913_400:                            ; =>This Inner Loop Header: Depth=1
	s_or_b64 s[24:25], s[24:25], exec
	s_cmp_eq_u64 s[20:21], s[26:27]
	s_cbranch_scc0 .LBB913_398
; %bb.401:                              ;   in Loop: Header=BB913_400 Depth=1
                                        ; implicit-def: $vgpr30_vgpr31
                                        ; implicit-def: $vgpr28_vgpr29
	s_mov_b64 s[26:27], s[12:13]
	s_branch .LBB913_399
.LBB913_402:
	s_or_b64 exec, exec, s[22:23]
	v_cmp_gt_i64_e32 vcc, s[12:13], v[32:33]
	s_mov_b32 s7, 0
	v_mov_b32_e32 v69, s7
	v_cndmask_b32_e64 v68, 0, 1, vcc
.LBB913_403:
	s_or_b64 exec, exec, s[4:5]
.LBB913_404:
	s_and_b64 vcc, exec, s[2:3]
	s_cbranch_vccnz .LBB913_411
; %bb.405:
	v_mul_lo_u32 v1, v3, s12
	v_mul_lo_u32 v30, v2, s13
	v_mad_u64_u32 v[28:29], s[4:5], v2, s12, 0
	v_add3_u32 v29, v29, v30, v1
	v_lshl_add_u64 v[28:29], v[28:29], 2, s[14:15]
	global_load_dword v1, v[26:27], off
	global_load_dword v30, v[28:29], off
	v_mov_b64_e32 v[70:71], 1
	s_waitcnt vmcnt(0)
	v_cmp_eq_f32_e32 vcc, v1, v30
	s_and_saveexec_b64 s[4:5], vcc
	s_cbranch_execz .LBB913_413
; %bb.406:
	s_add_u32 s20, s12, -1
	v_lshl_add_u64 v[28:29], v[28:29], 0, 4
	v_lshl_add_u64 v[26:27], v[26:27], 0, 4
	s_addc_u32 s21, s13, -1
	s_mov_b64 s[22:23], 0
	s_mov_b64 s[26:27], 0
                                        ; implicit-def: $sgpr24_sgpr25
	s_branch .LBB913_409
.LBB913_407:                            ;   in Loop: Header=BB913_409 Depth=1
	global_load_dword v1, v[26:27], off
	global_load_dword v30, v[28:29], off
	s_add_u32 s26, s26, 1
	s_addc_u32 s27, s27, 0
	s_andn2_b64 s[24:25], s[24:25], exec
	v_lshl_add_u64 v[28:29], v[28:29], 0, 4
	v_lshl_add_u64 v[26:27], v[26:27], 0, 4
	s_waitcnt vmcnt(0)
	v_cmp_neq_f32_e32 vcc, v1, v30
	s_and_b64 s[28:29], vcc, exec
	s_or_b64 s[24:25], s[24:25], s[28:29]
.LBB913_408:                            ;   in Loop: Header=BB913_409 Depth=1
	s_and_b64 s[28:29], exec, s[24:25]
	s_or_b64 s[22:23], s[28:29], s[22:23]
	v_mov_b64_e32 v[30:31], s[26:27]
	s_andn2_b64 exec, exec, s[22:23]
	s_cbranch_execz .LBB913_412
.LBB913_409:                            ; =>This Inner Loop Header: Depth=1
	s_or_b64 s[24:25], s[24:25], exec
	s_cmp_eq_u64 s[20:21], s[26:27]
	s_cbranch_scc0 .LBB913_407
; %bb.410:                              ;   in Loop: Header=BB913_409 Depth=1
                                        ; implicit-def: $vgpr28_vgpr29
                                        ; implicit-def: $vgpr26_vgpr27
	s_mov_b64 s[26:27], s[12:13]
	s_branch .LBB913_408
.LBB913_411:
	v_mov_b64_e32 v[70:71], 0
	s_branch .LBB913_414
.LBB913_412:
	s_or_b64 exec, exec, s[22:23]
	v_cmp_gt_i64_e32 vcc, s[12:13], v[30:31]
	s_mov_b32 s7, 0
	v_mov_b32_e32 v71, s7
	v_cndmask_b32_e64 v70, 0, 1, vcc
.LBB913_413:
	s_or_b64 exec, exec, s[4:5]
.LBB913_414:
	v_cmp_ne_u32_e32 vcc, 0, v0
	s_waitcnt lgkmcnt(0)
	; wave barrier
	s_waitcnt lgkmcnt(0)
                                        ; implicit-def: $sgpr24_sgpr25
	s_and_saveexec_b64 s[4:5], vcc
	s_cbranch_execz .LBB913_426
; %bb.415:
	s_and_b64 vcc, exec, s[2:3]
	s_cbranch_vccnz .LBB913_422
; %bb.416:
	v_add_u32_e32 v26, -8, v48
	ds_read_b64 v[26:27], v26
	v_mul_lo_u32 v1, v3, s12
	v_mul_lo_u32 v30, v2, s13
	v_mad_u64_u32 v[28:29], s[2:3], v2, s12, 0
	v_add3_u32 v29, v29, v30, v1
	s_waitcnt lgkmcnt(0)
	v_mul_lo_u32 v1, v27, s12
	v_mul_lo_u32 v30, v26, s13
	v_mad_u64_u32 v[26:27], s[2:3], v26, s12, 0
	v_add3_u32 v27, v27, v30, v1
	v_lshl_add_u64 v[28:29], v[28:29], 2, s[14:15]
	v_lshl_add_u64 v[26:27], v[26:27], 2, s[14:15]
	global_load_dword v1, v[28:29], off
	global_load_dword v30, v[26:27], off
	s_mov_b64 s[20:21], -1
	s_waitcnt vmcnt(0)
	v_cmp_eq_f32_e32 vcc, v1, v30
	s_and_saveexec_b64 s[2:3], vcc
	s_cbranch_execz .LBB913_424
; %bb.417:
	s_add_u32 s20, s12, -1
	v_lshl_add_u64 v[26:27], v[26:27], 0, 4
	v_lshl_add_u64 v[28:29], v[28:29], 0, 4
	s_addc_u32 s21, s13, -1
	s_mov_b64 s[22:23], 0
	s_mov_b64 s[26:27], 0
                                        ; implicit-def: $sgpr24_sgpr25
	s_branch .LBB913_420
.LBB913_418:                            ;   in Loop: Header=BB913_420 Depth=1
	global_load_dword v1, v[28:29], off
	global_load_dword v30, v[26:27], off
	s_add_u32 s26, s26, 1
	s_addc_u32 s27, s27, 0
	s_andn2_b64 s[24:25], s[24:25], exec
	v_lshl_add_u64 v[26:27], v[26:27], 0, 4
	v_lshl_add_u64 v[28:29], v[28:29], 0, 4
	s_waitcnt vmcnt(0)
	v_cmp_neq_f32_e32 vcc, v1, v30
	s_and_b64 s[28:29], vcc, exec
	s_or_b64 s[24:25], s[24:25], s[28:29]
.LBB913_419:                            ;   in Loop: Header=BB913_420 Depth=1
	s_and_b64 s[28:29], exec, s[24:25]
	s_or_b64 s[22:23], s[28:29], s[22:23]
	v_mov_b64_e32 v[30:31], s[26:27]
	s_andn2_b64 exec, exec, s[22:23]
	s_cbranch_execz .LBB913_423
.LBB913_420:                            ; =>This Inner Loop Header: Depth=1
	s_or_b64 s[24:25], s[24:25], exec
	s_cmp_eq_u64 s[20:21], s[26:27]
	s_cbranch_scc0 .LBB913_418
; %bb.421:                              ;   in Loop: Header=BB913_420 Depth=1
                                        ; implicit-def: $vgpr26_vgpr27
                                        ; implicit-def: $vgpr28_vgpr29
	s_mov_b64 s[26:27], s[12:13]
	s_branch .LBB913_419
.LBB913_422:
	s_mov_b64 s[20:21], 0
	s_branch .LBB913_425
.LBB913_423:
	s_or_b64 exec, exec, s[22:23]
	v_cmp_gt_i64_e32 vcc, s[12:13], v[30:31]
	s_orn2_b64 s[20:21], vcc, exec
.LBB913_424:
	s_or_b64 exec, exec, s[2:3]
.LBB913_425:
	s_and_b64 s[24:25], s[20:21], exec
	s_or_b64 s[18:19], s[18:19], exec
.LBB913_426:
	s_or_b64 exec, exec, s[4:5]
	v_mov_b64_e32 v[72:73], v[52:53]
	v_mov_b64_e32 v[26:27], v[46:47]
	;; [unrolled: 1-line block ×11, first 2 shown]
	s_branch .LBB913_572
.LBB913_427:
	s_waitcnt lgkmcnt(0)
	v_mad_u32_u24 v26, v0, 13, 12
	v_cmp_gt_i64_e64 s[2:3], s[12:13], 0
	v_cmp_gt_u32_e32 vcc, s10, v26
	v_mul_u32_u24_e32 v1, 13, v0
	v_cndmask_b32_e64 v26, 0, 1, s[2:3]
	v_cmp_ne_u32_e64 s[2:3], 1, v26
	ds_write_b64 v48, v[44:45]
	s_and_saveexec_b64 s[4:5], vcc
	s_cbranch_execz .LBB913_438
; %bb.428:
	s_and_b64 vcc, exec, s[2:3]
	s_cbranch_vccnz .LBB913_435
; %bb.429:
	v_mul_lo_u32 v28, v45, s12
	v_mul_lo_u32 v29, v44, s13
	v_mad_u64_u32 v[26:27], s[20:21], v44, s12, 0
	v_add3_u32 v27, v27, v29, v28
	v_mul_lo_u32 v28, v25, s12
	v_mul_lo_u32 v29, v24, s13
	v_mad_u64_u32 v[30:31], s[20:21], v24, s12, 0
	v_add3_u32 v31, v31, v29, v28
	v_lshl_add_u64 v[28:29], v[26:27], 2, s[14:15]
	v_lshl_add_u64 v[26:27], v[30:31], 2, s[14:15]
	global_load_dword v30, v[28:29], off
	global_load_dword v31, v[26:27], off
	v_mov_b64_e32 v[44:45], 1
	s_waitcnt vmcnt(0)
	v_cmp_eq_f32_e32 vcc, v30, v31
	s_and_saveexec_b64 s[20:21], vcc
	s_cbranch_execz .LBB913_437
; %bb.430:
	s_add_u32 s22, s12, -1
	v_lshl_add_u64 v[26:27], v[26:27], 0, 4
	v_lshl_add_u64 v[28:29], v[28:29], 0, 4
	s_addc_u32 s23, s13, -1
	s_mov_b64 s[24:25], 0
	s_mov_b64 s[28:29], 0
                                        ; implicit-def: $sgpr26_sgpr27
	s_branch .LBB913_433
.LBB913_431:                            ;   in Loop: Header=BB913_433 Depth=1
	global_load_dword v30, v[28:29], off
	global_load_dword v31, v[26:27], off
	s_add_u32 s28, s28, 1
	s_addc_u32 s29, s29, 0
	s_andn2_b64 s[26:27], s[26:27], exec
	v_lshl_add_u64 v[26:27], v[26:27], 0, 4
	v_lshl_add_u64 v[28:29], v[28:29], 0, 4
	s_waitcnt vmcnt(0)
	v_cmp_neq_f32_e32 vcc, v30, v31
	s_and_b64 s[30:31], vcc, exec
	s_or_b64 s[26:27], s[26:27], s[30:31]
.LBB913_432:                            ;   in Loop: Header=BB913_433 Depth=1
	s_and_b64 s[30:31], exec, s[26:27]
	s_or_b64 s[24:25], s[30:31], s[24:25]
	v_mov_b64_e32 v[30:31], s[28:29]
	s_andn2_b64 exec, exec, s[24:25]
	s_cbranch_execz .LBB913_436
.LBB913_433:                            ; =>This Inner Loop Header: Depth=1
	s_or_b64 s[26:27], s[26:27], exec
	s_cmp_eq_u64 s[22:23], s[28:29]
	s_cbranch_scc0 .LBB913_431
; %bb.434:                              ;   in Loop: Header=BB913_433 Depth=1
                                        ; implicit-def: $vgpr26_vgpr27
                                        ; implicit-def: $vgpr28_vgpr29
	s_mov_b64 s[28:29], s[12:13]
	s_branch .LBB913_432
.LBB913_435:
	v_mov_b64_e32 v[44:45], 0
	s_branch .LBB913_438
.LBB913_436:
	s_or_b64 exec, exec, s[24:25]
	v_cmp_gt_i64_e32 vcc, s[12:13], v[30:31]
	s_mov_b32 s7, 0
	v_mov_b32_e32 v45, s7
	v_cndmask_b32_e64 v44, 0, 1, vcc
.LBB913_437:
	s_or_b64 exec, exec, s[20:21]
.LBB913_438:
	s_or_b64 exec, exec, s[4:5]
	v_add_u32_e32 v26, 11, v1
	v_cmp_gt_u32_e32 vcc, s10, v26
	s_and_saveexec_b64 s[4:5], vcc
	s_cbranch_execz .LBB913_449
; %bb.439:
	s_and_b64 vcc, exec, s[2:3]
	s_cbranch_vccnz .LBB913_446
; %bb.440:
	v_mul_lo_u32 v26, v25, s12
	v_mul_lo_u32 v27, v24, s13
	v_mad_u64_u32 v[24:25], s[20:21], v24, s12, 0
	v_add3_u32 v25, v25, v27, v26
	v_mul_lo_u32 v26, v23, s12
	v_mul_lo_u32 v27, v22, s13
	v_mad_u64_u32 v[28:29], s[20:21], v22, s12, 0
	v_add3_u32 v29, v29, v27, v26
	v_lshl_add_u64 v[26:27], v[24:25], 2, s[14:15]
	v_lshl_add_u64 v[28:29], v[28:29], 2, s[14:15]
	global_load_dword v24, v[26:27], off
	global_load_dword v25, v[28:29], off
	s_waitcnt vmcnt(0)
	v_cmp_eq_f32_e32 vcc, v24, v25
	v_mov_b64_e32 v[24:25], 1
	s_and_saveexec_b64 s[20:21], vcc
	s_cbranch_execz .LBB913_448
; %bb.441:
	s_add_u32 s22, s12, -1
	v_lshl_add_u64 v[24:25], v[28:29], 0, 4
	v_lshl_add_u64 v[26:27], v[26:27], 0, 4
	s_addc_u32 s23, s13, -1
	s_mov_b64 s[24:25], 0
	s_mov_b64 s[28:29], 0
                                        ; implicit-def: $sgpr26_sgpr27
	s_branch .LBB913_444
.LBB913_442:                            ;   in Loop: Header=BB913_444 Depth=1
	global_load_dword v28, v[26:27], off
	global_load_dword v29, v[24:25], off
	s_add_u32 s28, s28, 1
	s_addc_u32 s29, s29, 0
	s_andn2_b64 s[26:27], s[26:27], exec
	v_lshl_add_u64 v[24:25], v[24:25], 0, 4
	v_lshl_add_u64 v[26:27], v[26:27], 0, 4
	s_waitcnt vmcnt(0)
	v_cmp_neq_f32_e32 vcc, v28, v29
	s_and_b64 s[30:31], vcc, exec
	s_or_b64 s[26:27], s[26:27], s[30:31]
.LBB913_443:                            ;   in Loop: Header=BB913_444 Depth=1
	s_and_b64 s[30:31], exec, s[26:27]
	s_or_b64 s[24:25], s[30:31], s[24:25]
	v_mov_b64_e32 v[28:29], s[28:29]
	s_andn2_b64 exec, exec, s[24:25]
	s_cbranch_execz .LBB913_447
.LBB913_444:                            ; =>This Inner Loop Header: Depth=1
	s_or_b64 s[26:27], s[26:27], exec
	s_cmp_eq_u64 s[22:23], s[28:29]
	s_cbranch_scc0 .LBB913_442
; %bb.445:                              ;   in Loop: Header=BB913_444 Depth=1
                                        ; implicit-def: $vgpr24_vgpr25
                                        ; implicit-def: $vgpr26_vgpr27
	s_mov_b64 s[28:29], s[12:13]
	s_branch .LBB913_443
.LBB913_446:
	v_mov_b64_e32 v[24:25], 0
	s_branch .LBB913_449
.LBB913_447:
	s_or_b64 exec, exec, s[24:25]
	v_cmp_gt_i64_e32 vcc, s[12:13], v[28:29]
	s_mov_b32 s7, 0
	v_mov_b32_e32 v25, s7
	v_cndmask_b32_e64 v24, 0, 1, vcc
.LBB913_448:
	s_or_b64 exec, exec, s[20:21]
.LBB913_449:
	s_or_b64 exec, exec, s[4:5]
	v_add_u32_e32 v26, 10, v1
	v_cmp_gt_u32_e32 vcc, s10, v26
	s_and_saveexec_b64 s[4:5], vcc
	s_cbranch_execz .LBB913_460
; %bb.450:
	s_and_b64 vcc, exec, s[2:3]
	s_cbranch_vccnz .LBB913_457
; %bb.451:
	v_mul_lo_u32 v26, v23, s12
	v_mul_lo_u32 v27, v22, s13
	v_mad_u64_u32 v[22:23], s[20:21], v22, s12, 0
	v_add3_u32 v23, v23, v27, v26
	v_mul_lo_u32 v26, v21, s12
	v_mul_lo_u32 v27, v20, s13
	v_mad_u64_u32 v[28:29], s[20:21], v20, s12, 0
	v_add3_u32 v29, v29, v27, v26
	v_lshl_add_u64 v[26:27], v[22:23], 2, s[14:15]
	v_lshl_add_u64 v[28:29], v[28:29], 2, s[14:15]
	global_load_dword v22, v[26:27], off
	global_load_dword v23, v[28:29], off
	s_waitcnt vmcnt(0)
	v_cmp_eq_f32_e32 vcc, v22, v23
	v_mov_b64_e32 v[22:23], 1
	s_and_saveexec_b64 s[20:21], vcc
	s_cbranch_execz .LBB913_459
; %bb.452:
	s_add_u32 s22, s12, -1
	v_lshl_add_u64 v[22:23], v[28:29], 0, 4
	v_lshl_add_u64 v[26:27], v[26:27], 0, 4
	s_addc_u32 s23, s13, -1
	s_mov_b64 s[24:25], 0
	s_mov_b64 s[28:29], 0
                                        ; implicit-def: $sgpr26_sgpr27
	s_branch .LBB913_455
.LBB913_453:                            ;   in Loop: Header=BB913_455 Depth=1
	global_load_dword v28, v[26:27], off
	global_load_dword v29, v[22:23], off
	s_add_u32 s28, s28, 1
	s_addc_u32 s29, s29, 0
	s_andn2_b64 s[26:27], s[26:27], exec
	v_lshl_add_u64 v[22:23], v[22:23], 0, 4
	v_lshl_add_u64 v[26:27], v[26:27], 0, 4
	s_waitcnt vmcnt(0)
	v_cmp_neq_f32_e32 vcc, v28, v29
	s_and_b64 s[30:31], vcc, exec
	s_or_b64 s[26:27], s[26:27], s[30:31]
.LBB913_454:                            ;   in Loop: Header=BB913_455 Depth=1
	s_and_b64 s[30:31], exec, s[26:27]
	s_or_b64 s[24:25], s[30:31], s[24:25]
	v_mov_b64_e32 v[28:29], s[28:29]
	s_andn2_b64 exec, exec, s[24:25]
	s_cbranch_execz .LBB913_458
.LBB913_455:                            ; =>This Inner Loop Header: Depth=1
	s_or_b64 s[26:27], s[26:27], exec
	s_cmp_eq_u64 s[22:23], s[28:29]
	s_cbranch_scc0 .LBB913_453
; %bb.456:                              ;   in Loop: Header=BB913_455 Depth=1
                                        ; implicit-def: $vgpr22_vgpr23
                                        ; implicit-def: $vgpr26_vgpr27
	s_mov_b64 s[28:29], s[12:13]
	s_branch .LBB913_454
.LBB913_457:
	v_mov_b64_e32 v[22:23], 0
	s_branch .LBB913_460
.LBB913_458:
	s_or_b64 exec, exec, s[24:25]
	v_cmp_gt_i64_e32 vcc, s[12:13], v[28:29]
	s_mov_b32 s7, 0
	v_mov_b32_e32 v23, s7
	v_cndmask_b32_e64 v22, 0, 1, vcc
.LBB913_459:
	s_or_b64 exec, exec, s[20:21]
.LBB913_460:
	s_or_b64 exec, exec, s[4:5]
	v_add_u32_e32 v26, 9, v1
	v_cmp_gt_u32_e32 vcc, s10, v26
	s_and_saveexec_b64 s[4:5], vcc
	s_cbranch_execz .LBB913_471
; %bb.461:
	s_and_b64 vcc, exec, s[2:3]
	s_cbranch_vccnz .LBB913_468
; %bb.462:
	v_mul_lo_u32 v26, v21, s12
	v_mul_lo_u32 v27, v20, s13
	v_mad_u64_u32 v[20:21], s[20:21], v20, s12, 0
	v_add3_u32 v21, v21, v27, v26
	v_mul_lo_u32 v26, v19, s12
	v_mul_lo_u32 v27, v18, s13
	v_mad_u64_u32 v[28:29], s[20:21], v18, s12, 0
	v_add3_u32 v29, v29, v27, v26
	v_lshl_add_u64 v[26:27], v[20:21], 2, s[14:15]
	v_lshl_add_u64 v[28:29], v[28:29], 2, s[14:15]
	global_load_dword v20, v[26:27], off
	global_load_dword v21, v[28:29], off
	s_waitcnt vmcnt(0)
	v_cmp_eq_f32_e32 vcc, v20, v21
	v_mov_b64_e32 v[20:21], 1
	s_and_saveexec_b64 s[20:21], vcc
	s_cbranch_execz .LBB913_470
; %bb.463:
	s_add_u32 s22, s12, -1
	v_lshl_add_u64 v[20:21], v[28:29], 0, 4
	v_lshl_add_u64 v[26:27], v[26:27], 0, 4
	s_addc_u32 s23, s13, -1
	s_mov_b64 s[24:25], 0
	s_mov_b64 s[28:29], 0
                                        ; implicit-def: $sgpr26_sgpr27
	s_branch .LBB913_466
.LBB913_464:                            ;   in Loop: Header=BB913_466 Depth=1
	global_load_dword v28, v[26:27], off
	global_load_dword v29, v[20:21], off
	s_add_u32 s28, s28, 1
	s_addc_u32 s29, s29, 0
	s_andn2_b64 s[26:27], s[26:27], exec
	v_lshl_add_u64 v[20:21], v[20:21], 0, 4
	v_lshl_add_u64 v[26:27], v[26:27], 0, 4
	s_waitcnt vmcnt(0)
	v_cmp_neq_f32_e32 vcc, v28, v29
	s_and_b64 s[30:31], vcc, exec
	s_or_b64 s[26:27], s[26:27], s[30:31]
.LBB913_465:                            ;   in Loop: Header=BB913_466 Depth=1
	s_and_b64 s[30:31], exec, s[26:27]
	s_or_b64 s[24:25], s[30:31], s[24:25]
	v_mov_b64_e32 v[28:29], s[28:29]
	s_andn2_b64 exec, exec, s[24:25]
	s_cbranch_execz .LBB913_469
.LBB913_466:                            ; =>This Inner Loop Header: Depth=1
	s_or_b64 s[26:27], s[26:27], exec
	s_cmp_eq_u64 s[22:23], s[28:29]
	s_cbranch_scc0 .LBB913_464
; %bb.467:                              ;   in Loop: Header=BB913_466 Depth=1
                                        ; implicit-def: $vgpr20_vgpr21
                                        ; implicit-def: $vgpr26_vgpr27
	s_mov_b64 s[28:29], s[12:13]
	s_branch .LBB913_465
.LBB913_468:
	v_mov_b64_e32 v[20:21], 0
	s_branch .LBB913_471
.LBB913_469:
	s_or_b64 exec, exec, s[24:25]
	v_cmp_gt_i64_e32 vcc, s[12:13], v[28:29]
	s_mov_b32 s7, 0
	v_mov_b32_e32 v21, s7
	v_cndmask_b32_e64 v20, 0, 1, vcc
.LBB913_470:
	s_or_b64 exec, exec, s[20:21]
.LBB913_471:
	s_or_b64 exec, exec, s[4:5]
	v_add_u32_e32 v26, 8, v1
	v_cmp_gt_u32_e32 vcc, s10, v26
	s_and_saveexec_b64 s[4:5], vcc
	s_cbranch_execz .LBB913_482
; %bb.472:
	s_and_b64 vcc, exec, s[2:3]
	s_cbranch_vccnz .LBB913_479
; %bb.473:
	v_mul_lo_u32 v26, v19, s12
	v_mul_lo_u32 v27, v18, s13
	v_mad_u64_u32 v[18:19], s[20:21], v18, s12, 0
	v_add3_u32 v19, v19, v27, v26
	v_mul_lo_u32 v26, v17, s12
	v_mul_lo_u32 v27, v16, s13
	v_mad_u64_u32 v[28:29], s[20:21], v16, s12, 0
	v_add3_u32 v29, v29, v27, v26
	v_lshl_add_u64 v[26:27], v[18:19], 2, s[14:15]
	v_lshl_add_u64 v[28:29], v[28:29], 2, s[14:15]
	global_load_dword v18, v[26:27], off
	global_load_dword v19, v[28:29], off
	s_waitcnt vmcnt(0)
	v_cmp_eq_f32_e32 vcc, v18, v19
	v_mov_b64_e32 v[18:19], 1
	s_and_saveexec_b64 s[20:21], vcc
	s_cbranch_execz .LBB913_481
; %bb.474:
	s_add_u32 s22, s12, -1
	v_lshl_add_u64 v[18:19], v[28:29], 0, 4
	v_lshl_add_u64 v[26:27], v[26:27], 0, 4
	s_addc_u32 s23, s13, -1
	s_mov_b64 s[24:25], 0
	s_mov_b64 s[28:29], 0
                                        ; implicit-def: $sgpr26_sgpr27
	s_branch .LBB913_477
.LBB913_475:                            ;   in Loop: Header=BB913_477 Depth=1
	global_load_dword v28, v[26:27], off
	global_load_dword v29, v[18:19], off
	s_add_u32 s28, s28, 1
	s_addc_u32 s29, s29, 0
	s_andn2_b64 s[26:27], s[26:27], exec
	v_lshl_add_u64 v[18:19], v[18:19], 0, 4
	v_lshl_add_u64 v[26:27], v[26:27], 0, 4
	s_waitcnt vmcnt(0)
	v_cmp_neq_f32_e32 vcc, v28, v29
	s_and_b64 s[30:31], vcc, exec
	s_or_b64 s[26:27], s[26:27], s[30:31]
.LBB913_476:                            ;   in Loop: Header=BB913_477 Depth=1
	s_and_b64 s[30:31], exec, s[26:27]
	s_or_b64 s[24:25], s[30:31], s[24:25]
	v_mov_b64_e32 v[28:29], s[28:29]
	s_andn2_b64 exec, exec, s[24:25]
	s_cbranch_execz .LBB913_480
.LBB913_477:                            ; =>This Inner Loop Header: Depth=1
	s_or_b64 s[26:27], s[26:27], exec
	s_cmp_eq_u64 s[22:23], s[28:29]
	s_cbranch_scc0 .LBB913_475
; %bb.478:                              ;   in Loop: Header=BB913_477 Depth=1
                                        ; implicit-def: $vgpr18_vgpr19
                                        ; implicit-def: $vgpr26_vgpr27
	s_mov_b64 s[28:29], s[12:13]
	s_branch .LBB913_476
.LBB913_479:
	v_mov_b64_e32 v[18:19], 0
	s_branch .LBB913_482
.LBB913_480:
	s_or_b64 exec, exec, s[24:25]
	v_cmp_gt_i64_e32 vcc, s[12:13], v[28:29]
	s_mov_b32 s7, 0
	v_mov_b32_e32 v19, s7
	v_cndmask_b32_e64 v18, 0, 1, vcc
.LBB913_481:
	s_or_b64 exec, exec, s[20:21]
.LBB913_482:
	s_or_b64 exec, exec, s[4:5]
	v_add_u32_e32 v26, 7, v1
	v_cmp_gt_u32_e32 vcc, s10, v26
	s_and_saveexec_b64 s[4:5], vcc
	s_cbranch_execz .LBB913_493
; %bb.483:
	s_and_b64 vcc, exec, s[2:3]
	s_cbranch_vccnz .LBB913_490
; %bb.484:
	v_mul_lo_u32 v26, v17, s12
	v_mul_lo_u32 v27, v16, s13
	v_mad_u64_u32 v[16:17], s[20:21], v16, s12, 0
	v_add3_u32 v17, v17, v27, v26
	v_mul_lo_u32 v26, v15, s12
	v_mul_lo_u32 v27, v14, s13
	v_mad_u64_u32 v[28:29], s[20:21], v14, s12, 0
	v_add3_u32 v29, v29, v27, v26
	v_lshl_add_u64 v[26:27], v[16:17], 2, s[14:15]
	v_lshl_add_u64 v[28:29], v[28:29], 2, s[14:15]
	global_load_dword v16, v[26:27], off
	global_load_dword v17, v[28:29], off
	s_waitcnt vmcnt(0)
	v_cmp_eq_f32_e32 vcc, v16, v17
	v_mov_b64_e32 v[16:17], 1
	s_and_saveexec_b64 s[20:21], vcc
	s_cbranch_execz .LBB913_492
; %bb.485:
	s_add_u32 s22, s12, -1
	v_lshl_add_u64 v[16:17], v[28:29], 0, 4
	v_lshl_add_u64 v[26:27], v[26:27], 0, 4
	s_addc_u32 s23, s13, -1
	s_mov_b64 s[24:25], 0
	s_mov_b64 s[28:29], 0
                                        ; implicit-def: $sgpr26_sgpr27
	s_branch .LBB913_488
.LBB913_486:                            ;   in Loop: Header=BB913_488 Depth=1
	global_load_dword v28, v[26:27], off
	global_load_dword v29, v[16:17], off
	s_add_u32 s28, s28, 1
	s_addc_u32 s29, s29, 0
	s_andn2_b64 s[26:27], s[26:27], exec
	v_lshl_add_u64 v[16:17], v[16:17], 0, 4
	v_lshl_add_u64 v[26:27], v[26:27], 0, 4
	s_waitcnt vmcnt(0)
	v_cmp_neq_f32_e32 vcc, v28, v29
	s_and_b64 s[30:31], vcc, exec
	s_or_b64 s[26:27], s[26:27], s[30:31]
.LBB913_487:                            ;   in Loop: Header=BB913_488 Depth=1
	s_and_b64 s[30:31], exec, s[26:27]
	s_or_b64 s[24:25], s[30:31], s[24:25]
	v_mov_b64_e32 v[28:29], s[28:29]
	s_andn2_b64 exec, exec, s[24:25]
	s_cbranch_execz .LBB913_491
.LBB913_488:                            ; =>This Inner Loop Header: Depth=1
	s_or_b64 s[26:27], s[26:27], exec
	s_cmp_eq_u64 s[22:23], s[28:29]
	s_cbranch_scc0 .LBB913_486
; %bb.489:                              ;   in Loop: Header=BB913_488 Depth=1
                                        ; implicit-def: $vgpr16_vgpr17
                                        ; implicit-def: $vgpr26_vgpr27
	s_mov_b64 s[28:29], s[12:13]
	s_branch .LBB913_487
.LBB913_490:
	v_mov_b64_e32 v[16:17], 0
	s_branch .LBB913_493
.LBB913_491:
	s_or_b64 exec, exec, s[24:25]
	v_cmp_gt_i64_e32 vcc, s[12:13], v[28:29]
	s_mov_b32 s7, 0
	v_mov_b32_e32 v17, s7
	v_cndmask_b32_e64 v16, 0, 1, vcc
.LBB913_492:
	s_or_b64 exec, exec, s[20:21]
.LBB913_493:
	s_or_b64 exec, exec, s[4:5]
	v_add_u32_e32 v26, 6, v1
	v_cmp_gt_u32_e32 vcc, s10, v26
	s_and_saveexec_b64 s[4:5], vcc
	s_cbranch_execz .LBB913_504
; %bb.494:
	s_and_b64 vcc, exec, s[2:3]
	s_cbranch_vccnz .LBB913_501
; %bb.495:
	v_mul_lo_u32 v26, v15, s12
	v_mul_lo_u32 v27, v14, s13
	v_mad_u64_u32 v[14:15], s[20:21], v14, s12, 0
	v_add3_u32 v15, v15, v27, v26
	v_mul_lo_u32 v26, v13, s12
	v_mul_lo_u32 v27, v12, s13
	v_mad_u64_u32 v[28:29], s[20:21], v12, s12, 0
	v_add3_u32 v29, v29, v27, v26
	v_lshl_add_u64 v[26:27], v[14:15], 2, s[14:15]
	v_lshl_add_u64 v[28:29], v[28:29], 2, s[14:15]
	global_load_dword v14, v[26:27], off
	global_load_dword v15, v[28:29], off
	s_waitcnt vmcnt(0)
	v_cmp_eq_f32_e32 vcc, v14, v15
	v_mov_b64_e32 v[14:15], 1
	s_and_saveexec_b64 s[20:21], vcc
	s_cbranch_execz .LBB913_503
; %bb.496:
	s_add_u32 s22, s12, -1
	v_lshl_add_u64 v[14:15], v[28:29], 0, 4
	v_lshl_add_u64 v[26:27], v[26:27], 0, 4
	s_addc_u32 s23, s13, -1
	s_mov_b64 s[24:25], 0
	s_mov_b64 s[28:29], 0
                                        ; implicit-def: $sgpr26_sgpr27
	s_branch .LBB913_499
.LBB913_497:                            ;   in Loop: Header=BB913_499 Depth=1
	global_load_dword v28, v[26:27], off
	global_load_dword v29, v[14:15], off
	s_add_u32 s28, s28, 1
	s_addc_u32 s29, s29, 0
	s_andn2_b64 s[26:27], s[26:27], exec
	v_lshl_add_u64 v[14:15], v[14:15], 0, 4
	v_lshl_add_u64 v[26:27], v[26:27], 0, 4
	s_waitcnt vmcnt(0)
	v_cmp_neq_f32_e32 vcc, v28, v29
	s_and_b64 s[30:31], vcc, exec
	s_or_b64 s[26:27], s[26:27], s[30:31]
.LBB913_498:                            ;   in Loop: Header=BB913_499 Depth=1
	s_and_b64 s[30:31], exec, s[26:27]
	s_or_b64 s[24:25], s[30:31], s[24:25]
	v_mov_b64_e32 v[28:29], s[28:29]
	s_andn2_b64 exec, exec, s[24:25]
	s_cbranch_execz .LBB913_502
.LBB913_499:                            ; =>This Inner Loop Header: Depth=1
	s_or_b64 s[26:27], s[26:27], exec
	s_cmp_eq_u64 s[22:23], s[28:29]
	s_cbranch_scc0 .LBB913_497
; %bb.500:                              ;   in Loop: Header=BB913_499 Depth=1
                                        ; implicit-def: $vgpr14_vgpr15
                                        ; implicit-def: $vgpr26_vgpr27
	s_mov_b64 s[28:29], s[12:13]
	s_branch .LBB913_498
.LBB913_501:
	v_mov_b64_e32 v[14:15], 0
	s_branch .LBB913_504
.LBB913_502:
	s_or_b64 exec, exec, s[24:25]
	v_cmp_gt_i64_e32 vcc, s[12:13], v[28:29]
	s_mov_b32 s7, 0
	v_mov_b32_e32 v15, s7
	v_cndmask_b32_e64 v14, 0, 1, vcc
.LBB913_503:
	s_or_b64 exec, exec, s[20:21]
.LBB913_504:
	s_or_b64 exec, exec, s[4:5]
	v_add_u32_e32 v26, 5, v1
	v_cmp_gt_u32_e32 vcc, s10, v26
	s_and_saveexec_b64 s[4:5], vcc
	s_cbranch_execz .LBB913_515
; %bb.505:
	s_and_b64 vcc, exec, s[2:3]
	s_cbranch_vccnz .LBB913_512
; %bb.506:
	v_mul_lo_u32 v26, v13, s12
	v_mul_lo_u32 v27, v12, s13
	v_mad_u64_u32 v[12:13], s[20:21], v12, s12, 0
	v_add3_u32 v13, v13, v27, v26
	v_mul_lo_u32 v26, v11, s12
	v_mul_lo_u32 v27, v10, s13
	v_mad_u64_u32 v[28:29], s[20:21], v10, s12, 0
	v_add3_u32 v29, v29, v27, v26
	v_lshl_add_u64 v[26:27], v[12:13], 2, s[14:15]
	v_lshl_add_u64 v[28:29], v[28:29], 2, s[14:15]
	global_load_dword v12, v[26:27], off
	global_load_dword v13, v[28:29], off
	s_waitcnt vmcnt(0)
	v_cmp_eq_f32_e32 vcc, v12, v13
	v_mov_b64_e32 v[12:13], 1
	s_and_saveexec_b64 s[20:21], vcc
	s_cbranch_execz .LBB913_514
; %bb.507:
	s_add_u32 s22, s12, -1
	v_lshl_add_u64 v[12:13], v[28:29], 0, 4
	v_lshl_add_u64 v[26:27], v[26:27], 0, 4
	s_addc_u32 s23, s13, -1
	s_mov_b64 s[24:25], 0
	s_mov_b64 s[28:29], 0
                                        ; implicit-def: $sgpr26_sgpr27
	s_branch .LBB913_510
.LBB913_508:                            ;   in Loop: Header=BB913_510 Depth=1
	global_load_dword v28, v[26:27], off
	global_load_dword v29, v[12:13], off
	s_add_u32 s28, s28, 1
	s_addc_u32 s29, s29, 0
	s_andn2_b64 s[26:27], s[26:27], exec
	v_lshl_add_u64 v[12:13], v[12:13], 0, 4
	v_lshl_add_u64 v[26:27], v[26:27], 0, 4
	s_waitcnt vmcnt(0)
	v_cmp_neq_f32_e32 vcc, v28, v29
	s_and_b64 s[30:31], vcc, exec
	s_or_b64 s[26:27], s[26:27], s[30:31]
.LBB913_509:                            ;   in Loop: Header=BB913_510 Depth=1
	s_and_b64 s[30:31], exec, s[26:27]
	s_or_b64 s[24:25], s[30:31], s[24:25]
	v_mov_b64_e32 v[28:29], s[28:29]
	s_andn2_b64 exec, exec, s[24:25]
	s_cbranch_execz .LBB913_513
.LBB913_510:                            ; =>This Inner Loop Header: Depth=1
	s_or_b64 s[26:27], s[26:27], exec
	s_cmp_eq_u64 s[22:23], s[28:29]
	s_cbranch_scc0 .LBB913_508
; %bb.511:                              ;   in Loop: Header=BB913_510 Depth=1
                                        ; implicit-def: $vgpr12_vgpr13
                                        ; implicit-def: $vgpr26_vgpr27
	s_mov_b64 s[28:29], s[12:13]
	s_branch .LBB913_509
.LBB913_512:
	v_mov_b64_e32 v[12:13], 0
	s_branch .LBB913_515
.LBB913_513:
	s_or_b64 exec, exec, s[24:25]
	v_cmp_gt_i64_e32 vcc, s[12:13], v[28:29]
	s_mov_b32 s7, 0
	v_mov_b32_e32 v13, s7
	v_cndmask_b32_e64 v12, 0, 1, vcc
.LBB913_514:
	s_or_b64 exec, exec, s[20:21]
.LBB913_515:
	s_or_b64 exec, exec, s[4:5]
	v_add_u32_e32 v26, 4, v1
	v_cmp_gt_u32_e32 vcc, s10, v26
	s_and_saveexec_b64 s[4:5], vcc
	s_cbranch_execz .LBB913_526
; %bb.516:
	s_and_b64 vcc, exec, s[2:3]
	s_cbranch_vccnz .LBB913_523
; %bb.517:
	v_mul_lo_u32 v26, v11, s12
	v_mul_lo_u32 v27, v10, s13
	v_mad_u64_u32 v[10:11], s[20:21], v10, s12, 0
	v_add3_u32 v11, v11, v27, v26
	v_mul_lo_u32 v26, v9, s12
	v_mul_lo_u32 v27, v8, s13
	v_mad_u64_u32 v[28:29], s[20:21], v8, s12, 0
	v_add3_u32 v29, v29, v27, v26
	v_lshl_add_u64 v[26:27], v[10:11], 2, s[14:15]
	v_lshl_add_u64 v[28:29], v[28:29], 2, s[14:15]
	global_load_dword v10, v[26:27], off
	global_load_dword v11, v[28:29], off
	s_waitcnt vmcnt(0)
	v_cmp_eq_f32_e32 vcc, v10, v11
	v_mov_b64_e32 v[10:11], 1
	s_and_saveexec_b64 s[20:21], vcc
	s_cbranch_execz .LBB913_525
; %bb.518:
	s_add_u32 s22, s12, -1
	v_lshl_add_u64 v[10:11], v[28:29], 0, 4
	v_lshl_add_u64 v[26:27], v[26:27], 0, 4
	s_addc_u32 s23, s13, -1
	s_mov_b64 s[24:25], 0
	s_mov_b64 s[28:29], 0
                                        ; implicit-def: $sgpr26_sgpr27
	s_branch .LBB913_521
.LBB913_519:                            ;   in Loop: Header=BB913_521 Depth=1
	global_load_dword v28, v[26:27], off
	global_load_dword v29, v[10:11], off
	s_add_u32 s28, s28, 1
	s_addc_u32 s29, s29, 0
	s_andn2_b64 s[26:27], s[26:27], exec
	v_lshl_add_u64 v[10:11], v[10:11], 0, 4
	v_lshl_add_u64 v[26:27], v[26:27], 0, 4
	s_waitcnt vmcnt(0)
	v_cmp_neq_f32_e32 vcc, v28, v29
	s_and_b64 s[30:31], vcc, exec
	s_or_b64 s[26:27], s[26:27], s[30:31]
.LBB913_520:                            ;   in Loop: Header=BB913_521 Depth=1
	s_and_b64 s[30:31], exec, s[26:27]
	s_or_b64 s[24:25], s[30:31], s[24:25]
	v_mov_b64_e32 v[28:29], s[28:29]
	s_andn2_b64 exec, exec, s[24:25]
	s_cbranch_execz .LBB913_524
.LBB913_521:                            ; =>This Inner Loop Header: Depth=1
	s_or_b64 s[26:27], s[26:27], exec
	s_cmp_eq_u64 s[22:23], s[28:29]
	s_cbranch_scc0 .LBB913_519
; %bb.522:                              ;   in Loop: Header=BB913_521 Depth=1
                                        ; implicit-def: $vgpr10_vgpr11
                                        ; implicit-def: $vgpr26_vgpr27
	s_mov_b64 s[28:29], s[12:13]
	s_branch .LBB913_520
.LBB913_523:
	v_mov_b64_e32 v[10:11], 0
	s_branch .LBB913_526
.LBB913_524:
	s_or_b64 exec, exec, s[24:25]
	v_cmp_gt_i64_e32 vcc, s[12:13], v[28:29]
	s_mov_b32 s7, 0
	v_mov_b32_e32 v11, s7
	v_cndmask_b32_e64 v10, 0, 1, vcc
.LBB913_525:
	s_or_b64 exec, exec, s[20:21]
.LBB913_526:
	s_or_b64 exec, exec, s[4:5]
	v_add_u32_e32 v26, 3, v1
	v_cmp_gt_u32_e32 vcc, s10, v26
	s_and_saveexec_b64 s[4:5], vcc
	s_cbranch_execz .LBB913_537
; %bb.527:
	s_and_b64 vcc, exec, s[2:3]
	s_cbranch_vccnz .LBB913_534
; %bb.528:
	v_mul_lo_u32 v26, v9, s12
	v_mul_lo_u32 v27, v8, s13
	v_mad_u64_u32 v[8:9], s[20:21], v8, s12, 0
	v_add3_u32 v9, v9, v27, v26
	v_mul_lo_u32 v26, v7, s12
	v_mul_lo_u32 v27, v6, s13
	v_mad_u64_u32 v[28:29], s[20:21], v6, s12, 0
	v_add3_u32 v29, v29, v27, v26
	v_lshl_add_u64 v[26:27], v[8:9], 2, s[14:15]
	v_lshl_add_u64 v[28:29], v[28:29], 2, s[14:15]
	global_load_dword v8, v[26:27], off
	global_load_dword v9, v[28:29], off
	s_waitcnt vmcnt(0)
	v_cmp_eq_f32_e32 vcc, v8, v9
	v_mov_b64_e32 v[8:9], 1
	s_and_saveexec_b64 s[20:21], vcc
	s_cbranch_execz .LBB913_536
; %bb.529:
	s_add_u32 s22, s12, -1
	v_lshl_add_u64 v[8:9], v[28:29], 0, 4
	v_lshl_add_u64 v[26:27], v[26:27], 0, 4
	s_addc_u32 s23, s13, -1
	s_mov_b64 s[24:25], 0
	s_mov_b64 s[28:29], 0
                                        ; implicit-def: $sgpr26_sgpr27
	s_branch .LBB913_532
.LBB913_530:                            ;   in Loop: Header=BB913_532 Depth=1
	global_load_dword v28, v[26:27], off
	global_load_dword v29, v[8:9], off
	s_add_u32 s28, s28, 1
	s_addc_u32 s29, s29, 0
	s_andn2_b64 s[26:27], s[26:27], exec
	v_lshl_add_u64 v[8:9], v[8:9], 0, 4
	v_lshl_add_u64 v[26:27], v[26:27], 0, 4
	s_waitcnt vmcnt(0)
	v_cmp_neq_f32_e32 vcc, v28, v29
	s_and_b64 s[30:31], vcc, exec
	s_or_b64 s[26:27], s[26:27], s[30:31]
.LBB913_531:                            ;   in Loop: Header=BB913_532 Depth=1
	s_and_b64 s[30:31], exec, s[26:27]
	s_or_b64 s[24:25], s[30:31], s[24:25]
	v_mov_b64_e32 v[28:29], s[28:29]
	s_andn2_b64 exec, exec, s[24:25]
	s_cbranch_execz .LBB913_535
.LBB913_532:                            ; =>This Inner Loop Header: Depth=1
	s_or_b64 s[26:27], s[26:27], exec
	s_cmp_eq_u64 s[22:23], s[28:29]
	s_cbranch_scc0 .LBB913_530
; %bb.533:                              ;   in Loop: Header=BB913_532 Depth=1
                                        ; implicit-def: $vgpr8_vgpr9
                                        ; implicit-def: $vgpr26_vgpr27
	s_mov_b64 s[28:29], s[12:13]
	s_branch .LBB913_531
.LBB913_534:
	v_mov_b64_e32 v[8:9], 0
	s_branch .LBB913_537
.LBB913_535:
	s_or_b64 exec, exec, s[24:25]
	v_cmp_gt_i64_e32 vcc, s[12:13], v[28:29]
	s_mov_b32 s7, 0
	v_mov_b32_e32 v9, s7
	v_cndmask_b32_e64 v8, 0, 1, vcc
.LBB913_536:
	s_or_b64 exec, exec, s[20:21]
.LBB913_537:
	s_or_b64 exec, exec, s[4:5]
	v_add_u32_e32 v26, 2, v1
	v_cmp_gt_u32_e32 vcc, s10, v26
	s_and_saveexec_b64 s[4:5], vcc
	s_cbranch_execz .LBB913_548
; %bb.538:
	s_and_b64 vcc, exec, s[2:3]
	s_cbranch_vccnz .LBB913_545
; %bb.539:
	v_mul_lo_u32 v26, v7, s12
	v_mul_lo_u32 v27, v6, s13
	v_mad_u64_u32 v[6:7], s[20:21], v6, s12, 0
	v_add3_u32 v7, v7, v27, v26
	v_mul_lo_u32 v26, v5, s12
	v_mul_lo_u32 v27, v4, s13
	v_mad_u64_u32 v[28:29], s[20:21], v4, s12, 0
	v_add3_u32 v29, v29, v27, v26
	v_lshl_add_u64 v[26:27], v[6:7], 2, s[14:15]
	v_lshl_add_u64 v[28:29], v[28:29], 2, s[14:15]
	global_load_dword v6, v[26:27], off
	global_load_dword v7, v[28:29], off
	s_waitcnt vmcnt(0)
	v_cmp_eq_f32_e32 vcc, v6, v7
	v_mov_b64_e32 v[6:7], 1
	s_and_saveexec_b64 s[20:21], vcc
	s_cbranch_execz .LBB913_547
; %bb.540:
	s_add_u32 s22, s12, -1
	v_lshl_add_u64 v[6:7], v[28:29], 0, 4
	v_lshl_add_u64 v[26:27], v[26:27], 0, 4
	s_addc_u32 s23, s13, -1
	s_mov_b64 s[24:25], 0
	s_mov_b64 s[28:29], 0
                                        ; implicit-def: $sgpr26_sgpr27
	s_branch .LBB913_543
.LBB913_541:                            ;   in Loop: Header=BB913_543 Depth=1
	global_load_dword v28, v[26:27], off
	global_load_dword v29, v[6:7], off
	s_add_u32 s28, s28, 1
	s_addc_u32 s29, s29, 0
	s_andn2_b64 s[26:27], s[26:27], exec
	v_lshl_add_u64 v[6:7], v[6:7], 0, 4
	v_lshl_add_u64 v[26:27], v[26:27], 0, 4
	s_waitcnt vmcnt(0)
	v_cmp_neq_f32_e32 vcc, v28, v29
	s_and_b64 s[30:31], vcc, exec
	s_or_b64 s[26:27], s[26:27], s[30:31]
.LBB913_542:                            ;   in Loop: Header=BB913_543 Depth=1
	s_and_b64 s[30:31], exec, s[26:27]
	s_or_b64 s[24:25], s[30:31], s[24:25]
	v_mov_b64_e32 v[28:29], s[28:29]
	s_andn2_b64 exec, exec, s[24:25]
	s_cbranch_execz .LBB913_546
.LBB913_543:                            ; =>This Inner Loop Header: Depth=1
	s_or_b64 s[26:27], s[26:27], exec
	s_cmp_eq_u64 s[22:23], s[28:29]
	s_cbranch_scc0 .LBB913_541
; %bb.544:                              ;   in Loop: Header=BB913_543 Depth=1
                                        ; implicit-def: $vgpr6_vgpr7
                                        ; implicit-def: $vgpr26_vgpr27
	s_mov_b64 s[28:29], s[12:13]
	s_branch .LBB913_542
.LBB913_545:
	v_mov_b64_e32 v[6:7], 0
	s_branch .LBB913_548
.LBB913_546:
	s_or_b64 exec, exec, s[24:25]
	v_cmp_gt_i64_e32 vcc, s[12:13], v[28:29]
	s_mov_b32 s7, 0
	v_mov_b32_e32 v7, s7
	v_cndmask_b32_e64 v6, 0, 1, vcc
.LBB913_547:
	s_or_b64 exec, exec, s[20:21]
.LBB913_548:
	s_or_b64 exec, exec, s[4:5]
	v_add_u32_e32 v26, 1, v1
	v_cmp_gt_u32_e32 vcc, s10, v26
	s_and_saveexec_b64 s[4:5], vcc
	s_cbranch_execz .LBB913_559
; %bb.549:
	s_and_b64 vcc, exec, s[2:3]
	s_cbranch_vccnz .LBB913_556
; %bb.550:
	v_mul_lo_u32 v26, v5, s12
	v_mul_lo_u32 v27, v4, s13
	v_mad_u64_u32 v[4:5], s[20:21], v4, s12, 0
	v_add3_u32 v5, v5, v27, v26
	v_mul_lo_u32 v26, v3, s12
	v_mul_lo_u32 v27, v2, s13
	v_mad_u64_u32 v[28:29], s[20:21], v2, s12, 0
	v_add3_u32 v29, v29, v27, v26
	v_lshl_add_u64 v[26:27], v[4:5], 2, s[14:15]
	v_lshl_add_u64 v[28:29], v[28:29], 2, s[14:15]
	global_load_dword v4, v[26:27], off
	global_load_dword v5, v[28:29], off
	s_waitcnt vmcnt(0)
	v_cmp_eq_f32_e32 vcc, v4, v5
	v_mov_b64_e32 v[4:5], 1
	s_and_saveexec_b64 s[20:21], vcc
	s_cbranch_execz .LBB913_558
; %bb.551:
	s_add_u32 s22, s12, -1
	v_lshl_add_u64 v[4:5], v[28:29], 0, 4
	v_lshl_add_u64 v[26:27], v[26:27], 0, 4
	s_addc_u32 s23, s13, -1
	s_mov_b64 s[24:25], 0
	s_mov_b64 s[28:29], 0
                                        ; implicit-def: $sgpr26_sgpr27
	s_branch .LBB913_554
.LBB913_552:                            ;   in Loop: Header=BB913_554 Depth=1
	global_load_dword v28, v[26:27], off
	global_load_dword v29, v[4:5], off
	s_add_u32 s28, s28, 1
	s_addc_u32 s29, s29, 0
	s_andn2_b64 s[26:27], s[26:27], exec
	v_lshl_add_u64 v[4:5], v[4:5], 0, 4
	v_lshl_add_u64 v[26:27], v[26:27], 0, 4
	s_waitcnt vmcnt(0)
	v_cmp_neq_f32_e32 vcc, v28, v29
	s_and_b64 s[30:31], vcc, exec
	s_or_b64 s[26:27], s[26:27], s[30:31]
.LBB913_553:                            ;   in Loop: Header=BB913_554 Depth=1
	s_and_b64 s[30:31], exec, s[26:27]
	s_or_b64 s[24:25], s[30:31], s[24:25]
	v_mov_b64_e32 v[28:29], s[28:29]
	s_andn2_b64 exec, exec, s[24:25]
	s_cbranch_execz .LBB913_557
.LBB913_554:                            ; =>This Inner Loop Header: Depth=1
	s_or_b64 s[26:27], s[26:27], exec
	s_cmp_eq_u64 s[22:23], s[28:29]
	s_cbranch_scc0 .LBB913_552
; %bb.555:                              ;   in Loop: Header=BB913_554 Depth=1
                                        ; implicit-def: $vgpr4_vgpr5
                                        ; implicit-def: $vgpr26_vgpr27
	s_mov_b64 s[28:29], s[12:13]
	s_branch .LBB913_553
.LBB913_556:
	v_mov_b64_e32 v[4:5], 0
	s_branch .LBB913_559
.LBB913_557:
	s_or_b64 exec, exec, s[24:25]
	v_cmp_gt_i64_e32 vcc, s[12:13], v[28:29]
	s_mov_b32 s7, 0
	v_mov_b32_e32 v5, s7
	v_cndmask_b32_e64 v4, 0, 1, vcc
.LBB913_558:
	s_or_b64 exec, exec, s[20:21]
.LBB913_559:
	s_or_b64 exec, exec, s[4:5]
	v_cmp_ne_u32_e32 vcc, 0, v0
	v_cmp_gt_u32_e64 s[4:5], s10, v1
	s_and_b64 s[20:21], vcc, s[4:5]
	s_waitcnt lgkmcnt(0)
	; wave barrier
	s_waitcnt lgkmcnt(0)
                                        ; implicit-def: $sgpr24_sgpr25
	s_and_saveexec_b64 s[4:5], s[20:21]
	s_cbranch_execz .LBB913_571
; %bb.560:
	s_and_b64 vcc, exec, s[2:3]
	s_cbranch_vccnz .LBB913_567
; %bb.561:
	v_mul_lo_u32 v1, v3, s12
	v_add_u32_e32 v3, -8, v48
	ds_read_b64 v[26:27], v3
	v_mul_lo_u32 v28, v2, s13
	v_mad_u64_u32 v[2:3], s[2:3], v2, s12, 0
	v_add3_u32 v3, v3, v28, v1
	s_waitcnt lgkmcnt(0)
	v_mul_lo_u32 v1, v27, s12
	v_mul_lo_u32 v27, v26, s13
	v_mad_u64_u32 v[28:29], s[2:3], v26, s12, 0
	v_add3_u32 v29, v29, v27, v1
	v_lshl_add_u64 v[26:27], v[2:3], 2, s[14:15]
	v_lshl_add_u64 v[2:3], v[28:29], 2, s[14:15]
	global_load_dword v1, v[26:27], off
	global_load_dword v28, v[2:3], off
	s_mov_b64 s[14:15], -1
	s_waitcnt vmcnt(0)
	v_cmp_eq_f32_e32 vcc, v1, v28
	s_and_saveexec_b64 s[2:3], vcc
	s_cbranch_execz .LBB913_569
; %bb.562:
	s_add_u32 s14, s12, -1
	v_lshl_add_u64 v[2:3], v[2:3], 0, 4
	v_lshl_add_u64 v[26:27], v[26:27], 0, 4
	s_addc_u32 s15, s13, -1
	s_mov_b64 s[20:21], 0
	s_mov_b64 s[24:25], 0
                                        ; implicit-def: $sgpr22_sgpr23
	s_branch .LBB913_565
.LBB913_563:                            ;   in Loop: Header=BB913_565 Depth=1
	global_load_dword v1, v[26:27], off
	global_load_dword v28, v[2:3], off
	s_add_u32 s24, s24, 1
	s_addc_u32 s25, s25, 0
	s_andn2_b64 s[22:23], s[22:23], exec
	v_lshl_add_u64 v[2:3], v[2:3], 0, 4
	v_lshl_add_u64 v[26:27], v[26:27], 0, 4
	s_waitcnt vmcnt(0)
	v_cmp_neq_f32_e32 vcc, v1, v28
	s_and_b64 s[26:27], vcc, exec
	s_or_b64 s[22:23], s[22:23], s[26:27]
.LBB913_564:                            ;   in Loop: Header=BB913_565 Depth=1
	s_and_b64 s[26:27], exec, s[22:23]
	s_or_b64 s[20:21], s[26:27], s[20:21]
	v_mov_b64_e32 v[28:29], s[24:25]
	s_andn2_b64 exec, exec, s[20:21]
	s_cbranch_execz .LBB913_568
.LBB913_565:                            ; =>This Inner Loop Header: Depth=1
	s_or_b64 s[22:23], s[22:23], exec
	s_cmp_eq_u64 s[14:15], s[24:25]
	s_cbranch_scc0 .LBB913_563
; %bb.566:                              ;   in Loop: Header=BB913_565 Depth=1
                                        ; implicit-def: $vgpr2_vgpr3
                                        ; implicit-def: $vgpr26_vgpr27
	s_mov_b64 s[24:25], s[12:13]
	s_branch .LBB913_564
.LBB913_567:
	s_mov_b64 s[14:15], 0
	s_branch .LBB913_570
.LBB913_568:
	s_or_b64 exec, exec, s[20:21]
	v_cmp_gt_i64_e32 vcc, s[12:13], v[28:29]
	s_orn2_b64 s[14:15], vcc, exec
.LBB913_569:
	s_or_b64 exec, exec, s[2:3]
.LBB913_570:
	s_and_b64 s[24:25], s[14:15], exec
	s_or_b64 s[18:19], s[18:19], exec
.LBB913_571:
	s_or_b64 exec, exec, s[4:5]
	v_mov_b64_e32 v[50:51], v[44:45]
	v_mov_b64_e32 v[52:53], v[24:25]
	v_mov_b64_e32 v[46:47], v[22:23]
	v_mov_b64_e32 v[70:71], v[4:5]
	v_mov_b64_e32 v[68:69], v[6:7]
	v_mov_b64_e32 v[66:67], v[8:9]
	v_mov_b64_e32 v[64:65], v[10:11]
	v_mov_b64_e32 v[62:63], v[12:13]
	v_mov_b64_e32 v[60:61], v[14:15]
	v_mov_b64_e32 v[58:59], v[16:17]
	v_mov_b64_e32 v[56:57], v[18:19]
	v_mov_b64_e32 v[54:55], v[20:21]
	v_mov_b64_e32 v[72:73], v[24:25]
	v_mov_b64_e32 v[26:27], v[22:23]
	v_mov_b64_e32 v[82:83], v[4:5]
	v_mov_b64_e32 v[74:75], v[6:7]
	v_mov_b64_e32 v[42:43], v[8:9]
	v_mov_b64_e32 v[76:77], v[10:11]
	v_mov_b64_e32 v[38:39], v[12:13]
	v_mov_b64_e32 v[78:79], v[14:15]
	v_mov_b64_e32 v[34:35], v[16:17]
	v_mov_b64_e32 v[80:81], v[18:19]
	v_mov_b64_e32 v[30:31], v[20:21]
.LBB913_572:
	s_and_saveexec_b64 s[2:3], s[18:19]
	s_cbranch_execz .LBB913_574
; %bb.573:
	s_mov_b32 s4, 0
	v_cndmask_b32_e64 v2, 0, 1, s[24:25]
	v_mov_b32_e32 v3, s4
	v_mov_b64_e32 v[30:31], v[54:55]
	v_mov_b64_e32 v[80:81], v[56:57]
	;; [unrolled: 1-line block ×9, first 2 shown]
	s_waitcnt lgkmcnt(0)
	v_mov_b64_e32 v[26:27], v[46:47]
	v_mov_b64_e32 v[72:73], v[52:53]
.LBB913_574:
	s_or_b64 exec, exec, s[2:3]
	s_add_u32 s4, s8, s16
	s_addc_u32 s5, s9, s17
	s_and_b64 vcc, exec, s[0:1]
	s_waitcnt lgkmcnt(0)
	; wave barrier
	s_waitcnt lgkmcnt(0)
	s_cbranch_vccz .LBB913_600
; %bb.575:
	s_movk_i32 s2, 0x68
	v_mul_u32_u24_e32 v1, 0x68, v0
	v_mov_b32_e32 v4, v82
	v_mov_b32_e32 v5, v83
	v_mul_i32_i24_e32 v28, 0xffffffa0, v0
	ds_write2_b64 v1, v[2:3], v[4:5] offset1:1
	ds_write2_b64 v1, v[74:75], v[42:43] offset0:2 offset1:3
	ds_write2_b64 v1, v[76:77], v[38:39] offset0:4 offset1:5
	;; [unrolled: 1-line block ×5, first 2 shown]
	ds_write_b64 v1, v[50:51] offset:96
	v_mad_u32_u24 v4, v0, s2, v28
	s_waitcnt lgkmcnt(0)
	; wave barrier
	s_waitcnt lgkmcnt(0)
	ds_read2st64_b64 v[44:47], v4 offset0:1 offset1:2
	ds_read2st64_b64 v[20:23], v4 offset0:3 offset1:4
	;; [unrolled: 1-line block ×6, first 2 shown]
	s_mov_b32 s7, 0
	s_add_i32 s11, s11, s10
	s_lshl_b64 s[0:1], s[6:7], 3
	s_add_u32 s0, s4, s0
	s_addc_u32 s1, s5, s1
	v_mov_b32_e32 v49, 0
	v_lshl_add_u64 v[24:25], s[0:1], 0, v[48:49]
	v_cmp_gt_u32_e32 vcc, s11, v0
	s_and_saveexec_b64 s[0:1], vcc
	s_cbranch_execz .LBB913_577
; %bb.576:
	v_add_u32_e32 v1, v1, v28
	ds_read_b64 v[28:29], v1
	s_waitcnt lgkmcnt(0)
	global_store_dwordx2 v[24:25], v[28:29], off
.LBB913_577:
	s_or_b64 exec, exec, s[0:1]
	v_or_b32_e32 v1, 64, v0
	v_cmp_gt_u32_e32 vcc, s11, v1
	s_and_saveexec_b64 s[0:1], vcc
	s_cbranch_execz .LBB913_579
; %bb.578:
	s_waitcnt lgkmcnt(5)
	global_store_dwordx2 v[24:25], v[44:45], off offset:512
.LBB913_579:
	s_or_b64 exec, exec, s[0:1]
	v_or_b32_e32 v1, 0x80, v0
	v_cmp_gt_u32_e32 vcc, s11, v1
	s_and_saveexec_b64 s[0:1], vcc
	s_cbranch_execz .LBB913_581
; %bb.580:
	s_waitcnt lgkmcnt(5)
	global_store_dwordx2 v[24:25], v[46:47], off offset:1024
.LBB913_581:
	;; [unrolled: 9-line block ×7, first 2 shown]
	s_or_b64 exec, exec, s[0:1]
	v_or_b32_e32 v1, 0x200, v0
	v_cmp_gt_u32_e32 vcc, s11, v1
	s_and_saveexec_b64 s[0:1], vcc
	s_cbranch_execz .LBB913_593
; %bb.592:
	s_waitcnt lgkmcnt(2)
	v_add_co_u32_e32 v12, vcc, 0x1000, v24
	s_nop 1
	v_addc_co_u32_e32 v13, vcc, 0, v25, vcc
	global_store_dwordx2 v[12:13], v[14:15], off
.LBB913_593:
	s_or_b64 exec, exec, s[0:1]
	v_or_b32_e32 v1, 0x240, v0
	v_cmp_gt_u32_e32 vcc, s11, v1
	s_and_saveexec_b64 s[0:1], vcc
	s_cbranch_execz .LBB913_595
; %bb.594:
	s_waitcnt lgkmcnt(2)
	v_add_co_u32_e32 v12, vcc, 0x1000, v24
	s_nop 1
	v_addc_co_u32_e32 v13, vcc, 0, v25, vcc
	s_waitcnt lgkmcnt(1)
	global_store_dwordx2 v[12:13], v[8:9], off offset:512
.LBB913_595:
	s_or_b64 exec, exec, s[0:1]
	v_or_b32_e32 v1, 0x280, v0
	v_cmp_gt_u32_e32 vcc, s11, v1
	s_and_saveexec_b64 s[0:1], vcc
	s_cbranch_execz .LBB913_597
; %bb.596:
	s_waitcnt lgkmcnt(1)
	v_add_co_u32_e32 v8, vcc, 0x1000, v24
	s_nop 1
	v_addc_co_u32_e32 v9, vcc, 0, v25, vcc
	global_store_dwordx2 v[8:9], v[10:11], off offset:1024
.LBB913_597:
	s_or_b64 exec, exec, s[0:1]
	v_or_b32_e32 v1, 0x2c0, v0
	v_cmp_gt_u32_e32 vcc, s11, v1
	s_and_saveexec_b64 s[0:1], vcc
	s_cbranch_execz .LBB913_599
; %bb.598:
	s_waitcnt lgkmcnt(1)
	v_add_co_u32_e32 v8, vcc, 0x1000, v24
	s_nop 1
	v_addc_co_u32_e32 v9, vcc, 0, v25, vcc
	s_waitcnt lgkmcnt(0)
	global_store_dwordx2 v[8:9], v[4:5], off offset:1536
.LBB913_599:
	s_or_b64 exec, exec, s[0:1]
	v_or_b32_e32 v1, 0x300, v0
	v_cmp_gt_u32_e64 s[0:1], s11, v1
	s_branch .LBB913_602
.LBB913_600:
	s_mov_b64 s[0:1], 0
                                        ; implicit-def: $vgpr6_vgpr7
                                        ; implicit-def: $vgpr24_vgpr25
	s_cbranch_execz .LBB913_602
; %bb.601:
	s_mov_b32 s7, 0
	s_lshl_b64 s[2:3], s[6:7], 3
	v_mul_u32_u24_e32 v1, 0x68, v0
	s_add_u32 s2, s4, s2
	s_movk_i32 s4, 0x68
	ds_write2_b64 v1, v[2:3], v[82:83] offset1:1
	ds_write2_b64 v1, v[74:75], v[42:43] offset0:2 offset1:3
	ds_write2_b64 v1, v[76:77], v[38:39] offset0:4 offset1:5
	;; [unrolled: 1-line block ×5, first 2 shown]
	ds_write_b64 v1, v[50:51] offset:96
	v_mul_i32_i24_e32 v1, 0xffffffa0, v0
	s_waitcnt lgkmcnt(7)
	v_mad_u32_u24 v4, v0, s4, v1
	s_addc_u32 s3, s5, s3
	s_waitcnt lgkmcnt(0)
	; wave barrier
	s_waitcnt lgkmcnt(0)
	ds_read2st64_b64 v[0:3], v4 offset1:1
	ds_read2st64_b64 v[8:11], v4 offset0:2 offset1:3
	ds_read2st64_b64 v[12:15], v4 offset0:4 offset1:5
	;; [unrolled: 1-line block ×5, first 2 shown]
	ds_read_b64 v[6:7], v4 offset:6144
	v_mov_b32_e32 v49, 0
	v_lshl_add_u64 v[24:25], s[2:3], 0, v[48:49]
	s_waitcnt lgkmcnt(6)
	global_store_dwordx2 v48, v[0:1], s[2:3]
	global_store_dwordx2 v48, v[2:3], s[2:3] offset:512
	s_waitcnt lgkmcnt(5)
	global_store_dwordx2 v48, v[8:9], s[2:3] offset:1024
	global_store_dwordx2 v48, v[10:11], s[2:3] offset:1536
	s_waitcnt lgkmcnt(4)
	global_store_dwordx2 v48, v[12:13], s[2:3] offset:2048
	;; [unrolled: 3-line block ×3, first 2 shown]
	global_store_dwordx2 v48, v[18:19], s[2:3] offset:3584
	v_add_co_u32_e32 v0, vcc, 0x1000, v24
	s_or_b64 s[0:1], s[0:1], exec
	s_nop 0
	v_addc_co_u32_e32 v1, vcc, 0, v25, vcc
	s_waitcnt lgkmcnt(2)
	global_store_dwordx2 v[0:1], v[20:21], off
	global_store_dwordx2 v[0:1], v[22:23], off offset:512
	s_waitcnt lgkmcnt(1)
	global_store_dwordx2 v[0:1], v[26:27], off offset:1024
	global_store_dwordx2 v[0:1], v[28:29], off offset:1536
.LBB913_602:
	s_and_saveexec_b64 s[2:3], s[0:1]
	s_cbranch_execnz .LBB913_604
; %bb.603:
	s_endpgm
.LBB913_604:
	v_add_co_u32_e32 v0, vcc, 0x1000, v24
	s_nop 1
	v_addc_co_u32_e32 v1, vcc, 0, v25, vcc
	s_waitcnt lgkmcnt(0)
	global_store_dwordx2 v[0:1], v[6:7], off offset:2048
	s_endpgm
	.section	.rodata,"a",@progbits
	.p2align	6, 0x0
	.amdhsa_kernel _ZN7rocprim17ROCPRIM_400000_NS6detail17trampoline_kernelINS0_14default_configENS1_35adjacent_difference_config_selectorILb0ElEEZNS1_24adjacent_difference_implIS3_Lb0ELb0EPlS7_ZN2at6native12_GLOBAL__N_124unique_dim_cuda_templateIfEESt5tupleIJNS8_6TensorESD_SD_EERKSD_lbbbEUlllE1_EE10hipError_tPvRmT2_T3_mT4_P12ihipStream_tbEUlT_E_NS1_11comp_targetILNS1_3genE5ELNS1_11target_archE942ELNS1_3gpuE9ELNS1_3repE0EEENS1_30default_config_static_selectorELNS0_4arch9wavefront6targetE1EEEvT1_
		.amdhsa_group_segment_fixed_size 6656
		.amdhsa_private_segment_fixed_size 0
		.amdhsa_kernarg_size 64
		.amdhsa_user_sgpr_count 2
		.amdhsa_user_sgpr_dispatch_ptr 0
		.amdhsa_user_sgpr_queue_ptr 0
		.amdhsa_user_sgpr_kernarg_segment_ptr 1
		.amdhsa_user_sgpr_dispatch_id 0
		.amdhsa_user_sgpr_kernarg_preload_length 0
		.amdhsa_user_sgpr_kernarg_preload_offset 0
		.amdhsa_user_sgpr_private_segment_size 0
		.amdhsa_uses_dynamic_stack 0
		.amdhsa_enable_private_segment 0
		.amdhsa_system_sgpr_workgroup_id_x 1
		.amdhsa_system_sgpr_workgroup_id_y 0
		.amdhsa_system_sgpr_workgroup_id_z 0
		.amdhsa_system_sgpr_workgroup_info 0
		.amdhsa_system_vgpr_workitem_id 0
		.amdhsa_next_free_vgpr 84
		.amdhsa_next_free_sgpr 38
		.amdhsa_accum_offset 84
		.amdhsa_reserve_vcc 1
		.amdhsa_float_round_mode_32 0
		.amdhsa_float_round_mode_16_64 0
		.amdhsa_float_denorm_mode_32 3
		.amdhsa_float_denorm_mode_16_64 3
		.amdhsa_dx10_clamp 1
		.amdhsa_ieee_mode 1
		.amdhsa_fp16_overflow 0
		.amdhsa_tg_split 0
		.amdhsa_exception_fp_ieee_invalid_op 0
		.amdhsa_exception_fp_denorm_src 0
		.amdhsa_exception_fp_ieee_div_zero 0
		.amdhsa_exception_fp_ieee_overflow 0
		.amdhsa_exception_fp_ieee_underflow 0
		.amdhsa_exception_fp_ieee_inexact 0
		.amdhsa_exception_int_div_zero 0
	.end_amdhsa_kernel
	.section	.text._ZN7rocprim17ROCPRIM_400000_NS6detail17trampoline_kernelINS0_14default_configENS1_35adjacent_difference_config_selectorILb0ElEEZNS1_24adjacent_difference_implIS3_Lb0ELb0EPlS7_ZN2at6native12_GLOBAL__N_124unique_dim_cuda_templateIfEESt5tupleIJNS8_6TensorESD_SD_EERKSD_lbbbEUlllE1_EE10hipError_tPvRmT2_T3_mT4_P12ihipStream_tbEUlT_E_NS1_11comp_targetILNS1_3genE5ELNS1_11target_archE942ELNS1_3gpuE9ELNS1_3repE0EEENS1_30default_config_static_selectorELNS0_4arch9wavefront6targetE1EEEvT1_,"axG",@progbits,_ZN7rocprim17ROCPRIM_400000_NS6detail17trampoline_kernelINS0_14default_configENS1_35adjacent_difference_config_selectorILb0ElEEZNS1_24adjacent_difference_implIS3_Lb0ELb0EPlS7_ZN2at6native12_GLOBAL__N_124unique_dim_cuda_templateIfEESt5tupleIJNS8_6TensorESD_SD_EERKSD_lbbbEUlllE1_EE10hipError_tPvRmT2_T3_mT4_P12ihipStream_tbEUlT_E_NS1_11comp_targetILNS1_3genE5ELNS1_11target_archE942ELNS1_3gpuE9ELNS1_3repE0EEENS1_30default_config_static_selectorELNS0_4arch9wavefront6targetE1EEEvT1_,comdat
.Lfunc_end913:
	.size	_ZN7rocprim17ROCPRIM_400000_NS6detail17trampoline_kernelINS0_14default_configENS1_35adjacent_difference_config_selectorILb0ElEEZNS1_24adjacent_difference_implIS3_Lb0ELb0EPlS7_ZN2at6native12_GLOBAL__N_124unique_dim_cuda_templateIfEESt5tupleIJNS8_6TensorESD_SD_EERKSD_lbbbEUlllE1_EE10hipError_tPvRmT2_T3_mT4_P12ihipStream_tbEUlT_E_NS1_11comp_targetILNS1_3genE5ELNS1_11target_archE942ELNS1_3gpuE9ELNS1_3repE0EEENS1_30default_config_static_selectorELNS0_4arch9wavefront6targetE1EEEvT1_, .Lfunc_end913-_ZN7rocprim17ROCPRIM_400000_NS6detail17trampoline_kernelINS0_14default_configENS1_35adjacent_difference_config_selectorILb0ElEEZNS1_24adjacent_difference_implIS3_Lb0ELb0EPlS7_ZN2at6native12_GLOBAL__N_124unique_dim_cuda_templateIfEESt5tupleIJNS8_6TensorESD_SD_EERKSD_lbbbEUlllE1_EE10hipError_tPvRmT2_T3_mT4_P12ihipStream_tbEUlT_E_NS1_11comp_targetILNS1_3genE5ELNS1_11target_archE942ELNS1_3gpuE9ELNS1_3repE0EEENS1_30default_config_static_selectorELNS0_4arch9wavefront6targetE1EEEvT1_
                                        ; -- End function
	.section	.AMDGPU.csdata,"",@progbits
; Kernel info:
; codeLenInByte = 18140
; NumSgprs: 44
; NumVgprs: 84
; NumAgprs: 0
; TotalNumVgprs: 84
; ScratchSize: 0
; MemoryBound: 0
; FloatMode: 240
; IeeeMode: 1
; LDSByteSize: 6656 bytes/workgroup (compile time only)
; SGPRBlocks: 5
; VGPRBlocks: 10
; NumSGPRsForWavesPerEU: 44
; NumVGPRsForWavesPerEU: 84
; AccumOffset: 84
; Occupancy: 3
; WaveLimiterHint : 1
; COMPUTE_PGM_RSRC2:SCRATCH_EN: 0
; COMPUTE_PGM_RSRC2:USER_SGPR: 2
; COMPUTE_PGM_RSRC2:TRAP_HANDLER: 0
; COMPUTE_PGM_RSRC2:TGID_X_EN: 1
; COMPUTE_PGM_RSRC2:TGID_Y_EN: 0
; COMPUTE_PGM_RSRC2:TGID_Z_EN: 0
; COMPUTE_PGM_RSRC2:TIDIG_COMP_CNT: 0
; COMPUTE_PGM_RSRC3_GFX90A:ACCUM_OFFSET: 20
; COMPUTE_PGM_RSRC3_GFX90A:TG_SPLIT: 0
	.section	.text._ZN7rocprim17ROCPRIM_400000_NS6detail17trampoline_kernelINS0_14default_configENS1_35adjacent_difference_config_selectorILb0ElEEZNS1_24adjacent_difference_implIS3_Lb0ELb0EPlS7_ZN2at6native12_GLOBAL__N_124unique_dim_cuda_templateIfEESt5tupleIJNS8_6TensorESD_SD_EERKSD_lbbbEUlllE1_EE10hipError_tPvRmT2_T3_mT4_P12ihipStream_tbEUlT_E_NS1_11comp_targetILNS1_3genE4ELNS1_11target_archE910ELNS1_3gpuE8ELNS1_3repE0EEENS1_30default_config_static_selectorELNS0_4arch9wavefront6targetE1EEEvT1_,"axG",@progbits,_ZN7rocprim17ROCPRIM_400000_NS6detail17trampoline_kernelINS0_14default_configENS1_35adjacent_difference_config_selectorILb0ElEEZNS1_24adjacent_difference_implIS3_Lb0ELb0EPlS7_ZN2at6native12_GLOBAL__N_124unique_dim_cuda_templateIfEESt5tupleIJNS8_6TensorESD_SD_EERKSD_lbbbEUlllE1_EE10hipError_tPvRmT2_T3_mT4_P12ihipStream_tbEUlT_E_NS1_11comp_targetILNS1_3genE4ELNS1_11target_archE910ELNS1_3gpuE8ELNS1_3repE0EEENS1_30default_config_static_selectorELNS0_4arch9wavefront6targetE1EEEvT1_,comdat
	.globl	_ZN7rocprim17ROCPRIM_400000_NS6detail17trampoline_kernelINS0_14default_configENS1_35adjacent_difference_config_selectorILb0ElEEZNS1_24adjacent_difference_implIS3_Lb0ELb0EPlS7_ZN2at6native12_GLOBAL__N_124unique_dim_cuda_templateIfEESt5tupleIJNS8_6TensorESD_SD_EERKSD_lbbbEUlllE1_EE10hipError_tPvRmT2_T3_mT4_P12ihipStream_tbEUlT_E_NS1_11comp_targetILNS1_3genE4ELNS1_11target_archE910ELNS1_3gpuE8ELNS1_3repE0EEENS1_30default_config_static_selectorELNS0_4arch9wavefront6targetE1EEEvT1_ ; -- Begin function _ZN7rocprim17ROCPRIM_400000_NS6detail17trampoline_kernelINS0_14default_configENS1_35adjacent_difference_config_selectorILb0ElEEZNS1_24adjacent_difference_implIS3_Lb0ELb0EPlS7_ZN2at6native12_GLOBAL__N_124unique_dim_cuda_templateIfEESt5tupleIJNS8_6TensorESD_SD_EERKSD_lbbbEUlllE1_EE10hipError_tPvRmT2_T3_mT4_P12ihipStream_tbEUlT_E_NS1_11comp_targetILNS1_3genE4ELNS1_11target_archE910ELNS1_3gpuE8ELNS1_3repE0EEENS1_30default_config_static_selectorELNS0_4arch9wavefront6targetE1EEEvT1_
	.p2align	8
	.type	_ZN7rocprim17ROCPRIM_400000_NS6detail17trampoline_kernelINS0_14default_configENS1_35adjacent_difference_config_selectorILb0ElEEZNS1_24adjacent_difference_implIS3_Lb0ELb0EPlS7_ZN2at6native12_GLOBAL__N_124unique_dim_cuda_templateIfEESt5tupleIJNS8_6TensorESD_SD_EERKSD_lbbbEUlllE1_EE10hipError_tPvRmT2_T3_mT4_P12ihipStream_tbEUlT_E_NS1_11comp_targetILNS1_3genE4ELNS1_11target_archE910ELNS1_3gpuE8ELNS1_3repE0EEENS1_30default_config_static_selectorELNS0_4arch9wavefront6targetE1EEEvT1_,@function
_ZN7rocprim17ROCPRIM_400000_NS6detail17trampoline_kernelINS0_14default_configENS1_35adjacent_difference_config_selectorILb0ElEEZNS1_24adjacent_difference_implIS3_Lb0ELb0EPlS7_ZN2at6native12_GLOBAL__N_124unique_dim_cuda_templateIfEESt5tupleIJNS8_6TensorESD_SD_EERKSD_lbbbEUlllE1_EE10hipError_tPvRmT2_T3_mT4_P12ihipStream_tbEUlT_E_NS1_11comp_targetILNS1_3genE4ELNS1_11target_archE910ELNS1_3gpuE8ELNS1_3repE0EEENS1_30default_config_static_selectorELNS0_4arch9wavefront6targetE1EEEvT1_: ; @_ZN7rocprim17ROCPRIM_400000_NS6detail17trampoline_kernelINS0_14default_configENS1_35adjacent_difference_config_selectorILb0ElEEZNS1_24adjacent_difference_implIS3_Lb0ELb0EPlS7_ZN2at6native12_GLOBAL__N_124unique_dim_cuda_templateIfEESt5tupleIJNS8_6TensorESD_SD_EERKSD_lbbbEUlllE1_EE10hipError_tPvRmT2_T3_mT4_P12ihipStream_tbEUlT_E_NS1_11comp_targetILNS1_3genE4ELNS1_11target_archE910ELNS1_3gpuE8ELNS1_3repE0EEENS1_30default_config_static_selectorELNS0_4arch9wavefront6targetE1EEEvT1_
; %bb.0:
	.section	.rodata,"a",@progbits
	.p2align	6, 0x0
	.amdhsa_kernel _ZN7rocprim17ROCPRIM_400000_NS6detail17trampoline_kernelINS0_14default_configENS1_35adjacent_difference_config_selectorILb0ElEEZNS1_24adjacent_difference_implIS3_Lb0ELb0EPlS7_ZN2at6native12_GLOBAL__N_124unique_dim_cuda_templateIfEESt5tupleIJNS8_6TensorESD_SD_EERKSD_lbbbEUlllE1_EE10hipError_tPvRmT2_T3_mT4_P12ihipStream_tbEUlT_E_NS1_11comp_targetILNS1_3genE4ELNS1_11target_archE910ELNS1_3gpuE8ELNS1_3repE0EEENS1_30default_config_static_selectorELNS0_4arch9wavefront6targetE1EEEvT1_
		.amdhsa_group_segment_fixed_size 0
		.amdhsa_private_segment_fixed_size 0
		.amdhsa_kernarg_size 64
		.amdhsa_user_sgpr_count 2
		.amdhsa_user_sgpr_dispatch_ptr 0
		.amdhsa_user_sgpr_queue_ptr 0
		.amdhsa_user_sgpr_kernarg_segment_ptr 1
		.amdhsa_user_sgpr_dispatch_id 0
		.amdhsa_user_sgpr_kernarg_preload_length 0
		.amdhsa_user_sgpr_kernarg_preload_offset 0
		.amdhsa_user_sgpr_private_segment_size 0
		.amdhsa_uses_dynamic_stack 0
		.amdhsa_enable_private_segment 0
		.amdhsa_system_sgpr_workgroup_id_x 1
		.amdhsa_system_sgpr_workgroup_id_y 0
		.amdhsa_system_sgpr_workgroup_id_z 0
		.amdhsa_system_sgpr_workgroup_info 0
		.amdhsa_system_vgpr_workitem_id 0
		.amdhsa_next_free_vgpr 1
		.amdhsa_next_free_sgpr 0
		.amdhsa_accum_offset 4
		.amdhsa_reserve_vcc 0
		.amdhsa_float_round_mode_32 0
		.amdhsa_float_round_mode_16_64 0
		.amdhsa_float_denorm_mode_32 3
		.amdhsa_float_denorm_mode_16_64 3
		.amdhsa_dx10_clamp 1
		.amdhsa_ieee_mode 1
		.amdhsa_fp16_overflow 0
		.amdhsa_tg_split 0
		.amdhsa_exception_fp_ieee_invalid_op 0
		.amdhsa_exception_fp_denorm_src 0
		.amdhsa_exception_fp_ieee_div_zero 0
		.amdhsa_exception_fp_ieee_overflow 0
		.amdhsa_exception_fp_ieee_underflow 0
		.amdhsa_exception_fp_ieee_inexact 0
		.amdhsa_exception_int_div_zero 0
	.end_amdhsa_kernel
	.section	.text._ZN7rocprim17ROCPRIM_400000_NS6detail17trampoline_kernelINS0_14default_configENS1_35adjacent_difference_config_selectorILb0ElEEZNS1_24adjacent_difference_implIS3_Lb0ELb0EPlS7_ZN2at6native12_GLOBAL__N_124unique_dim_cuda_templateIfEESt5tupleIJNS8_6TensorESD_SD_EERKSD_lbbbEUlllE1_EE10hipError_tPvRmT2_T3_mT4_P12ihipStream_tbEUlT_E_NS1_11comp_targetILNS1_3genE4ELNS1_11target_archE910ELNS1_3gpuE8ELNS1_3repE0EEENS1_30default_config_static_selectorELNS0_4arch9wavefront6targetE1EEEvT1_,"axG",@progbits,_ZN7rocprim17ROCPRIM_400000_NS6detail17trampoline_kernelINS0_14default_configENS1_35adjacent_difference_config_selectorILb0ElEEZNS1_24adjacent_difference_implIS3_Lb0ELb0EPlS7_ZN2at6native12_GLOBAL__N_124unique_dim_cuda_templateIfEESt5tupleIJNS8_6TensorESD_SD_EERKSD_lbbbEUlllE1_EE10hipError_tPvRmT2_T3_mT4_P12ihipStream_tbEUlT_E_NS1_11comp_targetILNS1_3genE4ELNS1_11target_archE910ELNS1_3gpuE8ELNS1_3repE0EEENS1_30default_config_static_selectorELNS0_4arch9wavefront6targetE1EEEvT1_,comdat
.Lfunc_end914:
	.size	_ZN7rocprim17ROCPRIM_400000_NS6detail17trampoline_kernelINS0_14default_configENS1_35adjacent_difference_config_selectorILb0ElEEZNS1_24adjacent_difference_implIS3_Lb0ELb0EPlS7_ZN2at6native12_GLOBAL__N_124unique_dim_cuda_templateIfEESt5tupleIJNS8_6TensorESD_SD_EERKSD_lbbbEUlllE1_EE10hipError_tPvRmT2_T3_mT4_P12ihipStream_tbEUlT_E_NS1_11comp_targetILNS1_3genE4ELNS1_11target_archE910ELNS1_3gpuE8ELNS1_3repE0EEENS1_30default_config_static_selectorELNS0_4arch9wavefront6targetE1EEEvT1_, .Lfunc_end914-_ZN7rocprim17ROCPRIM_400000_NS6detail17trampoline_kernelINS0_14default_configENS1_35adjacent_difference_config_selectorILb0ElEEZNS1_24adjacent_difference_implIS3_Lb0ELb0EPlS7_ZN2at6native12_GLOBAL__N_124unique_dim_cuda_templateIfEESt5tupleIJNS8_6TensorESD_SD_EERKSD_lbbbEUlllE1_EE10hipError_tPvRmT2_T3_mT4_P12ihipStream_tbEUlT_E_NS1_11comp_targetILNS1_3genE4ELNS1_11target_archE910ELNS1_3gpuE8ELNS1_3repE0EEENS1_30default_config_static_selectorELNS0_4arch9wavefront6targetE1EEEvT1_
                                        ; -- End function
	.section	.AMDGPU.csdata,"",@progbits
; Kernel info:
; codeLenInByte = 0
; NumSgprs: 6
; NumVgprs: 0
; NumAgprs: 0
; TotalNumVgprs: 0
; ScratchSize: 0
; MemoryBound: 0
; FloatMode: 240
; IeeeMode: 1
; LDSByteSize: 0 bytes/workgroup (compile time only)
; SGPRBlocks: 0
; VGPRBlocks: 0
; NumSGPRsForWavesPerEU: 6
; NumVGPRsForWavesPerEU: 1
; AccumOffset: 4
; Occupancy: 8
; WaveLimiterHint : 0
; COMPUTE_PGM_RSRC2:SCRATCH_EN: 0
; COMPUTE_PGM_RSRC2:USER_SGPR: 2
; COMPUTE_PGM_RSRC2:TRAP_HANDLER: 0
; COMPUTE_PGM_RSRC2:TGID_X_EN: 1
; COMPUTE_PGM_RSRC2:TGID_Y_EN: 0
; COMPUTE_PGM_RSRC2:TGID_Z_EN: 0
; COMPUTE_PGM_RSRC2:TIDIG_COMP_CNT: 0
; COMPUTE_PGM_RSRC3_GFX90A:ACCUM_OFFSET: 0
; COMPUTE_PGM_RSRC3_GFX90A:TG_SPLIT: 0
	.section	.text._ZN7rocprim17ROCPRIM_400000_NS6detail17trampoline_kernelINS0_14default_configENS1_35adjacent_difference_config_selectorILb0ElEEZNS1_24adjacent_difference_implIS3_Lb0ELb0EPlS7_ZN2at6native12_GLOBAL__N_124unique_dim_cuda_templateIfEESt5tupleIJNS8_6TensorESD_SD_EERKSD_lbbbEUlllE1_EE10hipError_tPvRmT2_T3_mT4_P12ihipStream_tbEUlT_E_NS1_11comp_targetILNS1_3genE3ELNS1_11target_archE908ELNS1_3gpuE7ELNS1_3repE0EEENS1_30default_config_static_selectorELNS0_4arch9wavefront6targetE1EEEvT1_,"axG",@progbits,_ZN7rocprim17ROCPRIM_400000_NS6detail17trampoline_kernelINS0_14default_configENS1_35adjacent_difference_config_selectorILb0ElEEZNS1_24adjacent_difference_implIS3_Lb0ELb0EPlS7_ZN2at6native12_GLOBAL__N_124unique_dim_cuda_templateIfEESt5tupleIJNS8_6TensorESD_SD_EERKSD_lbbbEUlllE1_EE10hipError_tPvRmT2_T3_mT4_P12ihipStream_tbEUlT_E_NS1_11comp_targetILNS1_3genE3ELNS1_11target_archE908ELNS1_3gpuE7ELNS1_3repE0EEENS1_30default_config_static_selectorELNS0_4arch9wavefront6targetE1EEEvT1_,comdat
	.globl	_ZN7rocprim17ROCPRIM_400000_NS6detail17trampoline_kernelINS0_14default_configENS1_35adjacent_difference_config_selectorILb0ElEEZNS1_24adjacent_difference_implIS3_Lb0ELb0EPlS7_ZN2at6native12_GLOBAL__N_124unique_dim_cuda_templateIfEESt5tupleIJNS8_6TensorESD_SD_EERKSD_lbbbEUlllE1_EE10hipError_tPvRmT2_T3_mT4_P12ihipStream_tbEUlT_E_NS1_11comp_targetILNS1_3genE3ELNS1_11target_archE908ELNS1_3gpuE7ELNS1_3repE0EEENS1_30default_config_static_selectorELNS0_4arch9wavefront6targetE1EEEvT1_ ; -- Begin function _ZN7rocprim17ROCPRIM_400000_NS6detail17trampoline_kernelINS0_14default_configENS1_35adjacent_difference_config_selectorILb0ElEEZNS1_24adjacent_difference_implIS3_Lb0ELb0EPlS7_ZN2at6native12_GLOBAL__N_124unique_dim_cuda_templateIfEESt5tupleIJNS8_6TensorESD_SD_EERKSD_lbbbEUlllE1_EE10hipError_tPvRmT2_T3_mT4_P12ihipStream_tbEUlT_E_NS1_11comp_targetILNS1_3genE3ELNS1_11target_archE908ELNS1_3gpuE7ELNS1_3repE0EEENS1_30default_config_static_selectorELNS0_4arch9wavefront6targetE1EEEvT1_
	.p2align	8
	.type	_ZN7rocprim17ROCPRIM_400000_NS6detail17trampoline_kernelINS0_14default_configENS1_35adjacent_difference_config_selectorILb0ElEEZNS1_24adjacent_difference_implIS3_Lb0ELb0EPlS7_ZN2at6native12_GLOBAL__N_124unique_dim_cuda_templateIfEESt5tupleIJNS8_6TensorESD_SD_EERKSD_lbbbEUlllE1_EE10hipError_tPvRmT2_T3_mT4_P12ihipStream_tbEUlT_E_NS1_11comp_targetILNS1_3genE3ELNS1_11target_archE908ELNS1_3gpuE7ELNS1_3repE0EEENS1_30default_config_static_selectorELNS0_4arch9wavefront6targetE1EEEvT1_,@function
_ZN7rocprim17ROCPRIM_400000_NS6detail17trampoline_kernelINS0_14default_configENS1_35adjacent_difference_config_selectorILb0ElEEZNS1_24adjacent_difference_implIS3_Lb0ELb0EPlS7_ZN2at6native12_GLOBAL__N_124unique_dim_cuda_templateIfEESt5tupleIJNS8_6TensorESD_SD_EERKSD_lbbbEUlllE1_EE10hipError_tPvRmT2_T3_mT4_P12ihipStream_tbEUlT_E_NS1_11comp_targetILNS1_3genE3ELNS1_11target_archE908ELNS1_3gpuE7ELNS1_3repE0EEENS1_30default_config_static_selectorELNS0_4arch9wavefront6targetE1EEEvT1_: ; @_ZN7rocprim17ROCPRIM_400000_NS6detail17trampoline_kernelINS0_14default_configENS1_35adjacent_difference_config_selectorILb0ElEEZNS1_24adjacent_difference_implIS3_Lb0ELb0EPlS7_ZN2at6native12_GLOBAL__N_124unique_dim_cuda_templateIfEESt5tupleIJNS8_6TensorESD_SD_EERKSD_lbbbEUlllE1_EE10hipError_tPvRmT2_T3_mT4_P12ihipStream_tbEUlT_E_NS1_11comp_targetILNS1_3genE3ELNS1_11target_archE908ELNS1_3gpuE7ELNS1_3repE0EEENS1_30default_config_static_selectorELNS0_4arch9wavefront6targetE1EEEvT1_
; %bb.0:
	.section	.rodata,"a",@progbits
	.p2align	6, 0x0
	.amdhsa_kernel _ZN7rocprim17ROCPRIM_400000_NS6detail17trampoline_kernelINS0_14default_configENS1_35adjacent_difference_config_selectorILb0ElEEZNS1_24adjacent_difference_implIS3_Lb0ELb0EPlS7_ZN2at6native12_GLOBAL__N_124unique_dim_cuda_templateIfEESt5tupleIJNS8_6TensorESD_SD_EERKSD_lbbbEUlllE1_EE10hipError_tPvRmT2_T3_mT4_P12ihipStream_tbEUlT_E_NS1_11comp_targetILNS1_3genE3ELNS1_11target_archE908ELNS1_3gpuE7ELNS1_3repE0EEENS1_30default_config_static_selectorELNS0_4arch9wavefront6targetE1EEEvT1_
		.amdhsa_group_segment_fixed_size 0
		.amdhsa_private_segment_fixed_size 0
		.amdhsa_kernarg_size 64
		.amdhsa_user_sgpr_count 2
		.amdhsa_user_sgpr_dispatch_ptr 0
		.amdhsa_user_sgpr_queue_ptr 0
		.amdhsa_user_sgpr_kernarg_segment_ptr 1
		.amdhsa_user_sgpr_dispatch_id 0
		.amdhsa_user_sgpr_kernarg_preload_length 0
		.amdhsa_user_sgpr_kernarg_preload_offset 0
		.amdhsa_user_sgpr_private_segment_size 0
		.amdhsa_uses_dynamic_stack 0
		.amdhsa_enable_private_segment 0
		.amdhsa_system_sgpr_workgroup_id_x 1
		.amdhsa_system_sgpr_workgroup_id_y 0
		.amdhsa_system_sgpr_workgroup_id_z 0
		.amdhsa_system_sgpr_workgroup_info 0
		.amdhsa_system_vgpr_workitem_id 0
		.amdhsa_next_free_vgpr 1
		.amdhsa_next_free_sgpr 0
		.amdhsa_accum_offset 4
		.amdhsa_reserve_vcc 0
		.amdhsa_float_round_mode_32 0
		.amdhsa_float_round_mode_16_64 0
		.amdhsa_float_denorm_mode_32 3
		.amdhsa_float_denorm_mode_16_64 3
		.amdhsa_dx10_clamp 1
		.amdhsa_ieee_mode 1
		.amdhsa_fp16_overflow 0
		.amdhsa_tg_split 0
		.amdhsa_exception_fp_ieee_invalid_op 0
		.amdhsa_exception_fp_denorm_src 0
		.amdhsa_exception_fp_ieee_div_zero 0
		.amdhsa_exception_fp_ieee_overflow 0
		.amdhsa_exception_fp_ieee_underflow 0
		.amdhsa_exception_fp_ieee_inexact 0
		.amdhsa_exception_int_div_zero 0
	.end_amdhsa_kernel
	.section	.text._ZN7rocprim17ROCPRIM_400000_NS6detail17trampoline_kernelINS0_14default_configENS1_35adjacent_difference_config_selectorILb0ElEEZNS1_24adjacent_difference_implIS3_Lb0ELb0EPlS7_ZN2at6native12_GLOBAL__N_124unique_dim_cuda_templateIfEESt5tupleIJNS8_6TensorESD_SD_EERKSD_lbbbEUlllE1_EE10hipError_tPvRmT2_T3_mT4_P12ihipStream_tbEUlT_E_NS1_11comp_targetILNS1_3genE3ELNS1_11target_archE908ELNS1_3gpuE7ELNS1_3repE0EEENS1_30default_config_static_selectorELNS0_4arch9wavefront6targetE1EEEvT1_,"axG",@progbits,_ZN7rocprim17ROCPRIM_400000_NS6detail17trampoline_kernelINS0_14default_configENS1_35adjacent_difference_config_selectorILb0ElEEZNS1_24adjacent_difference_implIS3_Lb0ELb0EPlS7_ZN2at6native12_GLOBAL__N_124unique_dim_cuda_templateIfEESt5tupleIJNS8_6TensorESD_SD_EERKSD_lbbbEUlllE1_EE10hipError_tPvRmT2_T3_mT4_P12ihipStream_tbEUlT_E_NS1_11comp_targetILNS1_3genE3ELNS1_11target_archE908ELNS1_3gpuE7ELNS1_3repE0EEENS1_30default_config_static_selectorELNS0_4arch9wavefront6targetE1EEEvT1_,comdat
.Lfunc_end915:
	.size	_ZN7rocprim17ROCPRIM_400000_NS6detail17trampoline_kernelINS0_14default_configENS1_35adjacent_difference_config_selectorILb0ElEEZNS1_24adjacent_difference_implIS3_Lb0ELb0EPlS7_ZN2at6native12_GLOBAL__N_124unique_dim_cuda_templateIfEESt5tupleIJNS8_6TensorESD_SD_EERKSD_lbbbEUlllE1_EE10hipError_tPvRmT2_T3_mT4_P12ihipStream_tbEUlT_E_NS1_11comp_targetILNS1_3genE3ELNS1_11target_archE908ELNS1_3gpuE7ELNS1_3repE0EEENS1_30default_config_static_selectorELNS0_4arch9wavefront6targetE1EEEvT1_, .Lfunc_end915-_ZN7rocprim17ROCPRIM_400000_NS6detail17trampoline_kernelINS0_14default_configENS1_35adjacent_difference_config_selectorILb0ElEEZNS1_24adjacent_difference_implIS3_Lb0ELb0EPlS7_ZN2at6native12_GLOBAL__N_124unique_dim_cuda_templateIfEESt5tupleIJNS8_6TensorESD_SD_EERKSD_lbbbEUlllE1_EE10hipError_tPvRmT2_T3_mT4_P12ihipStream_tbEUlT_E_NS1_11comp_targetILNS1_3genE3ELNS1_11target_archE908ELNS1_3gpuE7ELNS1_3repE0EEENS1_30default_config_static_selectorELNS0_4arch9wavefront6targetE1EEEvT1_
                                        ; -- End function
	.section	.AMDGPU.csdata,"",@progbits
; Kernel info:
; codeLenInByte = 0
; NumSgprs: 6
; NumVgprs: 0
; NumAgprs: 0
; TotalNumVgprs: 0
; ScratchSize: 0
; MemoryBound: 0
; FloatMode: 240
; IeeeMode: 1
; LDSByteSize: 0 bytes/workgroup (compile time only)
; SGPRBlocks: 0
; VGPRBlocks: 0
; NumSGPRsForWavesPerEU: 6
; NumVGPRsForWavesPerEU: 1
; AccumOffset: 4
; Occupancy: 8
; WaveLimiterHint : 0
; COMPUTE_PGM_RSRC2:SCRATCH_EN: 0
; COMPUTE_PGM_RSRC2:USER_SGPR: 2
; COMPUTE_PGM_RSRC2:TRAP_HANDLER: 0
; COMPUTE_PGM_RSRC2:TGID_X_EN: 1
; COMPUTE_PGM_RSRC2:TGID_Y_EN: 0
; COMPUTE_PGM_RSRC2:TGID_Z_EN: 0
; COMPUTE_PGM_RSRC2:TIDIG_COMP_CNT: 0
; COMPUTE_PGM_RSRC3_GFX90A:ACCUM_OFFSET: 0
; COMPUTE_PGM_RSRC3_GFX90A:TG_SPLIT: 0
	.section	.text._ZN7rocprim17ROCPRIM_400000_NS6detail17trampoline_kernelINS0_14default_configENS1_35adjacent_difference_config_selectorILb0ElEEZNS1_24adjacent_difference_implIS3_Lb0ELb0EPlS7_ZN2at6native12_GLOBAL__N_124unique_dim_cuda_templateIfEESt5tupleIJNS8_6TensorESD_SD_EERKSD_lbbbEUlllE1_EE10hipError_tPvRmT2_T3_mT4_P12ihipStream_tbEUlT_E_NS1_11comp_targetILNS1_3genE2ELNS1_11target_archE906ELNS1_3gpuE6ELNS1_3repE0EEENS1_30default_config_static_selectorELNS0_4arch9wavefront6targetE1EEEvT1_,"axG",@progbits,_ZN7rocprim17ROCPRIM_400000_NS6detail17trampoline_kernelINS0_14default_configENS1_35adjacent_difference_config_selectorILb0ElEEZNS1_24adjacent_difference_implIS3_Lb0ELb0EPlS7_ZN2at6native12_GLOBAL__N_124unique_dim_cuda_templateIfEESt5tupleIJNS8_6TensorESD_SD_EERKSD_lbbbEUlllE1_EE10hipError_tPvRmT2_T3_mT4_P12ihipStream_tbEUlT_E_NS1_11comp_targetILNS1_3genE2ELNS1_11target_archE906ELNS1_3gpuE6ELNS1_3repE0EEENS1_30default_config_static_selectorELNS0_4arch9wavefront6targetE1EEEvT1_,comdat
	.globl	_ZN7rocprim17ROCPRIM_400000_NS6detail17trampoline_kernelINS0_14default_configENS1_35adjacent_difference_config_selectorILb0ElEEZNS1_24adjacent_difference_implIS3_Lb0ELb0EPlS7_ZN2at6native12_GLOBAL__N_124unique_dim_cuda_templateIfEESt5tupleIJNS8_6TensorESD_SD_EERKSD_lbbbEUlllE1_EE10hipError_tPvRmT2_T3_mT4_P12ihipStream_tbEUlT_E_NS1_11comp_targetILNS1_3genE2ELNS1_11target_archE906ELNS1_3gpuE6ELNS1_3repE0EEENS1_30default_config_static_selectorELNS0_4arch9wavefront6targetE1EEEvT1_ ; -- Begin function _ZN7rocprim17ROCPRIM_400000_NS6detail17trampoline_kernelINS0_14default_configENS1_35adjacent_difference_config_selectorILb0ElEEZNS1_24adjacent_difference_implIS3_Lb0ELb0EPlS7_ZN2at6native12_GLOBAL__N_124unique_dim_cuda_templateIfEESt5tupleIJNS8_6TensorESD_SD_EERKSD_lbbbEUlllE1_EE10hipError_tPvRmT2_T3_mT4_P12ihipStream_tbEUlT_E_NS1_11comp_targetILNS1_3genE2ELNS1_11target_archE906ELNS1_3gpuE6ELNS1_3repE0EEENS1_30default_config_static_selectorELNS0_4arch9wavefront6targetE1EEEvT1_
	.p2align	8
	.type	_ZN7rocprim17ROCPRIM_400000_NS6detail17trampoline_kernelINS0_14default_configENS1_35adjacent_difference_config_selectorILb0ElEEZNS1_24adjacent_difference_implIS3_Lb0ELb0EPlS7_ZN2at6native12_GLOBAL__N_124unique_dim_cuda_templateIfEESt5tupleIJNS8_6TensorESD_SD_EERKSD_lbbbEUlllE1_EE10hipError_tPvRmT2_T3_mT4_P12ihipStream_tbEUlT_E_NS1_11comp_targetILNS1_3genE2ELNS1_11target_archE906ELNS1_3gpuE6ELNS1_3repE0EEENS1_30default_config_static_selectorELNS0_4arch9wavefront6targetE1EEEvT1_,@function
_ZN7rocprim17ROCPRIM_400000_NS6detail17trampoline_kernelINS0_14default_configENS1_35adjacent_difference_config_selectorILb0ElEEZNS1_24adjacent_difference_implIS3_Lb0ELb0EPlS7_ZN2at6native12_GLOBAL__N_124unique_dim_cuda_templateIfEESt5tupleIJNS8_6TensorESD_SD_EERKSD_lbbbEUlllE1_EE10hipError_tPvRmT2_T3_mT4_P12ihipStream_tbEUlT_E_NS1_11comp_targetILNS1_3genE2ELNS1_11target_archE906ELNS1_3gpuE6ELNS1_3repE0EEENS1_30default_config_static_selectorELNS0_4arch9wavefront6targetE1EEEvT1_: ; @_ZN7rocprim17ROCPRIM_400000_NS6detail17trampoline_kernelINS0_14default_configENS1_35adjacent_difference_config_selectorILb0ElEEZNS1_24adjacent_difference_implIS3_Lb0ELb0EPlS7_ZN2at6native12_GLOBAL__N_124unique_dim_cuda_templateIfEESt5tupleIJNS8_6TensorESD_SD_EERKSD_lbbbEUlllE1_EE10hipError_tPvRmT2_T3_mT4_P12ihipStream_tbEUlT_E_NS1_11comp_targetILNS1_3genE2ELNS1_11target_archE906ELNS1_3gpuE6ELNS1_3repE0EEENS1_30default_config_static_selectorELNS0_4arch9wavefront6targetE1EEEvT1_
; %bb.0:
	.section	.rodata,"a",@progbits
	.p2align	6, 0x0
	.amdhsa_kernel _ZN7rocprim17ROCPRIM_400000_NS6detail17trampoline_kernelINS0_14default_configENS1_35adjacent_difference_config_selectorILb0ElEEZNS1_24adjacent_difference_implIS3_Lb0ELb0EPlS7_ZN2at6native12_GLOBAL__N_124unique_dim_cuda_templateIfEESt5tupleIJNS8_6TensorESD_SD_EERKSD_lbbbEUlllE1_EE10hipError_tPvRmT2_T3_mT4_P12ihipStream_tbEUlT_E_NS1_11comp_targetILNS1_3genE2ELNS1_11target_archE906ELNS1_3gpuE6ELNS1_3repE0EEENS1_30default_config_static_selectorELNS0_4arch9wavefront6targetE1EEEvT1_
		.amdhsa_group_segment_fixed_size 0
		.amdhsa_private_segment_fixed_size 0
		.amdhsa_kernarg_size 64
		.amdhsa_user_sgpr_count 2
		.amdhsa_user_sgpr_dispatch_ptr 0
		.amdhsa_user_sgpr_queue_ptr 0
		.amdhsa_user_sgpr_kernarg_segment_ptr 1
		.amdhsa_user_sgpr_dispatch_id 0
		.amdhsa_user_sgpr_kernarg_preload_length 0
		.amdhsa_user_sgpr_kernarg_preload_offset 0
		.amdhsa_user_sgpr_private_segment_size 0
		.amdhsa_uses_dynamic_stack 0
		.amdhsa_enable_private_segment 0
		.amdhsa_system_sgpr_workgroup_id_x 1
		.amdhsa_system_sgpr_workgroup_id_y 0
		.amdhsa_system_sgpr_workgroup_id_z 0
		.amdhsa_system_sgpr_workgroup_info 0
		.amdhsa_system_vgpr_workitem_id 0
		.amdhsa_next_free_vgpr 1
		.amdhsa_next_free_sgpr 0
		.amdhsa_accum_offset 4
		.amdhsa_reserve_vcc 0
		.amdhsa_float_round_mode_32 0
		.amdhsa_float_round_mode_16_64 0
		.amdhsa_float_denorm_mode_32 3
		.amdhsa_float_denorm_mode_16_64 3
		.amdhsa_dx10_clamp 1
		.amdhsa_ieee_mode 1
		.amdhsa_fp16_overflow 0
		.amdhsa_tg_split 0
		.amdhsa_exception_fp_ieee_invalid_op 0
		.amdhsa_exception_fp_denorm_src 0
		.amdhsa_exception_fp_ieee_div_zero 0
		.amdhsa_exception_fp_ieee_overflow 0
		.amdhsa_exception_fp_ieee_underflow 0
		.amdhsa_exception_fp_ieee_inexact 0
		.amdhsa_exception_int_div_zero 0
	.end_amdhsa_kernel
	.section	.text._ZN7rocprim17ROCPRIM_400000_NS6detail17trampoline_kernelINS0_14default_configENS1_35adjacent_difference_config_selectorILb0ElEEZNS1_24adjacent_difference_implIS3_Lb0ELb0EPlS7_ZN2at6native12_GLOBAL__N_124unique_dim_cuda_templateIfEESt5tupleIJNS8_6TensorESD_SD_EERKSD_lbbbEUlllE1_EE10hipError_tPvRmT2_T3_mT4_P12ihipStream_tbEUlT_E_NS1_11comp_targetILNS1_3genE2ELNS1_11target_archE906ELNS1_3gpuE6ELNS1_3repE0EEENS1_30default_config_static_selectorELNS0_4arch9wavefront6targetE1EEEvT1_,"axG",@progbits,_ZN7rocprim17ROCPRIM_400000_NS6detail17trampoline_kernelINS0_14default_configENS1_35adjacent_difference_config_selectorILb0ElEEZNS1_24adjacent_difference_implIS3_Lb0ELb0EPlS7_ZN2at6native12_GLOBAL__N_124unique_dim_cuda_templateIfEESt5tupleIJNS8_6TensorESD_SD_EERKSD_lbbbEUlllE1_EE10hipError_tPvRmT2_T3_mT4_P12ihipStream_tbEUlT_E_NS1_11comp_targetILNS1_3genE2ELNS1_11target_archE906ELNS1_3gpuE6ELNS1_3repE0EEENS1_30default_config_static_selectorELNS0_4arch9wavefront6targetE1EEEvT1_,comdat
.Lfunc_end916:
	.size	_ZN7rocprim17ROCPRIM_400000_NS6detail17trampoline_kernelINS0_14default_configENS1_35adjacent_difference_config_selectorILb0ElEEZNS1_24adjacent_difference_implIS3_Lb0ELb0EPlS7_ZN2at6native12_GLOBAL__N_124unique_dim_cuda_templateIfEESt5tupleIJNS8_6TensorESD_SD_EERKSD_lbbbEUlllE1_EE10hipError_tPvRmT2_T3_mT4_P12ihipStream_tbEUlT_E_NS1_11comp_targetILNS1_3genE2ELNS1_11target_archE906ELNS1_3gpuE6ELNS1_3repE0EEENS1_30default_config_static_selectorELNS0_4arch9wavefront6targetE1EEEvT1_, .Lfunc_end916-_ZN7rocprim17ROCPRIM_400000_NS6detail17trampoline_kernelINS0_14default_configENS1_35adjacent_difference_config_selectorILb0ElEEZNS1_24adjacent_difference_implIS3_Lb0ELb0EPlS7_ZN2at6native12_GLOBAL__N_124unique_dim_cuda_templateIfEESt5tupleIJNS8_6TensorESD_SD_EERKSD_lbbbEUlllE1_EE10hipError_tPvRmT2_T3_mT4_P12ihipStream_tbEUlT_E_NS1_11comp_targetILNS1_3genE2ELNS1_11target_archE906ELNS1_3gpuE6ELNS1_3repE0EEENS1_30default_config_static_selectorELNS0_4arch9wavefront6targetE1EEEvT1_
                                        ; -- End function
	.section	.AMDGPU.csdata,"",@progbits
; Kernel info:
; codeLenInByte = 0
; NumSgprs: 6
; NumVgprs: 0
; NumAgprs: 0
; TotalNumVgprs: 0
; ScratchSize: 0
; MemoryBound: 0
; FloatMode: 240
; IeeeMode: 1
; LDSByteSize: 0 bytes/workgroup (compile time only)
; SGPRBlocks: 0
; VGPRBlocks: 0
; NumSGPRsForWavesPerEU: 6
; NumVGPRsForWavesPerEU: 1
; AccumOffset: 4
; Occupancy: 8
; WaveLimiterHint : 0
; COMPUTE_PGM_RSRC2:SCRATCH_EN: 0
; COMPUTE_PGM_RSRC2:USER_SGPR: 2
; COMPUTE_PGM_RSRC2:TRAP_HANDLER: 0
; COMPUTE_PGM_RSRC2:TGID_X_EN: 1
; COMPUTE_PGM_RSRC2:TGID_Y_EN: 0
; COMPUTE_PGM_RSRC2:TGID_Z_EN: 0
; COMPUTE_PGM_RSRC2:TIDIG_COMP_CNT: 0
; COMPUTE_PGM_RSRC3_GFX90A:ACCUM_OFFSET: 0
; COMPUTE_PGM_RSRC3_GFX90A:TG_SPLIT: 0
	.section	.text._ZN7rocprim17ROCPRIM_400000_NS6detail17trampoline_kernelINS0_14default_configENS1_35adjacent_difference_config_selectorILb0ElEEZNS1_24adjacent_difference_implIS3_Lb0ELb0EPlS7_ZN2at6native12_GLOBAL__N_124unique_dim_cuda_templateIfEESt5tupleIJNS8_6TensorESD_SD_EERKSD_lbbbEUlllE1_EE10hipError_tPvRmT2_T3_mT4_P12ihipStream_tbEUlT_E_NS1_11comp_targetILNS1_3genE9ELNS1_11target_archE1100ELNS1_3gpuE3ELNS1_3repE0EEENS1_30default_config_static_selectorELNS0_4arch9wavefront6targetE1EEEvT1_,"axG",@progbits,_ZN7rocprim17ROCPRIM_400000_NS6detail17trampoline_kernelINS0_14default_configENS1_35adjacent_difference_config_selectorILb0ElEEZNS1_24adjacent_difference_implIS3_Lb0ELb0EPlS7_ZN2at6native12_GLOBAL__N_124unique_dim_cuda_templateIfEESt5tupleIJNS8_6TensorESD_SD_EERKSD_lbbbEUlllE1_EE10hipError_tPvRmT2_T3_mT4_P12ihipStream_tbEUlT_E_NS1_11comp_targetILNS1_3genE9ELNS1_11target_archE1100ELNS1_3gpuE3ELNS1_3repE0EEENS1_30default_config_static_selectorELNS0_4arch9wavefront6targetE1EEEvT1_,comdat
	.globl	_ZN7rocprim17ROCPRIM_400000_NS6detail17trampoline_kernelINS0_14default_configENS1_35adjacent_difference_config_selectorILb0ElEEZNS1_24adjacent_difference_implIS3_Lb0ELb0EPlS7_ZN2at6native12_GLOBAL__N_124unique_dim_cuda_templateIfEESt5tupleIJNS8_6TensorESD_SD_EERKSD_lbbbEUlllE1_EE10hipError_tPvRmT2_T3_mT4_P12ihipStream_tbEUlT_E_NS1_11comp_targetILNS1_3genE9ELNS1_11target_archE1100ELNS1_3gpuE3ELNS1_3repE0EEENS1_30default_config_static_selectorELNS0_4arch9wavefront6targetE1EEEvT1_ ; -- Begin function _ZN7rocprim17ROCPRIM_400000_NS6detail17trampoline_kernelINS0_14default_configENS1_35adjacent_difference_config_selectorILb0ElEEZNS1_24adjacent_difference_implIS3_Lb0ELb0EPlS7_ZN2at6native12_GLOBAL__N_124unique_dim_cuda_templateIfEESt5tupleIJNS8_6TensorESD_SD_EERKSD_lbbbEUlllE1_EE10hipError_tPvRmT2_T3_mT4_P12ihipStream_tbEUlT_E_NS1_11comp_targetILNS1_3genE9ELNS1_11target_archE1100ELNS1_3gpuE3ELNS1_3repE0EEENS1_30default_config_static_selectorELNS0_4arch9wavefront6targetE1EEEvT1_
	.p2align	8
	.type	_ZN7rocprim17ROCPRIM_400000_NS6detail17trampoline_kernelINS0_14default_configENS1_35adjacent_difference_config_selectorILb0ElEEZNS1_24adjacent_difference_implIS3_Lb0ELb0EPlS7_ZN2at6native12_GLOBAL__N_124unique_dim_cuda_templateIfEESt5tupleIJNS8_6TensorESD_SD_EERKSD_lbbbEUlllE1_EE10hipError_tPvRmT2_T3_mT4_P12ihipStream_tbEUlT_E_NS1_11comp_targetILNS1_3genE9ELNS1_11target_archE1100ELNS1_3gpuE3ELNS1_3repE0EEENS1_30default_config_static_selectorELNS0_4arch9wavefront6targetE1EEEvT1_,@function
_ZN7rocprim17ROCPRIM_400000_NS6detail17trampoline_kernelINS0_14default_configENS1_35adjacent_difference_config_selectorILb0ElEEZNS1_24adjacent_difference_implIS3_Lb0ELb0EPlS7_ZN2at6native12_GLOBAL__N_124unique_dim_cuda_templateIfEESt5tupleIJNS8_6TensorESD_SD_EERKSD_lbbbEUlllE1_EE10hipError_tPvRmT2_T3_mT4_P12ihipStream_tbEUlT_E_NS1_11comp_targetILNS1_3genE9ELNS1_11target_archE1100ELNS1_3gpuE3ELNS1_3repE0EEENS1_30default_config_static_selectorELNS0_4arch9wavefront6targetE1EEEvT1_: ; @_ZN7rocprim17ROCPRIM_400000_NS6detail17trampoline_kernelINS0_14default_configENS1_35adjacent_difference_config_selectorILb0ElEEZNS1_24adjacent_difference_implIS3_Lb0ELb0EPlS7_ZN2at6native12_GLOBAL__N_124unique_dim_cuda_templateIfEESt5tupleIJNS8_6TensorESD_SD_EERKSD_lbbbEUlllE1_EE10hipError_tPvRmT2_T3_mT4_P12ihipStream_tbEUlT_E_NS1_11comp_targetILNS1_3genE9ELNS1_11target_archE1100ELNS1_3gpuE3ELNS1_3repE0EEENS1_30default_config_static_selectorELNS0_4arch9wavefront6targetE1EEEvT1_
; %bb.0:
	.section	.rodata,"a",@progbits
	.p2align	6, 0x0
	.amdhsa_kernel _ZN7rocprim17ROCPRIM_400000_NS6detail17trampoline_kernelINS0_14default_configENS1_35adjacent_difference_config_selectorILb0ElEEZNS1_24adjacent_difference_implIS3_Lb0ELb0EPlS7_ZN2at6native12_GLOBAL__N_124unique_dim_cuda_templateIfEESt5tupleIJNS8_6TensorESD_SD_EERKSD_lbbbEUlllE1_EE10hipError_tPvRmT2_T3_mT4_P12ihipStream_tbEUlT_E_NS1_11comp_targetILNS1_3genE9ELNS1_11target_archE1100ELNS1_3gpuE3ELNS1_3repE0EEENS1_30default_config_static_selectorELNS0_4arch9wavefront6targetE1EEEvT1_
		.amdhsa_group_segment_fixed_size 0
		.amdhsa_private_segment_fixed_size 0
		.amdhsa_kernarg_size 64
		.amdhsa_user_sgpr_count 2
		.amdhsa_user_sgpr_dispatch_ptr 0
		.amdhsa_user_sgpr_queue_ptr 0
		.amdhsa_user_sgpr_kernarg_segment_ptr 1
		.amdhsa_user_sgpr_dispatch_id 0
		.amdhsa_user_sgpr_kernarg_preload_length 0
		.amdhsa_user_sgpr_kernarg_preload_offset 0
		.amdhsa_user_sgpr_private_segment_size 0
		.amdhsa_uses_dynamic_stack 0
		.amdhsa_enable_private_segment 0
		.amdhsa_system_sgpr_workgroup_id_x 1
		.amdhsa_system_sgpr_workgroup_id_y 0
		.amdhsa_system_sgpr_workgroup_id_z 0
		.amdhsa_system_sgpr_workgroup_info 0
		.amdhsa_system_vgpr_workitem_id 0
		.amdhsa_next_free_vgpr 1
		.amdhsa_next_free_sgpr 0
		.amdhsa_accum_offset 4
		.amdhsa_reserve_vcc 0
		.amdhsa_float_round_mode_32 0
		.amdhsa_float_round_mode_16_64 0
		.amdhsa_float_denorm_mode_32 3
		.amdhsa_float_denorm_mode_16_64 3
		.amdhsa_dx10_clamp 1
		.amdhsa_ieee_mode 1
		.amdhsa_fp16_overflow 0
		.amdhsa_tg_split 0
		.amdhsa_exception_fp_ieee_invalid_op 0
		.amdhsa_exception_fp_denorm_src 0
		.amdhsa_exception_fp_ieee_div_zero 0
		.amdhsa_exception_fp_ieee_overflow 0
		.amdhsa_exception_fp_ieee_underflow 0
		.amdhsa_exception_fp_ieee_inexact 0
		.amdhsa_exception_int_div_zero 0
	.end_amdhsa_kernel
	.section	.text._ZN7rocprim17ROCPRIM_400000_NS6detail17trampoline_kernelINS0_14default_configENS1_35adjacent_difference_config_selectorILb0ElEEZNS1_24adjacent_difference_implIS3_Lb0ELb0EPlS7_ZN2at6native12_GLOBAL__N_124unique_dim_cuda_templateIfEESt5tupleIJNS8_6TensorESD_SD_EERKSD_lbbbEUlllE1_EE10hipError_tPvRmT2_T3_mT4_P12ihipStream_tbEUlT_E_NS1_11comp_targetILNS1_3genE9ELNS1_11target_archE1100ELNS1_3gpuE3ELNS1_3repE0EEENS1_30default_config_static_selectorELNS0_4arch9wavefront6targetE1EEEvT1_,"axG",@progbits,_ZN7rocprim17ROCPRIM_400000_NS6detail17trampoline_kernelINS0_14default_configENS1_35adjacent_difference_config_selectorILb0ElEEZNS1_24adjacent_difference_implIS3_Lb0ELb0EPlS7_ZN2at6native12_GLOBAL__N_124unique_dim_cuda_templateIfEESt5tupleIJNS8_6TensorESD_SD_EERKSD_lbbbEUlllE1_EE10hipError_tPvRmT2_T3_mT4_P12ihipStream_tbEUlT_E_NS1_11comp_targetILNS1_3genE9ELNS1_11target_archE1100ELNS1_3gpuE3ELNS1_3repE0EEENS1_30default_config_static_selectorELNS0_4arch9wavefront6targetE1EEEvT1_,comdat
.Lfunc_end917:
	.size	_ZN7rocprim17ROCPRIM_400000_NS6detail17trampoline_kernelINS0_14default_configENS1_35adjacent_difference_config_selectorILb0ElEEZNS1_24adjacent_difference_implIS3_Lb0ELb0EPlS7_ZN2at6native12_GLOBAL__N_124unique_dim_cuda_templateIfEESt5tupleIJNS8_6TensorESD_SD_EERKSD_lbbbEUlllE1_EE10hipError_tPvRmT2_T3_mT4_P12ihipStream_tbEUlT_E_NS1_11comp_targetILNS1_3genE9ELNS1_11target_archE1100ELNS1_3gpuE3ELNS1_3repE0EEENS1_30default_config_static_selectorELNS0_4arch9wavefront6targetE1EEEvT1_, .Lfunc_end917-_ZN7rocprim17ROCPRIM_400000_NS6detail17trampoline_kernelINS0_14default_configENS1_35adjacent_difference_config_selectorILb0ElEEZNS1_24adjacent_difference_implIS3_Lb0ELb0EPlS7_ZN2at6native12_GLOBAL__N_124unique_dim_cuda_templateIfEESt5tupleIJNS8_6TensorESD_SD_EERKSD_lbbbEUlllE1_EE10hipError_tPvRmT2_T3_mT4_P12ihipStream_tbEUlT_E_NS1_11comp_targetILNS1_3genE9ELNS1_11target_archE1100ELNS1_3gpuE3ELNS1_3repE0EEENS1_30default_config_static_selectorELNS0_4arch9wavefront6targetE1EEEvT1_
                                        ; -- End function
	.section	.AMDGPU.csdata,"",@progbits
; Kernel info:
; codeLenInByte = 0
; NumSgprs: 6
; NumVgprs: 0
; NumAgprs: 0
; TotalNumVgprs: 0
; ScratchSize: 0
; MemoryBound: 0
; FloatMode: 240
; IeeeMode: 1
; LDSByteSize: 0 bytes/workgroup (compile time only)
; SGPRBlocks: 0
; VGPRBlocks: 0
; NumSGPRsForWavesPerEU: 6
; NumVGPRsForWavesPerEU: 1
; AccumOffset: 4
; Occupancy: 8
; WaveLimiterHint : 0
; COMPUTE_PGM_RSRC2:SCRATCH_EN: 0
; COMPUTE_PGM_RSRC2:USER_SGPR: 2
; COMPUTE_PGM_RSRC2:TRAP_HANDLER: 0
; COMPUTE_PGM_RSRC2:TGID_X_EN: 1
; COMPUTE_PGM_RSRC2:TGID_Y_EN: 0
; COMPUTE_PGM_RSRC2:TGID_Z_EN: 0
; COMPUTE_PGM_RSRC2:TIDIG_COMP_CNT: 0
; COMPUTE_PGM_RSRC3_GFX90A:ACCUM_OFFSET: 0
; COMPUTE_PGM_RSRC3_GFX90A:TG_SPLIT: 0
	.section	.text._ZN7rocprim17ROCPRIM_400000_NS6detail17trampoline_kernelINS0_14default_configENS1_35adjacent_difference_config_selectorILb0ElEEZNS1_24adjacent_difference_implIS3_Lb0ELb0EPlS7_ZN2at6native12_GLOBAL__N_124unique_dim_cuda_templateIfEESt5tupleIJNS8_6TensorESD_SD_EERKSD_lbbbEUlllE1_EE10hipError_tPvRmT2_T3_mT4_P12ihipStream_tbEUlT_E_NS1_11comp_targetILNS1_3genE8ELNS1_11target_archE1030ELNS1_3gpuE2ELNS1_3repE0EEENS1_30default_config_static_selectorELNS0_4arch9wavefront6targetE1EEEvT1_,"axG",@progbits,_ZN7rocprim17ROCPRIM_400000_NS6detail17trampoline_kernelINS0_14default_configENS1_35adjacent_difference_config_selectorILb0ElEEZNS1_24adjacent_difference_implIS3_Lb0ELb0EPlS7_ZN2at6native12_GLOBAL__N_124unique_dim_cuda_templateIfEESt5tupleIJNS8_6TensorESD_SD_EERKSD_lbbbEUlllE1_EE10hipError_tPvRmT2_T3_mT4_P12ihipStream_tbEUlT_E_NS1_11comp_targetILNS1_3genE8ELNS1_11target_archE1030ELNS1_3gpuE2ELNS1_3repE0EEENS1_30default_config_static_selectorELNS0_4arch9wavefront6targetE1EEEvT1_,comdat
	.globl	_ZN7rocprim17ROCPRIM_400000_NS6detail17trampoline_kernelINS0_14default_configENS1_35adjacent_difference_config_selectorILb0ElEEZNS1_24adjacent_difference_implIS3_Lb0ELb0EPlS7_ZN2at6native12_GLOBAL__N_124unique_dim_cuda_templateIfEESt5tupleIJNS8_6TensorESD_SD_EERKSD_lbbbEUlllE1_EE10hipError_tPvRmT2_T3_mT4_P12ihipStream_tbEUlT_E_NS1_11comp_targetILNS1_3genE8ELNS1_11target_archE1030ELNS1_3gpuE2ELNS1_3repE0EEENS1_30default_config_static_selectorELNS0_4arch9wavefront6targetE1EEEvT1_ ; -- Begin function _ZN7rocprim17ROCPRIM_400000_NS6detail17trampoline_kernelINS0_14default_configENS1_35adjacent_difference_config_selectorILb0ElEEZNS1_24adjacent_difference_implIS3_Lb0ELb0EPlS7_ZN2at6native12_GLOBAL__N_124unique_dim_cuda_templateIfEESt5tupleIJNS8_6TensorESD_SD_EERKSD_lbbbEUlllE1_EE10hipError_tPvRmT2_T3_mT4_P12ihipStream_tbEUlT_E_NS1_11comp_targetILNS1_3genE8ELNS1_11target_archE1030ELNS1_3gpuE2ELNS1_3repE0EEENS1_30default_config_static_selectorELNS0_4arch9wavefront6targetE1EEEvT1_
	.p2align	8
	.type	_ZN7rocprim17ROCPRIM_400000_NS6detail17trampoline_kernelINS0_14default_configENS1_35adjacent_difference_config_selectorILb0ElEEZNS1_24adjacent_difference_implIS3_Lb0ELb0EPlS7_ZN2at6native12_GLOBAL__N_124unique_dim_cuda_templateIfEESt5tupleIJNS8_6TensorESD_SD_EERKSD_lbbbEUlllE1_EE10hipError_tPvRmT2_T3_mT4_P12ihipStream_tbEUlT_E_NS1_11comp_targetILNS1_3genE8ELNS1_11target_archE1030ELNS1_3gpuE2ELNS1_3repE0EEENS1_30default_config_static_selectorELNS0_4arch9wavefront6targetE1EEEvT1_,@function
_ZN7rocprim17ROCPRIM_400000_NS6detail17trampoline_kernelINS0_14default_configENS1_35adjacent_difference_config_selectorILb0ElEEZNS1_24adjacent_difference_implIS3_Lb0ELb0EPlS7_ZN2at6native12_GLOBAL__N_124unique_dim_cuda_templateIfEESt5tupleIJNS8_6TensorESD_SD_EERKSD_lbbbEUlllE1_EE10hipError_tPvRmT2_T3_mT4_P12ihipStream_tbEUlT_E_NS1_11comp_targetILNS1_3genE8ELNS1_11target_archE1030ELNS1_3gpuE2ELNS1_3repE0EEENS1_30default_config_static_selectorELNS0_4arch9wavefront6targetE1EEEvT1_: ; @_ZN7rocprim17ROCPRIM_400000_NS6detail17trampoline_kernelINS0_14default_configENS1_35adjacent_difference_config_selectorILb0ElEEZNS1_24adjacent_difference_implIS3_Lb0ELb0EPlS7_ZN2at6native12_GLOBAL__N_124unique_dim_cuda_templateIfEESt5tupleIJNS8_6TensorESD_SD_EERKSD_lbbbEUlllE1_EE10hipError_tPvRmT2_T3_mT4_P12ihipStream_tbEUlT_E_NS1_11comp_targetILNS1_3genE8ELNS1_11target_archE1030ELNS1_3gpuE2ELNS1_3repE0EEENS1_30default_config_static_selectorELNS0_4arch9wavefront6targetE1EEEvT1_
; %bb.0:
	.section	.rodata,"a",@progbits
	.p2align	6, 0x0
	.amdhsa_kernel _ZN7rocprim17ROCPRIM_400000_NS6detail17trampoline_kernelINS0_14default_configENS1_35adjacent_difference_config_selectorILb0ElEEZNS1_24adjacent_difference_implIS3_Lb0ELb0EPlS7_ZN2at6native12_GLOBAL__N_124unique_dim_cuda_templateIfEESt5tupleIJNS8_6TensorESD_SD_EERKSD_lbbbEUlllE1_EE10hipError_tPvRmT2_T3_mT4_P12ihipStream_tbEUlT_E_NS1_11comp_targetILNS1_3genE8ELNS1_11target_archE1030ELNS1_3gpuE2ELNS1_3repE0EEENS1_30default_config_static_selectorELNS0_4arch9wavefront6targetE1EEEvT1_
		.amdhsa_group_segment_fixed_size 0
		.amdhsa_private_segment_fixed_size 0
		.amdhsa_kernarg_size 64
		.amdhsa_user_sgpr_count 2
		.amdhsa_user_sgpr_dispatch_ptr 0
		.amdhsa_user_sgpr_queue_ptr 0
		.amdhsa_user_sgpr_kernarg_segment_ptr 1
		.amdhsa_user_sgpr_dispatch_id 0
		.amdhsa_user_sgpr_kernarg_preload_length 0
		.amdhsa_user_sgpr_kernarg_preload_offset 0
		.amdhsa_user_sgpr_private_segment_size 0
		.amdhsa_uses_dynamic_stack 0
		.amdhsa_enable_private_segment 0
		.amdhsa_system_sgpr_workgroup_id_x 1
		.amdhsa_system_sgpr_workgroup_id_y 0
		.amdhsa_system_sgpr_workgroup_id_z 0
		.amdhsa_system_sgpr_workgroup_info 0
		.amdhsa_system_vgpr_workitem_id 0
		.amdhsa_next_free_vgpr 1
		.amdhsa_next_free_sgpr 0
		.amdhsa_accum_offset 4
		.amdhsa_reserve_vcc 0
		.amdhsa_float_round_mode_32 0
		.amdhsa_float_round_mode_16_64 0
		.amdhsa_float_denorm_mode_32 3
		.amdhsa_float_denorm_mode_16_64 3
		.amdhsa_dx10_clamp 1
		.amdhsa_ieee_mode 1
		.amdhsa_fp16_overflow 0
		.amdhsa_tg_split 0
		.amdhsa_exception_fp_ieee_invalid_op 0
		.amdhsa_exception_fp_denorm_src 0
		.amdhsa_exception_fp_ieee_div_zero 0
		.amdhsa_exception_fp_ieee_overflow 0
		.amdhsa_exception_fp_ieee_underflow 0
		.amdhsa_exception_fp_ieee_inexact 0
		.amdhsa_exception_int_div_zero 0
	.end_amdhsa_kernel
	.section	.text._ZN7rocprim17ROCPRIM_400000_NS6detail17trampoline_kernelINS0_14default_configENS1_35adjacent_difference_config_selectorILb0ElEEZNS1_24adjacent_difference_implIS3_Lb0ELb0EPlS7_ZN2at6native12_GLOBAL__N_124unique_dim_cuda_templateIfEESt5tupleIJNS8_6TensorESD_SD_EERKSD_lbbbEUlllE1_EE10hipError_tPvRmT2_T3_mT4_P12ihipStream_tbEUlT_E_NS1_11comp_targetILNS1_3genE8ELNS1_11target_archE1030ELNS1_3gpuE2ELNS1_3repE0EEENS1_30default_config_static_selectorELNS0_4arch9wavefront6targetE1EEEvT1_,"axG",@progbits,_ZN7rocprim17ROCPRIM_400000_NS6detail17trampoline_kernelINS0_14default_configENS1_35adjacent_difference_config_selectorILb0ElEEZNS1_24adjacent_difference_implIS3_Lb0ELb0EPlS7_ZN2at6native12_GLOBAL__N_124unique_dim_cuda_templateIfEESt5tupleIJNS8_6TensorESD_SD_EERKSD_lbbbEUlllE1_EE10hipError_tPvRmT2_T3_mT4_P12ihipStream_tbEUlT_E_NS1_11comp_targetILNS1_3genE8ELNS1_11target_archE1030ELNS1_3gpuE2ELNS1_3repE0EEENS1_30default_config_static_selectorELNS0_4arch9wavefront6targetE1EEEvT1_,comdat
.Lfunc_end918:
	.size	_ZN7rocprim17ROCPRIM_400000_NS6detail17trampoline_kernelINS0_14default_configENS1_35adjacent_difference_config_selectorILb0ElEEZNS1_24adjacent_difference_implIS3_Lb0ELb0EPlS7_ZN2at6native12_GLOBAL__N_124unique_dim_cuda_templateIfEESt5tupleIJNS8_6TensorESD_SD_EERKSD_lbbbEUlllE1_EE10hipError_tPvRmT2_T3_mT4_P12ihipStream_tbEUlT_E_NS1_11comp_targetILNS1_3genE8ELNS1_11target_archE1030ELNS1_3gpuE2ELNS1_3repE0EEENS1_30default_config_static_selectorELNS0_4arch9wavefront6targetE1EEEvT1_, .Lfunc_end918-_ZN7rocprim17ROCPRIM_400000_NS6detail17trampoline_kernelINS0_14default_configENS1_35adjacent_difference_config_selectorILb0ElEEZNS1_24adjacent_difference_implIS3_Lb0ELb0EPlS7_ZN2at6native12_GLOBAL__N_124unique_dim_cuda_templateIfEESt5tupleIJNS8_6TensorESD_SD_EERKSD_lbbbEUlllE1_EE10hipError_tPvRmT2_T3_mT4_P12ihipStream_tbEUlT_E_NS1_11comp_targetILNS1_3genE8ELNS1_11target_archE1030ELNS1_3gpuE2ELNS1_3repE0EEENS1_30default_config_static_selectorELNS0_4arch9wavefront6targetE1EEEvT1_
                                        ; -- End function
	.section	.AMDGPU.csdata,"",@progbits
; Kernel info:
; codeLenInByte = 0
; NumSgprs: 6
; NumVgprs: 0
; NumAgprs: 0
; TotalNumVgprs: 0
; ScratchSize: 0
; MemoryBound: 0
; FloatMode: 240
; IeeeMode: 1
; LDSByteSize: 0 bytes/workgroup (compile time only)
; SGPRBlocks: 0
; VGPRBlocks: 0
; NumSGPRsForWavesPerEU: 6
; NumVGPRsForWavesPerEU: 1
; AccumOffset: 4
; Occupancy: 8
; WaveLimiterHint : 0
; COMPUTE_PGM_RSRC2:SCRATCH_EN: 0
; COMPUTE_PGM_RSRC2:USER_SGPR: 2
; COMPUTE_PGM_RSRC2:TRAP_HANDLER: 0
; COMPUTE_PGM_RSRC2:TGID_X_EN: 1
; COMPUTE_PGM_RSRC2:TGID_Y_EN: 0
; COMPUTE_PGM_RSRC2:TGID_Z_EN: 0
; COMPUTE_PGM_RSRC2:TIDIG_COMP_CNT: 0
; COMPUTE_PGM_RSRC3_GFX90A:ACCUM_OFFSET: 0
; COMPUTE_PGM_RSRC3_GFX90A:TG_SPLIT: 0
	.section	.text._ZN7rocprim17ROCPRIM_400000_NS6detail17trampoline_kernelINS0_14default_configENS1_25transform_config_selectorIlLb0EEEZNS1_14transform_implILb0ES3_S5_NS0_18transform_iteratorINS0_17counting_iteratorImlEEZNS1_24adjacent_difference_implIS3_Lb1ELb0EPlSB_ZN2at6native12_GLOBAL__N_124unique_dim_cuda_templateIfEESt5tupleIJNSC_6TensorESH_SH_EERKSH_lbbbEUlllE1_EE10hipError_tPvRmT2_T3_mT4_P12ihipStream_tbEUlmE_lEESB_NS0_8identityIvEEEESM_SP_SQ_mSR_ST_bEUlT_E_NS1_11comp_targetILNS1_3genE0ELNS1_11target_archE4294967295ELNS1_3gpuE0ELNS1_3repE0EEENS1_30default_config_static_selectorELNS0_4arch9wavefront6targetE1EEEvT1_,"axG",@progbits,_ZN7rocprim17ROCPRIM_400000_NS6detail17trampoline_kernelINS0_14default_configENS1_25transform_config_selectorIlLb0EEEZNS1_14transform_implILb0ES3_S5_NS0_18transform_iteratorINS0_17counting_iteratorImlEEZNS1_24adjacent_difference_implIS3_Lb1ELb0EPlSB_ZN2at6native12_GLOBAL__N_124unique_dim_cuda_templateIfEESt5tupleIJNSC_6TensorESH_SH_EERKSH_lbbbEUlllE1_EE10hipError_tPvRmT2_T3_mT4_P12ihipStream_tbEUlmE_lEESB_NS0_8identityIvEEEESM_SP_SQ_mSR_ST_bEUlT_E_NS1_11comp_targetILNS1_3genE0ELNS1_11target_archE4294967295ELNS1_3gpuE0ELNS1_3repE0EEENS1_30default_config_static_selectorELNS0_4arch9wavefront6targetE1EEEvT1_,comdat
	.globl	_ZN7rocprim17ROCPRIM_400000_NS6detail17trampoline_kernelINS0_14default_configENS1_25transform_config_selectorIlLb0EEEZNS1_14transform_implILb0ES3_S5_NS0_18transform_iteratorINS0_17counting_iteratorImlEEZNS1_24adjacent_difference_implIS3_Lb1ELb0EPlSB_ZN2at6native12_GLOBAL__N_124unique_dim_cuda_templateIfEESt5tupleIJNSC_6TensorESH_SH_EERKSH_lbbbEUlllE1_EE10hipError_tPvRmT2_T3_mT4_P12ihipStream_tbEUlmE_lEESB_NS0_8identityIvEEEESM_SP_SQ_mSR_ST_bEUlT_E_NS1_11comp_targetILNS1_3genE0ELNS1_11target_archE4294967295ELNS1_3gpuE0ELNS1_3repE0EEENS1_30default_config_static_selectorELNS0_4arch9wavefront6targetE1EEEvT1_ ; -- Begin function _ZN7rocprim17ROCPRIM_400000_NS6detail17trampoline_kernelINS0_14default_configENS1_25transform_config_selectorIlLb0EEEZNS1_14transform_implILb0ES3_S5_NS0_18transform_iteratorINS0_17counting_iteratorImlEEZNS1_24adjacent_difference_implIS3_Lb1ELb0EPlSB_ZN2at6native12_GLOBAL__N_124unique_dim_cuda_templateIfEESt5tupleIJNSC_6TensorESH_SH_EERKSH_lbbbEUlllE1_EE10hipError_tPvRmT2_T3_mT4_P12ihipStream_tbEUlmE_lEESB_NS0_8identityIvEEEESM_SP_SQ_mSR_ST_bEUlT_E_NS1_11comp_targetILNS1_3genE0ELNS1_11target_archE4294967295ELNS1_3gpuE0ELNS1_3repE0EEENS1_30default_config_static_selectorELNS0_4arch9wavefront6targetE1EEEvT1_
	.p2align	8
	.type	_ZN7rocprim17ROCPRIM_400000_NS6detail17trampoline_kernelINS0_14default_configENS1_25transform_config_selectorIlLb0EEEZNS1_14transform_implILb0ES3_S5_NS0_18transform_iteratorINS0_17counting_iteratorImlEEZNS1_24adjacent_difference_implIS3_Lb1ELb0EPlSB_ZN2at6native12_GLOBAL__N_124unique_dim_cuda_templateIfEESt5tupleIJNSC_6TensorESH_SH_EERKSH_lbbbEUlllE1_EE10hipError_tPvRmT2_T3_mT4_P12ihipStream_tbEUlmE_lEESB_NS0_8identityIvEEEESM_SP_SQ_mSR_ST_bEUlT_E_NS1_11comp_targetILNS1_3genE0ELNS1_11target_archE4294967295ELNS1_3gpuE0ELNS1_3repE0EEENS1_30default_config_static_selectorELNS0_4arch9wavefront6targetE1EEEvT1_,@function
_ZN7rocprim17ROCPRIM_400000_NS6detail17trampoline_kernelINS0_14default_configENS1_25transform_config_selectorIlLb0EEEZNS1_14transform_implILb0ES3_S5_NS0_18transform_iteratorINS0_17counting_iteratorImlEEZNS1_24adjacent_difference_implIS3_Lb1ELb0EPlSB_ZN2at6native12_GLOBAL__N_124unique_dim_cuda_templateIfEESt5tupleIJNSC_6TensorESH_SH_EERKSH_lbbbEUlllE1_EE10hipError_tPvRmT2_T3_mT4_P12ihipStream_tbEUlmE_lEESB_NS0_8identityIvEEEESM_SP_SQ_mSR_ST_bEUlT_E_NS1_11comp_targetILNS1_3genE0ELNS1_11target_archE4294967295ELNS1_3gpuE0ELNS1_3repE0EEENS1_30default_config_static_selectorELNS0_4arch9wavefront6targetE1EEEvT1_: ; @_ZN7rocprim17ROCPRIM_400000_NS6detail17trampoline_kernelINS0_14default_configENS1_25transform_config_selectorIlLb0EEEZNS1_14transform_implILb0ES3_S5_NS0_18transform_iteratorINS0_17counting_iteratorImlEEZNS1_24adjacent_difference_implIS3_Lb1ELb0EPlSB_ZN2at6native12_GLOBAL__N_124unique_dim_cuda_templateIfEESt5tupleIJNSC_6TensorESH_SH_EERKSH_lbbbEUlllE1_EE10hipError_tPvRmT2_T3_mT4_P12ihipStream_tbEUlmE_lEESB_NS0_8identityIvEEEESM_SP_SQ_mSR_ST_bEUlT_E_NS1_11comp_targetILNS1_3genE0ELNS1_11target_archE4294967295ELNS1_3gpuE0ELNS1_3repE0EEENS1_30default_config_static_selectorELNS0_4arch9wavefront6targetE1EEEvT1_
; %bb.0:
	.section	.rodata,"a",@progbits
	.p2align	6, 0x0
	.amdhsa_kernel _ZN7rocprim17ROCPRIM_400000_NS6detail17trampoline_kernelINS0_14default_configENS1_25transform_config_selectorIlLb0EEEZNS1_14transform_implILb0ES3_S5_NS0_18transform_iteratorINS0_17counting_iteratorImlEEZNS1_24adjacent_difference_implIS3_Lb1ELb0EPlSB_ZN2at6native12_GLOBAL__N_124unique_dim_cuda_templateIfEESt5tupleIJNSC_6TensorESH_SH_EERKSH_lbbbEUlllE1_EE10hipError_tPvRmT2_T3_mT4_P12ihipStream_tbEUlmE_lEESB_NS0_8identityIvEEEESM_SP_SQ_mSR_ST_bEUlT_E_NS1_11comp_targetILNS1_3genE0ELNS1_11target_archE4294967295ELNS1_3gpuE0ELNS1_3repE0EEENS1_30default_config_static_selectorELNS0_4arch9wavefront6targetE1EEEvT1_
		.amdhsa_group_segment_fixed_size 0
		.amdhsa_private_segment_fixed_size 0
		.amdhsa_kernarg_size 56
		.amdhsa_user_sgpr_count 2
		.amdhsa_user_sgpr_dispatch_ptr 0
		.amdhsa_user_sgpr_queue_ptr 0
		.amdhsa_user_sgpr_kernarg_segment_ptr 1
		.amdhsa_user_sgpr_dispatch_id 0
		.amdhsa_user_sgpr_kernarg_preload_length 0
		.amdhsa_user_sgpr_kernarg_preload_offset 0
		.amdhsa_user_sgpr_private_segment_size 0
		.amdhsa_uses_dynamic_stack 0
		.amdhsa_enable_private_segment 0
		.amdhsa_system_sgpr_workgroup_id_x 1
		.amdhsa_system_sgpr_workgroup_id_y 0
		.amdhsa_system_sgpr_workgroup_id_z 0
		.amdhsa_system_sgpr_workgroup_info 0
		.amdhsa_system_vgpr_workitem_id 0
		.amdhsa_next_free_vgpr 1
		.amdhsa_next_free_sgpr 0
		.amdhsa_accum_offset 4
		.amdhsa_reserve_vcc 0
		.amdhsa_float_round_mode_32 0
		.amdhsa_float_round_mode_16_64 0
		.amdhsa_float_denorm_mode_32 3
		.amdhsa_float_denorm_mode_16_64 3
		.amdhsa_dx10_clamp 1
		.amdhsa_ieee_mode 1
		.amdhsa_fp16_overflow 0
		.amdhsa_tg_split 0
		.amdhsa_exception_fp_ieee_invalid_op 0
		.amdhsa_exception_fp_denorm_src 0
		.amdhsa_exception_fp_ieee_div_zero 0
		.amdhsa_exception_fp_ieee_overflow 0
		.amdhsa_exception_fp_ieee_underflow 0
		.amdhsa_exception_fp_ieee_inexact 0
		.amdhsa_exception_int_div_zero 0
	.end_amdhsa_kernel
	.section	.text._ZN7rocprim17ROCPRIM_400000_NS6detail17trampoline_kernelINS0_14default_configENS1_25transform_config_selectorIlLb0EEEZNS1_14transform_implILb0ES3_S5_NS0_18transform_iteratorINS0_17counting_iteratorImlEEZNS1_24adjacent_difference_implIS3_Lb1ELb0EPlSB_ZN2at6native12_GLOBAL__N_124unique_dim_cuda_templateIfEESt5tupleIJNSC_6TensorESH_SH_EERKSH_lbbbEUlllE1_EE10hipError_tPvRmT2_T3_mT4_P12ihipStream_tbEUlmE_lEESB_NS0_8identityIvEEEESM_SP_SQ_mSR_ST_bEUlT_E_NS1_11comp_targetILNS1_3genE0ELNS1_11target_archE4294967295ELNS1_3gpuE0ELNS1_3repE0EEENS1_30default_config_static_selectorELNS0_4arch9wavefront6targetE1EEEvT1_,"axG",@progbits,_ZN7rocprim17ROCPRIM_400000_NS6detail17trampoline_kernelINS0_14default_configENS1_25transform_config_selectorIlLb0EEEZNS1_14transform_implILb0ES3_S5_NS0_18transform_iteratorINS0_17counting_iteratorImlEEZNS1_24adjacent_difference_implIS3_Lb1ELb0EPlSB_ZN2at6native12_GLOBAL__N_124unique_dim_cuda_templateIfEESt5tupleIJNSC_6TensorESH_SH_EERKSH_lbbbEUlllE1_EE10hipError_tPvRmT2_T3_mT4_P12ihipStream_tbEUlmE_lEESB_NS0_8identityIvEEEESM_SP_SQ_mSR_ST_bEUlT_E_NS1_11comp_targetILNS1_3genE0ELNS1_11target_archE4294967295ELNS1_3gpuE0ELNS1_3repE0EEENS1_30default_config_static_selectorELNS0_4arch9wavefront6targetE1EEEvT1_,comdat
.Lfunc_end919:
	.size	_ZN7rocprim17ROCPRIM_400000_NS6detail17trampoline_kernelINS0_14default_configENS1_25transform_config_selectorIlLb0EEEZNS1_14transform_implILb0ES3_S5_NS0_18transform_iteratorINS0_17counting_iteratorImlEEZNS1_24adjacent_difference_implIS3_Lb1ELb0EPlSB_ZN2at6native12_GLOBAL__N_124unique_dim_cuda_templateIfEESt5tupleIJNSC_6TensorESH_SH_EERKSH_lbbbEUlllE1_EE10hipError_tPvRmT2_T3_mT4_P12ihipStream_tbEUlmE_lEESB_NS0_8identityIvEEEESM_SP_SQ_mSR_ST_bEUlT_E_NS1_11comp_targetILNS1_3genE0ELNS1_11target_archE4294967295ELNS1_3gpuE0ELNS1_3repE0EEENS1_30default_config_static_selectorELNS0_4arch9wavefront6targetE1EEEvT1_, .Lfunc_end919-_ZN7rocprim17ROCPRIM_400000_NS6detail17trampoline_kernelINS0_14default_configENS1_25transform_config_selectorIlLb0EEEZNS1_14transform_implILb0ES3_S5_NS0_18transform_iteratorINS0_17counting_iteratorImlEEZNS1_24adjacent_difference_implIS3_Lb1ELb0EPlSB_ZN2at6native12_GLOBAL__N_124unique_dim_cuda_templateIfEESt5tupleIJNSC_6TensorESH_SH_EERKSH_lbbbEUlllE1_EE10hipError_tPvRmT2_T3_mT4_P12ihipStream_tbEUlmE_lEESB_NS0_8identityIvEEEESM_SP_SQ_mSR_ST_bEUlT_E_NS1_11comp_targetILNS1_3genE0ELNS1_11target_archE4294967295ELNS1_3gpuE0ELNS1_3repE0EEENS1_30default_config_static_selectorELNS0_4arch9wavefront6targetE1EEEvT1_
                                        ; -- End function
	.section	.AMDGPU.csdata,"",@progbits
; Kernel info:
; codeLenInByte = 0
; NumSgprs: 6
; NumVgprs: 0
; NumAgprs: 0
; TotalNumVgprs: 0
; ScratchSize: 0
; MemoryBound: 0
; FloatMode: 240
; IeeeMode: 1
; LDSByteSize: 0 bytes/workgroup (compile time only)
; SGPRBlocks: 0
; VGPRBlocks: 0
; NumSGPRsForWavesPerEU: 6
; NumVGPRsForWavesPerEU: 1
; AccumOffset: 4
; Occupancy: 8
; WaveLimiterHint : 0
; COMPUTE_PGM_RSRC2:SCRATCH_EN: 0
; COMPUTE_PGM_RSRC2:USER_SGPR: 2
; COMPUTE_PGM_RSRC2:TRAP_HANDLER: 0
; COMPUTE_PGM_RSRC2:TGID_X_EN: 1
; COMPUTE_PGM_RSRC2:TGID_Y_EN: 0
; COMPUTE_PGM_RSRC2:TGID_Z_EN: 0
; COMPUTE_PGM_RSRC2:TIDIG_COMP_CNT: 0
; COMPUTE_PGM_RSRC3_GFX90A:ACCUM_OFFSET: 0
; COMPUTE_PGM_RSRC3_GFX90A:TG_SPLIT: 0
	.section	.text._ZN7rocprim17ROCPRIM_400000_NS6detail17trampoline_kernelINS0_14default_configENS1_25transform_config_selectorIlLb0EEEZNS1_14transform_implILb0ES3_S5_NS0_18transform_iteratorINS0_17counting_iteratorImlEEZNS1_24adjacent_difference_implIS3_Lb1ELb0EPlSB_ZN2at6native12_GLOBAL__N_124unique_dim_cuda_templateIfEESt5tupleIJNSC_6TensorESH_SH_EERKSH_lbbbEUlllE1_EE10hipError_tPvRmT2_T3_mT4_P12ihipStream_tbEUlmE_lEESB_NS0_8identityIvEEEESM_SP_SQ_mSR_ST_bEUlT_E_NS1_11comp_targetILNS1_3genE5ELNS1_11target_archE942ELNS1_3gpuE9ELNS1_3repE0EEENS1_30default_config_static_selectorELNS0_4arch9wavefront6targetE1EEEvT1_,"axG",@progbits,_ZN7rocprim17ROCPRIM_400000_NS6detail17trampoline_kernelINS0_14default_configENS1_25transform_config_selectorIlLb0EEEZNS1_14transform_implILb0ES3_S5_NS0_18transform_iteratorINS0_17counting_iteratorImlEEZNS1_24adjacent_difference_implIS3_Lb1ELb0EPlSB_ZN2at6native12_GLOBAL__N_124unique_dim_cuda_templateIfEESt5tupleIJNSC_6TensorESH_SH_EERKSH_lbbbEUlllE1_EE10hipError_tPvRmT2_T3_mT4_P12ihipStream_tbEUlmE_lEESB_NS0_8identityIvEEEESM_SP_SQ_mSR_ST_bEUlT_E_NS1_11comp_targetILNS1_3genE5ELNS1_11target_archE942ELNS1_3gpuE9ELNS1_3repE0EEENS1_30default_config_static_selectorELNS0_4arch9wavefront6targetE1EEEvT1_,comdat
	.globl	_ZN7rocprim17ROCPRIM_400000_NS6detail17trampoline_kernelINS0_14default_configENS1_25transform_config_selectorIlLb0EEEZNS1_14transform_implILb0ES3_S5_NS0_18transform_iteratorINS0_17counting_iteratorImlEEZNS1_24adjacent_difference_implIS3_Lb1ELb0EPlSB_ZN2at6native12_GLOBAL__N_124unique_dim_cuda_templateIfEESt5tupleIJNSC_6TensorESH_SH_EERKSH_lbbbEUlllE1_EE10hipError_tPvRmT2_T3_mT4_P12ihipStream_tbEUlmE_lEESB_NS0_8identityIvEEEESM_SP_SQ_mSR_ST_bEUlT_E_NS1_11comp_targetILNS1_3genE5ELNS1_11target_archE942ELNS1_3gpuE9ELNS1_3repE0EEENS1_30default_config_static_selectorELNS0_4arch9wavefront6targetE1EEEvT1_ ; -- Begin function _ZN7rocprim17ROCPRIM_400000_NS6detail17trampoline_kernelINS0_14default_configENS1_25transform_config_selectorIlLb0EEEZNS1_14transform_implILb0ES3_S5_NS0_18transform_iteratorINS0_17counting_iteratorImlEEZNS1_24adjacent_difference_implIS3_Lb1ELb0EPlSB_ZN2at6native12_GLOBAL__N_124unique_dim_cuda_templateIfEESt5tupleIJNSC_6TensorESH_SH_EERKSH_lbbbEUlllE1_EE10hipError_tPvRmT2_T3_mT4_P12ihipStream_tbEUlmE_lEESB_NS0_8identityIvEEEESM_SP_SQ_mSR_ST_bEUlT_E_NS1_11comp_targetILNS1_3genE5ELNS1_11target_archE942ELNS1_3gpuE9ELNS1_3repE0EEENS1_30default_config_static_selectorELNS0_4arch9wavefront6targetE1EEEvT1_
	.p2align	8
	.type	_ZN7rocprim17ROCPRIM_400000_NS6detail17trampoline_kernelINS0_14default_configENS1_25transform_config_selectorIlLb0EEEZNS1_14transform_implILb0ES3_S5_NS0_18transform_iteratorINS0_17counting_iteratorImlEEZNS1_24adjacent_difference_implIS3_Lb1ELb0EPlSB_ZN2at6native12_GLOBAL__N_124unique_dim_cuda_templateIfEESt5tupleIJNSC_6TensorESH_SH_EERKSH_lbbbEUlllE1_EE10hipError_tPvRmT2_T3_mT4_P12ihipStream_tbEUlmE_lEESB_NS0_8identityIvEEEESM_SP_SQ_mSR_ST_bEUlT_E_NS1_11comp_targetILNS1_3genE5ELNS1_11target_archE942ELNS1_3gpuE9ELNS1_3repE0EEENS1_30default_config_static_selectorELNS0_4arch9wavefront6targetE1EEEvT1_,@function
_ZN7rocprim17ROCPRIM_400000_NS6detail17trampoline_kernelINS0_14default_configENS1_25transform_config_selectorIlLb0EEEZNS1_14transform_implILb0ES3_S5_NS0_18transform_iteratorINS0_17counting_iteratorImlEEZNS1_24adjacent_difference_implIS3_Lb1ELb0EPlSB_ZN2at6native12_GLOBAL__N_124unique_dim_cuda_templateIfEESt5tupleIJNSC_6TensorESH_SH_EERKSH_lbbbEUlllE1_EE10hipError_tPvRmT2_T3_mT4_P12ihipStream_tbEUlmE_lEESB_NS0_8identityIvEEEESM_SP_SQ_mSR_ST_bEUlT_E_NS1_11comp_targetILNS1_3genE5ELNS1_11target_archE942ELNS1_3gpuE9ELNS1_3repE0EEENS1_30default_config_static_selectorELNS0_4arch9wavefront6targetE1EEEvT1_: ; @_ZN7rocprim17ROCPRIM_400000_NS6detail17trampoline_kernelINS0_14default_configENS1_25transform_config_selectorIlLb0EEEZNS1_14transform_implILb0ES3_S5_NS0_18transform_iteratorINS0_17counting_iteratorImlEEZNS1_24adjacent_difference_implIS3_Lb1ELb0EPlSB_ZN2at6native12_GLOBAL__N_124unique_dim_cuda_templateIfEESt5tupleIJNSC_6TensorESH_SH_EERKSH_lbbbEUlllE1_EE10hipError_tPvRmT2_T3_mT4_P12ihipStream_tbEUlmE_lEESB_NS0_8identityIvEEEESM_SP_SQ_mSR_ST_bEUlT_E_NS1_11comp_targetILNS1_3genE5ELNS1_11target_archE942ELNS1_3gpuE9ELNS1_3repE0EEENS1_30default_config_static_selectorELNS0_4arch9wavefront6targetE1EEEvT1_
; %bb.0:
	s_load_dwordx4 s[8:11], s[0:1], 0x18
	s_load_dwordx2 s[12:13], s[0:1], 0x28
	s_load_dwordx4 s[4:7], s[0:1], 0x0
	s_load_dword s14, s[0:1], 0x10
	s_load_dword s3, s[0:1], 0x38
	s_waitcnt lgkmcnt(0)
	s_lshl_b64 s[0:1], s[8:9], 3
	s_add_u32 s11, s12, s0
	s_addc_u32 s16, s13, s1
	s_lshl_b32 s12, s2, 10
	s_add_i32 s3, s3, -1
	s_add_u32 s0, s4, s12
	s_addc_u32 s1, s5, 0
	s_add_u32 s4, s0, s8
	s_addc_u32 s5, s1, s9
	s_mov_b32 s13, 0
	s_cmp_lg_u32 s2, s3
	v_lshlrev_b32_e32 v6, 3, v0
	s_cbranch_scc0 .LBB920_2
; %bb.1:
	v_mov_b32_e32 v1, 0
	v_lshl_add_u64 v[2:3], s[4:5], 0, v[0:1]
	v_mad_u64_u32 v[4:5], s[0:1], v2, s14, 0
	v_mov_b32_e32 v2, v5
	v_mad_u64_u32 v[2:3], s[0:1], v3, s14, v[2:3]
	s_mov_b32 s15, s13
	v_mov_b32_e32 v5, v2
	v_lshl_add_u64 v[2:3], v[4:5], 3, s[6:7]
	s_lshl_b64 s[0:1], s[14:15], 12
	global_load_dwordx2 v[10:11], v[2:3], off
	v_lshl_add_u64 v[2:3], v[2:3], 0, s[0:1]
	global_load_dwordx2 v[4:5], v[2:3], off
	s_lshl_b64 s[2:3], s[12:13], 3
	s_add_u32 s2, s11, s2
	v_mov_b32_e32 v7, v1
	s_addc_u32 s3, s16, s3
	v_lshl_add_u64 v[8:9], s[2:3], 0, v[6:7]
	s_waitcnt vmcnt(1)
	global_store_dwordx2 v6, v[10:11], s[2:3]
	s_mov_b64 s[2:3], -1
	s_cbranch_execz .LBB920_3
	s_branch .LBB920_12
.LBB920_2:
	s_mov_b64 s[2:3], 0
                                        ; implicit-def: $vgpr4_vgpr5
                                        ; implicit-def: $vgpr8_vgpr9
.LBB920_3:
	s_sub_i32 s8, s10, s12
	v_cmp_gt_u32_e32 vcc, s8, v0
                                        ; implicit-def: $vgpr2_vgpr3_vgpr4_vgpr5
	s_and_saveexec_b64 s[0:1], vcc
	s_cbranch_execz .LBB920_5
; %bb.4:
	v_mov_b32_e32 v1, 0
	v_lshl_add_u64 v[2:3], s[4:5], 0, v[0:1]
	s_waitcnt vmcnt(1)
	v_mad_u64_u32 v[4:5], s[18:19], v2, s14, 0
	v_mov_b32_e32 v2, v5
	v_mad_u64_u32 v[2:3], s[18:19], v3, s14, v[2:3]
	v_mov_b32_e32 v5, v2
	v_lshl_add_u64 v[2:3], v[4:5], 3, s[6:7]
	global_load_dwordx2 v[2:3], v[2:3], off
.LBB920_5:
	s_or_b64 exec, exec, s[0:1]
	v_or_b32_e32 v0, 0x200, v0
	v_cmp_gt_u32_e64 s[0:1], s8, v0
	s_and_saveexec_b64 s[8:9], s[0:1]
	s_cbranch_execz .LBB920_7
; %bb.6:
	v_mov_b32_e32 v1, 0
	v_lshl_add_u64 v[0:1], s[4:5], 0, v[0:1]
	s_waitcnt vmcnt(1)
	v_mad_u64_u32 v[4:5], s[4:5], v0, s14, 0
	v_mov_b32_e32 v0, v5
	v_mad_u64_u32 v[0:1], s[4:5], v1, s14, v[0:1]
	v_mov_b32_e32 v5, v0
	v_lshl_add_u64 v[0:1], v[4:5], 3, s[6:7]
	global_load_dwordx2 v[4:5], v[0:1], off
.LBB920_7:
	s_or_b64 exec, exec, s[8:9]
	s_lshl_b64 s[4:5], s[12:13], 3
	s_add_u32 s4, s11, s4
	s_addc_u32 s5, s16, s5
	v_mov_b32_e32 v7, 0
	v_lshl_add_u64 v[8:9], s[4:5], 0, v[6:7]
	s_and_saveexec_b64 s[4:5], vcc
	s_cbranch_execz .LBB920_9
; %bb.8:
	s_waitcnt vmcnt(0)
	global_store_dwordx2 v[8:9], v[2:3], off
.LBB920_9:
	s_or_b64 exec, exec, s[4:5]
	s_and_saveexec_b64 s[4:5], s[0:1]
; %bb.10:
	s_or_b64 s[2:3], s[2:3], exec
; %bb.11:
	s_or_b64 exec, exec, s[4:5]
.LBB920_12:
	s_and_saveexec_b64 s[0:1], s[2:3]
	s_cbranch_execnz .LBB920_14
; %bb.13:
	s_endpgm
.LBB920_14:
	v_add_co_u32_e32 v0, vcc, 0x1000, v8
	s_nop 1
	v_addc_co_u32_e32 v1, vcc, 0, v9, vcc
	s_waitcnt vmcnt(0)
	global_store_dwordx2 v[0:1], v[4:5], off
	s_endpgm
	.section	.rodata,"a",@progbits
	.p2align	6, 0x0
	.amdhsa_kernel _ZN7rocprim17ROCPRIM_400000_NS6detail17trampoline_kernelINS0_14default_configENS1_25transform_config_selectorIlLb0EEEZNS1_14transform_implILb0ES3_S5_NS0_18transform_iteratorINS0_17counting_iteratorImlEEZNS1_24adjacent_difference_implIS3_Lb1ELb0EPlSB_ZN2at6native12_GLOBAL__N_124unique_dim_cuda_templateIfEESt5tupleIJNSC_6TensorESH_SH_EERKSH_lbbbEUlllE1_EE10hipError_tPvRmT2_T3_mT4_P12ihipStream_tbEUlmE_lEESB_NS0_8identityIvEEEESM_SP_SQ_mSR_ST_bEUlT_E_NS1_11comp_targetILNS1_3genE5ELNS1_11target_archE942ELNS1_3gpuE9ELNS1_3repE0EEENS1_30default_config_static_selectorELNS0_4arch9wavefront6targetE1EEEvT1_
		.amdhsa_group_segment_fixed_size 0
		.amdhsa_private_segment_fixed_size 0
		.amdhsa_kernarg_size 312
		.amdhsa_user_sgpr_count 2
		.amdhsa_user_sgpr_dispatch_ptr 0
		.amdhsa_user_sgpr_queue_ptr 0
		.amdhsa_user_sgpr_kernarg_segment_ptr 1
		.amdhsa_user_sgpr_dispatch_id 0
		.amdhsa_user_sgpr_kernarg_preload_length 0
		.amdhsa_user_sgpr_kernarg_preload_offset 0
		.amdhsa_user_sgpr_private_segment_size 0
		.amdhsa_uses_dynamic_stack 0
		.amdhsa_enable_private_segment 0
		.amdhsa_system_sgpr_workgroup_id_x 1
		.amdhsa_system_sgpr_workgroup_id_y 0
		.amdhsa_system_sgpr_workgroup_id_z 0
		.amdhsa_system_sgpr_workgroup_info 0
		.amdhsa_system_vgpr_workitem_id 0
		.amdhsa_next_free_vgpr 12
		.amdhsa_next_free_sgpr 20
		.amdhsa_accum_offset 12
		.amdhsa_reserve_vcc 1
		.amdhsa_float_round_mode_32 0
		.amdhsa_float_round_mode_16_64 0
		.amdhsa_float_denorm_mode_32 3
		.amdhsa_float_denorm_mode_16_64 3
		.amdhsa_dx10_clamp 1
		.amdhsa_ieee_mode 1
		.amdhsa_fp16_overflow 0
		.amdhsa_tg_split 0
		.amdhsa_exception_fp_ieee_invalid_op 0
		.amdhsa_exception_fp_denorm_src 0
		.amdhsa_exception_fp_ieee_div_zero 0
		.amdhsa_exception_fp_ieee_overflow 0
		.amdhsa_exception_fp_ieee_underflow 0
		.amdhsa_exception_fp_ieee_inexact 0
		.amdhsa_exception_int_div_zero 0
	.end_amdhsa_kernel
	.section	.text._ZN7rocprim17ROCPRIM_400000_NS6detail17trampoline_kernelINS0_14default_configENS1_25transform_config_selectorIlLb0EEEZNS1_14transform_implILb0ES3_S5_NS0_18transform_iteratorINS0_17counting_iteratorImlEEZNS1_24adjacent_difference_implIS3_Lb1ELb0EPlSB_ZN2at6native12_GLOBAL__N_124unique_dim_cuda_templateIfEESt5tupleIJNSC_6TensorESH_SH_EERKSH_lbbbEUlllE1_EE10hipError_tPvRmT2_T3_mT4_P12ihipStream_tbEUlmE_lEESB_NS0_8identityIvEEEESM_SP_SQ_mSR_ST_bEUlT_E_NS1_11comp_targetILNS1_3genE5ELNS1_11target_archE942ELNS1_3gpuE9ELNS1_3repE0EEENS1_30default_config_static_selectorELNS0_4arch9wavefront6targetE1EEEvT1_,"axG",@progbits,_ZN7rocprim17ROCPRIM_400000_NS6detail17trampoline_kernelINS0_14default_configENS1_25transform_config_selectorIlLb0EEEZNS1_14transform_implILb0ES3_S5_NS0_18transform_iteratorINS0_17counting_iteratorImlEEZNS1_24adjacent_difference_implIS3_Lb1ELb0EPlSB_ZN2at6native12_GLOBAL__N_124unique_dim_cuda_templateIfEESt5tupleIJNSC_6TensorESH_SH_EERKSH_lbbbEUlllE1_EE10hipError_tPvRmT2_T3_mT4_P12ihipStream_tbEUlmE_lEESB_NS0_8identityIvEEEESM_SP_SQ_mSR_ST_bEUlT_E_NS1_11comp_targetILNS1_3genE5ELNS1_11target_archE942ELNS1_3gpuE9ELNS1_3repE0EEENS1_30default_config_static_selectorELNS0_4arch9wavefront6targetE1EEEvT1_,comdat
.Lfunc_end920:
	.size	_ZN7rocprim17ROCPRIM_400000_NS6detail17trampoline_kernelINS0_14default_configENS1_25transform_config_selectorIlLb0EEEZNS1_14transform_implILb0ES3_S5_NS0_18transform_iteratorINS0_17counting_iteratorImlEEZNS1_24adjacent_difference_implIS3_Lb1ELb0EPlSB_ZN2at6native12_GLOBAL__N_124unique_dim_cuda_templateIfEESt5tupleIJNSC_6TensorESH_SH_EERKSH_lbbbEUlllE1_EE10hipError_tPvRmT2_T3_mT4_P12ihipStream_tbEUlmE_lEESB_NS0_8identityIvEEEESM_SP_SQ_mSR_ST_bEUlT_E_NS1_11comp_targetILNS1_3genE5ELNS1_11target_archE942ELNS1_3gpuE9ELNS1_3repE0EEENS1_30default_config_static_selectorELNS0_4arch9wavefront6targetE1EEEvT1_, .Lfunc_end920-_ZN7rocprim17ROCPRIM_400000_NS6detail17trampoline_kernelINS0_14default_configENS1_25transform_config_selectorIlLb0EEEZNS1_14transform_implILb0ES3_S5_NS0_18transform_iteratorINS0_17counting_iteratorImlEEZNS1_24adjacent_difference_implIS3_Lb1ELb0EPlSB_ZN2at6native12_GLOBAL__N_124unique_dim_cuda_templateIfEESt5tupleIJNSC_6TensorESH_SH_EERKSH_lbbbEUlllE1_EE10hipError_tPvRmT2_T3_mT4_P12ihipStream_tbEUlmE_lEESB_NS0_8identityIvEEEESM_SP_SQ_mSR_ST_bEUlT_E_NS1_11comp_targetILNS1_3genE5ELNS1_11target_archE942ELNS1_3gpuE9ELNS1_3repE0EEENS1_30default_config_static_selectorELNS0_4arch9wavefront6targetE1EEEvT1_
                                        ; -- End function
	.section	.AMDGPU.csdata,"",@progbits
; Kernel info:
; codeLenInByte = 488
; NumSgprs: 26
; NumVgprs: 12
; NumAgprs: 0
; TotalNumVgprs: 12
; ScratchSize: 0
; MemoryBound: 0
; FloatMode: 240
; IeeeMode: 1
; LDSByteSize: 0 bytes/workgroup (compile time only)
; SGPRBlocks: 3
; VGPRBlocks: 1
; NumSGPRsForWavesPerEU: 26
; NumVGPRsForWavesPerEU: 12
; AccumOffset: 12
; Occupancy: 8
; WaveLimiterHint : 0
; COMPUTE_PGM_RSRC2:SCRATCH_EN: 0
; COMPUTE_PGM_RSRC2:USER_SGPR: 2
; COMPUTE_PGM_RSRC2:TRAP_HANDLER: 0
; COMPUTE_PGM_RSRC2:TGID_X_EN: 1
; COMPUTE_PGM_RSRC2:TGID_Y_EN: 0
; COMPUTE_PGM_RSRC2:TGID_Z_EN: 0
; COMPUTE_PGM_RSRC2:TIDIG_COMP_CNT: 0
; COMPUTE_PGM_RSRC3_GFX90A:ACCUM_OFFSET: 2
; COMPUTE_PGM_RSRC3_GFX90A:TG_SPLIT: 0
	.section	.text._ZN7rocprim17ROCPRIM_400000_NS6detail17trampoline_kernelINS0_14default_configENS1_25transform_config_selectorIlLb0EEEZNS1_14transform_implILb0ES3_S5_NS0_18transform_iteratorINS0_17counting_iteratorImlEEZNS1_24adjacent_difference_implIS3_Lb1ELb0EPlSB_ZN2at6native12_GLOBAL__N_124unique_dim_cuda_templateIfEESt5tupleIJNSC_6TensorESH_SH_EERKSH_lbbbEUlllE1_EE10hipError_tPvRmT2_T3_mT4_P12ihipStream_tbEUlmE_lEESB_NS0_8identityIvEEEESM_SP_SQ_mSR_ST_bEUlT_E_NS1_11comp_targetILNS1_3genE4ELNS1_11target_archE910ELNS1_3gpuE8ELNS1_3repE0EEENS1_30default_config_static_selectorELNS0_4arch9wavefront6targetE1EEEvT1_,"axG",@progbits,_ZN7rocprim17ROCPRIM_400000_NS6detail17trampoline_kernelINS0_14default_configENS1_25transform_config_selectorIlLb0EEEZNS1_14transform_implILb0ES3_S5_NS0_18transform_iteratorINS0_17counting_iteratorImlEEZNS1_24adjacent_difference_implIS3_Lb1ELb0EPlSB_ZN2at6native12_GLOBAL__N_124unique_dim_cuda_templateIfEESt5tupleIJNSC_6TensorESH_SH_EERKSH_lbbbEUlllE1_EE10hipError_tPvRmT2_T3_mT4_P12ihipStream_tbEUlmE_lEESB_NS0_8identityIvEEEESM_SP_SQ_mSR_ST_bEUlT_E_NS1_11comp_targetILNS1_3genE4ELNS1_11target_archE910ELNS1_3gpuE8ELNS1_3repE0EEENS1_30default_config_static_selectorELNS0_4arch9wavefront6targetE1EEEvT1_,comdat
	.globl	_ZN7rocprim17ROCPRIM_400000_NS6detail17trampoline_kernelINS0_14default_configENS1_25transform_config_selectorIlLb0EEEZNS1_14transform_implILb0ES3_S5_NS0_18transform_iteratorINS0_17counting_iteratorImlEEZNS1_24adjacent_difference_implIS3_Lb1ELb0EPlSB_ZN2at6native12_GLOBAL__N_124unique_dim_cuda_templateIfEESt5tupleIJNSC_6TensorESH_SH_EERKSH_lbbbEUlllE1_EE10hipError_tPvRmT2_T3_mT4_P12ihipStream_tbEUlmE_lEESB_NS0_8identityIvEEEESM_SP_SQ_mSR_ST_bEUlT_E_NS1_11comp_targetILNS1_3genE4ELNS1_11target_archE910ELNS1_3gpuE8ELNS1_3repE0EEENS1_30default_config_static_selectorELNS0_4arch9wavefront6targetE1EEEvT1_ ; -- Begin function _ZN7rocprim17ROCPRIM_400000_NS6detail17trampoline_kernelINS0_14default_configENS1_25transform_config_selectorIlLb0EEEZNS1_14transform_implILb0ES3_S5_NS0_18transform_iteratorINS0_17counting_iteratorImlEEZNS1_24adjacent_difference_implIS3_Lb1ELb0EPlSB_ZN2at6native12_GLOBAL__N_124unique_dim_cuda_templateIfEESt5tupleIJNSC_6TensorESH_SH_EERKSH_lbbbEUlllE1_EE10hipError_tPvRmT2_T3_mT4_P12ihipStream_tbEUlmE_lEESB_NS0_8identityIvEEEESM_SP_SQ_mSR_ST_bEUlT_E_NS1_11comp_targetILNS1_3genE4ELNS1_11target_archE910ELNS1_3gpuE8ELNS1_3repE0EEENS1_30default_config_static_selectorELNS0_4arch9wavefront6targetE1EEEvT1_
	.p2align	8
	.type	_ZN7rocprim17ROCPRIM_400000_NS6detail17trampoline_kernelINS0_14default_configENS1_25transform_config_selectorIlLb0EEEZNS1_14transform_implILb0ES3_S5_NS0_18transform_iteratorINS0_17counting_iteratorImlEEZNS1_24adjacent_difference_implIS3_Lb1ELb0EPlSB_ZN2at6native12_GLOBAL__N_124unique_dim_cuda_templateIfEESt5tupleIJNSC_6TensorESH_SH_EERKSH_lbbbEUlllE1_EE10hipError_tPvRmT2_T3_mT4_P12ihipStream_tbEUlmE_lEESB_NS0_8identityIvEEEESM_SP_SQ_mSR_ST_bEUlT_E_NS1_11comp_targetILNS1_3genE4ELNS1_11target_archE910ELNS1_3gpuE8ELNS1_3repE0EEENS1_30default_config_static_selectorELNS0_4arch9wavefront6targetE1EEEvT1_,@function
_ZN7rocprim17ROCPRIM_400000_NS6detail17trampoline_kernelINS0_14default_configENS1_25transform_config_selectorIlLb0EEEZNS1_14transform_implILb0ES3_S5_NS0_18transform_iteratorINS0_17counting_iteratorImlEEZNS1_24adjacent_difference_implIS3_Lb1ELb0EPlSB_ZN2at6native12_GLOBAL__N_124unique_dim_cuda_templateIfEESt5tupleIJNSC_6TensorESH_SH_EERKSH_lbbbEUlllE1_EE10hipError_tPvRmT2_T3_mT4_P12ihipStream_tbEUlmE_lEESB_NS0_8identityIvEEEESM_SP_SQ_mSR_ST_bEUlT_E_NS1_11comp_targetILNS1_3genE4ELNS1_11target_archE910ELNS1_3gpuE8ELNS1_3repE0EEENS1_30default_config_static_selectorELNS0_4arch9wavefront6targetE1EEEvT1_: ; @_ZN7rocprim17ROCPRIM_400000_NS6detail17trampoline_kernelINS0_14default_configENS1_25transform_config_selectorIlLb0EEEZNS1_14transform_implILb0ES3_S5_NS0_18transform_iteratorINS0_17counting_iteratorImlEEZNS1_24adjacent_difference_implIS3_Lb1ELb0EPlSB_ZN2at6native12_GLOBAL__N_124unique_dim_cuda_templateIfEESt5tupleIJNSC_6TensorESH_SH_EERKSH_lbbbEUlllE1_EE10hipError_tPvRmT2_T3_mT4_P12ihipStream_tbEUlmE_lEESB_NS0_8identityIvEEEESM_SP_SQ_mSR_ST_bEUlT_E_NS1_11comp_targetILNS1_3genE4ELNS1_11target_archE910ELNS1_3gpuE8ELNS1_3repE0EEENS1_30default_config_static_selectorELNS0_4arch9wavefront6targetE1EEEvT1_
; %bb.0:
	.section	.rodata,"a",@progbits
	.p2align	6, 0x0
	.amdhsa_kernel _ZN7rocprim17ROCPRIM_400000_NS6detail17trampoline_kernelINS0_14default_configENS1_25transform_config_selectorIlLb0EEEZNS1_14transform_implILb0ES3_S5_NS0_18transform_iteratorINS0_17counting_iteratorImlEEZNS1_24adjacent_difference_implIS3_Lb1ELb0EPlSB_ZN2at6native12_GLOBAL__N_124unique_dim_cuda_templateIfEESt5tupleIJNSC_6TensorESH_SH_EERKSH_lbbbEUlllE1_EE10hipError_tPvRmT2_T3_mT4_P12ihipStream_tbEUlmE_lEESB_NS0_8identityIvEEEESM_SP_SQ_mSR_ST_bEUlT_E_NS1_11comp_targetILNS1_3genE4ELNS1_11target_archE910ELNS1_3gpuE8ELNS1_3repE0EEENS1_30default_config_static_selectorELNS0_4arch9wavefront6targetE1EEEvT1_
		.amdhsa_group_segment_fixed_size 0
		.amdhsa_private_segment_fixed_size 0
		.amdhsa_kernarg_size 56
		.amdhsa_user_sgpr_count 2
		.amdhsa_user_sgpr_dispatch_ptr 0
		.amdhsa_user_sgpr_queue_ptr 0
		.amdhsa_user_sgpr_kernarg_segment_ptr 1
		.amdhsa_user_sgpr_dispatch_id 0
		.amdhsa_user_sgpr_kernarg_preload_length 0
		.amdhsa_user_sgpr_kernarg_preload_offset 0
		.amdhsa_user_sgpr_private_segment_size 0
		.amdhsa_uses_dynamic_stack 0
		.amdhsa_enable_private_segment 0
		.amdhsa_system_sgpr_workgroup_id_x 1
		.amdhsa_system_sgpr_workgroup_id_y 0
		.amdhsa_system_sgpr_workgroup_id_z 0
		.amdhsa_system_sgpr_workgroup_info 0
		.amdhsa_system_vgpr_workitem_id 0
		.amdhsa_next_free_vgpr 1
		.amdhsa_next_free_sgpr 0
		.amdhsa_accum_offset 4
		.amdhsa_reserve_vcc 0
		.amdhsa_float_round_mode_32 0
		.amdhsa_float_round_mode_16_64 0
		.amdhsa_float_denorm_mode_32 3
		.amdhsa_float_denorm_mode_16_64 3
		.amdhsa_dx10_clamp 1
		.amdhsa_ieee_mode 1
		.amdhsa_fp16_overflow 0
		.amdhsa_tg_split 0
		.amdhsa_exception_fp_ieee_invalid_op 0
		.amdhsa_exception_fp_denorm_src 0
		.amdhsa_exception_fp_ieee_div_zero 0
		.amdhsa_exception_fp_ieee_overflow 0
		.amdhsa_exception_fp_ieee_underflow 0
		.amdhsa_exception_fp_ieee_inexact 0
		.amdhsa_exception_int_div_zero 0
	.end_amdhsa_kernel
	.section	.text._ZN7rocprim17ROCPRIM_400000_NS6detail17trampoline_kernelINS0_14default_configENS1_25transform_config_selectorIlLb0EEEZNS1_14transform_implILb0ES3_S5_NS0_18transform_iteratorINS0_17counting_iteratorImlEEZNS1_24adjacent_difference_implIS3_Lb1ELb0EPlSB_ZN2at6native12_GLOBAL__N_124unique_dim_cuda_templateIfEESt5tupleIJNSC_6TensorESH_SH_EERKSH_lbbbEUlllE1_EE10hipError_tPvRmT2_T3_mT4_P12ihipStream_tbEUlmE_lEESB_NS0_8identityIvEEEESM_SP_SQ_mSR_ST_bEUlT_E_NS1_11comp_targetILNS1_3genE4ELNS1_11target_archE910ELNS1_3gpuE8ELNS1_3repE0EEENS1_30default_config_static_selectorELNS0_4arch9wavefront6targetE1EEEvT1_,"axG",@progbits,_ZN7rocprim17ROCPRIM_400000_NS6detail17trampoline_kernelINS0_14default_configENS1_25transform_config_selectorIlLb0EEEZNS1_14transform_implILb0ES3_S5_NS0_18transform_iteratorINS0_17counting_iteratorImlEEZNS1_24adjacent_difference_implIS3_Lb1ELb0EPlSB_ZN2at6native12_GLOBAL__N_124unique_dim_cuda_templateIfEESt5tupleIJNSC_6TensorESH_SH_EERKSH_lbbbEUlllE1_EE10hipError_tPvRmT2_T3_mT4_P12ihipStream_tbEUlmE_lEESB_NS0_8identityIvEEEESM_SP_SQ_mSR_ST_bEUlT_E_NS1_11comp_targetILNS1_3genE4ELNS1_11target_archE910ELNS1_3gpuE8ELNS1_3repE0EEENS1_30default_config_static_selectorELNS0_4arch9wavefront6targetE1EEEvT1_,comdat
.Lfunc_end921:
	.size	_ZN7rocprim17ROCPRIM_400000_NS6detail17trampoline_kernelINS0_14default_configENS1_25transform_config_selectorIlLb0EEEZNS1_14transform_implILb0ES3_S5_NS0_18transform_iteratorINS0_17counting_iteratorImlEEZNS1_24adjacent_difference_implIS3_Lb1ELb0EPlSB_ZN2at6native12_GLOBAL__N_124unique_dim_cuda_templateIfEESt5tupleIJNSC_6TensorESH_SH_EERKSH_lbbbEUlllE1_EE10hipError_tPvRmT2_T3_mT4_P12ihipStream_tbEUlmE_lEESB_NS0_8identityIvEEEESM_SP_SQ_mSR_ST_bEUlT_E_NS1_11comp_targetILNS1_3genE4ELNS1_11target_archE910ELNS1_3gpuE8ELNS1_3repE0EEENS1_30default_config_static_selectorELNS0_4arch9wavefront6targetE1EEEvT1_, .Lfunc_end921-_ZN7rocprim17ROCPRIM_400000_NS6detail17trampoline_kernelINS0_14default_configENS1_25transform_config_selectorIlLb0EEEZNS1_14transform_implILb0ES3_S5_NS0_18transform_iteratorINS0_17counting_iteratorImlEEZNS1_24adjacent_difference_implIS3_Lb1ELb0EPlSB_ZN2at6native12_GLOBAL__N_124unique_dim_cuda_templateIfEESt5tupleIJNSC_6TensorESH_SH_EERKSH_lbbbEUlllE1_EE10hipError_tPvRmT2_T3_mT4_P12ihipStream_tbEUlmE_lEESB_NS0_8identityIvEEEESM_SP_SQ_mSR_ST_bEUlT_E_NS1_11comp_targetILNS1_3genE4ELNS1_11target_archE910ELNS1_3gpuE8ELNS1_3repE0EEENS1_30default_config_static_selectorELNS0_4arch9wavefront6targetE1EEEvT1_
                                        ; -- End function
	.section	.AMDGPU.csdata,"",@progbits
; Kernel info:
; codeLenInByte = 0
; NumSgprs: 6
; NumVgprs: 0
; NumAgprs: 0
; TotalNumVgprs: 0
; ScratchSize: 0
; MemoryBound: 0
; FloatMode: 240
; IeeeMode: 1
; LDSByteSize: 0 bytes/workgroup (compile time only)
; SGPRBlocks: 0
; VGPRBlocks: 0
; NumSGPRsForWavesPerEU: 6
; NumVGPRsForWavesPerEU: 1
; AccumOffset: 4
; Occupancy: 8
; WaveLimiterHint : 0
; COMPUTE_PGM_RSRC2:SCRATCH_EN: 0
; COMPUTE_PGM_RSRC2:USER_SGPR: 2
; COMPUTE_PGM_RSRC2:TRAP_HANDLER: 0
; COMPUTE_PGM_RSRC2:TGID_X_EN: 1
; COMPUTE_PGM_RSRC2:TGID_Y_EN: 0
; COMPUTE_PGM_RSRC2:TGID_Z_EN: 0
; COMPUTE_PGM_RSRC2:TIDIG_COMP_CNT: 0
; COMPUTE_PGM_RSRC3_GFX90A:ACCUM_OFFSET: 0
; COMPUTE_PGM_RSRC3_GFX90A:TG_SPLIT: 0
	.section	.text._ZN7rocprim17ROCPRIM_400000_NS6detail17trampoline_kernelINS0_14default_configENS1_25transform_config_selectorIlLb0EEEZNS1_14transform_implILb0ES3_S5_NS0_18transform_iteratorINS0_17counting_iteratorImlEEZNS1_24adjacent_difference_implIS3_Lb1ELb0EPlSB_ZN2at6native12_GLOBAL__N_124unique_dim_cuda_templateIfEESt5tupleIJNSC_6TensorESH_SH_EERKSH_lbbbEUlllE1_EE10hipError_tPvRmT2_T3_mT4_P12ihipStream_tbEUlmE_lEESB_NS0_8identityIvEEEESM_SP_SQ_mSR_ST_bEUlT_E_NS1_11comp_targetILNS1_3genE3ELNS1_11target_archE908ELNS1_3gpuE7ELNS1_3repE0EEENS1_30default_config_static_selectorELNS0_4arch9wavefront6targetE1EEEvT1_,"axG",@progbits,_ZN7rocprim17ROCPRIM_400000_NS6detail17trampoline_kernelINS0_14default_configENS1_25transform_config_selectorIlLb0EEEZNS1_14transform_implILb0ES3_S5_NS0_18transform_iteratorINS0_17counting_iteratorImlEEZNS1_24adjacent_difference_implIS3_Lb1ELb0EPlSB_ZN2at6native12_GLOBAL__N_124unique_dim_cuda_templateIfEESt5tupleIJNSC_6TensorESH_SH_EERKSH_lbbbEUlllE1_EE10hipError_tPvRmT2_T3_mT4_P12ihipStream_tbEUlmE_lEESB_NS0_8identityIvEEEESM_SP_SQ_mSR_ST_bEUlT_E_NS1_11comp_targetILNS1_3genE3ELNS1_11target_archE908ELNS1_3gpuE7ELNS1_3repE0EEENS1_30default_config_static_selectorELNS0_4arch9wavefront6targetE1EEEvT1_,comdat
	.globl	_ZN7rocprim17ROCPRIM_400000_NS6detail17trampoline_kernelINS0_14default_configENS1_25transform_config_selectorIlLb0EEEZNS1_14transform_implILb0ES3_S5_NS0_18transform_iteratorINS0_17counting_iteratorImlEEZNS1_24adjacent_difference_implIS3_Lb1ELb0EPlSB_ZN2at6native12_GLOBAL__N_124unique_dim_cuda_templateIfEESt5tupleIJNSC_6TensorESH_SH_EERKSH_lbbbEUlllE1_EE10hipError_tPvRmT2_T3_mT4_P12ihipStream_tbEUlmE_lEESB_NS0_8identityIvEEEESM_SP_SQ_mSR_ST_bEUlT_E_NS1_11comp_targetILNS1_3genE3ELNS1_11target_archE908ELNS1_3gpuE7ELNS1_3repE0EEENS1_30default_config_static_selectorELNS0_4arch9wavefront6targetE1EEEvT1_ ; -- Begin function _ZN7rocprim17ROCPRIM_400000_NS6detail17trampoline_kernelINS0_14default_configENS1_25transform_config_selectorIlLb0EEEZNS1_14transform_implILb0ES3_S5_NS0_18transform_iteratorINS0_17counting_iteratorImlEEZNS1_24adjacent_difference_implIS3_Lb1ELb0EPlSB_ZN2at6native12_GLOBAL__N_124unique_dim_cuda_templateIfEESt5tupleIJNSC_6TensorESH_SH_EERKSH_lbbbEUlllE1_EE10hipError_tPvRmT2_T3_mT4_P12ihipStream_tbEUlmE_lEESB_NS0_8identityIvEEEESM_SP_SQ_mSR_ST_bEUlT_E_NS1_11comp_targetILNS1_3genE3ELNS1_11target_archE908ELNS1_3gpuE7ELNS1_3repE0EEENS1_30default_config_static_selectorELNS0_4arch9wavefront6targetE1EEEvT1_
	.p2align	8
	.type	_ZN7rocprim17ROCPRIM_400000_NS6detail17trampoline_kernelINS0_14default_configENS1_25transform_config_selectorIlLb0EEEZNS1_14transform_implILb0ES3_S5_NS0_18transform_iteratorINS0_17counting_iteratorImlEEZNS1_24adjacent_difference_implIS3_Lb1ELb0EPlSB_ZN2at6native12_GLOBAL__N_124unique_dim_cuda_templateIfEESt5tupleIJNSC_6TensorESH_SH_EERKSH_lbbbEUlllE1_EE10hipError_tPvRmT2_T3_mT4_P12ihipStream_tbEUlmE_lEESB_NS0_8identityIvEEEESM_SP_SQ_mSR_ST_bEUlT_E_NS1_11comp_targetILNS1_3genE3ELNS1_11target_archE908ELNS1_3gpuE7ELNS1_3repE0EEENS1_30default_config_static_selectorELNS0_4arch9wavefront6targetE1EEEvT1_,@function
_ZN7rocprim17ROCPRIM_400000_NS6detail17trampoline_kernelINS0_14default_configENS1_25transform_config_selectorIlLb0EEEZNS1_14transform_implILb0ES3_S5_NS0_18transform_iteratorINS0_17counting_iteratorImlEEZNS1_24adjacent_difference_implIS3_Lb1ELb0EPlSB_ZN2at6native12_GLOBAL__N_124unique_dim_cuda_templateIfEESt5tupleIJNSC_6TensorESH_SH_EERKSH_lbbbEUlllE1_EE10hipError_tPvRmT2_T3_mT4_P12ihipStream_tbEUlmE_lEESB_NS0_8identityIvEEEESM_SP_SQ_mSR_ST_bEUlT_E_NS1_11comp_targetILNS1_3genE3ELNS1_11target_archE908ELNS1_3gpuE7ELNS1_3repE0EEENS1_30default_config_static_selectorELNS0_4arch9wavefront6targetE1EEEvT1_: ; @_ZN7rocprim17ROCPRIM_400000_NS6detail17trampoline_kernelINS0_14default_configENS1_25transform_config_selectorIlLb0EEEZNS1_14transform_implILb0ES3_S5_NS0_18transform_iteratorINS0_17counting_iteratorImlEEZNS1_24adjacent_difference_implIS3_Lb1ELb0EPlSB_ZN2at6native12_GLOBAL__N_124unique_dim_cuda_templateIfEESt5tupleIJNSC_6TensorESH_SH_EERKSH_lbbbEUlllE1_EE10hipError_tPvRmT2_T3_mT4_P12ihipStream_tbEUlmE_lEESB_NS0_8identityIvEEEESM_SP_SQ_mSR_ST_bEUlT_E_NS1_11comp_targetILNS1_3genE3ELNS1_11target_archE908ELNS1_3gpuE7ELNS1_3repE0EEENS1_30default_config_static_selectorELNS0_4arch9wavefront6targetE1EEEvT1_
; %bb.0:
	.section	.rodata,"a",@progbits
	.p2align	6, 0x0
	.amdhsa_kernel _ZN7rocprim17ROCPRIM_400000_NS6detail17trampoline_kernelINS0_14default_configENS1_25transform_config_selectorIlLb0EEEZNS1_14transform_implILb0ES3_S5_NS0_18transform_iteratorINS0_17counting_iteratorImlEEZNS1_24adjacent_difference_implIS3_Lb1ELb0EPlSB_ZN2at6native12_GLOBAL__N_124unique_dim_cuda_templateIfEESt5tupleIJNSC_6TensorESH_SH_EERKSH_lbbbEUlllE1_EE10hipError_tPvRmT2_T3_mT4_P12ihipStream_tbEUlmE_lEESB_NS0_8identityIvEEEESM_SP_SQ_mSR_ST_bEUlT_E_NS1_11comp_targetILNS1_3genE3ELNS1_11target_archE908ELNS1_3gpuE7ELNS1_3repE0EEENS1_30default_config_static_selectorELNS0_4arch9wavefront6targetE1EEEvT1_
		.amdhsa_group_segment_fixed_size 0
		.amdhsa_private_segment_fixed_size 0
		.amdhsa_kernarg_size 56
		.amdhsa_user_sgpr_count 2
		.amdhsa_user_sgpr_dispatch_ptr 0
		.amdhsa_user_sgpr_queue_ptr 0
		.amdhsa_user_sgpr_kernarg_segment_ptr 1
		.amdhsa_user_sgpr_dispatch_id 0
		.amdhsa_user_sgpr_kernarg_preload_length 0
		.amdhsa_user_sgpr_kernarg_preload_offset 0
		.amdhsa_user_sgpr_private_segment_size 0
		.amdhsa_uses_dynamic_stack 0
		.amdhsa_enable_private_segment 0
		.amdhsa_system_sgpr_workgroup_id_x 1
		.amdhsa_system_sgpr_workgroup_id_y 0
		.amdhsa_system_sgpr_workgroup_id_z 0
		.amdhsa_system_sgpr_workgroup_info 0
		.amdhsa_system_vgpr_workitem_id 0
		.amdhsa_next_free_vgpr 1
		.amdhsa_next_free_sgpr 0
		.amdhsa_accum_offset 4
		.amdhsa_reserve_vcc 0
		.amdhsa_float_round_mode_32 0
		.amdhsa_float_round_mode_16_64 0
		.amdhsa_float_denorm_mode_32 3
		.amdhsa_float_denorm_mode_16_64 3
		.amdhsa_dx10_clamp 1
		.amdhsa_ieee_mode 1
		.amdhsa_fp16_overflow 0
		.amdhsa_tg_split 0
		.amdhsa_exception_fp_ieee_invalid_op 0
		.amdhsa_exception_fp_denorm_src 0
		.amdhsa_exception_fp_ieee_div_zero 0
		.amdhsa_exception_fp_ieee_overflow 0
		.amdhsa_exception_fp_ieee_underflow 0
		.amdhsa_exception_fp_ieee_inexact 0
		.amdhsa_exception_int_div_zero 0
	.end_amdhsa_kernel
	.section	.text._ZN7rocprim17ROCPRIM_400000_NS6detail17trampoline_kernelINS0_14default_configENS1_25transform_config_selectorIlLb0EEEZNS1_14transform_implILb0ES3_S5_NS0_18transform_iteratorINS0_17counting_iteratorImlEEZNS1_24adjacent_difference_implIS3_Lb1ELb0EPlSB_ZN2at6native12_GLOBAL__N_124unique_dim_cuda_templateIfEESt5tupleIJNSC_6TensorESH_SH_EERKSH_lbbbEUlllE1_EE10hipError_tPvRmT2_T3_mT4_P12ihipStream_tbEUlmE_lEESB_NS0_8identityIvEEEESM_SP_SQ_mSR_ST_bEUlT_E_NS1_11comp_targetILNS1_3genE3ELNS1_11target_archE908ELNS1_3gpuE7ELNS1_3repE0EEENS1_30default_config_static_selectorELNS0_4arch9wavefront6targetE1EEEvT1_,"axG",@progbits,_ZN7rocprim17ROCPRIM_400000_NS6detail17trampoline_kernelINS0_14default_configENS1_25transform_config_selectorIlLb0EEEZNS1_14transform_implILb0ES3_S5_NS0_18transform_iteratorINS0_17counting_iteratorImlEEZNS1_24adjacent_difference_implIS3_Lb1ELb0EPlSB_ZN2at6native12_GLOBAL__N_124unique_dim_cuda_templateIfEESt5tupleIJNSC_6TensorESH_SH_EERKSH_lbbbEUlllE1_EE10hipError_tPvRmT2_T3_mT4_P12ihipStream_tbEUlmE_lEESB_NS0_8identityIvEEEESM_SP_SQ_mSR_ST_bEUlT_E_NS1_11comp_targetILNS1_3genE3ELNS1_11target_archE908ELNS1_3gpuE7ELNS1_3repE0EEENS1_30default_config_static_selectorELNS0_4arch9wavefront6targetE1EEEvT1_,comdat
.Lfunc_end922:
	.size	_ZN7rocprim17ROCPRIM_400000_NS6detail17trampoline_kernelINS0_14default_configENS1_25transform_config_selectorIlLb0EEEZNS1_14transform_implILb0ES3_S5_NS0_18transform_iteratorINS0_17counting_iteratorImlEEZNS1_24adjacent_difference_implIS3_Lb1ELb0EPlSB_ZN2at6native12_GLOBAL__N_124unique_dim_cuda_templateIfEESt5tupleIJNSC_6TensorESH_SH_EERKSH_lbbbEUlllE1_EE10hipError_tPvRmT2_T3_mT4_P12ihipStream_tbEUlmE_lEESB_NS0_8identityIvEEEESM_SP_SQ_mSR_ST_bEUlT_E_NS1_11comp_targetILNS1_3genE3ELNS1_11target_archE908ELNS1_3gpuE7ELNS1_3repE0EEENS1_30default_config_static_selectorELNS0_4arch9wavefront6targetE1EEEvT1_, .Lfunc_end922-_ZN7rocprim17ROCPRIM_400000_NS6detail17trampoline_kernelINS0_14default_configENS1_25transform_config_selectorIlLb0EEEZNS1_14transform_implILb0ES3_S5_NS0_18transform_iteratorINS0_17counting_iteratorImlEEZNS1_24adjacent_difference_implIS3_Lb1ELb0EPlSB_ZN2at6native12_GLOBAL__N_124unique_dim_cuda_templateIfEESt5tupleIJNSC_6TensorESH_SH_EERKSH_lbbbEUlllE1_EE10hipError_tPvRmT2_T3_mT4_P12ihipStream_tbEUlmE_lEESB_NS0_8identityIvEEEESM_SP_SQ_mSR_ST_bEUlT_E_NS1_11comp_targetILNS1_3genE3ELNS1_11target_archE908ELNS1_3gpuE7ELNS1_3repE0EEENS1_30default_config_static_selectorELNS0_4arch9wavefront6targetE1EEEvT1_
                                        ; -- End function
	.section	.AMDGPU.csdata,"",@progbits
; Kernel info:
; codeLenInByte = 0
; NumSgprs: 6
; NumVgprs: 0
; NumAgprs: 0
; TotalNumVgprs: 0
; ScratchSize: 0
; MemoryBound: 0
; FloatMode: 240
; IeeeMode: 1
; LDSByteSize: 0 bytes/workgroup (compile time only)
; SGPRBlocks: 0
; VGPRBlocks: 0
; NumSGPRsForWavesPerEU: 6
; NumVGPRsForWavesPerEU: 1
; AccumOffset: 4
; Occupancy: 8
; WaveLimiterHint : 0
; COMPUTE_PGM_RSRC2:SCRATCH_EN: 0
; COMPUTE_PGM_RSRC2:USER_SGPR: 2
; COMPUTE_PGM_RSRC2:TRAP_HANDLER: 0
; COMPUTE_PGM_RSRC2:TGID_X_EN: 1
; COMPUTE_PGM_RSRC2:TGID_Y_EN: 0
; COMPUTE_PGM_RSRC2:TGID_Z_EN: 0
; COMPUTE_PGM_RSRC2:TIDIG_COMP_CNT: 0
; COMPUTE_PGM_RSRC3_GFX90A:ACCUM_OFFSET: 0
; COMPUTE_PGM_RSRC3_GFX90A:TG_SPLIT: 0
	.section	.text._ZN7rocprim17ROCPRIM_400000_NS6detail17trampoline_kernelINS0_14default_configENS1_25transform_config_selectorIlLb0EEEZNS1_14transform_implILb0ES3_S5_NS0_18transform_iteratorINS0_17counting_iteratorImlEEZNS1_24adjacent_difference_implIS3_Lb1ELb0EPlSB_ZN2at6native12_GLOBAL__N_124unique_dim_cuda_templateIfEESt5tupleIJNSC_6TensorESH_SH_EERKSH_lbbbEUlllE1_EE10hipError_tPvRmT2_T3_mT4_P12ihipStream_tbEUlmE_lEESB_NS0_8identityIvEEEESM_SP_SQ_mSR_ST_bEUlT_E_NS1_11comp_targetILNS1_3genE2ELNS1_11target_archE906ELNS1_3gpuE6ELNS1_3repE0EEENS1_30default_config_static_selectorELNS0_4arch9wavefront6targetE1EEEvT1_,"axG",@progbits,_ZN7rocprim17ROCPRIM_400000_NS6detail17trampoline_kernelINS0_14default_configENS1_25transform_config_selectorIlLb0EEEZNS1_14transform_implILb0ES3_S5_NS0_18transform_iteratorINS0_17counting_iteratorImlEEZNS1_24adjacent_difference_implIS3_Lb1ELb0EPlSB_ZN2at6native12_GLOBAL__N_124unique_dim_cuda_templateIfEESt5tupleIJNSC_6TensorESH_SH_EERKSH_lbbbEUlllE1_EE10hipError_tPvRmT2_T3_mT4_P12ihipStream_tbEUlmE_lEESB_NS0_8identityIvEEEESM_SP_SQ_mSR_ST_bEUlT_E_NS1_11comp_targetILNS1_3genE2ELNS1_11target_archE906ELNS1_3gpuE6ELNS1_3repE0EEENS1_30default_config_static_selectorELNS0_4arch9wavefront6targetE1EEEvT1_,comdat
	.globl	_ZN7rocprim17ROCPRIM_400000_NS6detail17trampoline_kernelINS0_14default_configENS1_25transform_config_selectorIlLb0EEEZNS1_14transform_implILb0ES3_S5_NS0_18transform_iteratorINS0_17counting_iteratorImlEEZNS1_24adjacent_difference_implIS3_Lb1ELb0EPlSB_ZN2at6native12_GLOBAL__N_124unique_dim_cuda_templateIfEESt5tupleIJNSC_6TensorESH_SH_EERKSH_lbbbEUlllE1_EE10hipError_tPvRmT2_T3_mT4_P12ihipStream_tbEUlmE_lEESB_NS0_8identityIvEEEESM_SP_SQ_mSR_ST_bEUlT_E_NS1_11comp_targetILNS1_3genE2ELNS1_11target_archE906ELNS1_3gpuE6ELNS1_3repE0EEENS1_30default_config_static_selectorELNS0_4arch9wavefront6targetE1EEEvT1_ ; -- Begin function _ZN7rocprim17ROCPRIM_400000_NS6detail17trampoline_kernelINS0_14default_configENS1_25transform_config_selectorIlLb0EEEZNS1_14transform_implILb0ES3_S5_NS0_18transform_iteratorINS0_17counting_iteratorImlEEZNS1_24adjacent_difference_implIS3_Lb1ELb0EPlSB_ZN2at6native12_GLOBAL__N_124unique_dim_cuda_templateIfEESt5tupleIJNSC_6TensorESH_SH_EERKSH_lbbbEUlllE1_EE10hipError_tPvRmT2_T3_mT4_P12ihipStream_tbEUlmE_lEESB_NS0_8identityIvEEEESM_SP_SQ_mSR_ST_bEUlT_E_NS1_11comp_targetILNS1_3genE2ELNS1_11target_archE906ELNS1_3gpuE6ELNS1_3repE0EEENS1_30default_config_static_selectorELNS0_4arch9wavefront6targetE1EEEvT1_
	.p2align	8
	.type	_ZN7rocprim17ROCPRIM_400000_NS6detail17trampoline_kernelINS0_14default_configENS1_25transform_config_selectorIlLb0EEEZNS1_14transform_implILb0ES3_S5_NS0_18transform_iteratorINS0_17counting_iteratorImlEEZNS1_24adjacent_difference_implIS3_Lb1ELb0EPlSB_ZN2at6native12_GLOBAL__N_124unique_dim_cuda_templateIfEESt5tupleIJNSC_6TensorESH_SH_EERKSH_lbbbEUlllE1_EE10hipError_tPvRmT2_T3_mT4_P12ihipStream_tbEUlmE_lEESB_NS0_8identityIvEEEESM_SP_SQ_mSR_ST_bEUlT_E_NS1_11comp_targetILNS1_3genE2ELNS1_11target_archE906ELNS1_3gpuE6ELNS1_3repE0EEENS1_30default_config_static_selectorELNS0_4arch9wavefront6targetE1EEEvT1_,@function
_ZN7rocprim17ROCPRIM_400000_NS6detail17trampoline_kernelINS0_14default_configENS1_25transform_config_selectorIlLb0EEEZNS1_14transform_implILb0ES3_S5_NS0_18transform_iteratorINS0_17counting_iteratorImlEEZNS1_24adjacent_difference_implIS3_Lb1ELb0EPlSB_ZN2at6native12_GLOBAL__N_124unique_dim_cuda_templateIfEESt5tupleIJNSC_6TensorESH_SH_EERKSH_lbbbEUlllE1_EE10hipError_tPvRmT2_T3_mT4_P12ihipStream_tbEUlmE_lEESB_NS0_8identityIvEEEESM_SP_SQ_mSR_ST_bEUlT_E_NS1_11comp_targetILNS1_3genE2ELNS1_11target_archE906ELNS1_3gpuE6ELNS1_3repE0EEENS1_30default_config_static_selectorELNS0_4arch9wavefront6targetE1EEEvT1_: ; @_ZN7rocprim17ROCPRIM_400000_NS6detail17trampoline_kernelINS0_14default_configENS1_25transform_config_selectorIlLb0EEEZNS1_14transform_implILb0ES3_S5_NS0_18transform_iteratorINS0_17counting_iteratorImlEEZNS1_24adjacent_difference_implIS3_Lb1ELb0EPlSB_ZN2at6native12_GLOBAL__N_124unique_dim_cuda_templateIfEESt5tupleIJNSC_6TensorESH_SH_EERKSH_lbbbEUlllE1_EE10hipError_tPvRmT2_T3_mT4_P12ihipStream_tbEUlmE_lEESB_NS0_8identityIvEEEESM_SP_SQ_mSR_ST_bEUlT_E_NS1_11comp_targetILNS1_3genE2ELNS1_11target_archE906ELNS1_3gpuE6ELNS1_3repE0EEENS1_30default_config_static_selectorELNS0_4arch9wavefront6targetE1EEEvT1_
; %bb.0:
	.section	.rodata,"a",@progbits
	.p2align	6, 0x0
	.amdhsa_kernel _ZN7rocprim17ROCPRIM_400000_NS6detail17trampoline_kernelINS0_14default_configENS1_25transform_config_selectorIlLb0EEEZNS1_14transform_implILb0ES3_S5_NS0_18transform_iteratorINS0_17counting_iteratorImlEEZNS1_24adjacent_difference_implIS3_Lb1ELb0EPlSB_ZN2at6native12_GLOBAL__N_124unique_dim_cuda_templateIfEESt5tupleIJNSC_6TensorESH_SH_EERKSH_lbbbEUlllE1_EE10hipError_tPvRmT2_T3_mT4_P12ihipStream_tbEUlmE_lEESB_NS0_8identityIvEEEESM_SP_SQ_mSR_ST_bEUlT_E_NS1_11comp_targetILNS1_3genE2ELNS1_11target_archE906ELNS1_3gpuE6ELNS1_3repE0EEENS1_30default_config_static_selectorELNS0_4arch9wavefront6targetE1EEEvT1_
		.amdhsa_group_segment_fixed_size 0
		.amdhsa_private_segment_fixed_size 0
		.amdhsa_kernarg_size 56
		.amdhsa_user_sgpr_count 2
		.amdhsa_user_sgpr_dispatch_ptr 0
		.amdhsa_user_sgpr_queue_ptr 0
		.amdhsa_user_sgpr_kernarg_segment_ptr 1
		.amdhsa_user_sgpr_dispatch_id 0
		.amdhsa_user_sgpr_kernarg_preload_length 0
		.amdhsa_user_sgpr_kernarg_preload_offset 0
		.amdhsa_user_sgpr_private_segment_size 0
		.amdhsa_uses_dynamic_stack 0
		.amdhsa_enable_private_segment 0
		.amdhsa_system_sgpr_workgroup_id_x 1
		.amdhsa_system_sgpr_workgroup_id_y 0
		.amdhsa_system_sgpr_workgroup_id_z 0
		.amdhsa_system_sgpr_workgroup_info 0
		.amdhsa_system_vgpr_workitem_id 0
		.amdhsa_next_free_vgpr 1
		.amdhsa_next_free_sgpr 0
		.amdhsa_accum_offset 4
		.amdhsa_reserve_vcc 0
		.amdhsa_float_round_mode_32 0
		.amdhsa_float_round_mode_16_64 0
		.amdhsa_float_denorm_mode_32 3
		.amdhsa_float_denorm_mode_16_64 3
		.amdhsa_dx10_clamp 1
		.amdhsa_ieee_mode 1
		.amdhsa_fp16_overflow 0
		.amdhsa_tg_split 0
		.amdhsa_exception_fp_ieee_invalid_op 0
		.amdhsa_exception_fp_denorm_src 0
		.amdhsa_exception_fp_ieee_div_zero 0
		.amdhsa_exception_fp_ieee_overflow 0
		.amdhsa_exception_fp_ieee_underflow 0
		.amdhsa_exception_fp_ieee_inexact 0
		.amdhsa_exception_int_div_zero 0
	.end_amdhsa_kernel
	.section	.text._ZN7rocprim17ROCPRIM_400000_NS6detail17trampoline_kernelINS0_14default_configENS1_25transform_config_selectorIlLb0EEEZNS1_14transform_implILb0ES3_S5_NS0_18transform_iteratorINS0_17counting_iteratorImlEEZNS1_24adjacent_difference_implIS3_Lb1ELb0EPlSB_ZN2at6native12_GLOBAL__N_124unique_dim_cuda_templateIfEESt5tupleIJNSC_6TensorESH_SH_EERKSH_lbbbEUlllE1_EE10hipError_tPvRmT2_T3_mT4_P12ihipStream_tbEUlmE_lEESB_NS0_8identityIvEEEESM_SP_SQ_mSR_ST_bEUlT_E_NS1_11comp_targetILNS1_3genE2ELNS1_11target_archE906ELNS1_3gpuE6ELNS1_3repE0EEENS1_30default_config_static_selectorELNS0_4arch9wavefront6targetE1EEEvT1_,"axG",@progbits,_ZN7rocprim17ROCPRIM_400000_NS6detail17trampoline_kernelINS0_14default_configENS1_25transform_config_selectorIlLb0EEEZNS1_14transform_implILb0ES3_S5_NS0_18transform_iteratorINS0_17counting_iteratorImlEEZNS1_24adjacent_difference_implIS3_Lb1ELb0EPlSB_ZN2at6native12_GLOBAL__N_124unique_dim_cuda_templateIfEESt5tupleIJNSC_6TensorESH_SH_EERKSH_lbbbEUlllE1_EE10hipError_tPvRmT2_T3_mT4_P12ihipStream_tbEUlmE_lEESB_NS0_8identityIvEEEESM_SP_SQ_mSR_ST_bEUlT_E_NS1_11comp_targetILNS1_3genE2ELNS1_11target_archE906ELNS1_3gpuE6ELNS1_3repE0EEENS1_30default_config_static_selectorELNS0_4arch9wavefront6targetE1EEEvT1_,comdat
.Lfunc_end923:
	.size	_ZN7rocprim17ROCPRIM_400000_NS6detail17trampoline_kernelINS0_14default_configENS1_25transform_config_selectorIlLb0EEEZNS1_14transform_implILb0ES3_S5_NS0_18transform_iteratorINS0_17counting_iteratorImlEEZNS1_24adjacent_difference_implIS3_Lb1ELb0EPlSB_ZN2at6native12_GLOBAL__N_124unique_dim_cuda_templateIfEESt5tupleIJNSC_6TensorESH_SH_EERKSH_lbbbEUlllE1_EE10hipError_tPvRmT2_T3_mT4_P12ihipStream_tbEUlmE_lEESB_NS0_8identityIvEEEESM_SP_SQ_mSR_ST_bEUlT_E_NS1_11comp_targetILNS1_3genE2ELNS1_11target_archE906ELNS1_3gpuE6ELNS1_3repE0EEENS1_30default_config_static_selectorELNS0_4arch9wavefront6targetE1EEEvT1_, .Lfunc_end923-_ZN7rocprim17ROCPRIM_400000_NS6detail17trampoline_kernelINS0_14default_configENS1_25transform_config_selectorIlLb0EEEZNS1_14transform_implILb0ES3_S5_NS0_18transform_iteratorINS0_17counting_iteratorImlEEZNS1_24adjacent_difference_implIS3_Lb1ELb0EPlSB_ZN2at6native12_GLOBAL__N_124unique_dim_cuda_templateIfEESt5tupleIJNSC_6TensorESH_SH_EERKSH_lbbbEUlllE1_EE10hipError_tPvRmT2_T3_mT4_P12ihipStream_tbEUlmE_lEESB_NS0_8identityIvEEEESM_SP_SQ_mSR_ST_bEUlT_E_NS1_11comp_targetILNS1_3genE2ELNS1_11target_archE906ELNS1_3gpuE6ELNS1_3repE0EEENS1_30default_config_static_selectorELNS0_4arch9wavefront6targetE1EEEvT1_
                                        ; -- End function
	.section	.AMDGPU.csdata,"",@progbits
; Kernel info:
; codeLenInByte = 0
; NumSgprs: 6
; NumVgprs: 0
; NumAgprs: 0
; TotalNumVgprs: 0
; ScratchSize: 0
; MemoryBound: 0
; FloatMode: 240
; IeeeMode: 1
; LDSByteSize: 0 bytes/workgroup (compile time only)
; SGPRBlocks: 0
; VGPRBlocks: 0
; NumSGPRsForWavesPerEU: 6
; NumVGPRsForWavesPerEU: 1
; AccumOffset: 4
; Occupancy: 8
; WaveLimiterHint : 0
; COMPUTE_PGM_RSRC2:SCRATCH_EN: 0
; COMPUTE_PGM_RSRC2:USER_SGPR: 2
; COMPUTE_PGM_RSRC2:TRAP_HANDLER: 0
; COMPUTE_PGM_RSRC2:TGID_X_EN: 1
; COMPUTE_PGM_RSRC2:TGID_Y_EN: 0
; COMPUTE_PGM_RSRC2:TGID_Z_EN: 0
; COMPUTE_PGM_RSRC2:TIDIG_COMP_CNT: 0
; COMPUTE_PGM_RSRC3_GFX90A:ACCUM_OFFSET: 0
; COMPUTE_PGM_RSRC3_GFX90A:TG_SPLIT: 0
	.section	.text._ZN7rocprim17ROCPRIM_400000_NS6detail17trampoline_kernelINS0_14default_configENS1_25transform_config_selectorIlLb0EEEZNS1_14transform_implILb0ES3_S5_NS0_18transform_iteratorINS0_17counting_iteratorImlEEZNS1_24adjacent_difference_implIS3_Lb1ELb0EPlSB_ZN2at6native12_GLOBAL__N_124unique_dim_cuda_templateIfEESt5tupleIJNSC_6TensorESH_SH_EERKSH_lbbbEUlllE1_EE10hipError_tPvRmT2_T3_mT4_P12ihipStream_tbEUlmE_lEESB_NS0_8identityIvEEEESM_SP_SQ_mSR_ST_bEUlT_E_NS1_11comp_targetILNS1_3genE10ELNS1_11target_archE1201ELNS1_3gpuE5ELNS1_3repE0EEENS1_30default_config_static_selectorELNS0_4arch9wavefront6targetE1EEEvT1_,"axG",@progbits,_ZN7rocprim17ROCPRIM_400000_NS6detail17trampoline_kernelINS0_14default_configENS1_25transform_config_selectorIlLb0EEEZNS1_14transform_implILb0ES3_S5_NS0_18transform_iteratorINS0_17counting_iteratorImlEEZNS1_24adjacent_difference_implIS3_Lb1ELb0EPlSB_ZN2at6native12_GLOBAL__N_124unique_dim_cuda_templateIfEESt5tupleIJNSC_6TensorESH_SH_EERKSH_lbbbEUlllE1_EE10hipError_tPvRmT2_T3_mT4_P12ihipStream_tbEUlmE_lEESB_NS0_8identityIvEEEESM_SP_SQ_mSR_ST_bEUlT_E_NS1_11comp_targetILNS1_3genE10ELNS1_11target_archE1201ELNS1_3gpuE5ELNS1_3repE0EEENS1_30default_config_static_selectorELNS0_4arch9wavefront6targetE1EEEvT1_,comdat
	.globl	_ZN7rocprim17ROCPRIM_400000_NS6detail17trampoline_kernelINS0_14default_configENS1_25transform_config_selectorIlLb0EEEZNS1_14transform_implILb0ES3_S5_NS0_18transform_iteratorINS0_17counting_iteratorImlEEZNS1_24adjacent_difference_implIS3_Lb1ELb0EPlSB_ZN2at6native12_GLOBAL__N_124unique_dim_cuda_templateIfEESt5tupleIJNSC_6TensorESH_SH_EERKSH_lbbbEUlllE1_EE10hipError_tPvRmT2_T3_mT4_P12ihipStream_tbEUlmE_lEESB_NS0_8identityIvEEEESM_SP_SQ_mSR_ST_bEUlT_E_NS1_11comp_targetILNS1_3genE10ELNS1_11target_archE1201ELNS1_3gpuE5ELNS1_3repE0EEENS1_30default_config_static_selectorELNS0_4arch9wavefront6targetE1EEEvT1_ ; -- Begin function _ZN7rocprim17ROCPRIM_400000_NS6detail17trampoline_kernelINS0_14default_configENS1_25transform_config_selectorIlLb0EEEZNS1_14transform_implILb0ES3_S5_NS0_18transform_iteratorINS0_17counting_iteratorImlEEZNS1_24adjacent_difference_implIS3_Lb1ELb0EPlSB_ZN2at6native12_GLOBAL__N_124unique_dim_cuda_templateIfEESt5tupleIJNSC_6TensorESH_SH_EERKSH_lbbbEUlllE1_EE10hipError_tPvRmT2_T3_mT4_P12ihipStream_tbEUlmE_lEESB_NS0_8identityIvEEEESM_SP_SQ_mSR_ST_bEUlT_E_NS1_11comp_targetILNS1_3genE10ELNS1_11target_archE1201ELNS1_3gpuE5ELNS1_3repE0EEENS1_30default_config_static_selectorELNS0_4arch9wavefront6targetE1EEEvT1_
	.p2align	8
	.type	_ZN7rocprim17ROCPRIM_400000_NS6detail17trampoline_kernelINS0_14default_configENS1_25transform_config_selectorIlLb0EEEZNS1_14transform_implILb0ES3_S5_NS0_18transform_iteratorINS0_17counting_iteratorImlEEZNS1_24adjacent_difference_implIS3_Lb1ELb0EPlSB_ZN2at6native12_GLOBAL__N_124unique_dim_cuda_templateIfEESt5tupleIJNSC_6TensorESH_SH_EERKSH_lbbbEUlllE1_EE10hipError_tPvRmT2_T3_mT4_P12ihipStream_tbEUlmE_lEESB_NS0_8identityIvEEEESM_SP_SQ_mSR_ST_bEUlT_E_NS1_11comp_targetILNS1_3genE10ELNS1_11target_archE1201ELNS1_3gpuE5ELNS1_3repE0EEENS1_30default_config_static_selectorELNS0_4arch9wavefront6targetE1EEEvT1_,@function
_ZN7rocprim17ROCPRIM_400000_NS6detail17trampoline_kernelINS0_14default_configENS1_25transform_config_selectorIlLb0EEEZNS1_14transform_implILb0ES3_S5_NS0_18transform_iteratorINS0_17counting_iteratorImlEEZNS1_24adjacent_difference_implIS3_Lb1ELb0EPlSB_ZN2at6native12_GLOBAL__N_124unique_dim_cuda_templateIfEESt5tupleIJNSC_6TensorESH_SH_EERKSH_lbbbEUlllE1_EE10hipError_tPvRmT2_T3_mT4_P12ihipStream_tbEUlmE_lEESB_NS0_8identityIvEEEESM_SP_SQ_mSR_ST_bEUlT_E_NS1_11comp_targetILNS1_3genE10ELNS1_11target_archE1201ELNS1_3gpuE5ELNS1_3repE0EEENS1_30default_config_static_selectorELNS0_4arch9wavefront6targetE1EEEvT1_: ; @_ZN7rocprim17ROCPRIM_400000_NS6detail17trampoline_kernelINS0_14default_configENS1_25transform_config_selectorIlLb0EEEZNS1_14transform_implILb0ES3_S5_NS0_18transform_iteratorINS0_17counting_iteratorImlEEZNS1_24adjacent_difference_implIS3_Lb1ELb0EPlSB_ZN2at6native12_GLOBAL__N_124unique_dim_cuda_templateIfEESt5tupleIJNSC_6TensorESH_SH_EERKSH_lbbbEUlllE1_EE10hipError_tPvRmT2_T3_mT4_P12ihipStream_tbEUlmE_lEESB_NS0_8identityIvEEEESM_SP_SQ_mSR_ST_bEUlT_E_NS1_11comp_targetILNS1_3genE10ELNS1_11target_archE1201ELNS1_3gpuE5ELNS1_3repE0EEENS1_30default_config_static_selectorELNS0_4arch9wavefront6targetE1EEEvT1_
; %bb.0:
	.section	.rodata,"a",@progbits
	.p2align	6, 0x0
	.amdhsa_kernel _ZN7rocprim17ROCPRIM_400000_NS6detail17trampoline_kernelINS0_14default_configENS1_25transform_config_selectorIlLb0EEEZNS1_14transform_implILb0ES3_S5_NS0_18transform_iteratorINS0_17counting_iteratorImlEEZNS1_24adjacent_difference_implIS3_Lb1ELb0EPlSB_ZN2at6native12_GLOBAL__N_124unique_dim_cuda_templateIfEESt5tupleIJNSC_6TensorESH_SH_EERKSH_lbbbEUlllE1_EE10hipError_tPvRmT2_T3_mT4_P12ihipStream_tbEUlmE_lEESB_NS0_8identityIvEEEESM_SP_SQ_mSR_ST_bEUlT_E_NS1_11comp_targetILNS1_3genE10ELNS1_11target_archE1201ELNS1_3gpuE5ELNS1_3repE0EEENS1_30default_config_static_selectorELNS0_4arch9wavefront6targetE1EEEvT1_
		.amdhsa_group_segment_fixed_size 0
		.amdhsa_private_segment_fixed_size 0
		.amdhsa_kernarg_size 56
		.amdhsa_user_sgpr_count 2
		.amdhsa_user_sgpr_dispatch_ptr 0
		.amdhsa_user_sgpr_queue_ptr 0
		.amdhsa_user_sgpr_kernarg_segment_ptr 1
		.amdhsa_user_sgpr_dispatch_id 0
		.amdhsa_user_sgpr_kernarg_preload_length 0
		.amdhsa_user_sgpr_kernarg_preload_offset 0
		.amdhsa_user_sgpr_private_segment_size 0
		.amdhsa_uses_dynamic_stack 0
		.amdhsa_enable_private_segment 0
		.amdhsa_system_sgpr_workgroup_id_x 1
		.amdhsa_system_sgpr_workgroup_id_y 0
		.amdhsa_system_sgpr_workgroup_id_z 0
		.amdhsa_system_sgpr_workgroup_info 0
		.amdhsa_system_vgpr_workitem_id 0
		.amdhsa_next_free_vgpr 1
		.amdhsa_next_free_sgpr 0
		.amdhsa_accum_offset 4
		.amdhsa_reserve_vcc 0
		.amdhsa_float_round_mode_32 0
		.amdhsa_float_round_mode_16_64 0
		.amdhsa_float_denorm_mode_32 3
		.amdhsa_float_denorm_mode_16_64 3
		.amdhsa_dx10_clamp 1
		.amdhsa_ieee_mode 1
		.amdhsa_fp16_overflow 0
		.amdhsa_tg_split 0
		.amdhsa_exception_fp_ieee_invalid_op 0
		.amdhsa_exception_fp_denorm_src 0
		.amdhsa_exception_fp_ieee_div_zero 0
		.amdhsa_exception_fp_ieee_overflow 0
		.amdhsa_exception_fp_ieee_underflow 0
		.amdhsa_exception_fp_ieee_inexact 0
		.amdhsa_exception_int_div_zero 0
	.end_amdhsa_kernel
	.section	.text._ZN7rocprim17ROCPRIM_400000_NS6detail17trampoline_kernelINS0_14default_configENS1_25transform_config_selectorIlLb0EEEZNS1_14transform_implILb0ES3_S5_NS0_18transform_iteratorINS0_17counting_iteratorImlEEZNS1_24adjacent_difference_implIS3_Lb1ELb0EPlSB_ZN2at6native12_GLOBAL__N_124unique_dim_cuda_templateIfEESt5tupleIJNSC_6TensorESH_SH_EERKSH_lbbbEUlllE1_EE10hipError_tPvRmT2_T3_mT4_P12ihipStream_tbEUlmE_lEESB_NS0_8identityIvEEEESM_SP_SQ_mSR_ST_bEUlT_E_NS1_11comp_targetILNS1_3genE10ELNS1_11target_archE1201ELNS1_3gpuE5ELNS1_3repE0EEENS1_30default_config_static_selectorELNS0_4arch9wavefront6targetE1EEEvT1_,"axG",@progbits,_ZN7rocprim17ROCPRIM_400000_NS6detail17trampoline_kernelINS0_14default_configENS1_25transform_config_selectorIlLb0EEEZNS1_14transform_implILb0ES3_S5_NS0_18transform_iteratorINS0_17counting_iteratorImlEEZNS1_24adjacent_difference_implIS3_Lb1ELb0EPlSB_ZN2at6native12_GLOBAL__N_124unique_dim_cuda_templateIfEESt5tupleIJNSC_6TensorESH_SH_EERKSH_lbbbEUlllE1_EE10hipError_tPvRmT2_T3_mT4_P12ihipStream_tbEUlmE_lEESB_NS0_8identityIvEEEESM_SP_SQ_mSR_ST_bEUlT_E_NS1_11comp_targetILNS1_3genE10ELNS1_11target_archE1201ELNS1_3gpuE5ELNS1_3repE0EEENS1_30default_config_static_selectorELNS0_4arch9wavefront6targetE1EEEvT1_,comdat
.Lfunc_end924:
	.size	_ZN7rocprim17ROCPRIM_400000_NS6detail17trampoline_kernelINS0_14default_configENS1_25transform_config_selectorIlLb0EEEZNS1_14transform_implILb0ES3_S5_NS0_18transform_iteratorINS0_17counting_iteratorImlEEZNS1_24adjacent_difference_implIS3_Lb1ELb0EPlSB_ZN2at6native12_GLOBAL__N_124unique_dim_cuda_templateIfEESt5tupleIJNSC_6TensorESH_SH_EERKSH_lbbbEUlllE1_EE10hipError_tPvRmT2_T3_mT4_P12ihipStream_tbEUlmE_lEESB_NS0_8identityIvEEEESM_SP_SQ_mSR_ST_bEUlT_E_NS1_11comp_targetILNS1_3genE10ELNS1_11target_archE1201ELNS1_3gpuE5ELNS1_3repE0EEENS1_30default_config_static_selectorELNS0_4arch9wavefront6targetE1EEEvT1_, .Lfunc_end924-_ZN7rocprim17ROCPRIM_400000_NS6detail17trampoline_kernelINS0_14default_configENS1_25transform_config_selectorIlLb0EEEZNS1_14transform_implILb0ES3_S5_NS0_18transform_iteratorINS0_17counting_iteratorImlEEZNS1_24adjacent_difference_implIS3_Lb1ELb0EPlSB_ZN2at6native12_GLOBAL__N_124unique_dim_cuda_templateIfEESt5tupleIJNSC_6TensorESH_SH_EERKSH_lbbbEUlllE1_EE10hipError_tPvRmT2_T3_mT4_P12ihipStream_tbEUlmE_lEESB_NS0_8identityIvEEEESM_SP_SQ_mSR_ST_bEUlT_E_NS1_11comp_targetILNS1_3genE10ELNS1_11target_archE1201ELNS1_3gpuE5ELNS1_3repE0EEENS1_30default_config_static_selectorELNS0_4arch9wavefront6targetE1EEEvT1_
                                        ; -- End function
	.section	.AMDGPU.csdata,"",@progbits
; Kernel info:
; codeLenInByte = 0
; NumSgprs: 6
; NumVgprs: 0
; NumAgprs: 0
; TotalNumVgprs: 0
; ScratchSize: 0
; MemoryBound: 0
; FloatMode: 240
; IeeeMode: 1
; LDSByteSize: 0 bytes/workgroup (compile time only)
; SGPRBlocks: 0
; VGPRBlocks: 0
; NumSGPRsForWavesPerEU: 6
; NumVGPRsForWavesPerEU: 1
; AccumOffset: 4
; Occupancy: 8
; WaveLimiterHint : 0
; COMPUTE_PGM_RSRC2:SCRATCH_EN: 0
; COMPUTE_PGM_RSRC2:USER_SGPR: 2
; COMPUTE_PGM_RSRC2:TRAP_HANDLER: 0
; COMPUTE_PGM_RSRC2:TGID_X_EN: 1
; COMPUTE_PGM_RSRC2:TGID_Y_EN: 0
; COMPUTE_PGM_RSRC2:TGID_Z_EN: 0
; COMPUTE_PGM_RSRC2:TIDIG_COMP_CNT: 0
; COMPUTE_PGM_RSRC3_GFX90A:ACCUM_OFFSET: 0
; COMPUTE_PGM_RSRC3_GFX90A:TG_SPLIT: 0
	.section	.text._ZN7rocprim17ROCPRIM_400000_NS6detail17trampoline_kernelINS0_14default_configENS1_25transform_config_selectorIlLb0EEEZNS1_14transform_implILb0ES3_S5_NS0_18transform_iteratorINS0_17counting_iteratorImlEEZNS1_24adjacent_difference_implIS3_Lb1ELb0EPlSB_ZN2at6native12_GLOBAL__N_124unique_dim_cuda_templateIfEESt5tupleIJNSC_6TensorESH_SH_EERKSH_lbbbEUlllE1_EE10hipError_tPvRmT2_T3_mT4_P12ihipStream_tbEUlmE_lEESB_NS0_8identityIvEEEESM_SP_SQ_mSR_ST_bEUlT_E_NS1_11comp_targetILNS1_3genE10ELNS1_11target_archE1200ELNS1_3gpuE4ELNS1_3repE0EEENS1_30default_config_static_selectorELNS0_4arch9wavefront6targetE1EEEvT1_,"axG",@progbits,_ZN7rocprim17ROCPRIM_400000_NS6detail17trampoline_kernelINS0_14default_configENS1_25transform_config_selectorIlLb0EEEZNS1_14transform_implILb0ES3_S5_NS0_18transform_iteratorINS0_17counting_iteratorImlEEZNS1_24adjacent_difference_implIS3_Lb1ELb0EPlSB_ZN2at6native12_GLOBAL__N_124unique_dim_cuda_templateIfEESt5tupleIJNSC_6TensorESH_SH_EERKSH_lbbbEUlllE1_EE10hipError_tPvRmT2_T3_mT4_P12ihipStream_tbEUlmE_lEESB_NS0_8identityIvEEEESM_SP_SQ_mSR_ST_bEUlT_E_NS1_11comp_targetILNS1_3genE10ELNS1_11target_archE1200ELNS1_3gpuE4ELNS1_3repE0EEENS1_30default_config_static_selectorELNS0_4arch9wavefront6targetE1EEEvT1_,comdat
	.globl	_ZN7rocprim17ROCPRIM_400000_NS6detail17trampoline_kernelINS0_14default_configENS1_25transform_config_selectorIlLb0EEEZNS1_14transform_implILb0ES3_S5_NS0_18transform_iteratorINS0_17counting_iteratorImlEEZNS1_24adjacent_difference_implIS3_Lb1ELb0EPlSB_ZN2at6native12_GLOBAL__N_124unique_dim_cuda_templateIfEESt5tupleIJNSC_6TensorESH_SH_EERKSH_lbbbEUlllE1_EE10hipError_tPvRmT2_T3_mT4_P12ihipStream_tbEUlmE_lEESB_NS0_8identityIvEEEESM_SP_SQ_mSR_ST_bEUlT_E_NS1_11comp_targetILNS1_3genE10ELNS1_11target_archE1200ELNS1_3gpuE4ELNS1_3repE0EEENS1_30default_config_static_selectorELNS0_4arch9wavefront6targetE1EEEvT1_ ; -- Begin function _ZN7rocprim17ROCPRIM_400000_NS6detail17trampoline_kernelINS0_14default_configENS1_25transform_config_selectorIlLb0EEEZNS1_14transform_implILb0ES3_S5_NS0_18transform_iteratorINS0_17counting_iteratorImlEEZNS1_24adjacent_difference_implIS3_Lb1ELb0EPlSB_ZN2at6native12_GLOBAL__N_124unique_dim_cuda_templateIfEESt5tupleIJNSC_6TensorESH_SH_EERKSH_lbbbEUlllE1_EE10hipError_tPvRmT2_T3_mT4_P12ihipStream_tbEUlmE_lEESB_NS0_8identityIvEEEESM_SP_SQ_mSR_ST_bEUlT_E_NS1_11comp_targetILNS1_3genE10ELNS1_11target_archE1200ELNS1_3gpuE4ELNS1_3repE0EEENS1_30default_config_static_selectorELNS0_4arch9wavefront6targetE1EEEvT1_
	.p2align	8
	.type	_ZN7rocprim17ROCPRIM_400000_NS6detail17trampoline_kernelINS0_14default_configENS1_25transform_config_selectorIlLb0EEEZNS1_14transform_implILb0ES3_S5_NS0_18transform_iteratorINS0_17counting_iteratorImlEEZNS1_24adjacent_difference_implIS3_Lb1ELb0EPlSB_ZN2at6native12_GLOBAL__N_124unique_dim_cuda_templateIfEESt5tupleIJNSC_6TensorESH_SH_EERKSH_lbbbEUlllE1_EE10hipError_tPvRmT2_T3_mT4_P12ihipStream_tbEUlmE_lEESB_NS0_8identityIvEEEESM_SP_SQ_mSR_ST_bEUlT_E_NS1_11comp_targetILNS1_3genE10ELNS1_11target_archE1200ELNS1_3gpuE4ELNS1_3repE0EEENS1_30default_config_static_selectorELNS0_4arch9wavefront6targetE1EEEvT1_,@function
_ZN7rocprim17ROCPRIM_400000_NS6detail17trampoline_kernelINS0_14default_configENS1_25transform_config_selectorIlLb0EEEZNS1_14transform_implILb0ES3_S5_NS0_18transform_iteratorINS0_17counting_iteratorImlEEZNS1_24adjacent_difference_implIS3_Lb1ELb0EPlSB_ZN2at6native12_GLOBAL__N_124unique_dim_cuda_templateIfEESt5tupleIJNSC_6TensorESH_SH_EERKSH_lbbbEUlllE1_EE10hipError_tPvRmT2_T3_mT4_P12ihipStream_tbEUlmE_lEESB_NS0_8identityIvEEEESM_SP_SQ_mSR_ST_bEUlT_E_NS1_11comp_targetILNS1_3genE10ELNS1_11target_archE1200ELNS1_3gpuE4ELNS1_3repE0EEENS1_30default_config_static_selectorELNS0_4arch9wavefront6targetE1EEEvT1_: ; @_ZN7rocprim17ROCPRIM_400000_NS6detail17trampoline_kernelINS0_14default_configENS1_25transform_config_selectorIlLb0EEEZNS1_14transform_implILb0ES3_S5_NS0_18transform_iteratorINS0_17counting_iteratorImlEEZNS1_24adjacent_difference_implIS3_Lb1ELb0EPlSB_ZN2at6native12_GLOBAL__N_124unique_dim_cuda_templateIfEESt5tupleIJNSC_6TensorESH_SH_EERKSH_lbbbEUlllE1_EE10hipError_tPvRmT2_T3_mT4_P12ihipStream_tbEUlmE_lEESB_NS0_8identityIvEEEESM_SP_SQ_mSR_ST_bEUlT_E_NS1_11comp_targetILNS1_3genE10ELNS1_11target_archE1200ELNS1_3gpuE4ELNS1_3repE0EEENS1_30default_config_static_selectorELNS0_4arch9wavefront6targetE1EEEvT1_
; %bb.0:
	.section	.rodata,"a",@progbits
	.p2align	6, 0x0
	.amdhsa_kernel _ZN7rocprim17ROCPRIM_400000_NS6detail17trampoline_kernelINS0_14default_configENS1_25transform_config_selectorIlLb0EEEZNS1_14transform_implILb0ES3_S5_NS0_18transform_iteratorINS0_17counting_iteratorImlEEZNS1_24adjacent_difference_implIS3_Lb1ELb0EPlSB_ZN2at6native12_GLOBAL__N_124unique_dim_cuda_templateIfEESt5tupleIJNSC_6TensorESH_SH_EERKSH_lbbbEUlllE1_EE10hipError_tPvRmT2_T3_mT4_P12ihipStream_tbEUlmE_lEESB_NS0_8identityIvEEEESM_SP_SQ_mSR_ST_bEUlT_E_NS1_11comp_targetILNS1_3genE10ELNS1_11target_archE1200ELNS1_3gpuE4ELNS1_3repE0EEENS1_30default_config_static_selectorELNS0_4arch9wavefront6targetE1EEEvT1_
		.amdhsa_group_segment_fixed_size 0
		.amdhsa_private_segment_fixed_size 0
		.amdhsa_kernarg_size 56
		.amdhsa_user_sgpr_count 2
		.amdhsa_user_sgpr_dispatch_ptr 0
		.amdhsa_user_sgpr_queue_ptr 0
		.amdhsa_user_sgpr_kernarg_segment_ptr 1
		.amdhsa_user_sgpr_dispatch_id 0
		.amdhsa_user_sgpr_kernarg_preload_length 0
		.amdhsa_user_sgpr_kernarg_preload_offset 0
		.amdhsa_user_sgpr_private_segment_size 0
		.amdhsa_uses_dynamic_stack 0
		.amdhsa_enable_private_segment 0
		.amdhsa_system_sgpr_workgroup_id_x 1
		.amdhsa_system_sgpr_workgroup_id_y 0
		.amdhsa_system_sgpr_workgroup_id_z 0
		.amdhsa_system_sgpr_workgroup_info 0
		.amdhsa_system_vgpr_workitem_id 0
		.amdhsa_next_free_vgpr 1
		.amdhsa_next_free_sgpr 0
		.amdhsa_accum_offset 4
		.amdhsa_reserve_vcc 0
		.amdhsa_float_round_mode_32 0
		.amdhsa_float_round_mode_16_64 0
		.amdhsa_float_denorm_mode_32 3
		.amdhsa_float_denorm_mode_16_64 3
		.amdhsa_dx10_clamp 1
		.amdhsa_ieee_mode 1
		.amdhsa_fp16_overflow 0
		.amdhsa_tg_split 0
		.amdhsa_exception_fp_ieee_invalid_op 0
		.amdhsa_exception_fp_denorm_src 0
		.amdhsa_exception_fp_ieee_div_zero 0
		.amdhsa_exception_fp_ieee_overflow 0
		.amdhsa_exception_fp_ieee_underflow 0
		.amdhsa_exception_fp_ieee_inexact 0
		.amdhsa_exception_int_div_zero 0
	.end_amdhsa_kernel
	.section	.text._ZN7rocprim17ROCPRIM_400000_NS6detail17trampoline_kernelINS0_14default_configENS1_25transform_config_selectorIlLb0EEEZNS1_14transform_implILb0ES3_S5_NS0_18transform_iteratorINS0_17counting_iteratorImlEEZNS1_24adjacent_difference_implIS3_Lb1ELb0EPlSB_ZN2at6native12_GLOBAL__N_124unique_dim_cuda_templateIfEESt5tupleIJNSC_6TensorESH_SH_EERKSH_lbbbEUlllE1_EE10hipError_tPvRmT2_T3_mT4_P12ihipStream_tbEUlmE_lEESB_NS0_8identityIvEEEESM_SP_SQ_mSR_ST_bEUlT_E_NS1_11comp_targetILNS1_3genE10ELNS1_11target_archE1200ELNS1_3gpuE4ELNS1_3repE0EEENS1_30default_config_static_selectorELNS0_4arch9wavefront6targetE1EEEvT1_,"axG",@progbits,_ZN7rocprim17ROCPRIM_400000_NS6detail17trampoline_kernelINS0_14default_configENS1_25transform_config_selectorIlLb0EEEZNS1_14transform_implILb0ES3_S5_NS0_18transform_iteratorINS0_17counting_iteratorImlEEZNS1_24adjacent_difference_implIS3_Lb1ELb0EPlSB_ZN2at6native12_GLOBAL__N_124unique_dim_cuda_templateIfEESt5tupleIJNSC_6TensorESH_SH_EERKSH_lbbbEUlllE1_EE10hipError_tPvRmT2_T3_mT4_P12ihipStream_tbEUlmE_lEESB_NS0_8identityIvEEEESM_SP_SQ_mSR_ST_bEUlT_E_NS1_11comp_targetILNS1_3genE10ELNS1_11target_archE1200ELNS1_3gpuE4ELNS1_3repE0EEENS1_30default_config_static_selectorELNS0_4arch9wavefront6targetE1EEEvT1_,comdat
.Lfunc_end925:
	.size	_ZN7rocprim17ROCPRIM_400000_NS6detail17trampoline_kernelINS0_14default_configENS1_25transform_config_selectorIlLb0EEEZNS1_14transform_implILb0ES3_S5_NS0_18transform_iteratorINS0_17counting_iteratorImlEEZNS1_24adjacent_difference_implIS3_Lb1ELb0EPlSB_ZN2at6native12_GLOBAL__N_124unique_dim_cuda_templateIfEESt5tupleIJNSC_6TensorESH_SH_EERKSH_lbbbEUlllE1_EE10hipError_tPvRmT2_T3_mT4_P12ihipStream_tbEUlmE_lEESB_NS0_8identityIvEEEESM_SP_SQ_mSR_ST_bEUlT_E_NS1_11comp_targetILNS1_3genE10ELNS1_11target_archE1200ELNS1_3gpuE4ELNS1_3repE0EEENS1_30default_config_static_selectorELNS0_4arch9wavefront6targetE1EEEvT1_, .Lfunc_end925-_ZN7rocprim17ROCPRIM_400000_NS6detail17trampoline_kernelINS0_14default_configENS1_25transform_config_selectorIlLb0EEEZNS1_14transform_implILb0ES3_S5_NS0_18transform_iteratorINS0_17counting_iteratorImlEEZNS1_24adjacent_difference_implIS3_Lb1ELb0EPlSB_ZN2at6native12_GLOBAL__N_124unique_dim_cuda_templateIfEESt5tupleIJNSC_6TensorESH_SH_EERKSH_lbbbEUlllE1_EE10hipError_tPvRmT2_T3_mT4_P12ihipStream_tbEUlmE_lEESB_NS0_8identityIvEEEESM_SP_SQ_mSR_ST_bEUlT_E_NS1_11comp_targetILNS1_3genE10ELNS1_11target_archE1200ELNS1_3gpuE4ELNS1_3repE0EEENS1_30default_config_static_selectorELNS0_4arch9wavefront6targetE1EEEvT1_
                                        ; -- End function
	.section	.AMDGPU.csdata,"",@progbits
; Kernel info:
; codeLenInByte = 0
; NumSgprs: 6
; NumVgprs: 0
; NumAgprs: 0
; TotalNumVgprs: 0
; ScratchSize: 0
; MemoryBound: 0
; FloatMode: 240
; IeeeMode: 1
; LDSByteSize: 0 bytes/workgroup (compile time only)
; SGPRBlocks: 0
; VGPRBlocks: 0
; NumSGPRsForWavesPerEU: 6
; NumVGPRsForWavesPerEU: 1
; AccumOffset: 4
; Occupancy: 8
; WaveLimiterHint : 0
; COMPUTE_PGM_RSRC2:SCRATCH_EN: 0
; COMPUTE_PGM_RSRC2:USER_SGPR: 2
; COMPUTE_PGM_RSRC2:TRAP_HANDLER: 0
; COMPUTE_PGM_RSRC2:TGID_X_EN: 1
; COMPUTE_PGM_RSRC2:TGID_Y_EN: 0
; COMPUTE_PGM_RSRC2:TGID_Z_EN: 0
; COMPUTE_PGM_RSRC2:TIDIG_COMP_CNT: 0
; COMPUTE_PGM_RSRC3_GFX90A:ACCUM_OFFSET: 0
; COMPUTE_PGM_RSRC3_GFX90A:TG_SPLIT: 0
	.section	.text._ZN7rocprim17ROCPRIM_400000_NS6detail17trampoline_kernelINS0_14default_configENS1_25transform_config_selectorIlLb0EEEZNS1_14transform_implILb0ES3_S5_NS0_18transform_iteratorINS0_17counting_iteratorImlEEZNS1_24adjacent_difference_implIS3_Lb1ELb0EPlSB_ZN2at6native12_GLOBAL__N_124unique_dim_cuda_templateIfEESt5tupleIJNSC_6TensorESH_SH_EERKSH_lbbbEUlllE1_EE10hipError_tPvRmT2_T3_mT4_P12ihipStream_tbEUlmE_lEESB_NS0_8identityIvEEEESM_SP_SQ_mSR_ST_bEUlT_E_NS1_11comp_targetILNS1_3genE9ELNS1_11target_archE1100ELNS1_3gpuE3ELNS1_3repE0EEENS1_30default_config_static_selectorELNS0_4arch9wavefront6targetE1EEEvT1_,"axG",@progbits,_ZN7rocprim17ROCPRIM_400000_NS6detail17trampoline_kernelINS0_14default_configENS1_25transform_config_selectorIlLb0EEEZNS1_14transform_implILb0ES3_S5_NS0_18transform_iteratorINS0_17counting_iteratorImlEEZNS1_24adjacent_difference_implIS3_Lb1ELb0EPlSB_ZN2at6native12_GLOBAL__N_124unique_dim_cuda_templateIfEESt5tupleIJNSC_6TensorESH_SH_EERKSH_lbbbEUlllE1_EE10hipError_tPvRmT2_T3_mT4_P12ihipStream_tbEUlmE_lEESB_NS0_8identityIvEEEESM_SP_SQ_mSR_ST_bEUlT_E_NS1_11comp_targetILNS1_3genE9ELNS1_11target_archE1100ELNS1_3gpuE3ELNS1_3repE0EEENS1_30default_config_static_selectorELNS0_4arch9wavefront6targetE1EEEvT1_,comdat
	.globl	_ZN7rocprim17ROCPRIM_400000_NS6detail17trampoline_kernelINS0_14default_configENS1_25transform_config_selectorIlLb0EEEZNS1_14transform_implILb0ES3_S5_NS0_18transform_iteratorINS0_17counting_iteratorImlEEZNS1_24adjacent_difference_implIS3_Lb1ELb0EPlSB_ZN2at6native12_GLOBAL__N_124unique_dim_cuda_templateIfEESt5tupleIJNSC_6TensorESH_SH_EERKSH_lbbbEUlllE1_EE10hipError_tPvRmT2_T3_mT4_P12ihipStream_tbEUlmE_lEESB_NS0_8identityIvEEEESM_SP_SQ_mSR_ST_bEUlT_E_NS1_11comp_targetILNS1_3genE9ELNS1_11target_archE1100ELNS1_3gpuE3ELNS1_3repE0EEENS1_30default_config_static_selectorELNS0_4arch9wavefront6targetE1EEEvT1_ ; -- Begin function _ZN7rocprim17ROCPRIM_400000_NS6detail17trampoline_kernelINS0_14default_configENS1_25transform_config_selectorIlLb0EEEZNS1_14transform_implILb0ES3_S5_NS0_18transform_iteratorINS0_17counting_iteratorImlEEZNS1_24adjacent_difference_implIS3_Lb1ELb0EPlSB_ZN2at6native12_GLOBAL__N_124unique_dim_cuda_templateIfEESt5tupleIJNSC_6TensorESH_SH_EERKSH_lbbbEUlllE1_EE10hipError_tPvRmT2_T3_mT4_P12ihipStream_tbEUlmE_lEESB_NS0_8identityIvEEEESM_SP_SQ_mSR_ST_bEUlT_E_NS1_11comp_targetILNS1_3genE9ELNS1_11target_archE1100ELNS1_3gpuE3ELNS1_3repE0EEENS1_30default_config_static_selectorELNS0_4arch9wavefront6targetE1EEEvT1_
	.p2align	8
	.type	_ZN7rocprim17ROCPRIM_400000_NS6detail17trampoline_kernelINS0_14default_configENS1_25transform_config_selectorIlLb0EEEZNS1_14transform_implILb0ES3_S5_NS0_18transform_iteratorINS0_17counting_iteratorImlEEZNS1_24adjacent_difference_implIS3_Lb1ELb0EPlSB_ZN2at6native12_GLOBAL__N_124unique_dim_cuda_templateIfEESt5tupleIJNSC_6TensorESH_SH_EERKSH_lbbbEUlllE1_EE10hipError_tPvRmT2_T3_mT4_P12ihipStream_tbEUlmE_lEESB_NS0_8identityIvEEEESM_SP_SQ_mSR_ST_bEUlT_E_NS1_11comp_targetILNS1_3genE9ELNS1_11target_archE1100ELNS1_3gpuE3ELNS1_3repE0EEENS1_30default_config_static_selectorELNS0_4arch9wavefront6targetE1EEEvT1_,@function
_ZN7rocprim17ROCPRIM_400000_NS6detail17trampoline_kernelINS0_14default_configENS1_25transform_config_selectorIlLb0EEEZNS1_14transform_implILb0ES3_S5_NS0_18transform_iteratorINS0_17counting_iteratorImlEEZNS1_24adjacent_difference_implIS3_Lb1ELb0EPlSB_ZN2at6native12_GLOBAL__N_124unique_dim_cuda_templateIfEESt5tupleIJNSC_6TensorESH_SH_EERKSH_lbbbEUlllE1_EE10hipError_tPvRmT2_T3_mT4_P12ihipStream_tbEUlmE_lEESB_NS0_8identityIvEEEESM_SP_SQ_mSR_ST_bEUlT_E_NS1_11comp_targetILNS1_3genE9ELNS1_11target_archE1100ELNS1_3gpuE3ELNS1_3repE0EEENS1_30default_config_static_selectorELNS0_4arch9wavefront6targetE1EEEvT1_: ; @_ZN7rocprim17ROCPRIM_400000_NS6detail17trampoline_kernelINS0_14default_configENS1_25transform_config_selectorIlLb0EEEZNS1_14transform_implILb0ES3_S5_NS0_18transform_iteratorINS0_17counting_iteratorImlEEZNS1_24adjacent_difference_implIS3_Lb1ELb0EPlSB_ZN2at6native12_GLOBAL__N_124unique_dim_cuda_templateIfEESt5tupleIJNSC_6TensorESH_SH_EERKSH_lbbbEUlllE1_EE10hipError_tPvRmT2_T3_mT4_P12ihipStream_tbEUlmE_lEESB_NS0_8identityIvEEEESM_SP_SQ_mSR_ST_bEUlT_E_NS1_11comp_targetILNS1_3genE9ELNS1_11target_archE1100ELNS1_3gpuE3ELNS1_3repE0EEENS1_30default_config_static_selectorELNS0_4arch9wavefront6targetE1EEEvT1_
; %bb.0:
	.section	.rodata,"a",@progbits
	.p2align	6, 0x0
	.amdhsa_kernel _ZN7rocprim17ROCPRIM_400000_NS6detail17trampoline_kernelINS0_14default_configENS1_25transform_config_selectorIlLb0EEEZNS1_14transform_implILb0ES3_S5_NS0_18transform_iteratorINS0_17counting_iteratorImlEEZNS1_24adjacent_difference_implIS3_Lb1ELb0EPlSB_ZN2at6native12_GLOBAL__N_124unique_dim_cuda_templateIfEESt5tupleIJNSC_6TensorESH_SH_EERKSH_lbbbEUlllE1_EE10hipError_tPvRmT2_T3_mT4_P12ihipStream_tbEUlmE_lEESB_NS0_8identityIvEEEESM_SP_SQ_mSR_ST_bEUlT_E_NS1_11comp_targetILNS1_3genE9ELNS1_11target_archE1100ELNS1_3gpuE3ELNS1_3repE0EEENS1_30default_config_static_selectorELNS0_4arch9wavefront6targetE1EEEvT1_
		.amdhsa_group_segment_fixed_size 0
		.amdhsa_private_segment_fixed_size 0
		.amdhsa_kernarg_size 56
		.amdhsa_user_sgpr_count 2
		.amdhsa_user_sgpr_dispatch_ptr 0
		.amdhsa_user_sgpr_queue_ptr 0
		.amdhsa_user_sgpr_kernarg_segment_ptr 1
		.amdhsa_user_sgpr_dispatch_id 0
		.amdhsa_user_sgpr_kernarg_preload_length 0
		.amdhsa_user_sgpr_kernarg_preload_offset 0
		.amdhsa_user_sgpr_private_segment_size 0
		.amdhsa_uses_dynamic_stack 0
		.amdhsa_enable_private_segment 0
		.amdhsa_system_sgpr_workgroup_id_x 1
		.amdhsa_system_sgpr_workgroup_id_y 0
		.amdhsa_system_sgpr_workgroup_id_z 0
		.amdhsa_system_sgpr_workgroup_info 0
		.amdhsa_system_vgpr_workitem_id 0
		.amdhsa_next_free_vgpr 1
		.amdhsa_next_free_sgpr 0
		.amdhsa_accum_offset 4
		.amdhsa_reserve_vcc 0
		.amdhsa_float_round_mode_32 0
		.amdhsa_float_round_mode_16_64 0
		.amdhsa_float_denorm_mode_32 3
		.amdhsa_float_denorm_mode_16_64 3
		.amdhsa_dx10_clamp 1
		.amdhsa_ieee_mode 1
		.amdhsa_fp16_overflow 0
		.amdhsa_tg_split 0
		.amdhsa_exception_fp_ieee_invalid_op 0
		.amdhsa_exception_fp_denorm_src 0
		.amdhsa_exception_fp_ieee_div_zero 0
		.amdhsa_exception_fp_ieee_overflow 0
		.amdhsa_exception_fp_ieee_underflow 0
		.amdhsa_exception_fp_ieee_inexact 0
		.amdhsa_exception_int_div_zero 0
	.end_amdhsa_kernel
	.section	.text._ZN7rocprim17ROCPRIM_400000_NS6detail17trampoline_kernelINS0_14default_configENS1_25transform_config_selectorIlLb0EEEZNS1_14transform_implILb0ES3_S5_NS0_18transform_iteratorINS0_17counting_iteratorImlEEZNS1_24adjacent_difference_implIS3_Lb1ELb0EPlSB_ZN2at6native12_GLOBAL__N_124unique_dim_cuda_templateIfEESt5tupleIJNSC_6TensorESH_SH_EERKSH_lbbbEUlllE1_EE10hipError_tPvRmT2_T3_mT4_P12ihipStream_tbEUlmE_lEESB_NS0_8identityIvEEEESM_SP_SQ_mSR_ST_bEUlT_E_NS1_11comp_targetILNS1_3genE9ELNS1_11target_archE1100ELNS1_3gpuE3ELNS1_3repE0EEENS1_30default_config_static_selectorELNS0_4arch9wavefront6targetE1EEEvT1_,"axG",@progbits,_ZN7rocprim17ROCPRIM_400000_NS6detail17trampoline_kernelINS0_14default_configENS1_25transform_config_selectorIlLb0EEEZNS1_14transform_implILb0ES3_S5_NS0_18transform_iteratorINS0_17counting_iteratorImlEEZNS1_24adjacent_difference_implIS3_Lb1ELb0EPlSB_ZN2at6native12_GLOBAL__N_124unique_dim_cuda_templateIfEESt5tupleIJNSC_6TensorESH_SH_EERKSH_lbbbEUlllE1_EE10hipError_tPvRmT2_T3_mT4_P12ihipStream_tbEUlmE_lEESB_NS0_8identityIvEEEESM_SP_SQ_mSR_ST_bEUlT_E_NS1_11comp_targetILNS1_3genE9ELNS1_11target_archE1100ELNS1_3gpuE3ELNS1_3repE0EEENS1_30default_config_static_selectorELNS0_4arch9wavefront6targetE1EEEvT1_,comdat
.Lfunc_end926:
	.size	_ZN7rocprim17ROCPRIM_400000_NS6detail17trampoline_kernelINS0_14default_configENS1_25transform_config_selectorIlLb0EEEZNS1_14transform_implILb0ES3_S5_NS0_18transform_iteratorINS0_17counting_iteratorImlEEZNS1_24adjacent_difference_implIS3_Lb1ELb0EPlSB_ZN2at6native12_GLOBAL__N_124unique_dim_cuda_templateIfEESt5tupleIJNSC_6TensorESH_SH_EERKSH_lbbbEUlllE1_EE10hipError_tPvRmT2_T3_mT4_P12ihipStream_tbEUlmE_lEESB_NS0_8identityIvEEEESM_SP_SQ_mSR_ST_bEUlT_E_NS1_11comp_targetILNS1_3genE9ELNS1_11target_archE1100ELNS1_3gpuE3ELNS1_3repE0EEENS1_30default_config_static_selectorELNS0_4arch9wavefront6targetE1EEEvT1_, .Lfunc_end926-_ZN7rocprim17ROCPRIM_400000_NS6detail17trampoline_kernelINS0_14default_configENS1_25transform_config_selectorIlLb0EEEZNS1_14transform_implILb0ES3_S5_NS0_18transform_iteratorINS0_17counting_iteratorImlEEZNS1_24adjacent_difference_implIS3_Lb1ELb0EPlSB_ZN2at6native12_GLOBAL__N_124unique_dim_cuda_templateIfEESt5tupleIJNSC_6TensorESH_SH_EERKSH_lbbbEUlllE1_EE10hipError_tPvRmT2_T3_mT4_P12ihipStream_tbEUlmE_lEESB_NS0_8identityIvEEEESM_SP_SQ_mSR_ST_bEUlT_E_NS1_11comp_targetILNS1_3genE9ELNS1_11target_archE1100ELNS1_3gpuE3ELNS1_3repE0EEENS1_30default_config_static_selectorELNS0_4arch9wavefront6targetE1EEEvT1_
                                        ; -- End function
	.section	.AMDGPU.csdata,"",@progbits
; Kernel info:
; codeLenInByte = 0
; NumSgprs: 6
; NumVgprs: 0
; NumAgprs: 0
; TotalNumVgprs: 0
; ScratchSize: 0
; MemoryBound: 0
; FloatMode: 240
; IeeeMode: 1
; LDSByteSize: 0 bytes/workgroup (compile time only)
; SGPRBlocks: 0
; VGPRBlocks: 0
; NumSGPRsForWavesPerEU: 6
; NumVGPRsForWavesPerEU: 1
; AccumOffset: 4
; Occupancy: 8
; WaveLimiterHint : 0
; COMPUTE_PGM_RSRC2:SCRATCH_EN: 0
; COMPUTE_PGM_RSRC2:USER_SGPR: 2
; COMPUTE_PGM_RSRC2:TRAP_HANDLER: 0
; COMPUTE_PGM_RSRC2:TGID_X_EN: 1
; COMPUTE_PGM_RSRC2:TGID_Y_EN: 0
; COMPUTE_PGM_RSRC2:TGID_Z_EN: 0
; COMPUTE_PGM_RSRC2:TIDIG_COMP_CNT: 0
; COMPUTE_PGM_RSRC3_GFX90A:ACCUM_OFFSET: 0
; COMPUTE_PGM_RSRC3_GFX90A:TG_SPLIT: 0
	.section	.text._ZN7rocprim17ROCPRIM_400000_NS6detail17trampoline_kernelINS0_14default_configENS1_25transform_config_selectorIlLb0EEEZNS1_14transform_implILb0ES3_S5_NS0_18transform_iteratorINS0_17counting_iteratorImlEEZNS1_24adjacent_difference_implIS3_Lb1ELb0EPlSB_ZN2at6native12_GLOBAL__N_124unique_dim_cuda_templateIfEESt5tupleIJNSC_6TensorESH_SH_EERKSH_lbbbEUlllE1_EE10hipError_tPvRmT2_T3_mT4_P12ihipStream_tbEUlmE_lEESB_NS0_8identityIvEEEESM_SP_SQ_mSR_ST_bEUlT_E_NS1_11comp_targetILNS1_3genE8ELNS1_11target_archE1030ELNS1_3gpuE2ELNS1_3repE0EEENS1_30default_config_static_selectorELNS0_4arch9wavefront6targetE1EEEvT1_,"axG",@progbits,_ZN7rocprim17ROCPRIM_400000_NS6detail17trampoline_kernelINS0_14default_configENS1_25transform_config_selectorIlLb0EEEZNS1_14transform_implILb0ES3_S5_NS0_18transform_iteratorINS0_17counting_iteratorImlEEZNS1_24adjacent_difference_implIS3_Lb1ELb0EPlSB_ZN2at6native12_GLOBAL__N_124unique_dim_cuda_templateIfEESt5tupleIJNSC_6TensorESH_SH_EERKSH_lbbbEUlllE1_EE10hipError_tPvRmT2_T3_mT4_P12ihipStream_tbEUlmE_lEESB_NS0_8identityIvEEEESM_SP_SQ_mSR_ST_bEUlT_E_NS1_11comp_targetILNS1_3genE8ELNS1_11target_archE1030ELNS1_3gpuE2ELNS1_3repE0EEENS1_30default_config_static_selectorELNS0_4arch9wavefront6targetE1EEEvT1_,comdat
	.globl	_ZN7rocprim17ROCPRIM_400000_NS6detail17trampoline_kernelINS0_14default_configENS1_25transform_config_selectorIlLb0EEEZNS1_14transform_implILb0ES3_S5_NS0_18transform_iteratorINS0_17counting_iteratorImlEEZNS1_24adjacent_difference_implIS3_Lb1ELb0EPlSB_ZN2at6native12_GLOBAL__N_124unique_dim_cuda_templateIfEESt5tupleIJNSC_6TensorESH_SH_EERKSH_lbbbEUlllE1_EE10hipError_tPvRmT2_T3_mT4_P12ihipStream_tbEUlmE_lEESB_NS0_8identityIvEEEESM_SP_SQ_mSR_ST_bEUlT_E_NS1_11comp_targetILNS1_3genE8ELNS1_11target_archE1030ELNS1_3gpuE2ELNS1_3repE0EEENS1_30default_config_static_selectorELNS0_4arch9wavefront6targetE1EEEvT1_ ; -- Begin function _ZN7rocprim17ROCPRIM_400000_NS6detail17trampoline_kernelINS0_14default_configENS1_25transform_config_selectorIlLb0EEEZNS1_14transform_implILb0ES3_S5_NS0_18transform_iteratorINS0_17counting_iteratorImlEEZNS1_24adjacent_difference_implIS3_Lb1ELb0EPlSB_ZN2at6native12_GLOBAL__N_124unique_dim_cuda_templateIfEESt5tupleIJNSC_6TensorESH_SH_EERKSH_lbbbEUlllE1_EE10hipError_tPvRmT2_T3_mT4_P12ihipStream_tbEUlmE_lEESB_NS0_8identityIvEEEESM_SP_SQ_mSR_ST_bEUlT_E_NS1_11comp_targetILNS1_3genE8ELNS1_11target_archE1030ELNS1_3gpuE2ELNS1_3repE0EEENS1_30default_config_static_selectorELNS0_4arch9wavefront6targetE1EEEvT1_
	.p2align	8
	.type	_ZN7rocprim17ROCPRIM_400000_NS6detail17trampoline_kernelINS0_14default_configENS1_25transform_config_selectorIlLb0EEEZNS1_14transform_implILb0ES3_S5_NS0_18transform_iteratorINS0_17counting_iteratorImlEEZNS1_24adjacent_difference_implIS3_Lb1ELb0EPlSB_ZN2at6native12_GLOBAL__N_124unique_dim_cuda_templateIfEESt5tupleIJNSC_6TensorESH_SH_EERKSH_lbbbEUlllE1_EE10hipError_tPvRmT2_T3_mT4_P12ihipStream_tbEUlmE_lEESB_NS0_8identityIvEEEESM_SP_SQ_mSR_ST_bEUlT_E_NS1_11comp_targetILNS1_3genE8ELNS1_11target_archE1030ELNS1_3gpuE2ELNS1_3repE0EEENS1_30default_config_static_selectorELNS0_4arch9wavefront6targetE1EEEvT1_,@function
_ZN7rocprim17ROCPRIM_400000_NS6detail17trampoline_kernelINS0_14default_configENS1_25transform_config_selectorIlLb0EEEZNS1_14transform_implILb0ES3_S5_NS0_18transform_iteratorINS0_17counting_iteratorImlEEZNS1_24adjacent_difference_implIS3_Lb1ELb0EPlSB_ZN2at6native12_GLOBAL__N_124unique_dim_cuda_templateIfEESt5tupleIJNSC_6TensorESH_SH_EERKSH_lbbbEUlllE1_EE10hipError_tPvRmT2_T3_mT4_P12ihipStream_tbEUlmE_lEESB_NS0_8identityIvEEEESM_SP_SQ_mSR_ST_bEUlT_E_NS1_11comp_targetILNS1_3genE8ELNS1_11target_archE1030ELNS1_3gpuE2ELNS1_3repE0EEENS1_30default_config_static_selectorELNS0_4arch9wavefront6targetE1EEEvT1_: ; @_ZN7rocprim17ROCPRIM_400000_NS6detail17trampoline_kernelINS0_14default_configENS1_25transform_config_selectorIlLb0EEEZNS1_14transform_implILb0ES3_S5_NS0_18transform_iteratorINS0_17counting_iteratorImlEEZNS1_24adjacent_difference_implIS3_Lb1ELb0EPlSB_ZN2at6native12_GLOBAL__N_124unique_dim_cuda_templateIfEESt5tupleIJNSC_6TensorESH_SH_EERKSH_lbbbEUlllE1_EE10hipError_tPvRmT2_T3_mT4_P12ihipStream_tbEUlmE_lEESB_NS0_8identityIvEEEESM_SP_SQ_mSR_ST_bEUlT_E_NS1_11comp_targetILNS1_3genE8ELNS1_11target_archE1030ELNS1_3gpuE2ELNS1_3repE0EEENS1_30default_config_static_selectorELNS0_4arch9wavefront6targetE1EEEvT1_
; %bb.0:
	.section	.rodata,"a",@progbits
	.p2align	6, 0x0
	.amdhsa_kernel _ZN7rocprim17ROCPRIM_400000_NS6detail17trampoline_kernelINS0_14default_configENS1_25transform_config_selectorIlLb0EEEZNS1_14transform_implILb0ES3_S5_NS0_18transform_iteratorINS0_17counting_iteratorImlEEZNS1_24adjacent_difference_implIS3_Lb1ELb0EPlSB_ZN2at6native12_GLOBAL__N_124unique_dim_cuda_templateIfEESt5tupleIJNSC_6TensorESH_SH_EERKSH_lbbbEUlllE1_EE10hipError_tPvRmT2_T3_mT4_P12ihipStream_tbEUlmE_lEESB_NS0_8identityIvEEEESM_SP_SQ_mSR_ST_bEUlT_E_NS1_11comp_targetILNS1_3genE8ELNS1_11target_archE1030ELNS1_3gpuE2ELNS1_3repE0EEENS1_30default_config_static_selectorELNS0_4arch9wavefront6targetE1EEEvT1_
		.amdhsa_group_segment_fixed_size 0
		.amdhsa_private_segment_fixed_size 0
		.amdhsa_kernarg_size 56
		.amdhsa_user_sgpr_count 2
		.amdhsa_user_sgpr_dispatch_ptr 0
		.amdhsa_user_sgpr_queue_ptr 0
		.amdhsa_user_sgpr_kernarg_segment_ptr 1
		.amdhsa_user_sgpr_dispatch_id 0
		.amdhsa_user_sgpr_kernarg_preload_length 0
		.amdhsa_user_sgpr_kernarg_preload_offset 0
		.amdhsa_user_sgpr_private_segment_size 0
		.amdhsa_uses_dynamic_stack 0
		.amdhsa_enable_private_segment 0
		.amdhsa_system_sgpr_workgroup_id_x 1
		.amdhsa_system_sgpr_workgroup_id_y 0
		.amdhsa_system_sgpr_workgroup_id_z 0
		.amdhsa_system_sgpr_workgroup_info 0
		.amdhsa_system_vgpr_workitem_id 0
		.amdhsa_next_free_vgpr 1
		.amdhsa_next_free_sgpr 0
		.amdhsa_accum_offset 4
		.amdhsa_reserve_vcc 0
		.amdhsa_float_round_mode_32 0
		.amdhsa_float_round_mode_16_64 0
		.amdhsa_float_denorm_mode_32 3
		.amdhsa_float_denorm_mode_16_64 3
		.amdhsa_dx10_clamp 1
		.amdhsa_ieee_mode 1
		.amdhsa_fp16_overflow 0
		.amdhsa_tg_split 0
		.amdhsa_exception_fp_ieee_invalid_op 0
		.amdhsa_exception_fp_denorm_src 0
		.amdhsa_exception_fp_ieee_div_zero 0
		.amdhsa_exception_fp_ieee_overflow 0
		.amdhsa_exception_fp_ieee_underflow 0
		.amdhsa_exception_fp_ieee_inexact 0
		.amdhsa_exception_int_div_zero 0
	.end_amdhsa_kernel
	.section	.text._ZN7rocprim17ROCPRIM_400000_NS6detail17trampoline_kernelINS0_14default_configENS1_25transform_config_selectorIlLb0EEEZNS1_14transform_implILb0ES3_S5_NS0_18transform_iteratorINS0_17counting_iteratorImlEEZNS1_24adjacent_difference_implIS3_Lb1ELb0EPlSB_ZN2at6native12_GLOBAL__N_124unique_dim_cuda_templateIfEESt5tupleIJNSC_6TensorESH_SH_EERKSH_lbbbEUlllE1_EE10hipError_tPvRmT2_T3_mT4_P12ihipStream_tbEUlmE_lEESB_NS0_8identityIvEEEESM_SP_SQ_mSR_ST_bEUlT_E_NS1_11comp_targetILNS1_3genE8ELNS1_11target_archE1030ELNS1_3gpuE2ELNS1_3repE0EEENS1_30default_config_static_selectorELNS0_4arch9wavefront6targetE1EEEvT1_,"axG",@progbits,_ZN7rocprim17ROCPRIM_400000_NS6detail17trampoline_kernelINS0_14default_configENS1_25transform_config_selectorIlLb0EEEZNS1_14transform_implILb0ES3_S5_NS0_18transform_iteratorINS0_17counting_iteratorImlEEZNS1_24adjacent_difference_implIS3_Lb1ELb0EPlSB_ZN2at6native12_GLOBAL__N_124unique_dim_cuda_templateIfEESt5tupleIJNSC_6TensorESH_SH_EERKSH_lbbbEUlllE1_EE10hipError_tPvRmT2_T3_mT4_P12ihipStream_tbEUlmE_lEESB_NS0_8identityIvEEEESM_SP_SQ_mSR_ST_bEUlT_E_NS1_11comp_targetILNS1_3genE8ELNS1_11target_archE1030ELNS1_3gpuE2ELNS1_3repE0EEENS1_30default_config_static_selectorELNS0_4arch9wavefront6targetE1EEEvT1_,comdat
.Lfunc_end927:
	.size	_ZN7rocprim17ROCPRIM_400000_NS6detail17trampoline_kernelINS0_14default_configENS1_25transform_config_selectorIlLb0EEEZNS1_14transform_implILb0ES3_S5_NS0_18transform_iteratorINS0_17counting_iteratorImlEEZNS1_24adjacent_difference_implIS3_Lb1ELb0EPlSB_ZN2at6native12_GLOBAL__N_124unique_dim_cuda_templateIfEESt5tupleIJNSC_6TensorESH_SH_EERKSH_lbbbEUlllE1_EE10hipError_tPvRmT2_T3_mT4_P12ihipStream_tbEUlmE_lEESB_NS0_8identityIvEEEESM_SP_SQ_mSR_ST_bEUlT_E_NS1_11comp_targetILNS1_3genE8ELNS1_11target_archE1030ELNS1_3gpuE2ELNS1_3repE0EEENS1_30default_config_static_selectorELNS0_4arch9wavefront6targetE1EEEvT1_, .Lfunc_end927-_ZN7rocprim17ROCPRIM_400000_NS6detail17trampoline_kernelINS0_14default_configENS1_25transform_config_selectorIlLb0EEEZNS1_14transform_implILb0ES3_S5_NS0_18transform_iteratorINS0_17counting_iteratorImlEEZNS1_24adjacent_difference_implIS3_Lb1ELb0EPlSB_ZN2at6native12_GLOBAL__N_124unique_dim_cuda_templateIfEESt5tupleIJNSC_6TensorESH_SH_EERKSH_lbbbEUlllE1_EE10hipError_tPvRmT2_T3_mT4_P12ihipStream_tbEUlmE_lEESB_NS0_8identityIvEEEESM_SP_SQ_mSR_ST_bEUlT_E_NS1_11comp_targetILNS1_3genE8ELNS1_11target_archE1030ELNS1_3gpuE2ELNS1_3repE0EEENS1_30default_config_static_selectorELNS0_4arch9wavefront6targetE1EEEvT1_
                                        ; -- End function
	.section	.AMDGPU.csdata,"",@progbits
; Kernel info:
; codeLenInByte = 0
; NumSgprs: 6
; NumVgprs: 0
; NumAgprs: 0
; TotalNumVgprs: 0
; ScratchSize: 0
; MemoryBound: 0
; FloatMode: 240
; IeeeMode: 1
; LDSByteSize: 0 bytes/workgroup (compile time only)
; SGPRBlocks: 0
; VGPRBlocks: 0
; NumSGPRsForWavesPerEU: 6
; NumVGPRsForWavesPerEU: 1
; AccumOffset: 4
; Occupancy: 8
; WaveLimiterHint : 0
; COMPUTE_PGM_RSRC2:SCRATCH_EN: 0
; COMPUTE_PGM_RSRC2:USER_SGPR: 2
; COMPUTE_PGM_RSRC2:TRAP_HANDLER: 0
; COMPUTE_PGM_RSRC2:TGID_X_EN: 1
; COMPUTE_PGM_RSRC2:TGID_Y_EN: 0
; COMPUTE_PGM_RSRC2:TGID_Z_EN: 0
; COMPUTE_PGM_RSRC2:TIDIG_COMP_CNT: 0
; COMPUTE_PGM_RSRC3_GFX90A:ACCUM_OFFSET: 0
; COMPUTE_PGM_RSRC3_GFX90A:TG_SPLIT: 0
	.section	.text._ZN7rocprim17ROCPRIM_400000_NS6detail17trampoline_kernelINS0_14default_configENS1_35adjacent_difference_config_selectorILb1ElEEZNS1_24adjacent_difference_implIS3_Lb1ELb0EPlS7_ZN2at6native12_GLOBAL__N_124unique_dim_cuda_templateIfEESt5tupleIJNS8_6TensorESD_SD_EERKSD_lbbbEUlllE1_EE10hipError_tPvRmT2_T3_mT4_P12ihipStream_tbEUlT_E_NS1_11comp_targetILNS1_3genE0ELNS1_11target_archE4294967295ELNS1_3gpuE0ELNS1_3repE0EEENS1_30default_config_static_selectorELNS0_4arch9wavefront6targetE1EEEvT1_,"axG",@progbits,_ZN7rocprim17ROCPRIM_400000_NS6detail17trampoline_kernelINS0_14default_configENS1_35adjacent_difference_config_selectorILb1ElEEZNS1_24adjacent_difference_implIS3_Lb1ELb0EPlS7_ZN2at6native12_GLOBAL__N_124unique_dim_cuda_templateIfEESt5tupleIJNS8_6TensorESD_SD_EERKSD_lbbbEUlllE1_EE10hipError_tPvRmT2_T3_mT4_P12ihipStream_tbEUlT_E_NS1_11comp_targetILNS1_3genE0ELNS1_11target_archE4294967295ELNS1_3gpuE0ELNS1_3repE0EEENS1_30default_config_static_selectorELNS0_4arch9wavefront6targetE1EEEvT1_,comdat
	.globl	_ZN7rocprim17ROCPRIM_400000_NS6detail17trampoline_kernelINS0_14default_configENS1_35adjacent_difference_config_selectorILb1ElEEZNS1_24adjacent_difference_implIS3_Lb1ELb0EPlS7_ZN2at6native12_GLOBAL__N_124unique_dim_cuda_templateIfEESt5tupleIJNS8_6TensorESD_SD_EERKSD_lbbbEUlllE1_EE10hipError_tPvRmT2_T3_mT4_P12ihipStream_tbEUlT_E_NS1_11comp_targetILNS1_3genE0ELNS1_11target_archE4294967295ELNS1_3gpuE0ELNS1_3repE0EEENS1_30default_config_static_selectorELNS0_4arch9wavefront6targetE1EEEvT1_ ; -- Begin function _ZN7rocprim17ROCPRIM_400000_NS6detail17trampoline_kernelINS0_14default_configENS1_35adjacent_difference_config_selectorILb1ElEEZNS1_24adjacent_difference_implIS3_Lb1ELb0EPlS7_ZN2at6native12_GLOBAL__N_124unique_dim_cuda_templateIfEESt5tupleIJNS8_6TensorESD_SD_EERKSD_lbbbEUlllE1_EE10hipError_tPvRmT2_T3_mT4_P12ihipStream_tbEUlT_E_NS1_11comp_targetILNS1_3genE0ELNS1_11target_archE4294967295ELNS1_3gpuE0ELNS1_3repE0EEENS1_30default_config_static_selectorELNS0_4arch9wavefront6targetE1EEEvT1_
	.p2align	8
	.type	_ZN7rocprim17ROCPRIM_400000_NS6detail17trampoline_kernelINS0_14default_configENS1_35adjacent_difference_config_selectorILb1ElEEZNS1_24adjacent_difference_implIS3_Lb1ELb0EPlS7_ZN2at6native12_GLOBAL__N_124unique_dim_cuda_templateIfEESt5tupleIJNS8_6TensorESD_SD_EERKSD_lbbbEUlllE1_EE10hipError_tPvRmT2_T3_mT4_P12ihipStream_tbEUlT_E_NS1_11comp_targetILNS1_3genE0ELNS1_11target_archE4294967295ELNS1_3gpuE0ELNS1_3repE0EEENS1_30default_config_static_selectorELNS0_4arch9wavefront6targetE1EEEvT1_,@function
_ZN7rocprim17ROCPRIM_400000_NS6detail17trampoline_kernelINS0_14default_configENS1_35adjacent_difference_config_selectorILb1ElEEZNS1_24adjacent_difference_implIS3_Lb1ELb0EPlS7_ZN2at6native12_GLOBAL__N_124unique_dim_cuda_templateIfEESt5tupleIJNS8_6TensorESD_SD_EERKSD_lbbbEUlllE1_EE10hipError_tPvRmT2_T3_mT4_P12ihipStream_tbEUlT_E_NS1_11comp_targetILNS1_3genE0ELNS1_11target_archE4294967295ELNS1_3gpuE0ELNS1_3repE0EEENS1_30default_config_static_selectorELNS0_4arch9wavefront6targetE1EEEvT1_: ; @_ZN7rocprim17ROCPRIM_400000_NS6detail17trampoline_kernelINS0_14default_configENS1_35adjacent_difference_config_selectorILb1ElEEZNS1_24adjacent_difference_implIS3_Lb1ELb0EPlS7_ZN2at6native12_GLOBAL__N_124unique_dim_cuda_templateIfEESt5tupleIJNS8_6TensorESD_SD_EERKSD_lbbbEUlllE1_EE10hipError_tPvRmT2_T3_mT4_P12ihipStream_tbEUlT_E_NS1_11comp_targetILNS1_3genE0ELNS1_11target_archE4294967295ELNS1_3gpuE0ELNS1_3repE0EEENS1_30default_config_static_selectorELNS0_4arch9wavefront6targetE1EEEvT1_
; %bb.0:
	.section	.rodata,"a",@progbits
	.p2align	6, 0x0
	.amdhsa_kernel _ZN7rocprim17ROCPRIM_400000_NS6detail17trampoline_kernelINS0_14default_configENS1_35adjacent_difference_config_selectorILb1ElEEZNS1_24adjacent_difference_implIS3_Lb1ELb0EPlS7_ZN2at6native12_GLOBAL__N_124unique_dim_cuda_templateIfEESt5tupleIJNS8_6TensorESD_SD_EERKSD_lbbbEUlllE1_EE10hipError_tPvRmT2_T3_mT4_P12ihipStream_tbEUlT_E_NS1_11comp_targetILNS1_3genE0ELNS1_11target_archE4294967295ELNS1_3gpuE0ELNS1_3repE0EEENS1_30default_config_static_selectorELNS0_4arch9wavefront6targetE1EEEvT1_
		.amdhsa_group_segment_fixed_size 0
		.amdhsa_private_segment_fixed_size 0
		.amdhsa_kernarg_size 64
		.amdhsa_user_sgpr_count 2
		.amdhsa_user_sgpr_dispatch_ptr 0
		.amdhsa_user_sgpr_queue_ptr 0
		.amdhsa_user_sgpr_kernarg_segment_ptr 1
		.amdhsa_user_sgpr_dispatch_id 0
		.amdhsa_user_sgpr_kernarg_preload_length 0
		.amdhsa_user_sgpr_kernarg_preload_offset 0
		.amdhsa_user_sgpr_private_segment_size 0
		.amdhsa_uses_dynamic_stack 0
		.amdhsa_enable_private_segment 0
		.amdhsa_system_sgpr_workgroup_id_x 1
		.amdhsa_system_sgpr_workgroup_id_y 0
		.amdhsa_system_sgpr_workgroup_id_z 0
		.amdhsa_system_sgpr_workgroup_info 0
		.amdhsa_system_vgpr_workitem_id 0
		.amdhsa_next_free_vgpr 1
		.amdhsa_next_free_sgpr 0
		.amdhsa_accum_offset 4
		.amdhsa_reserve_vcc 0
		.amdhsa_float_round_mode_32 0
		.amdhsa_float_round_mode_16_64 0
		.amdhsa_float_denorm_mode_32 3
		.amdhsa_float_denorm_mode_16_64 3
		.amdhsa_dx10_clamp 1
		.amdhsa_ieee_mode 1
		.amdhsa_fp16_overflow 0
		.amdhsa_tg_split 0
		.amdhsa_exception_fp_ieee_invalid_op 0
		.amdhsa_exception_fp_denorm_src 0
		.amdhsa_exception_fp_ieee_div_zero 0
		.amdhsa_exception_fp_ieee_overflow 0
		.amdhsa_exception_fp_ieee_underflow 0
		.amdhsa_exception_fp_ieee_inexact 0
		.amdhsa_exception_int_div_zero 0
	.end_amdhsa_kernel
	.section	.text._ZN7rocprim17ROCPRIM_400000_NS6detail17trampoline_kernelINS0_14default_configENS1_35adjacent_difference_config_selectorILb1ElEEZNS1_24adjacent_difference_implIS3_Lb1ELb0EPlS7_ZN2at6native12_GLOBAL__N_124unique_dim_cuda_templateIfEESt5tupleIJNS8_6TensorESD_SD_EERKSD_lbbbEUlllE1_EE10hipError_tPvRmT2_T3_mT4_P12ihipStream_tbEUlT_E_NS1_11comp_targetILNS1_3genE0ELNS1_11target_archE4294967295ELNS1_3gpuE0ELNS1_3repE0EEENS1_30default_config_static_selectorELNS0_4arch9wavefront6targetE1EEEvT1_,"axG",@progbits,_ZN7rocprim17ROCPRIM_400000_NS6detail17trampoline_kernelINS0_14default_configENS1_35adjacent_difference_config_selectorILb1ElEEZNS1_24adjacent_difference_implIS3_Lb1ELb0EPlS7_ZN2at6native12_GLOBAL__N_124unique_dim_cuda_templateIfEESt5tupleIJNS8_6TensorESD_SD_EERKSD_lbbbEUlllE1_EE10hipError_tPvRmT2_T3_mT4_P12ihipStream_tbEUlT_E_NS1_11comp_targetILNS1_3genE0ELNS1_11target_archE4294967295ELNS1_3gpuE0ELNS1_3repE0EEENS1_30default_config_static_selectorELNS0_4arch9wavefront6targetE1EEEvT1_,comdat
.Lfunc_end928:
	.size	_ZN7rocprim17ROCPRIM_400000_NS6detail17trampoline_kernelINS0_14default_configENS1_35adjacent_difference_config_selectorILb1ElEEZNS1_24adjacent_difference_implIS3_Lb1ELb0EPlS7_ZN2at6native12_GLOBAL__N_124unique_dim_cuda_templateIfEESt5tupleIJNS8_6TensorESD_SD_EERKSD_lbbbEUlllE1_EE10hipError_tPvRmT2_T3_mT4_P12ihipStream_tbEUlT_E_NS1_11comp_targetILNS1_3genE0ELNS1_11target_archE4294967295ELNS1_3gpuE0ELNS1_3repE0EEENS1_30default_config_static_selectorELNS0_4arch9wavefront6targetE1EEEvT1_, .Lfunc_end928-_ZN7rocprim17ROCPRIM_400000_NS6detail17trampoline_kernelINS0_14default_configENS1_35adjacent_difference_config_selectorILb1ElEEZNS1_24adjacent_difference_implIS3_Lb1ELb0EPlS7_ZN2at6native12_GLOBAL__N_124unique_dim_cuda_templateIfEESt5tupleIJNS8_6TensorESD_SD_EERKSD_lbbbEUlllE1_EE10hipError_tPvRmT2_T3_mT4_P12ihipStream_tbEUlT_E_NS1_11comp_targetILNS1_3genE0ELNS1_11target_archE4294967295ELNS1_3gpuE0ELNS1_3repE0EEENS1_30default_config_static_selectorELNS0_4arch9wavefront6targetE1EEEvT1_
                                        ; -- End function
	.section	.AMDGPU.csdata,"",@progbits
; Kernel info:
; codeLenInByte = 0
; NumSgprs: 6
; NumVgprs: 0
; NumAgprs: 0
; TotalNumVgprs: 0
; ScratchSize: 0
; MemoryBound: 0
; FloatMode: 240
; IeeeMode: 1
; LDSByteSize: 0 bytes/workgroup (compile time only)
; SGPRBlocks: 0
; VGPRBlocks: 0
; NumSGPRsForWavesPerEU: 6
; NumVGPRsForWavesPerEU: 1
; AccumOffset: 4
; Occupancy: 8
; WaveLimiterHint : 0
; COMPUTE_PGM_RSRC2:SCRATCH_EN: 0
; COMPUTE_PGM_RSRC2:USER_SGPR: 2
; COMPUTE_PGM_RSRC2:TRAP_HANDLER: 0
; COMPUTE_PGM_RSRC2:TGID_X_EN: 1
; COMPUTE_PGM_RSRC2:TGID_Y_EN: 0
; COMPUTE_PGM_RSRC2:TGID_Z_EN: 0
; COMPUTE_PGM_RSRC2:TIDIG_COMP_CNT: 0
; COMPUTE_PGM_RSRC3_GFX90A:ACCUM_OFFSET: 0
; COMPUTE_PGM_RSRC3_GFX90A:TG_SPLIT: 0
	.section	.text._ZN7rocprim17ROCPRIM_400000_NS6detail17trampoline_kernelINS0_14default_configENS1_35adjacent_difference_config_selectorILb1ElEEZNS1_24adjacent_difference_implIS3_Lb1ELb0EPlS7_ZN2at6native12_GLOBAL__N_124unique_dim_cuda_templateIfEESt5tupleIJNS8_6TensorESD_SD_EERKSD_lbbbEUlllE1_EE10hipError_tPvRmT2_T3_mT4_P12ihipStream_tbEUlT_E_NS1_11comp_targetILNS1_3genE10ELNS1_11target_archE1201ELNS1_3gpuE5ELNS1_3repE0EEENS1_30default_config_static_selectorELNS0_4arch9wavefront6targetE1EEEvT1_,"axG",@progbits,_ZN7rocprim17ROCPRIM_400000_NS6detail17trampoline_kernelINS0_14default_configENS1_35adjacent_difference_config_selectorILb1ElEEZNS1_24adjacent_difference_implIS3_Lb1ELb0EPlS7_ZN2at6native12_GLOBAL__N_124unique_dim_cuda_templateIfEESt5tupleIJNS8_6TensorESD_SD_EERKSD_lbbbEUlllE1_EE10hipError_tPvRmT2_T3_mT4_P12ihipStream_tbEUlT_E_NS1_11comp_targetILNS1_3genE10ELNS1_11target_archE1201ELNS1_3gpuE5ELNS1_3repE0EEENS1_30default_config_static_selectorELNS0_4arch9wavefront6targetE1EEEvT1_,comdat
	.globl	_ZN7rocprim17ROCPRIM_400000_NS6detail17trampoline_kernelINS0_14default_configENS1_35adjacent_difference_config_selectorILb1ElEEZNS1_24adjacent_difference_implIS3_Lb1ELb0EPlS7_ZN2at6native12_GLOBAL__N_124unique_dim_cuda_templateIfEESt5tupleIJNS8_6TensorESD_SD_EERKSD_lbbbEUlllE1_EE10hipError_tPvRmT2_T3_mT4_P12ihipStream_tbEUlT_E_NS1_11comp_targetILNS1_3genE10ELNS1_11target_archE1201ELNS1_3gpuE5ELNS1_3repE0EEENS1_30default_config_static_selectorELNS0_4arch9wavefront6targetE1EEEvT1_ ; -- Begin function _ZN7rocprim17ROCPRIM_400000_NS6detail17trampoline_kernelINS0_14default_configENS1_35adjacent_difference_config_selectorILb1ElEEZNS1_24adjacent_difference_implIS3_Lb1ELb0EPlS7_ZN2at6native12_GLOBAL__N_124unique_dim_cuda_templateIfEESt5tupleIJNS8_6TensorESD_SD_EERKSD_lbbbEUlllE1_EE10hipError_tPvRmT2_T3_mT4_P12ihipStream_tbEUlT_E_NS1_11comp_targetILNS1_3genE10ELNS1_11target_archE1201ELNS1_3gpuE5ELNS1_3repE0EEENS1_30default_config_static_selectorELNS0_4arch9wavefront6targetE1EEEvT1_
	.p2align	8
	.type	_ZN7rocprim17ROCPRIM_400000_NS6detail17trampoline_kernelINS0_14default_configENS1_35adjacent_difference_config_selectorILb1ElEEZNS1_24adjacent_difference_implIS3_Lb1ELb0EPlS7_ZN2at6native12_GLOBAL__N_124unique_dim_cuda_templateIfEESt5tupleIJNS8_6TensorESD_SD_EERKSD_lbbbEUlllE1_EE10hipError_tPvRmT2_T3_mT4_P12ihipStream_tbEUlT_E_NS1_11comp_targetILNS1_3genE10ELNS1_11target_archE1201ELNS1_3gpuE5ELNS1_3repE0EEENS1_30default_config_static_selectorELNS0_4arch9wavefront6targetE1EEEvT1_,@function
_ZN7rocprim17ROCPRIM_400000_NS6detail17trampoline_kernelINS0_14default_configENS1_35adjacent_difference_config_selectorILb1ElEEZNS1_24adjacent_difference_implIS3_Lb1ELb0EPlS7_ZN2at6native12_GLOBAL__N_124unique_dim_cuda_templateIfEESt5tupleIJNS8_6TensorESD_SD_EERKSD_lbbbEUlllE1_EE10hipError_tPvRmT2_T3_mT4_P12ihipStream_tbEUlT_E_NS1_11comp_targetILNS1_3genE10ELNS1_11target_archE1201ELNS1_3gpuE5ELNS1_3repE0EEENS1_30default_config_static_selectorELNS0_4arch9wavefront6targetE1EEEvT1_: ; @_ZN7rocprim17ROCPRIM_400000_NS6detail17trampoline_kernelINS0_14default_configENS1_35adjacent_difference_config_selectorILb1ElEEZNS1_24adjacent_difference_implIS3_Lb1ELb0EPlS7_ZN2at6native12_GLOBAL__N_124unique_dim_cuda_templateIfEESt5tupleIJNS8_6TensorESD_SD_EERKSD_lbbbEUlllE1_EE10hipError_tPvRmT2_T3_mT4_P12ihipStream_tbEUlT_E_NS1_11comp_targetILNS1_3genE10ELNS1_11target_archE1201ELNS1_3gpuE5ELNS1_3repE0EEENS1_30default_config_static_selectorELNS0_4arch9wavefront6targetE1EEEvT1_
; %bb.0:
	.section	.rodata,"a",@progbits
	.p2align	6, 0x0
	.amdhsa_kernel _ZN7rocprim17ROCPRIM_400000_NS6detail17trampoline_kernelINS0_14default_configENS1_35adjacent_difference_config_selectorILb1ElEEZNS1_24adjacent_difference_implIS3_Lb1ELb0EPlS7_ZN2at6native12_GLOBAL__N_124unique_dim_cuda_templateIfEESt5tupleIJNS8_6TensorESD_SD_EERKSD_lbbbEUlllE1_EE10hipError_tPvRmT2_T3_mT4_P12ihipStream_tbEUlT_E_NS1_11comp_targetILNS1_3genE10ELNS1_11target_archE1201ELNS1_3gpuE5ELNS1_3repE0EEENS1_30default_config_static_selectorELNS0_4arch9wavefront6targetE1EEEvT1_
		.amdhsa_group_segment_fixed_size 0
		.amdhsa_private_segment_fixed_size 0
		.amdhsa_kernarg_size 64
		.amdhsa_user_sgpr_count 2
		.amdhsa_user_sgpr_dispatch_ptr 0
		.amdhsa_user_sgpr_queue_ptr 0
		.amdhsa_user_sgpr_kernarg_segment_ptr 1
		.amdhsa_user_sgpr_dispatch_id 0
		.amdhsa_user_sgpr_kernarg_preload_length 0
		.amdhsa_user_sgpr_kernarg_preload_offset 0
		.amdhsa_user_sgpr_private_segment_size 0
		.amdhsa_uses_dynamic_stack 0
		.amdhsa_enable_private_segment 0
		.amdhsa_system_sgpr_workgroup_id_x 1
		.amdhsa_system_sgpr_workgroup_id_y 0
		.amdhsa_system_sgpr_workgroup_id_z 0
		.amdhsa_system_sgpr_workgroup_info 0
		.amdhsa_system_vgpr_workitem_id 0
		.amdhsa_next_free_vgpr 1
		.amdhsa_next_free_sgpr 0
		.amdhsa_accum_offset 4
		.amdhsa_reserve_vcc 0
		.amdhsa_float_round_mode_32 0
		.amdhsa_float_round_mode_16_64 0
		.amdhsa_float_denorm_mode_32 3
		.amdhsa_float_denorm_mode_16_64 3
		.amdhsa_dx10_clamp 1
		.amdhsa_ieee_mode 1
		.amdhsa_fp16_overflow 0
		.amdhsa_tg_split 0
		.amdhsa_exception_fp_ieee_invalid_op 0
		.amdhsa_exception_fp_denorm_src 0
		.amdhsa_exception_fp_ieee_div_zero 0
		.amdhsa_exception_fp_ieee_overflow 0
		.amdhsa_exception_fp_ieee_underflow 0
		.amdhsa_exception_fp_ieee_inexact 0
		.amdhsa_exception_int_div_zero 0
	.end_amdhsa_kernel
	.section	.text._ZN7rocprim17ROCPRIM_400000_NS6detail17trampoline_kernelINS0_14default_configENS1_35adjacent_difference_config_selectorILb1ElEEZNS1_24adjacent_difference_implIS3_Lb1ELb0EPlS7_ZN2at6native12_GLOBAL__N_124unique_dim_cuda_templateIfEESt5tupleIJNS8_6TensorESD_SD_EERKSD_lbbbEUlllE1_EE10hipError_tPvRmT2_T3_mT4_P12ihipStream_tbEUlT_E_NS1_11comp_targetILNS1_3genE10ELNS1_11target_archE1201ELNS1_3gpuE5ELNS1_3repE0EEENS1_30default_config_static_selectorELNS0_4arch9wavefront6targetE1EEEvT1_,"axG",@progbits,_ZN7rocprim17ROCPRIM_400000_NS6detail17trampoline_kernelINS0_14default_configENS1_35adjacent_difference_config_selectorILb1ElEEZNS1_24adjacent_difference_implIS3_Lb1ELb0EPlS7_ZN2at6native12_GLOBAL__N_124unique_dim_cuda_templateIfEESt5tupleIJNS8_6TensorESD_SD_EERKSD_lbbbEUlllE1_EE10hipError_tPvRmT2_T3_mT4_P12ihipStream_tbEUlT_E_NS1_11comp_targetILNS1_3genE10ELNS1_11target_archE1201ELNS1_3gpuE5ELNS1_3repE0EEENS1_30default_config_static_selectorELNS0_4arch9wavefront6targetE1EEEvT1_,comdat
.Lfunc_end929:
	.size	_ZN7rocprim17ROCPRIM_400000_NS6detail17trampoline_kernelINS0_14default_configENS1_35adjacent_difference_config_selectorILb1ElEEZNS1_24adjacent_difference_implIS3_Lb1ELb0EPlS7_ZN2at6native12_GLOBAL__N_124unique_dim_cuda_templateIfEESt5tupleIJNS8_6TensorESD_SD_EERKSD_lbbbEUlllE1_EE10hipError_tPvRmT2_T3_mT4_P12ihipStream_tbEUlT_E_NS1_11comp_targetILNS1_3genE10ELNS1_11target_archE1201ELNS1_3gpuE5ELNS1_3repE0EEENS1_30default_config_static_selectorELNS0_4arch9wavefront6targetE1EEEvT1_, .Lfunc_end929-_ZN7rocprim17ROCPRIM_400000_NS6detail17trampoline_kernelINS0_14default_configENS1_35adjacent_difference_config_selectorILb1ElEEZNS1_24adjacent_difference_implIS3_Lb1ELb0EPlS7_ZN2at6native12_GLOBAL__N_124unique_dim_cuda_templateIfEESt5tupleIJNS8_6TensorESD_SD_EERKSD_lbbbEUlllE1_EE10hipError_tPvRmT2_T3_mT4_P12ihipStream_tbEUlT_E_NS1_11comp_targetILNS1_3genE10ELNS1_11target_archE1201ELNS1_3gpuE5ELNS1_3repE0EEENS1_30default_config_static_selectorELNS0_4arch9wavefront6targetE1EEEvT1_
                                        ; -- End function
	.section	.AMDGPU.csdata,"",@progbits
; Kernel info:
; codeLenInByte = 0
; NumSgprs: 6
; NumVgprs: 0
; NumAgprs: 0
; TotalNumVgprs: 0
; ScratchSize: 0
; MemoryBound: 0
; FloatMode: 240
; IeeeMode: 1
; LDSByteSize: 0 bytes/workgroup (compile time only)
; SGPRBlocks: 0
; VGPRBlocks: 0
; NumSGPRsForWavesPerEU: 6
; NumVGPRsForWavesPerEU: 1
; AccumOffset: 4
; Occupancy: 8
; WaveLimiterHint : 0
; COMPUTE_PGM_RSRC2:SCRATCH_EN: 0
; COMPUTE_PGM_RSRC2:USER_SGPR: 2
; COMPUTE_PGM_RSRC2:TRAP_HANDLER: 0
; COMPUTE_PGM_RSRC2:TGID_X_EN: 1
; COMPUTE_PGM_RSRC2:TGID_Y_EN: 0
; COMPUTE_PGM_RSRC2:TGID_Z_EN: 0
; COMPUTE_PGM_RSRC2:TIDIG_COMP_CNT: 0
; COMPUTE_PGM_RSRC3_GFX90A:ACCUM_OFFSET: 0
; COMPUTE_PGM_RSRC3_GFX90A:TG_SPLIT: 0
	.section	.text._ZN7rocprim17ROCPRIM_400000_NS6detail17trampoline_kernelINS0_14default_configENS1_35adjacent_difference_config_selectorILb1ElEEZNS1_24adjacent_difference_implIS3_Lb1ELb0EPlS7_ZN2at6native12_GLOBAL__N_124unique_dim_cuda_templateIfEESt5tupleIJNS8_6TensorESD_SD_EERKSD_lbbbEUlllE1_EE10hipError_tPvRmT2_T3_mT4_P12ihipStream_tbEUlT_E_NS1_11comp_targetILNS1_3genE5ELNS1_11target_archE942ELNS1_3gpuE9ELNS1_3repE0EEENS1_30default_config_static_selectorELNS0_4arch9wavefront6targetE1EEEvT1_,"axG",@progbits,_ZN7rocprim17ROCPRIM_400000_NS6detail17trampoline_kernelINS0_14default_configENS1_35adjacent_difference_config_selectorILb1ElEEZNS1_24adjacent_difference_implIS3_Lb1ELb0EPlS7_ZN2at6native12_GLOBAL__N_124unique_dim_cuda_templateIfEESt5tupleIJNS8_6TensorESD_SD_EERKSD_lbbbEUlllE1_EE10hipError_tPvRmT2_T3_mT4_P12ihipStream_tbEUlT_E_NS1_11comp_targetILNS1_3genE5ELNS1_11target_archE942ELNS1_3gpuE9ELNS1_3repE0EEENS1_30default_config_static_selectorELNS0_4arch9wavefront6targetE1EEEvT1_,comdat
	.globl	_ZN7rocprim17ROCPRIM_400000_NS6detail17trampoline_kernelINS0_14default_configENS1_35adjacent_difference_config_selectorILb1ElEEZNS1_24adjacent_difference_implIS3_Lb1ELb0EPlS7_ZN2at6native12_GLOBAL__N_124unique_dim_cuda_templateIfEESt5tupleIJNS8_6TensorESD_SD_EERKSD_lbbbEUlllE1_EE10hipError_tPvRmT2_T3_mT4_P12ihipStream_tbEUlT_E_NS1_11comp_targetILNS1_3genE5ELNS1_11target_archE942ELNS1_3gpuE9ELNS1_3repE0EEENS1_30default_config_static_selectorELNS0_4arch9wavefront6targetE1EEEvT1_ ; -- Begin function _ZN7rocprim17ROCPRIM_400000_NS6detail17trampoline_kernelINS0_14default_configENS1_35adjacent_difference_config_selectorILb1ElEEZNS1_24adjacent_difference_implIS3_Lb1ELb0EPlS7_ZN2at6native12_GLOBAL__N_124unique_dim_cuda_templateIfEESt5tupleIJNS8_6TensorESD_SD_EERKSD_lbbbEUlllE1_EE10hipError_tPvRmT2_T3_mT4_P12ihipStream_tbEUlT_E_NS1_11comp_targetILNS1_3genE5ELNS1_11target_archE942ELNS1_3gpuE9ELNS1_3repE0EEENS1_30default_config_static_selectorELNS0_4arch9wavefront6targetE1EEEvT1_
	.p2align	8
	.type	_ZN7rocprim17ROCPRIM_400000_NS6detail17trampoline_kernelINS0_14default_configENS1_35adjacent_difference_config_selectorILb1ElEEZNS1_24adjacent_difference_implIS3_Lb1ELb0EPlS7_ZN2at6native12_GLOBAL__N_124unique_dim_cuda_templateIfEESt5tupleIJNS8_6TensorESD_SD_EERKSD_lbbbEUlllE1_EE10hipError_tPvRmT2_T3_mT4_P12ihipStream_tbEUlT_E_NS1_11comp_targetILNS1_3genE5ELNS1_11target_archE942ELNS1_3gpuE9ELNS1_3repE0EEENS1_30default_config_static_selectorELNS0_4arch9wavefront6targetE1EEEvT1_,@function
_ZN7rocprim17ROCPRIM_400000_NS6detail17trampoline_kernelINS0_14default_configENS1_35adjacent_difference_config_selectorILb1ElEEZNS1_24adjacent_difference_implIS3_Lb1ELb0EPlS7_ZN2at6native12_GLOBAL__N_124unique_dim_cuda_templateIfEESt5tupleIJNS8_6TensorESD_SD_EERKSD_lbbbEUlllE1_EE10hipError_tPvRmT2_T3_mT4_P12ihipStream_tbEUlT_E_NS1_11comp_targetILNS1_3genE5ELNS1_11target_archE942ELNS1_3gpuE9ELNS1_3repE0EEENS1_30default_config_static_selectorELNS0_4arch9wavefront6targetE1EEEvT1_: ; @_ZN7rocprim17ROCPRIM_400000_NS6detail17trampoline_kernelINS0_14default_configENS1_35adjacent_difference_config_selectorILb1ElEEZNS1_24adjacent_difference_implIS3_Lb1ELb0EPlS7_ZN2at6native12_GLOBAL__N_124unique_dim_cuda_templateIfEESt5tupleIJNS8_6TensorESD_SD_EERKSD_lbbbEUlllE1_EE10hipError_tPvRmT2_T3_mT4_P12ihipStream_tbEUlT_E_NS1_11comp_targetILNS1_3genE5ELNS1_11target_archE942ELNS1_3gpuE9ELNS1_3repE0EEENS1_30default_config_static_selectorELNS0_4arch9wavefront6targetE1EEEvT1_
; %bb.0:
	s_load_dwordx16 s[4:19], s[0:1], 0x0
	s_mov_b32 s1, 0x545d15a0
	v_bfrev_b32_e32 v1, 4
	s_movk_i32 s0, 0xb00
	s_mul_i32 s20, s2, 0xb00
	s_waitcnt lgkmcnt(0)
	s_lshl_b64 s[6:7], s[6:7], 3
	s_add_u32 s30, s4, s6
	s_addc_u32 s31, s5, s7
	s_add_u32 s1, 0x74, s1
	s_addc_u32 s4, 0, 0
	v_add_co_u32_e32 v1, vcc, s1, v1
	s_cmp_lg_u64 vcc, 0
	v_readfirstlane_b32 s5, v1
	s_addc_u32 s1, s4, 0x1745d1
	s_mul_hi_u32 s21, s5, 0xfffff500
	s_mul_i32 s4, s1, 0xfffff500
	s_sub_i32 s21, s21, s5
	s_add_i32 s21, s21, s4
	s_mul_i32 s23, s5, 0xfffff500
	s_mul_hi_u32 s4, s5, s21
	s_mul_i32 s22, s5, s21
	s_mul_hi_u32 s5, s5, s23
	s_add_u32 s5, s5, s22
	s_addc_u32 s4, 0, s4
	s_mul_hi_u32 s24, s1, s23
	s_mul_i32 s23, s1, s23
	s_add_u32 s5, s5, s23
	s_mul_hi_u32 s22, s1, s21
	s_addc_u32 s4, s4, s24
	s_addc_u32 s5, s22, 0
	s_mul_i32 s21, s1, s21
	s_add_u32 s4, s4, s21
	s_addc_u32 s5, 0, s5
	v_add_co_u32_e32 v1, vcc, s4, v1
	s_cmp_lg_u64 vcc, 0
	s_addc_u32 s1, s1, s5
	v_readfirstlane_b32 s21, v1
	s_mul_i32 s5, s10, s1
	s_mul_hi_u32 s22, s10, s21
	s_mul_hi_u32 s4, s10, s1
	s_add_u32 s5, s22, s5
	s_addc_u32 s4, 0, s4
	s_mul_hi_u32 s23, s11, s21
	s_mul_i32 s21, s11, s21
	s_add_u32 s5, s5, s21
	s_mul_hi_u32 s22, s11, s1
	s_addc_u32 s4, s4, s23
	s_addc_u32 s5, s22, 0
	s_mul_i32 s1, s11, s1
	s_add_u32 s1, s4, s1
	s_addc_u32 s4, 0, s5
	s_add_u32 s5, s1, 1
	s_addc_u32 s21, s4, 0
	s_add_u32 s22, s1, 2
	s_mul_i32 s24, s4, 0xb00
	s_mul_hi_u32 s25, s1, 0xb00
	s_addc_u32 s23, s4, 0
	s_add_i32 s25, s25, s24
	s_mul_i32 s24, s1, 0xb00
	v_mov_b32_e32 v1, s24
	v_sub_co_u32_e32 v1, vcc, s10, v1
	s_cmp_lg_u64 vcc, 0
	s_subb_u32 s24, s11, s25
	v_subrev_co_u32_e32 v2, vcc, s0, v1
	s_cmp_lg_u64 vcc, 0
	s_subb_u32 s0, s24, 0
	v_readfirstlane_b32 s25, v2
	s_cmpk_gt_u32 s25, 0xaff
	s_cselect_b32 s25, -1, 0
	s_cmp_eq_u32 s0, 0
	s_cselect_b32 s0, s25, -1
	s_cmp_lg_u32 s0, 0
	s_cselect_b32 s0, s22, s5
	s_cselect_b32 s5, s23, s21
	v_readfirstlane_b32 s21, v1
	s_cmpk_gt_u32 s21, 0xaff
	s_cselect_b32 s21, -1, 0
	s_cmp_eq_u32 s24, 0
	s_cselect_b32 s21, s21, -1
	s_cmp_lg_u32 s21, 0
	s_cselect_b32 s5, s5, s4
	s_cselect_b32 s4, s0, s1
	s_mul_i32 s0, s5, 0xb00
	s_mul_hi_u32 s1, s4, 0xb00
	s_add_i32 s1, s1, s0
	s_mul_i32 s0, s4, 0xb00
	s_sub_u32 s0, s10, s0
	s_subb_u32 s1, s11, s1
	s_cmp_lg_u64 s[0:1], 0
	s_cselect_b64 s[0:1], -1, 0
	v_cndmask_b32_e64 v1, 0, 1, s[0:1]
	s_mov_b32 s3, 0
	v_readfirstlane_b32 s0, v1
	s_add_u32 s4, s4, s0
	s_addc_u32 s5, s5, 0
	s_add_u32 s24, s18, s2
	s_addc_u32 s25, s19, 0
	s_add_u32 s26, s4, -1
	s_addc_u32 s27, s5, -1
	v_mov_b64_e32 v[2:3], s[26:27]
	v_cmp_ge_u64_e64 s[0:1], s[24:25], v[2:3]
	s_mov_b64 s[22:23], -1
	s_and_b64 vcc, exec, s[0:1]
	s_mul_i32 s11, s26, 0xfffff500
	s_cbranch_vccz .LBB930_24
; %bb.1:
	s_mov_b32 s21, s3
	s_add_i32 s33, s11, s10
	s_lshl_b64 s[22:23], s[20:21], 3
	s_add_u32 s22, s30, s22
	s_addc_u32 s23, s31, s23
	v_cmp_gt_u32_e32 vcc, s33, v0
                                        ; implicit-def: $vgpr2_vgpr3_vgpr4_vgpr5_vgpr6_vgpr7_vgpr8_vgpr9_vgpr10_vgpr11_vgpr12_vgpr13_vgpr14_vgpr15_vgpr16_vgpr17_vgpr18_vgpr19_vgpr20_vgpr21_vgpr22_vgpr23_vgpr24_vgpr25_vgpr26_vgpr27_vgpr28_vgpr29_vgpr30_vgpr31_vgpr32_vgpr33
	s_and_saveexec_b64 s[28:29], vcc
	s_cbranch_execz .LBB930_3
; %bb.2:
	v_lshlrev_b32_e32 v1, 3, v0
	global_load_dwordx2 v[2:3], v1, s[22:23]
.LBB930_3:
	s_or_b64 exec, exec, s[28:29]
	v_or_b32_e32 v1, 0x100, v0
	v_cmp_gt_u32_e32 vcc, s33, v1
	s_and_saveexec_b64 s[28:29], vcc
	s_cbranch_execz .LBB930_5
; %bb.4:
	v_lshlrev_b32_e32 v1, 3, v0
	global_load_dwordx2 v[4:5], v1, s[22:23] offset:2048
.LBB930_5:
	s_or_b64 exec, exec, s[28:29]
	v_or_b32_e32 v1, 0x200, v0
	v_cmp_gt_u32_e32 vcc, s33, v1
	s_and_saveexec_b64 s[28:29], vcc
	s_cbranch_execz .LBB930_7
; %bb.6:
	v_lshlrev_b32_e32 v1, 3, v1
	global_load_dwordx2 v[6:7], v1, s[22:23]
.LBB930_7:
	s_or_b64 exec, exec, s[28:29]
	v_or_b32_e32 v1, 0x300, v0
	v_cmp_gt_u32_e32 vcc, s33, v1
	s_and_saveexec_b64 s[28:29], vcc
	s_cbranch_execz .LBB930_9
; %bb.8:
	v_lshlrev_b32_e32 v1, 3, v1
	global_load_dwordx2 v[8:9], v1, s[22:23]
.LBB930_9:
	;; [unrolled: 9-line block ×9, first 2 shown]
	s_or_b64 exec, exec, s[28:29]
	v_lshlrev_b32_e32 v1, 3, v0
	s_mov_b64 s[22:23], 0
	s_waitcnt vmcnt(0)
	ds_write2st64_b64 v1, v[2:3], v[4:5] offset1:4
	ds_write2st64_b64 v1, v[6:7], v[8:9] offset0:8 offset1:12
	ds_write2st64_b64 v1, v[10:11], v[12:13] offset0:16 offset1:20
	;; [unrolled: 1-line block ×4, first 2 shown]
	ds_write_b64 v1, v[22:23] offset:20480
	s_waitcnt lgkmcnt(0)
	s_barrier
.LBB930_24:
	s_and_b64 vcc, exec, s[22:23]
	v_lshlrev_b32_e32 v40, 3, v0
	s_cbranch_vccz .LBB930_26
; %bb.25:
	s_mov_b32 s21, 0
	s_lshl_b64 s[22:23], s[20:21], 3
	s_add_u32 s22, s30, s22
	s_addc_u32 s23, s31, s23
	v_mov_b32_e32 v41, 0
	v_lshl_add_u64 v[2:3], s[22:23], 0, v[40:41]
	v_add_co_u32_e32 v8, vcc, 0x1000, v2
	global_load_dwordx2 v[4:5], v40, s[22:23]
	global_load_dwordx2 v[6:7], v40, s[22:23] offset:2048
	v_addc_co_u32_e32 v9, vcc, 0, v3, vcc
	v_add_co_u32_e32 v10, vcc, 0x2000, v2
	s_nop 1
	v_addc_co_u32_e32 v11, vcc, 0, v3, vcc
	global_load_dwordx2 v[12:13], v[8:9], off
	global_load_dwordx2 v[14:15], v[8:9], off offset:2048
	global_load_dwordx2 v[16:17], v[10:11], off
	global_load_dwordx2 v[18:19], v[10:11], off offset:2048
	v_add_co_u32_e32 v8, vcc, 0x3000, v2
	s_nop 1
	v_addc_co_u32_e32 v9, vcc, 0, v3, vcc
	v_add_co_u32_e32 v10, vcc, 0x4000, v2
	s_nop 1
	v_addc_co_u32_e32 v11, vcc, 0, v3, vcc
	global_load_dwordx2 v[20:21], v[8:9], off
	global_load_dwordx2 v[22:23], v[8:9], off offset:2048
	global_load_dwordx2 v[24:25], v[10:11], off
	global_load_dwordx2 v[26:27], v[10:11], off offset:2048
	v_add_co_u32_e32 v2, vcc, 0x5000, v2
	s_nop 1
	v_addc_co_u32_e32 v3, vcc, 0, v3, vcc
	global_load_dwordx2 v[2:3], v[2:3], off
	s_waitcnt vmcnt(9)
	ds_write2st64_b64 v40, v[4:5], v[6:7] offset1:4
	s_waitcnt vmcnt(7)
	ds_write2st64_b64 v40, v[12:13], v[14:15] offset0:8 offset1:12
	s_waitcnt vmcnt(5)
	ds_write2st64_b64 v40, v[16:17], v[18:19] offset0:16 offset1:20
	;; [unrolled: 2-line block ×4, first 2 shown]
	s_waitcnt vmcnt(0)
	ds_write_b64 v40, v[2:3] offset:20480
	s_waitcnt lgkmcnt(0)
	s_barrier
.LBB930_26:
	v_mul_u32_u24_e32 v1, 11, v0
	v_lshlrev_b32_e32 v1, 3, v1
	ds_read2_b64 v[2:5], v1 offset1:1
	ds_read2_b64 v[6:9], v1 offset0:2 offset1:3
	ds_read2_b64 v[10:13], v1 offset0:4 offset1:5
	;; [unrolled: 1-line block ×4, first 2 shown]
	ds_read_b64 v[36:37], v1 offset:80
	s_cmp_eq_u64 s[24:25], 0
	s_mov_b64 s[22:23], 0
	s_waitcnt lgkmcnt(0)
	s_barrier
	s_cbranch_scc1 .LBB930_35
; %bb.27:
	s_lshl_b64 s[18:19], s[18:19], 3
	s_add_u32 s16, s16, s18
	s_addc_u32 s17, s17, s19
	s_lshl_b64 s[2:3], s[2:3], 3
	s_add_u32 s2, s16, s2
	s_addc_u32 s3, s17, s3
	s_add_u32 s2, s2, -8
	s_addc_u32 s3, s3, -1
	s_load_dwordx2 s[16:17], s[2:3], 0x0
	s_cmp_lg_u64 s[24:25], s[26:27]
	s_cbranch_scc0 .LBB930_36
; %bb.28:
	v_mul_lo_u32 v1, v21, s12
	v_mul_lo_u32 v24, v20, s13
	v_mad_u64_u32 v[22:23], s[22:23], v20, s12, 0
	v_mov_b64_e32 v[38:39], 0
	v_cmp_lt_i64_e64 s[2:3], s[12:13], 1
	v_add3_u32 v23, v23, v24, v1
	v_cmp_gt_i64_e64 s[18:19], s[12:13], 0
	s_and_b64 vcc, exec, s[2:3]
	v_lshl_add_u64 v[22:23], v[22:23], 2, s[14:15]
	v_mov_b64_e32 v[42:43], v[38:39]
	ds_write_b64 v40, v[36:37]
	s_cbranch_vccnz .LBB930_40
; %bb.29:
	v_mul_lo_u32 v1, v37, s12
	v_mul_lo_u32 v26, v36, s13
	v_mad_u64_u32 v[24:25], s[2:3], v36, s12, 0
	v_add3_u32 v25, v25, v26, v1
	v_lshl_add_u64 v[26:27], v[24:25], 2, s[14:15]
	global_load_dword v1, v[26:27], off
	global_load_dword v24, v[22:23], off
	v_mov_b64_e32 v[42:43], 1
	s_waitcnt vmcnt(0)
	v_cmp_eq_f32_e32 vcc, v1, v24
	s_and_saveexec_b64 s[2:3], vcc
	s_cbranch_execz .LBB930_39
; %bb.30:
	s_add_u32 s22, s12, -1
	v_lshl_add_u64 v[24:25], v[22:23], 0, 4
	v_lshl_add_u64 v[26:27], v[26:27], 0, 4
	s_addc_u32 s23, s13, -1
	s_mov_b64 s[26:27], 0
	s_mov_b64 s[30:31], 0
                                        ; implicit-def: $sgpr28_sgpr29
	s_branch .LBB930_33
.LBB930_31:                             ;   in Loop: Header=BB930_33 Depth=1
	global_load_dword v1, v[26:27], off
	global_load_dword v28, v[24:25], off
	s_add_u32 s30, s30, 1
	s_addc_u32 s31, s31, 0
	s_andn2_b64 s[28:29], s[28:29], exec
	v_lshl_add_u64 v[24:25], v[24:25], 0, 4
	v_lshl_add_u64 v[26:27], v[26:27], 0, 4
	s_waitcnt vmcnt(0)
	v_cmp_neq_f32_e32 vcc, v1, v28
	s_and_b64 s[34:35], vcc, exec
	s_or_b64 s[28:29], s[28:29], s[34:35]
.LBB930_32:                             ;   in Loop: Header=BB930_33 Depth=1
	s_and_b64 s[34:35], exec, s[28:29]
	s_or_b64 s[26:27], s[34:35], s[26:27]
	v_mov_b64_e32 v[28:29], s[30:31]
	s_andn2_b64 exec, exec, s[26:27]
	s_cbranch_execz .LBB930_38
.LBB930_33:                             ; =>This Inner Loop Header: Depth=1
	s_or_b64 s[28:29], s[28:29], exec
	s_cmp_eq_u64 s[22:23], s[30:31]
	s_cbranch_scc0 .LBB930_31
; %bb.34:                               ;   in Loop: Header=BB930_33 Depth=1
                                        ; implicit-def: $vgpr24_vgpr25
                                        ; implicit-def: $vgpr26_vgpr27
	s_mov_b64 s[30:31], s[12:13]
	s_branch .LBB930_32
.LBB930_35:
                                        ; implicit-def: $vgpr22_vgpr23_vgpr24_vgpr25
                                        ; implicit-def: $sgpr18_sgpr19
                                        ; implicit-def: $vgpr42_vgpr43
                                        ; implicit-def: $vgpr44_vgpr45
                                        ; implicit-def: $vgpr38_vgpr39
                                        ; implicit-def: $vgpr58_vgpr59
                                        ; implicit-def: $vgpr56_vgpr57
                                        ; implicit-def: $vgpr54_vgpr55
                                        ; implicit-def: $vgpr52_vgpr53
                                        ; implicit-def: $vgpr50_vgpr51
                                        ; implicit-def: $vgpr48_vgpr49
                                        ; implicit-def: $vgpr46_vgpr47
                                        ; implicit-def: $vgpr60_vgpr61
                                        ; implicit-def: $vgpr68_vgpr69
                                        ; implicit-def: $vgpr62_vgpr63
                                        ; implicit-def: $vgpr64_vgpr65
                                        ; implicit-def: $vgpr66_vgpr67
                                        ; implicit-def: $vgpr24_vgpr25_vgpr26_vgpr27
                                        ; implicit-def: $vgpr28_vgpr29_vgpr30_vgpr31
                                        ; implicit-def: $vgpr32_vgpr33_vgpr34_vgpr35
	s_cbranch_execnz .LBB930_259
	s_branch .LBB930_488
.LBB930_36:
                                        ; implicit-def: $sgpr18_sgpr19
                                        ; implicit-def: $vgpr42_vgpr43
                                        ; implicit-def: $vgpr44_vgpr45
                                        ; implicit-def: $vgpr38_vgpr39
                                        ; implicit-def: $vgpr58_vgpr59
                                        ; implicit-def: $vgpr56_vgpr57
                                        ; implicit-def: $vgpr54_vgpr55
                                        ; implicit-def: $vgpr52_vgpr53
                                        ; implicit-def: $vgpr50_vgpr51
                                        ; implicit-def: $vgpr48_vgpr49
                                        ; implicit-def: $vgpr46_vgpr47
	s_cbranch_execnz .LBB930_134
.LBB930_37:
                                        ; implicit-def: $vgpr22_vgpr23_vgpr24_vgpr25
                                        ; implicit-def: $vgpr60_vgpr61
                                        ; implicit-def: $vgpr68_vgpr69
                                        ; implicit-def: $vgpr62_vgpr63
                                        ; implicit-def: $vgpr64_vgpr65
                                        ; implicit-def: $vgpr66_vgpr67
                                        ; implicit-def: $vgpr28_vgpr29_vgpr30_vgpr31
                                        ; implicit-def: $vgpr32_vgpr33_vgpr34_vgpr35
                                        ; implicit-def: $vgpr24_vgpr25_vgpr26_vgpr27
	s_branch .LBB930_488
.LBB930_38:
	s_or_b64 exec, exec, s[26:27]
	v_cmp_gt_i64_e32 vcc, s[12:13], v[28:29]
	s_mov_b32 s21, 0
	v_mov_b32_e32 v43, s21
	v_cndmask_b32_e64 v42, 0, 1, vcc
.LBB930_39:
	s_or_b64 exec, exec, s[2:3]
.LBB930_40:
	v_mul_lo_u32 v1, v19, s12
	v_mul_lo_u32 v26, v18, s13
	v_mad_u64_u32 v[24:25], s[2:3], v18, s12, 0
	v_add3_u32 v25, v25, v26, v1
	v_cndmask_b32_e64 v1, 0, 1, s[18:19]
	v_cmp_ne_u32_e64 s[2:3], 1, v1
	s_andn2_b64 vcc, exec, s[18:19]
	v_lshl_add_u64 v[24:25], v[24:25], 2, s[14:15]
	v_mov_b64_e32 v[44:45], v[38:39]
	s_cbranch_vccnz .LBB930_49
; %bb.41:
	global_load_dword v1, v[22:23], off
	global_load_dword v26, v[24:25], off
	v_mov_b64_e32 v[44:45], 1
	s_waitcnt vmcnt(0)
	v_cmp_eq_f32_e32 vcc, v1, v26
	s_and_saveexec_b64 s[18:19], vcc
	s_cbranch_execz .LBB930_48
; %bb.42:
	s_add_u32 s22, s12, -1
	v_lshl_add_u64 v[26:27], v[24:25], 0, 4
	v_lshl_add_u64 v[22:23], v[22:23], 0, 4
	s_addc_u32 s23, s13, -1
	s_mov_b64 s[26:27], 0
	s_mov_b64 s[30:31], 0
                                        ; implicit-def: $sgpr28_sgpr29
	s_branch .LBB930_45
.LBB930_43:                             ;   in Loop: Header=BB930_45 Depth=1
	global_load_dword v1, v[22:23], off
	global_load_dword v28, v[26:27], off
	s_add_u32 s30, s30, 1
	s_addc_u32 s31, s31, 0
	s_andn2_b64 s[28:29], s[28:29], exec
	v_lshl_add_u64 v[26:27], v[26:27], 0, 4
	v_lshl_add_u64 v[22:23], v[22:23], 0, 4
	s_waitcnt vmcnt(0)
	v_cmp_neq_f32_e32 vcc, v1, v28
	s_and_b64 s[34:35], vcc, exec
	s_or_b64 s[28:29], s[28:29], s[34:35]
.LBB930_44:                             ;   in Loop: Header=BB930_45 Depth=1
	s_and_b64 s[34:35], exec, s[28:29]
	s_or_b64 s[26:27], s[34:35], s[26:27]
	v_mov_b64_e32 v[28:29], s[30:31]
	s_andn2_b64 exec, exec, s[26:27]
	s_cbranch_execz .LBB930_47
.LBB930_45:                             ; =>This Inner Loop Header: Depth=1
	s_or_b64 s[28:29], s[28:29], exec
	s_cmp_eq_u64 s[22:23], s[30:31]
	s_cbranch_scc0 .LBB930_43
; %bb.46:                               ;   in Loop: Header=BB930_45 Depth=1
                                        ; implicit-def: $vgpr26_vgpr27
                                        ; implicit-def: $vgpr22_vgpr23
	s_mov_b64 s[30:31], s[12:13]
	s_branch .LBB930_44
.LBB930_47:
	s_or_b64 exec, exec, s[26:27]
	v_cmp_gt_i64_e32 vcc, s[12:13], v[28:29]
	s_mov_b32 s21, 0
	v_mov_b32_e32 v45, s21
	v_cndmask_b32_e64 v44, 0, 1, vcc
.LBB930_48:
	s_or_b64 exec, exec, s[18:19]
.LBB930_49:
	v_mul_lo_u32 v1, v17, s12
	v_mul_lo_u32 v26, v16, s13
	v_mad_u64_u32 v[22:23], s[18:19], v16, s12, 0
	v_add3_u32 v23, v23, v26, v1
	s_and_b64 vcc, exec, s[2:3]
	v_lshl_add_u64 v[22:23], v[22:23], 2, s[14:15]
	s_cbranch_vccnz .LBB930_58
; %bb.50:
	global_load_dword v1, v[24:25], off
	global_load_dword v26, v[22:23], off
	v_mov_b64_e32 v[38:39], 1
	s_waitcnt vmcnt(0)
	v_cmp_eq_f32_e32 vcc, v1, v26
	s_and_saveexec_b64 s[18:19], vcc
	s_cbranch_execz .LBB930_57
; %bb.51:
	s_add_u32 s22, s12, -1
	v_lshl_add_u64 v[26:27], v[22:23], 0, 4
	v_lshl_add_u64 v[24:25], v[24:25], 0, 4
	s_addc_u32 s23, s13, -1
	s_mov_b64 s[26:27], 0
	s_mov_b64 s[30:31], 0
                                        ; implicit-def: $sgpr28_sgpr29
	s_branch .LBB930_54
.LBB930_52:                             ;   in Loop: Header=BB930_54 Depth=1
	global_load_dword v1, v[24:25], off
	global_load_dword v28, v[26:27], off
	s_add_u32 s30, s30, 1
	s_addc_u32 s31, s31, 0
	s_andn2_b64 s[28:29], s[28:29], exec
	v_lshl_add_u64 v[26:27], v[26:27], 0, 4
	v_lshl_add_u64 v[24:25], v[24:25], 0, 4
	s_waitcnt vmcnt(0)
	v_cmp_neq_f32_e32 vcc, v1, v28
	s_and_b64 s[34:35], vcc, exec
	s_or_b64 s[28:29], s[28:29], s[34:35]
.LBB930_53:                             ;   in Loop: Header=BB930_54 Depth=1
	s_and_b64 s[34:35], exec, s[28:29]
	s_or_b64 s[26:27], s[34:35], s[26:27]
	v_mov_b64_e32 v[28:29], s[30:31]
	s_andn2_b64 exec, exec, s[26:27]
	s_cbranch_execz .LBB930_56
.LBB930_54:                             ; =>This Inner Loop Header: Depth=1
	s_or_b64 s[28:29], s[28:29], exec
	s_cmp_eq_u64 s[22:23], s[30:31]
	s_cbranch_scc0 .LBB930_52
; %bb.55:                               ;   in Loop: Header=BB930_54 Depth=1
                                        ; implicit-def: $vgpr26_vgpr27
                                        ; implicit-def: $vgpr24_vgpr25
	s_mov_b64 s[30:31], s[12:13]
	s_branch .LBB930_53
.LBB930_56:
	s_or_b64 exec, exec, s[26:27]
	v_cmp_gt_i64_e32 vcc, s[12:13], v[28:29]
	s_mov_b32 s21, 0
	v_mov_b32_e32 v39, s21
	v_cndmask_b32_e64 v38, 0, 1, vcc
.LBB930_57:
	s_or_b64 exec, exec, s[18:19]
.LBB930_58:
	v_mul_lo_u32 v1, v15, s12
	v_mul_lo_u32 v26, v14, s13
	v_mad_u64_u32 v[24:25], s[18:19], v14, s12, 0
	v_add3_u32 v25, v25, v26, v1
	v_mov_b64_e32 v[48:49], 0
	s_and_b64 vcc, exec, s[2:3]
	v_lshl_add_u64 v[24:25], v[24:25], 2, s[14:15]
	v_mov_b64_e32 v[46:47], v[48:49]
	s_cbranch_vccnz .LBB930_67
; %bb.59:
	global_load_dword v1, v[22:23], off
	global_load_dword v26, v[24:25], off
	v_mov_b64_e32 v[46:47], 1
	s_waitcnt vmcnt(0)
	v_cmp_eq_f32_e32 vcc, v1, v26
	s_and_saveexec_b64 s[18:19], vcc
	s_cbranch_execz .LBB930_66
; %bb.60:
	s_add_u32 s22, s12, -1
	v_lshl_add_u64 v[26:27], v[24:25], 0, 4
	v_lshl_add_u64 v[22:23], v[22:23], 0, 4
	s_addc_u32 s23, s13, -1
	s_mov_b64 s[26:27], 0
	s_mov_b64 s[30:31], 0
                                        ; implicit-def: $sgpr28_sgpr29
	s_branch .LBB930_63
.LBB930_61:                             ;   in Loop: Header=BB930_63 Depth=1
	global_load_dword v1, v[22:23], off
	global_load_dword v28, v[26:27], off
	s_add_u32 s30, s30, 1
	s_addc_u32 s31, s31, 0
	s_andn2_b64 s[28:29], s[28:29], exec
	v_lshl_add_u64 v[26:27], v[26:27], 0, 4
	v_lshl_add_u64 v[22:23], v[22:23], 0, 4
	s_waitcnt vmcnt(0)
	v_cmp_neq_f32_e32 vcc, v1, v28
	s_and_b64 s[34:35], vcc, exec
	s_or_b64 s[28:29], s[28:29], s[34:35]
.LBB930_62:                             ;   in Loop: Header=BB930_63 Depth=1
	s_and_b64 s[34:35], exec, s[28:29]
	s_or_b64 s[26:27], s[34:35], s[26:27]
	v_mov_b64_e32 v[28:29], s[30:31]
	s_andn2_b64 exec, exec, s[26:27]
	s_cbranch_execz .LBB930_65
.LBB930_63:                             ; =>This Inner Loop Header: Depth=1
	s_or_b64 s[28:29], s[28:29], exec
	s_cmp_eq_u64 s[22:23], s[30:31]
	s_cbranch_scc0 .LBB930_61
; %bb.64:                               ;   in Loop: Header=BB930_63 Depth=1
                                        ; implicit-def: $vgpr26_vgpr27
                                        ; implicit-def: $vgpr22_vgpr23
	s_mov_b64 s[30:31], s[12:13]
	s_branch .LBB930_62
.LBB930_65:
	s_or_b64 exec, exec, s[26:27]
	v_cmp_gt_i64_e32 vcc, s[12:13], v[28:29]
	s_mov_b32 s21, 0
	v_mov_b32_e32 v47, s21
	v_cndmask_b32_e64 v46, 0, 1, vcc
.LBB930_66:
	s_or_b64 exec, exec, s[18:19]
.LBB930_67:
	v_mul_lo_u32 v1, v13, s12
	v_mul_lo_u32 v26, v12, s13
	v_mad_u64_u32 v[22:23], s[18:19], v12, s12, 0
	v_add3_u32 v23, v23, v26, v1
	s_and_b64 vcc, exec, s[2:3]
	v_lshl_add_u64 v[22:23], v[22:23], 2, s[14:15]
	s_cbranch_vccnz .LBB930_76
; %bb.68:
	global_load_dword v1, v[24:25], off
	global_load_dword v26, v[22:23], off
	v_mov_b64_e32 v[48:49], 1
	s_waitcnt vmcnt(0)
	v_cmp_eq_f32_e32 vcc, v1, v26
	s_and_saveexec_b64 s[18:19], vcc
	s_cbranch_execz .LBB930_75
; %bb.69:
	s_add_u32 s22, s12, -1
	v_lshl_add_u64 v[26:27], v[22:23], 0, 4
	v_lshl_add_u64 v[24:25], v[24:25], 0, 4
	s_addc_u32 s23, s13, -1
	s_mov_b64 s[26:27], 0
	s_mov_b64 s[30:31], 0
                                        ; implicit-def: $sgpr28_sgpr29
	s_branch .LBB930_72
.LBB930_70:                             ;   in Loop: Header=BB930_72 Depth=1
	global_load_dword v1, v[24:25], off
	global_load_dword v28, v[26:27], off
	s_add_u32 s30, s30, 1
	s_addc_u32 s31, s31, 0
	s_andn2_b64 s[28:29], s[28:29], exec
	v_lshl_add_u64 v[26:27], v[26:27], 0, 4
	v_lshl_add_u64 v[24:25], v[24:25], 0, 4
	s_waitcnt vmcnt(0)
	v_cmp_neq_f32_e32 vcc, v1, v28
	s_and_b64 s[34:35], vcc, exec
	s_or_b64 s[28:29], s[28:29], s[34:35]
.LBB930_71:                             ;   in Loop: Header=BB930_72 Depth=1
	s_and_b64 s[34:35], exec, s[28:29]
	s_or_b64 s[26:27], s[34:35], s[26:27]
	v_mov_b64_e32 v[28:29], s[30:31]
	s_andn2_b64 exec, exec, s[26:27]
	s_cbranch_execz .LBB930_74
.LBB930_72:                             ; =>This Inner Loop Header: Depth=1
	s_or_b64 s[28:29], s[28:29], exec
	s_cmp_eq_u64 s[22:23], s[30:31]
	s_cbranch_scc0 .LBB930_70
; %bb.73:                               ;   in Loop: Header=BB930_72 Depth=1
                                        ; implicit-def: $vgpr26_vgpr27
                                        ; implicit-def: $vgpr24_vgpr25
	s_mov_b64 s[30:31], s[12:13]
	s_branch .LBB930_71
.LBB930_74:
	s_or_b64 exec, exec, s[26:27]
	v_cmp_gt_i64_e32 vcc, s[12:13], v[28:29]
	s_mov_b32 s21, 0
	v_mov_b32_e32 v49, s21
	v_cndmask_b32_e64 v48, 0, 1, vcc
.LBB930_75:
	s_or_b64 exec, exec, s[18:19]
.LBB930_76:
	v_mul_lo_u32 v1, v11, s12
	v_mul_lo_u32 v26, v10, s13
	v_mad_u64_u32 v[24:25], s[18:19], v10, s12, 0
	v_add3_u32 v25, v25, v26, v1
	v_mov_b64_e32 v[52:53], 0
	s_and_b64 vcc, exec, s[2:3]
	v_lshl_add_u64 v[24:25], v[24:25], 2, s[14:15]
	v_mov_b64_e32 v[50:51], v[52:53]
	s_cbranch_vccnz .LBB930_85
; %bb.77:
	global_load_dword v1, v[22:23], off
	global_load_dword v26, v[24:25], off
	v_mov_b64_e32 v[50:51], 1
	s_waitcnt vmcnt(0)
	v_cmp_eq_f32_e32 vcc, v1, v26
	s_and_saveexec_b64 s[18:19], vcc
	s_cbranch_execz .LBB930_84
; %bb.78:
	s_add_u32 s22, s12, -1
	v_lshl_add_u64 v[26:27], v[24:25], 0, 4
	v_lshl_add_u64 v[22:23], v[22:23], 0, 4
	s_addc_u32 s23, s13, -1
	s_mov_b64 s[26:27], 0
	s_mov_b64 s[30:31], 0
                                        ; implicit-def: $sgpr28_sgpr29
	s_branch .LBB930_81
.LBB930_79:                             ;   in Loop: Header=BB930_81 Depth=1
	global_load_dword v1, v[22:23], off
	global_load_dword v28, v[26:27], off
	s_add_u32 s30, s30, 1
	s_addc_u32 s31, s31, 0
	s_andn2_b64 s[28:29], s[28:29], exec
	v_lshl_add_u64 v[26:27], v[26:27], 0, 4
	v_lshl_add_u64 v[22:23], v[22:23], 0, 4
	s_waitcnt vmcnt(0)
	v_cmp_neq_f32_e32 vcc, v1, v28
	s_and_b64 s[34:35], vcc, exec
	s_or_b64 s[28:29], s[28:29], s[34:35]
.LBB930_80:                             ;   in Loop: Header=BB930_81 Depth=1
	s_and_b64 s[34:35], exec, s[28:29]
	s_or_b64 s[26:27], s[34:35], s[26:27]
	v_mov_b64_e32 v[28:29], s[30:31]
	s_andn2_b64 exec, exec, s[26:27]
	s_cbranch_execz .LBB930_83
.LBB930_81:                             ; =>This Inner Loop Header: Depth=1
	s_or_b64 s[28:29], s[28:29], exec
	s_cmp_eq_u64 s[22:23], s[30:31]
	s_cbranch_scc0 .LBB930_79
; %bb.82:                               ;   in Loop: Header=BB930_81 Depth=1
                                        ; implicit-def: $vgpr26_vgpr27
                                        ; implicit-def: $vgpr22_vgpr23
	s_mov_b64 s[30:31], s[12:13]
	s_branch .LBB930_80
.LBB930_83:
	s_or_b64 exec, exec, s[26:27]
	v_cmp_gt_i64_e32 vcc, s[12:13], v[28:29]
	s_mov_b32 s21, 0
	v_mov_b32_e32 v51, s21
	v_cndmask_b32_e64 v50, 0, 1, vcc
.LBB930_84:
	s_or_b64 exec, exec, s[18:19]
.LBB930_85:
	v_mul_lo_u32 v1, v9, s12
	v_mul_lo_u32 v26, v8, s13
	v_mad_u64_u32 v[22:23], s[18:19], v8, s12, 0
	v_add3_u32 v23, v23, v26, v1
	s_and_b64 vcc, exec, s[2:3]
	v_lshl_add_u64 v[22:23], v[22:23], 2, s[14:15]
	s_cbranch_vccnz .LBB930_94
; %bb.86:
	global_load_dword v1, v[24:25], off
	global_load_dword v26, v[22:23], off
	v_mov_b64_e32 v[52:53], 1
	s_waitcnt vmcnt(0)
	v_cmp_eq_f32_e32 vcc, v1, v26
	s_and_saveexec_b64 s[18:19], vcc
	s_cbranch_execz .LBB930_93
; %bb.87:
	s_add_u32 s22, s12, -1
	v_lshl_add_u64 v[26:27], v[22:23], 0, 4
	v_lshl_add_u64 v[24:25], v[24:25], 0, 4
	s_addc_u32 s23, s13, -1
	s_mov_b64 s[26:27], 0
	s_mov_b64 s[30:31], 0
                                        ; implicit-def: $sgpr28_sgpr29
	s_branch .LBB930_90
.LBB930_88:                             ;   in Loop: Header=BB930_90 Depth=1
	global_load_dword v1, v[24:25], off
	global_load_dword v28, v[26:27], off
	s_add_u32 s30, s30, 1
	s_addc_u32 s31, s31, 0
	s_andn2_b64 s[28:29], s[28:29], exec
	v_lshl_add_u64 v[26:27], v[26:27], 0, 4
	v_lshl_add_u64 v[24:25], v[24:25], 0, 4
	s_waitcnt vmcnt(0)
	v_cmp_neq_f32_e32 vcc, v1, v28
	s_and_b64 s[34:35], vcc, exec
	s_or_b64 s[28:29], s[28:29], s[34:35]
.LBB930_89:                             ;   in Loop: Header=BB930_90 Depth=1
	s_and_b64 s[34:35], exec, s[28:29]
	s_or_b64 s[26:27], s[34:35], s[26:27]
	v_mov_b64_e32 v[28:29], s[30:31]
	s_andn2_b64 exec, exec, s[26:27]
	s_cbranch_execz .LBB930_92
.LBB930_90:                             ; =>This Inner Loop Header: Depth=1
	s_or_b64 s[28:29], s[28:29], exec
	s_cmp_eq_u64 s[22:23], s[30:31]
	s_cbranch_scc0 .LBB930_88
; %bb.91:                               ;   in Loop: Header=BB930_90 Depth=1
                                        ; implicit-def: $vgpr26_vgpr27
                                        ; implicit-def: $vgpr24_vgpr25
	s_mov_b64 s[30:31], s[12:13]
	s_branch .LBB930_89
.LBB930_92:
	s_or_b64 exec, exec, s[26:27]
	v_cmp_gt_i64_e32 vcc, s[12:13], v[28:29]
	s_mov_b32 s21, 0
	v_mov_b32_e32 v53, s21
	v_cndmask_b32_e64 v52, 0, 1, vcc
.LBB930_93:
	s_or_b64 exec, exec, s[18:19]
.LBB930_94:
	v_mul_lo_u32 v1, v7, s12
	v_mul_lo_u32 v26, v6, s13
	v_mad_u64_u32 v[24:25], s[18:19], v6, s12, 0
	v_add3_u32 v25, v25, v26, v1
	v_mov_b64_e32 v[56:57], 0
	s_and_b64 vcc, exec, s[2:3]
	v_lshl_add_u64 v[24:25], v[24:25], 2, s[14:15]
	v_mov_b64_e32 v[54:55], v[56:57]
	s_cbranch_vccnz .LBB930_103
; %bb.95:
	global_load_dword v1, v[22:23], off
	global_load_dword v26, v[24:25], off
	v_mov_b64_e32 v[54:55], 1
	s_waitcnt vmcnt(0)
	v_cmp_eq_f32_e32 vcc, v1, v26
	s_and_saveexec_b64 s[18:19], vcc
	s_cbranch_execz .LBB930_102
; %bb.96:
	s_add_u32 s22, s12, -1
	v_lshl_add_u64 v[26:27], v[24:25], 0, 4
	v_lshl_add_u64 v[22:23], v[22:23], 0, 4
	s_addc_u32 s23, s13, -1
	s_mov_b64 s[26:27], 0
	s_mov_b64 s[30:31], 0
                                        ; implicit-def: $sgpr28_sgpr29
	s_branch .LBB930_99
.LBB930_97:                             ;   in Loop: Header=BB930_99 Depth=1
	global_load_dword v1, v[22:23], off
	global_load_dword v28, v[26:27], off
	s_add_u32 s30, s30, 1
	s_addc_u32 s31, s31, 0
	s_andn2_b64 s[28:29], s[28:29], exec
	v_lshl_add_u64 v[26:27], v[26:27], 0, 4
	v_lshl_add_u64 v[22:23], v[22:23], 0, 4
	s_waitcnt vmcnt(0)
	v_cmp_neq_f32_e32 vcc, v1, v28
	s_and_b64 s[34:35], vcc, exec
	s_or_b64 s[28:29], s[28:29], s[34:35]
.LBB930_98:                             ;   in Loop: Header=BB930_99 Depth=1
	s_and_b64 s[34:35], exec, s[28:29]
	s_or_b64 s[26:27], s[34:35], s[26:27]
	v_mov_b64_e32 v[28:29], s[30:31]
	s_andn2_b64 exec, exec, s[26:27]
	s_cbranch_execz .LBB930_101
.LBB930_99:                             ; =>This Inner Loop Header: Depth=1
	s_or_b64 s[28:29], s[28:29], exec
	s_cmp_eq_u64 s[22:23], s[30:31]
	s_cbranch_scc0 .LBB930_97
; %bb.100:                              ;   in Loop: Header=BB930_99 Depth=1
                                        ; implicit-def: $vgpr26_vgpr27
                                        ; implicit-def: $vgpr22_vgpr23
	s_mov_b64 s[30:31], s[12:13]
	s_branch .LBB930_98
.LBB930_101:
	s_or_b64 exec, exec, s[26:27]
	v_cmp_gt_i64_e32 vcc, s[12:13], v[28:29]
	s_mov_b32 s21, 0
	v_mov_b32_e32 v55, s21
	v_cndmask_b32_e64 v54, 0, 1, vcc
.LBB930_102:
	s_or_b64 exec, exec, s[18:19]
.LBB930_103:
	v_mul_lo_u32 v1, v5, s12
	v_mul_lo_u32 v26, v4, s13
	v_mad_u64_u32 v[22:23], s[18:19], v4, s12, 0
	v_add3_u32 v23, v23, v26, v1
	s_and_b64 vcc, exec, s[2:3]
	v_lshl_add_u64 v[22:23], v[22:23], 2, s[14:15]
	s_cbranch_vccnz .LBB930_112
; %bb.104:
	global_load_dword v1, v[24:25], off
	global_load_dword v26, v[22:23], off
	v_mov_b64_e32 v[56:57], 1
	s_waitcnt vmcnt(0)
	v_cmp_eq_f32_e32 vcc, v1, v26
	s_and_saveexec_b64 s[18:19], vcc
	s_cbranch_execz .LBB930_111
; %bb.105:
	s_add_u32 s22, s12, -1
	v_lshl_add_u64 v[26:27], v[22:23], 0, 4
	v_lshl_add_u64 v[24:25], v[24:25], 0, 4
	s_addc_u32 s23, s13, -1
	s_mov_b64 s[26:27], 0
	s_mov_b64 s[30:31], 0
                                        ; implicit-def: $sgpr28_sgpr29
	s_branch .LBB930_108
.LBB930_106:                            ;   in Loop: Header=BB930_108 Depth=1
	global_load_dword v1, v[24:25], off
	global_load_dword v28, v[26:27], off
	s_add_u32 s30, s30, 1
	s_addc_u32 s31, s31, 0
	s_andn2_b64 s[28:29], s[28:29], exec
	v_lshl_add_u64 v[26:27], v[26:27], 0, 4
	v_lshl_add_u64 v[24:25], v[24:25], 0, 4
	s_waitcnt vmcnt(0)
	v_cmp_neq_f32_e32 vcc, v1, v28
	s_and_b64 s[34:35], vcc, exec
	s_or_b64 s[28:29], s[28:29], s[34:35]
.LBB930_107:                            ;   in Loop: Header=BB930_108 Depth=1
	s_and_b64 s[34:35], exec, s[28:29]
	s_or_b64 s[26:27], s[34:35], s[26:27]
	v_mov_b64_e32 v[28:29], s[30:31]
	s_andn2_b64 exec, exec, s[26:27]
	s_cbranch_execz .LBB930_110
.LBB930_108:                            ; =>This Inner Loop Header: Depth=1
	s_or_b64 s[28:29], s[28:29], exec
	s_cmp_eq_u64 s[22:23], s[30:31]
	s_cbranch_scc0 .LBB930_106
; %bb.109:                              ;   in Loop: Header=BB930_108 Depth=1
                                        ; implicit-def: $vgpr26_vgpr27
                                        ; implicit-def: $vgpr24_vgpr25
	s_mov_b64 s[30:31], s[12:13]
	s_branch .LBB930_107
.LBB930_110:
	s_or_b64 exec, exec, s[26:27]
	v_cmp_gt_i64_e32 vcc, s[12:13], v[28:29]
	s_mov_b32 s21, 0
	v_mov_b32_e32 v57, s21
	v_cndmask_b32_e64 v56, 0, 1, vcc
.LBB930_111:
	s_or_b64 exec, exec, s[18:19]
.LBB930_112:
	s_and_b64 vcc, exec, s[2:3]
	s_cbranch_vccnz .LBB930_119
; %bb.113:
	v_mul_lo_u32 v1, v3, s12
	v_mul_lo_u32 v26, v2, s13
	v_mad_u64_u32 v[24:25], s[18:19], v2, s12, 0
	v_add3_u32 v25, v25, v26, v1
	v_lshl_add_u64 v[24:25], v[24:25], 2, s[14:15]
	global_load_dword v1, v[22:23], off
	global_load_dword v26, v[24:25], off
	v_mov_b64_e32 v[58:59], 1
	s_waitcnt vmcnt(0)
	v_cmp_eq_f32_e32 vcc, v1, v26
	s_and_saveexec_b64 s[18:19], vcc
	s_cbranch_execz .LBB930_121
; %bb.114:
	s_add_u32 s22, s12, -1
	v_lshl_add_u64 v[24:25], v[24:25], 0, 4
	v_lshl_add_u64 v[22:23], v[22:23], 0, 4
	s_addc_u32 s23, s13, -1
	s_mov_b64 s[26:27], 0
	s_mov_b64 s[30:31], 0
                                        ; implicit-def: $sgpr28_sgpr29
	s_branch .LBB930_117
.LBB930_115:                            ;   in Loop: Header=BB930_117 Depth=1
	global_load_dword v1, v[22:23], off
	global_load_dword v26, v[24:25], off
	s_add_u32 s30, s30, 1
	s_addc_u32 s31, s31, 0
	s_andn2_b64 s[28:29], s[28:29], exec
	v_lshl_add_u64 v[24:25], v[24:25], 0, 4
	v_lshl_add_u64 v[22:23], v[22:23], 0, 4
	s_waitcnt vmcnt(0)
	v_cmp_neq_f32_e32 vcc, v1, v26
	s_and_b64 s[34:35], vcc, exec
	s_or_b64 s[28:29], s[28:29], s[34:35]
.LBB930_116:                            ;   in Loop: Header=BB930_117 Depth=1
	s_and_b64 s[34:35], exec, s[28:29]
	s_or_b64 s[26:27], s[34:35], s[26:27]
	v_mov_b64_e32 v[26:27], s[30:31]
	s_andn2_b64 exec, exec, s[26:27]
	s_cbranch_execz .LBB930_120
.LBB930_117:                            ; =>This Inner Loop Header: Depth=1
	s_or_b64 s[28:29], s[28:29], exec
	s_cmp_eq_u64 s[22:23], s[30:31]
	s_cbranch_scc0 .LBB930_115
; %bb.118:                              ;   in Loop: Header=BB930_117 Depth=1
                                        ; implicit-def: $vgpr24_vgpr25
                                        ; implicit-def: $vgpr22_vgpr23
	s_mov_b64 s[30:31], s[12:13]
	s_branch .LBB930_116
.LBB930_119:
	v_mov_b64_e32 v[58:59], 0
	s_branch .LBB930_122
.LBB930_120:
	s_or_b64 exec, exec, s[26:27]
	v_cmp_gt_i64_e32 vcc, s[12:13], v[26:27]
	s_mov_b32 s21, 0
	v_mov_b32_e32 v59, s21
	v_cndmask_b32_e64 v58, 0, 1, vcc
.LBB930_121:
	s_or_b64 exec, exec, s[18:19]
.LBB930_122:
	v_cmp_ne_u32_e32 vcc, 0, v0
	s_waitcnt lgkmcnt(0)
	v_mov_b64_e32 v[22:23], s[16:17]
	s_barrier
	s_and_saveexec_b64 s[18:19], vcc
	s_cbranch_execz .LBB930_124
; %bb.123:
	v_add_u32_e32 v1, -8, v40
	ds_read_b64 v[22:23], v1
.LBB930_124:
	s_or_b64 exec, exec, s[18:19]
	s_mov_b64 s[26:27], 0
	s_and_b64 vcc, exec, s[2:3]
	s_mov_b64 s[18:19], 0
	s_cbranch_vccnz .LBB930_133
; %bb.125:
	v_mul_lo_u32 v1, v3, s12
	v_mul_lo_u32 v26, v2, s13
	v_mad_u64_u32 v[24:25], s[2:3], v2, s12, 0
	v_add3_u32 v25, v25, v26, v1
	s_waitcnt lgkmcnt(0)
	v_mul_lo_u32 v1, v23, s12
	v_mul_lo_u32 v26, v22, s13
	v_mad_u64_u32 v[22:23], s[2:3], v22, s12, 0
	v_add3_u32 v23, v23, v26, v1
	v_lshl_add_u64 v[24:25], v[24:25], 2, s[14:15]
	v_lshl_add_u64 v[22:23], v[22:23], 2, s[14:15]
	global_load_dword v1, v[24:25], off
	global_load_dword v26, v[22:23], off
	s_mov_b64 s[18:19], -1
	s_waitcnt vmcnt(0)
	v_cmp_eq_f32_e32 vcc, v1, v26
	s_and_saveexec_b64 s[2:3], vcc
	s_cbranch_execz .LBB930_132
; %bb.126:
	s_add_u32 s18, s12, -1
	v_lshl_add_u64 v[22:23], v[22:23], 0, 4
	v_lshl_add_u64 v[24:25], v[24:25], 0, 4
	s_addc_u32 s19, s13, -1
	s_mov_b64 s[22:23], 0
	s_mov_b64 s[30:31], 0
                                        ; implicit-def: $sgpr28_sgpr29
	s_branch .LBB930_129
.LBB930_127:                            ;   in Loop: Header=BB930_129 Depth=1
	global_load_dword v1, v[24:25], off
	global_load_dword v26, v[22:23], off
	s_add_u32 s30, s30, 1
	s_addc_u32 s31, s31, 0
	s_andn2_b64 s[28:29], s[28:29], exec
	v_lshl_add_u64 v[22:23], v[22:23], 0, 4
	v_lshl_add_u64 v[24:25], v[24:25], 0, 4
	s_waitcnt vmcnt(0)
	v_cmp_neq_f32_e32 vcc, v1, v26
	s_and_b64 s[34:35], vcc, exec
	s_or_b64 s[28:29], s[28:29], s[34:35]
.LBB930_128:                            ;   in Loop: Header=BB930_129 Depth=1
	s_and_b64 s[34:35], exec, s[28:29]
	s_or_b64 s[22:23], s[34:35], s[22:23]
	v_mov_b64_e32 v[26:27], s[30:31]
	s_andn2_b64 exec, exec, s[22:23]
	s_cbranch_execz .LBB930_131
.LBB930_129:                            ; =>This Inner Loop Header: Depth=1
	s_or_b64 s[28:29], s[28:29], exec
	s_cmp_eq_u64 s[18:19], s[30:31]
	s_cbranch_scc0 .LBB930_127
; %bb.130:                              ;   in Loop: Header=BB930_129 Depth=1
                                        ; implicit-def: $vgpr22_vgpr23
                                        ; implicit-def: $vgpr24_vgpr25
	s_mov_b64 s[30:31], s[12:13]
	s_branch .LBB930_128
.LBB930_131:
	s_or_b64 exec, exec, s[22:23]
	v_cmp_gt_i64_e32 vcc, s[12:13], v[26:27]
	s_orn2_b64 s[18:19], vcc, exec
.LBB930_132:
	s_or_b64 exec, exec, s[2:3]
.LBB930_133:
	s_mov_b64 s[22:23], -1
	s_and_b64 vcc, exec, s[26:27]
	s_cbranch_vccz .LBB930_37
.LBB930_134:
	s_mul_i32 s21, s24, 0xfffff500
	s_add_i32 s21, s21, s10
	s_waitcnt lgkmcnt(0)
	v_mad_u32_u24 v22, v0, 11, 10
	v_cmp_gt_i64_e64 s[2:3], s[12:13], 0
	v_cmp_gt_u32_e32 vcc, s21, v22
	v_mul_u32_u24_e32 v1, 11, v0
	v_cndmask_b32_e64 v22, 0, 1, s[2:3]
	v_cmp_ne_u32_e64 s[2:3], 1, v22
	v_mov_b64_e32 v[42:43], v[36:37]
	ds_write_b64 v40, v[36:37]
	s_and_saveexec_b64 s[18:19], vcc
	s_cbranch_execz .LBB930_145
; %bb.135:
	s_and_b64 vcc, exec, s[2:3]
	s_cbranch_vccnz .LBB930_142
; %bb.136:
	v_mul_lo_u32 v24, v37, s12
	v_mul_lo_u32 v25, v36, s13
	v_mad_u64_u32 v[22:23], s[24:25], v36, s12, 0
	v_add3_u32 v23, v23, v25, v24
	v_mul_lo_u32 v24, v21, s12
	v_mul_lo_u32 v25, v20, s13
	v_mad_u64_u32 v[26:27], s[24:25], v20, s12, 0
	v_add3_u32 v27, v27, v25, v24
	v_lshl_add_u64 v[24:25], v[22:23], 2, s[14:15]
	v_lshl_add_u64 v[22:23], v[26:27], 2, s[14:15]
	global_load_dword v26, v[24:25], off
	global_load_dword v27, v[22:23], off
	v_mov_b64_e32 v[42:43], 1
	s_waitcnt vmcnt(0)
	v_cmp_eq_f32_e32 vcc, v26, v27
	s_and_saveexec_b64 s[24:25], vcc
	s_cbranch_execz .LBB930_144
; %bb.137:
	s_add_u32 s26, s12, -1
	v_lshl_add_u64 v[22:23], v[22:23], 0, 4
	v_lshl_add_u64 v[24:25], v[24:25], 0, 4
	s_addc_u32 s27, s13, -1
	s_mov_b64 s[28:29], 0
	s_mov_b64 s[34:35], 0
                                        ; implicit-def: $sgpr30_sgpr31
	s_branch .LBB930_140
.LBB930_138:                            ;   in Loop: Header=BB930_140 Depth=1
	global_load_dword v26, v[24:25], off
	global_load_dword v27, v[22:23], off
	s_add_u32 s34, s34, 1
	s_addc_u32 s35, s35, 0
	s_andn2_b64 s[30:31], s[30:31], exec
	v_lshl_add_u64 v[22:23], v[22:23], 0, 4
	v_lshl_add_u64 v[24:25], v[24:25], 0, 4
	s_waitcnt vmcnt(0)
	v_cmp_neq_f32_e32 vcc, v26, v27
	s_and_b64 s[36:37], vcc, exec
	s_or_b64 s[30:31], s[30:31], s[36:37]
.LBB930_139:                            ;   in Loop: Header=BB930_140 Depth=1
	s_and_b64 s[36:37], exec, s[30:31]
	s_or_b64 s[28:29], s[36:37], s[28:29]
	v_mov_b64_e32 v[26:27], s[34:35]
	s_andn2_b64 exec, exec, s[28:29]
	s_cbranch_execz .LBB930_143
.LBB930_140:                            ; =>This Inner Loop Header: Depth=1
	s_or_b64 s[30:31], s[30:31], exec
	s_cmp_eq_u64 s[26:27], s[34:35]
	s_cbranch_scc0 .LBB930_138
; %bb.141:                              ;   in Loop: Header=BB930_140 Depth=1
                                        ; implicit-def: $vgpr22_vgpr23
                                        ; implicit-def: $vgpr24_vgpr25
	s_mov_b64 s[34:35], s[12:13]
	s_branch .LBB930_139
.LBB930_142:
	v_mov_b64_e32 v[42:43], 0
	s_branch .LBB930_145
.LBB930_143:
	s_or_b64 exec, exec, s[28:29]
	v_cmp_gt_i64_e32 vcc, s[12:13], v[26:27]
	s_mov_b32 s26, 0
	v_mov_b32_e32 v43, s26
	v_cndmask_b32_e64 v42, 0, 1, vcc
.LBB930_144:
	s_or_b64 exec, exec, s[24:25]
.LBB930_145:
	s_or_b64 exec, exec, s[18:19]
	v_add_u32_e32 v22, 9, v1
	v_cmp_gt_u32_e32 vcc, s21, v22
	v_mov_b64_e32 v[44:45], v[20:21]
	s_and_saveexec_b64 s[18:19], vcc
	s_cbranch_execz .LBB930_156
; %bb.146:
	s_and_b64 vcc, exec, s[2:3]
	s_cbranch_vccnz .LBB930_153
; %bb.147:
	v_mul_lo_u32 v24, v21, s12
	v_mul_lo_u32 v25, v20, s13
	v_mad_u64_u32 v[22:23], s[24:25], v20, s12, 0
	v_add3_u32 v23, v23, v25, v24
	v_mul_lo_u32 v24, v19, s12
	v_mul_lo_u32 v25, v18, s13
	v_mad_u64_u32 v[26:27], s[24:25], v18, s12, 0
	v_add3_u32 v27, v27, v25, v24
	v_lshl_add_u64 v[24:25], v[22:23], 2, s[14:15]
	v_lshl_add_u64 v[22:23], v[26:27], 2, s[14:15]
	global_load_dword v26, v[24:25], off
	global_load_dword v27, v[22:23], off
	v_mov_b64_e32 v[44:45], 1
	s_waitcnt vmcnt(0)
	v_cmp_eq_f32_e32 vcc, v26, v27
	s_and_saveexec_b64 s[24:25], vcc
	s_cbranch_execz .LBB930_155
; %bb.148:
	s_add_u32 s26, s12, -1
	v_lshl_add_u64 v[22:23], v[22:23], 0, 4
	v_lshl_add_u64 v[24:25], v[24:25], 0, 4
	s_addc_u32 s27, s13, -1
	s_mov_b64 s[28:29], 0
	s_mov_b64 s[34:35], 0
                                        ; implicit-def: $sgpr30_sgpr31
	s_branch .LBB930_151
.LBB930_149:                            ;   in Loop: Header=BB930_151 Depth=1
	global_load_dword v26, v[24:25], off
	global_load_dword v27, v[22:23], off
	s_add_u32 s34, s34, 1
	s_addc_u32 s35, s35, 0
	s_andn2_b64 s[30:31], s[30:31], exec
	v_lshl_add_u64 v[22:23], v[22:23], 0, 4
	v_lshl_add_u64 v[24:25], v[24:25], 0, 4
	s_waitcnt vmcnt(0)
	v_cmp_neq_f32_e32 vcc, v26, v27
	s_and_b64 s[36:37], vcc, exec
	s_or_b64 s[30:31], s[30:31], s[36:37]
.LBB930_150:                            ;   in Loop: Header=BB930_151 Depth=1
	s_and_b64 s[36:37], exec, s[30:31]
	s_or_b64 s[28:29], s[36:37], s[28:29]
	v_mov_b64_e32 v[26:27], s[34:35]
	s_andn2_b64 exec, exec, s[28:29]
	s_cbranch_execz .LBB930_154
.LBB930_151:                            ; =>This Inner Loop Header: Depth=1
	s_or_b64 s[30:31], s[30:31], exec
	s_cmp_eq_u64 s[26:27], s[34:35]
	s_cbranch_scc0 .LBB930_149
; %bb.152:                              ;   in Loop: Header=BB930_151 Depth=1
                                        ; implicit-def: $vgpr22_vgpr23
                                        ; implicit-def: $vgpr24_vgpr25
	s_mov_b64 s[34:35], s[12:13]
	s_branch .LBB930_150
.LBB930_153:
	v_mov_b64_e32 v[44:45], 0
	s_branch .LBB930_156
.LBB930_154:
	s_or_b64 exec, exec, s[28:29]
	v_cmp_gt_i64_e32 vcc, s[12:13], v[26:27]
	s_mov_b32 s26, 0
	v_mov_b32_e32 v45, s26
	v_cndmask_b32_e64 v44, 0, 1, vcc
.LBB930_155:
	s_or_b64 exec, exec, s[24:25]
.LBB930_156:
	s_or_b64 exec, exec, s[18:19]
	v_add_u32_e32 v22, 8, v1
	v_cmp_gt_u32_e32 vcc, s21, v22
	v_mov_b64_e32 v[38:39], v[18:19]
	s_and_saveexec_b64 s[18:19], vcc
	s_cbranch_execz .LBB930_167
; %bb.157:
	s_and_b64 vcc, exec, s[2:3]
	s_cbranch_vccnz .LBB930_164
; %bb.158:
	v_mul_lo_u32 v24, v19, s12
	v_mul_lo_u32 v25, v18, s13
	v_mad_u64_u32 v[22:23], s[24:25], v18, s12, 0
	v_add3_u32 v23, v23, v25, v24
	v_mul_lo_u32 v24, v17, s12
	v_mul_lo_u32 v25, v16, s13
	v_mad_u64_u32 v[26:27], s[24:25], v16, s12, 0
	v_add3_u32 v27, v27, v25, v24
	v_lshl_add_u64 v[24:25], v[22:23], 2, s[14:15]
	v_lshl_add_u64 v[22:23], v[26:27], 2, s[14:15]
	global_load_dword v26, v[24:25], off
	global_load_dword v27, v[22:23], off
	v_mov_b64_e32 v[38:39], 1
	s_waitcnt vmcnt(0)
	v_cmp_eq_f32_e32 vcc, v26, v27
	s_and_saveexec_b64 s[24:25], vcc
	s_cbranch_execz .LBB930_166
; %bb.159:
	s_add_u32 s26, s12, -1
	v_lshl_add_u64 v[22:23], v[22:23], 0, 4
	v_lshl_add_u64 v[24:25], v[24:25], 0, 4
	s_addc_u32 s27, s13, -1
	s_mov_b64 s[28:29], 0
	s_mov_b64 s[34:35], 0
                                        ; implicit-def: $sgpr30_sgpr31
	s_branch .LBB930_162
.LBB930_160:                            ;   in Loop: Header=BB930_162 Depth=1
	global_load_dword v26, v[24:25], off
	global_load_dword v27, v[22:23], off
	s_add_u32 s34, s34, 1
	s_addc_u32 s35, s35, 0
	s_andn2_b64 s[30:31], s[30:31], exec
	v_lshl_add_u64 v[22:23], v[22:23], 0, 4
	v_lshl_add_u64 v[24:25], v[24:25], 0, 4
	s_waitcnt vmcnt(0)
	v_cmp_neq_f32_e32 vcc, v26, v27
	s_and_b64 s[36:37], vcc, exec
	s_or_b64 s[30:31], s[30:31], s[36:37]
.LBB930_161:                            ;   in Loop: Header=BB930_162 Depth=1
	s_and_b64 s[36:37], exec, s[30:31]
	s_or_b64 s[28:29], s[36:37], s[28:29]
	v_mov_b64_e32 v[26:27], s[34:35]
	s_andn2_b64 exec, exec, s[28:29]
	s_cbranch_execz .LBB930_165
.LBB930_162:                            ; =>This Inner Loop Header: Depth=1
	s_or_b64 s[30:31], s[30:31], exec
	s_cmp_eq_u64 s[26:27], s[34:35]
	s_cbranch_scc0 .LBB930_160
; %bb.163:                              ;   in Loop: Header=BB930_162 Depth=1
                                        ; implicit-def: $vgpr22_vgpr23
                                        ; implicit-def: $vgpr24_vgpr25
	s_mov_b64 s[34:35], s[12:13]
	s_branch .LBB930_161
.LBB930_164:
	v_mov_b64_e32 v[38:39], 0
	s_branch .LBB930_167
.LBB930_165:
	s_or_b64 exec, exec, s[28:29]
	v_cmp_gt_i64_e32 vcc, s[12:13], v[26:27]
	s_mov_b32 s26, 0
	v_mov_b32_e32 v39, s26
	v_cndmask_b32_e64 v38, 0, 1, vcc
.LBB930_166:
	s_or_b64 exec, exec, s[24:25]
.LBB930_167:
	s_or_b64 exec, exec, s[18:19]
	v_add_u32_e32 v22, 7, v1
	v_cmp_gt_u32_e32 vcc, s21, v22
	v_mov_b64_e32 v[46:47], v[16:17]
	s_and_saveexec_b64 s[18:19], vcc
	s_cbranch_execz .LBB930_178
; %bb.168:
	s_and_b64 vcc, exec, s[2:3]
	s_cbranch_vccnz .LBB930_175
; %bb.169:
	v_mul_lo_u32 v24, v17, s12
	v_mul_lo_u32 v25, v16, s13
	v_mad_u64_u32 v[22:23], s[24:25], v16, s12, 0
	v_add3_u32 v23, v23, v25, v24
	v_mul_lo_u32 v24, v15, s12
	v_mul_lo_u32 v25, v14, s13
	v_mad_u64_u32 v[26:27], s[24:25], v14, s12, 0
	v_add3_u32 v27, v27, v25, v24
	v_lshl_add_u64 v[24:25], v[22:23], 2, s[14:15]
	v_lshl_add_u64 v[22:23], v[26:27], 2, s[14:15]
	global_load_dword v26, v[24:25], off
	global_load_dword v27, v[22:23], off
	v_mov_b64_e32 v[46:47], 1
	s_waitcnt vmcnt(0)
	v_cmp_eq_f32_e32 vcc, v26, v27
	s_and_saveexec_b64 s[24:25], vcc
	s_cbranch_execz .LBB930_177
; %bb.170:
	s_add_u32 s26, s12, -1
	v_lshl_add_u64 v[22:23], v[22:23], 0, 4
	v_lshl_add_u64 v[24:25], v[24:25], 0, 4
	s_addc_u32 s27, s13, -1
	s_mov_b64 s[28:29], 0
	s_mov_b64 s[34:35], 0
                                        ; implicit-def: $sgpr30_sgpr31
	s_branch .LBB930_173
.LBB930_171:                            ;   in Loop: Header=BB930_173 Depth=1
	global_load_dword v26, v[24:25], off
	global_load_dword v27, v[22:23], off
	s_add_u32 s34, s34, 1
	s_addc_u32 s35, s35, 0
	s_andn2_b64 s[30:31], s[30:31], exec
	v_lshl_add_u64 v[22:23], v[22:23], 0, 4
	v_lshl_add_u64 v[24:25], v[24:25], 0, 4
	s_waitcnt vmcnt(0)
	v_cmp_neq_f32_e32 vcc, v26, v27
	s_and_b64 s[36:37], vcc, exec
	s_or_b64 s[30:31], s[30:31], s[36:37]
.LBB930_172:                            ;   in Loop: Header=BB930_173 Depth=1
	s_and_b64 s[36:37], exec, s[30:31]
	s_or_b64 s[28:29], s[36:37], s[28:29]
	v_mov_b64_e32 v[26:27], s[34:35]
	s_andn2_b64 exec, exec, s[28:29]
	s_cbranch_execz .LBB930_176
.LBB930_173:                            ; =>This Inner Loop Header: Depth=1
	s_or_b64 s[30:31], s[30:31], exec
	s_cmp_eq_u64 s[26:27], s[34:35]
	s_cbranch_scc0 .LBB930_171
; %bb.174:                              ;   in Loop: Header=BB930_173 Depth=1
                                        ; implicit-def: $vgpr22_vgpr23
                                        ; implicit-def: $vgpr24_vgpr25
	s_mov_b64 s[34:35], s[12:13]
	s_branch .LBB930_172
.LBB930_175:
	v_mov_b64_e32 v[46:47], 0
	s_branch .LBB930_178
.LBB930_176:
	s_or_b64 exec, exec, s[28:29]
	v_cmp_gt_i64_e32 vcc, s[12:13], v[26:27]
	s_mov_b32 s26, 0
	v_mov_b32_e32 v47, s26
	v_cndmask_b32_e64 v46, 0, 1, vcc
.LBB930_177:
	s_or_b64 exec, exec, s[24:25]
.LBB930_178:
	s_or_b64 exec, exec, s[18:19]
	v_add_u32_e32 v22, 6, v1
	v_cmp_gt_u32_e32 vcc, s21, v22
	v_mov_b64_e32 v[48:49], v[14:15]
	s_and_saveexec_b64 s[18:19], vcc
	s_cbranch_execz .LBB930_189
; %bb.179:
	s_and_b64 vcc, exec, s[2:3]
	s_cbranch_vccnz .LBB930_186
; %bb.180:
	v_mul_lo_u32 v24, v15, s12
	v_mul_lo_u32 v25, v14, s13
	v_mad_u64_u32 v[22:23], s[24:25], v14, s12, 0
	v_add3_u32 v23, v23, v25, v24
	v_mul_lo_u32 v24, v13, s12
	v_mul_lo_u32 v25, v12, s13
	v_mad_u64_u32 v[26:27], s[24:25], v12, s12, 0
	v_add3_u32 v27, v27, v25, v24
	v_lshl_add_u64 v[24:25], v[22:23], 2, s[14:15]
	v_lshl_add_u64 v[22:23], v[26:27], 2, s[14:15]
	global_load_dword v26, v[24:25], off
	global_load_dword v27, v[22:23], off
	v_mov_b64_e32 v[48:49], 1
	s_waitcnt vmcnt(0)
	v_cmp_eq_f32_e32 vcc, v26, v27
	s_and_saveexec_b64 s[24:25], vcc
	s_cbranch_execz .LBB930_188
; %bb.181:
	s_add_u32 s26, s12, -1
	v_lshl_add_u64 v[22:23], v[22:23], 0, 4
	v_lshl_add_u64 v[24:25], v[24:25], 0, 4
	s_addc_u32 s27, s13, -1
	s_mov_b64 s[28:29], 0
	s_mov_b64 s[34:35], 0
                                        ; implicit-def: $sgpr30_sgpr31
	s_branch .LBB930_184
.LBB930_182:                            ;   in Loop: Header=BB930_184 Depth=1
	global_load_dword v26, v[24:25], off
	global_load_dword v27, v[22:23], off
	s_add_u32 s34, s34, 1
	s_addc_u32 s35, s35, 0
	s_andn2_b64 s[30:31], s[30:31], exec
	v_lshl_add_u64 v[22:23], v[22:23], 0, 4
	v_lshl_add_u64 v[24:25], v[24:25], 0, 4
	s_waitcnt vmcnt(0)
	v_cmp_neq_f32_e32 vcc, v26, v27
	s_and_b64 s[36:37], vcc, exec
	s_or_b64 s[30:31], s[30:31], s[36:37]
.LBB930_183:                            ;   in Loop: Header=BB930_184 Depth=1
	s_and_b64 s[36:37], exec, s[30:31]
	s_or_b64 s[28:29], s[36:37], s[28:29]
	v_mov_b64_e32 v[26:27], s[34:35]
	s_andn2_b64 exec, exec, s[28:29]
	s_cbranch_execz .LBB930_187
.LBB930_184:                            ; =>This Inner Loop Header: Depth=1
	s_or_b64 s[30:31], s[30:31], exec
	s_cmp_eq_u64 s[26:27], s[34:35]
	s_cbranch_scc0 .LBB930_182
; %bb.185:                              ;   in Loop: Header=BB930_184 Depth=1
                                        ; implicit-def: $vgpr22_vgpr23
                                        ; implicit-def: $vgpr24_vgpr25
	s_mov_b64 s[34:35], s[12:13]
	s_branch .LBB930_183
.LBB930_186:
	v_mov_b64_e32 v[48:49], 0
	s_branch .LBB930_189
.LBB930_187:
	s_or_b64 exec, exec, s[28:29]
	v_cmp_gt_i64_e32 vcc, s[12:13], v[26:27]
	s_mov_b32 s26, 0
	v_mov_b32_e32 v49, s26
	v_cndmask_b32_e64 v48, 0, 1, vcc
.LBB930_188:
	s_or_b64 exec, exec, s[24:25]
.LBB930_189:
	s_or_b64 exec, exec, s[18:19]
	v_add_u32_e32 v22, 5, v1
	v_cmp_gt_u32_e32 vcc, s21, v22
	v_mov_b64_e32 v[50:51], v[12:13]
	s_and_saveexec_b64 s[18:19], vcc
	s_cbranch_execz .LBB930_200
; %bb.190:
	s_and_b64 vcc, exec, s[2:3]
	s_cbranch_vccnz .LBB930_197
; %bb.191:
	v_mul_lo_u32 v24, v13, s12
	v_mul_lo_u32 v25, v12, s13
	v_mad_u64_u32 v[22:23], s[24:25], v12, s12, 0
	v_add3_u32 v23, v23, v25, v24
	v_mul_lo_u32 v24, v11, s12
	v_mul_lo_u32 v25, v10, s13
	v_mad_u64_u32 v[26:27], s[24:25], v10, s12, 0
	v_add3_u32 v27, v27, v25, v24
	v_lshl_add_u64 v[24:25], v[22:23], 2, s[14:15]
	v_lshl_add_u64 v[22:23], v[26:27], 2, s[14:15]
	global_load_dword v26, v[24:25], off
	global_load_dword v27, v[22:23], off
	v_mov_b64_e32 v[50:51], 1
	s_waitcnt vmcnt(0)
	v_cmp_eq_f32_e32 vcc, v26, v27
	s_and_saveexec_b64 s[24:25], vcc
	s_cbranch_execz .LBB930_199
; %bb.192:
	s_add_u32 s26, s12, -1
	v_lshl_add_u64 v[22:23], v[22:23], 0, 4
	v_lshl_add_u64 v[24:25], v[24:25], 0, 4
	s_addc_u32 s27, s13, -1
	s_mov_b64 s[28:29], 0
	s_mov_b64 s[34:35], 0
                                        ; implicit-def: $sgpr30_sgpr31
	s_branch .LBB930_195
.LBB930_193:                            ;   in Loop: Header=BB930_195 Depth=1
	global_load_dword v26, v[24:25], off
	global_load_dword v27, v[22:23], off
	s_add_u32 s34, s34, 1
	s_addc_u32 s35, s35, 0
	s_andn2_b64 s[30:31], s[30:31], exec
	v_lshl_add_u64 v[22:23], v[22:23], 0, 4
	v_lshl_add_u64 v[24:25], v[24:25], 0, 4
	s_waitcnt vmcnt(0)
	v_cmp_neq_f32_e32 vcc, v26, v27
	s_and_b64 s[36:37], vcc, exec
	s_or_b64 s[30:31], s[30:31], s[36:37]
.LBB930_194:                            ;   in Loop: Header=BB930_195 Depth=1
	s_and_b64 s[36:37], exec, s[30:31]
	s_or_b64 s[28:29], s[36:37], s[28:29]
	v_mov_b64_e32 v[26:27], s[34:35]
	s_andn2_b64 exec, exec, s[28:29]
	s_cbranch_execz .LBB930_198
.LBB930_195:                            ; =>This Inner Loop Header: Depth=1
	s_or_b64 s[30:31], s[30:31], exec
	s_cmp_eq_u64 s[26:27], s[34:35]
	s_cbranch_scc0 .LBB930_193
; %bb.196:                              ;   in Loop: Header=BB930_195 Depth=1
                                        ; implicit-def: $vgpr22_vgpr23
                                        ; implicit-def: $vgpr24_vgpr25
	s_mov_b64 s[34:35], s[12:13]
	s_branch .LBB930_194
.LBB930_197:
	v_mov_b64_e32 v[50:51], 0
	s_branch .LBB930_200
.LBB930_198:
	s_or_b64 exec, exec, s[28:29]
	v_cmp_gt_i64_e32 vcc, s[12:13], v[26:27]
	s_mov_b32 s26, 0
	v_mov_b32_e32 v51, s26
	v_cndmask_b32_e64 v50, 0, 1, vcc
.LBB930_199:
	s_or_b64 exec, exec, s[24:25]
.LBB930_200:
	s_or_b64 exec, exec, s[18:19]
	v_add_u32_e32 v22, 4, v1
	v_cmp_gt_u32_e32 vcc, s21, v22
	v_mov_b64_e32 v[52:53], v[10:11]
	s_and_saveexec_b64 s[18:19], vcc
	s_cbranch_execz .LBB930_211
; %bb.201:
	s_and_b64 vcc, exec, s[2:3]
	s_cbranch_vccnz .LBB930_208
; %bb.202:
	v_mul_lo_u32 v24, v11, s12
	v_mul_lo_u32 v25, v10, s13
	v_mad_u64_u32 v[22:23], s[24:25], v10, s12, 0
	v_add3_u32 v23, v23, v25, v24
	v_mul_lo_u32 v24, v9, s12
	v_mul_lo_u32 v25, v8, s13
	v_mad_u64_u32 v[26:27], s[24:25], v8, s12, 0
	v_add3_u32 v27, v27, v25, v24
	v_lshl_add_u64 v[24:25], v[22:23], 2, s[14:15]
	v_lshl_add_u64 v[22:23], v[26:27], 2, s[14:15]
	global_load_dword v26, v[24:25], off
	global_load_dword v27, v[22:23], off
	v_mov_b64_e32 v[52:53], 1
	s_waitcnt vmcnt(0)
	v_cmp_eq_f32_e32 vcc, v26, v27
	s_and_saveexec_b64 s[24:25], vcc
	s_cbranch_execz .LBB930_210
; %bb.203:
	s_add_u32 s26, s12, -1
	v_lshl_add_u64 v[22:23], v[22:23], 0, 4
	v_lshl_add_u64 v[24:25], v[24:25], 0, 4
	s_addc_u32 s27, s13, -1
	s_mov_b64 s[28:29], 0
	s_mov_b64 s[34:35], 0
                                        ; implicit-def: $sgpr30_sgpr31
	s_branch .LBB930_206
.LBB930_204:                            ;   in Loop: Header=BB930_206 Depth=1
	global_load_dword v26, v[24:25], off
	global_load_dword v27, v[22:23], off
	s_add_u32 s34, s34, 1
	s_addc_u32 s35, s35, 0
	s_andn2_b64 s[30:31], s[30:31], exec
	v_lshl_add_u64 v[22:23], v[22:23], 0, 4
	v_lshl_add_u64 v[24:25], v[24:25], 0, 4
	s_waitcnt vmcnt(0)
	v_cmp_neq_f32_e32 vcc, v26, v27
	s_and_b64 s[36:37], vcc, exec
	s_or_b64 s[30:31], s[30:31], s[36:37]
.LBB930_205:                            ;   in Loop: Header=BB930_206 Depth=1
	s_and_b64 s[36:37], exec, s[30:31]
	s_or_b64 s[28:29], s[36:37], s[28:29]
	v_mov_b64_e32 v[26:27], s[34:35]
	s_andn2_b64 exec, exec, s[28:29]
	s_cbranch_execz .LBB930_209
.LBB930_206:                            ; =>This Inner Loop Header: Depth=1
	s_or_b64 s[30:31], s[30:31], exec
	s_cmp_eq_u64 s[26:27], s[34:35]
	s_cbranch_scc0 .LBB930_204
; %bb.207:                              ;   in Loop: Header=BB930_206 Depth=1
                                        ; implicit-def: $vgpr22_vgpr23
                                        ; implicit-def: $vgpr24_vgpr25
	s_mov_b64 s[34:35], s[12:13]
	s_branch .LBB930_205
.LBB930_208:
	v_mov_b64_e32 v[52:53], 0
	s_branch .LBB930_211
.LBB930_209:
	s_or_b64 exec, exec, s[28:29]
	v_cmp_gt_i64_e32 vcc, s[12:13], v[26:27]
	s_mov_b32 s26, 0
	v_mov_b32_e32 v53, s26
	v_cndmask_b32_e64 v52, 0, 1, vcc
.LBB930_210:
	s_or_b64 exec, exec, s[24:25]
.LBB930_211:
	s_or_b64 exec, exec, s[18:19]
	v_add_u32_e32 v22, 3, v1
	v_cmp_gt_u32_e32 vcc, s21, v22
	v_mov_b64_e32 v[54:55], v[8:9]
	s_and_saveexec_b64 s[18:19], vcc
	s_cbranch_execz .LBB930_222
; %bb.212:
	s_and_b64 vcc, exec, s[2:3]
	s_cbranch_vccnz .LBB930_219
; %bb.213:
	v_mul_lo_u32 v24, v9, s12
	v_mul_lo_u32 v25, v8, s13
	v_mad_u64_u32 v[22:23], s[24:25], v8, s12, 0
	v_add3_u32 v23, v23, v25, v24
	v_mul_lo_u32 v24, v7, s12
	v_mul_lo_u32 v25, v6, s13
	v_mad_u64_u32 v[26:27], s[24:25], v6, s12, 0
	v_add3_u32 v27, v27, v25, v24
	v_lshl_add_u64 v[24:25], v[22:23], 2, s[14:15]
	v_lshl_add_u64 v[22:23], v[26:27], 2, s[14:15]
	global_load_dword v26, v[24:25], off
	global_load_dword v27, v[22:23], off
	v_mov_b64_e32 v[54:55], 1
	s_waitcnt vmcnt(0)
	v_cmp_eq_f32_e32 vcc, v26, v27
	s_and_saveexec_b64 s[24:25], vcc
	s_cbranch_execz .LBB930_221
; %bb.214:
	s_add_u32 s26, s12, -1
	v_lshl_add_u64 v[22:23], v[22:23], 0, 4
	v_lshl_add_u64 v[24:25], v[24:25], 0, 4
	s_addc_u32 s27, s13, -1
	s_mov_b64 s[28:29], 0
	s_mov_b64 s[34:35], 0
                                        ; implicit-def: $sgpr30_sgpr31
	s_branch .LBB930_217
.LBB930_215:                            ;   in Loop: Header=BB930_217 Depth=1
	global_load_dword v26, v[24:25], off
	global_load_dword v27, v[22:23], off
	s_add_u32 s34, s34, 1
	s_addc_u32 s35, s35, 0
	s_andn2_b64 s[30:31], s[30:31], exec
	v_lshl_add_u64 v[22:23], v[22:23], 0, 4
	v_lshl_add_u64 v[24:25], v[24:25], 0, 4
	s_waitcnt vmcnt(0)
	v_cmp_neq_f32_e32 vcc, v26, v27
	s_and_b64 s[36:37], vcc, exec
	s_or_b64 s[30:31], s[30:31], s[36:37]
.LBB930_216:                            ;   in Loop: Header=BB930_217 Depth=1
	s_and_b64 s[36:37], exec, s[30:31]
	s_or_b64 s[28:29], s[36:37], s[28:29]
	v_mov_b64_e32 v[26:27], s[34:35]
	s_andn2_b64 exec, exec, s[28:29]
	s_cbranch_execz .LBB930_220
.LBB930_217:                            ; =>This Inner Loop Header: Depth=1
	s_or_b64 s[30:31], s[30:31], exec
	s_cmp_eq_u64 s[26:27], s[34:35]
	s_cbranch_scc0 .LBB930_215
; %bb.218:                              ;   in Loop: Header=BB930_217 Depth=1
                                        ; implicit-def: $vgpr22_vgpr23
                                        ; implicit-def: $vgpr24_vgpr25
	s_mov_b64 s[34:35], s[12:13]
	s_branch .LBB930_216
.LBB930_219:
	v_mov_b64_e32 v[54:55], 0
	s_branch .LBB930_222
.LBB930_220:
	s_or_b64 exec, exec, s[28:29]
	v_cmp_gt_i64_e32 vcc, s[12:13], v[26:27]
	s_mov_b32 s26, 0
	v_mov_b32_e32 v55, s26
	v_cndmask_b32_e64 v54, 0, 1, vcc
.LBB930_221:
	s_or_b64 exec, exec, s[24:25]
.LBB930_222:
	s_or_b64 exec, exec, s[18:19]
	v_add_u32_e32 v22, 2, v1
	v_cmp_gt_u32_e32 vcc, s21, v22
	v_mov_b64_e32 v[56:57], v[6:7]
	s_and_saveexec_b64 s[18:19], vcc
	s_cbranch_execz .LBB930_233
; %bb.223:
	s_and_b64 vcc, exec, s[2:3]
	s_cbranch_vccnz .LBB930_230
; %bb.224:
	v_mul_lo_u32 v24, v7, s12
	v_mul_lo_u32 v25, v6, s13
	v_mad_u64_u32 v[22:23], s[24:25], v6, s12, 0
	v_add3_u32 v23, v23, v25, v24
	v_mul_lo_u32 v24, v5, s12
	v_mul_lo_u32 v25, v4, s13
	v_mad_u64_u32 v[26:27], s[24:25], v4, s12, 0
	v_add3_u32 v27, v27, v25, v24
	v_lshl_add_u64 v[24:25], v[22:23], 2, s[14:15]
	v_lshl_add_u64 v[22:23], v[26:27], 2, s[14:15]
	global_load_dword v26, v[24:25], off
	global_load_dword v27, v[22:23], off
	v_mov_b64_e32 v[56:57], 1
	s_waitcnt vmcnt(0)
	v_cmp_eq_f32_e32 vcc, v26, v27
	s_and_saveexec_b64 s[24:25], vcc
	s_cbranch_execz .LBB930_232
; %bb.225:
	s_add_u32 s26, s12, -1
	v_lshl_add_u64 v[22:23], v[22:23], 0, 4
	v_lshl_add_u64 v[24:25], v[24:25], 0, 4
	s_addc_u32 s27, s13, -1
	s_mov_b64 s[28:29], 0
	s_mov_b64 s[34:35], 0
                                        ; implicit-def: $sgpr30_sgpr31
	s_branch .LBB930_228
.LBB930_226:                            ;   in Loop: Header=BB930_228 Depth=1
	global_load_dword v26, v[24:25], off
	global_load_dword v27, v[22:23], off
	s_add_u32 s34, s34, 1
	s_addc_u32 s35, s35, 0
	s_andn2_b64 s[30:31], s[30:31], exec
	v_lshl_add_u64 v[22:23], v[22:23], 0, 4
	v_lshl_add_u64 v[24:25], v[24:25], 0, 4
	s_waitcnt vmcnt(0)
	v_cmp_neq_f32_e32 vcc, v26, v27
	s_and_b64 s[36:37], vcc, exec
	s_or_b64 s[30:31], s[30:31], s[36:37]
.LBB930_227:                            ;   in Loop: Header=BB930_228 Depth=1
	s_and_b64 s[36:37], exec, s[30:31]
	s_or_b64 s[28:29], s[36:37], s[28:29]
	v_mov_b64_e32 v[26:27], s[34:35]
	s_andn2_b64 exec, exec, s[28:29]
	s_cbranch_execz .LBB930_231
.LBB930_228:                            ; =>This Inner Loop Header: Depth=1
	s_or_b64 s[30:31], s[30:31], exec
	s_cmp_eq_u64 s[26:27], s[34:35]
	s_cbranch_scc0 .LBB930_226
; %bb.229:                              ;   in Loop: Header=BB930_228 Depth=1
                                        ; implicit-def: $vgpr22_vgpr23
                                        ; implicit-def: $vgpr24_vgpr25
	s_mov_b64 s[34:35], s[12:13]
	s_branch .LBB930_227
.LBB930_230:
	v_mov_b64_e32 v[56:57], 0
	s_branch .LBB930_233
.LBB930_231:
	s_or_b64 exec, exec, s[28:29]
	v_cmp_gt_i64_e32 vcc, s[12:13], v[26:27]
	s_mov_b32 s26, 0
	v_mov_b32_e32 v57, s26
	v_cndmask_b32_e64 v56, 0, 1, vcc
.LBB930_232:
	s_or_b64 exec, exec, s[24:25]
.LBB930_233:
	s_or_b64 exec, exec, s[18:19]
	v_add_u32_e32 v22, 1, v1
	v_cmp_gt_u32_e32 vcc, s21, v22
	v_mov_b64_e32 v[58:59], v[4:5]
	s_and_saveexec_b64 s[18:19], vcc
	s_cbranch_execz .LBB930_244
; %bb.234:
	s_and_b64 vcc, exec, s[2:3]
	s_cbranch_vccnz .LBB930_241
; %bb.235:
	v_mul_lo_u32 v24, v5, s12
	v_mul_lo_u32 v25, v4, s13
	v_mad_u64_u32 v[22:23], s[24:25], v4, s12, 0
	v_add3_u32 v23, v23, v25, v24
	v_mul_lo_u32 v24, v3, s12
	v_mul_lo_u32 v25, v2, s13
	v_mad_u64_u32 v[26:27], s[24:25], v2, s12, 0
	v_add3_u32 v27, v27, v25, v24
	v_lshl_add_u64 v[24:25], v[22:23], 2, s[14:15]
	v_lshl_add_u64 v[22:23], v[26:27], 2, s[14:15]
	global_load_dword v26, v[24:25], off
	global_load_dword v27, v[22:23], off
	v_mov_b64_e32 v[58:59], 1
	s_waitcnt vmcnt(0)
	v_cmp_eq_f32_e32 vcc, v26, v27
	s_and_saveexec_b64 s[24:25], vcc
	s_cbranch_execz .LBB930_243
; %bb.236:
	s_add_u32 s26, s12, -1
	v_lshl_add_u64 v[22:23], v[22:23], 0, 4
	v_lshl_add_u64 v[24:25], v[24:25], 0, 4
	s_addc_u32 s27, s13, -1
	s_mov_b64 s[28:29], 0
	s_mov_b64 s[34:35], 0
                                        ; implicit-def: $sgpr30_sgpr31
	s_branch .LBB930_239
.LBB930_237:                            ;   in Loop: Header=BB930_239 Depth=1
	global_load_dword v26, v[24:25], off
	global_load_dword v27, v[22:23], off
	s_add_u32 s34, s34, 1
	s_addc_u32 s35, s35, 0
	s_andn2_b64 s[30:31], s[30:31], exec
	v_lshl_add_u64 v[22:23], v[22:23], 0, 4
	v_lshl_add_u64 v[24:25], v[24:25], 0, 4
	s_waitcnt vmcnt(0)
	v_cmp_neq_f32_e32 vcc, v26, v27
	s_and_b64 s[36:37], vcc, exec
	s_or_b64 s[30:31], s[30:31], s[36:37]
.LBB930_238:                            ;   in Loop: Header=BB930_239 Depth=1
	s_and_b64 s[36:37], exec, s[30:31]
	s_or_b64 s[28:29], s[36:37], s[28:29]
	v_mov_b64_e32 v[26:27], s[34:35]
	s_andn2_b64 exec, exec, s[28:29]
	s_cbranch_execz .LBB930_242
.LBB930_239:                            ; =>This Inner Loop Header: Depth=1
	s_or_b64 s[30:31], s[30:31], exec
	s_cmp_eq_u64 s[26:27], s[34:35]
	s_cbranch_scc0 .LBB930_237
; %bb.240:                              ;   in Loop: Header=BB930_239 Depth=1
                                        ; implicit-def: $vgpr22_vgpr23
                                        ; implicit-def: $vgpr24_vgpr25
	s_mov_b64 s[34:35], s[12:13]
	s_branch .LBB930_238
.LBB930_241:
	v_mov_b64_e32 v[58:59], 0
	s_branch .LBB930_244
.LBB930_242:
	s_or_b64 exec, exec, s[28:29]
	v_cmp_gt_i64_e32 vcc, s[12:13], v[26:27]
	s_mov_b32 s26, 0
	v_mov_b32_e32 v59, s26
	v_cndmask_b32_e64 v58, 0, 1, vcc
.LBB930_243:
	s_or_b64 exec, exec, s[24:25]
.LBB930_244:
	s_or_b64 exec, exec, s[18:19]
	v_cmp_ne_u32_e32 vcc, 0, v0
	v_mov_b64_e32 v[22:23], s[16:17]
	s_waitcnt lgkmcnt(0)
	s_barrier
	s_and_saveexec_b64 s[16:17], vcc
	s_cbranch_execz .LBB930_246
; %bb.245:
	v_add_u32_e32 v22, -8, v40
	ds_read_b64 v[22:23], v22
.LBB930_246:
	s_or_b64 exec, exec, s[16:17]
	v_cmp_gt_u32_e32 vcc, s21, v1
                                        ; implicit-def: $sgpr18_sgpr19
	s_and_saveexec_b64 s[16:17], vcc
	s_cbranch_execz .LBB930_258
; %bb.247:
	s_and_b64 vcc, exec, s[2:3]
	s_cbranch_vccnz .LBB930_254
; %bb.248:
	v_mul_lo_u32 v1, v3, s12
	v_mul_lo_u32 v26, v2, s13
	v_mad_u64_u32 v[24:25], s[2:3], v2, s12, 0
	v_add3_u32 v25, v25, v26, v1
	s_waitcnt lgkmcnt(0)
	v_mul_lo_u32 v1, v23, s12
	v_mul_lo_u32 v26, v22, s13
	v_mad_u64_u32 v[22:23], s[2:3], v22, s12, 0
	v_add3_u32 v23, v23, v26, v1
	v_lshl_add_u64 v[24:25], v[24:25], 2, s[14:15]
	v_lshl_add_u64 v[22:23], v[22:23], 2, s[14:15]
	global_load_dword v1, v[24:25], off
	global_load_dword v26, v[22:23], off
	s_mov_b64 s[18:19], -1
	s_waitcnt vmcnt(0)
	v_cmp_eq_f32_e32 vcc, v1, v26
	s_and_saveexec_b64 s[2:3], vcc
	s_cbranch_execz .LBB930_256
; %bb.249:
	s_add_u32 s18, s12, -1
	v_lshl_add_u64 v[22:23], v[22:23], 0, 4
	v_lshl_add_u64 v[24:25], v[24:25], 0, 4
	s_addc_u32 s19, s13, -1
	s_mov_b64 s[24:25], 0
	s_mov_b64 s[28:29], 0
                                        ; implicit-def: $sgpr26_sgpr27
	s_branch .LBB930_252
.LBB930_250:                            ;   in Loop: Header=BB930_252 Depth=1
	global_load_dword v1, v[24:25], off
	global_load_dword v26, v[22:23], off
	s_add_u32 s28, s28, 1
	s_addc_u32 s29, s29, 0
	s_andn2_b64 s[26:27], s[26:27], exec
	v_lshl_add_u64 v[22:23], v[22:23], 0, 4
	v_lshl_add_u64 v[24:25], v[24:25], 0, 4
	s_waitcnt vmcnt(0)
	v_cmp_neq_f32_e32 vcc, v1, v26
	s_and_b64 s[30:31], vcc, exec
	s_or_b64 s[26:27], s[26:27], s[30:31]
.LBB930_251:                            ;   in Loop: Header=BB930_252 Depth=1
	s_and_b64 s[30:31], exec, s[26:27]
	s_or_b64 s[24:25], s[30:31], s[24:25]
	v_mov_b64_e32 v[26:27], s[28:29]
	s_andn2_b64 exec, exec, s[24:25]
	s_cbranch_execz .LBB930_255
.LBB930_252:                            ; =>This Inner Loop Header: Depth=1
	s_or_b64 s[26:27], s[26:27], exec
	s_cmp_eq_u64 s[18:19], s[28:29]
	s_cbranch_scc0 .LBB930_250
; %bb.253:                              ;   in Loop: Header=BB930_252 Depth=1
                                        ; implicit-def: $vgpr22_vgpr23
                                        ; implicit-def: $vgpr24_vgpr25
	s_mov_b64 s[28:29], s[12:13]
	s_branch .LBB930_251
.LBB930_254:
	s_mov_b64 s[18:19], 0
	s_branch .LBB930_257
.LBB930_255:
	s_or_b64 exec, exec, s[24:25]
	v_cmp_gt_i64_e32 vcc, s[12:13], v[26:27]
	s_orn2_b64 s[18:19], vcc, exec
.LBB930_256:
	s_or_b64 exec, exec, s[2:3]
.LBB930_257:
	s_and_b64 s[18:19], s[18:19], exec
	s_or_b64 s[22:23], s[22:23], exec
.LBB930_258:
	s_or_b64 exec, exec, s[16:17]
	v_mov_b64_e32 v[60:61], v[44:45]
	s_waitcnt lgkmcnt(0)
	v_mov_b64_e32 v[22:23], v[38:39]
	v_mov_b64_e32 v[68:69], v[58:59]
	;; [unrolled: 1-line block ×8, first 2 shown]
	s_branch .LBB930_488
.LBB930_259:
	s_cmp_lg_u64 s[4:5], 1
	s_cbranch_scc0 .LBB930_267
; %bb.260:
	v_mul_lo_u32 v1, v21, s12
	v_mul_lo_u32 v24, v20, s13
	s_waitcnt lgkmcnt(0)
	v_mad_u64_u32 v[22:23], s[16:17], v20, s12, 0
	v_mov_b64_e32 v[38:39], 0
	v_cmp_lt_i64_e64 s[2:3], s[12:13], 1
	v_add3_u32 v23, v23, v24, v1
	v_cmp_gt_i64_e64 s[4:5], s[12:13], 0
	s_and_b64 vcc, exec, s[2:3]
	v_lshl_add_u64 v[22:23], v[22:23], 2, s[14:15]
	v_mov_b64_e32 v[42:43], v[38:39]
	ds_write_b64 v40, v[36:37]
	s_cbranch_vccnz .LBB930_270
; %bb.261:
	v_mul_lo_u32 v1, v37, s12
	v_mul_lo_u32 v26, v36, s13
	v_mad_u64_u32 v[24:25], s[2:3], v36, s12, 0
	v_add3_u32 v25, v25, v26, v1
	v_lshl_add_u64 v[26:27], v[24:25], 2, s[14:15]
	global_load_dword v1, v[26:27], off
	global_load_dword v24, v[22:23], off
	v_mov_b64_e32 v[42:43], 1
	s_waitcnt vmcnt(0)
	v_cmp_eq_f32_e32 vcc, v1, v24
	s_and_saveexec_b64 s[2:3], vcc
	s_cbranch_execz .LBB930_269
; %bb.262:
	s_add_u32 s16, s12, -1
	v_lshl_add_u64 v[24:25], v[22:23], 0, 4
	v_lshl_add_u64 v[26:27], v[26:27], 0, 4
	s_addc_u32 s17, s13, -1
	s_mov_b64 s[18:19], 0
	s_mov_b64 s[26:27], 0
                                        ; implicit-def: $sgpr24_sgpr25
	s_branch .LBB930_265
.LBB930_263:                            ;   in Loop: Header=BB930_265 Depth=1
	global_load_dword v1, v[26:27], off
	global_load_dword v28, v[24:25], off
	s_add_u32 s26, s26, 1
	s_addc_u32 s27, s27, 0
	s_andn2_b64 s[24:25], s[24:25], exec
	v_lshl_add_u64 v[24:25], v[24:25], 0, 4
	v_lshl_add_u64 v[26:27], v[26:27], 0, 4
	s_waitcnt vmcnt(0)
	v_cmp_neq_f32_e32 vcc, v1, v28
	s_and_b64 s[28:29], vcc, exec
	s_or_b64 s[24:25], s[24:25], s[28:29]
.LBB930_264:                            ;   in Loop: Header=BB930_265 Depth=1
	s_and_b64 s[28:29], exec, s[24:25]
	s_or_b64 s[18:19], s[28:29], s[18:19]
	v_mov_b64_e32 v[28:29], s[26:27]
	s_andn2_b64 exec, exec, s[18:19]
	s_cbranch_execz .LBB930_268
.LBB930_265:                            ; =>This Inner Loop Header: Depth=1
	s_or_b64 s[24:25], s[24:25], exec
	s_cmp_eq_u64 s[16:17], s[26:27]
	s_cbranch_scc0 .LBB930_263
; %bb.266:                              ;   in Loop: Header=BB930_265 Depth=1
                                        ; implicit-def: $vgpr24_vgpr25
                                        ; implicit-def: $vgpr26_vgpr27
	s_mov_b64 s[26:27], s[12:13]
	s_branch .LBB930_264
.LBB930_267:
                                        ; implicit-def: $vgpr22_vgpr23_vgpr24_vgpr25
                                        ; implicit-def: $sgpr18_sgpr19
                                        ; implicit-def: $vgpr42_vgpr43
                                        ; implicit-def: $vgpr44_vgpr45
                                        ; implicit-def: $vgpr38_vgpr39
                                        ; implicit-def: $vgpr58_vgpr59
                                        ; implicit-def: $vgpr56_vgpr57
                                        ; implicit-def: $vgpr54_vgpr55
                                        ; implicit-def: $vgpr52_vgpr53
                                        ; implicit-def: $vgpr50_vgpr51
                                        ; implicit-def: $vgpr48_vgpr49
                                        ; implicit-def: $vgpr46_vgpr47
                                        ; implicit-def: $vgpr60_vgpr61
                                        ; implicit-def: $vgpr68_vgpr69
                                        ; implicit-def: $vgpr62_vgpr63
                                        ; implicit-def: $vgpr64_vgpr65
                                        ; implicit-def: $vgpr66_vgpr67
                                        ; implicit-def: $vgpr24_vgpr25_vgpr26_vgpr27
                                        ; implicit-def: $vgpr28_vgpr29_vgpr30_vgpr31
                                        ; implicit-def: $vgpr32_vgpr33_vgpr34_vgpr35
	s_cbranch_execnz .LBB930_365
	s_branch .LBB930_488
.LBB930_268:
	s_or_b64 exec, exec, s[18:19]
	v_cmp_gt_i64_e32 vcc, s[12:13], v[28:29]
	s_mov_b32 s16, 0
	v_mov_b32_e32 v43, s16
	v_cndmask_b32_e64 v42, 0, 1, vcc
.LBB930_269:
	s_or_b64 exec, exec, s[2:3]
.LBB930_270:
	v_mul_lo_u32 v1, v19, s12
	v_mul_lo_u32 v26, v18, s13
	v_mad_u64_u32 v[24:25], s[2:3], v18, s12, 0
	v_add3_u32 v25, v25, v26, v1
	v_cndmask_b32_e64 v1, 0, 1, s[4:5]
	v_cmp_ne_u32_e64 s[2:3], 1, v1
	s_andn2_b64 vcc, exec, s[4:5]
	v_lshl_add_u64 v[24:25], v[24:25], 2, s[14:15]
	v_mov_b64_e32 v[44:45], v[38:39]
	s_cbranch_vccnz .LBB930_279
; %bb.271:
	global_load_dword v1, v[22:23], off
	global_load_dword v26, v[24:25], off
	v_mov_b64_e32 v[44:45], 1
	s_waitcnt vmcnt(0)
	v_cmp_eq_f32_e32 vcc, v1, v26
	s_and_saveexec_b64 s[4:5], vcc
	s_cbranch_execz .LBB930_278
; %bb.272:
	s_add_u32 s16, s12, -1
	v_lshl_add_u64 v[26:27], v[24:25], 0, 4
	v_lshl_add_u64 v[22:23], v[22:23], 0, 4
	s_addc_u32 s17, s13, -1
	s_mov_b64 s[18:19], 0
	s_mov_b64 s[26:27], 0
                                        ; implicit-def: $sgpr24_sgpr25
	s_branch .LBB930_275
.LBB930_273:                            ;   in Loop: Header=BB930_275 Depth=1
	global_load_dword v1, v[22:23], off
	global_load_dword v28, v[26:27], off
	s_add_u32 s26, s26, 1
	s_addc_u32 s27, s27, 0
	s_andn2_b64 s[24:25], s[24:25], exec
	v_lshl_add_u64 v[26:27], v[26:27], 0, 4
	v_lshl_add_u64 v[22:23], v[22:23], 0, 4
	s_waitcnt vmcnt(0)
	v_cmp_neq_f32_e32 vcc, v1, v28
	s_and_b64 s[28:29], vcc, exec
	s_or_b64 s[24:25], s[24:25], s[28:29]
.LBB930_274:                            ;   in Loop: Header=BB930_275 Depth=1
	s_and_b64 s[28:29], exec, s[24:25]
	s_or_b64 s[18:19], s[28:29], s[18:19]
	v_mov_b64_e32 v[28:29], s[26:27]
	s_andn2_b64 exec, exec, s[18:19]
	s_cbranch_execz .LBB930_277
.LBB930_275:                            ; =>This Inner Loop Header: Depth=1
	s_or_b64 s[24:25], s[24:25], exec
	s_cmp_eq_u64 s[16:17], s[26:27]
	s_cbranch_scc0 .LBB930_273
; %bb.276:                              ;   in Loop: Header=BB930_275 Depth=1
                                        ; implicit-def: $vgpr26_vgpr27
                                        ; implicit-def: $vgpr22_vgpr23
	s_mov_b64 s[26:27], s[12:13]
	s_branch .LBB930_274
.LBB930_277:
	s_or_b64 exec, exec, s[18:19]
	v_cmp_gt_i64_e32 vcc, s[12:13], v[28:29]
	s_mov_b32 s16, 0
	v_mov_b32_e32 v45, s16
	v_cndmask_b32_e64 v44, 0, 1, vcc
.LBB930_278:
	s_or_b64 exec, exec, s[4:5]
.LBB930_279:
	v_mul_lo_u32 v1, v17, s12
	v_mul_lo_u32 v26, v16, s13
	v_mad_u64_u32 v[22:23], s[4:5], v16, s12, 0
	v_add3_u32 v23, v23, v26, v1
	s_and_b64 vcc, exec, s[2:3]
	v_lshl_add_u64 v[22:23], v[22:23], 2, s[14:15]
	s_cbranch_vccnz .LBB930_288
; %bb.280:
	global_load_dword v1, v[24:25], off
	global_load_dword v26, v[22:23], off
	v_mov_b64_e32 v[38:39], 1
	s_waitcnt vmcnt(0)
	v_cmp_eq_f32_e32 vcc, v1, v26
	s_and_saveexec_b64 s[4:5], vcc
	s_cbranch_execz .LBB930_287
; %bb.281:
	s_add_u32 s16, s12, -1
	v_lshl_add_u64 v[26:27], v[22:23], 0, 4
	v_lshl_add_u64 v[24:25], v[24:25], 0, 4
	s_addc_u32 s17, s13, -1
	s_mov_b64 s[18:19], 0
	s_mov_b64 s[26:27], 0
                                        ; implicit-def: $sgpr24_sgpr25
	s_branch .LBB930_284
.LBB930_282:                            ;   in Loop: Header=BB930_284 Depth=1
	global_load_dword v1, v[24:25], off
	global_load_dword v28, v[26:27], off
	s_add_u32 s26, s26, 1
	s_addc_u32 s27, s27, 0
	s_andn2_b64 s[24:25], s[24:25], exec
	v_lshl_add_u64 v[26:27], v[26:27], 0, 4
	v_lshl_add_u64 v[24:25], v[24:25], 0, 4
	s_waitcnt vmcnt(0)
	v_cmp_neq_f32_e32 vcc, v1, v28
	s_and_b64 s[28:29], vcc, exec
	s_or_b64 s[24:25], s[24:25], s[28:29]
.LBB930_283:                            ;   in Loop: Header=BB930_284 Depth=1
	s_and_b64 s[28:29], exec, s[24:25]
	s_or_b64 s[18:19], s[28:29], s[18:19]
	v_mov_b64_e32 v[28:29], s[26:27]
	s_andn2_b64 exec, exec, s[18:19]
	s_cbranch_execz .LBB930_286
.LBB930_284:                            ; =>This Inner Loop Header: Depth=1
	s_or_b64 s[24:25], s[24:25], exec
	s_cmp_eq_u64 s[16:17], s[26:27]
	s_cbranch_scc0 .LBB930_282
; %bb.285:                              ;   in Loop: Header=BB930_284 Depth=1
                                        ; implicit-def: $vgpr26_vgpr27
                                        ; implicit-def: $vgpr24_vgpr25
	s_mov_b64 s[26:27], s[12:13]
	s_branch .LBB930_283
.LBB930_286:
	s_or_b64 exec, exec, s[18:19]
	v_cmp_gt_i64_e32 vcc, s[12:13], v[28:29]
	s_mov_b32 s16, 0
	v_mov_b32_e32 v39, s16
	v_cndmask_b32_e64 v38, 0, 1, vcc
.LBB930_287:
	s_or_b64 exec, exec, s[4:5]
.LBB930_288:
	v_mul_lo_u32 v1, v15, s12
	v_mul_lo_u32 v26, v14, s13
	v_mad_u64_u32 v[24:25], s[4:5], v14, s12, 0
	v_add3_u32 v25, v25, v26, v1
	v_mov_b64_e32 v[48:49], 0
	s_and_b64 vcc, exec, s[2:3]
	v_lshl_add_u64 v[24:25], v[24:25], 2, s[14:15]
	v_mov_b64_e32 v[46:47], v[48:49]
	s_cbranch_vccnz .LBB930_297
; %bb.289:
	global_load_dword v1, v[22:23], off
	global_load_dword v26, v[24:25], off
	v_mov_b64_e32 v[46:47], 1
	s_waitcnt vmcnt(0)
	v_cmp_eq_f32_e32 vcc, v1, v26
	s_and_saveexec_b64 s[4:5], vcc
	s_cbranch_execz .LBB930_296
; %bb.290:
	s_add_u32 s16, s12, -1
	v_lshl_add_u64 v[26:27], v[24:25], 0, 4
	v_lshl_add_u64 v[22:23], v[22:23], 0, 4
	s_addc_u32 s17, s13, -1
	s_mov_b64 s[18:19], 0
	s_mov_b64 s[26:27], 0
                                        ; implicit-def: $sgpr24_sgpr25
	s_branch .LBB930_293
.LBB930_291:                            ;   in Loop: Header=BB930_293 Depth=1
	global_load_dword v1, v[22:23], off
	global_load_dword v28, v[26:27], off
	s_add_u32 s26, s26, 1
	s_addc_u32 s27, s27, 0
	s_andn2_b64 s[24:25], s[24:25], exec
	v_lshl_add_u64 v[26:27], v[26:27], 0, 4
	v_lshl_add_u64 v[22:23], v[22:23], 0, 4
	s_waitcnt vmcnt(0)
	v_cmp_neq_f32_e32 vcc, v1, v28
	s_and_b64 s[28:29], vcc, exec
	s_or_b64 s[24:25], s[24:25], s[28:29]
.LBB930_292:                            ;   in Loop: Header=BB930_293 Depth=1
	s_and_b64 s[28:29], exec, s[24:25]
	s_or_b64 s[18:19], s[28:29], s[18:19]
	v_mov_b64_e32 v[28:29], s[26:27]
	s_andn2_b64 exec, exec, s[18:19]
	s_cbranch_execz .LBB930_295
.LBB930_293:                            ; =>This Inner Loop Header: Depth=1
	s_or_b64 s[24:25], s[24:25], exec
	s_cmp_eq_u64 s[16:17], s[26:27]
	s_cbranch_scc0 .LBB930_291
; %bb.294:                              ;   in Loop: Header=BB930_293 Depth=1
                                        ; implicit-def: $vgpr26_vgpr27
                                        ; implicit-def: $vgpr22_vgpr23
	s_mov_b64 s[26:27], s[12:13]
	s_branch .LBB930_292
.LBB930_295:
	s_or_b64 exec, exec, s[18:19]
	v_cmp_gt_i64_e32 vcc, s[12:13], v[28:29]
	s_mov_b32 s16, 0
	v_mov_b32_e32 v47, s16
	v_cndmask_b32_e64 v46, 0, 1, vcc
.LBB930_296:
	s_or_b64 exec, exec, s[4:5]
.LBB930_297:
	v_mul_lo_u32 v1, v13, s12
	v_mul_lo_u32 v26, v12, s13
	v_mad_u64_u32 v[22:23], s[4:5], v12, s12, 0
	v_add3_u32 v23, v23, v26, v1
	s_and_b64 vcc, exec, s[2:3]
	v_lshl_add_u64 v[22:23], v[22:23], 2, s[14:15]
	s_cbranch_vccnz .LBB930_306
; %bb.298:
	global_load_dword v1, v[24:25], off
	global_load_dword v26, v[22:23], off
	v_mov_b64_e32 v[48:49], 1
	s_waitcnt vmcnt(0)
	v_cmp_eq_f32_e32 vcc, v1, v26
	s_and_saveexec_b64 s[4:5], vcc
	s_cbranch_execz .LBB930_305
; %bb.299:
	s_add_u32 s16, s12, -1
	v_lshl_add_u64 v[26:27], v[22:23], 0, 4
	v_lshl_add_u64 v[24:25], v[24:25], 0, 4
	s_addc_u32 s17, s13, -1
	s_mov_b64 s[18:19], 0
	s_mov_b64 s[26:27], 0
                                        ; implicit-def: $sgpr24_sgpr25
	s_branch .LBB930_302
.LBB930_300:                            ;   in Loop: Header=BB930_302 Depth=1
	global_load_dword v1, v[24:25], off
	global_load_dword v28, v[26:27], off
	s_add_u32 s26, s26, 1
	s_addc_u32 s27, s27, 0
	s_andn2_b64 s[24:25], s[24:25], exec
	v_lshl_add_u64 v[26:27], v[26:27], 0, 4
	v_lshl_add_u64 v[24:25], v[24:25], 0, 4
	s_waitcnt vmcnt(0)
	v_cmp_neq_f32_e32 vcc, v1, v28
	s_and_b64 s[28:29], vcc, exec
	s_or_b64 s[24:25], s[24:25], s[28:29]
.LBB930_301:                            ;   in Loop: Header=BB930_302 Depth=1
	s_and_b64 s[28:29], exec, s[24:25]
	s_or_b64 s[18:19], s[28:29], s[18:19]
	v_mov_b64_e32 v[28:29], s[26:27]
	s_andn2_b64 exec, exec, s[18:19]
	s_cbranch_execz .LBB930_304
.LBB930_302:                            ; =>This Inner Loop Header: Depth=1
	s_or_b64 s[24:25], s[24:25], exec
	s_cmp_eq_u64 s[16:17], s[26:27]
	s_cbranch_scc0 .LBB930_300
; %bb.303:                              ;   in Loop: Header=BB930_302 Depth=1
                                        ; implicit-def: $vgpr26_vgpr27
                                        ; implicit-def: $vgpr24_vgpr25
	s_mov_b64 s[26:27], s[12:13]
	s_branch .LBB930_301
.LBB930_304:
	s_or_b64 exec, exec, s[18:19]
	v_cmp_gt_i64_e32 vcc, s[12:13], v[28:29]
	s_mov_b32 s16, 0
	v_mov_b32_e32 v49, s16
	v_cndmask_b32_e64 v48, 0, 1, vcc
.LBB930_305:
	s_or_b64 exec, exec, s[4:5]
.LBB930_306:
	v_mul_lo_u32 v1, v11, s12
	v_mul_lo_u32 v26, v10, s13
	v_mad_u64_u32 v[24:25], s[4:5], v10, s12, 0
	v_add3_u32 v25, v25, v26, v1
	v_mov_b64_e32 v[52:53], 0
	s_and_b64 vcc, exec, s[2:3]
	v_lshl_add_u64 v[24:25], v[24:25], 2, s[14:15]
	v_mov_b64_e32 v[50:51], v[52:53]
	s_cbranch_vccnz .LBB930_315
; %bb.307:
	global_load_dword v1, v[22:23], off
	global_load_dword v26, v[24:25], off
	v_mov_b64_e32 v[50:51], 1
	s_waitcnt vmcnt(0)
	v_cmp_eq_f32_e32 vcc, v1, v26
	s_and_saveexec_b64 s[4:5], vcc
	s_cbranch_execz .LBB930_314
; %bb.308:
	s_add_u32 s16, s12, -1
	v_lshl_add_u64 v[26:27], v[24:25], 0, 4
	v_lshl_add_u64 v[22:23], v[22:23], 0, 4
	s_addc_u32 s17, s13, -1
	s_mov_b64 s[18:19], 0
	s_mov_b64 s[26:27], 0
                                        ; implicit-def: $sgpr24_sgpr25
	s_branch .LBB930_311
.LBB930_309:                            ;   in Loop: Header=BB930_311 Depth=1
	global_load_dword v1, v[22:23], off
	global_load_dword v28, v[26:27], off
	s_add_u32 s26, s26, 1
	s_addc_u32 s27, s27, 0
	s_andn2_b64 s[24:25], s[24:25], exec
	v_lshl_add_u64 v[26:27], v[26:27], 0, 4
	v_lshl_add_u64 v[22:23], v[22:23], 0, 4
	s_waitcnt vmcnt(0)
	v_cmp_neq_f32_e32 vcc, v1, v28
	s_and_b64 s[28:29], vcc, exec
	s_or_b64 s[24:25], s[24:25], s[28:29]
.LBB930_310:                            ;   in Loop: Header=BB930_311 Depth=1
	s_and_b64 s[28:29], exec, s[24:25]
	s_or_b64 s[18:19], s[28:29], s[18:19]
	v_mov_b64_e32 v[28:29], s[26:27]
	s_andn2_b64 exec, exec, s[18:19]
	s_cbranch_execz .LBB930_313
.LBB930_311:                            ; =>This Inner Loop Header: Depth=1
	s_or_b64 s[24:25], s[24:25], exec
	s_cmp_eq_u64 s[16:17], s[26:27]
	s_cbranch_scc0 .LBB930_309
; %bb.312:                              ;   in Loop: Header=BB930_311 Depth=1
                                        ; implicit-def: $vgpr26_vgpr27
                                        ; implicit-def: $vgpr22_vgpr23
	s_mov_b64 s[26:27], s[12:13]
	s_branch .LBB930_310
.LBB930_313:
	s_or_b64 exec, exec, s[18:19]
	v_cmp_gt_i64_e32 vcc, s[12:13], v[28:29]
	s_mov_b32 s16, 0
	v_mov_b32_e32 v51, s16
	v_cndmask_b32_e64 v50, 0, 1, vcc
.LBB930_314:
	s_or_b64 exec, exec, s[4:5]
.LBB930_315:
	v_mul_lo_u32 v1, v9, s12
	v_mul_lo_u32 v26, v8, s13
	v_mad_u64_u32 v[22:23], s[4:5], v8, s12, 0
	v_add3_u32 v23, v23, v26, v1
	s_and_b64 vcc, exec, s[2:3]
	v_lshl_add_u64 v[22:23], v[22:23], 2, s[14:15]
	s_cbranch_vccnz .LBB930_324
; %bb.316:
	global_load_dword v1, v[24:25], off
	global_load_dword v26, v[22:23], off
	v_mov_b64_e32 v[52:53], 1
	s_waitcnt vmcnt(0)
	v_cmp_eq_f32_e32 vcc, v1, v26
	s_and_saveexec_b64 s[4:5], vcc
	s_cbranch_execz .LBB930_323
; %bb.317:
	s_add_u32 s16, s12, -1
	v_lshl_add_u64 v[26:27], v[22:23], 0, 4
	v_lshl_add_u64 v[24:25], v[24:25], 0, 4
	s_addc_u32 s17, s13, -1
	s_mov_b64 s[18:19], 0
	s_mov_b64 s[26:27], 0
                                        ; implicit-def: $sgpr24_sgpr25
	s_branch .LBB930_320
.LBB930_318:                            ;   in Loop: Header=BB930_320 Depth=1
	global_load_dword v1, v[24:25], off
	global_load_dword v28, v[26:27], off
	s_add_u32 s26, s26, 1
	s_addc_u32 s27, s27, 0
	s_andn2_b64 s[24:25], s[24:25], exec
	v_lshl_add_u64 v[26:27], v[26:27], 0, 4
	v_lshl_add_u64 v[24:25], v[24:25], 0, 4
	s_waitcnt vmcnt(0)
	v_cmp_neq_f32_e32 vcc, v1, v28
	s_and_b64 s[28:29], vcc, exec
	s_or_b64 s[24:25], s[24:25], s[28:29]
.LBB930_319:                            ;   in Loop: Header=BB930_320 Depth=1
	s_and_b64 s[28:29], exec, s[24:25]
	s_or_b64 s[18:19], s[28:29], s[18:19]
	v_mov_b64_e32 v[28:29], s[26:27]
	s_andn2_b64 exec, exec, s[18:19]
	s_cbranch_execz .LBB930_322
.LBB930_320:                            ; =>This Inner Loop Header: Depth=1
	s_or_b64 s[24:25], s[24:25], exec
	s_cmp_eq_u64 s[16:17], s[26:27]
	s_cbranch_scc0 .LBB930_318
; %bb.321:                              ;   in Loop: Header=BB930_320 Depth=1
                                        ; implicit-def: $vgpr26_vgpr27
                                        ; implicit-def: $vgpr24_vgpr25
	s_mov_b64 s[26:27], s[12:13]
	s_branch .LBB930_319
.LBB930_322:
	s_or_b64 exec, exec, s[18:19]
	v_cmp_gt_i64_e32 vcc, s[12:13], v[28:29]
	s_mov_b32 s16, 0
	v_mov_b32_e32 v53, s16
	v_cndmask_b32_e64 v52, 0, 1, vcc
.LBB930_323:
	s_or_b64 exec, exec, s[4:5]
.LBB930_324:
	v_mul_lo_u32 v1, v7, s12
	v_mul_lo_u32 v26, v6, s13
	v_mad_u64_u32 v[24:25], s[4:5], v6, s12, 0
	v_add3_u32 v25, v25, v26, v1
	v_mov_b64_e32 v[56:57], 0
	s_and_b64 vcc, exec, s[2:3]
	v_lshl_add_u64 v[24:25], v[24:25], 2, s[14:15]
	v_mov_b64_e32 v[54:55], v[56:57]
	s_cbranch_vccnz .LBB930_333
; %bb.325:
	global_load_dword v1, v[22:23], off
	global_load_dword v26, v[24:25], off
	v_mov_b64_e32 v[54:55], 1
	s_waitcnt vmcnt(0)
	v_cmp_eq_f32_e32 vcc, v1, v26
	s_and_saveexec_b64 s[4:5], vcc
	s_cbranch_execz .LBB930_332
; %bb.326:
	s_add_u32 s16, s12, -1
	v_lshl_add_u64 v[26:27], v[24:25], 0, 4
	v_lshl_add_u64 v[22:23], v[22:23], 0, 4
	s_addc_u32 s17, s13, -1
	s_mov_b64 s[18:19], 0
	s_mov_b64 s[26:27], 0
                                        ; implicit-def: $sgpr24_sgpr25
	s_branch .LBB930_329
.LBB930_327:                            ;   in Loop: Header=BB930_329 Depth=1
	global_load_dword v1, v[22:23], off
	global_load_dword v28, v[26:27], off
	s_add_u32 s26, s26, 1
	s_addc_u32 s27, s27, 0
	s_andn2_b64 s[24:25], s[24:25], exec
	v_lshl_add_u64 v[26:27], v[26:27], 0, 4
	v_lshl_add_u64 v[22:23], v[22:23], 0, 4
	s_waitcnt vmcnt(0)
	v_cmp_neq_f32_e32 vcc, v1, v28
	s_and_b64 s[28:29], vcc, exec
	s_or_b64 s[24:25], s[24:25], s[28:29]
.LBB930_328:                            ;   in Loop: Header=BB930_329 Depth=1
	s_and_b64 s[28:29], exec, s[24:25]
	s_or_b64 s[18:19], s[28:29], s[18:19]
	v_mov_b64_e32 v[28:29], s[26:27]
	s_andn2_b64 exec, exec, s[18:19]
	s_cbranch_execz .LBB930_331
.LBB930_329:                            ; =>This Inner Loop Header: Depth=1
	s_or_b64 s[24:25], s[24:25], exec
	s_cmp_eq_u64 s[16:17], s[26:27]
	s_cbranch_scc0 .LBB930_327
; %bb.330:                              ;   in Loop: Header=BB930_329 Depth=1
                                        ; implicit-def: $vgpr26_vgpr27
                                        ; implicit-def: $vgpr22_vgpr23
	s_mov_b64 s[26:27], s[12:13]
	s_branch .LBB930_328
.LBB930_331:
	s_or_b64 exec, exec, s[18:19]
	v_cmp_gt_i64_e32 vcc, s[12:13], v[28:29]
	s_mov_b32 s16, 0
	v_mov_b32_e32 v55, s16
	v_cndmask_b32_e64 v54, 0, 1, vcc
.LBB930_332:
	s_or_b64 exec, exec, s[4:5]
.LBB930_333:
	v_mul_lo_u32 v1, v5, s12
	v_mul_lo_u32 v26, v4, s13
	v_mad_u64_u32 v[22:23], s[4:5], v4, s12, 0
	v_add3_u32 v23, v23, v26, v1
	s_and_b64 vcc, exec, s[2:3]
	v_lshl_add_u64 v[22:23], v[22:23], 2, s[14:15]
	s_cbranch_vccnz .LBB930_342
; %bb.334:
	global_load_dword v1, v[24:25], off
	global_load_dword v26, v[22:23], off
	v_mov_b64_e32 v[56:57], 1
	s_waitcnt vmcnt(0)
	v_cmp_eq_f32_e32 vcc, v1, v26
	s_and_saveexec_b64 s[4:5], vcc
	s_cbranch_execz .LBB930_341
; %bb.335:
	s_add_u32 s16, s12, -1
	v_lshl_add_u64 v[26:27], v[22:23], 0, 4
	v_lshl_add_u64 v[24:25], v[24:25], 0, 4
	s_addc_u32 s17, s13, -1
	s_mov_b64 s[18:19], 0
	s_mov_b64 s[26:27], 0
                                        ; implicit-def: $sgpr24_sgpr25
	s_branch .LBB930_338
.LBB930_336:                            ;   in Loop: Header=BB930_338 Depth=1
	global_load_dword v1, v[24:25], off
	global_load_dword v28, v[26:27], off
	s_add_u32 s26, s26, 1
	s_addc_u32 s27, s27, 0
	s_andn2_b64 s[24:25], s[24:25], exec
	v_lshl_add_u64 v[26:27], v[26:27], 0, 4
	v_lshl_add_u64 v[24:25], v[24:25], 0, 4
	s_waitcnt vmcnt(0)
	v_cmp_neq_f32_e32 vcc, v1, v28
	s_and_b64 s[28:29], vcc, exec
	s_or_b64 s[24:25], s[24:25], s[28:29]
.LBB930_337:                            ;   in Loop: Header=BB930_338 Depth=1
	s_and_b64 s[28:29], exec, s[24:25]
	s_or_b64 s[18:19], s[28:29], s[18:19]
	v_mov_b64_e32 v[28:29], s[26:27]
	s_andn2_b64 exec, exec, s[18:19]
	s_cbranch_execz .LBB930_340
.LBB930_338:                            ; =>This Inner Loop Header: Depth=1
	s_or_b64 s[24:25], s[24:25], exec
	s_cmp_eq_u64 s[16:17], s[26:27]
	s_cbranch_scc0 .LBB930_336
; %bb.339:                              ;   in Loop: Header=BB930_338 Depth=1
                                        ; implicit-def: $vgpr26_vgpr27
                                        ; implicit-def: $vgpr24_vgpr25
	s_mov_b64 s[26:27], s[12:13]
	s_branch .LBB930_337
.LBB930_340:
	s_or_b64 exec, exec, s[18:19]
	v_cmp_gt_i64_e32 vcc, s[12:13], v[28:29]
	s_mov_b32 s16, 0
	v_mov_b32_e32 v57, s16
	v_cndmask_b32_e64 v56, 0, 1, vcc
.LBB930_341:
	s_or_b64 exec, exec, s[4:5]
.LBB930_342:
	s_and_b64 vcc, exec, s[2:3]
	s_cbranch_vccnz .LBB930_349
; %bb.343:
	v_mul_lo_u32 v1, v3, s12
	v_mul_lo_u32 v26, v2, s13
	v_mad_u64_u32 v[24:25], s[4:5], v2, s12, 0
	v_add3_u32 v25, v25, v26, v1
	v_lshl_add_u64 v[24:25], v[24:25], 2, s[14:15]
	global_load_dword v1, v[22:23], off
	global_load_dword v26, v[24:25], off
	v_mov_b64_e32 v[58:59], 1
	s_waitcnt vmcnt(0)
	v_cmp_eq_f32_e32 vcc, v1, v26
	s_and_saveexec_b64 s[4:5], vcc
	s_cbranch_execz .LBB930_351
; %bb.344:
	s_add_u32 s16, s12, -1
	v_lshl_add_u64 v[24:25], v[24:25], 0, 4
	v_lshl_add_u64 v[22:23], v[22:23], 0, 4
	s_addc_u32 s17, s13, -1
	s_mov_b64 s[18:19], 0
	s_mov_b64 s[26:27], 0
                                        ; implicit-def: $sgpr24_sgpr25
	s_branch .LBB930_347
.LBB930_345:                            ;   in Loop: Header=BB930_347 Depth=1
	global_load_dword v1, v[22:23], off
	global_load_dword v26, v[24:25], off
	s_add_u32 s26, s26, 1
	s_addc_u32 s27, s27, 0
	s_andn2_b64 s[24:25], s[24:25], exec
	v_lshl_add_u64 v[24:25], v[24:25], 0, 4
	v_lshl_add_u64 v[22:23], v[22:23], 0, 4
	s_waitcnt vmcnt(0)
	v_cmp_neq_f32_e32 vcc, v1, v26
	s_and_b64 s[28:29], vcc, exec
	s_or_b64 s[24:25], s[24:25], s[28:29]
.LBB930_346:                            ;   in Loop: Header=BB930_347 Depth=1
	s_and_b64 s[28:29], exec, s[24:25]
	s_or_b64 s[18:19], s[28:29], s[18:19]
	v_mov_b64_e32 v[26:27], s[26:27]
	s_andn2_b64 exec, exec, s[18:19]
	s_cbranch_execz .LBB930_350
.LBB930_347:                            ; =>This Inner Loop Header: Depth=1
	s_or_b64 s[24:25], s[24:25], exec
	s_cmp_eq_u64 s[16:17], s[26:27]
	s_cbranch_scc0 .LBB930_345
; %bb.348:                              ;   in Loop: Header=BB930_347 Depth=1
                                        ; implicit-def: $vgpr24_vgpr25
                                        ; implicit-def: $vgpr22_vgpr23
	s_mov_b64 s[26:27], s[12:13]
	s_branch .LBB930_346
.LBB930_349:
	v_mov_b64_e32 v[58:59], 0
	s_branch .LBB930_352
.LBB930_350:
	s_or_b64 exec, exec, s[18:19]
	v_cmp_gt_i64_e32 vcc, s[12:13], v[26:27]
	s_mov_b32 s16, 0
	v_mov_b32_e32 v59, s16
	v_cndmask_b32_e64 v58, 0, 1, vcc
.LBB930_351:
	s_or_b64 exec, exec, s[4:5]
.LBB930_352:
	v_cmp_ne_u32_e32 vcc, 0, v0
	s_waitcnt lgkmcnt(0)
	s_barrier
	s_waitcnt lgkmcnt(0)
                                        ; implicit-def: $sgpr18_sgpr19
	s_and_saveexec_b64 s[4:5], vcc
	s_cbranch_execz .LBB930_364
; %bb.353:
	s_and_b64 vcc, exec, s[2:3]
	s_cbranch_vccnz .LBB930_360
; %bb.354:
	v_add_u32_e32 v22, -8, v40
	ds_read_b64 v[22:23], v22
	v_mul_lo_u32 v1, v3, s12
	v_mul_lo_u32 v26, v2, s13
	v_mad_u64_u32 v[24:25], s[2:3], v2, s12, 0
	v_add3_u32 v25, v25, v26, v1
	s_waitcnt lgkmcnt(0)
	v_mul_lo_u32 v1, v23, s12
	v_mul_lo_u32 v26, v22, s13
	v_mad_u64_u32 v[22:23], s[2:3], v22, s12, 0
	v_add3_u32 v23, v23, v26, v1
	v_lshl_add_u64 v[24:25], v[24:25], 2, s[14:15]
	v_lshl_add_u64 v[22:23], v[22:23], 2, s[14:15]
	global_load_dword v1, v[24:25], off
	global_load_dword v26, v[22:23], off
	s_mov_b64 s[16:17], -1
	s_waitcnt vmcnt(0)
	v_cmp_eq_f32_e32 vcc, v1, v26
	s_and_saveexec_b64 s[2:3], vcc
	s_cbranch_execz .LBB930_362
; %bb.355:
	s_add_u32 s16, s12, -1
	v_lshl_add_u64 v[22:23], v[22:23], 0, 4
	v_lshl_add_u64 v[24:25], v[24:25], 0, 4
	s_addc_u32 s17, s13, -1
	s_mov_b64 s[18:19], 0
	s_mov_b64 s[26:27], 0
                                        ; implicit-def: $sgpr24_sgpr25
	s_branch .LBB930_358
.LBB930_356:                            ;   in Loop: Header=BB930_358 Depth=1
	global_load_dword v1, v[24:25], off
	global_load_dword v26, v[22:23], off
	s_add_u32 s26, s26, 1
	s_addc_u32 s27, s27, 0
	s_andn2_b64 s[24:25], s[24:25], exec
	v_lshl_add_u64 v[22:23], v[22:23], 0, 4
	v_lshl_add_u64 v[24:25], v[24:25], 0, 4
	s_waitcnt vmcnt(0)
	v_cmp_neq_f32_e32 vcc, v1, v26
	s_and_b64 s[28:29], vcc, exec
	s_or_b64 s[24:25], s[24:25], s[28:29]
.LBB930_357:                            ;   in Loop: Header=BB930_358 Depth=1
	s_and_b64 s[28:29], exec, s[24:25]
	s_or_b64 s[18:19], s[28:29], s[18:19]
	v_mov_b64_e32 v[26:27], s[26:27]
	s_andn2_b64 exec, exec, s[18:19]
	s_cbranch_execz .LBB930_361
.LBB930_358:                            ; =>This Inner Loop Header: Depth=1
	s_or_b64 s[24:25], s[24:25], exec
	s_cmp_eq_u64 s[16:17], s[26:27]
	s_cbranch_scc0 .LBB930_356
; %bb.359:                              ;   in Loop: Header=BB930_358 Depth=1
                                        ; implicit-def: $vgpr22_vgpr23
                                        ; implicit-def: $vgpr24_vgpr25
	s_mov_b64 s[26:27], s[12:13]
	s_branch .LBB930_357
.LBB930_360:
	s_mov_b64 s[16:17], 0
	s_branch .LBB930_363
.LBB930_361:
	s_or_b64 exec, exec, s[18:19]
	v_cmp_gt_i64_e32 vcc, s[12:13], v[26:27]
	s_orn2_b64 s[16:17], vcc, exec
.LBB930_362:
	s_or_b64 exec, exec, s[2:3]
.LBB930_363:
	s_and_b64 s[18:19], s[16:17], exec
	s_or_b64 s[22:23], s[22:23], exec
.LBB930_364:
	s_or_b64 exec, exec, s[4:5]
	v_mov_b64_e32 v[60:61], v[44:45]
	v_mov_b64_e32 v[22:23], v[38:39]
	;; [unrolled: 1-line block ×9, first 2 shown]
	s_branch .LBB930_488
.LBB930_365:
	s_waitcnt lgkmcnt(0)
	v_mad_u32_u24 v22, v0, 11, 10
	v_cmp_gt_i64_e64 s[2:3], s[12:13], 0
	v_cmp_gt_u32_e32 vcc, s10, v22
	v_mul_u32_u24_e32 v1, 11, v0
	v_cndmask_b32_e64 v22, 0, 1, s[2:3]
	v_cmp_ne_u32_e64 s[2:3], 1, v22
	ds_write_b64 v40, v[36:37]
	s_and_saveexec_b64 s[4:5], vcc
	s_cbranch_execz .LBB930_376
; %bb.366:
	s_and_b64 vcc, exec, s[2:3]
	s_cbranch_vccnz .LBB930_373
; %bb.367:
	v_mul_lo_u32 v24, v37, s12
	v_mul_lo_u32 v25, v36, s13
	v_mad_u64_u32 v[22:23], s[16:17], v36, s12, 0
	v_add3_u32 v23, v23, v25, v24
	v_mul_lo_u32 v24, v21, s12
	v_mul_lo_u32 v25, v20, s13
	v_mad_u64_u32 v[26:27], s[16:17], v20, s12, 0
	v_add3_u32 v27, v27, v25, v24
	v_lshl_add_u64 v[24:25], v[22:23], 2, s[14:15]
	v_lshl_add_u64 v[22:23], v[26:27], 2, s[14:15]
	global_load_dword v26, v[24:25], off
	global_load_dword v27, v[22:23], off
	v_mov_b64_e32 v[36:37], 1
	s_waitcnt vmcnt(0)
	v_cmp_eq_f32_e32 vcc, v26, v27
	s_and_saveexec_b64 s[16:17], vcc
	s_cbranch_execz .LBB930_375
; %bb.368:
	s_add_u32 s18, s12, -1
	v_lshl_add_u64 v[22:23], v[22:23], 0, 4
	v_lshl_add_u64 v[24:25], v[24:25], 0, 4
	s_addc_u32 s19, s13, -1
	s_mov_b64 s[24:25], 0
	s_mov_b64 s[28:29], 0
                                        ; implicit-def: $sgpr26_sgpr27
	s_branch .LBB930_371
.LBB930_369:                            ;   in Loop: Header=BB930_371 Depth=1
	global_load_dword v26, v[24:25], off
	global_load_dword v27, v[22:23], off
	s_add_u32 s28, s28, 1
	s_addc_u32 s29, s29, 0
	s_andn2_b64 s[26:27], s[26:27], exec
	v_lshl_add_u64 v[22:23], v[22:23], 0, 4
	v_lshl_add_u64 v[24:25], v[24:25], 0, 4
	s_waitcnt vmcnt(0)
	v_cmp_neq_f32_e32 vcc, v26, v27
	s_and_b64 s[30:31], vcc, exec
	s_or_b64 s[26:27], s[26:27], s[30:31]
.LBB930_370:                            ;   in Loop: Header=BB930_371 Depth=1
	s_and_b64 s[30:31], exec, s[26:27]
	s_or_b64 s[24:25], s[30:31], s[24:25]
	v_mov_b64_e32 v[26:27], s[28:29]
	s_andn2_b64 exec, exec, s[24:25]
	s_cbranch_execz .LBB930_374
.LBB930_371:                            ; =>This Inner Loop Header: Depth=1
	s_or_b64 s[26:27], s[26:27], exec
	s_cmp_eq_u64 s[18:19], s[28:29]
	s_cbranch_scc0 .LBB930_369
; %bb.372:                              ;   in Loop: Header=BB930_371 Depth=1
                                        ; implicit-def: $vgpr22_vgpr23
                                        ; implicit-def: $vgpr24_vgpr25
	s_mov_b64 s[28:29], s[12:13]
	s_branch .LBB930_370
.LBB930_373:
	v_mov_b64_e32 v[36:37], 0
	s_branch .LBB930_376
.LBB930_374:
	s_or_b64 exec, exec, s[24:25]
	v_cmp_gt_i64_e32 vcc, s[12:13], v[26:27]
	s_mov_b32 s18, 0
	v_mov_b32_e32 v37, s18
	v_cndmask_b32_e64 v36, 0, 1, vcc
.LBB930_375:
	s_or_b64 exec, exec, s[16:17]
.LBB930_376:
	s_or_b64 exec, exec, s[4:5]
	v_add_u32_e32 v22, 9, v1
	v_cmp_gt_u32_e32 vcc, s10, v22
	s_and_saveexec_b64 s[4:5], vcc
	s_cbranch_execz .LBB930_387
; %bb.377:
	s_and_b64 vcc, exec, s[2:3]
	s_cbranch_vccnz .LBB930_384
; %bb.378:
	v_mul_lo_u32 v22, v21, s12
	v_mul_lo_u32 v23, v20, s13
	v_mad_u64_u32 v[20:21], s[16:17], v20, s12, 0
	v_add3_u32 v21, v21, v23, v22
	v_mul_lo_u32 v22, v19, s12
	v_mul_lo_u32 v23, v18, s13
	v_mad_u64_u32 v[24:25], s[16:17], v18, s12, 0
	v_add3_u32 v25, v25, v23, v22
	v_lshl_add_u64 v[22:23], v[20:21], 2, s[14:15]
	v_lshl_add_u64 v[24:25], v[24:25], 2, s[14:15]
	global_load_dword v20, v[22:23], off
	global_load_dword v21, v[24:25], off
	s_waitcnt vmcnt(0)
	v_cmp_eq_f32_e32 vcc, v20, v21
	v_mov_b64_e32 v[20:21], 1
	s_and_saveexec_b64 s[16:17], vcc
	s_cbranch_execz .LBB930_386
; %bb.379:
	s_add_u32 s18, s12, -1
	v_lshl_add_u64 v[20:21], v[24:25], 0, 4
	v_lshl_add_u64 v[22:23], v[22:23], 0, 4
	s_addc_u32 s19, s13, -1
	s_mov_b64 s[24:25], 0
	s_mov_b64 s[28:29], 0
                                        ; implicit-def: $sgpr26_sgpr27
	s_branch .LBB930_382
.LBB930_380:                            ;   in Loop: Header=BB930_382 Depth=1
	global_load_dword v24, v[22:23], off
	global_load_dword v25, v[20:21], off
	s_add_u32 s28, s28, 1
	s_addc_u32 s29, s29, 0
	s_andn2_b64 s[26:27], s[26:27], exec
	v_lshl_add_u64 v[20:21], v[20:21], 0, 4
	v_lshl_add_u64 v[22:23], v[22:23], 0, 4
	s_waitcnt vmcnt(0)
	v_cmp_neq_f32_e32 vcc, v24, v25
	s_and_b64 s[30:31], vcc, exec
	s_or_b64 s[26:27], s[26:27], s[30:31]
.LBB930_381:                            ;   in Loop: Header=BB930_382 Depth=1
	s_and_b64 s[30:31], exec, s[26:27]
	s_or_b64 s[24:25], s[30:31], s[24:25]
	v_mov_b64_e32 v[24:25], s[28:29]
	s_andn2_b64 exec, exec, s[24:25]
	s_cbranch_execz .LBB930_385
.LBB930_382:                            ; =>This Inner Loop Header: Depth=1
	s_or_b64 s[26:27], s[26:27], exec
	s_cmp_eq_u64 s[18:19], s[28:29]
	s_cbranch_scc0 .LBB930_380
; %bb.383:                              ;   in Loop: Header=BB930_382 Depth=1
                                        ; implicit-def: $vgpr20_vgpr21
                                        ; implicit-def: $vgpr22_vgpr23
	s_mov_b64 s[28:29], s[12:13]
	s_branch .LBB930_381
.LBB930_384:
	v_mov_b64_e32 v[20:21], 0
	s_branch .LBB930_387
.LBB930_385:
	s_or_b64 exec, exec, s[24:25]
	v_cmp_gt_i64_e32 vcc, s[12:13], v[24:25]
	s_mov_b32 s18, 0
	v_mov_b32_e32 v21, s18
	v_cndmask_b32_e64 v20, 0, 1, vcc
.LBB930_386:
	s_or_b64 exec, exec, s[16:17]
.LBB930_387:
	s_or_b64 exec, exec, s[4:5]
	v_add_u32_e32 v22, 8, v1
	v_cmp_gt_u32_e32 vcc, s10, v22
	s_and_saveexec_b64 s[4:5], vcc
	s_cbranch_execz .LBB930_398
; %bb.388:
	s_and_b64 vcc, exec, s[2:3]
	s_cbranch_vccnz .LBB930_395
; %bb.389:
	v_mul_lo_u32 v22, v19, s12
	v_mul_lo_u32 v23, v18, s13
	v_mad_u64_u32 v[18:19], s[16:17], v18, s12, 0
	v_add3_u32 v19, v19, v23, v22
	v_mul_lo_u32 v22, v17, s12
	v_mul_lo_u32 v23, v16, s13
	v_mad_u64_u32 v[24:25], s[16:17], v16, s12, 0
	v_add3_u32 v25, v25, v23, v22
	v_lshl_add_u64 v[22:23], v[18:19], 2, s[14:15]
	v_lshl_add_u64 v[24:25], v[24:25], 2, s[14:15]
	global_load_dword v18, v[22:23], off
	global_load_dword v19, v[24:25], off
	s_waitcnt vmcnt(0)
	v_cmp_eq_f32_e32 vcc, v18, v19
	v_mov_b64_e32 v[18:19], 1
	s_and_saveexec_b64 s[16:17], vcc
	s_cbranch_execz .LBB930_397
; %bb.390:
	s_add_u32 s18, s12, -1
	v_lshl_add_u64 v[18:19], v[24:25], 0, 4
	v_lshl_add_u64 v[22:23], v[22:23], 0, 4
	s_addc_u32 s19, s13, -1
	s_mov_b64 s[24:25], 0
	s_mov_b64 s[28:29], 0
                                        ; implicit-def: $sgpr26_sgpr27
	s_branch .LBB930_393
.LBB930_391:                            ;   in Loop: Header=BB930_393 Depth=1
	global_load_dword v24, v[22:23], off
	global_load_dword v25, v[18:19], off
	s_add_u32 s28, s28, 1
	s_addc_u32 s29, s29, 0
	s_andn2_b64 s[26:27], s[26:27], exec
	v_lshl_add_u64 v[18:19], v[18:19], 0, 4
	v_lshl_add_u64 v[22:23], v[22:23], 0, 4
	s_waitcnt vmcnt(0)
	v_cmp_neq_f32_e32 vcc, v24, v25
	s_and_b64 s[30:31], vcc, exec
	s_or_b64 s[26:27], s[26:27], s[30:31]
.LBB930_392:                            ;   in Loop: Header=BB930_393 Depth=1
	s_and_b64 s[30:31], exec, s[26:27]
	s_or_b64 s[24:25], s[30:31], s[24:25]
	v_mov_b64_e32 v[24:25], s[28:29]
	s_andn2_b64 exec, exec, s[24:25]
	s_cbranch_execz .LBB930_396
.LBB930_393:                            ; =>This Inner Loop Header: Depth=1
	s_or_b64 s[26:27], s[26:27], exec
	s_cmp_eq_u64 s[18:19], s[28:29]
	s_cbranch_scc0 .LBB930_391
; %bb.394:                              ;   in Loop: Header=BB930_393 Depth=1
                                        ; implicit-def: $vgpr18_vgpr19
                                        ; implicit-def: $vgpr22_vgpr23
	s_mov_b64 s[28:29], s[12:13]
	s_branch .LBB930_392
.LBB930_395:
	v_mov_b64_e32 v[18:19], 0
	s_branch .LBB930_398
.LBB930_396:
	s_or_b64 exec, exec, s[24:25]
	v_cmp_gt_i64_e32 vcc, s[12:13], v[24:25]
	s_mov_b32 s18, 0
	v_mov_b32_e32 v19, s18
	v_cndmask_b32_e64 v18, 0, 1, vcc
.LBB930_397:
	s_or_b64 exec, exec, s[16:17]
.LBB930_398:
	s_or_b64 exec, exec, s[4:5]
	v_add_u32_e32 v22, 7, v1
	v_cmp_gt_u32_e32 vcc, s10, v22
	s_and_saveexec_b64 s[4:5], vcc
	s_cbranch_execz .LBB930_409
; %bb.399:
	s_and_b64 vcc, exec, s[2:3]
	s_cbranch_vccnz .LBB930_406
; %bb.400:
	v_mul_lo_u32 v22, v17, s12
	v_mul_lo_u32 v23, v16, s13
	v_mad_u64_u32 v[16:17], s[16:17], v16, s12, 0
	v_add3_u32 v17, v17, v23, v22
	v_mul_lo_u32 v22, v15, s12
	v_mul_lo_u32 v23, v14, s13
	v_mad_u64_u32 v[24:25], s[16:17], v14, s12, 0
	v_add3_u32 v25, v25, v23, v22
	v_lshl_add_u64 v[22:23], v[16:17], 2, s[14:15]
	v_lshl_add_u64 v[24:25], v[24:25], 2, s[14:15]
	global_load_dword v16, v[22:23], off
	global_load_dword v17, v[24:25], off
	s_waitcnt vmcnt(0)
	v_cmp_eq_f32_e32 vcc, v16, v17
	v_mov_b64_e32 v[16:17], 1
	s_and_saveexec_b64 s[16:17], vcc
	s_cbranch_execz .LBB930_408
; %bb.401:
	s_add_u32 s18, s12, -1
	v_lshl_add_u64 v[16:17], v[24:25], 0, 4
	v_lshl_add_u64 v[22:23], v[22:23], 0, 4
	s_addc_u32 s19, s13, -1
	s_mov_b64 s[24:25], 0
	s_mov_b64 s[28:29], 0
                                        ; implicit-def: $sgpr26_sgpr27
	s_branch .LBB930_404
.LBB930_402:                            ;   in Loop: Header=BB930_404 Depth=1
	global_load_dword v24, v[22:23], off
	global_load_dword v25, v[16:17], off
	s_add_u32 s28, s28, 1
	s_addc_u32 s29, s29, 0
	s_andn2_b64 s[26:27], s[26:27], exec
	v_lshl_add_u64 v[16:17], v[16:17], 0, 4
	v_lshl_add_u64 v[22:23], v[22:23], 0, 4
	s_waitcnt vmcnt(0)
	v_cmp_neq_f32_e32 vcc, v24, v25
	s_and_b64 s[30:31], vcc, exec
	s_or_b64 s[26:27], s[26:27], s[30:31]
.LBB930_403:                            ;   in Loop: Header=BB930_404 Depth=1
	s_and_b64 s[30:31], exec, s[26:27]
	s_or_b64 s[24:25], s[30:31], s[24:25]
	v_mov_b64_e32 v[24:25], s[28:29]
	s_andn2_b64 exec, exec, s[24:25]
	s_cbranch_execz .LBB930_407
.LBB930_404:                            ; =>This Inner Loop Header: Depth=1
	s_or_b64 s[26:27], s[26:27], exec
	s_cmp_eq_u64 s[18:19], s[28:29]
	s_cbranch_scc0 .LBB930_402
; %bb.405:                              ;   in Loop: Header=BB930_404 Depth=1
                                        ; implicit-def: $vgpr16_vgpr17
                                        ; implicit-def: $vgpr22_vgpr23
	s_mov_b64 s[28:29], s[12:13]
	s_branch .LBB930_403
.LBB930_406:
	v_mov_b64_e32 v[16:17], 0
	s_branch .LBB930_409
.LBB930_407:
	s_or_b64 exec, exec, s[24:25]
	v_cmp_gt_i64_e32 vcc, s[12:13], v[24:25]
	s_mov_b32 s18, 0
	v_mov_b32_e32 v17, s18
	v_cndmask_b32_e64 v16, 0, 1, vcc
.LBB930_408:
	s_or_b64 exec, exec, s[16:17]
.LBB930_409:
	s_or_b64 exec, exec, s[4:5]
	v_add_u32_e32 v22, 6, v1
	v_cmp_gt_u32_e32 vcc, s10, v22
	s_and_saveexec_b64 s[4:5], vcc
	s_cbranch_execz .LBB930_420
; %bb.410:
	s_and_b64 vcc, exec, s[2:3]
	s_cbranch_vccnz .LBB930_417
; %bb.411:
	v_mul_lo_u32 v22, v15, s12
	v_mul_lo_u32 v23, v14, s13
	v_mad_u64_u32 v[14:15], s[16:17], v14, s12, 0
	v_add3_u32 v15, v15, v23, v22
	v_mul_lo_u32 v22, v13, s12
	v_mul_lo_u32 v23, v12, s13
	v_mad_u64_u32 v[24:25], s[16:17], v12, s12, 0
	v_add3_u32 v25, v25, v23, v22
	v_lshl_add_u64 v[22:23], v[14:15], 2, s[14:15]
	v_lshl_add_u64 v[24:25], v[24:25], 2, s[14:15]
	global_load_dword v14, v[22:23], off
	global_load_dword v15, v[24:25], off
	s_waitcnt vmcnt(0)
	v_cmp_eq_f32_e32 vcc, v14, v15
	v_mov_b64_e32 v[14:15], 1
	s_and_saveexec_b64 s[16:17], vcc
	s_cbranch_execz .LBB930_419
; %bb.412:
	s_add_u32 s18, s12, -1
	v_lshl_add_u64 v[14:15], v[24:25], 0, 4
	v_lshl_add_u64 v[22:23], v[22:23], 0, 4
	s_addc_u32 s19, s13, -1
	s_mov_b64 s[24:25], 0
	s_mov_b64 s[28:29], 0
                                        ; implicit-def: $sgpr26_sgpr27
	s_branch .LBB930_415
.LBB930_413:                            ;   in Loop: Header=BB930_415 Depth=1
	global_load_dword v24, v[22:23], off
	global_load_dword v25, v[14:15], off
	s_add_u32 s28, s28, 1
	s_addc_u32 s29, s29, 0
	s_andn2_b64 s[26:27], s[26:27], exec
	v_lshl_add_u64 v[14:15], v[14:15], 0, 4
	v_lshl_add_u64 v[22:23], v[22:23], 0, 4
	s_waitcnt vmcnt(0)
	v_cmp_neq_f32_e32 vcc, v24, v25
	s_and_b64 s[30:31], vcc, exec
	s_or_b64 s[26:27], s[26:27], s[30:31]
.LBB930_414:                            ;   in Loop: Header=BB930_415 Depth=1
	s_and_b64 s[30:31], exec, s[26:27]
	s_or_b64 s[24:25], s[30:31], s[24:25]
	v_mov_b64_e32 v[24:25], s[28:29]
	s_andn2_b64 exec, exec, s[24:25]
	s_cbranch_execz .LBB930_418
.LBB930_415:                            ; =>This Inner Loop Header: Depth=1
	s_or_b64 s[26:27], s[26:27], exec
	s_cmp_eq_u64 s[18:19], s[28:29]
	s_cbranch_scc0 .LBB930_413
; %bb.416:                              ;   in Loop: Header=BB930_415 Depth=1
                                        ; implicit-def: $vgpr14_vgpr15
                                        ; implicit-def: $vgpr22_vgpr23
	s_mov_b64 s[28:29], s[12:13]
	s_branch .LBB930_414
.LBB930_417:
	v_mov_b64_e32 v[14:15], 0
	s_branch .LBB930_420
.LBB930_418:
	s_or_b64 exec, exec, s[24:25]
	v_cmp_gt_i64_e32 vcc, s[12:13], v[24:25]
	s_mov_b32 s18, 0
	v_mov_b32_e32 v15, s18
	v_cndmask_b32_e64 v14, 0, 1, vcc
.LBB930_419:
	s_or_b64 exec, exec, s[16:17]
.LBB930_420:
	s_or_b64 exec, exec, s[4:5]
	v_add_u32_e32 v22, 5, v1
	v_cmp_gt_u32_e32 vcc, s10, v22
	s_and_saveexec_b64 s[4:5], vcc
	s_cbranch_execz .LBB930_431
; %bb.421:
	s_and_b64 vcc, exec, s[2:3]
	s_cbranch_vccnz .LBB930_428
; %bb.422:
	v_mul_lo_u32 v22, v13, s12
	v_mul_lo_u32 v23, v12, s13
	v_mad_u64_u32 v[12:13], s[16:17], v12, s12, 0
	v_add3_u32 v13, v13, v23, v22
	v_mul_lo_u32 v22, v11, s12
	v_mul_lo_u32 v23, v10, s13
	v_mad_u64_u32 v[24:25], s[16:17], v10, s12, 0
	v_add3_u32 v25, v25, v23, v22
	v_lshl_add_u64 v[22:23], v[12:13], 2, s[14:15]
	v_lshl_add_u64 v[24:25], v[24:25], 2, s[14:15]
	global_load_dword v12, v[22:23], off
	global_load_dword v13, v[24:25], off
	s_waitcnt vmcnt(0)
	v_cmp_eq_f32_e32 vcc, v12, v13
	v_mov_b64_e32 v[12:13], 1
	s_and_saveexec_b64 s[16:17], vcc
	s_cbranch_execz .LBB930_430
; %bb.423:
	s_add_u32 s18, s12, -1
	v_lshl_add_u64 v[12:13], v[24:25], 0, 4
	v_lshl_add_u64 v[22:23], v[22:23], 0, 4
	s_addc_u32 s19, s13, -1
	s_mov_b64 s[24:25], 0
	s_mov_b64 s[28:29], 0
                                        ; implicit-def: $sgpr26_sgpr27
	s_branch .LBB930_426
.LBB930_424:                            ;   in Loop: Header=BB930_426 Depth=1
	global_load_dword v24, v[22:23], off
	global_load_dword v25, v[12:13], off
	s_add_u32 s28, s28, 1
	s_addc_u32 s29, s29, 0
	s_andn2_b64 s[26:27], s[26:27], exec
	v_lshl_add_u64 v[12:13], v[12:13], 0, 4
	v_lshl_add_u64 v[22:23], v[22:23], 0, 4
	s_waitcnt vmcnt(0)
	v_cmp_neq_f32_e32 vcc, v24, v25
	s_and_b64 s[30:31], vcc, exec
	s_or_b64 s[26:27], s[26:27], s[30:31]
.LBB930_425:                            ;   in Loop: Header=BB930_426 Depth=1
	s_and_b64 s[30:31], exec, s[26:27]
	s_or_b64 s[24:25], s[30:31], s[24:25]
	v_mov_b64_e32 v[24:25], s[28:29]
	s_andn2_b64 exec, exec, s[24:25]
	s_cbranch_execz .LBB930_429
.LBB930_426:                            ; =>This Inner Loop Header: Depth=1
	s_or_b64 s[26:27], s[26:27], exec
	s_cmp_eq_u64 s[18:19], s[28:29]
	s_cbranch_scc0 .LBB930_424
; %bb.427:                              ;   in Loop: Header=BB930_426 Depth=1
                                        ; implicit-def: $vgpr12_vgpr13
                                        ; implicit-def: $vgpr22_vgpr23
	s_mov_b64 s[28:29], s[12:13]
	s_branch .LBB930_425
.LBB930_428:
	v_mov_b64_e32 v[12:13], 0
	s_branch .LBB930_431
.LBB930_429:
	s_or_b64 exec, exec, s[24:25]
	v_cmp_gt_i64_e32 vcc, s[12:13], v[24:25]
	s_mov_b32 s18, 0
	v_mov_b32_e32 v13, s18
	v_cndmask_b32_e64 v12, 0, 1, vcc
.LBB930_430:
	s_or_b64 exec, exec, s[16:17]
.LBB930_431:
	s_or_b64 exec, exec, s[4:5]
	v_add_u32_e32 v22, 4, v1
	v_cmp_gt_u32_e32 vcc, s10, v22
	s_and_saveexec_b64 s[4:5], vcc
	s_cbranch_execz .LBB930_442
; %bb.432:
	s_and_b64 vcc, exec, s[2:3]
	s_cbranch_vccnz .LBB930_439
; %bb.433:
	v_mul_lo_u32 v22, v11, s12
	v_mul_lo_u32 v23, v10, s13
	v_mad_u64_u32 v[10:11], s[16:17], v10, s12, 0
	v_add3_u32 v11, v11, v23, v22
	v_mul_lo_u32 v22, v9, s12
	v_mul_lo_u32 v23, v8, s13
	v_mad_u64_u32 v[24:25], s[16:17], v8, s12, 0
	v_add3_u32 v25, v25, v23, v22
	v_lshl_add_u64 v[22:23], v[10:11], 2, s[14:15]
	v_lshl_add_u64 v[24:25], v[24:25], 2, s[14:15]
	global_load_dword v10, v[22:23], off
	global_load_dword v11, v[24:25], off
	s_waitcnt vmcnt(0)
	v_cmp_eq_f32_e32 vcc, v10, v11
	v_mov_b64_e32 v[10:11], 1
	s_and_saveexec_b64 s[16:17], vcc
	s_cbranch_execz .LBB930_441
; %bb.434:
	s_add_u32 s18, s12, -1
	v_lshl_add_u64 v[10:11], v[24:25], 0, 4
	v_lshl_add_u64 v[22:23], v[22:23], 0, 4
	s_addc_u32 s19, s13, -1
	s_mov_b64 s[24:25], 0
	s_mov_b64 s[28:29], 0
                                        ; implicit-def: $sgpr26_sgpr27
	s_branch .LBB930_437
.LBB930_435:                            ;   in Loop: Header=BB930_437 Depth=1
	global_load_dword v24, v[22:23], off
	global_load_dword v25, v[10:11], off
	s_add_u32 s28, s28, 1
	s_addc_u32 s29, s29, 0
	s_andn2_b64 s[26:27], s[26:27], exec
	v_lshl_add_u64 v[10:11], v[10:11], 0, 4
	v_lshl_add_u64 v[22:23], v[22:23], 0, 4
	s_waitcnt vmcnt(0)
	v_cmp_neq_f32_e32 vcc, v24, v25
	s_and_b64 s[30:31], vcc, exec
	s_or_b64 s[26:27], s[26:27], s[30:31]
.LBB930_436:                            ;   in Loop: Header=BB930_437 Depth=1
	s_and_b64 s[30:31], exec, s[26:27]
	s_or_b64 s[24:25], s[30:31], s[24:25]
	v_mov_b64_e32 v[24:25], s[28:29]
	s_andn2_b64 exec, exec, s[24:25]
	s_cbranch_execz .LBB930_440
.LBB930_437:                            ; =>This Inner Loop Header: Depth=1
	s_or_b64 s[26:27], s[26:27], exec
	s_cmp_eq_u64 s[18:19], s[28:29]
	s_cbranch_scc0 .LBB930_435
; %bb.438:                              ;   in Loop: Header=BB930_437 Depth=1
                                        ; implicit-def: $vgpr10_vgpr11
                                        ; implicit-def: $vgpr22_vgpr23
	s_mov_b64 s[28:29], s[12:13]
	s_branch .LBB930_436
.LBB930_439:
	v_mov_b64_e32 v[10:11], 0
	s_branch .LBB930_442
.LBB930_440:
	s_or_b64 exec, exec, s[24:25]
	v_cmp_gt_i64_e32 vcc, s[12:13], v[24:25]
	s_mov_b32 s18, 0
	v_mov_b32_e32 v11, s18
	v_cndmask_b32_e64 v10, 0, 1, vcc
.LBB930_441:
	s_or_b64 exec, exec, s[16:17]
.LBB930_442:
	s_or_b64 exec, exec, s[4:5]
	v_add_u32_e32 v22, 3, v1
	v_cmp_gt_u32_e32 vcc, s10, v22
	s_and_saveexec_b64 s[4:5], vcc
	s_cbranch_execz .LBB930_453
; %bb.443:
	s_and_b64 vcc, exec, s[2:3]
	s_cbranch_vccnz .LBB930_450
; %bb.444:
	v_mul_lo_u32 v22, v9, s12
	v_mul_lo_u32 v23, v8, s13
	v_mad_u64_u32 v[8:9], s[16:17], v8, s12, 0
	v_add3_u32 v9, v9, v23, v22
	v_mul_lo_u32 v22, v7, s12
	v_mul_lo_u32 v23, v6, s13
	v_mad_u64_u32 v[24:25], s[16:17], v6, s12, 0
	v_add3_u32 v25, v25, v23, v22
	v_lshl_add_u64 v[22:23], v[8:9], 2, s[14:15]
	v_lshl_add_u64 v[24:25], v[24:25], 2, s[14:15]
	global_load_dword v8, v[22:23], off
	global_load_dword v9, v[24:25], off
	s_waitcnt vmcnt(0)
	v_cmp_eq_f32_e32 vcc, v8, v9
	v_mov_b64_e32 v[8:9], 1
	s_and_saveexec_b64 s[16:17], vcc
	s_cbranch_execz .LBB930_452
; %bb.445:
	s_add_u32 s18, s12, -1
	v_lshl_add_u64 v[8:9], v[24:25], 0, 4
	v_lshl_add_u64 v[22:23], v[22:23], 0, 4
	s_addc_u32 s19, s13, -1
	s_mov_b64 s[24:25], 0
	s_mov_b64 s[28:29], 0
                                        ; implicit-def: $sgpr26_sgpr27
	s_branch .LBB930_448
.LBB930_446:                            ;   in Loop: Header=BB930_448 Depth=1
	global_load_dword v24, v[22:23], off
	global_load_dword v25, v[8:9], off
	s_add_u32 s28, s28, 1
	s_addc_u32 s29, s29, 0
	s_andn2_b64 s[26:27], s[26:27], exec
	v_lshl_add_u64 v[8:9], v[8:9], 0, 4
	v_lshl_add_u64 v[22:23], v[22:23], 0, 4
	s_waitcnt vmcnt(0)
	v_cmp_neq_f32_e32 vcc, v24, v25
	s_and_b64 s[30:31], vcc, exec
	s_or_b64 s[26:27], s[26:27], s[30:31]
.LBB930_447:                            ;   in Loop: Header=BB930_448 Depth=1
	s_and_b64 s[30:31], exec, s[26:27]
	s_or_b64 s[24:25], s[30:31], s[24:25]
	v_mov_b64_e32 v[24:25], s[28:29]
	s_andn2_b64 exec, exec, s[24:25]
	s_cbranch_execz .LBB930_451
.LBB930_448:                            ; =>This Inner Loop Header: Depth=1
	s_or_b64 s[26:27], s[26:27], exec
	s_cmp_eq_u64 s[18:19], s[28:29]
	s_cbranch_scc0 .LBB930_446
; %bb.449:                              ;   in Loop: Header=BB930_448 Depth=1
                                        ; implicit-def: $vgpr8_vgpr9
                                        ; implicit-def: $vgpr22_vgpr23
	s_mov_b64 s[28:29], s[12:13]
	s_branch .LBB930_447
.LBB930_450:
	v_mov_b64_e32 v[8:9], 0
	s_branch .LBB930_453
.LBB930_451:
	s_or_b64 exec, exec, s[24:25]
	v_cmp_gt_i64_e32 vcc, s[12:13], v[24:25]
	s_mov_b32 s18, 0
	v_mov_b32_e32 v9, s18
	v_cndmask_b32_e64 v8, 0, 1, vcc
.LBB930_452:
	s_or_b64 exec, exec, s[16:17]
.LBB930_453:
	s_or_b64 exec, exec, s[4:5]
	v_add_u32_e32 v22, 2, v1
	v_cmp_gt_u32_e32 vcc, s10, v22
	s_and_saveexec_b64 s[4:5], vcc
	s_cbranch_execz .LBB930_464
; %bb.454:
	s_and_b64 vcc, exec, s[2:3]
	s_cbranch_vccnz .LBB930_461
; %bb.455:
	v_mul_lo_u32 v22, v7, s12
	v_mul_lo_u32 v23, v6, s13
	v_mad_u64_u32 v[6:7], s[16:17], v6, s12, 0
	v_add3_u32 v7, v7, v23, v22
	v_mul_lo_u32 v22, v5, s12
	v_mul_lo_u32 v23, v4, s13
	v_mad_u64_u32 v[24:25], s[16:17], v4, s12, 0
	v_add3_u32 v25, v25, v23, v22
	v_lshl_add_u64 v[22:23], v[6:7], 2, s[14:15]
	v_lshl_add_u64 v[24:25], v[24:25], 2, s[14:15]
	global_load_dword v6, v[22:23], off
	global_load_dword v7, v[24:25], off
	s_waitcnt vmcnt(0)
	v_cmp_eq_f32_e32 vcc, v6, v7
	v_mov_b64_e32 v[6:7], 1
	s_and_saveexec_b64 s[16:17], vcc
	s_cbranch_execz .LBB930_463
; %bb.456:
	s_add_u32 s18, s12, -1
	v_lshl_add_u64 v[6:7], v[24:25], 0, 4
	v_lshl_add_u64 v[22:23], v[22:23], 0, 4
	s_addc_u32 s19, s13, -1
	s_mov_b64 s[24:25], 0
	s_mov_b64 s[28:29], 0
                                        ; implicit-def: $sgpr26_sgpr27
	s_branch .LBB930_459
.LBB930_457:                            ;   in Loop: Header=BB930_459 Depth=1
	global_load_dword v24, v[22:23], off
	global_load_dword v25, v[6:7], off
	s_add_u32 s28, s28, 1
	s_addc_u32 s29, s29, 0
	s_andn2_b64 s[26:27], s[26:27], exec
	v_lshl_add_u64 v[6:7], v[6:7], 0, 4
	v_lshl_add_u64 v[22:23], v[22:23], 0, 4
	s_waitcnt vmcnt(0)
	v_cmp_neq_f32_e32 vcc, v24, v25
	s_and_b64 s[30:31], vcc, exec
	s_or_b64 s[26:27], s[26:27], s[30:31]
.LBB930_458:                            ;   in Loop: Header=BB930_459 Depth=1
	s_and_b64 s[30:31], exec, s[26:27]
	s_or_b64 s[24:25], s[30:31], s[24:25]
	v_mov_b64_e32 v[24:25], s[28:29]
	s_andn2_b64 exec, exec, s[24:25]
	s_cbranch_execz .LBB930_462
.LBB930_459:                            ; =>This Inner Loop Header: Depth=1
	s_or_b64 s[26:27], s[26:27], exec
	s_cmp_eq_u64 s[18:19], s[28:29]
	s_cbranch_scc0 .LBB930_457
; %bb.460:                              ;   in Loop: Header=BB930_459 Depth=1
                                        ; implicit-def: $vgpr6_vgpr7
                                        ; implicit-def: $vgpr22_vgpr23
	s_mov_b64 s[28:29], s[12:13]
	s_branch .LBB930_458
.LBB930_461:
	v_mov_b64_e32 v[6:7], 0
	s_branch .LBB930_464
.LBB930_462:
	s_or_b64 exec, exec, s[24:25]
	v_cmp_gt_i64_e32 vcc, s[12:13], v[24:25]
	s_mov_b32 s18, 0
	v_mov_b32_e32 v7, s18
	v_cndmask_b32_e64 v6, 0, 1, vcc
.LBB930_463:
	s_or_b64 exec, exec, s[16:17]
.LBB930_464:
	s_or_b64 exec, exec, s[4:5]
	v_add_u32_e32 v22, 1, v1
	v_cmp_gt_u32_e32 vcc, s10, v22
	s_and_saveexec_b64 s[4:5], vcc
	s_cbranch_execz .LBB930_475
; %bb.465:
	s_and_b64 vcc, exec, s[2:3]
	s_cbranch_vccnz .LBB930_472
; %bb.466:
	v_mul_lo_u32 v22, v5, s12
	v_mul_lo_u32 v23, v4, s13
	v_mad_u64_u32 v[4:5], s[16:17], v4, s12, 0
	v_add3_u32 v5, v5, v23, v22
	v_mul_lo_u32 v22, v3, s12
	v_mul_lo_u32 v23, v2, s13
	v_mad_u64_u32 v[24:25], s[16:17], v2, s12, 0
	v_add3_u32 v25, v25, v23, v22
	v_lshl_add_u64 v[22:23], v[4:5], 2, s[14:15]
	v_lshl_add_u64 v[24:25], v[24:25], 2, s[14:15]
	global_load_dword v4, v[22:23], off
	global_load_dword v5, v[24:25], off
	s_waitcnt vmcnt(0)
	v_cmp_eq_f32_e32 vcc, v4, v5
	v_mov_b64_e32 v[4:5], 1
	s_and_saveexec_b64 s[16:17], vcc
	s_cbranch_execz .LBB930_474
; %bb.467:
	s_add_u32 s18, s12, -1
	v_lshl_add_u64 v[4:5], v[24:25], 0, 4
	v_lshl_add_u64 v[22:23], v[22:23], 0, 4
	s_addc_u32 s19, s13, -1
	s_mov_b64 s[24:25], 0
	s_mov_b64 s[28:29], 0
                                        ; implicit-def: $sgpr26_sgpr27
	s_branch .LBB930_470
.LBB930_468:                            ;   in Loop: Header=BB930_470 Depth=1
	global_load_dword v24, v[22:23], off
	global_load_dword v25, v[4:5], off
	s_add_u32 s28, s28, 1
	s_addc_u32 s29, s29, 0
	s_andn2_b64 s[26:27], s[26:27], exec
	v_lshl_add_u64 v[4:5], v[4:5], 0, 4
	v_lshl_add_u64 v[22:23], v[22:23], 0, 4
	s_waitcnt vmcnt(0)
	v_cmp_neq_f32_e32 vcc, v24, v25
	s_and_b64 s[30:31], vcc, exec
	s_or_b64 s[26:27], s[26:27], s[30:31]
.LBB930_469:                            ;   in Loop: Header=BB930_470 Depth=1
	s_and_b64 s[30:31], exec, s[26:27]
	s_or_b64 s[24:25], s[30:31], s[24:25]
	v_mov_b64_e32 v[24:25], s[28:29]
	s_andn2_b64 exec, exec, s[24:25]
	s_cbranch_execz .LBB930_473
.LBB930_470:                            ; =>This Inner Loop Header: Depth=1
	s_or_b64 s[26:27], s[26:27], exec
	s_cmp_eq_u64 s[18:19], s[28:29]
	s_cbranch_scc0 .LBB930_468
; %bb.471:                              ;   in Loop: Header=BB930_470 Depth=1
                                        ; implicit-def: $vgpr4_vgpr5
                                        ; implicit-def: $vgpr22_vgpr23
	s_mov_b64 s[28:29], s[12:13]
	s_branch .LBB930_469
.LBB930_472:
	v_mov_b64_e32 v[4:5], 0
	s_branch .LBB930_475
.LBB930_473:
	s_or_b64 exec, exec, s[24:25]
	v_cmp_gt_i64_e32 vcc, s[12:13], v[24:25]
	s_mov_b32 s18, 0
	v_mov_b32_e32 v5, s18
	v_cndmask_b32_e64 v4, 0, 1, vcc
.LBB930_474:
	s_or_b64 exec, exec, s[16:17]
.LBB930_475:
	s_or_b64 exec, exec, s[4:5]
	v_cmp_ne_u32_e32 vcc, 0, v0
	v_cmp_gt_u32_e64 s[4:5], s10, v1
	s_and_b64 s[16:17], vcc, s[4:5]
	s_waitcnt lgkmcnt(0)
	s_barrier
	s_waitcnt lgkmcnt(0)
                                        ; implicit-def: $sgpr18_sgpr19
	s_and_saveexec_b64 s[4:5], s[16:17]
	s_cbranch_execz .LBB930_487
; %bb.476:
	s_and_b64 vcc, exec, s[2:3]
	s_cbranch_vccnz .LBB930_483
; %bb.477:
	v_mul_lo_u32 v1, v3, s12
	v_add_u32_e32 v3, -8, v40
	ds_read_b64 v[22:23], v3
	v_mul_lo_u32 v24, v2, s13
	v_mad_u64_u32 v[2:3], s[2:3], v2, s12, 0
	v_add3_u32 v3, v3, v24, v1
	s_waitcnt lgkmcnt(0)
	v_mul_lo_u32 v1, v23, s12
	v_mul_lo_u32 v23, v22, s13
	v_mad_u64_u32 v[24:25], s[2:3], v22, s12, 0
	v_add3_u32 v25, v25, v23, v1
	v_lshl_add_u64 v[22:23], v[2:3], 2, s[14:15]
	v_lshl_add_u64 v[2:3], v[24:25], 2, s[14:15]
	global_load_dword v1, v[22:23], off
	global_load_dword v24, v[2:3], off
	s_mov_b64 s[14:15], -1
	s_waitcnt vmcnt(0)
	v_cmp_eq_f32_e32 vcc, v1, v24
	s_and_saveexec_b64 s[2:3], vcc
	s_cbranch_execz .LBB930_485
; %bb.478:
	s_add_u32 s14, s12, -1
	v_lshl_add_u64 v[2:3], v[2:3], 0, 4
	v_lshl_add_u64 v[22:23], v[22:23], 0, 4
	s_addc_u32 s15, s13, -1
	s_mov_b64 s[16:17], 0
	s_mov_b64 s[24:25], 0
                                        ; implicit-def: $sgpr18_sgpr19
	s_branch .LBB930_481
.LBB930_479:                            ;   in Loop: Header=BB930_481 Depth=1
	global_load_dword v1, v[22:23], off
	global_load_dword v24, v[2:3], off
	s_add_u32 s24, s24, 1
	s_addc_u32 s25, s25, 0
	s_andn2_b64 s[18:19], s[18:19], exec
	v_lshl_add_u64 v[2:3], v[2:3], 0, 4
	v_lshl_add_u64 v[22:23], v[22:23], 0, 4
	s_waitcnt vmcnt(0)
	v_cmp_neq_f32_e32 vcc, v1, v24
	s_and_b64 s[26:27], vcc, exec
	s_or_b64 s[18:19], s[18:19], s[26:27]
.LBB930_480:                            ;   in Loop: Header=BB930_481 Depth=1
	s_and_b64 s[26:27], exec, s[18:19]
	s_or_b64 s[16:17], s[26:27], s[16:17]
	v_mov_b64_e32 v[24:25], s[24:25]
	s_andn2_b64 exec, exec, s[16:17]
	s_cbranch_execz .LBB930_484
.LBB930_481:                            ; =>This Inner Loop Header: Depth=1
	s_or_b64 s[18:19], s[18:19], exec
	s_cmp_eq_u64 s[14:15], s[24:25]
	s_cbranch_scc0 .LBB930_479
; %bb.482:                              ;   in Loop: Header=BB930_481 Depth=1
                                        ; implicit-def: $vgpr2_vgpr3
                                        ; implicit-def: $vgpr22_vgpr23
	s_mov_b64 s[24:25], s[12:13]
	s_branch .LBB930_480
.LBB930_483:
	s_mov_b64 s[14:15], 0
	s_branch .LBB930_486
.LBB930_484:
	s_or_b64 exec, exec, s[16:17]
	v_cmp_gt_i64_e32 vcc, s[12:13], v[24:25]
	s_orn2_b64 s[14:15], vcc, exec
.LBB930_485:
	s_or_b64 exec, exec, s[2:3]
.LBB930_486:
	s_and_b64 s[18:19], s[14:15], exec
	s_or_b64 s[22:23], s[22:23], exec
.LBB930_487:
	s_or_b64 exec, exec, s[4:5]
	v_mov_b64_e32 v[42:43], v[36:37]
	v_mov_b64_e32 v[44:45], v[20:21]
	;; [unrolled: 1-line block ×19, first 2 shown]
.LBB930_488:
	s_and_saveexec_b64 s[2:3], s[22:23]
	s_cbranch_execz .LBB930_490
; %bb.489:
	s_mov_b32 s4, 0
	v_cndmask_b32_e64 v2, 0, 1, s[18:19]
	v_mov_b32_e32 v3, s4
	v_mov_b64_e32 v[26:27], v[46:47]
	v_mov_b64_e32 v[66:67], v[48:49]
	;; [unrolled: 1-line block ×7, first 2 shown]
	s_waitcnt lgkmcnt(0)
	v_mov_b64_e32 v[22:23], v[38:39]
	v_mov_b64_e32 v[60:61], v[44:45]
.LBB930_490:
	s_or_b64 exec, exec, s[2:3]
	s_add_u32 s4, s8, s6
	s_addc_u32 s5, s9, s7
	s_and_b64 vcc, exec, s[0:1]
	s_waitcnt lgkmcnt(0)
	s_barrier
	s_cbranch_vccz .LBB930_512
; %bb.491:
	s_movk_i32 s2, 0x58
	v_mul_u32_u24_e32 v1, 0x58, v0
	v_mov_b32_e32 v4, v68
	v_mov_b32_e32 v5, v69
	v_mul_i32_i24_e32 v24, 0xffffffb0, v0
	ds_write2_b64 v1, v[2:3], v[4:5] offset1:1
	ds_write2_b64 v1, v[62:63], v[34:35] offset0:2 offset1:3
	ds_write2_b64 v1, v[64:65], v[30:31] offset0:4 offset1:5
	ds_write2_b64 v1, v[66:67], v[26:27] offset0:6 offset1:7
	ds_write2_b64 v1, v[22:23], v[60:61] offset0:8 offset1:9
	ds_write_b64 v1, v[42:43] offset:80
	v_mad_u32_u24 v4, v0, s2, v24
	s_waitcnt lgkmcnt(0)
	s_barrier
	ds_read2st64_b64 v[36:39], v4 offset0:4 offset1:8
	ds_read2st64_b64 v[16:19], v4 offset0:12 offset1:16
	;; [unrolled: 1-line block ×5, first 2 shown]
	s_mov_b32 s21, 0
	s_add_i32 s11, s11, s10
	s_lshl_b64 s[0:1], s[20:21], 3
	s_add_u32 s0, s4, s0
	s_addc_u32 s1, s5, s1
	v_mov_b32_e32 v41, 0
	v_lshl_add_u64 v[20:21], s[0:1], 0, v[40:41]
	v_cmp_gt_u32_e32 vcc, s11, v0
	s_and_saveexec_b64 s[0:1], vcc
	s_cbranch_execz .LBB930_493
; %bb.492:
	v_add_u32_e32 v1, v1, v24
	ds_read_b64 v[24:25], v1
	s_waitcnt lgkmcnt(0)
	global_store_dwordx2 v[20:21], v[24:25], off
.LBB930_493:
	s_or_b64 exec, exec, s[0:1]
	v_or_b32_e32 v1, 0x100, v0
	v_cmp_gt_u32_e32 vcc, s11, v1
	s_and_saveexec_b64 s[0:1], vcc
	s_cbranch_execz .LBB930_495
; %bb.494:
	s_waitcnt lgkmcnt(4)
	global_store_dwordx2 v[20:21], v[36:37], off offset:2048
.LBB930_495:
	s_or_b64 exec, exec, s[0:1]
	v_or_b32_e32 v1, 0x200, v0
	v_cmp_gt_u32_e32 vcc, s11, v1
	s_and_saveexec_b64 s[0:1], vcc
	s_cbranch_execz .LBB930_497
; %bb.496:
	v_add_co_u32_e32 v24, vcc, 0x1000, v20
	s_nop 1
	v_addc_co_u32_e32 v25, vcc, 0, v21, vcc
	s_waitcnt lgkmcnt(4)
	global_store_dwordx2 v[24:25], v[38:39], off
.LBB930_497:
	s_or_b64 exec, exec, s[0:1]
	v_or_b32_e32 v1, 0x300, v0
	v_cmp_gt_u32_e32 vcc, s11, v1
	s_and_saveexec_b64 s[0:1], vcc
	s_cbranch_execz .LBB930_499
; %bb.498:
	v_add_co_u32_e32 v24, vcc, 0x1000, v20
	s_nop 1
	v_addc_co_u32_e32 v25, vcc, 0, v21, vcc
	s_waitcnt lgkmcnt(3)
	global_store_dwordx2 v[24:25], v[16:17], off offset:2048
.LBB930_499:
	s_or_b64 exec, exec, s[0:1]
	v_or_b32_e32 v1, 0x400, v0
	v_cmp_gt_u32_e32 vcc, s11, v1
	s_and_saveexec_b64 s[0:1], vcc
	s_cbranch_execz .LBB930_501
; %bb.500:
	s_waitcnt lgkmcnt(3)
	v_add_co_u32_e32 v16, vcc, 0x2000, v20
	s_nop 1
	v_addc_co_u32_e32 v17, vcc, 0, v21, vcc
	global_store_dwordx2 v[16:17], v[18:19], off
.LBB930_501:
	s_or_b64 exec, exec, s[0:1]
	v_or_b32_e32 v1, 0x500, v0
	v_cmp_gt_u32_e32 vcc, s11, v1
	s_and_saveexec_b64 s[0:1], vcc
	s_cbranch_execz .LBB930_503
; %bb.502:
	s_waitcnt lgkmcnt(3)
	v_add_co_u32_e32 v16, vcc, 0x2000, v20
	s_nop 1
	v_addc_co_u32_e32 v17, vcc, 0, v21, vcc
	s_waitcnt lgkmcnt(2)
	global_store_dwordx2 v[16:17], v[12:13], off offset:2048
.LBB930_503:
	s_or_b64 exec, exec, s[0:1]
	v_or_b32_e32 v1, 0x600, v0
	v_cmp_gt_u32_e32 vcc, s11, v1
	s_and_saveexec_b64 s[0:1], vcc
	s_cbranch_execz .LBB930_505
; %bb.504:
	s_waitcnt lgkmcnt(2)
	v_add_co_u32_e32 v12, vcc, 0x3000, v20
	s_nop 1
	v_addc_co_u32_e32 v13, vcc, 0, v21, vcc
	global_store_dwordx2 v[12:13], v[14:15], off
.LBB930_505:
	s_or_b64 exec, exec, s[0:1]
	v_or_b32_e32 v1, 0x700, v0
	v_cmp_gt_u32_e32 vcc, s11, v1
	s_and_saveexec_b64 s[0:1], vcc
	s_cbranch_execz .LBB930_507
; %bb.506:
	s_waitcnt lgkmcnt(2)
	v_add_co_u32_e32 v12, vcc, 0x3000, v20
	s_nop 1
	v_addc_co_u32_e32 v13, vcc, 0, v21, vcc
	s_waitcnt lgkmcnt(1)
	global_store_dwordx2 v[12:13], v[8:9], off offset:2048
.LBB930_507:
	;; [unrolled: 25-line block ×3, first 2 shown]
	s_or_b64 exec, exec, s[0:1]
	v_or_b32_e32 v1, 0xa00, v0
	v_cmp_gt_u32_e64 s[0:1], s11, v1
	s_branch .LBB930_514
.LBB930_512:
	s_mov_b64 s[0:1], 0
                                        ; implicit-def: $vgpr6_vgpr7
                                        ; implicit-def: $vgpr20_vgpr21
	s_cbranch_execz .LBB930_514
; %bb.513:
	s_mov_b32 s21, 0
	s_lshl_b64 s[2:3], s[20:21], 3
	v_mul_u32_u24_e32 v1, 0x58, v0
	s_add_u32 s2, s4, s2
	s_movk_i32 s4, 0x58
	ds_write2_b64 v1, v[2:3], v[68:69] offset1:1
	ds_write2_b64 v1, v[62:63], v[34:35] offset0:2 offset1:3
	ds_write2_b64 v1, v[64:65], v[30:31] offset0:4 offset1:5
	;; [unrolled: 1-line block ×4, first 2 shown]
	ds_write_b64 v1, v[42:43] offset:80
	v_mul_i32_i24_e32 v1, 0xffffffb0, v0
	s_addc_u32 s3, s5, s3
	s_waitcnt lgkmcnt(6)
	v_mad_u32_u24 v4, v0, s4, v1
	v_mov_b32_e32 v41, 0
	s_waitcnt lgkmcnt(0)
	s_barrier
	ds_read2st64_b64 v[0:3], v4 offset1:4
	ds_read2st64_b64 v[8:11], v4 offset0:8 offset1:12
	ds_read2st64_b64 v[12:15], v4 offset0:16 offset1:20
	;; [unrolled: 1-line block ×4, first 2 shown]
	ds_read_b64 v[6:7], v4 offset:20480
	v_lshl_add_u64 v[20:21], s[2:3], 0, v[40:41]
	s_waitcnt lgkmcnt(5)
	global_store_dwordx2 v40, v[0:1], s[2:3]
	global_store_dwordx2 v40, v[2:3], s[2:3] offset:2048
	s_movk_i32 s2, 0x1000
	v_add_co_u32_e32 v0, vcc, s2, v20
	s_movk_i32 s2, 0x2000
	s_nop 0
	v_addc_co_u32_e32 v1, vcc, 0, v21, vcc
	v_add_co_u32_e32 v2, vcc, s2, v20
	s_or_b64 s[0:1], s[0:1], exec
	s_nop 0
	v_addc_co_u32_e32 v3, vcc, 0, v21, vcc
	s_waitcnt lgkmcnt(4)
	global_store_dwordx2 v[2:3], v[8:9], off offset:-4096
	global_store_dwordx2 v[0:1], v[10:11], off offset:2048
	s_waitcnt lgkmcnt(3)
	global_store_dwordx2 v[2:3], v[12:13], off
	global_store_dwordx2 v[2:3], v[14:15], off offset:2048
	v_add_co_u32_e32 v0, vcc, 0x3000, v20
	s_nop 1
	v_addc_co_u32_e32 v1, vcc, 0, v21, vcc
	s_waitcnt lgkmcnt(2)
	global_store_dwordx2 v[0:1], v[16:17], off
	global_store_dwordx2 v[0:1], v[18:19], off offset:2048
	v_add_co_u32_e32 v0, vcc, 0x4000, v20
	s_nop 1
	v_addc_co_u32_e32 v1, vcc, 0, v21, vcc
	s_waitcnt lgkmcnt(1)
	global_store_dwordx2 v[0:1], v[22:23], off
	global_store_dwordx2 v[0:1], v[24:25], off offset:2048
.LBB930_514:
	s_and_saveexec_b64 s[2:3], s[0:1]
	s_cbranch_execnz .LBB930_516
; %bb.515:
	s_endpgm
.LBB930_516:
	v_add_co_u32_e32 v0, vcc, 0x5000, v20
	s_nop 1
	v_addc_co_u32_e32 v1, vcc, 0, v21, vcc
	s_waitcnt lgkmcnt(0)
	global_store_dwordx2 v[0:1], v[6:7], off
	s_endpgm
	.section	.rodata,"a",@progbits
	.p2align	6, 0x0
	.amdhsa_kernel _ZN7rocprim17ROCPRIM_400000_NS6detail17trampoline_kernelINS0_14default_configENS1_35adjacent_difference_config_selectorILb1ElEEZNS1_24adjacent_difference_implIS3_Lb1ELb0EPlS7_ZN2at6native12_GLOBAL__N_124unique_dim_cuda_templateIfEESt5tupleIJNS8_6TensorESD_SD_EERKSD_lbbbEUlllE1_EE10hipError_tPvRmT2_T3_mT4_P12ihipStream_tbEUlT_E_NS1_11comp_targetILNS1_3genE5ELNS1_11target_archE942ELNS1_3gpuE9ELNS1_3repE0EEENS1_30default_config_static_selectorELNS0_4arch9wavefront6targetE1EEEvT1_
		.amdhsa_group_segment_fixed_size 22528
		.amdhsa_private_segment_fixed_size 0
		.amdhsa_kernarg_size 64
		.amdhsa_user_sgpr_count 2
		.amdhsa_user_sgpr_dispatch_ptr 0
		.amdhsa_user_sgpr_queue_ptr 0
		.amdhsa_user_sgpr_kernarg_segment_ptr 1
		.amdhsa_user_sgpr_dispatch_id 0
		.amdhsa_user_sgpr_kernarg_preload_length 0
		.amdhsa_user_sgpr_kernarg_preload_offset 0
		.amdhsa_user_sgpr_private_segment_size 0
		.amdhsa_uses_dynamic_stack 0
		.amdhsa_enable_private_segment 0
		.amdhsa_system_sgpr_workgroup_id_x 1
		.amdhsa_system_sgpr_workgroup_id_y 0
		.amdhsa_system_sgpr_workgroup_id_z 0
		.amdhsa_system_sgpr_workgroup_info 0
		.amdhsa_system_vgpr_workitem_id 0
		.amdhsa_next_free_vgpr 70
		.amdhsa_next_free_sgpr 38
		.amdhsa_accum_offset 72
		.amdhsa_reserve_vcc 1
		.amdhsa_float_round_mode_32 0
		.amdhsa_float_round_mode_16_64 0
		.amdhsa_float_denorm_mode_32 3
		.amdhsa_float_denorm_mode_16_64 3
		.amdhsa_dx10_clamp 1
		.amdhsa_ieee_mode 1
		.amdhsa_fp16_overflow 0
		.amdhsa_tg_split 0
		.amdhsa_exception_fp_ieee_invalid_op 0
		.amdhsa_exception_fp_denorm_src 0
		.amdhsa_exception_fp_ieee_div_zero 0
		.amdhsa_exception_fp_ieee_overflow 0
		.amdhsa_exception_fp_ieee_underflow 0
		.amdhsa_exception_fp_ieee_inexact 0
		.amdhsa_exception_int_div_zero 0
	.end_amdhsa_kernel
	.section	.text._ZN7rocprim17ROCPRIM_400000_NS6detail17trampoline_kernelINS0_14default_configENS1_35adjacent_difference_config_selectorILb1ElEEZNS1_24adjacent_difference_implIS3_Lb1ELb0EPlS7_ZN2at6native12_GLOBAL__N_124unique_dim_cuda_templateIfEESt5tupleIJNS8_6TensorESD_SD_EERKSD_lbbbEUlllE1_EE10hipError_tPvRmT2_T3_mT4_P12ihipStream_tbEUlT_E_NS1_11comp_targetILNS1_3genE5ELNS1_11target_archE942ELNS1_3gpuE9ELNS1_3repE0EEENS1_30default_config_static_selectorELNS0_4arch9wavefront6targetE1EEEvT1_,"axG",@progbits,_ZN7rocprim17ROCPRIM_400000_NS6detail17trampoline_kernelINS0_14default_configENS1_35adjacent_difference_config_selectorILb1ElEEZNS1_24adjacent_difference_implIS3_Lb1ELb0EPlS7_ZN2at6native12_GLOBAL__N_124unique_dim_cuda_templateIfEESt5tupleIJNS8_6TensorESD_SD_EERKSD_lbbbEUlllE1_EE10hipError_tPvRmT2_T3_mT4_P12ihipStream_tbEUlT_E_NS1_11comp_targetILNS1_3genE5ELNS1_11target_archE942ELNS1_3gpuE9ELNS1_3repE0EEENS1_30default_config_static_selectorELNS0_4arch9wavefront6targetE1EEEvT1_,comdat
.Lfunc_end930:
	.size	_ZN7rocprim17ROCPRIM_400000_NS6detail17trampoline_kernelINS0_14default_configENS1_35adjacent_difference_config_selectorILb1ElEEZNS1_24adjacent_difference_implIS3_Lb1ELb0EPlS7_ZN2at6native12_GLOBAL__N_124unique_dim_cuda_templateIfEESt5tupleIJNS8_6TensorESD_SD_EERKSD_lbbbEUlllE1_EE10hipError_tPvRmT2_T3_mT4_P12ihipStream_tbEUlT_E_NS1_11comp_targetILNS1_3genE5ELNS1_11target_archE942ELNS1_3gpuE9ELNS1_3repE0EEENS1_30default_config_static_selectorELNS0_4arch9wavefront6targetE1EEEvT1_, .Lfunc_end930-_ZN7rocprim17ROCPRIM_400000_NS6detail17trampoline_kernelINS0_14default_configENS1_35adjacent_difference_config_selectorILb1ElEEZNS1_24adjacent_difference_implIS3_Lb1ELb0EPlS7_ZN2at6native12_GLOBAL__N_124unique_dim_cuda_templateIfEESt5tupleIJNS8_6TensorESD_SD_EERKSD_lbbbEUlllE1_EE10hipError_tPvRmT2_T3_mT4_P12ihipStream_tbEUlT_E_NS1_11comp_targetILNS1_3genE5ELNS1_11target_archE942ELNS1_3gpuE9ELNS1_3repE0EEENS1_30default_config_static_selectorELNS0_4arch9wavefront6targetE1EEEvT1_
                                        ; -- End function
	.section	.AMDGPU.csdata,"",@progbits
; Kernel info:
; codeLenInByte = 15780
; NumSgprs: 44
; NumVgprs: 70
; NumAgprs: 0
; TotalNumVgprs: 70
; ScratchSize: 0
; MemoryBound: 0
; FloatMode: 240
; IeeeMode: 1
; LDSByteSize: 22528 bytes/workgroup (compile time only)
; SGPRBlocks: 5
; VGPRBlocks: 8
; NumSGPRsForWavesPerEU: 44
; NumVGPRsForWavesPerEU: 70
; AccumOffset: 72
; Occupancy: 2
; WaveLimiterHint : 1
; COMPUTE_PGM_RSRC2:SCRATCH_EN: 0
; COMPUTE_PGM_RSRC2:USER_SGPR: 2
; COMPUTE_PGM_RSRC2:TRAP_HANDLER: 0
; COMPUTE_PGM_RSRC2:TGID_X_EN: 1
; COMPUTE_PGM_RSRC2:TGID_Y_EN: 0
; COMPUTE_PGM_RSRC2:TGID_Z_EN: 0
; COMPUTE_PGM_RSRC2:TIDIG_COMP_CNT: 0
; COMPUTE_PGM_RSRC3_GFX90A:ACCUM_OFFSET: 17
; COMPUTE_PGM_RSRC3_GFX90A:TG_SPLIT: 0
	.section	.text._ZN7rocprim17ROCPRIM_400000_NS6detail17trampoline_kernelINS0_14default_configENS1_35adjacent_difference_config_selectorILb1ElEEZNS1_24adjacent_difference_implIS3_Lb1ELb0EPlS7_ZN2at6native12_GLOBAL__N_124unique_dim_cuda_templateIfEESt5tupleIJNS8_6TensorESD_SD_EERKSD_lbbbEUlllE1_EE10hipError_tPvRmT2_T3_mT4_P12ihipStream_tbEUlT_E_NS1_11comp_targetILNS1_3genE4ELNS1_11target_archE910ELNS1_3gpuE8ELNS1_3repE0EEENS1_30default_config_static_selectorELNS0_4arch9wavefront6targetE1EEEvT1_,"axG",@progbits,_ZN7rocprim17ROCPRIM_400000_NS6detail17trampoline_kernelINS0_14default_configENS1_35adjacent_difference_config_selectorILb1ElEEZNS1_24adjacent_difference_implIS3_Lb1ELb0EPlS7_ZN2at6native12_GLOBAL__N_124unique_dim_cuda_templateIfEESt5tupleIJNS8_6TensorESD_SD_EERKSD_lbbbEUlllE1_EE10hipError_tPvRmT2_T3_mT4_P12ihipStream_tbEUlT_E_NS1_11comp_targetILNS1_3genE4ELNS1_11target_archE910ELNS1_3gpuE8ELNS1_3repE0EEENS1_30default_config_static_selectorELNS0_4arch9wavefront6targetE1EEEvT1_,comdat
	.globl	_ZN7rocprim17ROCPRIM_400000_NS6detail17trampoline_kernelINS0_14default_configENS1_35adjacent_difference_config_selectorILb1ElEEZNS1_24adjacent_difference_implIS3_Lb1ELb0EPlS7_ZN2at6native12_GLOBAL__N_124unique_dim_cuda_templateIfEESt5tupleIJNS8_6TensorESD_SD_EERKSD_lbbbEUlllE1_EE10hipError_tPvRmT2_T3_mT4_P12ihipStream_tbEUlT_E_NS1_11comp_targetILNS1_3genE4ELNS1_11target_archE910ELNS1_3gpuE8ELNS1_3repE0EEENS1_30default_config_static_selectorELNS0_4arch9wavefront6targetE1EEEvT1_ ; -- Begin function _ZN7rocprim17ROCPRIM_400000_NS6detail17trampoline_kernelINS0_14default_configENS1_35adjacent_difference_config_selectorILb1ElEEZNS1_24adjacent_difference_implIS3_Lb1ELb0EPlS7_ZN2at6native12_GLOBAL__N_124unique_dim_cuda_templateIfEESt5tupleIJNS8_6TensorESD_SD_EERKSD_lbbbEUlllE1_EE10hipError_tPvRmT2_T3_mT4_P12ihipStream_tbEUlT_E_NS1_11comp_targetILNS1_3genE4ELNS1_11target_archE910ELNS1_3gpuE8ELNS1_3repE0EEENS1_30default_config_static_selectorELNS0_4arch9wavefront6targetE1EEEvT1_
	.p2align	8
	.type	_ZN7rocprim17ROCPRIM_400000_NS6detail17trampoline_kernelINS0_14default_configENS1_35adjacent_difference_config_selectorILb1ElEEZNS1_24adjacent_difference_implIS3_Lb1ELb0EPlS7_ZN2at6native12_GLOBAL__N_124unique_dim_cuda_templateIfEESt5tupleIJNS8_6TensorESD_SD_EERKSD_lbbbEUlllE1_EE10hipError_tPvRmT2_T3_mT4_P12ihipStream_tbEUlT_E_NS1_11comp_targetILNS1_3genE4ELNS1_11target_archE910ELNS1_3gpuE8ELNS1_3repE0EEENS1_30default_config_static_selectorELNS0_4arch9wavefront6targetE1EEEvT1_,@function
_ZN7rocprim17ROCPRIM_400000_NS6detail17trampoline_kernelINS0_14default_configENS1_35adjacent_difference_config_selectorILb1ElEEZNS1_24adjacent_difference_implIS3_Lb1ELb0EPlS7_ZN2at6native12_GLOBAL__N_124unique_dim_cuda_templateIfEESt5tupleIJNS8_6TensorESD_SD_EERKSD_lbbbEUlllE1_EE10hipError_tPvRmT2_T3_mT4_P12ihipStream_tbEUlT_E_NS1_11comp_targetILNS1_3genE4ELNS1_11target_archE910ELNS1_3gpuE8ELNS1_3repE0EEENS1_30default_config_static_selectorELNS0_4arch9wavefront6targetE1EEEvT1_: ; @_ZN7rocprim17ROCPRIM_400000_NS6detail17trampoline_kernelINS0_14default_configENS1_35adjacent_difference_config_selectorILb1ElEEZNS1_24adjacent_difference_implIS3_Lb1ELb0EPlS7_ZN2at6native12_GLOBAL__N_124unique_dim_cuda_templateIfEESt5tupleIJNS8_6TensorESD_SD_EERKSD_lbbbEUlllE1_EE10hipError_tPvRmT2_T3_mT4_P12ihipStream_tbEUlT_E_NS1_11comp_targetILNS1_3genE4ELNS1_11target_archE910ELNS1_3gpuE8ELNS1_3repE0EEENS1_30default_config_static_selectorELNS0_4arch9wavefront6targetE1EEEvT1_
; %bb.0:
	.section	.rodata,"a",@progbits
	.p2align	6, 0x0
	.amdhsa_kernel _ZN7rocprim17ROCPRIM_400000_NS6detail17trampoline_kernelINS0_14default_configENS1_35adjacent_difference_config_selectorILb1ElEEZNS1_24adjacent_difference_implIS3_Lb1ELb0EPlS7_ZN2at6native12_GLOBAL__N_124unique_dim_cuda_templateIfEESt5tupleIJNS8_6TensorESD_SD_EERKSD_lbbbEUlllE1_EE10hipError_tPvRmT2_T3_mT4_P12ihipStream_tbEUlT_E_NS1_11comp_targetILNS1_3genE4ELNS1_11target_archE910ELNS1_3gpuE8ELNS1_3repE0EEENS1_30default_config_static_selectorELNS0_4arch9wavefront6targetE1EEEvT1_
		.amdhsa_group_segment_fixed_size 0
		.amdhsa_private_segment_fixed_size 0
		.amdhsa_kernarg_size 64
		.amdhsa_user_sgpr_count 2
		.amdhsa_user_sgpr_dispatch_ptr 0
		.amdhsa_user_sgpr_queue_ptr 0
		.amdhsa_user_sgpr_kernarg_segment_ptr 1
		.amdhsa_user_sgpr_dispatch_id 0
		.amdhsa_user_sgpr_kernarg_preload_length 0
		.amdhsa_user_sgpr_kernarg_preload_offset 0
		.amdhsa_user_sgpr_private_segment_size 0
		.amdhsa_uses_dynamic_stack 0
		.amdhsa_enable_private_segment 0
		.amdhsa_system_sgpr_workgroup_id_x 1
		.amdhsa_system_sgpr_workgroup_id_y 0
		.amdhsa_system_sgpr_workgroup_id_z 0
		.amdhsa_system_sgpr_workgroup_info 0
		.amdhsa_system_vgpr_workitem_id 0
		.amdhsa_next_free_vgpr 1
		.amdhsa_next_free_sgpr 0
		.amdhsa_accum_offset 4
		.amdhsa_reserve_vcc 0
		.amdhsa_float_round_mode_32 0
		.amdhsa_float_round_mode_16_64 0
		.amdhsa_float_denorm_mode_32 3
		.amdhsa_float_denorm_mode_16_64 3
		.amdhsa_dx10_clamp 1
		.amdhsa_ieee_mode 1
		.amdhsa_fp16_overflow 0
		.amdhsa_tg_split 0
		.amdhsa_exception_fp_ieee_invalid_op 0
		.amdhsa_exception_fp_denorm_src 0
		.amdhsa_exception_fp_ieee_div_zero 0
		.amdhsa_exception_fp_ieee_overflow 0
		.amdhsa_exception_fp_ieee_underflow 0
		.amdhsa_exception_fp_ieee_inexact 0
		.amdhsa_exception_int_div_zero 0
	.end_amdhsa_kernel
	.section	.text._ZN7rocprim17ROCPRIM_400000_NS6detail17trampoline_kernelINS0_14default_configENS1_35adjacent_difference_config_selectorILb1ElEEZNS1_24adjacent_difference_implIS3_Lb1ELb0EPlS7_ZN2at6native12_GLOBAL__N_124unique_dim_cuda_templateIfEESt5tupleIJNS8_6TensorESD_SD_EERKSD_lbbbEUlllE1_EE10hipError_tPvRmT2_T3_mT4_P12ihipStream_tbEUlT_E_NS1_11comp_targetILNS1_3genE4ELNS1_11target_archE910ELNS1_3gpuE8ELNS1_3repE0EEENS1_30default_config_static_selectorELNS0_4arch9wavefront6targetE1EEEvT1_,"axG",@progbits,_ZN7rocprim17ROCPRIM_400000_NS6detail17trampoline_kernelINS0_14default_configENS1_35adjacent_difference_config_selectorILb1ElEEZNS1_24adjacent_difference_implIS3_Lb1ELb0EPlS7_ZN2at6native12_GLOBAL__N_124unique_dim_cuda_templateIfEESt5tupleIJNS8_6TensorESD_SD_EERKSD_lbbbEUlllE1_EE10hipError_tPvRmT2_T3_mT4_P12ihipStream_tbEUlT_E_NS1_11comp_targetILNS1_3genE4ELNS1_11target_archE910ELNS1_3gpuE8ELNS1_3repE0EEENS1_30default_config_static_selectorELNS0_4arch9wavefront6targetE1EEEvT1_,comdat
.Lfunc_end931:
	.size	_ZN7rocprim17ROCPRIM_400000_NS6detail17trampoline_kernelINS0_14default_configENS1_35adjacent_difference_config_selectorILb1ElEEZNS1_24adjacent_difference_implIS3_Lb1ELb0EPlS7_ZN2at6native12_GLOBAL__N_124unique_dim_cuda_templateIfEESt5tupleIJNS8_6TensorESD_SD_EERKSD_lbbbEUlllE1_EE10hipError_tPvRmT2_T3_mT4_P12ihipStream_tbEUlT_E_NS1_11comp_targetILNS1_3genE4ELNS1_11target_archE910ELNS1_3gpuE8ELNS1_3repE0EEENS1_30default_config_static_selectorELNS0_4arch9wavefront6targetE1EEEvT1_, .Lfunc_end931-_ZN7rocprim17ROCPRIM_400000_NS6detail17trampoline_kernelINS0_14default_configENS1_35adjacent_difference_config_selectorILb1ElEEZNS1_24adjacent_difference_implIS3_Lb1ELb0EPlS7_ZN2at6native12_GLOBAL__N_124unique_dim_cuda_templateIfEESt5tupleIJNS8_6TensorESD_SD_EERKSD_lbbbEUlllE1_EE10hipError_tPvRmT2_T3_mT4_P12ihipStream_tbEUlT_E_NS1_11comp_targetILNS1_3genE4ELNS1_11target_archE910ELNS1_3gpuE8ELNS1_3repE0EEENS1_30default_config_static_selectorELNS0_4arch9wavefront6targetE1EEEvT1_
                                        ; -- End function
	.section	.AMDGPU.csdata,"",@progbits
; Kernel info:
; codeLenInByte = 0
; NumSgprs: 6
; NumVgprs: 0
; NumAgprs: 0
; TotalNumVgprs: 0
; ScratchSize: 0
; MemoryBound: 0
; FloatMode: 240
; IeeeMode: 1
; LDSByteSize: 0 bytes/workgroup (compile time only)
; SGPRBlocks: 0
; VGPRBlocks: 0
; NumSGPRsForWavesPerEU: 6
; NumVGPRsForWavesPerEU: 1
; AccumOffset: 4
; Occupancy: 8
; WaveLimiterHint : 0
; COMPUTE_PGM_RSRC2:SCRATCH_EN: 0
; COMPUTE_PGM_RSRC2:USER_SGPR: 2
; COMPUTE_PGM_RSRC2:TRAP_HANDLER: 0
; COMPUTE_PGM_RSRC2:TGID_X_EN: 1
; COMPUTE_PGM_RSRC2:TGID_Y_EN: 0
; COMPUTE_PGM_RSRC2:TGID_Z_EN: 0
; COMPUTE_PGM_RSRC2:TIDIG_COMP_CNT: 0
; COMPUTE_PGM_RSRC3_GFX90A:ACCUM_OFFSET: 0
; COMPUTE_PGM_RSRC3_GFX90A:TG_SPLIT: 0
	.section	.text._ZN7rocprim17ROCPRIM_400000_NS6detail17trampoline_kernelINS0_14default_configENS1_35adjacent_difference_config_selectorILb1ElEEZNS1_24adjacent_difference_implIS3_Lb1ELb0EPlS7_ZN2at6native12_GLOBAL__N_124unique_dim_cuda_templateIfEESt5tupleIJNS8_6TensorESD_SD_EERKSD_lbbbEUlllE1_EE10hipError_tPvRmT2_T3_mT4_P12ihipStream_tbEUlT_E_NS1_11comp_targetILNS1_3genE3ELNS1_11target_archE908ELNS1_3gpuE7ELNS1_3repE0EEENS1_30default_config_static_selectorELNS0_4arch9wavefront6targetE1EEEvT1_,"axG",@progbits,_ZN7rocprim17ROCPRIM_400000_NS6detail17trampoline_kernelINS0_14default_configENS1_35adjacent_difference_config_selectorILb1ElEEZNS1_24adjacent_difference_implIS3_Lb1ELb0EPlS7_ZN2at6native12_GLOBAL__N_124unique_dim_cuda_templateIfEESt5tupleIJNS8_6TensorESD_SD_EERKSD_lbbbEUlllE1_EE10hipError_tPvRmT2_T3_mT4_P12ihipStream_tbEUlT_E_NS1_11comp_targetILNS1_3genE3ELNS1_11target_archE908ELNS1_3gpuE7ELNS1_3repE0EEENS1_30default_config_static_selectorELNS0_4arch9wavefront6targetE1EEEvT1_,comdat
	.globl	_ZN7rocprim17ROCPRIM_400000_NS6detail17trampoline_kernelINS0_14default_configENS1_35adjacent_difference_config_selectorILb1ElEEZNS1_24adjacent_difference_implIS3_Lb1ELb0EPlS7_ZN2at6native12_GLOBAL__N_124unique_dim_cuda_templateIfEESt5tupleIJNS8_6TensorESD_SD_EERKSD_lbbbEUlllE1_EE10hipError_tPvRmT2_T3_mT4_P12ihipStream_tbEUlT_E_NS1_11comp_targetILNS1_3genE3ELNS1_11target_archE908ELNS1_3gpuE7ELNS1_3repE0EEENS1_30default_config_static_selectorELNS0_4arch9wavefront6targetE1EEEvT1_ ; -- Begin function _ZN7rocprim17ROCPRIM_400000_NS6detail17trampoline_kernelINS0_14default_configENS1_35adjacent_difference_config_selectorILb1ElEEZNS1_24adjacent_difference_implIS3_Lb1ELb0EPlS7_ZN2at6native12_GLOBAL__N_124unique_dim_cuda_templateIfEESt5tupleIJNS8_6TensorESD_SD_EERKSD_lbbbEUlllE1_EE10hipError_tPvRmT2_T3_mT4_P12ihipStream_tbEUlT_E_NS1_11comp_targetILNS1_3genE3ELNS1_11target_archE908ELNS1_3gpuE7ELNS1_3repE0EEENS1_30default_config_static_selectorELNS0_4arch9wavefront6targetE1EEEvT1_
	.p2align	8
	.type	_ZN7rocprim17ROCPRIM_400000_NS6detail17trampoline_kernelINS0_14default_configENS1_35adjacent_difference_config_selectorILb1ElEEZNS1_24adjacent_difference_implIS3_Lb1ELb0EPlS7_ZN2at6native12_GLOBAL__N_124unique_dim_cuda_templateIfEESt5tupleIJNS8_6TensorESD_SD_EERKSD_lbbbEUlllE1_EE10hipError_tPvRmT2_T3_mT4_P12ihipStream_tbEUlT_E_NS1_11comp_targetILNS1_3genE3ELNS1_11target_archE908ELNS1_3gpuE7ELNS1_3repE0EEENS1_30default_config_static_selectorELNS0_4arch9wavefront6targetE1EEEvT1_,@function
_ZN7rocprim17ROCPRIM_400000_NS6detail17trampoline_kernelINS0_14default_configENS1_35adjacent_difference_config_selectorILb1ElEEZNS1_24adjacent_difference_implIS3_Lb1ELb0EPlS7_ZN2at6native12_GLOBAL__N_124unique_dim_cuda_templateIfEESt5tupleIJNS8_6TensorESD_SD_EERKSD_lbbbEUlllE1_EE10hipError_tPvRmT2_T3_mT4_P12ihipStream_tbEUlT_E_NS1_11comp_targetILNS1_3genE3ELNS1_11target_archE908ELNS1_3gpuE7ELNS1_3repE0EEENS1_30default_config_static_selectorELNS0_4arch9wavefront6targetE1EEEvT1_: ; @_ZN7rocprim17ROCPRIM_400000_NS6detail17trampoline_kernelINS0_14default_configENS1_35adjacent_difference_config_selectorILb1ElEEZNS1_24adjacent_difference_implIS3_Lb1ELb0EPlS7_ZN2at6native12_GLOBAL__N_124unique_dim_cuda_templateIfEESt5tupleIJNS8_6TensorESD_SD_EERKSD_lbbbEUlllE1_EE10hipError_tPvRmT2_T3_mT4_P12ihipStream_tbEUlT_E_NS1_11comp_targetILNS1_3genE3ELNS1_11target_archE908ELNS1_3gpuE7ELNS1_3repE0EEENS1_30default_config_static_selectorELNS0_4arch9wavefront6targetE1EEEvT1_
; %bb.0:
	.section	.rodata,"a",@progbits
	.p2align	6, 0x0
	.amdhsa_kernel _ZN7rocprim17ROCPRIM_400000_NS6detail17trampoline_kernelINS0_14default_configENS1_35adjacent_difference_config_selectorILb1ElEEZNS1_24adjacent_difference_implIS3_Lb1ELb0EPlS7_ZN2at6native12_GLOBAL__N_124unique_dim_cuda_templateIfEESt5tupleIJNS8_6TensorESD_SD_EERKSD_lbbbEUlllE1_EE10hipError_tPvRmT2_T3_mT4_P12ihipStream_tbEUlT_E_NS1_11comp_targetILNS1_3genE3ELNS1_11target_archE908ELNS1_3gpuE7ELNS1_3repE0EEENS1_30default_config_static_selectorELNS0_4arch9wavefront6targetE1EEEvT1_
		.amdhsa_group_segment_fixed_size 0
		.amdhsa_private_segment_fixed_size 0
		.amdhsa_kernarg_size 64
		.amdhsa_user_sgpr_count 2
		.amdhsa_user_sgpr_dispatch_ptr 0
		.amdhsa_user_sgpr_queue_ptr 0
		.amdhsa_user_sgpr_kernarg_segment_ptr 1
		.amdhsa_user_sgpr_dispatch_id 0
		.amdhsa_user_sgpr_kernarg_preload_length 0
		.amdhsa_user_sgpr_kernarg_preload_offset 0
		.amdhsa_user_sgpr_private_segment_size 0
		.amdhsa_uses_dynamic_stack 0
		.amdhsa_enable_private_segment 0
		.amdhsa_system_sgpr_workgroup_id_x 1
		.amdhsa_system_sgpr_workgroup_id_y 0
		.amdhsa_system_sgpr_workgroup_id_z 0
		.amdhsa_system_sgpr_workgroup_info 0
		.amdhsa_system_vgpr_workitem_id 0
		.amdhsa_next_free_vgpr 1
		.amdhsa_next_free_sgpr 0
		.amdhsa_accum_offset 4
		.amdhsa_reserve_vcc 0
		.amdhsa_float_round_mode_32 0
		.amdhsa_float_round_mode_16_64 0
		.amdhsa_float_denorm_mode_32 3
		.amdhsa_float_denorm_mode_16_64 3
		.amdhsa_dx10_clamp 1
		.amdhsa_ieee_mode 1
		.amdhsa_fp16_overflow 0
		.amdhsa_tg_split 0
		.amdhsa_exception_fp_ieee_invalid_op 0
		.amdhsa_exception_fp_denorm_src 0
		.amdhsa_exception_fp_ieee_div_zero 0
		.amdhsa_exception_fp_ieee_overflow 0
		.amdhsa_exception_fp_ieee_underflow 0
		.amdhsa_exception_fp_ieee_inexact 0
		.amdhsa_exception_int_div_zero 0
	.end_amdhsa_kernel
	.section	.text._ZN7rocprim17ROCPRIM_400000_NS6detail17trampoline_kernelINS0_14default_configENS1_35adjacent_difference_config_selectorILb1ElEEZNS1_24adjacent_difference_implIS3_Lb1ELb0EPlS7_ZN2at6native12_GLOBAL__N_124unique_dim_cuda_templateIfEESt5tupleIJNS8_6TensorESD_SD_EERKSD_lbbbEUlllE1_EE10hipError_tPvRmT2_T3_mT4_P12ihipStream_tbEUlT_E_NS1_11comp_targetILNS1_3genE3ELNS1_11target_archE908ELNS1_3gpuE7ELNS1_3repE0EEENS1_30default_config_static_selectorELNS0_4arch9wavefront6targetE1EEEvT1_,"axG",@progbits,_ZN7rocprim17ROCPRIM_400000_NS6detail17trampoline_kernelINS0_14default_configENS1_35adjacent_difference_config_selectorILb1ElEEZNS1_24adjacent_difference_implIS3_Lb1ELb0EPlS7_ZN2at6native12_GLOBAL__N_124unique_dim_cuda_templateIfEESt5tupleIJNS8_6TensorESD_SD_EERKSD_lbbbEUlllE1_EE10hipError_tPvRmT2_T3_mT4_P12ihipStream_tbEUlT_E_NS1_11comp_targetILNS1_3genE3ELNS1_11target_archE908ELNS1_3gpuE7ELNS1_3repE0EEENS1_30default_config_static_selectorELNS0_4arch9wavefront6targetE1EEEvT1_,comdat
.Lfunc_end932:
	.size	_ZN7rocprim17ROCPRIM_400000_NS6detail17trampoline_kernelINS0_14default_configENS1_35adjacent_difference_config_selectorILb1ElEEZNS1_24adjacent_difference_implIS3_Lb1ELb0EPlS7_ZN2at6native12_GLOBAL__N_124unique_dim_cuda_templateIfEESt5tupleIJNS8_6TensorESD_SD_EERKSD_lbbbEUlllE1_EE10hipError_tPvRmT2_T3_mT4_P12ihipStream_tbEUlT_E_NS1_11comp_targetILNS1_3genE3ELNS1_11target_archE908ELNS1_3gpuE7ELNS1_3repE0EEENS1_30default_config_static_selectorELNS0_4arch9wavefront6targetE1EEEvT1_, .Lfunc_end932-_ZN7rocprim17ROCPRIM_400000_NS6detail17trampoline_kernelINS0_14default_configENS1_35adjacent_difference_config_selectorILb1ElEEZNS1_24adjacent_difference_implIS3_Lb1ELb0EPlS7_ZN2at6native12_GLOBAL__N_124unique_dim_cuda_templateIfEESt5tupleIJNS8_6TensorESD_SD_EERKSD_lbbbEUlllE1_EE10hipError_tPvRmT2_T3_mT4_P12ihipStream_tbEUlT_E_NS1_11comp_targetILNS1_3genE3ELNS1_11target_archE908ELNS1_3gpuE7ELNS1_3repE0EEENS1_30default_config_static_selectorELNS0_4arch9wavefront6targetE1EEEvT1_
                                        ; -- End function
	.section	.AMDGPU.csdata,"",@progbits
; Kernel info:
; codeLenInByte = 0
; NumSgprs: 6
; NumVgprs: 0
; NumAgprs: 0
; TotalNumVgprs: 0
; ScratchSize: 0
; MemoryBound: 0
; FloatMode: 240
; IeeeMode: 1
; LDSByteSize: 0 bytes/workgroup (compile time only)
; SGPRBlocks: 0
; VGPRBlocks: 0
; NumSGPRsForWavesPerEU: 6
; NumVGPRsForWavesPerEU: 1
; AccumOffset: 4
; Occupancy: 8
; WaveLimiterHint : 0
; COMPUTE_PGM_RSRC2:SCRATCH_EN: 0
; COMPUTE_PGM_RSRC2:USER_SGPR: 2
; COMPUTE_PGM_RSRC2:TRAP_HANDLER: 0
; COMPUTE_PGM_RSRC2:TGID_X_EN: 1
; COMPUTE_PGM_RSRC2:TGID_Y_EN: 0
; COMPUTE_PGM_RSRC2:TGID_Z_EN: 0
; COMPUTE_PGM_RSRC2:TIDIG_COMP_CNT: 0
; COMPUTE_PGM_RSRC3_GFX90A:ACCUM_OFFSET: 0
; COMPUTE_PGM_RSRC3_GFX90A:TG_SPLIT: 0
	.section	.text._ZN7rocprim17ROCPRIM_400000_NS6detail17trampoline_kernelINS0_14default_configENS1_35adjacent_difference_config_selectorILb1ElEEZNS1_24adjacent_difference_implIS3_Lb1ELb0EPlS7_ZN2at6native12_GLOBAL__N_124unique_dim_cuda_templateIfEESt5tupleIJNS8_6TensorESD_SD_EERKSD_lbbbEUlllE1_EE10hipError_tPvRmT2_T3_mT4_P12ihipStream_tbEUlT_E_NS1_11comp_targetILNS1_3genE2ELNS1_11target_archE906ELNS1_3gpuE6ELNS1_3repE0EEENS1_30default_config_static_selectorELNS0_4arch9wavefront6targetE1EEEvT1_,"axG",@progbits,_ZN7rocprim17ROCPRIM_400000_NS6detail17trampoline_kernelINS0_14default_configENS1_35adjacent_difference_config_selectorILb1ElEEZNS1_24adjacent_difference_implIS3_Lb1ELb0EPlS7_ZN2at6native12_GLOBAL__N_124unique_dim_cuda_templateIfEESt5tupleIJNS8_6TensorESD_SD_EERKSD_lbbbEUlllE1_EE10hipError_tPvRmT2_T3_mT4_P12ihipStream_tbEUlT_E_NS1_11comp_targetILNS1_3genE2ELNS1_11target_archE906ELNS1_3gpuE6ELNS1_3repE0EEENS1_30default_config_static_selectorELNS0_4arch9wavefront6targetE1EEEvT1_,comdat
	.globl	_ZN7rocprim17ROCPRIM_400000_NS6detail17trampoline_kernelINS0_14default_configENS1_35adjacent_difference_config_selectorILb1ElEEZNS1_24adjacent_difference_implIS3_Lb1ELb0EPlS7_ZN2at6native12_GLOBAL__N_124unique_dim_cuda_templateIfEESt5tupleIJNS8_6TensorESD_SD_EERKSD_lbbbEUlllE1_EE10hipError_tPvRmT2_T3_mT4_P12ihipStream_tbEUlT_E_NS1_11comp_targetILNS1_3genE2ELNS1_11target_archE906ELNS1_3gpuE6ELNS1_3repE0EEENS1_30default_config_static_selectorELNS0_4arch9wavefront6targetE1EEEvT1_ ; -- Begin function _ZN7rocprim17ROCPRIM_400000_NS6detail17trampoline_kernelINS0_14default_configENS1_35adjacent_difference_config_selectorILb1ElEEZNS1_24adjacent_difference_implIS3_Lb1ELb0EPlS7_ZN2at6native12_GLOBAL__N_124unique_dim_cuda_templateIfEESt5tupleIJNS8_6TensorESD_SD_EERKSD_lbbbEUlllE1_EE10hipError_tPvRmT2_T3_mT4_P12ihipStream_tbEUlT_E_NS1_11comp_targetILNS1_3genE2ELNS1_11target_archE906ELNS1_3gpuE6ELNS1_3repE0EEENS1_30default_config_static_selectorELNS0_4arch9wavefront6targetE1EEEvT1_
	.p2align	8
	.type	_ZN7rocprim17ROCPRIM_400000_NS6detail17trampoline_kernelINS0_14default_configENS1_35adjacent_difference_config_selectorILb1ElEEZNS1_24adjacent_difference_implIS3_Lb1ELb0EPlS7_ZN2at6native12_GLOBAL__N_124unique_dim_cuda_templateIfEESt5tupleIJNS8_6TensorESD_SD_EERKSD_lbbbEUlllE1_EE10hipError_tPvRmT2_T3_mT4_P12ihipStream_tbEUlT_E_NS1_11comp_targetILNS1_3genE2ELNS1_11target_archE906ELNS1_3gpuE6ELNS1_3repE0EEENS1_30default_config_static_selectorELNS0_4arch9wavefront6targetE1EEEvT1_,@function
_ZN7rocprim17ROCPRIM_400000_NS6detail17trampoline_kernelINS0_14default_configENS1_35adjacent_difference_config_selectorILb1ElEEZNS1_24adjacent_difference_implIS3_Lb1ELb0EPlS7_ZN2at6native12_GLOBAL__N_124unique_dim_cuda_templateIfEESt5tupleIJNS8_6TensorESD_SD_EERKSD_lbbbEUlllE1_EE10hipError_tPvRmT2_T3_mT4_P12ihipStream_tbEUlT_E_NS1_11comp_targetILNS1_3genE2ELNS1_11target_archE906ELNS1_3gpuE6ELNS1_3repE0EEENS1_30default_config_static_selectorELNS0_4arch9wavefront6targetE1EEEvT1_: ; @_ZN7rocprim17ROCPRIM_400000_NS6detail17trampoline_kernelINS0_14default_configENS1_35adjacent_difference_config_selectorILb1ElEEZNS1_24adjacent_difference_implIS3_Lb1ELb0EPlS7_ZN2at6native12_GLOBAL__N_124unique_dim_cuda_templateIfEESt5tupleIJNS8_6TensorESD_SD_EERKSD_lbbbEUlllE1_EE10hipError_tPvRmT2_T3_mT4_P12ihipStream_tbEUlT_E_NS1_11comp_targetILNS1_3genE2ELNS1_11target_archE906ELNS1_3gpuE6ELNS1_3repE0EEENS1_30default_config_static_selectorELNS0_4arch9wavefront6targetE1EEEvT1_
; %bb.0:
	.section	.rodata,"a",@progbits
	.p2align	6, 0x0
	.amdhsa_kernel _ZN7rocprim17ROCPRIM_400000_NS6detail17trampoline_kernelINS0_14default_configENS1_35adjacent_difference_config_selectorILb1ElEEZNS1_24adjacent_difference_implIS3_Lb1ELb0EPlS7_ZN2at6native12_GLOBAL__N_124unique_dim_cuda_templateIfEESt5tupleIJNS8_6TensorESD_SD_EERKSD_lbbbEUlllE1_EE10hipError_tPvRmT2_T3_mT4_P12ihipStream_tbEUlT_E_NS1_11comp_targetILNS1_3genE2ELNS1_11target_archE906ELNS1_3gpuE6ELNS1_3repE0EEENS1_30default_config_static_selectorELNS0_4arch9wavefront6targetE1EEEvT1_
		.amdhsa_group_segment_fixed_size 0
		.amdhsa_private_segment_fixed_size 0
		.amdhsa_kernarg_size 64
		.amdhsa_user_sgpr_count 2
		.amdhsa_user_sgpr_dispatch_ptr 0
		.amdhsa_user_sgpr_queue_ptr 0
		.amdhsa_user_sgpr_kernarg_segment_ptr 1
		.amdhsa_user_sgpr_dispatch_id 0
		.amdhsa_user_sgpr_kernarg_preload_length 0
		.amdhsa_user_sgpr_kernarg_preload_offset 0
		.amdhsa_user_sgpr_private_segment_size 0
		.amdhsa_uses_dynamic_stack 0
		.amdhsa_enable_private_segment 0
		.amdhsa_system_sgpr_workgroup_id_x 1
		.amdhsa_system_sgpr_workgroup_id_y 0
		.amdhsa_system_sgpr_workgroup_id_z 0
		.amdhsa_system_sgpr_workgroup_info 0
		.amdhsa_system_vgpr_workitem_id 0
		.amdhsa_next_free_vgpr 1
		.amdhsa_next_free_sgpr 0
		.amdhsa_accum_offset 4
		.amdhsa_reserve_vcc 0
		.amdhsa_float_round_mode_32 0
		.amdhsa_float_round_mode_16_64 0
		.amdhsa_float_denorm_mode_32 3
		.amdhsa_float_denorm_mode_16_64 3
		.amdhsa_dx10_clamp 1
		.amdhsa_ieee_mode 1
		.amdhsa_fp16_overflow 0
		.amdhsa_tg_split 0
		.amdhsa_exception_fp_ieee_invalid_op 0
		.amdhsa_exception_fp_denorm_src 0
		.amdhsa_exception_fp_ieee_div_zero 0
		.amdhsa_exception_fp_ieee_overflow 0
		.amdhsa_exception_fp_ieee_underflow 0
		.amdhsa_exception_fp_ieee_inexact 0
		.amdhsa_exception_int_div_zero 0
	.end_amdhsa_kernel
	.section	.text._ZN7rocprim17ROCPRIM_400000_NS6detail17trampoline_kernelINS0_14default_configENS1_35adjacent_difference_config_selectorILb1ElEEZNS1_24adjacent_difference_implIS3_Lb1ELb0EPlS7_ZN2at6native12_GLOBAL__N_124unique_dim_cuda_templateIfEESt5tupleIJNS8_6TensorESD_SD_EERKSD_lbbbEUlllE1_EE10hipError_tPvRmT2_T3_mT4_P12ihipStream_tbEUlT_E_NS1_11comp_targetILNS1_3genE2ELNS1_11target_archE906ELNS1_3gpuE6ELNS1_3repE0EEENS1_30default_config_static_selectorELNS0_4arch9wavefront6targetE1EEEvT1_,"axG",@progbits,_ZN7rocprim17ROCPRIM_400000_NS6detail17trampoline_kernelINS0_14default_configENS1_35adjacent_difference_config_selectorILb1ElEEZNS1_24adjacent_difference_implIS3_Lb1ELb0EPlS7_ZN2at6native12_GLOBAL__N_124unique_dim_cuda_templateIfEESt5tupleIJNS8_6TensorESD_SD_EERKSD_lbbbEUlllE1_EE10hipError_tPvRmT2_T3_mT4_P12ihipStream_tbEUlT_E_NS1_11comp_targetILNS1_3genE2ELNS1_11target_archE906ELNS1_3gpuE6ELNS1_3repE0EEENS1_30default_config_static_selectorELNS0_4arch9wavefront6targetE1EEEvT1_,comdat
.Lfunc_end933:
	.size	_ZN7rocprim17ROCPRIM_400000_NS6detail17trampoline_kernelINS0_14default_configENS1_35adjacent_difference_config_selectorILb1ElEEZNS1_24adjacent_difference_implIS3_Lb1ELb0EPlS7_ZN2at6native12_GLOBAL__N_124unique_dim_cuda_templateIfEESt5tupleIJNS8_6TensorESD_SD_EERKSD_lbbbEUlllE1_EE10hipError_tPvRmT2_T3_mT4_P12ihipStream_tbEUlT_E_NS1_11comp_targetILNS1_3genE2ELNS1_11target_archE906ELNS1_3gpuE6ELNS1_3repE0EEENS1_30default_config_static_selectorELNS0_4arch9wavefront6targetE1EEEvT1_, .Lfunc_end933-_ZN7rocprim17ROCPRIM_400000_NS6detail17trampoline_kernelINS0_14default_configENS1_35adjacent_difference_config_selectorILb1ElEEZNS1_24adjacent_difference_implIS3_Lb1ELb0EPlS7_ZN2at6native12_GLOBAL__N_124unique_dim_cuda_templateIfEESt5tupleIJNS8_6TensorESD_SD_EERKSD_lbbbEUlllE1_EE10hipError_tPvRmT2_T3_mT4_P12ihipStream_tbEUlT_E_NS1_11comp_targetILNS1_3genE2ELNS1_11target_archE906ELNS1_3gpuE6ELNS1_3repE0EEENS1_30default_config_static_selectorELNS0_4arch9wavefront6targetE1EEEvT1_
                                        ; -- End function
	.section	.AMDGPU.csdata,"",@progbits
; Kernel info:
; codeLenInByte = 0
; NumSgprs: 6
; NumVgprs: 0
; NumAgprs: 0
; TotalNumVgprs: 0
; ScratchSize: 0
; MemoryBound: 0
; FloatMode: 240
; IeeeMode: 1
; LDSByteSize: 0 bytes/workgroup (compile time only)
; SGPRBlocks: 0
; VGPRBlocks: 0
; NumSGPRsForWavesPerEU: 6
; NumVGPRsForWavesPerEU: 1
; AccumOffset: 4
; Occupancy: 8
; WaveLimiterHint : 0
; COMPUTE_PGM_RSRC2:SCRATCH_EN: 0
; COMPUTE_PGM_RSRC2:USER_SGPR: 2
; COMPUTE_PGM_RSRC2:TRAP_HANDLER: 0
; COMPUTE_PGM_RSRC2:TGID_X_EN: 1
; COMPUTE_PGM_RSRC2:TGID_Y_EN: 0
; COMPUTE_PGM_RSRC2:TGID_Z_EN: 0
; COMPUTE_PGM_RSRC2:TIDIG_COMP_CNT: 0
; COMPUTE_PGM_RSRC3_GFX90A:ACCUM_OFFSET: 0
; COMPUTE_PGM_RSRC3_GFX90A:TG_SPLIT: 0
	.section	.text._ZN7rocprim17ROCPRIM_400000_NS6detail17trampoline_kernelINS0_14default_configENS1_35adjacent_difference_config_selectorILb1ElEEZNS1_24adjacent_difference_implIS3_Lb1ELb0EPlS7_ZN2at6native12_GLOBAL__N_124unique_dim_cuda_templateIfEESt5tupleIJNS8_6TensorESD_SD_EERKSD_lbbbEUlllE1_EE10hipError_tPvRmT2_T3_mT4_P12ihipStream_tbEUlT_E_NS1_11comp_targetILNS1_3genE9ELNS1_11target_archE1100ELNS1_3gpuE3ELNS1_3repE0EEENS1_30default_config_static_selectorELNS0_4arch9wavefront6targetE1EEEvT1_,"axG",@progbits,_ZN7rocprim17ROCPRIM_400000_NS6detail17trampoline_kernelINS0_14default_configENS1_35adjacent_difference_config_selectorILb1ElEEZNS1_24adjacent_difference_implIS3_Lb1ELb0EPlS7_ZN2at6native12_GLOBAL__N_124unique_dim_cuda_templateIfEESt5tupleIJNS8_6TensorESD_SD_EERKSD_lbbbEUlllE1_EE10hipError_tPvRmT2_T3_mT4_P12ihipStream_tbEUlT_E_NS1_11comp_targetILNS1_3genE9ELNS1_11target_archE1100ELNS1_3gpuE3ELNS1_3repE0EEENS1_30default_config_static_selectorELNS0_4arch9wavefront6targetE1EEEvT1_,comdat
	.globl	_ZN7rocprim17ROCPRIM_400000_NS6detail17trampoline_kernelINS0_14default_configENS1_35adjacent_difference_config_selectorILb1ElEEZNS1_24adjacent_difference_implIS3_Lb1ELb0EPlS7_ZN2at6native12_GLOBAL__N_124unique_dim_cuda_templateIfEESt5tupleIJNS8_6TensorESD_SD_EERKSD_lbbbEUlllE1_EE10hipError_tPvRmT2_T3_mT4_P12ihipStream_tbEUlT_E_NS1_11comp_targetILNS1_3genE9ELNS1_11target_archE1100ELNS1_3gpuE3ELNS1_3repE0EEENS1_30default_config_static_selectorELNS0_4arch9wavefront6targetE1EEEvT1_ ; -- Begin function _ZN7rocprim17ROCPRIM_400000_NS6detail17trampoline_kernelINS0_14default_configENS1_35adjacent_difference_config_selectorILb1ElEEZNS1_24adjacent_difference_implIS3_Lb1ELb0EPlS7_ZN2at6native12_GLOBAL__N_124unique_dim_cuda_templateIfEESt5tupleIJNS8_6TensorESD_SD_EERKSD_lbbbEUlllE1_EE10hipError_tPvRmT2_T3_mT4_P12ihipStream_tbEUlT_E_NS1_11comp_targetILNS1_3genE9ELNS1_11target_archE1100ELNS1_3gpuE3ELNS1_3repE0EEENS1_30default_config_static_selectorELNS0_4arch9wavefront6targetE1EEEvT1_
	.p2align	8
	.type	_ZN7rocprim17ROCPRIM_400000_NS6detail17trampoline_kernelINS0_14default_configENS1_35adjacent_difference_config_selectorILb1ElEEZNS1_24adjacent_difference_implIS3_Lb1ELb0EPlS7_ZN2at6native12_GLOBAL__N_124unique_dim_cuda_templateIfEESt5tupleIJNS8_6TensorESD_SD_EERKSD_lbbbEUlllE1_EE10hipError_tPvRmT2_T3_mT4_P12ihipStream_tbEUlT_E_NS1_11comp_targetILNS1_3genE9ELNS1_11target_archE1100ELNS1_3gpuE3ELNS1_3repE0EEENS1_30default_config_static_selectorELNS0_4arch9wavefront6targetE1EEEvT1_,@function
_ZN7rocprim17ROCPRIM_400000_NS6detail17trampoline_kernelINS0_14default_configENS1_35adjacent_difference_config_selectorILb1ElEEZNS1_24adjacent_difference_implIS3_Lb1ELb0EPlS7_ZN2at6native12_GLOBAL__N_124unique_dim_cuda_templateIfEESt5tupleIJNS8_6TensorESD_SD_EERKSD_lbbbEUlllE1_EE10hipError_tPvRmT2_T3_mT4_P12ihipStream_tbEUlT_E_NS1_11comp_targetILNS1_3genE9ELNS1_11target_archE1100ELNS1_3gpuE3ELNS1_3repE0EEENS1_30default_config_static_selectorELNS0_4arch9wavefront6targetE1EEEvT1_: ; @_ZN7rocprim17ROCPRIM_400000_NS6detail17trampoline_kernelINS0_14default_configENS1_35adjacent_difference_config_selectorILb1ElEEZNS1_24adjacent_difference_implIS3_Lb1ELb0EPlS7_ZN2at6native12_GLOBAL__N_124unique_dim_cuda_templateIfEESt5tupleIJNS8_6TensorESD_SD_EERKSD_lbbbEUlllE1_EE10hipError_tPvRmT2_T3_mT4_P12ihipStream_tbEUlT_E_NS1_11comp_targetILNS1_3genE9ELNS1_11target_archE1100ELNS1_3gpuE3ELNS1_3repE0EEENS1_30default_config_static_selectorELNS0_4arch9wavefront6targetE1EEEvT1_
; %bb.0:
	.section	.rodata,"a",@progbits
	.p2align	6, 0x0
	.amdhsa_kernel _ZN7rocprim17ROCPRIM_400000_NS6detail17trampoline_kernelINS0_14default_configENS1_35adjacent_difference_config_selectorILb1ElEEZNS1_24adjacent_difference_implIS3_Lb1ELb0EPlS7_ZN2at6native12_GLOBAL__N_124unique_dim_cuda_templateIfEESt5tupleIJNS8_6TensorESD_SD_EERKSD_lbbbEUlllE1_EE10hipError_tPvRmT2_T3_mT4_P12ihipStream_tbEUlT_E_NS1_11comp_targetILNS1_3genE9ELNS1_11target_archE1100ELNS1_3gpuE3ELNS1_3repE0EEENS1_30default_config_static_selectorELNS0_4arch9wavefront6targetE1EEEvT1_
		.amdhsa_group_segment_fixed_size 0
		.amdhsa_private_segment_fixed_size 0
		.amdhsa_kernarg_size 64
		.amdhsa_user_sgpr_count 2
		.amdhsa_user_sgpr_dispatch_ptr 0
		.amdhsa_user_sgpr_queue_ptr 0
		.amdhsa_user_sgpr_kernarg_segment_ptr 1
		.amdhsa_user_sgpr_dispatch_id 0
		.amdhsa_user_sgpr_kernarg_preload_length 0
		.amdhsa_user_sgpr_kernarg_preload_offset 0
		.amdhsa_user_sgpr_private_segment_size 0
		.amdhsa_uses_dynamic_stack 0
		.amdhsa_enable_private_segment 0
		.amdhsa_system_sgpr_workgroup_id_x 1
		.amdhsa_system_sgpr_workgroup_id_y 0
		.amdhsa_system_sgpr_workgroup_id_z 0
		.amdhsa_system_sgpr_workgroup_info 0
		.amdhsa_system_vgpr_workitem_id 0
		.amdhsa_next_free_vgpr 1
		.amdhsa_next_free_sgpr 0
		.amdhsa_accum_offset 4
		.amdhsa_reserve_vcc 0
		.amdhsa_float_round_mode_32 0
		.amdhsa_float_round_mode_16_64 0
		.amdhsa_float_denorm_mode_32 3
		.amdhsa_float_denorm_mode_16_64 3
		.amdhsa_dx10_clamp 1
		.amdhsa_ieee_mode 1
		.amdhsa_fp16_overflow 0
		.amdhsa_tg_split 0
		.amdhsa_exception_fp_ieee_invalid_op 0
		.amdhsa_exception_fp_denorm_src 0
		.amdhsa_exception_fp_ieee_div_zero 0
		.amdhsa_exception_fp_ieee_overflow 0
		.amdhsa_exception_fp_ieee_underflow 0
		.amdhsa_exception_fp_ieee_inexact 0
		.amdhsa_exception_int_div_zero 0
	.end_amdhsa_kernel
	.section	.text._ZN7rocprim17ROCPRIM_400000_NS6detail17trampoline_kernelINS0_14default_configENS1_35adjacent_difference_config_selectorILb1ElEEZNS1_24adjacent_difference_implIS3_Lb1ELb0EPlS7_ZN2at6native12_GLOBAL__N_124unique_dim_cuda_templateIfEESt5tupleIJNS8_6TensorESD_SD_EERKSD_lbbbEUlllE1_EE10hipError_tPvRmT2_T3_mT4_P12ihipStream_tbEUlT_E_NS1_11comp_targetILNS1_3genE9ELNS1_11target_archE1100ELNS1_3gpuE3ELNS1_3repE0EEENS1_30default_config_static_selectorELNS0_4arch9wavefront6targetE1EEEvT1_,"axG",@progbits,_ZN7rocprim17ROCPRIM_400000_NS6detail17trampoline_kernelINS0_14default_configENS1_35adjacent_difference_config_selectorILb1ElEEZNS1_24adjacent_difference_implIS3_Lb1ELb0EPlS7_ZN2at6native12_GLOBAL__N_124unique_dim_cuda_templateIfEESt5tupleIJNS8_6TensorESD_SD_EERKSD_lbbbEUlllE1_EE10hipError_tPvRmT2_T3_mT4_P12ihipStream_tbEUlT_E_NS1_11comp_targetILNS1_3genE9ELNS1_11target_archE1100ELNS1_3gpuE3ELNS1_3repE0EEENS1_30default_config_static_selectorELNS0_4arch9wavefront6targetE1EEEvT1_,comdat
.Lfunc_end934:
	.size	_ZN7rocprim17ROCPRIM_400000_NS6detail17trampoline_kernelINS0_14default_configENS1_35adjacent_difference_config_selectorILb1ElEEZNS1_24adjacent_difference_implIS3_Lb1ELb0EPlS7_ZN2at6native12_GLOBAL__N_124unique_dim_cuda_templateIfEESt5tupleIJNS8_6TensorESD_SD_EERKSD_lbbbEUlllE1_EE10hipError_tPvRmT2_T3_mT4_P12ihipStream_tbEUlT_E_NS1_11comp_targetILNS1_3genE9ELNS1_11target_archE1100ELNS1_3gpuE3ELNS1_3repE0EEENS1_30default_config_static_selectorELNS0_4arch9wavefront6targetE1EEEvT1_, .Lfunc_end934-_ZN7rocprim17ROCPRIM_400000_NS6detail17trampoline_kernelINS0_14default_configENS1_35adjacent_difference_config_selectorILb1ElEEZNS1_24adjacent_difference_implIS3_Lb1ELb0EPlS7_ZN2at6native12_GLOBAL__N_124unique_dim_cuda_templateIfEESt5tupleIJNS8_6TensorESD_SD_EERKSD_lbbbEUlllE1_EE10hipError_tPvRmT2_T3_mT4_P12ihipStream_tbEUlT_E_NS1_11comp_targetILNS1_3genE9ELNS1_11target_archE1100ELNS1_3gpuE3ELNS1_3repE0EEENS1_30default_config_static_selectorELNS0_4arch9wavefront6targetE1EEEvT1_
                                        ; -- End function
	.section	.AMDGPU.csdata,"",@progbits
; Kernel info:
; codeLenInByte = 0
; NumSgprs: 6
; NumVgprs: 0
; NumAgprs: 0
; TotalNumVgprs: 0
; ScratchSize: 0
; MemoryBound: 0
; FloatMode: 240
; IeeeMode: 1
; LDSByteSize: 0 bytes/workgroup (compile time only)
; SGPRBlocks: 0
; VGPRBlocks: 0
; NumSGPRsForWavesPerEU: 6
; NumVGPRsForWavesPerEU: 1
; AccumOffset: 4
; Occupancy: 8
; WaveLimiterHint : 0
; COMPUTE_PGM_RSRC2:SCRATCH_EN: 0
; COMPUTE_PGM_RSRC2:USER_SGPR: 2
; COMPUTE_PGM_RSRC2:TRAP_HANDLER: 0
; COMPUTE_PGM_RSRC2:TGID_X_EN: 1
; COMPUTE_PGM_RSRC2:TGID_Y_EN: 0
; COMPUTE_PGM_RSRC2:TGID_Z_EN: 0
; COMPUTE_PGM_RSRC2:TIDIG_COMP_CNT: 0
; COMPUTE_PGM_RSRC3_GFX90A:ACCUM_OFFSET: 0
; COMPUTE_PGM_RSRC3_GFX90A:TG_SPLIT: 0
	.section	.text._ZN7rocprim17ROCPRIM_400000_NS6detail17trampoline_kernelINS0_14default_configENS1_35adjacent_difference_config_selectorILb1ElEEZNS1_24adjacent_difference_implIS3_Lb1ELb0EPlS7_ZN2at6native12_GLOBAL__N_124unique_dim_cuda_templateIfEESt5tupleIJNS8_6TensorESD_SD_EERKSD_lbbbEUlllE1_EE10hipError_tPvRmT2_T3_mT4_P12ihipStream_tbEUlT_E_NS1_11comp_targetILNS1_3genE8ELNS1_11target_archE1030ELNS1_3gpuE2ELNS1_3repE0EEENS1_30default_config_static_selectorELNS0_4arch9wavefront6targetE1EEEvT1_,"axG",@progbits,_ZN7rocprim17ROCPRIM_400000_NS6detail17trampoline_kernelINS0_14default_configENS1_35adjacent_difference_config_selectorILb1ElEEZNS1_24adjacent_difference_implIS3_Lb1ELb0EPlS7_ZN2at6native12_GLOBAL__N_124unique_dim_cuda_templateIfEESt5tupleIJNS8_6TensorESD_SD_EERKSD_lbbbEUlllE1_EE10hipError_tPvRmT2_T3_mT4_P12ihipStream_tbEUlT_E_NS1_11comp_targetILNS1_3genE8ELNS1_11target_archE1030ELNS1_3gpuE2ELNS1_3repE0EEENS1_30default_config_static_selectorELNS0_4arch9wavefront6targetE1EEEvT1_,comdat
	.globl	_ZN7rocprim17ROCPRIM_400000_NS6detail17trampoline_kernelINS0_14default_configENS1_35adjacent_difference_config_selectorILb1ElEEZNS1_24adjacent_difference_implIS3_Lb1ELb0EPlS7_ZN2at6native12_GLOBAL__N_124unique_dim_cuda_templateIfEESt5tupleIJNS8_6TensorESD_SD_EERKSD_lbbbEUlllE1_EE10hipError_tPvRmT2_T3_mT4_P12ihipStream_tbEUlT_E_NS1_11comp_targetILNS1_3genE8ELNS1_11target_archE1030ELNS1_3gpuE2ELNS1_3repE0EEENS1_30default_config_static_selectorELNS0_4arch9wavefront6targetE1EEEvT1_ ; -- Begin function _ZN7rocprim17ROCPRIM_400000_NS6detail17trampoline_kernelINS0_14default_configENS1_35adjacent_difference_config_selectorILb1ElEEZNS1_24adjacent_difference_implIS3_Lb1ELb0EPlS7_ZN2at6native12_GLOBAL__N_124unique_dim_cuda_templateIfEESt5tupleIJNS8_6TensorESD_SD_EERKSD_lbbbEUlllE1_EE10hipError_tPvRmT2_T3_mT4_P12ihipStream_tbEUlT_E_NS1_11comp_targetILNS1_3genE8ELNS1_11target_archE1030ELNS1_3gpuE2ELNS1_3repE0EEENS1_30default_config_static_selectorELNS0_4arch9wavefront6targetE1EEEvT1_
	.p2align	8
	.type	_ZN7rocprim17ROCPRIM_400000_NS6detail17trampoline_kernelINS0_14default_configENS1_35adjacent_difference_config_selectorILb1ElEEZNS1_24adjacent_difference_implIS3_Lb1ELb0EPlS7_ZN2at6native12_GLOBAL__N_124unique_dim_cuda_templateIfEESt5tupleIJNS8_6TensorESD_SD_EERKSD_lbbbEUlllE1_EE10hipError_tPvRmT2_T3_mT4_P12ihipStream_tbEUlT_E_NS1_11comp_targetILNS1_3genE8ELNS1_11target_archE1030ELNS1_3gpuE2ELNS1_3repE0EEENS1_30default_config_static_selectorELNS0_4arch9wavefront6targetE1EEEvT1_,@function
_ZN7rocprim17ROCPRIM_400000_NS6detail17trampoline_kernelINS0_14default_configENS1_35adjacent_difference_config_selectorILb1ElEEZNS1_24adjacent_difference_implIS3_Lb1ELb0EPlS7_ZN2at6native12_GLOBAL__N_124unique_dim_cuda_templateIfEESt5tupleIJNS8_6TensorESD_SD_EERKSD_lbbbEUlllE1_EE10hipError_tPvRmT2_T3_mT4_P12ihipStream_tbEUlT_E_NS1_11comp_targetILNS1_3genE8ELNS1_11target_archE1030ELNS1_3gpuE2ELNS1_3repE0EEENS1_30default_config_static_selectorELNS0_4arch9wavefront6targetE1EEEvT1_: ; @_ZN7rocprim17ROCPRIM_400000_NS6detail17trampoline_kernelINS0_14default_configENS1_35adjacent_difference_config_selectorILb1ElEEZNS1_24adjacent_difference_implIS3_Lb1ELb0EPlS7_ZN2at6native12_GLOBAL__N_124unique_dim_cuda_templateIfEESt5tupleIJNS8_6TensorESD_SD_EERKSD_lbbbEUlllE1_EE10hipError_tPvRmT2_T3_mT4_P12ihipStream_tbEUlT_E_NS1_11comp_targetILNS1_3genE8ELNS1_11target_archE1030ELNS1_3gpuE2ELNS1_3repE0EEENS1_30default_config_static_selectorELNS0_4arch9wavefront6targetE1EEEvT1_
; %bb.0:
	.section	.rodata,"a",@progbits
	.p2align	6, 0x0
	.amdhsa_kernel _ZN7rocprim17ROCPRIM_400000_NS6detail17trampoline_kernelINS0_14default_configENS1_35adjacent_difference_config_selectorILb1ElEEZNS1_24adjacent_difference_implIS3_Lb1ELb0EPlS7_ZN2at6native12_GLOBAL__N_124unique_dim_cuda_templateIfEESt5tupleIJNS8_6TensorESD_SD_EERKSD_lbbbEUlllE1_EE10hipError_tPvRmT2_T3_mT4_P12ihipStream_tbEUlT_E_NS1_11comp_targetILNS1_3genE8ELNS1_11target_archE1030ELNS1_3gpuE2ELNS1_3repE0EEENS1_30default_config_static_selectorELNS0_4arch9wavefront6targetE1EEEvT1_
		.amdhsa_group_segment_fixed_size 0
		.amdhsa_private_segment_fixed_size 0
		.amdhsa_kernarg_size 64
		.amdhsa_user_sgpr_count 2
		.amdhsa_user_sgpr_dispatch_ptr 0
		.amdhsa_user_sgpr_queue_ptr 0
		.amdhsa_user_sgpr_kernarg_segment_ptr 1
		.amdhsa_user_sgpr_dispatch_id 0
		.amdhsa_user_sgpr_kernarg_preload_length 0
		.amdhsa_user_sgpr_kernarg_preload_offset 0
		.amdhsa_user_sgpr_private_segment_size 0
		.amdhsa_uses_dynamic_stack 0
		.amdhsa_enable_private_segment 0
		.amdhsa_system_sgpr_workgroup_id_x 1
		.amdhsa_system_sgpr_workgroup_id_y 0
		.amdhsa_system_sgpr_workgroup_id_z 0
		.amdhsa_system_sgpr_workgroup_info 0
		.amdhsa_system_vgpr_workitem_id 0
		.amdhsa_next_free_vgpr 1
		.amdhsa_next_free_sgpr 0
		.amdhsa_accum_offset 4
		.amdhsa_reserve_vcc 0
		.amdhsa_float_round_mode_32 0
		.amdhsa_float_round_mode_16_64 0
		.amdhsa_float_denorm_mode_32 3
		.amdhsa_float_denorm_mode_16_64 3
		.amdhsa_dx10_clamp 1
		.amdhsa_ieee_mode 1
		.amdhsa_fp16_overflow 0
		.amdhsa_tg_split 0
		.amdhsa_exception_fp_ieee_invalid_op 0
		.amdhsa_exception_fp_denorm_src 0
		.amdhsa_exception_fp_ieee_div_zero 0
		.amdhsa_exception_fp_ieee_overflow 0
		.amdhsa_exception_fp_ieee_underflow 0
		.amdhsa_exception_fp_ieee_inexact 0
		.amdhsa_exception_int_div_zero 0
	.end_amdhsa_kernel
	.section	.text._ZN7rocprim17ROCPRIM_400000_NS6detail17trampoline_kernelINS0_14default_configENS1_35adjacent_difference_config_selectorILb1ElEEZNS1_24adjacent_difference_implIS3_Lb1ELb0EPlS7_ZN2at6native12_GLOBAL__N_124unique_dim_cuda_templateIfEESt5tupleIJNS8_6TensorESD_SD_EERKSD_lbbbEUlllE1_EE10hipError_tPvRmT2_T3_mT4_P12ihipStream_tbEUlT_E_NS1_11comp_targetILNS1_3genE8ELNS1_11target_archE1030ELNS1_3gpuE2ELNS1_3repE0EEENS1_30default_config_static_selectorELNS0_4arch9wavefront6targetE1EEEvT1_,"axG",@progbits,_ZN7rocprim17ROCPRIM_400000_NS6detail17trampoline_kernelINS0_14default_configENS1_35adjacent_difference_config_selectorILb1ElEEZNS1_24adjacent_difference_implIS3_Lb1ELb0EPlS7_ZN2at6native12_GLOBAL__N_124unique_dim_cuda_templateIfEESt5tupleIJNS8_6TensorESD_SD_EERKSD_lbbbEUlllE1_EE10hipError_tPvRmT2_T3_mT4_P12ihipStream_tbEUlT_E_NS1_11comp_targetILNS1_3genE8ELNS1_11target_archE1030ELNS1_3gpuE2ELNS1_3repE0EEENS1_30default_config_static_selectorELNS0_4arch9wavefront6targetE1EEEvT1_,comdat
.Lfunc_end935:
	.size	_ZN7rocprim17ROCPRIM_400000_NS6detail17trampoline_kernelINS0_14default_configENS1_35adjacent_difference_config_selectorILb1ElEEZNS1_24adjacent_difference_implIS3_Lb1ELb0EPlS7_ZN2at6native12_GLOBAL__N_124unique_dim_cuda_templateIfEESt5tupleIJNS8_6TensorESD_SD_EERKSD_lbbbEUlllE1_EE10hipError_tPvRmT2_T3_mT4_P12ihipStream_tbEUlT_E_NS1_11comp_targetILNS1_3genE8ELNS1_11target_archE1030ELNS1_3gpuE2ELNS1_3repE0EEENS1_30default_config_static_selectorELNS0_4arch9wavefront6targetE1EEEvT1_, .Lfunc_end935-_ZN7rocprim17ROCPRIM_400000_NS6detail17trampoline_kernelINS0_14default_configENS1_35adjacent_difference_config_selectorILb1ElEEZNS1_24adjacent_difference_implIS3_Lb1ELb0EPlS7_ZN2at6native12_GLOBAL__N_124unique_dim_cuda_templateIfEESt5tupleIJNS8_6TensorESD_SD_EERKSD_lbbbEUlllE1_EE10hipError_tPvRmT2_T3_mT4_P12ihipStream_tbEUlT_E_NS1_11comp_targetILNS1_3genE8ELNS1_11target_archE1030ELNS1_3gpuE2ELNS1_3repE0EEENS1_30default_config_static_selectorELNS0_4arch9wavefront6targetE1EEEvT1_
                                        ; -- End function
	.section	.AMDGPU.csdata,"",@progbits
; Kernel info:
; codeLenInByte = 0
; NumSgprs: 6
; NumVgprs: 0
; NumAgprs: 0
; TotalNumVgprs: 0
; ScratchSize: 0
; MemoryBound: 0
; FloatMode: 240
; IeeeMode: 1
; LDSByteSize: 0 bytes/workgroup (compile time only)
; SGPRBlocks: 0
; VGPRBlocks: 0
; NumSGPRsForWavesPerEU: 6
; NumVGPRsForWavesPerEU: 1
; AccumOffset: 4
; Occupancy: 8
; WaveLimiterHint : 0
; COMPUTE_PGM_RSRC2:SCRATCH_EN: 0
; COMPUTE_PGM_RSRC2:USER_SGPR: 2
; COMPUTE_PGM_RSRC2:TRAP_HANDLER: 0
; COMPUTE_PGM_RSRC2:TGID_X_EN: 1
; COMPUTE_PGM_RSRC2:TGID_Y_EN: 0
; COMPUTE_PGM_RSRC2:TGID_Z_EN: 0
; COMPUTE_PGM_RSRC2:TIDIG_COMP_CNT: 0
; COMPUTE_PGM_RSRC3_GFX90A:ACCUM_OFFSET: 0
; COMPUTE_PGM_RSRC3_GFX90A:TG_SPLIT: 0
	.section	.text._ZN7rocprim17ROCPRIM_400000_NS6detail17trampoline_kernelINS0_14default_configENS1_25partition_config_selectorILNS1_17partition_subalgoE8ElNS0_10empty_typeEbEEZZNS1_14partition_implILS5_8ELb0ES3_jPlPS6_PKS6_NS0_5tupleIJS9_S6_EEENSD_IJSA_SA_EEENS0_18inequality_wrapperIZN2at6native12_GLOBAL__N_124unique_dim_cuda_templateIfEESt5tupleIJNSH_6TensorESM_SM_EERKSM_lbbbEUlllE0_EEPmJS6_EEE10hipError_tPvRmT3_T4_T5_T6_T7_T9_mT8_P12ihipStream_tbDpT10_ENKUlT_T0_E_clISt17integral_constantIbLb0EES1C_EEDaS17_S18_EUlS17_E_NS1_11comp_targetILNS1_3genE0ELNS1_11target_archE4294967295ELNS1_3gpuE0ELNS1_3repE0EEENS1_30default_config_static_selectorELNS0_4arch9wavefront6targetE1EEEvT1_,"axG",@progbits,_ZN7rocprim17ROCPRIM_400000_NS6detail17trampoline_kernelINS0_14default_configENS1_25partition_config_selectorILNS1_17partition_subalgoE8ElNS0_10empty_typeEbEEZZNS1_14partition_implILS5_8ELb0ES3_jPlPS6_PKS6_NS0_5tupleIJS9_S6_EEENSD_IJSA_SA_EEENS0_18inequality_wrapperIZN2at6native12_GLOBAL__N_124unique_dim_cuda_templateIfEESt5tupleIJNSH_6TensorESM_SM_EERKSM_lbbbEUlllE0_EEPmJS6_EEE10hipError_tPvRmT3_T4_T5_T6_T7_T9_mT8_P12ihipStream_tbDpT10_ENKUlT_T0_E_clISt17integral_constantIbLb0EES1C_EEDaS17_S18_EUlS17_E_NS1_11comp_targetILNS1_3genE0ELNS1_11target_archE4294967295ELNS1_3gpuE0ELNS1_3repE0EEENS1_30default_config_static_selectorELNS0_4arch9wavefront6targetE1EEEvT1_,comdat
	.globl	_ZN7rocprim17ROCPRIM_400000_NS6detail17trampoline_kernelINS0_14default_configENS1_25partition_config_selectorILNS1_17partition_subalgoE8ElNS0_10empty_typeEbEEZZNS1_14partition_implILS5_8ELb0ES3_jPlPS6_PKS6_NS0_5tupleIJS9_S6_EEENSD_IJSA_SA_EEENS0_18inequality_wrapperIZN2at6native12_GLOBAL__N_124unique_dim_cuda_templateIfEESt5tupleIJNSH_6TensorESM_SM_EERKSM_lbbbEUlllE0_EEPmJS6_EEE10hipError_tPvRmT3_T4_T5_T6_T7_T9_mT8_P12ihipStream_tbDpT10_ENKUlT_T0_E_clISt17integral_constantIbLb0EES1C_EEDaS17_S18_EUlS17_E_NS1_11comp_targetILNS1_3genE0ELNS1_11target_archE4294967295ELNS1_3gpuE0ELNS1_3repE0EEENS1_30default_config_static_selectorELNS0_4arch9wavefront6targetE1EEEvT1_ ; -- Begin function _ZN7rocprim17ROCPRIM_400000_NS6detail17trampoline_kernelINS0_14default_configENS1_25partition_config_selectorILNS1_17partition_subalgoE8ElNS0_10empty_typeEbEEZZNS1_14partition_implILS5_8ELb0ES3_jPlPS6_PKS6_NS0_5tupleIJS9_S6_EEENSD_IJSA_SA_EEENS0_18inequality_wrapperIZN2at6native12_GLOBAL__N_124unique_dim_cuda_templateIfEESt5tupleIJNSH_6TensorESM_SM_EERKSM_lbbbEUlllE0_EEPmJS6_EEE10hipError_tPvRmT3_T4_T5_T6_T7_T9_mT8_P12ihipStream_tbDpT10_ENKUlT_T0_E_clISt17integral_constantIbLb0EES1C_EEDaS17_S18_EUlS17_E_NS1_11comp_targetILNS1_3genE0ELNS1_11target_archE4294967295ELNS1_3gpuE0ELNS1_3repE0EEENS1_30default_config_static_selectorELNS0_4arch9wavefront6targetE1EEEvT1_
	.p2align	8
	.type	_ZN7rocprim17ROCPRIM_400000_NS6detail17trampoline_kernelINS0_14default_configENS1_25partition_config_selectorILNS1_17partition_subalgoE8ElNS0_10empty_typeEbEEZZNS1_14partition_implILS5_8ELb0ES3_jPlPS6_PKS6_NS0_5tupleIJS9_S6_EEENSD_IJSA_SA_EEENS0_18inequality_wrapperIZN2at6native12_GLOBAL__N_124unique_dim_cuda_templateIfEESt5tupleIJNSH_6TensorESM_SM_EERKSM_lbbbEUlllE0_EEPmJS6_EEE10hipError_tPvRmT3_T4_T5_T6_T7_T9_mT8_P12ihipStream_tbDpT10_ENKUlT_T0_E_clISt17integral_constantIbLb0EES1C_EEDaS17_S18_EUlS17_E_NS1_11comp_targetILNS1_3genE0ELNS1_11target_archE4294967295ELNS1_3gpuE0ELNS1_3repE0EEENS1_30default_config_static_selectorELNS0_4arch9wavefront6targetE1EEEvT1_,@function
_ZN7rocprim17ROCPRIM_400000_NS6detail17trampoline_kernelINS0_14default_configENS1_25partition_config_selectorILNS1_17partition_subalgoE8ElNS0_10empty_typeEbEEZZNS1_14partition_implILS5_8ELb0ES3_jPlPS6_PKS6_NS0_5tupleIJS9_S6_EEENSD_IJSA_SA_EEENS0_18inequality_wrapperIZN2at6native12_GLOBAL__N_124unique_dim_cuda_templateIfEESt5tupleIJNSH_6TensorESM_SM_EERKSM_lbbbEUlllE0_EEPmJS6_EEE10hipError_tPvRmT3_T4_T5_T6_T7_T9_mT8_P12ihipStream_tbDpT10_ENKUlT_T0_E_clISt17integral_constantIbLb0EES1C_EEDaS17_S18_EUlS17_E_NS1_11comp_targetILNS1_3genE0ELNS1_11target_archE4294967295ELNS1_3gpuE0ELNS1_3repE0EEENS1_30default_config_static_selectorELNS0_4arch9wavefront6targetE1EEEvT1_: ; @_ZN7rocprim17ROCPRIM_400000_NS6detail17trampoline_kernelINS0_14default_configENS1_25partition_config_selectorILNS1_17partition_subalgoE8ElNS0_10empty_typeEbEEZZNS1_14partition_implILS5_8ELb0ES3_jPlPS6_PKS6_NS0_5tupleIJS9_S6_EEENSD_IJSA_SA_EEENS0_18inequality_wrapperIZN2at6native12_GLOBAL__N_124unique_dim_cuda_templateIfEESt5tupleIJNSH_6TensorESM_SM_EERKSM_lbbbEUlllE0_EEPmJS6_EEE10hipError_tPvRmT3_T4_T5_T6_T7_T9_mT8_P12ihipStream_tbDpT10_ENKUlT_T0_E_clISt17integral_constantIbLb0EES1C_EEDaS17_S18_EUlS17_E_NS1_11comp_targetILNS1_3genE0ELNS1_11target_archE4294967295ELNS1_3gpuE0ELNS1_3repE0EEENS1_30default_config_static_selectorELNS0_4arch9wavefront6targetE1EEEvT1_
; %bb.0:
	.section	.rodata,"a",@progbits
	.p2align	6, 0x0
	.amdhsa_kernel _ZN7rocprim17ROCPRIM_400000_NS6detail17trampoline_kernelINS0_14default_configENS1_25partition_config_selectorILNS1_17partition_subalgoE8ElNS0_10empty_typeEbEEZZNS1_14partition_implILS5_8ELb0ES3_jPlPS6_PKS6_NS0_5tupleIJS9_S6_EEENSD_IJSA_SA_EEENS0_18inequality_wrapperIZN2at6native12_GLOBAL__N_124unique_dim_cuda_templateIfEESt5tupleIJNSH_6TensorESM_SM_EERKSM_lbbbEUlllE0_EEPmJS6_EEE10hipError_tPvRmT3_T4_T5_T6_T7_T9_mT8_P12ihipStream_tbDpT10_ENKUlT_T0_E_clISt17integral_constantIbLb0EES1C_EEDaS17_S18_EUlS17_E_NS1_11comp_targetILNS1_3genE0ELNS1_11target_archE4294967295ELNS1_3gpuE0ELNS1_3repE0EEENS1_30default_config_static_selectorELNS0_4arch9wavefront6targetE1EEEvT1_
		.amdhsa_group_segment_fixed_size 0
		.amdhsa_private_segment_fixed_size 0
		.amdhsa_kernarg_size 120
		.amdhsa_user_sgpr_count 2
		.amdhsa_user_sgpr_dispatch_ptr 0
		.amdhsa_user_sgpr_queue_ptr 0
		.amdhsa_user_sgpr_kernarg_segment_ptr 1
		.amdhsa_user_sgpr_dispatch_id 0
		.amdhsa_user_sgpr_kernarg_preload_length 0
		.amdhsa_user_sgpr_kernarg_preload_offset 0
		.amdhsa_user_sgpr_private_segment_size 0
		.amdhsa_uses_dynamic_stack 0
		.amdhsa_enable_private_segment 0
		.amdhsa_system_sgpr_workgroup_id_x 1
		.amdhsa_system_sgpr_workgroup_id_y 0
		.amdhsa_system_sgpr_workgroup_id_z 0
		.amdhsa_system_sgpr_workgroup_info 0
		.amdhsa_system_vgpr_workitem_id 0
		.amdhsa_next_free_vgpr 1
		.amdhsa_next_free_sgpr 0
		.amdhsa_accum_offset 4
		.amdhsa_reserve_vcc 0
		.amdhsa_float_round_mode_32 0
		.amdhsa_float_round_mode_16_64 0
		.amdhsa_float_denorm_mode_32 3
		.amdhsa_float_denorm_mode_16_64 3
		.amdhsa_dx10_clamp 1
		.amdhsa_ieee_mode 1
		.amdhsa_fp16_overflow 0
		.amdhsa_tg_split 0
		.amdhsa_exception_fp_ieee_invalid_op 0
		.amdhsa_exception_fp_denorm_src 0
		.amdhsa_exception_fp_ieee_div_zero 0
		.amdhsa_exception_fp_ieee_overflow 0
		.amdhsa_exception_fp_ieee_underflow 0
		.amdhsa_exception_fp_ieee_inexact 0
		.amdhsa_exception_int_div_zero 0
	.end_amdhsa_kernel
	.section	.text._ZN7rocprim17ROCPRIM_400000_NS6detail17trampoline_kernelINS0_14default_configENS1_25partition_config_selectorILNS1_17partition_subalgoE8ElNS0_10empty_typeEbEEZZNS1_14partition_implILS5_8ELb0ES3_jPlPS6_PKS6_NS0_5tupleIJS9_S6_EEENSD_IJSA_SA_EEENS0_18inequality_wrapperIZN2at6native12_GLOBAL__N_124unique_dim_cuda_templateIfEESt5tupleIJNSH_6TensorESM_SM_EERKSM_lbbbEUlllE0_EEPmJS6_EEE10hipError_tPvRmT3_T4_T5_T6_T7_T9_mT8_P12ihipStream_tbDpT10_ENKUlT_T0_E_clISt17integral_constantIbLb0EES1C_EEDaS17_S18_EUlS17_E_NS1_11comp_targetILNS1_3genE0ELNS1_11target_archE4294967295ELNS1_3gpuE0ELNS1_3repE0EEENS1_30default_config_static_selectorELNS0_4arch9wavefront6targetE1EEEvT1_,"axG",@progbits,_ZN7rocprim17ROCPRIM_400000_NS6detail17trampoline_kernelINS0_14default_configENS1_25partition_config_selectorILNS1_17partition_subalgoE8ElNS0_10empty_typeEbEEZZNS1_14partition_implILS5_8ELb0ES3_jPlPS6_PKS6_NS0_5tupleIJS9_S6_EEENSD_IJSA_SA_EEENS0_18inequality_wrapperIZN2at6native12_GLOBAL__N_124unique_dim_cuda_templateIfEESt5tupleIJNSH_6TensorESM_SM_EERKSM_lbbbEUlllE0_EEPmJS6_EEE10hipError_tPvRmT3_T4_T5_T6_T7_T9_mT8_P12ihipStream_tbDpT10_ENKUlT_T0_E_clISt17integral_constantIbLb0EES1C_EEDaS17_S18_EUlS17_E_NS1_11comp_targetILNS1_3genE0ELNS1_11target_archE4294967295ELNS1_3gpuE0ELNS1_3repE0EEENS1_30default_config_static_selectorELNS0_4arch9wavefront6targetE1EEEvT1_,comdat
.Lfunc_end936:
	.size	_ZN7rocprim17ROCPRIM_400000_NS6detail17trampoline_kernelINS0_14default_configENS1_25partition_config_selectorILNS1_17partition_subalgoE8ElNS0_10empty_typeEbEEZZNS1_14partition_implILS5_8ELb0ES3_jPlPS6_PKS6_NS0_5tupleIJS9_S6_EEENSD_IJSA_SA_EEENS0_18inequality_wrapperIZN2at6native12_GLOBAL__N_124unique_dim_cuda_templateIfEESt5tupleIJNSH_6TensorESM_SM_EERKSM_lbbbEUlllE0_EEPmJS6_EEE10hipError_tPvRmT3_T4_T5_T6_T7_T9_mT8_P12ihipStream_tbDpT10_ENKUlT_T0_E_clISt17integral_constantIbLb0EES1C_EEDaS17_S18_EUlS17_E_NS1_11comp_targetILNS1_3genE0ELNS1_11target_archE4294967295ELNS1_3gpuE0ELNS1_3repE0EEENS1_30default_config_static_selectorELNS0_4arch9wavefront6targetE1EEEvT1_, .Lfunc_end936-_ZN7rocprim17ROCPRIM_400000_NS6detail17trampoline_kernelINS0_14default_configENS1_25partition_config_selectorILNS1_17partition_subalgoE8ElNS0_10empty_typeEbEEZZNS1_14partition_implILS5_8ELb0ES3_jPlPS6_PKS6_NS0_5tupleIJS9_S6_EEENSD_IJSA_SA_EEENS0_18inequality_wrapperIZN2at6native12_GLOBAL__N_124unique_dim_cuda_templateIfEESt5tupleIJNSH_6TensorESM_SM_EERKSM_lbbbEUlllE0_EEPmJS6_EEE10hipError_tPvRmT3_T4_T5_T6_T7_T9_mT8_P12ihipStream_tbDpT10_ENKUlT_T0_E_clISt17integral_constantIbLb0EES1C_EEDaS17_S18_EUlS17_E_NS1_11comp_targetILNS1_3genE0ELNS1_11target_archE4294967295ELNS1_3gpuE0ELNS1_3repE0EEENS1_30default_config_static_selectorELNS0_4arch9wavefront6targetE1EEEvT1_
                                        ; -- End function
	.section	.AMDGPU.csdata,"",@progbits
; Kernel info:
; codeLenInByte = 0
; NumSgprs: 6
; NumVgprs: 0
; NumAgprs: 0
; TotalNumVgprs: 0
; ScratchSize: 0
; MemoryBound: 0
; FloatMode: 240
; IeeeMode: 1
; LDSByteSize: 0 bytes/workgroup (compile time only)
; SGPRBlocks: 0
; VGPRBlocks: 0
; NumSGPRsForWavesPerEU: 6
; NumVGPRsForWavesPerEU: 1
; AccumOffset: 4
; Occupancy: 8
; WaveLimiterHint : 0
; COMPUTE_PGM_RSRC2:SCRATCH_EN: 0
; COMPUTE_PGM_RSRC2:USER_SGPR: 2
; COMPUTE_PGM_RSRC2:TRAP_HANDLER: 0
; COMPUTE_PGM_RSRC2:TGID_X_EN: 1
; COMPUTE_PGM_RSRC2:TGID_Y_EN: 0
; COMPUTE_PGM_RSRC2:TGID_Z_EN: 0
; COMPUTE_PGM_RSRC2:TIDIG_COMP_CNT: 0
; COMPUTE_PGM_RSRC3_GFX90A:ACCUM_OFFSET: 0
; COMPUTE_PGM_RSRC3_GFX90A:TG_SPLIT: 0
	.section	.text._ZN7rocprim17ROCPRIM_400000_NS6detail17trampoline_kernelINS0_14default_configENS1_25partition_config_selectorILNS1_17partition_subalgoE8ElNS0_10empty_typeEbEEZZNS1_14partition_implILS5_8ELb0ES3_jPlPS6_PKS6_NS0_5tupleIJS9_S6_EEENSD_IJSA_SA_EEENS0_18inequality_wrapperIZN2at6native12_GLOBAL__N_124unique_dim_cuda_templateIfEESt5tupleIJNSH_6TensorESM_SM_EERKSM_lbbbEUlllE0_EEPmJS6_EEE10hipError_tPvRmT3_T4_T5_T6_T7_T9_mT8_P12ihipStream_tbDpT10_ENKUlT_T0_E_clISt17integral_constantIbLb0EES1C_EEDaS17_S18_EUlS17_E_NS1_11comp_targetILNS1_3genE5ELNS1_11target_archE942ELNS1_3gpuE9ELNS1_3repE0EEENS1_30default_config_static_selectorELNS0_4arch9wavefront6targetE1EEEvT1_,"axG",@progbits,_ZN7rocprim17ROCPRIM_400000_NS6detail17trampoline_kernelINS0_14default_configENS1_25partition_config_selectorILNS1_17partition_subalgoE8ElNS0_10empty_typeEbEEZZNS1_14partition_implILS5_8ELb0ES3_jPlPS6_PKS6_NS0_5tupleIJS9_S6_EEENSD_IJSA_SA_EEENS0_18inequality_wrapperIZN2at6native12_GLOBAL__N_124unique_dim_cuda_templateIfEESt5tupleIJNSH_6TensorESM_SM_EERKSM_lbbbEUlllE0_EEPmJS6_EEE10hipError_tPvRmT3_T4_T5_T6_T7_T9_mT8_P12ihipStream_tbDpT10_ENKUlT_T0_E_clISt17integral_constantIbLb0EES1C_EEDaS17_S18_EUlS17_E_NS1_11comp_targetILNS1_3genE5ELNS1_11target_archE942ELNS1_3gpuE9ELNS1_3repE0EEENS1_30default_config_static_selectorELNS0_4arch9wavefront6targetE1EEEvT1_,comdat
	.globl	_ZN7rocprim17ROCPRIM_400000_NS6detail17trampoline_kernelINS0_14default_configENS1_25partition_config_selectorILNS1_17partition_subalgoE8ElNS0_10empty_typeEbEEZZNS1_14partition_implILS5_8ELb0ES3_jPlPS6_PKS6_NS0_5tupleIJS9_S6_EEENSD_IJSA_SA_EEENS0_18inequality_wrapperIZN2at6native12_GLOBAL__N_124unique_dim_cuda_templateIfEESt5tupleIJNSH_6TensorESM_SM_EERKSM_lbbbEUlllE0_EEPmJS6_EEE10hipError_tPvRmT3_T4_T5_T6_T7_T9_mT8_P12ihipStream_tbDpT10_ENKUlT_T0_E_clISt17integral_constantIbLb0EES1C_EEDaS17_S18_EUlS17_E_NS1_11comp_targetILNS1_3genE5ELNS1_11target_archE942ELNS1_3gpuE9ELNS1_3repE0EEENS1_30default_config_static_selectorELNS0_4arch9wavefront6targetE1EEEvT1_ ; -- Begin function _ZN7rocprim17ROCPRIM_400000_NS6detail17trampoline_kernelINS0_14default_configENS1_25partition_config_selectorILNS1_17partition_subalgoE8ElNS0_10empty_typeEbEEZZNS1_14partition_implILS5_8ELb0ES3_jPlPS6_PKS6_NS0_5tupleIJS9_S6_EEENSD_IJSA_SA_EEENS0_18inequality_wrapperIZN2at6native12_GLOBAL__N_124unique_dim_cuda_templateIfEESt5tupleIJNSH_6TensorESM_SM_EERKSM_lbbbEUlllE0_EEPmJS6_EEE10hipError_tPvRmT3_T4_T5_T6_T7_T9_mT8_P12ihipStream_tbDpT10_ENKUlT_T0_E_clISt17integral_constantIbLb0EES1C_EEDaS17_S18_EUlS17_E_NS1_11comp_targetILNS1_3genE5ELNS1_11target_archE942ELNS1_3gpuE9ELNS1_3repE0EEENS1_30default_config_static_selectorELNS0_4arch9wavefront6targetE1EEEvT1_
	.p2align	8
	.type	_ZN7rocprim17ROCPRIM_400000_NS6detail17trampoline_kernelINS0_14default_configENS1_25partition_config_selectorILNS1_17partition_subalgoE8ElNS0_10empty_typeEbEEZZNS1_14partition_implILS5_8ELb0ES3_jPlPS6_PKS6_NS0_5tupleIJS9_S6_EEENSD_IJSA_SA_EEENS0_18inequality_wrapperIZN2at6native12_GLOBAL__N_124unique_dim_cuda_templateIfEESt5tupleIJNSH_6TensorESM_SM_EERKSM_lbbbEUlllE0_EEPmJS6_EEE10hipError_tPvRmT3_T4_T5_T6_T7_T9_mT8_P12ihipStream_tbDpT10_ENKUlT_T0_E_clISt17integral_constantIbLb0EES1C_EEDaS17_S18_EUlS17_E_NS1_11comp_targetILNS1_3genE5ELNS1_11target_archE942ELNS1_3gpuE9ELNS1_3repE0EEENS1_30default_config_static_selectorELNS0_4arch9wavefront6targetE1EEEvT1_,@function
_ZN7rocprim17ROCPRIM_400000_NS6detail17trampoline_kernelINS0_14default_configENS1_25partition_config_selectorILNS1_17partition_subalgoE8ElNS0_10empty_typeEbEEZZNS1_14partition_implILS5_8ELb0ES3_jPlPS6_PKS6_NS0_5tupleIJS9_S6_EEENSD_IJSA_SA_EEENS0_18inequality_wrapperIZN2at6native12_GLOBAL__N_124unique_dim_cuda_templateIfEESt5tupleIJNSH_6TensorESM_SM_EERKSM_lbbbEUlllE0_EEPmJS6_EEE10hipError_tPvRmT3_T4_T5_T6_T7_T9_mT8_P12ihipStream_tbDpT10_ENKUlT_T0_E_clISt17integral_constantIbLb0EES1C_EEDaS17_S18_EUlS17_E_NS1_11comp_targetILNS1_3genE5ELNS1_11target_archE942ELNS1_3gpuE9ELNS1_3repE0EEENS1_30default_config_static_selectorELNS0_4arch9wavefront6targetE1EEEvT1_: ; @_ZN7rocprim17ROCPRIM_400000_NS6detail17trampoline_kernelINS0_14default_configENS1_25partition_config_selectorILNS1_17partition_subalgoE8ElNS0_10empty_typeEbEEZZNS1_14partition_implILS5_8ELb0ES3_jPlPS6_PKS6_NS0_5tupleIJS9_S6_EEENSD_IJSA_SA_EEENS0_18inequality_wrapperIZN2at6native12_GLOBAL__N_124unique_dim_cuda_templateIfEESt5tupleIJNSH_6TensorESM_SM_EERKSM_lbbbEUlllE0_EEPmJS6_EEE10hipError_tPvRmT3_T4_T5_T6_T7_T9_mT8_P12ihipStream_tbDpT10_ENKUlT_T0_E_clISt17integral_constantIbLb0EES1C_EEDaS17_S18_EUlS17_E_NS1_11comp_targetILNS1_3genE5ELNS1_11target_archE942ELNS1_3gpuE9ELNS1_3repE0EEENS1_30default_config_static_selectorELNS0_4arch9wavefront6targetE1EEEvT1_
; %bb.0:
	s_load_dwordx8 s[20:27], s[0:1], 0x40
	s_load_dwordx4 s[4:7], s[0:1], 0x8
	s_load_dwordx4 s[28:31], s[0:1], 0x60
	s_load_dword s3, s[0:1], 0x70
	s_waitcnt lgkmcnt(0)
	v_mov_b32_e32 v2, s24
	s_lshl_b64 s[8:9], s[6:7], 3
	s_add_u32 s12, s4, s8
	s_mul_i32 s8, s3, 0xe00
	s_addc_u32 s13, s5, s9
	s_add_i32 s10, s3, -1
	s_add_i32 s3, s8, s6
	s_sub_i32 s3, s24, s3
	s_add_u32 s8, s6, s8
	s_addc_u32 s9, s7, 0
	v_mov_b32_e32 v3, s25
	s_cmp_eq_u32 s2, s10
	s_load_dwordx2 s[22:23], s[22:23], 0x0
	v_cmp_ge_u64_e32 vcc, s[8:9], v[2:3]
	s_cselect_b64 s[24:25], -1, 0
	s_mul_i32 s4, s2, 0xe00
	s_mov_b32 s5, 0
	s_and_b64 s[8:9], s[24:25], vcc
	s_xor_b64 s[34:35], s[8:9], -1
	s_lshl_b64 s[4:5], s[4:5], 3
	s_add_u32 s4, s12, s4
	s_mov_b64 s[10:11], -1
	s_addc_u32 s5, s13, s5
	s_and_b64 vcc, exec, s[34:35]
	s_cbranch_vccz .LBB937_2
; %bb.1:
	v_lshlrev_b32_e32 v2, 3, v0
	v_mov_b32_e32 v3, 0
	v_lshl_add_u64 v[4:5], s[4:5], 0, v[2:3]
	v_add_co_u32_e32 v8, vcc, 0x1000, v4
	global_load_dwordx2 v[6:7], v2, s[4:5]
	s_nop 0
	v_addc_co_u32_e32 v9, vcc, 0, v5, vcc
	v_add_co_u32_e32 v10, vcc, 0x2000, v4
	s_mov_b64 s[10:11], 0
	s_nop 0
	v_addc_co_u32_e32 v11, vcc, 0, v5, vcc
	v_add_co_u32_e32 v12, vcc, 0x3000, v4
	s_nop 1
	v_addc_co_u32_e32 v13, vcc, 0, v5, vcc
	v_add_co_u32_e32 v14, vcc, 0x4000, v4
	s_nop 1
	v_addc_co_u32_e32 v15, vcc, 0, v5, vcc
	global_load_dwordx2 v[16:17], v[8:9], off
	global_load_dwordx2 v[18:19], v[10:11], off
	;; [unrolled: 1-line block ×4, first 2 shown]
	v_add_co_u32_e32 v8, vcc, 0x5000, v4
	s_nop 1
	v_addc_co_u32_e32 v9, vcc, 0, v5, vcc
	v_add_co_u32_e32 v4, vcc, 0x6000, v4
	global_load_dwordx2 v[8:9], v[8:9], off
	s_nop 0
	v_addc_co_u32_e32 v5, vcc, 0, v5, vcc
	global_load_dwordx2 v[4:5], v[4:5], off
	s_waitcnt vmcnt(5)
	ds_write2st64_b64 v2, v[6:7], v[16:17] offset1:8
	s_waitcnt vmcnt(3)
	ds_write2st64_b64 v2, v[18:19], v[20:21] offset0:16 offset1:24
	s_waitcnt vmcnt(1)
	ds_write2st64_b64 v2, v[22:23], v[8:9] offset0:32 offset1:40
	s_waitcnt vmcnt(0)
	ds_write_b64 v2, v[4:5] offset:24576
	s_waitcnt lgkmcnt(0)
	s_barrier
.LBB937_2:
	s_andn2_b64 vcc, exec, s[10:11]
	s_addk_i32 s3, 0xe00
	s_cbranch_vccnz .LBB937_18
; %bb.3:
	v_cmp_gt_u32_e32 vcc, s3, v0
                                        ; implicit-def: $vgpr2_vgpr3_vgpr4_vgpr5_vgpr6_vgpr7_vgpr8_vgpr9_vgpr10_vgpr11_vgpr12_vgpr13_vgpr14_vgpr15_vgpr16_vgpr17
	s_and_saveexec_b64 s[10:11], vcc
	s_cbranch_execz .LBB937_5
; %bb.4:
	v_lshlrev_b32_e32 v1, 3, v0
	global_load_dwordx2 v[2:3], v1, s[4:5]
.LBB937_5:
	s_or_b64 exec, exec, s[10:11]
	v_or_b32_e32 v1, 0x200, v0
	v_cmp_gt_u32_e32 vcc, s3, v1
	s_and_saveexec_b64 s[10:11], vcc
	s_cbranch_execz .LBB937_7
; %bb.6:
	v_lshlrev_b32_e32 v1, 3, v1
	global_load_dwordx2 v[4:5], v1, s[4:5]
.LBB937_7:
	s_or_b64 exec, exec, s[10:11]
	v_or_b32_e32 v1, 0x400, v0
	v_cmp_gt_u32_e32 vcc, s3, v1
	;; [unrolled: 9-line block ×6, first 2 shown]
	s_and_saveexec_b64 s[10:11], vcc
	s_cbranch_execz .LBB937_17
; %bb.16:
	v_lshlrev_b32_e32 v1, 3, v1
	global_load_dwordx2 v[14:15], v1, s[4:5]
.LBB937_17:
	s_or_b64 exec, exec, s[10:11]
	v_lshlrev_b32_e32 v1, 3, v0
	s_waitcnt vmcnt(0)
	ds_write2st64_b64 v1, v[2:3], v[4:5] offset1:8
	ds_write2st64_b64 v1, v[6:7], v[8:9] offset0:16 offset1:24
	ds_write2st64_b64 v1, v[10:11], v[12:13] offset0:32 offset1:40
	ds_write_b64 v1, v[14:15] offset:24576
	s_waitcnt lgkmcnt(0)
	s_barrier
.LBB937_18:
	v_mul_u32_u24_e32 v1, 7, v0
	v_lshlrev_b32_e32 v30, 3, v1
	s_waitcnt lgkmcnt(0)
	ds_read2_b64 v[10:13], v30 offset1:1
	ds_read2_b64 v[6:9], v30 offset0:2 offset1:3
	ds_read2_b64 v[2:5], v30 offset0:4 offset1:5
	ds_read_b64 v[14:15], v30 offset:48
	s_cmp_lg_u32 s2, 0
	s_cselect_b64 s[16:17], -1, 0
	s_cmp_lg_u64 s[6:7], 0
	s_cselect_b64 s[6:7], -1, 0
	s_or_b64 s[6:7], s[16:17], s[6:7]
	v_mad_u32_u24 v25, v0, 7, 1
	v_mad_u32_u24 v24, v0, 7, 2
	;; [unrolled: 1-line block ×6, first 2 shown]
	s_mov_b64 s[10:11], 0
	s_and_b64 vcc, exec, s[6:7]
	v_cmp_gt_i64_e64 s[12:13], s[26:27], 0
	s_waitcnt lgkmcnt(0)
	s_barrier
	s_cbranch_vccz .LBB937_27
; %bb.19:
	s_add_u32 s4, s4, -8
	s_addc_u32 s5, s5, -1
	s_load_dwordx2 s[6:7], s[4:5], 0x0
	v_cndmask_b32_e64 v16, 0, 1, s[12:13]
	v_lshlrev_b32_e32 v31, 3, v0
	s_and_b64 vcc, exec, s[34:35]
	v_cmp_ne_u32_e64 s[4:5], 1, v16
	ds_write_b64 v31, v[14:15]
	s_cbranch_vccz .LBB937_29
; %bb.20:
	v_mul_lo_u32 v18, v5, s26
	v_mul_lo_u32 v19, v4, s27
	v_mad_u64_u32 v[16:17], s[12:13], v4, s26, 0
	v_add3_u32 v17, v17, v19, v18
	s_and_b64 vcc, exec, s[4:5]
	v_lshl_add_u64 v[16:17], v[16:17], 2, s[28:29]
	s_cbranch_vccnz .LBB937_32
; %bb.21:
	v_mul_lo_u32 v20, v15, s26
	v_mul_lo_u32 v21, v14, s27
	v_mad_u64_u32 v[18:19], s[10:11], v14, s26, 0
	v_add3_u32 v19, v19, v21, v20
	v_lshl_add_u64 v[18:19], v[18:19], 2, s[28:29]
	global_load_dword v20, v[16:17], off
	global_load_dword v21, v[18:19], off
	s_mov_b64 s[10:11], -1
	s_waitcnt vmcnt(0)
	v_cmp_eq_f32_e32 vcc, v20, v21
	s_and_saveexec_b64 s[12:13], vcc
	s_cbranch_execz .LBB937_31
; %bb.22:
	s_add_u32 s10, s26, -1
	v_lshl_add_u64 v[18:19], v[18:19], 0, 4
	v_lshl_add_u64 v[20:21], v[16:17], 0, 4
	s_addc_u32 s11, s27, -1
	s_mov_b64 s[14:15], 0
	s_mov_b64 s[36:37], 0
                                        ; implicit-def: $sgpr18_sgpr19
	s_branch .LBB937_25
.LBB937_23:                             ;   in Loop: Header=BB937_25 Depth=1
	global_load_dword v22, v[20:21], off
	global_load_dword v23, v[18:19], off
	s_add_u32 s36, s36, 1
	s_addc_u32 s37, s37, 0
	s_andn2_b64 s[18:19], s[18:19], exec
	v_lshl_add_u64 v[18:19], v[18:19], 0, 4
	v_lshl_add_u64 v[20:21], v[20:21], 0, 4
	s_waitcnt vmcnt(0)
	v_cmp_neq_f32_e32 vcc, v22, v23
	s_and_b64 s[38:39], vcc, exec
	s_or_b64 s[18:19], s[18:19], s[38:39]
.LBB937_24:                             ;   in Loop: Header=BB937_25 Depth=1
	s_and_b64 s[38:39], exec, s[18:19]
	s_or_b64 s[14:15], s[38:39], s[14:15]
	v_mov_b64_e32 v[22:23], s[36:37]
	s_andn2_b64 exec, exec, s[14:15]
	s_cbranch_execz .LBB937_30
.LBB937_25:                             ; =>This Inner Loop Header: Depth=1
	s_or_b64 s[18:19], s[18:19], exec
	s_cmp_eq_u64 s[10:11], s[36:37]
	s_cbranch_scc0 .LBB937_23
; %bb.26:                               ;   in Loop: Header=BB937_25 Depth=1
                                        ; implicit-def: $vgpr18_vgpr19
                                        ; implicit-def: $vgpr20_vgpr21
	s_mov_b64 s[36:37], s[26:27]
	s_branch .LBB937_24
.LBB937_27:
                                        ; implicit-def: $sgpr18_sgpr19
                                        ; implicit-def: $vgpr34
                                        ; implicit-def: $vgpr33
                                        ; implicit-def: $vgpr32
                                        ; implicit-def: $vgpr20
	s_branch .LBB937_170
.LBB937_28:
                                        ; implicit-def: $vgpr16_vgpr17
	s_branch .LBB937_318
.LBB937_29:
                                        ; implicit-def: $sgpr18_sgpr19
                                        ; implicit-def: $vgpr34
                                        ; implicit-def: $vgpr33
                                        ; implicit-def: $vgpr32
                                        ; implicit-def: $vgpr20
	s_cbranch_execnz .LBB937_89
	s_branch .LBB937_169
.LBB937_30:
	s_or_b64 exec, exec, s[14:15]
	v_cmp_gt_i64_e32 vcc, s[26:27], v[22:23]
	s_orn2_b64 s[10:11], vcc, exec
.LBB937_31:
	s_or_b64 exec, exec, s[12:13]
.LBB937_32:
	v_mul_lo_u32 v20, v3, s26
	v_mul_lo_u32 v21, v2, s27
	v_mad_u64_u32 v[18:19], s[12:13], v2, s26, 0
	v_add3_u32 v19, v19, v21, v20
	s_mov_b64 s[12:13], 0
	s_and_b64 vcc, exec, s[4:5]
	v_lshl_add_u64 v[18:19], v[18:19], 2, s[28:29]
	s_mov_b64 s[14:15], 0
	s_cbranch_vccnz .LBB937_41
; %bb.33:
	global_load_dword v20, v[18:19], off
	global_load_dword v21, v[16:17], off
	s_mov_b64 s[14:15], -1
	s_waitcnt vmcnt(0)
	v_cmp_eq_f32_e32 vcc, v20, v21
	s_and_saveexec_b64 s[18:19], vcc
	s_cbranch_execz .LBB937_40
; %bb.34:
	s_add_u32 s14, s26, -1
	v_lshl_add_u64 v[16:17], v[16:17], 0, 4
	v_lshl_add_u64 v[20:21], v[18:19], 0, 4
	s_addc_u32 s15, s27, -1
	s_mov_b64 s[36:37], 0
	s_mov_b64 s[40:41], 0
                                        ; implicit-def: $sgpr38_sgpr39
	s_branch .LBB937_37
.LBB937_35:                             ;   in Loop: Header=BB937_37 Depth=1
	global_load_dword v22, v[20:21], off
	global_load_dword v23, v[16:17], off
	s_add_u32 s40, s40, 1
	s_addc_u32 s41, s41, 0
	s_andn2_b64 s[38:39], s[38:39], exec
	v_lshl_add_u64 v[16:17], v[16:17], 0, 4
	v_lshl_add_u64 v[20:21], v[20:21], 0, 4
	s_waitcnt vmcnt(0)
	v_cmp_neq_f32_e32 vcc, v22, v23
	s_and_b64 s[42:43], vcc, exec
	s_or_b64 s[38:39], s[38:39], s[42:43]
.LBB937_36:                             ;   in Loop: Header=BB937_37 Depth=1
	s_and_b64 s[42:43], exec, s[38:39]
	s_or_b64 s[36:37], s[42:43], s[36:37]
	v_mov_b64_e32 v[22:23], s[40:41]
	s_andn2_b64 exec, exec, s[36:37]
	s_cbranch_execz .LBB937_39
.LBB937_37:                             ; =>This Inner Loop Header: Depth=1
	s_or_b64 s[38:39], s[38:39], exec
	s_cmp_eq_u64 s[14:15], s[40:41]
	s_cbranch_scc0 .LBB937_35
; %bb.38:                               ;   in Loop: Header=BB937_37 Depth=1
                                        ; implicit-def: $vgpr16_vgpr17
                                        ; implicit-def: $vgpr20_vgpr21
	s_mov_b64 s[40:41], s[26:27]
	s_branch .LBB937_36
.LBB937_39:
	s_or_b64 exec, exec, s[36:37]
	v_cmp_gt_i64_e32 vcc, s[26:27], v[22:23]
	s_orn2_b64 s[14:15], vcc, exec
.LBB937_40:
	s_or_b64 exec, exec, s[18:19]
.LBB937_41:
	v_mul_lo_u32 v20, v9, s26
	v_mul_lo_u32 v21, v8, s27
	v_mad_u64_u32 v[16:17], s[18:19], v8, s26, 0
	v_add3_u32 v17, v17, v21, v20
	s_and_b64 vcc, exec, s[4:5]
	v_lshl_add_u64 v[16:17], v[16:17], 2, s[28:29]
	s_cbranch_vccnz .LBB937_50
; %bb.42:
	global_load_dword v20, v[16:17], off
	global_load_dword v21, v[18:19], off
	s_mov_b64 s[12:13], -1
	s_waitcnt vmcnt(0)
	v_cmp_eq_f32_e32 vcc, v20, v21
	s_and_saveexec_b64 s[18:19], vcc
	s_cbranch_execz .LBB937_49
; %bb.43:
	s_add_u32 s12, s26, -1
	v_lshl_add_u64 v[18:19], v[18:19], 0, 4
	v_lshl_add_u64 v[20:21], v[16:17], 0, 4
	s_addc_u32 s13, s27, -1
	s_mov_b64 s[36:37], 0
	s_mov_b64 s[40:41], 0
                                        ; implicit-def: $sgpr38_sgpr39
	s_branch .LBB937_46
.LBB937_44:                             ;   in Loop: Header=BB937_46 Depth=1
	global_load_dword v22, v[20:21], off
	global_load_dword v23, v[18:19], off
	s_add_u32 s40, s40, 1
	s_addc_u32 s41, s41, 0
	s_andn2_b64 s[38:39], s[38:39], exec
	v_lshl_add_u64 v[18:19], v[18:19], 0, 4
	v_lshl_add_u64 v[20:21], v[20:21], 0, 4
	s_waitcnt vmcnt(0)
	v_cmp_neq_f32_e32 vcc, v22, v23
	s_and_b64 s[42:43], vcc, exec
	s_or_b64 s[38:39], s[38:39], s[42:43]
.LBB937_45:                             ;   in Loop: Header=BB937_46 Depth=1
	s_and_b64 s[42:43], exec, s[38:39]
	s_or_b64 s[36:37], s[42:43], s[36:37]
	v_mov_b64_e32 v[22:23], s[40:41]
	s_andn2_b64 exec, exec, s[36:37]
	s_cbranch_execz .LBB937_48
.LBB937_46:                             ; =>This Inner Loop Header: Depth=1
	s_or_b64 s[38:39], s[38:39], exec
	s_cmp_eq_u64 s[12:13], s[40:41]
	s_cbranch_scc0 .LBB937_44
; %bb.47:                               ;   in Loop: Header=BB937_46 Depth=1
                                        ; implicit-def: $vgpr18_vgpr19
                                        ; implicit-def: $vgpr20_vgpr21
	s_mov_b64 s[40:41], s[26:27]
	s_branch .LBB937_45
.LBB937_48:
	s_or_b64 exec, exec, s[36:37]
	v_cmp_gt_i64_e32 vcc, s[26:27], v[22:23]
	s_orn2_b64 s[12:13], vcc, exec
.LBB937_49:
	s_or_b64 exec, exec, s[18:19]
.LBB937_50:
	v_mul_lo_u32 v20, v7, s26
	v_mul_lo_u32 v21, v6, s27
	v_mad_u64_u32 v[18:19], s[18:19], v6, s26, 0
	v_add3_u32 v19, v19, v21, v20
	s_mov_b64 s[18:19], 0
	s_and_b64 vcc, exec, s[4:5]
	v_lshl_add_u64 v[20:21], v[18:19], 2, s[28:29]
	s_mov_b64 s[36:37], 0
	s_cbranch_vccnz .LBB937_59
; %bb.51:
	global_load_dword v18, v[20:21], off
	global_load_dword v19, v[16:17], off
	s_mov_b64 s[36:37], -1
	s_waitcnt vmcnt(0)
	v_cmp_eq_f32_e32 vcc, v18, v19
	s_and_saveexec_b64 s[38:39], vcc
	s_cbranch_execz .LBB937_58
; %bb.52:
	s_add_u32 s36, s26, -1
	v_lshl_add_u64 v[16:17], v[16:17], 0, 4
	v_lshl_add_u64 v[18:19], v[20:21], 0, 4
	s_addc_u32 s37, s27, -1
	s_mov_b64 s[40:41], 0
	s_mov_b64 s[44:45], 0
                                        ; implicit-def: $sgpr42_sgpr43
	s_branch .LBB937_55
.LBB937_53:                             ;   in Loop: Header=BB937_55 Depth=1
	global_load_dword v22, v[18:19], off
	global_load_dword v23, v[16:17], off
	s_add_u32 s44, s44, 1
	s_addc_u32 s45, s45, 0
	s_andn2_b64 s[42:43], s[42:43], exec
	v_lshl_add_u64 v[16:17], v[16:17], 0, 4
	v_lshl_add_u64 v[18:19], v[18:19], 0, 4
	s_waitcnt vmcnt(0)
	v_cmp_neq_f32_e32 vcc, v22, v23
	s_and_b64 s[46:47], vcc, exec
	s_or_b64 s[42:43], s[42:43], s[46:47]
.LBB937_54:                             ;   in Loop: Header=BB937_55 Depth=1
	s_and_b64 s[46:47], exec, s[42:43]
	s_or_b64 s[40:41], s[46:47], s[40:41]
	v_mov_b64_e32 v[22:23], s[44:45]
	s_andn2_b64 exec, exec, s[40:41]
	s_cbranch_execz .LBB937_57
.LBB937_55:                             ; =>This Inner Loop Header: Depth=1
	s_or_b64 s[42:43], s[42:43], exec
	s_cmp_eq_u64 s[36:37], s[44:45]
	s_cbranch_scc0 .LBB937_53
; %bb.56:                               ;   in Loop: Header=BB937_55 Depth=1
                                        ; implicit-def: $vgpr16_vgpr17
                                        ; implicit-def: $vgpr18_vgpr19
	s_mov_b64 s[44:45], s[26:27]
	s_branch .LBB937_54
.LBB937_57:
	s_or_b64 exec, exec, s[40:41]
	v_cmp_gt_i64_e32 vcc, s[26:27], v[22:23]
	s_orn2_b64 s[36:37], vcc, exec
.LBB937_58:
	s_or_b64 exec, exec, s[38:39]
.LBB937_59:
	v_mul_lo_u32 v18, v13, s26
	v_mul_lo_u32 v19, v12, s27
	v_mad_u64_u32 v[16:17], s[38:39], v12, s26, 0
	v_add3_u32 v17, v17, v19, v18
	s_and_b64 vcc, exec, s[4:5]
	v_lshl_add_u64 v[18:19], v[16:17], 2, s[28:29]
	s_cbranch_vccnz .LBB937_68
; %bb.60:
	global_load_dword v16, v[18:19], off
	global_load_dword v17, v[20:21], off
	s_mov_b64 s[18:19], -1
	s_waitcnt vmcnt(0)
	v_cmp_eq_f32_e32 vcc, v16, v17
	s_and_saveexec_b64 s[38:39], vcc
	s_cbranch_execz .LBB937_67
; %bb.61:
	s_add_u32 s18, s26, -1
	v_lshl_add_u64 v[16:17], v[20:21], 0, 4
	v_lshl_add_u64 v[20:21], v[18:19], 0, 4
	s_addc_u32 s19, s27, -1
	s_mov_b64 s[40:41], 0
	s_mov_b64 s[44:45], 0
                                        ; implicit-def: $sgpr42_sgpr43
	s_branch .LBB937_64
.LBB937_62:                             ;   in Loop: Header=BB937_64 Depth=1
	global_load_dword v22, v[20:21], off
	global_load_dword v23, v[16:17], off
	s_add_u32 s44, s44, 1
	s_addc_u32 s45, s45, 0
	s_andn2_b64 s[42:43], s[42:43], exec
	v_lshl_add_u64 v[16:17], v[16:17], 0, 4
	v_lshl_add_u64 v[20:21], v[20:21], 0, 4
	s_waitcnt vmcnt(0)
	v_cmp_neq_f32_e32 vcc, v22, v23
	s_and_b64 s[46:47], vcc, exec
	s_or_b64 s[42:43], s[42:43], s[46:47]
.LBB937_63:                             ;   in Loop: Header=BB937_64 Depth=1
	s_and_b64 s[46:47], exec, s[42:43]
	s_or_b64 s[40:41], s[46:47], s[40:41]
	v_mov_b64_e32 v[22:23], s[44:45]
	s_andn2_b64 exec, exec, s[40:41]
	s_cbranch_execz .LBB937_66
.LBB937_64:                             ; =>This Inner Loop Header: Depth=1
	s_or_b64 s[42:43], s[42:43], exec
	s_cmp_eq_u64 s[18:19], s[44:45]
	s_cbranch_scc0 .LBB937_62
; %bb.65:                               ;   in Loop: Header=BB937_64 Depth=1
                                        ; implicit-def: $vgpr16_vgpr17
                                        ; implicit-def: $vgpr20_vgpr21
	s_mov_b64 s[44:45], s[26:27]
	s_branch .LBB937_63
.LBB937_66:
	s_or_b64 exec, exec, s[40:41]
	v_cmp_gt_i64_e32 vcc, s[26:27], v[22:23]
	s_orn2_b64 s[18:19], vcc, exec
.LBB937_67:
	s_or_b64 exec, exec, s[38:39]
.LBB937_68:
	v_mul_lo_u32 v20, v11, s26
	v_mul_lo_u32 v21, v10, s27
	v_mad_u64_u32 v[16:17], s[38:39], v10, s26, 0
	v_add3_u32 v17, v17, v21, v20
	s_mov_b64 s[40:41], 0
	s_and_b64 vcc, exec, s[4:5]
	v_lshl_add_u64 v[16:17], v[16:17], 2, s[28:29]
	s_cbranch_vccnz .LBB937_77
; %bb.69:
	global_load_dword v20, v[16:17], off
	global_load_dword v21, v[18:19], off
	s_mov_b64 s[40:41], -1
	s_waitcnt vmcnt(0)
	v_cmp_eq_f32_e32 vcc, v20, v21
	s_and_saveexec_b64 s[38:39], vcc
	s_cbranch_execz .LBB937_76
; %bb.70:
	s_add_u32 s40, s26, -1
	v_lshl_add_u64 v[18:19], v[18:19], 0, 4
	v_lshl_add_u64 v[20:21], v[16:17], 0, 4
	s_addc_u32 s41, s27, -1
	s_mov_b64 s[42:43], 0
	s_mov_b64 s[46:47], 0
                                        ; implicit-def: $sgpr44_sgpr45
	s_branch .LBB937_73
.LBB937_71:                             ;   in Loop: Header=BB937_73 Depth=1
	global_load_dword v22, v[20:21], off
	global_load_dword v23, v[18:19], off
	s_add_u32 s46, s46, 1
	s_addc_u32 s47, s47, 0
	s_andn2_b64 s[44:45], s[44:45], exec
	v_lshl_add_u64 v[18:19], v[18:19], 0, 4
	v_lshl_add_u64 v[20:21], v[20:21], 0, 4
	s_waitcnt vmcnt(0)
	v_cmp_neq_f32_e32 vcc, v22, v23
	s_and_b64 s[48:49], vcc, exec
	s_or_b64 s[44:45], s[44:45], s[48:49]
.LBB937_72:                             ;   in Loop: Header=BB937_73 Depth=1
	s_and_b64 s[48:49], exec, s[44:45]
	s_or_b64 s[42:43], s[48:49], s[42:43]
	v_mov_b64_e32 v[22:23], s[46:47]
	s_andn2_b64 exec, exec, s[42:43]
	s_cbranch_execz .LBB937_75
.LBB937_73:                             ; =>This Inner Loop Header: Depth=1
	s_or_b64 s[44:45], s[44:45], exec
	s_cmp_eq_u64 s[40:41], s[46:47]
	s_cbranch_scc0 .LBB937_71
; %bb.74:                               ;   in Loop: Header=BB937_73 Depth=1
                                        ; implicit-def: $vgpr18_vgpr19
                                        ; implicit-def: $vgpr20_vgpr21
	s_mov_b64 s[46:47], s[26:27]
	s_branch .LBB937_72
.LBB937_75:
	s_or_b64 exec, exec, s[42:43]
	v_cmp_gt_i64_e32 vcc, s[26:27], v[22:23]
	s_orn2_b64 s[40:41], vcc, exec
.LBB937_76:
	s_or_b64 exec, exec, s[38:39]
.LBB937_77:
	v_cmp_ne_u32_e32 vcc, 0, v0
	s_waitcnt lgkmcnt(0)
	v_mov_b64_e32 v[18:19], s[6:7]
	s_barrier
	s_and_saveexec_b64 s[38:39], vcc
	s_cbranch_execz .LBB937_79
; %bb.78:
	v_add_u32_e32 v18, -8, v31
	ds_read_b64 v[18:19], v18
.LBB937_79:
	s_or_b64 exec, exec, s[38:39]
	v_cndmask_b32_e64 v21, 0, 1, s[36:37]
	v_cndmask_b32_e64 v20, 0, 1, s[18:19]
	;; [unrolled: 1-line block ×3, first 2 shown]
	v_lshlrev_b16_e32 v21, 8, v21
	v_lshlrev_b16_e32 v22, 8, v22
	v_or_b32_sdwa v23, v20, v21 dst_sel:WORD_1 dst_unused:UNUSED_PAD src0_sel:DWORD src1_sel:DWORD
	s_mov_b64 s[36:37], 0
	s_and_b64 vcc, exec, s[4:5]
	s_mov_b64 s[18:19], 0
	s_cbranch_vccnz .LBB937_88
; %bb.80:
	s_waitcnt lgkmcnt(0)
	v_mul_lo_u32 v20, v19, s26
	v_mul_lo_u32 v21, v18, s27
	v_mad_u64_u32 v[18:19], s[18:19], v18, s26, 0
	v_add3_u32 v19, v19, v21, v20
	v_lshl_add_u64 v[18:19], v[18:19], 2, s[28:29]
	global_load_dword v20, v[18:19], off
	global_load_dword v21, v[16:17], off
	s_mov_b64 s[18:19], -1
	s_waitcnt vmcnt(0)
	v_cmp_eq_f32_e32 vcc, v20, v21
	s_and_saveexec_b64 s[38:39], vcc
	s_cbranch_execz .LBB937_87
; %bb.81:
	s_add_u32 s18, s26, -1
	v_lshl_add_u64 v[16:17], v[16:17], 0, 4
	v_lshl_add_u64 v[18:19], v[18:19], 0, 4
	s_addc_u32 s19, s27, -1
	s_mov_b64 s[40:41], 0
	s_mov_b64 s[44:45], 0
                                        ; implicit-def: $sgpr42_sgpr43
	s_branch .LBB937_84
.LBB937_82:                             ;   in Loop: Header=BB937_84 Depth=1
	global_load_dword v20, v[18:19], off
	global_load_dword v21, v[16:17], off
	s_add_u32 s44, s44, 1
	s_addc_u32 s45, s45, 0
	s_andn2_b64 s[42:43], s[42:43], exec
	v_lshl_add_u64 v[16:17], v[16:17], 0, 4
	v_lshl_add_u64 v[18:19], v[18:19], 0, 4
	s_waitcnt vmcnt(0)
	v_cmp_neq_f32_e32 vcc, v20, v21
	s_and_b64 s[46:47], vcc, exec
	s_or_b64 s[42:43], s[42:43], s[46:47]
.LBB937_83:                             ;   in Loop: Header=BB937_84 Depth=1
	s_and_b64 s[46:47], exec, s[42:43]
	s_or_b64 s[40:41], s[46:47], s[40:41]
	v_mov_b64_e32 v[20:21], s[44:45]
	s_andn2_b64 exec, exec, s[40:41]
	s_cbranch_execz .LBB937_86
.LBB937_84:                             ; =>This Inner Loop Header: Depth=1
	s_or_b64 s[42:43], s[42:43], exec
	s_cmp_eq_u64 s[18:19], s[44:45]
	s_cbranch_scc0 .LBB937_82
; %bb.85:                               ;   in Loop: Header=BB937_84 Depth=1
                                        ; implicit-def: $vgpr16_vgpr17
                                        ; implicit-def: $vgpr18_vgpr19
	s_mov_b64 s[44:45], s[26:27]
	s_branch .LBB937_83
.LBB937_86:
	s_or_b64 exec, exec, s[40:41]
	v_cmp_gt_i64_e32 vcc, s[26:27], v[20:21]
	s_orn2_b64 s[18:19], vcc, exec
.LBB937_87:
	s_or_b64 exec, exec, s[38:39]
.LBB937_88:
	v_cndmask_b32_e64 v32, 0, 1, s[12:13]
	v_cndmask_b32_e64 v33, 0, 1, s[14:15]
	;; [unrolled: 1-line block ×3, first 2 shown]
	v_or_b32_e32 v20, v22, v23
	s_and_b64 vcc, exec, s[36:37]
	s_cbranch_vccz .LBB937_169
.LBB937_89:
	v_cmp_gt_u32_e32 vcc, s3, v27
	s_mov_b64 s[12:13], 0
	s_mov_b64 s[10:11], 0
	s_and_saveexec_b64 s[14:15], vcc
	s_cbranch_execz .LBB937_100
; %bb.90:
	s_and_b64 vcc, exec, s[4:5]
	s_mov_b64 s[18:19], 0
	s_cbranch_vccnz .LBB937_99
; %bb.91:
	s_waitcnt lgkmcnt(0)
	v_mul_lo_u32 v18, v5, s26
	v_mul_lo_u32 v19, v4, s27
	v_mad_u64_u32 v[16:17], s[10:11], v4, s26, 0
	v_add3_u32 v17, v17, v19, v18
	v_mul_lo_u32 v18, v15, s26
	v_mul_lo_u32 v19, v14, s27
	v_mad_u64_u32 v[20:21], s[10:11], v14, s26, 0
	v_add3_u32 v21, v21, v19, v18
	v_lshl_add_u64 v[18:19], v[16:17], 2, s[28:29]
	v_lshl_add_u64 v[16:17], v[20:21], 2, s[28:29]
	global_load_dword v20, v[18:19], off
	global_load_dword v21, v[16:17], off
	s_mov_b64 s[18:19], -1
	s_waitcnt vmcnt(0)
	v_cmp_eq_f32_e32 vcc, v20, v21
	s_and_saveexec_b64 s[10:11], vcc
	s_cbranch_execz .LBB937_98
; %bb.92:
	s_add_u32 s18, s26, -1
	v_lshl_add_u64 v[16:17], v[16:17], 0, 4
	v_lshl_add_u64 v[18:19], v[18:19], 0, 4
	s_addc_u32 s19, s27, -1
	s_mov_b64 s[36:37], 0
	s_mov_b64 s[40:41], 0
                                        ; implicit-def: $sgpr38_sgpr39
	s_branch .LBB937_95
.LBB937_93:                             ;   in Loop: Header=BB937_95 Depth=1
	global_load_dword v20, v[18:19], off
	global_load_dword v21, v[16:17], off
	s_add_u32 s40, s40, 1
	s_addc_u32 s41, s41, 0
	s_andn2_b64 s[38:39], s[38:39], exec
	v_lshl_add_u64 v[16:17], v[16:17], 0, 4
	v_lshl_add_u64 v[18:19], v[18:19], 0, 4
	s_waitcnt vmcnt(0)
	v_cmp_neq_f32_e32 vcc, v20, v21
	s_and_b64 s[42:43], vcc, exec
	s_or_b64 s[38:39], s[38:39], s[42:43]
.LBB937_94:                             ;   in Loop: Header=BB937_95 Depth=1
	s_and_b64 s[42:43], exec, s[38:39]
	s_or_b64 s[36:37], s[42:43], s[36:37]
	v_mov_b64_e32 v[20:21], s[40:41]
	s_andn2_b64 exec, exec, s[36:37]
	s_cbranch_execz .LBB937_97
.LBB937_95:                             ; =>This Inner Loop Header: Depth=1
	s_or_b64 s[38:39], s[38:39], exec
	s_cmp_eq_u64 s[18:19], s[40:41]
	s_cbranch_scc0 .LBB937_93
; %bb.96:                               ;   in Loop: Header=BB937_95 Depth=1
                                        ; implicit-def: $vgpr16_vgpr17
                                        ; implicit-def: $vgpr18_vgpr19
	s_mov_b64 s[40:41], s[26:27]
	s_branch .LBB937_94
.LBB937_97:
	s_or_b64 exec, exec, s[36:37]
	v_cmp_gt_i64_e32 vcc, s[26:27], v[20:21]
	s_orn2_b64 s[18:19], vcc, exec
.LBB937_98:
	s_or_b64 exec, exec, s[10:11]
.LBB937_99:
	s_and_b64 s[10:11], s[18:19], exec
.LBB937_100:
	s_or_b64 exec, exec, s[14:15]
	v_cmp_gt_u32_e32 vcc, s3, v29
	s_and_saveexec_b64 s[14:15], vcc
	s_cbranch_execz .LBB937_111
; %bb.101:
	s_and_b64 vcc, exec, s[4:5]
	s_mov_b64 s[18:19], 0
	s_cbranch_vccnz .LBB937_110
; %bb.102:
	s_waitcnt lgkmcnt(0)
	v_mul_lo_u32 v18, v3, s26
	v_mul_lo_u32 v19, v2, s27
	v_mad_u64_u32 v[16:17], s[12:13], v2, s26, 0
	v_add3_u32 v17, v17, v19, v18
	v_mul_lo_u32 v18, v5, s26
	v_mul_lo_u32 v19, v4, s27
	v_mad_u64_u32 v[20:21], s[12:13], v4, s26, 0
	v_add3_u32 v21, v21, v19, v18
	v_lshl_add_u64 v[18:19], v[16:17], 2, s[28:29]
	v_lshl_add_u64 v[16:17], v[20:21], 2, s[28:29]
	global_load_dword v20, v[18:19], off
	global_load_dword v21, v[16:17], off
	s_mov_b64 s[18:19], -1
	s_waitcnt vmcnt(0)
	v_cmp_eq_f32_e32 vcc, v20, v21
	s_and_saveexec_b64 s[12:13], vcc
	s_cbranch_execz .LBB937_109
; %bb.103:
	s_add_u32 s18, s26, -1
	v_lshl_add_u64 v[16:17], v[16:17], 0, 4
	v_lshl_add_u64 v[18:19], v[18:19], 0, 4
	s_addc_u32 s19, s27, -1
	s_mov_b64 s[36:37], 0
	s_mov_b64 s[40:41], 0
                                        ; implicit-def: $sgpr38_sgpr39
	s_branch .LBB937_106
.LBB937_104:                            ;   in Loop: Header=BB937_106 Depth=1
	global_load_dword v20, v[18:19], off
	global_load_dword v21, v[16:17], off
	s_add_u32 s40, s40, 1
	s_addc_u32 s41, s41, 0
	s_andn2_b64 s[38:39], s[38:39], exec
	v_lshl_add_u64 v[16:17], v[16:17], 0, 4
	v_lshl_add_u64 v[18:19], v[18:19], 0, 4
	s_waitcnt vmcnt(0)
	v_cmp_neq_f32_e32 vcc, v20, v21
	s_and_b64 s[42:43], vcc, exec
	s_or_b64 s[38:39], s[38:39], s[42:43]
.LBB937_105:                            ;   in Loop: Header=BB937_106 Depth=1
	s_and_b64 s[42:43], exec, s[38:39]
	s_or_b64 s[36:37], s[42:43], s[36:37]
	v_mov_b64_e32 v[20:21], s[40:41]
	s_andn2_b64 exec, exec, s[36:37]
	s_cbranch_execz .LBB937_108
.LBB937_106:                            ; =>This Inner Loop Header: Depth=1
	s_or_b64 s[38:39], s[38:39], exec
	s_cmp_eq_u64 s[18:19], s[40:41]
	s_cbranch_scc0 .LBB937_104
; %bb.107:                              ;   in Loop: Header=BB937_106 Depth=1
                                        ; implicit-def: $vgpr16_vgpr17
                                        ; implicit-def: $vgpr18_vgpr19
	s_mov_b64 s[40:41], s[26:27]
	s_branch .LBB937_105
.LBB937_108:
	s_or_b64 exec, exec, s[36:37]
	v_cmp_gt_i64_e32 vcc, s[26:27], v[20:21]
	s_orn2_b64 s[18:19], vcc, exec
.LBB937_109:
	s_or_b64 exec, exec, s[12:13]
.LBB937_110:
	s_and_b64 s[12:13], s[18:19], exec
.LBB937_111:
	s_or_b64 exec, exec, s[14:15]
	v_cmp_gt_u32_e32 vcc, s3, v26
	s_mov_b64 s[18:19], 0
	s_mov_b64 s[14:15], 0
	s_and_saveexec_b64 s[36:37], vcc
	s_cbranch_execz .LBB937_122
; %bb.112:
	s_and_b64 vcc, exec, s[4:5]
	s_mov_b64 s[38:39], 0
	s_cbranch_vccnz .LBB937_121
; %bb.113:
	s_waitcnt lgkmcnt(0)
	v_mul_lo_u32 v18, v9, s26
	v_mul_lo_u32 v19, v8, s27
	v_mad_u64_u32 v[16:17], s[14:15], v8, s26, 0
	v_add3_u32 v17, v17, v19, v18
	v_mul_lo_u32 v18, v3, s26
	v_mul_lo_u32 v19, v2, s27
	v_mad_u64_u32 v[20:21], s[14:15], v2, s26, 0
	v_add3_u32 v21, v21, v19, v18
	v_lshl_add_u64 v[18:19], v[16:17], 2, s[28:29]
	v_lshl_add_u64 v[16:17], v[20:21], 2, s[28:29]
	global_load_dword v20, v[18:19], off
	global_load_dword v21, v[16:17], off
	s_mov_b64 s[38:39], -1
	s_waitcnt vmcnt(0)
	v_cmp_eq_f32_e32 vcc, v20, v21
	s_and_saveexec_b64 s[14:15], vcc
	s_cbranch_execz .LBB937_120
; %bb.114:
	s_add_u32 s38, s26, -1
	v_lshl_add_u64 v[16:17], v[16:17], 0, 4
	v_lshl_add_u64 v[18:19], v[18:19], 0, 4
	s_addc_u32 s39, s27, -1
	s_mov_b64 s[40:41], 0
	s_mov_b64 s[44:45], 0
                                        ; implicit-def: $sgpr42_sgpr43
	s_branch .LBB937_117
.LBB937_115:                            ;   in Loop: Header=BB937_117 Depth=1
	global_load_dword v20, v[18:19], off
	global_load_dword v21, v[16:17], off
	s_add_u32 s44, s44, 1
	s_addc_u32 s45, s45, 0
	s_andn2_b64 s[42:43], s[42:43], exec
	v_lshl_add_u64 v[16:17], v[16:17], 0, 4
	v_lshl_add_u64 v[18:19], v[18:19], 0, 4
	s_waitcnt vmcnt(0)
	v_cmp_neq_f32_e32 vcc, v20, v21
	s_and_b64 s[46:47], vcc, exec
	s_or_b64 s[42:43], s[42:43], s[46:47]
.LBB937_116:                            ;   in Loop: Header=BB937_117 Depth=1
	s_and_b64 s[46:47], exec, s[42:43]
	s_or_b64 s[40:41], s[46:47], s[40:41]
	v_mov_b64_e32 v[20:21], s[44:45]
	s_andn2_b64 exec, exec, s[40:41]
	s_cbranch_execz .LBB937_119
.LBB937_117:                            ; =>This Inner Loop Header: Depth=1
	s_or_b64 s[42:43], s[42:43], exec
	s_cmp_eq_u64 s[38:39], s[44:45]
	s_cbranch_scc0 .LBB937_115
; %bb.118:                              ;   in Loop: Header=BB937_117 Depth=1
                                        ; implicit-def: $vgpr16_vgpr17
                                        ; implicit-def: $vgpr18_vgpr19
	s_mov_b64 s[44:45], s[26:27]
	s_branch .LBB937_116
.LBB937_119:
	s_or_b64 exec, exec, s[40:41]
	v_cmp_gt_i64_e32 vcc, s[26:27], v[20:21]
	s_orn2_b64 s[38:39], vcc, exec
.LBB937_120:
	s_or_b64 exec, exec, s[14:15]
.LBB937_121:
	s_and_b64 s[14:15], s[38:39], exec
.LBB937_122:
	s_or_b64 exec, exec, s[36:37]
	v_cmp_gt_u32_e32 vcc, s3, v28
	s_and_saveexec_b64 s[36:37], vcc
	s_cbranch_execz .LBB937_133
; %bb.123:
	s_and_b64 vcc, exec, s[4:5]
	s_mov_b64 s[38:39], 0
	s_cbranch_vccnz .LBB937_132
; %bb.124:
	s_waitcnt lgkmcnt(0)
	v_mul_lo_u32 v18, v7, s26
	v_mul_lo_u32 v19, v6, s27
	v_mad_u64_u32 v[16:17], s[18:19], v6, s26, 0
	v_add3_u32 v17, v17, v19, v18
	v_mul_lo_u32 v18, v9, s26
	v_mul_lo_u32 v19, v8, s27
	v_mad_u64_u32 v[20:21], s[18:19], v8, s26, 0
	v_add3_u32 v21, v21, v19, v18
	v_lshl_add_u64 v[18:19], v[16:17], 2, s[28:29]
	v_lshl_add_u64 v[16:17], v[20:21], 2, s[28:29]
	global_load_dword v20, v[18:19], off
	global_load_dword v21, v[16:17], off
	s_mov_b64 s[38:39], -1
	s_waitcnt vmcnt(0)
	v_cmp_eq_f32_e32 vcc, v20, v21
	s_and_saveexec_b64 s[18:19], vcc
	s_cbranch_execz .LBB937_131
; %bb.125:
	s_add_u32 s38, s26, -1
	v_lshl_add_u64 v[16:17], v[16:17], 0, 4
	v_lshl_add_u64 v[18:19], v[18:19], 0, 4
	s_addc_u32 s39, s27, -1
	s_mov_b64 s[40:41], 0
	s_mov_b64 s[44:45], 0
                                        ; implicit-def: $sgpr42_sgpr43
	s_branch .LBB937_128
.LBB937_126:                            ;   in Loop: Header=BB937_128 Depth=1
	global_load_dword v20, v[18:19], off
	global_load_dword v21, v[16:17], off
	s_add_u32 s44, s44, 1
	s_addc_u32 s45, s45, 0
	s_andn2_b64 s[42:43], s[42:43], exec
	v_lshl_add_u64 v[16:17], v[16:17], 0, 4
	v_lshl_add_u64 v[18:19], v[18:19], 0, 4
	s_waitcnt vmcnt(0)
	v_cmp_neq_f32_e32 vcc, v20, v21
	s_and_b64 s[46:47], vcc, exec
	s_or_b64 s[42:43], s[42:43], s[46:47]
.LBB937_127:                            ;   in Loop: Header=BB937_128 Depth=1
	s_and_b64 s[46:47], exec, s[42:43]
	s_or_b64 s[40:41], s[46:47], s[40:41]
	v_mov_b64_e32 v[20:21], s[44:45]
	s_andn2_b64 exec, exec, s[40:41]
	s_cbranch_execz .LBB937_130
.LBB937_128:                            ; =>This Inner Loop Header: Depth=1
	s_or_b64 s[42:43], s[42:43], exec
	s_cmp_eq_u64 s[38:39], s[44:45]
	s_cbranch_scc0 .LBB937_126
; %bb.129:                              ;   in Loop: Header=BB937_128 Depth=1
                                        ; implicit-def: $vgpr16_vgpr17
                                        ; implicit-def: $vgpr18_vgpr19
	s_mov_b64 s[44:45], s[26:27]
	s_branch .LBB937_127
.LBB937_130:
	s_or_b64 exec, exec, s[40:41]
	v_cmp_gt_i64_e32 vcc, s[26:27], v[20:21]
	s_orn2_b64 s[38:39], vcc, exec
.LBB937_131:
	s_or_b64 exec, exec, s[18:19]
.LBB937_132:
	s_and_b64 s[18:19], s[38:39], exec
.LBB937_133:
	s_or_b64 exec, exec, s[36:37]
	v_cmp_gt_u32_e32 vcc, s3, v24
	s_mov_b64 s[36:37], 0
	s_mov_b64 s[38:39], 0
	s_and_saveexec_b64 s[40:41], vcc
	s_cbranch_execz .LBB937_144
; %bb.134:
	s_and_b64 vcc, exec, s[4:5]
	s_mov_b64 s[42:43], 0
	s_cbranch_vccnz .LBB937_143
; %bb.135:
	s_waitcnt lgkmcnt(0)
	v_mul_lo_u32 v18, v13, s26
	v_mul_lo_u32 v19, v12, s27
	v_mad_u64_u32 v[16:17], s[38:39], v12, s26, 0
	v_add3_u32 v17, v17, v19, v18
	v_mul_lo_u32 v18, v7, s26
	v_mul_lo_u32 v19, v6, s27
	v_mad_u64_u32 v[20:21], s[38:39], v6, s26, 0
	v_add3_u32 v21, v21, v19, v18
	v_lshl_add_u64 v[18:19], v[16:17], 2, s[28:29]
	v_lshl_add_u64 v[16:17], v[20:21], 2, s[28:29]
	global_load_dword v20, v[18:19], off
	global_load_dword v21, v[16:17], off
	s_mov_b64 s[42:43], -1
	s_waitcnt vmcnt(0)
	v_cmp_eq_f32_e32 vcc, v20, v21
	s_and_saveexec_b64 s[38:39], vcc
	s_cbranch_execz .LBB937_142
; %bb.136:
	s_add_u32 s42, s26, -1
	v_lshl_add_u64 v[16:17], v[16:17], 0, 4
	v_lshl_add_u64 v[18:19], v[18:19], 0, 4
	s_addc_u32 s43, s27, -1
	s_mov_b64 s[44:45], 0
	s_mov_b64 s[48:49], 0
                                        ; implicit-def: $sgpr46_sgpr47
	s_branch .LBB937_139
.LBB937_137:                            ;   in Loop: Header=BB937_139 Depth=1
	global_load_dword v20, v[18:19], off
	global_load_dword v21, v[16:17], off
	s_add_u32 s48, s48, 1
	s_addc_u32 s49, s49, 0
	s_andn2_b64 s[46:47], s[46:47], exec
	v_lshl_add_u64 v[16:17], v[16:17], 0, 4
	v_lshl_add_u64 v[18:19], v[18:19], 0, 4
	s_waitcnt vmcnt(0)
	v_cmp_neq_f32_e32 vcc, v20, v21
	s_and_b64 s[50:51], vcc, exec
	s_or_b64 s[46:47], s[46:47], s[50:51]
.LBB937_138:                            ;   in Loop: Header=BB937_139 Depth=1
	s_and_b64 s[50:51], exec, s[46:47]
	s_or_b64 s[44:45], s[50:51], s[44:45]
	v_mov_b64_e32 v[20:21], s[48:49]
	s_andn2_b64 exec, exec, s[44:45]
	s_cbranch_execz .LBB937_141
.LBB937_139:                            ; =>This Inner Loop Header: Depth=1
	s_or_b64 s[46:47], s[46:47], exec
	s_cmp_eq_u64 s[42:43], s[48:49]
	s_cbranch_scc0 .LBB937_137
; %bb.140:                              ;   in Loop: Header=BB937_139 Depth=1
                                        ; implicit-def: $vgpr16_vgpr17
                                        ; implicit-def: $vgpr18_vgpr19
	s_mov_b64 s[48:49], s[26:27]
	s_branch .LBB937_138
.LBB937_141:
	s_or_b64 exec, exec, s[44:45]
	v_cmp_gt_i64_e32 vcc, s[26:27], v[20:21]
	s_orn2_b64 s[42:43], vcc, exec
.LBB937_142:
	s_or_b64 exec, exec, s[38:39]
.LBB937_143:
	s_and_b64 s[38:39], s[42:43], exec
.LBB937_144:
	s_or_b64 exec, exec, s[40:41]
	v_cmp_gt_u32_e32 vcc, s3, v25
	s_and_saveexec_b64 s[40:41], vcc
	s_cbranch_execz .LBB937_155
; %bb.145:
	s_and_b64 vcc, exec, s[4:5]
	s_mov_b64 s[42:43], 0
	s_cbranch_vccnz .LBB937_154
; %bb.146:
	s_waitcnt lgkmcnt(0)
	v_mul_lo_u32 v18, v11, s26
	v_mul_lo_u32 v19, v10, s27
	v_mad_u64_u32 v[16:17], s[36:37], v10, s26, 0
	v_add3_u32 v17, v17, v19, v18
	v_mul_lo_u32 v18, v13, s26
	v_mul_lo_u32 v19, v12, s27
	v_mad_u64_u32 v[20:21], s[36:37], v12, s26, 0
	v_add3_u32 v21, v21, v19, v18
	v_lshl_add_u64 v[18:19], v[16:17], 2, s[28:29]
	v_lshl_add_u64 v[16:17], v[20:21], 2, s[28:29]
	global_load_dword v20, v[18:19], off
	global_load_dword v21, v[16:17], off
	s_mov_b64 s[42:43], -1
	s_waitcnt vmcnt(0)
	v_cmp_eq_f32_e32 vcc, v20, v21
	s_and_saveexec_b64 s[36:37], vcc
	s_cbranch_execz .LBB937_153
; %bb.147:
	s_add_u32 s42, s26, -1
	v_lshl_add_u64 v[16:17], v[16:17], 0, 4
	v_lshl_add_u64 v[18:19], v[18:19], 0, 4
	s_addc_u32 s43, s27, -1
	s_mov_b64 s[44:45], 0
	s_mov_b64 s[48:49], 0
                                        ; implicit-def: $sgpr46_sgpr47
	s_branch .LBB937_150
.LBB937_148:                            ;   in Loop: Header=BB937_150 Depth=1
	global_load_dword v20, v[18:19], off
	global_load_dword v21, v[16:17], off
	s_add_u32 s48, s48, 1
	s_addc_u32 s49, s49, 0
	s_andn2_b64 s[46:47], s[46:47], exec
	v_lshl_add_u64 v[16:17], v[16:17], 0, 4
	v_lshl_add_u64 v[18:19], v[18:19], 0, 4
	s_waitcnt vmcnt(0)
	v_cmp_neq_f32_e32 vcc, v20, v21
	s_and_b64 s[50:51], vcc, exec
	s_or_b64 s[46:47], s[46:47], s[50:51]
.LBB937_149:                            ;   in Loop: Header=BB937_150 Depth=1
	s_and_b64 s[50:51], exec, s[46:47]
	s_or_b64 s[44:45], s[50:51], s[44:45]
	v_mov_b64_e32 v[20:21], s[48:49]
	s_andn2_b64 exec, exec, s[44:45]
	s_cbranch_execz .LBB937_152
.LBB937_150:                            ; =>This Inner Loop Header: Depth=1
	s_or_b64 s[46:47], s[46:47], exec
	s_cmp_eq_u64 s[42:43], s[48:49]
	s_cbranch_scc0 .LBB937_148
; %bb.151:                              ;   in Loop: Header=BB937_150 Depth=1
                                        ; implicit-def: $vgpr16_vgpr17
                                        ; implicit-def: $vgpr18_vgpr19
	s_mov_b64 s[48:49], s[26:27]
	s_branch .LBB937_149
.LBB937_152:
	s_or_b64 exec, exec, s[44:45]
	v_cmp_gt_i64_e32 vcc, s[26:27], v[20:21]
	s_orn2_b64 s[42:43], vcc, exec
.LBB937_153:
	s_or_b64 exec, exec, s[36:37]
.LBB937_154:
	s_and_b64 s[36:37], s[42:43], exec
.LBB937_155:
	s_or_b64 exec, exec, s[40:41]
	v_cmp_ne_u32_e32 vcc, 0, v0
	s_waitcnt lgkmcnt(0)
	v_mov_b64_e32 v[16:17], s[6:7]
	s_barrier
	s_and_saveexec_b64 s[6:7], vcc
	s_cbranch_execz .LBB937_157
; %bb.156:
	v_add_u32_e32 v16, -8, v31
	ds_read_b64 v[16:17], v16
.LBB937_157:
	s_or_b64 exec, exec, s[6:7]
	v_cndmask_b32_e64 v19, 0, 1, s[18:19]
	v_cndmask_b32_e64 v18, 0, 1, s[38:39]
	;; [unrolled: 1-line block ×3, first 2 shown]
	v_lshlrev_b16_e32 v19, 8, v19
	v_cmp_gt_u32_e32 vcc, s3, v1
	v_lshlrev_b16_e32 v22, 8, v20
	v_or_b32_sdwa v23, v18, v19 dst_sel:WORD_1 dst_unused:UNUSED_PAD src0_sel:DWORD src1_sel:DWORD
	s_mov_b64 s[18:19], 0
	s_and_saveexec_b64 s[6:7], vcc
	s_cbranch_execz .LBB937_168
; %bb.158:
	s_and_b64 vcc, exec, s[4:5]
	s_cbranch_vccnz .LBB937_167
; %bb.159:
	s_waitcnt lgkmcnt(0)
	v_mul_lo_u32 v18, v17, s26
	v_mul_lo_u32 v19, v16, s27
	v_mad_u64_u32 v[16:17], s[4:5], v16, s26, 0
	v_add3_u32 v17, v17, v19, v18
	v_mul_lo_u32 v18, v11, s26
	v_mul_lo_u32 v19, v10, s27
	v_mad_u64_u32 v[20:21], s[4:5], v10, s26, 0
	v_add3_u32 v21, v21, v19, v18
	v_lshl_add_u64 v[18:19], v[16:17], 2, s[28:29]
	v_lshl_add_u64 v[16:17], v[20:21], 2, s[28:29]
	global_load_dword v20, v[18:19], off
	global_load_dword v21, v[16:17], off
	s_mov_b64 s[18:19], -1
	s_waitcnt vmcnt(0)
	v_cmp_eq_f32_e32 vcc, v20, v21
	s_and_saveexec_b64 s[4:5], vcc
	s_cbranch_execz .LBB937_166
; %bb.160:
	s_add_u32 s18, s26, -1
	v_lshl_add_u64 v[16:17], v[16:17], 0, 4
	v_lshl_add_u64 v[18:19], v[18:19], 0, 4
	s_addc_u32 s19, s27, -1
	s_mov_b64 s[36:37], 0
	s_mov_b64 s[40:41], 0
                                        ; implicit-def: $sgpr38_sgpr39
	s_branch .LBB937_163
.LBB937_161:                            ;   in Loop: Header=BB937_163 Depth=1
	global_load_dword v20, v[18:19], off
	global_load_dword v21, v[16:17], off
	s_add_u32 s40, s40, 1
	s_addc_u32 s41, s41, 0
	s_andn2_b64 s[38:39], s[38:39], exec
	v_lshl_add_u64 v[16:17], v[16:17], 0, 4
	v_lshl_add_u64 v[18:19], v[18:19], 0, 4
	s_waitcnt vmcnt(0)
	v_cmp_neq_f32_e32 vcc, v20, v21
	s_and_b64 s[42:43], vcc, exec
	s_or_b64 s[38:39], s[38:39], s[42:43]
.LBB937_162:                            ;   in Loop: Header=BB937_163 Depth=1
	s_and_b64 s[42:43], exec, s[38:39]
	s_or_b64 s[36:37], s[42:43], s[36:37]
	v_mov_b64_e32 v[20:21], s[40:41]
	s_andn2_b64 exec, exec, s[36:37]
	s_cbranch_execz .LBB937_165
.LBB937_163:                            ; =>This Inner Loop Header: Depth=1
	s_or_b64 s[38:39], s[38:39], exec
	s_cmp_eq_u64 s[18:19], s[40:41]
	s_cbranch_scc0 .LBB937_161
; %bb.164:                              ;   in Loop: Header=BB937_163 Depth=1
                                        ; implicit-def: $vgpr16_vgpr17
                                        ; implicit-def: $vgpr18_vgpr19
	s_mov_b64 s[40:41], s[26:27]
	s_branch .LBB937_162
.LBB937_165:
	s_or_b64 exec, exec, s[36:37]
	v_cmp_gt_i64_e32 vcc, s[26:27], v[20:21]
	s_orn2_b64 s[18:19], vcc, exec
.LBB937_166:
	s_or_b64 exec, exec, s[4:5]
.LBB937_167:
	s_and_b64 s[18:19], s[18:19], exec
.LBB937_168:
	s_or_b64 exec, exec, s[6:7]
	v_cndmask_b32_e64 v32, 0, 1, s[14:15]
	v_cndmask_b32_e64 v33, 0, 1, s[12:13]
	;; [unrolled: 1-line block ×3, first 2 shown]
	v_or_b32_e32 v20, v22, v23
.LBB937_169:
	s_mov_b64 s[10:11], -1
	s_cbranch_execnz .LBB937_28
.LBB937_170:
	s_movk_i32 s4, 0xffd0
	v_mad_i32_i24 v30, v0, s4, v30
	s_mov_b64 s[12:13], 0
	s_waitcnt lgkmcnt(0)
	v_cmp_gt_i64_e64 s[6:7], s[26:27], 0
	s_and_b64 vcc, exec, s[34:35]
	ds_write_b64 v30, v[14:15]
	s_cbranch_vccz .LBB937_178
; %bb.171:
	v_mul_lo_u32 v18, v5, s26
	v_mul_lo_u32 v19, v4, s27
	v_mad_u64_u32 v[16:17], s[4:5], v4, s26, 0
	v_add3_u32 v17, v17, v19, v18
	v_cndmask_b32_e64 v18, 0, 1, s[6:7]
	v_cmp_ne_u32_e64 s[4:5], 1, v18
	s_andn2_b64 vcc, exec, s[6:7]
	v_lshl_add_u64 v[16:17], v[16:17], 2, s[28:29]
	s_cbranch_vccnz .LBB937_181
; %bb.172:
	v_mul_lo_u32 v20, v15, s26
	v_mul_lo_u32 v21, v14, s27
	v_mad_u64_u32 v[18:19], s[12:13], v14, s26, 0
	v_add3_u32 v19, v19, v21, v20
	v_lshl_add_u64 v[18:19], v[18:19], 2, s[28:29]
	global_load_dword v20, v[16:17], off
	global_load_dword v21, v[18:19], off
	s_mov_b64 s[12:13], -1
	s_waitcnt vmcnt(0)
	v_cmp_eq_f32_e32 vcc, v20, v21
	s_and_saveexec_b64 s[14:15], vcc
	s_cbranch_execz .LBB937_180
; %bb.173:
	s_add_u32 s12, s26, -1
	v_lshl_add_u64 v[18:19], v[18:19], 0, 4
	v_lshl_add_u64 v[20:21], v[16:17], 0, 4
	s_addc_u32 s13, s27, -1
	s_mov_b64 s[18:19], 0
	s_mov_b64 s[38:39], 0
                                        ; implicit-def: $sgpr36_sgpr37
	s_branch .LBB937_176
.LBB937_174:                            ;   in Loop: Header=BB937_176 Depth=1
	global_load_dword v22, v[20:21], off
	global_load_dword v23, v[18:19], off
	s_add_u32 s38, s38, 1
	s_addc_u32 s39, s39, 0
	s_andn2_b64 s[36:37], s[36:37], exec
	v_lshl_add_u64 v[18:19], v[18:19], 0, 4
	v_lshl_add_u64 v[20:21], v[20:21], 0, 4
	s_waitcnt vmcnt(0)
	v_cmp_neq_f32_e32 vcc, v22, v23
	s_and_b64 s[40:41], vcc, exec
	s_or_b64 s[36:37], s[36:37], s[40:41]
.LBB937_175:                            ;   in Loop: Header=BB937_176 Depth=1
	s_and_b64 s[40:41], exec, s[36:37]
	s_or_b64 s[18:19], s[40:41], s[18:19]
	v_mov_b64_e32 v[22:23], s[38:39]
	s_andn2_b64 exec, exec, s[18:19]
	s_cbranch_execz .LBB937_179
.LBB937_176:                            ; =>This Inner Loop Header: Depth=1
	s_or_b64 s[36:37], s[36:37], exec
	s_cmp_eq_u64 s[12:13], s[38:39]
	s_cbranch_scc0 .LBB937_174
; %bb.177:                              ;   in Loop: Header=BB937_176 Depth=1
                                        ; implicit-def: $vgpr18_vgpr19
                                        ; implicit-def: $vgpr20_vgpr21
	s_mov_b64 s[38:39], s[26:27]
	s_branch .LBB937_175
.LBB937_178:
                                        ; implicit-def: $sgpr18_sgpr19
                                        ; implicit-def: $vgpr34
                                        ; implicit-def: $vgpr33
                                        ; implicit-def: $vgpr32
                                        ; implicit-def: $vgpr20
                                        ; implicit-def: $vgpr16_vgpr17
	s_cbranch_execnz .LBB937_238
	s_branch .LBB937_318
.LBB937_179:
	s_or_b64 exec, exec, s[18:19]
	v_cmp_gt_i64_e32 vcc, s[26:27], v[22:23]
	s_orn2_b64 s[12:13], vcc, exec
.LBB937_180:
	s_or_b64 exec, exec, s[14:15]
.LBB937_181:
	v_mul_lo_u32 v20, v3, s26
	v_mul_lo_u32 v21, v2, s27
	v_mad_u64_u32 v[18:19], s[14:15], v2, s26, 0
	v_add3_u32 v19, v19, v21, v20
	s_mov_b64 s[14:15], 0
	s_and_b64 vcc, exec, s[4:5]
	v_lshl_add_u64 v[18:19], v[18:19], 2, s[28:29]
	s_mov_b64 s[18:19], 0
	s_cbranch_vccnz .LBB937_190
; %bb.182:
	global_load_dword v20, v[18:19], off
	global_load_dword v21, v[16:17], off
	s_mov_b64 s[18:19], -1
	s_waitcnt vmcnt(0)
	v_cmp_eq_f32_e32 vcc, v20, v21
	s_and_saveexec_b64 s[36:37], vcc
	s_cbranch_execz .LBB937_189
; %bb.183:
	s_add_u32 s18, s26, -1
	v_lshl_add_u64 v[16:17], v[16:17], 0, 4
	v_lshl_add_u64 v[20:21], v[18:19], 0, 4
	s_addc_u32 s19, s27, -1
	s_mov_b64 s[38:39], 0
	s_mov_b64 s[42:43], 0
                                        ; implicit-def: $sgpr40_sgpr41
	s_branch .LBB937_186
.LBB937_184:                            ;   in Loop: Header=BB937_186 Depth=1
	global_load_dword v22, v[20:21], off
	global_load_dword v23, v[16:17], off
	s_add_u32 s42, s42, 1
	s_addc_u32 s43, s43, 0
	s_andn2_b64 s[40:41], s[40:41], exec
	v_lshl_add_u64 v[16:17], v[16:17], 0, 4
	v_lshl_add_u64 v[20:21], v[20:21], 0, 4
	s_waitcnt vmcnt(0)
	v_cmp_neq_f32_e32 vcc, v22, v23
	s_and_b64 s[44:45], vcc, exec
	s_or_b64 s[40:41], s[40:41], s[44:45]
.LBB937_185:                            ;   in Loop: Header=BB937_186 Depth=1
	s_and_b64 s[44:45], exec, s[40:41]
	s_or_b64 s[38:39], s[44:45], s[38:39]
	v_mov_b64_e32 v[22:23], s[42:43]
	s_andn2_b64 exec, exec, s[38:39]
	s_cbranch_execz .LBB937_188
.LBB937_186:                            ; =>This Inner Loop Header: Depth=1
	s_or_b64 s[40:41], s[40:41], exec
	s_cmp_eq_u64 s[18:19], s[42:43]
	s_cbranch_scc0 .LBB937_184
; %bb.187:                              ;   in Loop: Header=BB937_186 Depth=1
                                        ; implicit-def: $vgpr16_vgpr17
                                        ; implicit-def: $vgpr20_vgpr21
	s_mov_b64 s[42:43], s[26:27]
	s_branch .LBB937_185
.LBB937_188:
	s_or_b64 exec, exec, s[38:39]
	v_cmp_gt_i64_e32 vcc, s[26:27], v[22:23]
	s_orn2_b64 s[18:19], vcc, exec
.LBB937_189:
	s_or_b64 exec, exec, s[36:37]
.LBB937_190:
	v_mul_lo_u32 v20, v9, s26
	v_mul_lo_u32 v21, v8, s27
	v_mad_u64_u32 v[16:17], s[36:37], v8, s26, 0
	v_add3_u32 v17, v17, v21, v20
	s_and_b64 vcc, exec, s[4:5]
	v_lshl_add_u64 v[16:17], v[16:17], 2, s[28:29]
	s_cbranch_vccnz .LBB937_199
; %bb.191:
	global_load_dword v20, v[16:17], off
	global_load_dword v21, v[18:19], off
	s_mov_b64 s[14:15], -1
	s_waitcnt vmcnt(0)
	v_cmp_eq_f32_e32 vcc, v20, v21
	s_and_saveexec_b64 s[36:37], vcc
	s_cbranch_execz .LBB937_198
; %bb.192:
	s_add_u32 s14, s26, -1
	v_lshl_add_u64 v[18:19], v[18:19], 0, 4
	v_lshl_add_u64 v[20:21], v[16:17], 0, 4
	s_addc_u32 s15, s27, -1
	s_mov_b64 s[38:39], 0
	s_mov_b64 s[42:43], 0
                                        ; implicit-def: $sgpr40_sgpr41
	s_branch .LBB937_195
.LBB937_193:                            ;   in Loop: Header=BB937_195 Depth=1
	global_load_dword v22, v[20:21], off
	global_load_dword v23, v[18:19], off
	s_add_u32 s42, s42, 1
	s_addc_u32 s43, s43, 0
	s_andn2_b64 s[40:41], s[40:41], exec
	v_lshl_add_u64 v[18:19], v[18:19], 0, 4
	v_lshl_add_u64 v[20:21], v[20:21], 0, 4
	s_waitcnt vmcnt(0)
	v_cmp_neq_f32_e32 vcc, v22, v23
	s_and_b64 s[44:45], vcc, exec
	s_or_b64 s[40:41], s[40:41], s[44:45]
.LBB937_194:                            ;   in Loop: Header=BB937_195 Depth=1
	s_and_b64 s[44:45], exec, s[40:41]
	s_or_b64 s[38:39], s[44:45], s[38:39]
	v_mov_b64_e32 v[22:23], s[42:43]
	s_andn2_b64 exec, exec, s[38:39]
	s_cbranch_execz .LBB937_197
.LBB937_195:                            ; =>This Inner Loop Header: Depth=1
	s_or_b64 s[40:41], s[40:41], exec
	s_cmp_eq_u64 s[14:15], s[42:43]
	s_cbranch_scc0 .LBB937_193
; %bb.196:                              ;   in Loop: Header=BB937_195 Depth=1
                                        ; implicit-def: $vgpr18_vgpr19
                                        ; implicit-def: $vgpr20_vgpr21
	s_mov_b64 s[42:43], s[26:27]
	s_branch .LBB937_194
.LBB937_197:
	s_or_b64 exec, exec, s[38:39]
	v_cmp_gt_i64_e32 vcc, s[26:27], v[22:23]
	s_orn2_b64 s[14:15], vcc, exec
.LBB937_198:
	s_or_b64 exec, exec, s[36:37]
.LBB937_199:
	v_mul_lo_u32 v20, v7, s26
	v_mul_lo_u32 v21, v6, s27
	v_mad_u64_u32 v[18:19], s[36:37], v6, s26, 0
	v_add3_u32 v19, v19, v21, v20
	s_mov_b64 s[36:37], 0
	s_and_b64 vcc, exec, s[4:5]
	v_lshl_add_u64 v[18:19], v[18:19], 2, s[28:29]
	s_mov_b64 s[38:39], 0
	s_cbranch_vccnz .LBB937_208
; %bb.200:
	global_load_dword v20, v[18:19], off
	global_load_dword v21, v[16:17], off
	s_mov_b64 s[38:39], -1
	s_waitcnt vmcnt(0)
	v_cmp_eq_f32_e32 vcc, v20, v21
	s_and_saveexec_b64 s[40:41], vcc
	s_cbranch_execz .LBB937_207
; %bb.201:
	s_add_u32 s38, s26, -1
	v_lshl_add_u64 v[16:17], v[16:17], 0, 4
	v_lshl_add_u64 v[20:21], v[18:19], 0, 4
	s_addc_u32 s39, s27, -1
	s_mov_b64 s[42:43], 0
	s_mov_b64 s[46:47], 0
                                        ; implicit-def: $sgpr44_sgpr45
	s_branch .LBB937_204
.LBB937_202:                            ;   in Loop: Header=BB937_204 Depth=1
	global_load_dword v22, v[20:21], off
	global_load_dword v23, v[16:17], off
	s_add_u32 s46, s46, 1
	s_addc_u32 s47, s47, 0
	s_andn2_b64 s[44:45], s[44:45], exec
	v_lshl_add_u64 v[16:17], v[16:17], 0, 4
	v_lshl_add_u64 v[20:21], v[20:21], 0, 4
	s_waitcnt vmcnt(0)
	v_cmp_neq_f32_e32 vcc, v22, v23
	s_and_b64 s[48:49], vcc, exec
	s_or_b64 s[44:45], s[44:45], s[48:49]
.LBB937_203:                            ;   in Loop: Header=BB937_204 Depth=1
	s_and_b64 s[48:49], exec, s[44:45]
	s_or_b64 s[42:43], s[48:49], s[42:43]
	v_mov_b64_e32 v[22:23], s[46:47]
	s_andn2_b64 exec, exec, s[42:43]
	s_cbranch_execz .LBB937_206
.LBB937_204:                            ; =>This Inner Loop Header: Depth=1
	s_or_b64 s[44:45], s[44:45], exec
	s_cmp_eq_u64 s[38:39], s[46:47]
	s_cbranch_scc0 .LBB937_202
; %bb.205:                              ;   in Loop: Header=BB937_204 Depth=1
                                        ; implicit-def: $vgpr16_vgpr17
                                        ; implicit-def: $vgpr20_vgpr21
	s_mov_b64 s[46:47], s[26:27]
	s_branch .LBB937_203
.LBB937_206:
	s_or_b64 exec, exec, s[42:43]
	v_cmp_gt_i64_e32 vcc, s[26:27], v[22:23]
	s_orn2_b64 s[38:39], vcc, exec
.LBB937_207:
	s_or_b64 exec, exec, s[40:41]
.LBB937_208:
	v_mul_lo_u32 v20, v13, s26
	v_mul_lo_u32 v21, v12, s27
	v_mad_u64_u32 v[16:17], s[40:41], v12, s26, 0
	v_add3_u32 v17, v17, v21, v20
	s_and_b64 vcc, exec, s[4:5]
	v_lshl_add_u64 v[16:17], v[16:17], 2, s[28:29]
	s_cbranch_vccnz .LBB937_217
; %bb.209:
	global_load_dword v20, v[16:17], off
	global_load_dword v21, v[18:19], off
	s_mov_b64 s[36:37], -1
	s_waitcnt vmcnt(0)
	v_cmp_eq_f32_e32 vcc, v20, v21
	s_and_saveexec_b64 s[40:41], vcc
	s_cbranch_execz .LBB937_216
; %bb.210:
	s_add_u32 s36, s26, -1
	v_lshl_add_u64 v[18:19], v[18:19], 0, 4
	v_lshl_add_u64 v[20:21], v[16:17], 0, 4
	s_addc_u32 s37, s27, -1
	s_mov_b64 s[42:43], 0
	s_mov_b64 s[46:47], 0
                                        ; implicit-def: $sgpr44_sgpr45
	s_branch .LBB937_213
.LBB937_211:                            ;   in Loop: Header=BB937_213 Depth=1
	global_load_dword v22, v[20:21], off
	global_load_dword v23, v[18:19], off
	s_add_u32 s46, s46, 1
	s_addc_u32 s47, s47, 0
	s_andn2_b64 s[44:45], s[44:45], exec
	v_lshl_add_u64 v[18:19], v[18:19], 0, 4
	v_lshl_add_u64 v[20:21], v[20:21], 0, 4
	s_waitcnt vmcnt(0)
	v_cmp_neq_f32_e32 vcc, v22, v23
	s_and_b64 s[48:49], vcc, exec
	s_or_b64 s[44:45], s[44:45], s[48:49]
.LBB937_212:                            ;   in Loop: Header=BB937_213 Depth=1
	s_and_b64 s[48:49], exec, s[44:45]
	s_or_b64 s[42:43], s[48:49], s[42:43]
	v_mov_b64_e32 v[22:23], s[46:47]
	s_andn2_b64 exec, exec, s[42:43]
	s_cbranch_execz .LBB937_215
.LBB937_213:                            ; =>This Inner Loop Header: Depth=1
	s_or_b64 s[44:45], s[44:45], exec
	s_cmp_eq_u64 s[36:37], s[46:47]
	s_cbranch_scc0 .LBB937_211
; %bb.214:                              ;   in Loop: Header=BB937_213 Depth=1
                                        ; implicit-def: $vgpr18_vgpr19
                                        ; implicit-def: $vgpr20_vgpr21
	s_mov_b64 s[46:47], s[26:27]
	s_branch .LBB937_212
.LBB937_215:
	s_or_b64 exec, exec, s[42:43]
	v_cmp_gt_i64_e32 vcc, s[26:27], v[22:23]
	s_orn2_b64 s[36:37], vcc, exec
.LBB937_216:
	s_or_b64 exec, exec, s[40:41]
.LBB937_217:
	v_mul_lo_u32 v20, v11, s26
	v_mul_lo_u32 v21, v10, s27
	v_mad_u64_u32 v[18:19], s[40:41], v10, s26, 0
	v_add3_u32 v19, v19, v21, v20
	s_and_b64 vcc, exec, s[4:5]
	s_mov_b64 s[42:43], 0
	s_cbranch_vccnz .LBB937_226
; %bb.218:
	v_lshl_add_u64 v[20:21], v[18:19], 2, s[28:29]
	global_load_dword v22, v[20:21], off
	global_load_dword v23, v[16:17], off
	s_mov_b64 s[42:43], -1
	s_waitcnt vmcnt(0)
	v_cmp_eq_f32_e32 vcc, v22, v23
	s_and_saveexec_b64 s[40:41], vcc
	s_cbranch_execz .LBB937_225
; %bb.219:
	s_add_u32 s42, s26, -1
	v_lshl_add_u64 v[16:17], v[16:17], 0, 4
	v_lshl_add_u64 v[20:21], v[20:21], 0, 4
	s_addc_u32 s43, s27, -1
	s_mov_b64 s[44:45], 0
	s_mov_b64 s[48:49], 0
                                        ; implicit-def: $sgpr46_sgpr47
	s_branch .LBB937_222
.LBB937_220:                            ;   in Loop: Header=BB937_222 Depth=1
	global_load_dword v22, v[20:21], off
	global_load_dword v23, v[16:17], off
	s_add_u32 s48, s48, 1
	s_addc_u32 s49, s49, 0
	s_andn2_b64 s[46:47], s[46:47], exec
	v_lshl_add_u64 v[16:17], v[16:17], 0, 4
	v_lshl_add_u64 v[20:21], v[20:21], 0, 4
	s_waitcnt vmcnt(0)
	v_cmp_neq_f32_e32 vcc, v22, v23
	s_and_b64 s[50:51], vcc, exec
	s_or_b64 s[46:47], s[46:47], s[50:51]
.LBB937_221:                            ;   in Loop: Header=BB937_222 Depth=1
	s_and_b64 s[50:51], exec, s[46:47]
	s_or_b64 s[44:45], s[50:51], s[44:45]
	v_mov_b64_e32 v[22:23], s[48:49]
	s_andn2_b64 exec, exec, s[44:45]
	s_cbranch_execz .LBB937_224
.LBB937_222:                            ; =>This Inner Loop Header: Depth=1
	s_or_b64 s[46:47], s[46:47], exec
	s_cmp_eq_u64 s[42:43], s[48:49]
	s_cbranch_scc0 .LBB937_220
; %bb.223:                              ;   in Loop: Header=BB937_222 Depth=1
                                        ; implicit-def: $vgpr16_vgpr17
                                        ; implicit-def: $vgpr20_vgpr21
	s_mov_b64 s[48:49], s[26:27]
	s_branch .LBB937_221
.LBB937_224:
	s_or_b64 exec, exec, s[44:45]
	v_cmp_gt_i64_e32 vcc, s[26:27], v[22:23]
	s_orn2_b64 s[42:43], vcc, exec
.LBB937_225:
	s_or_b64 exec, exec, s[40:41]
.LBB937_226:
	v_cndmask_b32_e64 v17, 0, 1, s[38:39]
	v_cndmask_b32_e64 v16, 0, 1, s[36:37]
	;; [unrolled: 1-line block ×3, first 2 shown]
	v_lshlrev_b16_e32 v17, 8, v17
	v_cndmask_b32_e64 v32, 0, 1, s[14:15]
	v_cndmask_b32_e64 v20, 0, 1, s[42:43]
	v_or_b32_sdwa v16, v16, v17 dst_sel:WORD_1 dst_unused:UNUSED_PAD src0_sel:DWORD src1_sel:DWORD
	v_lshlrev_b16_e32 v17, 8, v33
	v_lshlrev_b16_e32 v20, 8, v20
	v_or_b32_e32 v17, v32, v17
	v_or_b32_e32 v20, 1, v20
	v_and_b32_e32 v17, 0xffff, v17
	v_cndmask_b32_e64 v34, 0, 1, s[12:13]
	v_or_b32_sdwa v16, v20, v16 dst_sel:DWORD dst_unused:UNUSED_PAD src0_sel:WORD_0 src1_sel:DWORD
	v_lshl_or_b32 v17, v34, 16, v17
	v_cmp_ne_u32_e32 vcc, 0, v0
	s_waitcnt lgkmcnt(0)
	s_barrier
	s_waitcnt lgkmcnt(0)
                                        ; implicit-def: $sgpr18_sgpr19
                                        ; implicit-def: $vgpr20
	s_and_saveexec_b64 s[12:13], vcc
	s_xor_b64 s[12:13], exec, s[12:13]
	s_cbranch_execz .LBB937_237
; %bb.227:
	s_mov_b32 s33, 0x3020104
	s_and_b64 vcc, exec, s[4:5]
	s_mov_b64 s[14:15], 0
	s_cbranch_vccnz .LBB937_236
; %bb.228:
	v_add_u32_e32 v17, -8, v30
	ds_read_b64 v[20:21], v17
	v_lshl_add_u64 v[18:19], v[18:19], 2, s[28:29]
	s_mov_b64 s[14:15], -1
	s_waitcnt lgkmcnt(0)
	v_mul_lo_u32 v17, v21, s26
	v_mul_lo_u32 v22, v20, s27
	v_mad_u64_u32 v[20:21], s[4:5], v20, s26, 0
	v_add3_u32 v21, v21, v22, v17
	v_lshl_add_u64 v[20:21], v[20:21], 2, s[28:29]
	global_load_dword v17, v[20:21], off
	global_load_dword v22, v[18:19], off
	s_waitcnt vmcnt(0)
	v_cmp_eq_f32_e32 vcc, v17, v22
	s_and_saveexec_b64 s[4:5], vcc
	s_cbranch_execz .LBB937_235
; %bb.229:
	s_add_u32 s14, s26, -1
	v_lshl_add_u64 v[18:19], v[18:19], 0, 4
	v_lshl_add_u64 v[20:21], v[20:21], 0, 4
	s_addc_u32 s15, s27, -1
	s_mov_b64 s[18:19], 0
	s_mov_b64 s[38:39], 0
                                        ; implicit-def: $sgpr36_sgpr37
	s_branch .LBB937_232
.LBB937_230:                            ;   in Loop: Header=BB937_232 Depth=1
	global_load_dword v17, v[20:21], off
	global_load_dword v22, v[18:19], off
	s_add_u32 s38, s38, 1
	s_addc_u32 s39, s39, 0
	s_andn2_b64 s[36:37], s[36:37], exec
	v_lshl_add_u64 v[18:19], v[18:19], 0, 4
	v_lshl_add_u64 v[20:21], v[20:21], 0, 4
	s_waitcnt vmcnt(0)
	v_cmp_neq_f32_e32 vcc, v17, v22
	s_and_b64 s[40:41], vcc, exec
	s_or_b64 s[36:37], s[36:37], s[40:41]
.LBB937_231:                            ;   in Loop: Header=BB937_232 Depth=1
	s_and_b64 s[40:41], exec, s[36:37]
	s_or_b64 s[18:19], s[40:41], s[18:19]
	v_mov_b64_e32 v[22:23], s[38:39]
	s_andn2_b64 exec, exec, s[18:19]
	s_cbranch_execz .LBB937_234
.LBB937_232:                            ; =>This Inner Loop Header: Depth=1
	s_or_b64 s[36:37], s[36:37], exec
	s_cmp_eq_u64 s[14:15], s[38:39]
	s_cbranch_scc0 .LBB937_230
; %bb.233:                              ;   in Loop: Header=BB937_232 Depth=1
                                        ; implicit-def: $vgpr18_vgpr19
                                        ; implicit-def: $vgpr20_vgpr21
	s_mov_b64 s[38:39], s[26:27]
	s_branch .LBB937_231
.LBB937_234:
	s_or_b64 exec, exec, s[18:19]
	v_cmp_gt_i64_e32 vcc, s[26:27], v[22:23]
	s_orn2_b64 s[14:15], vcc, exec
.LBB937_235:
	s_or_b64 exec, exec, s[4:5]
.LBB937_236:
	v_perm_b32 v20, v16, v16, s33
	s_and_b64 s[18:19], s[14:15], exec
	s_or_b64 s[10:11], s[10:11], exec
                                        ; implicit-def: $vgpr16_vgpr17
.LBB937_237:
	s_or_b64 exec, exec, s[12:13]
	s_branch .LBB937_318
.LBB937_238:
	v_cmp_gt_u32_e32 vcc, s3, v27
	s_mov_b64 s[12:13], 0
	s_mov_b64 s[4:5], 0
	s_and_saveexec_b64 s[14:15], vcc
	s_cbranch_execz .LBB937_249
; %bb.239:
	s_andn2_b64 vcc, exec, s[6:7]
	s_mov_b64 s[18:19], 0
	s_cbranch_vccnz .LBB937_248
; %bb.240:
	v_mul_lo_u32 v18, v5, s26
	v_mul_lo_u32 v19, v4, s27
	v_mad_u64_u32 v[16:17], s[4:5], v4, s26, 0
	v_add3_u32 v17, v17, v19, v18
	v_mul_lo_u32 v18, v15, s26
	v_mul_lo_u32 v19, v14, s27
	v_mad_u64_u32 v[20:21], s[4:5], v14, s26, 0
	v_add3_u32 v21, v21, v19, v18
	v_lshl_add_u64 v[18:19], v[16:17], 2, s[28:29]
	v_lshl_add_u64 v[16:17], v[20:21], 2, s[28:29]
	global_load_dword v20, v[18:19], off
	global_load_dword v21, v[16:17], off
	s_mov_b64 s[18:19], -1
	s_waitcnt vmcnt(0)
	v_cmp_eq_f32_e32 vcc, v20, v21
	s_and_saveexec_b64 s[4:5], vcc
	s_cbranch_execz .LBB937_247
; %bb.241:
	s_add_u32 s18, s26, -1
	v_lshl_add_u64 v[16:17], v[16:17], 0, 4
	v_lshl_add_u64 v[18:19], v[18:19], 0, 4
	s_addc_u32 s19, s27, -1
	s_mov_b64 s[36:37], 0
	s_mov_b64 s[40:41], 0
                                        ; implicit-def: $sgpr38_sgpr39
	s_branch .LBB937_244
.LBB937_242:                            ;   in Loop: Header=BB937_244 Depth=1
	global_load_dword v20, v[18:19], off
	global_load_dword v21, v[16:17], off
	s_add_u32 s40, s40, 1
	s_addc_u32 s41, s41, 0
	s_andn2_b64 s[38:39], s[38:39], exec
	v_lshl_add_u64 v[16:17], v[16:17], 0, 4
	v_lshl_add_u64 v[18:19], v[18:19], 0, 4
	s_waitcnt vmcnt(0)
	v_cmp_neq_f32_e32 vcc, v20, v21
	s_and_b64 s[42:43], vcc, exec
	s_or_b64 s[38:39], s[38:39], s[42:43]
.LBB937_243:                            ;   in Loop: Header=BB937_244 Depth=1
	s_and_b64 s[42:43], exec, s[38:39]
	s_or_b64 s[36:37], s[42:43], s[36:37]
	v_mov_b64_e32 v[20:21], s[40:41]
	s_andn2_b64 exec, exec, s[36:37]
	s_cbranch_execz .LBB937_246
.LBB937_244:                            ; =>This Inner Loop Header: Depth=1
	s_or_b64 s[38:39], s[38:39], exec
	s_cmp_eq_u64 s[18:19], s[40:41]
	s_cbranch_scc0 .LBB937_242
; %bb.245:                              ;   in Loop: Header=BB937_244 Depth=1
                                        ; implicit-def: $vgpr16_vgpr17
                                        ; implicit-def: $vgpr18_vgpr19
	s_mov_b64 s[40:41], s[26:27]
	s_branch .LBB937_243
.LBB937_246:
	s_or_b64 exec, exec, s[36:37]
	v_cmp_gt_i64_e32 vcc, s[26:27], v[20:21]
	s_orn2_b64 s[18:19], vcc, exec
.LBB937_247:
	s_or_b64 exec, exec, s[4:5]
.LBB937_248:
	s_and_b64 s[4:5], s[18:19], exec
.LBB937_249:
	s_or_b64 exec, exec, s[14:15]
	v_cmp_gt_u32_e32 vcc, s3, v29
	s_and_saveexec_b64 s[14:15], vcc
	s_cbranch_execz .LBB937_260
; %bb.250:
	s_andn2_b64 vcc, exec, s[6:7]
	s_mov_b64 s[18:19], 0
	s_cbranch_vccnz .LBB937_259
; %bb.251:
	v_mul_lo_u32 v18, v3, s26
	v_mul_lo_u32 v19, v2, s27
	v_mad_u64_u32 v[16:17], s[12:13], v2, s26, 0
	v_add3_u32 v17, v17, v19, v18
	v_mul_lo_u32 v18, v5, s26
	v_mul_lo_u32 v19, v4, s27
	v_mad_u64_u32 v[20:21], s[12:13], v4, s26, 0
	v_add3_u32 v21, v21, v19, v18
	v_lshl_add_u64 v[18:19], v[16:17], 2, s[28:29]
	v_lshl_add_u64 v[16:17], v[20:21], 2, s[28:29]
	global_load_dword v20, v[18:19], off
	global_load_dword v21, v[16:17], off
	s_mov_b64 s[18:19], -1
	s_waitcnt vmcnt(0)
	v_cmp_eq_f32_e32 vcc, v20, v21
	s_and_saveexec_b64 s[12:13], vcc
	s_cbranch_execz .LBB937_258
; %bb.252:
	s_add_u32 s18, s26, -1
	v_lshl_add_u64 v[16:17], v[16:17], 0, 4
	v_lshl_add_u64 v[18:19], v[18:19], 0, 4
	s_addc_u32 s19, s27, -1
	s_mov_b64 s[36:37], 0
	s_mov_b64 s[40:41], 0
                                        ; implicit-def: $sgpr38_sgpr39
	s_branch .LBB937_255
.LBB937_253:                            ;   in Loop: Header=BB937_255 Depth=1
	global_load_dword v20, v[18:19], off
	global_load_dword v21, v[16:17], off
	s_add_u32 s40, s40, 1
	s_addc_u32 s41, s41, 0
	s_andn2_b64 s[38:39], s[38:39], exec
	v_lshl_add_u64 v[16:17], v[16:17], 0, 4
	v_lshl_add_u64 v[18:19], v[18:19], 0, 4
	s_waitcnt vmcnt(0)
	v_cmp_neq_f32_e32 vcc, v20, v21
	s_and_b64 s[42:43], vcc, exec
	s_or_b64 s[38:39], s[38:39], s[42:43]
.LBB937_254:                            ;   in Loop: Header=BB937_255 Depth=1
	s_and_b64 s[42:43], exec, s[38:39]
	s_or_b64 s[36:37], s[42:43], s[36:37]
	v_mov_b64_e32 v[20:21], s[40:41]
	s_andn2_b64 exec, exec, s[36:37]
	s_cbranch_execz .LBB937_257
.LBB937_255:                            ; =>This Inner Loop Header: Depth=1
	s_or_b64 s[38:39], s[38:39], exec
	s_cmp_eq_u64 s[18:19], s[40:41]
	s_cbranch_scc0 .LBB937_253
; %bb.256:                              ;   in Loop: Header=BB937_255 Depth=1
                                        ; implicit-def: $vgpr16_vgpr17
                                        ; implicit-def: $vgpr18_vgpr19
	s_mov_b64 s[40:41], s[26:27]
	s_branch .LBB937_254
.LBB937_257:
	s_or_b64 exec, exec, s[36:37]
	v_cmp_gt_i64_e32 vcc, s[26:27], v[20:21]
	s_orn2_b64 s[18:19], vcc, exec
.LBB937_258:
	s_or_b64 exec, exec, s[12:13]
.LBB937_259:
	s_and_b64 s[12:13], s[18:19], exec
.LBB937_260:
	s_or_b64 exec, exec, s[14:15]
	v_cmp_gt_u32_e32 vcc, s3, v26
	s_mov_b64 s[18:19], 0
	s_mov_b64 s[14:15], 0
	s_and_saveexec_b64 s[36:37], vcc
	s_cbranch_execz .LBB937_271
; %bb.261:
	s_andn2_b64 vcc, exec, s[6:7]
	s_mov_b64 s[38:39], 0
	s_cbranch_vccnz .LBB937_270
; %bb.262:
	v_mul_lo_u32 v18, v9, s26
	v_mul_lo_u32 v19, v8, s27
	v_mad_u64_u32 v[16:17], s[14:15], v8, s26, 0
	v_add3_u32 v17, v17, v19, v18
	v_mul_lo_u32 v18, v3, s26
	v_mul_lo_u32 v19, v2, s27
	v_mad_u64_u32 v[20:21], s[14:15], v2, s26, 0
	v_add3_u32 v21, v21, v19, v18
	v_lshl_add_u64 v[18:19], v[16:17], 2, s[28:29]
	v_lshl_add_u64 v[16:17], v[20:21], 2, s[28:29]
	global_load_dword v20, v[18:19], off
	global_load_dword v21, v[16:17], off
	s_mov_b64 s[38:39], -1
	s_waitcnt vmcnt(0)
	v_cmp_eq_f32_e32 vcc, v20, v21
	s_and_saveexec_b64 s[14:15], vcc
	s_cbranch_execz .LBB937_269
; %bb.263:
	s_add_u32 s38, s26, -1
	v_lshl_add_u64 v[16:17], v[16:17], 0, 4
	v_lshl_add_u64 v[18:19], v[18:19], 0, 4
	s_addc_u32 s39, s27, -1
	s_mov_b64 s[40:41], 0
	s_mov_b64 s[44:45], 0
                                        ; implicit-def: $sgpr42_sgpr43
	s_branch .LBB937_266
.LBB937_264:                            ;   in Loop: Header=BB937_266 Depth=1
	global_load_dword v20, v[18:19], off
	global_load_dword v21, v[16:17], off
	s_add_u32 s44, s44, 1
	s_addc_u32 s45, s45, 0
	s_andn2_b64 s[42:43], s[42:43], exec
	v_lshl_add_u64 v[16:17], v[16:17], 0, 4
	v_lshl_add_u64 v[18:19], v[18:19], 0, 4
	s_waitcnt vmcnt(0)
	v_cmp_neq_f32_e32 vcc, v20, v21
	s_and_b64 s[46:47], vcc, exec
	s_or_b64 s[42:43], s[42:43], s[46:47]
.LBB937_265:                            ;   in Loop: Header=BB937_266 Depth=1
	s_and_b64 s[46:47], exec, s[42:43]
	s_or_b64 s[40:41], s[46:47], s[40:41]
	v_mov_b64_e32 v[20:21], s[44:45]
	s_andn2_b64 exec, exec, s[40:41]
	s_cbranch_execz .LBB937_268
.LBB937_266:                            ; =>This Inner Loop Header: Depth=1
	s_or_b64 s[42:43], s[42:43], exec
	s_cmp_eq_u64 s[38:39], s[44:45]
	s_cbranch_scc0 .LBB937_264
; %bb.267:                              ;   in Loop: Header=BB937_266 Depth=1
                                        ; implicit-def: $vgpr16_vgpr17
                                        ; implicit-def: $vgpr18_vgpr19
	s_mov_b64 s[44:45], s[26:27]
	s_branch .LBB937_265
.LBB937_268:
	s_or_b64 exec, exec, s[40:41]
	v_cmp_gt_i64_e32 vcc, s[26:27], v[20:21]
	s_orn2_b64 s[38:39], vcc, exec
.LBB937_269:
	s_or_b64 exec, exec, s[14:15]
.LBB937_270:
	s_and_b64 s[14:15], s[38:39], exec
.LBB937_271:
	s_or_b64 exec, exec, s[36:37]
	v_cmp_gt_u32_e32 vcc, s3, v28
	s_and_saveexec_b64 s[36:37], vcc
	s_cbranch_execz .LBB937_282
; %bb.272:
	s_andn2_b64 vcc, exec, s[6:7]
	s_mov_b64 s[38:39], 0
	s_cbranch_vccnz .LBB937_281
; %bb.273:
	v_mul_lo_u32 v18, v7, s26
	v_mul_lo_u32 v19, v6, s27
	v_mad_u64_u32 v[16:17], s[18:19], v6, s26, 0
	v_add3_u32 v17, v17, v19, v18
	v_mul_lo_u32 v18, v9, s26
	v_mul_lo_u32 v19, v8, s27
	v_mad_u64_u32 v[20:21], s[18:19], v8, s26, 0
	v_add3_u32 v21, v21, v19, v18
	v_lshl_add_u64 v[18:19], v[16:17], 2, s[28:29]
	v_lshl_add_u64 v[16:17], v[20:21], 2, s[28:29]
	global_load_dword v20, v[18:19], off
	global_load_dword v21, v[16:17], off
	s_mov_b64 s[38:39], -1
	s_waitcnt vmcnt(0)
	v_cmp_eq_f32_e32 vcc, v20, v21
	s_and_saveexec_b64 s[18:19], vcc
	s_cbranch_execz .LBB937_280
; %bb.274:
	s_add_u32 s38, s26, -1
	v_lshl_add_u64 v[16:17], v[16:17], 0, 4
	v_lshl_add_u64 v[18:19], v[18:19], 0, 4
	s_addc_u32 s39, s27, -1
	s_mov_b64 s[40:41], 0
	s_mov_b64 s[44:45], 0
                                        ; implicit-def: $sgpr42_sgpr43
	s_branch .LBB937_277
.LBB937_275:                            ;   in Loop: Header=BB937_277 Depth=1
	global_load_dword v20, v[18:19], off
	global_load_dword v21, v[16:17], off
	s_add_u32 s44, s44, 1
	s_addc_u32 s45, s45, 0
	s_andn2_b64 s[42:43], s[42:43], exec
	v_lshl_add_u64 v[16:17], v[16:17], 0, 4
	v_lshl_add_u64 v[18:19], v[18:19], 0, 4
	s_waitcnt vmcnt(0)
	v_cmp_neq_f32_e32 vcc, v20, v21
	s_and_b64 s[46:47], vcc, exec
	s_or_b64 s[42:43], s[42:43], s[46:47]
.LBB937_276:                            ;   in Loop: Header=BB937_277 Depth=1
	s_and_b64 s[46:47], exec, s[42:43]
	s_or_b64 s[40:41], s[46:47], s[40:41]
	v_mov_b64_e32 v[20:21], s[44:45]
	s_andn2_b64 exec, exec, s[40:41]
	s_cbranch_execz .LBB937_279
.LBB937_277:                            ; =>This Inner Loop Header: Depth=1
	s_or_b64 s[42:43], s[42:43], exec
	s_cmp_eq_u64 s[38:39], s[44:45]
	s_cbranch_scc0 .LBB937_275
; %bb.278:                              ;   in Loop: Header=BB937_277 Depth=1
                                        ; implicit-def: $vgpr16_vgpr17
                                        ; implicit-def: $vgpr18_vgpr19
	s_mov_b64 s[44:45], s[26:27]
	s_branch .LBB937_276
.LBB937_279:
	s_or_b64 exec, exec, s[40:41]
	v_cmp_gt_i64_e32 vcc, s[26:27], v[20:21]
	s_orn2_b64 s[38:39], vcc, exec
.LBB937_280:
	s_or_b64 exec, exec, s[18:19]
.LBB937_281:
	s_and_b64 s[18:19], s[38:39], exec
.LBB937_282:
	s_or_b64 exec, exec, s[36:37]
	v_cmp_gt_u32_e32 vcc, s3, v24
	s_mov_b64 s[36:37], 0
	s_mov_b64 s[38:39], 0
	s_and_saveexec_b64 s[40:41], vcc
	s_cbranch_execz .LBB937_293
; %bb.283:
	s_andn2_b64 vcc, exec, s[6:7]
	s_mov_b64 s[42:43], 0
	s_cbranch_vccnz .LBB937_292
; %bb.284:
	v_mul_lo_u32 v18, v13, s26
	v_mul_lo_u32 v19, v12, s27
	v_mad_u64_u32 v[16:17], s[38:39], v12, s26, 0
	v_add3_u32 v17, v17, v19, v18
	v_mul_lo_u32 v18, v7, s26
	v_mul_lo_u32 v19, v6, s27
	v_mad_u64_u32 v[20:21], s[38:39], v6, s26, 0
	v_add3_u32 v21, v21, v19, v18
	v_lshl_add_u64 v[18:19], v[16:17], 2, s[28:29]
	v_lshl_add_u64 v[16:17], v[20:21], 2, s[28:29]
	global_load_dword v20, v[18:19], off
	global_load_dword v21, v[16:17], off
	s_mov_b64 s[42:43], -1
	s_waitcnt vmcnt(0)
	v_cmp_eq_f32_e32 vcc, v20, v21
	s_and_saveexec_b64 s[38:39], vcc
	s_cbranch_execz .LBB937_291
; %bb.285:
	s_add_u32 s42, s26, -1
	v_lshl_add_u64 v[16:17], v[16:17], 0, 4
	v_lshl_add_u64 v[18:19], v[18:19], 0, 4
	s_addc_u32 s43, s27, -1
	s_mov_b64 s[44:45], 0
	s_mov_b64 s[48:49], 0
                                        ; implicit-def: $sgpr46_sgpr47
	s_branch .LBB937_288
.LBB937_286:                            ;   in Loop: Header=BB937_288 Depth=1
	global_load_dword v20, v[18:19], off
	global_load_dword v21, v[16:17], off
	s_add_u32 s48, s48, 1
	s_addc_u32 s49, s49, 0
	s_andn2_b64 s[46:47], s[46:47], exec
	v_lshl_add_u64 v[16:17], v[16:17], 0, 4
	v_lshl_add_u64 v[18:19], v[18:19], 0, 4
	s_waitcnt vmcnt(0)
	v_cmp_neq_f32_e32 vcc, v20, v21
	s_and_b64 s[50:51], vcc, exec
	s_or_b64 s[46:47], s[46:47], s[50:51]
.LBB937_287:                            ;   in Loop: Header=BB937_288 Depth=1
	s_and_b64 s[50:51], exec, s[46:47]
	s_or_b64 s[44:45], s[50:51], s[44:45]
	v_mov_b64_e32 v[20:21], s[48:49]
	s_andn2_b64 exec, exec, s[44:45]
	s_cbranch_execz .LBB937_290
.LBB937_288:                            ; =>This Inner Loop Header: Depth=1
	s_or_b64 s[46:47], s[46:47], exec
	s_cmp_eq_u64 s[42:43], s[48:49]
	s_cbranch_scc0 .LBB937_286
; %bb.289:                              ;   in Loop: Header=BB937_288 Depth=1
                                        ; implicit-def: $vgpr16_vgpr17
                                        ; implicit-def: $vgpr18_vgpr19
	s_mov_b64 s[48:49], s[26:27]
	s_branch .LBB937_287
.LBB937_290:
	s_or_b64 exec, exec, s[44:45]
	v_cmp_gt_i64_e32 vcc, s[26:27], v[20:21]
	s_orn2_b64 s[42:43], vcc, exec
.LBB937_291:
	s_or_b64 exec, exec, s[38:39]
.LBB937_292:
	s_and_b64 s[38:39], s[42:43], exec
.LBB937_293:
	s_or_b64 exec, exec, s[40:41]
	v_cmp_gt_u32_e32 vcc, s3, v25
	s_and_saveexec_b64 s[40:41], vcc
	s_cbranch_execz .LBB937_304
; %bb.294:
	s_andn2_b64 vcc, exec, s[6:7]
	s_mov_b64 s[42:43], 0
	s_cbranch_vccnz .LBB937_303
; %bb.295:
	v_mul_lo_u32 v18, v11, s26
	v_mul_lo_u32 v19, v10, s27
	v_mad_u64_u32 v[16:17], s[36:37], v10, s26, 0
	v_add3_u32 v17, v17, v19, v18
	v_mul_lo_u32 v18, v13, s26
	v_mul_lo_u32 v19, v12, s27
	v_mad_u64_u32 v[20:21], s[36:37], v12, s26, 0
	v_add3_u32 v21, v21, v19, v18
	v_lshl_add_u64 v[18:19], v[16:17], 2, s[28:29]
	v_lshl_add_u64 v[16:17], v[20:21], 2, s[28:29]
	global_load_dword v20, v[18:19], off
	global_load_dword v21, v[16:17], off
	s_mov_b64 s[42:43], -1
	s_waitcnt vmcnt(0)
	v_cmp_eq_f32_e32 vcc, v20, v21
	s_and_saveexec_b64 s[36:37], vcc
	s_cbranch_execz .LBB937_302
; %bb.296:
	s_add_u32 s42, s26, -1
	v_lshl_add_u64 v[16:17], v[16:17], 0, 4
	v_lshl_add_u64 v[18:19], v[18:19], 0, 4
	s_addc_u32 s43, s27, -1
	s_mov_b64 s[44:45], 0
	s_mov_b64 s[48:49], 0
                                        ; implicit-def: $sgpr46_sgpr47
	s_branch .LBB937_299
.LBB937_297:                            ;   in Loop: Header=BB937_299 Depth=1
	global_load_dword v20, v[18:19], off
	global_load_dword v21, v[16:17], off
	s_add_u32 s48, s48, 1
	s_addc_u32 s49, s49, 0
	s_andn2_b64 s[46:47], s[46:47], exec
	v_lshl_add_u64 v[16:17], v[16:17], 0, 4
	v_lshl_add_u64 v[18:19], v[18:19], 0, 4
	s_waitcnt vmcnt(0)
	v_cmp_neq_f32_e32 vcc, v20, v21
	s_and_b64 s[50:51], vcc, exec
	s_or_b64 s[46:47], s[46:47], s[50:51]
.LBB937_298:                            ;   in Loop: Header=BB937_299 Depth=1
	s_and_b64 s[50:51], exec, s[46:47]
	s_or_b64 s[44:45], s[50:51], s[44:45]
	v_mov_b64_e32 v[20:21], s[48:49]
	s_andn2_b64 exec, exec, s[44:45]
	s_cbranch_execz .LBB937_301
.LBB937_299:                            ; =>This Inner Loop Header: Depth=1
	s_or_b64 s[46:47], s[46:47], exec
	s_cmp_eq_u64 s[42:43], s[48:49]
	s_cbranch_scc0 .LBB937_297
; %bb.300:                              ;   in Loop: Header=BB937_299 Depth=1
                                        ; implicit-def: $vgpr16_vgpr17
                                        ; implicit-def: $vgpr18_vgpr19
	s_mov_b64 s[48:49], s[26:27]
	s_branch .LBB937_298
.LBB937_301:
	s_or_b64 exec, exec, s[44:45]
	v_cmp_gt_i64_e32 vcc, s[26:27], v[20:21]
	s_orn2_b64 s[42:43], vcc, exec
.LBB937_302:
	s_or_b64 exec, exec, s[36:37]
.LBB937_303:
	s_and_b64 s[36:37], s[42:43], exec
.LBB937_304:
	s_or_b64 exec, exec, s[40:41]
	v_cndmask_b32_e64 v17, 0, 1, s[18:19]
	v_cndmask_b32_e64 v16, 0, 1, s[38:39]
	;; [unrolled: 1-line block ×3, first 2 shown]
	v_lshlrev_b16_e32 v17, 8, v17
	v_cndmask_b32_e64 v32, 0, 1, s[14:15]
	v_cndmask_b32_e64 v18, 0, 1, s[36:37]
	v_or_b32_sdwa v16, v16, v17 dst_sel:WORD_1 dst_unused:UNUSED_PAD src0_sel:DWORD src1_sel:DWORD
	v_lshlrev_b16_e32 v17, 8, v33
	v_lshlrev_b16_e32 v18, 8, v18
	v_or_b32_e32 v17, v32, v17
	v_or_b32_e32 v18, 1, v18
	v_and_b32_e32 v17, 0xffff, v17
	v_cndmask_b32_e64 v34, 0, 1, s[4:5]
	v_or_b32_sdwa v16, v18, v16 dst_sel:DWORD dst_unused:UNUSED_PAD src0_sel:WORD_0 src1_sel:DWORD
	v_lshl_or_b32 v17, v34, 16, v17
	v_cmp_ne_u32_e32 vcc, 0, v0
	s_waitcnt lgkmcnt(0)
	s_barrier
	s_waitcnt lgkmcnt(0)
                                        ; implicit-def: $sgpr18_sgpr19
                                        ; implicit-def: $vgpr20
	s_and_saveexec_b64 s[4:5], vcc
	s_cbranch_execz .LBB937_317
; %bb.305:
	v_cmp_gt_u32_e32 vcc, s3, v1
	s_mov_b32 s33, 0x3020104
	s_mov_b64 s[14:15], 0
	s_and_saveexec_b64 s[12:13], vcc
	s_cbranch_execz .LBB937_316
; %bb.306:
	s_andn2_b64 vcc, exec, s[6:7]
	s_cbranch_vccnz .LBB937_315
; %bb.307:
	v_add_u32_e32 v17, -8, v30
	ds_read_b64 v[18:19], v17
	v_mul_lo_u32 v17, v11, s26
	v_mad_u64_u32 v[22:23], s[6:7], v10, s26, 0
	s_mov_b64 s[14:15], -1
	s_waitcnt lgkmcnt(0)
	v_mul_lo_u32 v20, v19, s26
	v_mul_lo_u32 v21, v18, s27
	v_mad_u64_u32 v[18:19], s[6:7], v18, s26, 0
	v_add3_u32 v19, v19, v21, v20
	v_mul_lo_u32 v20, v10, s27
	v_add3_u32 v23, v23, v20, v17
	v_lshl_add_u64 v[20:21], v[18:19], 2, s[28:29]
	v_lshl_add_u64 v[18:19], v[22:23], 2, s[28:29]
	global_load_dword v17, v[20:21], off
	global_load_dword v22, v[18:19], off
	s_waitcnt vmcnt(0)
	v_cmp_eq_f32_e32 vcc, v17, v22
	s_and_saveexec_b64 s[6:7], vcc
	s_cbranch_execz .LBB937_314
; %bb.308:
	s_add_u32 s14, s26, -1
	v_lshl_add_u64 v[18:19], v[18:19], 0, 4
	v_lshl_add_u64 v[20:21], v[20:21], 0, 4
	s_addc_u32 s15, s27, -1
	s_mov_b64 s[18:19], 0
	s_mov_b64 s[36:37], 0
                                        ; implicit-def: $sgpr28_sgpr29
	s_branch .LBB937_311
.LBB937_309:                            ;   in Loop: Header=BB937_311 Depth=1
	global_load_dword v17, v[20:21], off
	global_load_dword v22, v[18:19], off
	s_add_u32 s36, s36, 1
	s_addc_u32 s37, s37, 0
	s_andn2_b64 s[28:29], s[28:29], exec
	v_lshl_add_u64 v[18:19], v[18:19], 0, 4
	v_lshl_add_u64 v[20:21], v[20:21], 0, 4
	s_waitcnt vmcnt(0)
	v_cmp_neq_f32_e32 vcc, v17, v22
	s_and_b64 s[38:39], vcc, exec
	s_or_b64 s[28:29], s[28:29], s[38:39]
.LBB937_310:                            ;   in Loop: Header=BB937_311 Depth=1
	s_and_b64 s[38:39], exec, s[28:29]
	s_or_b64 s[18:19], s[38:39], s[18:19]
	v_mov_b64_e32 v[22:23], s[36:37]
	s_andn2_b64 exec, exec, s[18:19]
	s_cbranch_execz .LBB937_313
.LBB937_311:                            ; =>This Inner Loop Header: Depth=1
	s_or_b64 s[28:29], s[28:29], exec
	s_cmp_eq_u64 s[14:15], s[36:37]
	s_cbranch_scc0 .LBB937_309
; %bb.312:                              ;   in Loop: Header=BB937_311 Depth=1
                                        ; implicit-def: $vgpr18_vgpr19
                                        ; implicit-def: $vgpr20_vgpr21
	s_mov_b64 s[36:37], s[26:27]
	s_branch .LBB937_310
.LBB937_313:
	s_or_b64 exec, exec, s[18:19]
	v_cmp_gt_i64_e32 vcc, s[26:27], v[22:23]
	s_orn2_b64 s[14:15], vcc, exec
.LBB937_314:
	s_or_b64 exec, exec, s[6:7]
.LBB937_315:
	s_and_b64 s[14:15], s[14:15], exec
.LBB937_316:
	s_or_b64 exec, exec, s[12:13]
	v_perm_b32 v20, v16, v16, s33
	s_and_b64 s[18:19], s[14:15], exec
	s_or_b64 s[10:11], s[10:11], exec
                                        ; implicit-def: $vgpr16_vgpr17
.LBB937_317:
	s_or_b64 exec, exec, s[4:5]
.LBB937_318:
	s_and_saveexec_b64 s[4:5], s[10:11]
	s_cbranch_execz .LBB937_320
; %bb.319:
	s_waitcnt lgkmcnt(0)
	v_lshlrev_b16_e32 v17, 8, v33
	v_and_b32_e32 v18, 0xff, v34
	v_or_b32_sdwa v17, v32, v17 dst_sel:DWORD dst_unused:UNUSED_PAD src0_sel:BYTE_0 src1_sel:DWORD
	v_lshlrev_b32_e32 v18, 16, v18
	s_movk_i32 s6, 0xff
	v_or_b32_sdwa v17, v17, v18 dst_sel:DWORD dst_unused:UNUSED_PAD src0_sel:WORD_0 src1_sel:DWORD
	v_lshrrev_b32_e32 v18, 24, v20
	v_lshlrev_b16_e32 v18, 8, v18
	v_and_b32_sdwa v19, v20, s6 dst_sel:DWORD dst_unused:UNUSED_PAD src0_sel:WORD_1 src1_sel:DWORD
	v_or_b32_sdwa v18, v19, v18 dst_sel:WORD_1 dst_unused:UNUSED_PAD src0_sel:DWORD src1_sel:DWORD
	v_mov_b32_e32 v19, 8
	v_cndmask_b32_e64 v16, 0, 1, s[18:19]
	v_lshrrev_b32_sdwa v19, v19, v20 dst_sel:BYTE_1 dst_unused:UNUSED_PAD src0_sel:DWORD src1_sel:DWORD
	s_nop 0
	v_or_b32_e32 v16, v16, v19
	v_or_b32_sdwa v16, v16, v18 dst_sel:DWORD dst_unused:UNUSED_PAD src0_sel:WORD_0 src1_sel:DWORD
.LBB937_320:
	s_or_b64 exec, exec, s[4:5]
	s_andn2_b64 vcc, exec, s[8:9]
	s_cbranch_vccnz .LBB937_322
; %bb.321:
	s_waitcnt lgkmcnt(0)
	v_and_b32_e32 v18, 0xffff0000, v16
	v_cmp_gt_u32_e32 vcc, s3, v1
	s_mov_b32 s4, 0x40c0100
	s_nop 0
	v_cndmask_b32_e32 v1, v18, v16, vcc
	v_and_b32_e32 v1, 0xffff00ff, v1
	v_cmp_gt_u32_e32 vcc, s3, v25
	s_nop 1
	v_cndmask_b32_e32 v1, v1, v16, vcc
	v_lshrrev_b32_e32 v18, 24, v1
	v_perm_b32 v1, v18, v1, s4
	v_cmp_gt_u32_e32 vcc, s3, v24
	v_and_b32_e32 v18, 0xffffff00, v17
	s_nop 0
	v_cndmask_b32_e32 v1, v1, v16, vcc
	v_and_b32_e32 v1, 0xffffff, v1
	v_cmp_gt_u32_e32 vcc, s3, v28
	s_nop 1
	v_cndmask_b32_e32 v1, v1, v16, vcc
	v_cmp_gt_u32_e32 vcc, s3, v26
	s_nop 1
	v_cndmask_b32_e32 v18, v18, v17, vcc
	v_and_b32_e32 v18, 0xffff00ff, v18
	v_cndmask_b32_e32 v1, v1, v16, vcc
	v_cmp_gt_u32_e32 vcc, s3, v29
	s_nop 1
	v_cndmask_b32_e32 v18, v18, v17, vcc
	v_lshrrev_b32_e32 v19, 24, v18
	v_cndmask_b32_e32 v1, v1, v16, vcc
	v_perm_b32 v18, v19, v18, s4
	v_cmp_gt_u32_e32 vcc, s3, v27
	s_mov_b32 s3, 0x3020104
	s_nop 0
	v_cndmask_b32_e32 v1, v1, v16, vcc
	v_cndmask_b32_e32 v16, v18, v17, vcc
	v_mov_b32_e32 v17, 8
	v_lshrrev_b32_sdwa v17, v17, v16 dst_sel:BYTE_1 dst_unused:UNUSED_PAD src0_sel:DWORD src1_sel:DWORD
	s_nop 0
	v_or_b32_sdwa v17, v16, v17 dst_sel:DWORD dst_unused:UNUSED_PAD src0_sel:BYTE_0 src1_sel:DWORD
	v_and_b32_e32 v17, 0xffff, v17
	v_bfe_u32 v16, v16, 16, 8
	v_lshl_or_b32 v17, v16, 16, v17
	v_perm_b32 v16, v1, v1, s3
.LBB937_322:
	s_waitcnt lgkmcnt(0)
	v_and_b32_e32 v1, 0xff, v16
	v_bfe_u32 v29, v16, 8, 8
	v_bfe_u32 v31, v16, 16, 8
	v_alignbit_b32 v18, v17, v16, 24
	v_and_b32_e32 v33, 0xff, v18
	v_and_b32_e32 v35, 0xff, v17
	v_add3_u32 v19, v29, v1, v31
	v_bfe_u32 v36, v17, 8, 8
	v_bfe_u32 v18, v17, 16, 8
	v_add3_u32 v19, v19, v33, v35
	v_add3_u32 v39, v19, v36, v18
	v_mbcnt_lo_u32_b32 v18, -1, 0
	v_mbcnt_hi_u32_b32 v37, -1, v18
	v_and_b32_e32 v18, 15, v37
	v_cmp_eq_u32_e64 s[14:15], 0, v18
	v_cmp_lt_u32_e64 s[12:13], 1, v18
	v_cmp_lt_u32_e64 s[10:11], 3, v18
	;; [unrolled: 1-line block ×3, first 2 shown]
	v_and_b32_e32 v18, 16, v37
	v_cmp_eq_u32_e64 s[6:7], 0, v18
	v_or_b32_e32 v18, 63, v0
	v_cmp_lt_u32_e64 s[18:19], 31, v37
	v_lshrrev_b32_e32 v38, 6, v0
	v_cmp_eq_u32_e64 s[4:5], v18, v0
	s_and_b64 vcc, exec, s[16:17]
	s_barrier
	s_cbranch_vccz .LBB937_349
; %bb.323:
	v_mov_b32_dpp v18, v39 row_shr:1 row_mask:0xf bank_mask:0xf
	v_cndmask_b32_e64 v18, v18, 0, s[14:15]
	v_add_u32_e32 v18, v18, v39
	s_nop 1
	v_mov_b32_dpp v19, v18 row_shr:2 row_mask:0xf bank_mask:0xf
	v_cndmask_b32_e64 v19, 0, v19, s[12:13]
	v_add_u32_e32 v18, v18, v19
	s_nop 1
	;; [unrolled: 4-line block ×4, first 2 shown]
	v_mov_b32_dpp v19, v18 row_bcast:15 row_mask:0xf bank_mask:0xf
	v_cndmask_b32_e64 v19, v19, 0, s[6:7]
	v_add_u32_e32 v18, v18, v19
	s_nop 1
	v_mov_b32_dpp v19, v18 row_bcast:31 row_mask:0xf bank_mask:0xf
	v_cndmask_b32_e64 v19, 0, v19, s[18:19]
	v_add_u32_e32 v18, v18, v19
	s_and_saveexec_b64 s[16:17], s[4:5]
	s_cbranch_execz .LBB937_325
; %bb.324:
	v_lshlrev_b32_e32 v19, 2, v38
	ds_write_b32 v19, v18
.LBB937_325:
	s_or_b64 exec, exec, s[16:17]
	v_cmp_gt_u32_e32 vcc, 8, v0
	s_waitcnt lgkmcnt(0)
	s_barrier
	s_and_saveexec_b64 s[16:17], vcc
	s_cbranch_execz .LBB937_327
; %bb.326:
	v_lshlrev_b32_e32 v19, 2, v0
	ds_read_b32 v20, v19
	v_and_b32_e32 v21, 7, v37
	v_cmp_ne_u32_e32 vcc, 0, v21
	s_waitcnt lgkmcnt(0)
	v_mov_b32_dpp v22, v20 row_shr:1 row_mask:0xf bank_mask:0xf
	v_cndmask_b32_e32 v22, 0, v22, vcc
	v_add_u32_e32 v20, v22, v20
	v_cmp_lt_u32_e32 vcc, 1, v21
	s_nop 0
	v_mov_b32_dpp v22, v20 row_shr:2 row_mask:0xf bank_mask:0xf
	v_cndmask_b32_e32 v22, 0, v22, vcc
	v_add_u32_e32 v20, v20, v22
	v_cmp_lt_u32_e32 vcc, 3, v21
	s_nop 0
	v_mov_b32_dpp v22, v20 row_shr:4 row_mask:0xf bank_mask:0xf
	v_cndmask_b32_e32 v21, 0, v22, vcc
	v_add_u32_e32 v20, v20, v21
	ds_write_b32 v19, v20
.LBB937_327:
	s_or_b64 exec, exec, s[16:17]
	v_cmp_gt_u32_e32 vcc, 64, v0
	v_cmp_lt_u32_e64 s[16:17], 63, v0
	s_waitcnt lgkmcnt(0)
	s_barrier
	s_waitcnt lgkmcnt(0)
                                        ; implicit-def: $vgpr28
	s_and_saveexec_b64 s[26:27], s[16:17]
	s_cbranch_execz .LBB937_329
; %bb.328:
	v_lshl_add_u32 v19, v38, 2, -4
	ds_read_b32 v28, v19
	s_waitcnt lgkmcnt(0)
	v_add_u32_e32 v18, v28, v18
.LBB937_329:
	s_or_b64 exec, exec, s[26:27]
	v_add_u32_e32 v19, -1, v37
	v_and_b32_e32 v20, 64, v37
	v_cmp_lt_i32_e64 s[16:17], v19, v20
	s_nop 1
	v_cndmask_b32_e64 v19, v19, v37, s[16:17]
	v_lshlrev_b32_e32 v19, 2, v19
	ds_bpermute_b32 v30, v19, v18
	v_cmp_eq_u32_e64 s[16:17], 0, v37
	s_and_saveexec_b64 s[26:27], vcc
	s_cbranch_execz .LBB937_348
; %bb.330:
	v_mov_b32_e32 v25, 0
	ds_read_b32 v18, v25 offset:28
	s_and_saveexec_b64 s[28:29], s[16:17]
	s_cbranch_execz .LBB937_332
; %bb.331:
	s_add_i32 s36, s2, 64
	s_mov_b32 s37, 0
	s_lshl_b64 s[36:37], s[36:37], 3
	s_add_u32 s36, s30, s36
	v_mov_b32_e32 v19, 1
	s_addc_u32 s37, s31, s37
	s_waitcnt lgkmcnt(0)
	global_store_dwordx2 v25, v[18:19], s[36:37] sc1
.LBB937_332:
	s_or_b64 exec, exec, s[28:29]
	v_xad_u32 v20, v37, -1, s2
	v_add_u32_e32 v24, 64, v20
	v_lshl_add_u64 v[26:27], v[24:25], 3, s[30:31]
	global_load_dwordx2 v[22:23], v[26:27], off sc1
	s_waitcnt vmcnt(0)
	v_cmp_eq_u16_sdwa s[36:37], v23, v25 src0_sel:BYTE_0 src1_sel:DWORD
	s_and_saveexec_b64 s[28:29], s[36:37]
	s_cbranch_execz .LBB937_336
; %bb.333:
	s_mov_b64 s[36:37], 0
	v_mov_b32_e32 v19, 0
.LBB937_334:                            ; =>This Inner Loop Header: Depth=1
	global_load_dwordx2 v[22:23], v[26:27], off sc1
	s_waitcnt vmcnt(0)
	v_cmp_ne_u16_sdwa s[38:39], v23, v19 src0_sel:BYTE_0 src1_sel:DWORD
	s_or_b64 s[36:37], s[38:39], s[36:37]
	s_andn2_b64 exec, exec, s[36:37]
	s_cbranch_execnz .LBB937_334
; %bb.335:
	s_or_b64 exec, exec, s[36:37]
.LBB937_336:
	s_or_b64 exec, exec, s[28:29]
	v_and_b32_e32 v32, 63, v37
	v_mov_b32_e32 v19, 2
	v_cmp_ne_u32_e32 vcc, 63, v32
	v_cmp_eq_u16_sdwa s[28:29], v23, v19 src0_sel:BYTE_0 src1_sel:DWORD
	v_lshlrev_b64 v[24:25], v37, -1
	v_addc_co_u32_e32 v27, vcc, 0, v37, vcc
	v_and_b32_e32 v21, s29, v25
	v_lshlrev_b32_e32 v34, 2, v27
	v_or_b32_e32 v21, 0x80000000, v21
	ds_bpermute_b32 v27, v34, v22
	v_and_b32_e32 v26, s28, v24
	v_ffbl_b32_e32 v21, v21
	v_add_u32_e32 v21, 32, v21
	v_ffbl_b32_e32 v26, v26
	v_min_u32_e32 v21, v26, v21
	v_cmp_lt_u32_e32 vcc, v32, v21
	v_add_u32_e32 v41, 2, v32
	v_add_u32_e32 v43, 4, v32
	s_waitcnt lgkmcnt(0)
	v_cndmask_b32_e32 v26, 0, v27, vcc
	v_cmp_gt_u32_e32 vcc, 62, v32
	v_add_u32_e32 v22, v26, v22
	v_add_u32_e32 v45, 8, v32
	v_cndmask_b32_e64 v26, 0, 1, vcc
	v_lshlrev_b32_e32 v26, 1, v26
	v_add_lshl_u32 v40, v26, v37, 2
	ds_bpermute_b32 v26, v40, v22
	v_cmp_le_u32_e32 vcc, v41, v21
	v_add_u32_e32 v48, 16, v32
	v_add_u32_e32 v50, 32, v32
	s_waitcnt lgkmcnt(0)
	v_cndmask_b32_e32 v26, 0, v26, vcc
	v_cmp_gt_u32_e32 vcc, 60, v32
	v_add_u32_e32 v22, v22, v26
	s_nop 0
	v_cndmask_b32_e64 v26, 0, 1, vcc
	v_lshlrev_b32_e32 v26, 2, v26
	v_add_lshl_u32 v42, v26, v37, 2
	ds_bpermute_b32 v26, v42, v22
	v_cmp_le_u32_e32 vcc, v43, v21
	s_waitcnt lgkmcnt(0)
	s_nop 0
	v_cndmask_b32_e32 v26, 0, v26, vcc
	v_cmp_gt_u32_e32 vcc, 56, v32
	v_add_u32_e32 v22, v22, v26
	s_nop 0
	v_cndmask_b32_e64 v26, 0, 1, vcc
	v_lshlrev_b32_e32 v26, 3, v26
	v_add_lshl_u32 v44, v26, v37, 2
	ds_bpermute_b32 v26, v44, v22
	v_cmp_le_u32_e32 vcc, v45, v21
	s_waitcnt lgkmcnt(0)
	s_nop 0
	;; [unrolled: 11-line block ×4, first 2 shown]
	v_cndmask_b32_e32 v21, 0, v26, vcc
	v_add_u32_e32 v22, v22, v21
	v_mov_b32_e32 v21, 0
	s_branch .LBB937_338
.LBB937_337:                            ;   in Loop: Header=BB937_338 Depth=1
	s_or_b64 exec, exec, s[28:29]
	v_cmp_eq_u16_sdwa s[28:29], v23, v19 src0_sel:BYTE_0 src1_sel:DWORD
	ds_bpermute_b32 v51, v34, v22
	v_subrev_u32_e32 v20, 64, v20
	v_and_b32_e32 v26, s29, v25
	v_or_b32_e32 v26, 0x80000000, v26
	v_and_b32_e32 v27, s28, v24
	v_ffbl_b32_e32 v26, v26
	v_add_u32_e32 v26, 32, v26
	v_ffbl_b32_e32 v27, v27
	v_min_u32_e32 v26, v27, v26
	v_cmp_lt_u32_e32 vcc, v32, v26
	s_waitcnt lgkmcnt(0)
	s_nop 0
	v_cndmask_b32_e32 v27, 0, v51, vcc
	v_add_u32_e32 v22, v27, v22
	ds_bpermute_b32 v27, v40, v22
	v_cmp_le_u32_e32 vcc, v41, v26
	s_waitcnt lgkmcnt(0)
	s_nop 0
	v_cndmask_b32_e32 v27, 0, v27, vcc
	v_add_u32_e32 v22, v22, v27
	ds_bpermute_b32 v27, v42, v22
	v_cmp_le_u32_e32 vcc, v43, v26
	;; [unrolled: 6-line block ×5, first 2 shown]
	s_waitcnt lgkmcnt(0)
	s_nop 0
	v_cndmask_b32_e32 v26, 0, v27, vcc
	v_add3_u32 v22, v26, v46, v22
.LBB937_338:                            ; =>This Loop Header: Depth=1
                                        ;     Child Loop BB937_341 Depth 2
	v_cmp_ne_u16_sdwa s[28:29], v23, v19 src0_sel:BYTE_0 src1_sel:DWORD
	v_mov_b32_e32 v46, v22
	s_nop 0
	v_cndmask_b32_e64 v23, 0, 1, s[28:29]
	;;#ASMSTART
	;;#ASMEND
	s_nop 0
	v_cmp_ne_u32_e32 vcc, 0, v23
	s_cmp_lg_u64 vcc, exec
	s_cbranch_scc1 .LBB937_343
; %bb.339:                              ;   in Loop: Header=BB937_338 Depth=1
	v_lshl_add_u64 v[26:27], v[20:21], 3, s[30:31]
	global_load_dwordx2 v[22:23], v[26:27], off sc1
	s_waitcnt vmcnt(0)
	v_cmp_eq_u16_sdwa s[36:37], v23, v21 src0_sel:BYTE_0 src1_sel:DWORD
	s_and_saveexec_b64 s[28:29], s[36:37]
	s_cbranch_execz .LBB937_337
; %bb.340:                              ;   in Loop: Header=BB937_338 Depth=1
	s_mov_b64 s[36:37], 0
.LBB937_341:                            ;   Parent Loop BB937_338 Depth=1
                                        ; =>  This Inner Loop Header: Depth=2
	global_load_dwordx2 v[22:23], v[26:27], off sc1
	s_waitcnt vmcnt(0)
	v_cmp_ne_u16_sdwa s[38:39], v23, v21 src0_sel:BYTE_0 src1_sel:DWORD
	s_or_b64 s[36:37], s[38:39], s[36:37]
	s_andn2_b64 exec, exec, s[36:37]
	s_cbranch_execnz .LBB937_341
; %bb.342:                              ;   in Loop: Header=BB937_338 Depth=1
	s_or_b64 exec, exec, s[36:37]
	s_branch .LBB937_337
.LBB937_343:                            ;   in Loop: Header=BB937_338 Depth=1
                                        ; implicit-def: $vgpr22
                                        ; implicit-def: $vgpr23
	s_cbranch_execz .LBB937_338
; %bb.344:
	s_and_saveexec_b64 s[28:29], s[16:17]
	s_cbranch_execz .LBB937_346
; %bb.345:
	s_add_i32 s2, s2, 64
	s_mov_b32 s3, 0
	s_lshl_b64 s[2:3], s[2:3], 3
	s_add_u32 s2, s30, s2
	v_add_u32_e32 v20, v46, v18
	v_mov_b32_e32 v21, 2
	s_addc_u32 s3, s31, s3
	v_mov_b32_e32 v19, 0
	global_store_dwordx2 v19, v[20:21], s[2:3] sc1
	s_movk_i32 s2, 0x7000
	v_add_u32_e64 v19, s2, 0
	ds_write2_b32 v19, v18, v46 offset1:2
.LBB937_346:
	s_or_b64 exec, exec, s[28:29]
	v_cmp_eq_u32_e32 vcc, 0, v0
	s_and_b64 exec, exec, vcc
	s_cbranch_execz .LBB937_348
; %bb.347:
	v_mov_b32_e32 v18, 0
	ds_write_b32 v18, v46 offset:28
.LBB937_348:
	s_or_b64 exec, exec, s[26:27]
	v_mov_b32_e32 v18, 0
	s_waitcnt lgkmcnt(0)
	s_barrier
	ds_read_b32 v18, v18 offset:28
	v_cndmask_b32_e64 v19, v30, v28, s[16:17]
	v_cmp_ne_u32_e32 vcc, 0, v0
	s_movk_i32 s2, 0x7000
	s_waitcnt lgkmcnt(0)
	v_cndmask_b32_e32 v19, 0, v19, vcc
	v_add_u32_e32 v34, v18, v19
	v_add_u32_e32 v32, v34, v1
	v_add_u32_e64 v18, s2, 0
	v_add_u32_e32 v30, v32, v29
	s_barrier
	ds_read2_b32 v[18:19], v18 offset1:2
	v_add_u32_e32 v28, v30, v31
	v_add_u32_e32 v26, v28, v33
	;; [unrolled: 1-line block ×4, first 2 shown]
	s_load_dwordx2 s[2:3], s[0:1], 0x28
	v_lshrrev_b64 v[20:21], 24, v[16:17]
	s_branch .LBB937_359
.LBB937_349:
                                        ; implicit-def: $vgpr22
                                        ; implicit-def: $vgpr24
                                        ; implicit-def: $vgpr26
                                        ; implicit-def: $vgpr28
                                        ; implicit-def: $vgpr30
                                        ; implicit-def: $vgpr32
                                        ; implicit-def: $vgpr34
                                        ; implicit-def: $vgpr19
	s_load_dwordx2 s[2:3], s[0:1], 0x28
	v_lshrrev_b64 v[20:21], 24, v[16:17]
	s_cbranch_execz .LBB937_359
; %bb.350:
	s_waitcnt lgkmcnt(0)
	v_mov_b32_dpp v18, v39 row_shr:1 row_mask:0xf bank_mask:0xf
	v_cndmask_b32_e64 v18, v18, 0, s[14:15]
	v_add_u32_e32 v18, v18, v39
	s_nop 1
	v_mov_b32_dpp v19, v18 row_shr:2 row_mask:0xf bank_mask:0xf
	v_cndmask_b32_e64 v19, 0, v19, s[12:13]
	v_add_u32_e32 v18, v18, v19
	s_nop 1
	;; [unrolled: 4-line block ×4, first 2 shown]
	v_mov_b32_dpp v19, v18 row_bcast:15 row_mask:0xf bank_mask:0xf
	v_cndmask_b32_e64 v19, v19, 0, s[6:7]
	v_add_u32_e32 v18, v18, v19
	s_nop 1
	v_mov_b32_dpp v19, v18 row_bcast:31 row_mask:0xf bank_mask:0xf
	v_cndmask_b32_e64 v19, 0, v19, s[18:19]
	v_add_u32_e32 v18, v18, v19
	s_and_saveexec_b64 s[0:1], s[4:5]
	s_cbranch_execz .LBB937_352
; %bb.351:
	v_lshlrev_b32_e32 v19, 2, v38
	ds_write_b32 v19, v18
.LBB937_352:
	s_or_b64 exec, exec, s[0:1]
	v_cmp_gt_u32_e32 vcc, 8, v0
	s_waitcnt lgkmcnt(0)
	s_barrier
	s_and_saveexec_b64 s[0:1], vcc
	s_cbranch_execz .LBB937_354
; %bb.353:
	v_lshlrev_b32_e32 v19, 2, v0
	ds_read_b32 v21, v19
	v_and_b32_e32 v22, 7, v37
	v_cmp_ne_u32_e32 vcc, 0, v22
	s_waitcnt lgkmcnt(0)
	v_mov_b32_dpp v23, v21 row_shr:1 row_mask:0xf bank_mask:0xf
	v_cndmask_b32_e32 v23, 0, v23, vcc
	v_add_u32_e32 v21, v23, v21
	v_cmp_lt_u32_e32 vcc, 1, v22
	s_nop 0
	v_mov_b32_dpp v23, v21 row_shr:2 row_mask:0xf bank_mask:0xf
	v_cndmask_b32_e32 v23, 0, v23, vcc
	v_add_u32_e32 v21, v21, v23
	v_cmp_lt_u32_e32 vcc, 3, v22
	s_nop 0
	v_mov_b32_dpp v23, v21 row_shr:4 row_mask:0xf bank_mask:0xf
	v_cndmask_b32_e32 v22, 0, v23, vcc
	v_add_u32_e32 v21, v21, v22
	ds_write_b32 v19, v21
.LBB937_354:
	s_or_b64 exec, exec, s[0:1]
	v_cmp_lt_u32_e32 vcc, 63, v0
	v_mov_b32_e32 v19, 0
	v_mov_b32_e32 v21, 0
	s_waitcnt lgkmcnt(0)
	s_barrier
	s_and_saveexec_b64 s[0:1], vcc
	s_cbranch_execz .LBB937_356
; %bb.355:
	v_lshl_add_u32 v21, v38, 2, -4
	ds_read_b32 v21, v21
.LBB937_356:
	s_or_b64 exec, exec, s[0:1]
	v_add_u32_e32 v22, -1, v37
	v_and_b32_e32 v23, 64, v37
	v_cmp_lt_i32_e32 vcc, v22, v23
	s_waitcnt lgkmcnt(0)
	v_add_u32_e32 v18, v21, v18
	v_cndmask_b32_e32 v22, v22, v37, vcc
	v_lshlrev_b32_e32 v22, 2, v22
	ds_bpermute_b32 v22, v22, v18
	ds_read_b32 v18, v19 offset:28
	v_cmp_eq_u32_e32 vcc, 0, v0
	s_and_saveexec_b64 s[0:1], vcc
	s_cbranch_execz .LBB937_358
; %bb.357:
	v_mov_b32_e32 v23, 0
	v_mov_b32_e32 v19, 2
	s_waitcnt lgkmcnt(0)
	global_store_dwordx2 v23, v[18:19], s[30:31] offset:512 sc1
.LBB937_358:
	s_or_b64 exec, exec, s[0:1]
	v_cmp_eq_u32_e64 s[0:1], 0, v37
	v_mov_b32_e32 v19, 0
	s_waitcnt lgkmcnt(0)
	v_cndmask_b32_e64 v21, v22, v21, s[0:1]
	v_cndmask_b32_e64 v34, v21, 0, vcc
	v_add_u32_e32 v32, v34, v1
	v_add_u32_e32 v30, v32, v29
	;; [unrolled: 1-line block ×6, first 2 shown]
	s_barrier
.LBB937_359:
	s_movk_i32 s0, 0x201
	s_waitcnt lgkmcnt(0)
	v_cmp_gt_u32_e32 vcc, s0, v18
	v_lshrrev_b32_e32 v21, 8, v16
	v_lshrrev_b32_e32 v1, 8, v17
	s_mov_b64 s[0:1], -1
	s_cbranch_vccnz .LBB937_363
; %bb.360:
	s_and_b64 vcc, exec, s[0:1]
	s_cbranch_vccnz .LBB937_385
.LBB937_361:
	v_cmp_eq_u32_e32 vcc, 0, v0
	s_and_b64 s[0:1], vcc, s[24:25]
	s_and_saveexec_b64 s[2:3], s[0:1]
	s_cbranch_execnz .LBB937_403
.LBB937_362:
	s_endpgm
.LBB937_363:
	v_add_u32_e32 v23, v19, v18
	v_cmp_lt_u32_e32 vcc, v34, v23
	s_or_b64 s[4:5], s[34:35], vcc
	s_and_saveexec_b64 s[0:1], s[4:5]
	s_cbranch_execz .LBB937_366
; %bb.364:
	v_and_b32_e32 v25, 1, v16
	v_cmp_eq_u32_e32 vcc, 1, v25
	s_and_b64 exec, exec, vcc
	s_cbranch_execz .LBB937_366
; %bb.365:
	s_lshl_b64 s[4:5], s[22:23], 3
	s_add_u32 s4, s2, s4
	s_addc_u32 s5, s3, s5
	v_mov_b32_e32 v35, 0
	v_lshl_add_u64 v[36:37], v[34:35], 3, s[4:5]
	global_store_dwordx2 v[36:37], v[10:11], off
.LBB937_366:
	s_or_b64 exec, exec, s[0:1]
	v_cmp_lt_u32_e32 vcc, v32, v23
	s_or_b64 s[4:5], s[34:35], vcc
	s_and_saveexec_b64 s[0:1], s[4:5]
	s_cbranch_execz .LBB937_369
; %bb.367:
	v_and_b32_e32 v25, 1, v21
	v_cmp_eq_u32_e32 vcc, 1, v25
	s_and_b64 exec, exec, vcc
	s_cbranch_execz .LBB937_369
; %bb.368:
	s_lshl_b64 s[4:5], s[22:23], 3
	s_add_u32 s4, s2, s4
	s_addc_u32 s5, s3, s5
	v_mov_b32_e32 v33, 0
	v_lshl_add_u64 v[36:37], v[32:33], 3, s[4:5]
	global_store_dwordx2 v[36:37], v[12:13], off
.LBB937_369:
	s_or_b64 exec, exec, s[0:1]
	v_cmp_lt_u32_e32 vcc, v30, v23
	s_or_b64 s[4:5], s[34:35], vcc
	s_and_saveexec_b64 s[0:1], s[4:5]
	s_cbranch_execz .LBB937_372
; %bb.370:
	v_mov_b32_e32 v25, 1
	v_and_b32_sdwa v25, v25, v16 dst_sel:DWORD dst_unused:UNUSED_PAD src0_sel:DWORD src1_sel:WORD_1
	v_cmp_eq_u32_e32 vcc, 1, v25
	s_and_b64 exec, exec, vcc
	s_cbranch_execz .LBB937_372
; %bb.371:
	s_lshl_b64 s[4:5], s[22:23], 3
	s_add_u32 s4, s2, s4
	s_addc_u32 s5, s3, s5
	v_mov_b32_e32 v31, 0
	v_lshl_add_u64 v[36:37], v[30:31], 3, s[4:5]
	global_store_dwordx2 v[36:37], v[6:7], off
.LBB937_372:
	s_or_b64 exec, exec, s[0:1]
	v_cmp_lt_u32_e32 vcc, v28, v23
	s_or_b64 s[4:5], s[34:35], vcc
	s_and_saveexec_b64 s[0:1], s[4:5]
	s_cbranch_execz .LBB937_375
; %bb.373:
	v_and_b32_e32 v25, 1, v20
	v_cmp_eq_u32_e32 vcc, 1, v25
	s_and_b64 exec, exec, vcc
	s_cbranch_execz .LBB937_375
; %bb.374:
	s_lshl_b64 s[4:5], s[22:23], 3
	s_add_u32 s4, s2, s4
	s_addc_u32 s5, s3, s5
	v_mov_b32_e32 v29, 0
	v_lshl_add_u64 v[36:37], v[28:29], 3, s[4:5]
	global_store_dwordx2 v[36:37], v[8:9], off
.LBB937_375:
	s_or_b64 exec, exec, s[0:1]
	v_cmp_lt_u32_e32 vcc, v26, v23
	s_or_b64 s[4:5], s[34:35], vcc
	s_and_saveexec_b64 s[0:1], s[4:5]
	s_cbranch_execz .LBB937_378
; %bb.376:
	v_and_b32_e32 v25, 1, v17
	v_cmp_eq_u32_e32 vcc, 1, v25
	s_and_b64 exec, exec, vcc
	s_cbranch_execz .LBB937_378
; %bb.377:
	s_lshl_b64 s[4:5], s[22:23], 3
	s_add_u32 s4, s2, s4
	s_addc_u32 s5, s3, s5
	v_mov_b32_e32 v27, 0
	v_lshl_add_u64 v[36:37], v[26:27], 3, s[4:5]
	global_store_dwordx2 v[36:37], v[2:3], off
.LBB937_378:
	;; [unrolled: 18-line block ×3, first 2 shown]
	s_or_b64 exec, exec, s[0:1]
	v_cmp_lt_u32_e32 vcc, v22, v23
	s_or_b64 s[4:5], s[34:35], vcc
	s_and_saveexec_b64 s[0:1], s[4:5]
	s_cbranch_execz .LBB937_384
; %bb.382:
	v_mov_b32_e32 v23, 1
	v_and_b32_sdwa v23, v23, v17 dst_sel:DWORD dst_unused:UNUSED_PAD src0_sel:DWORD src1_sel:WORD_1
	v_cmp_eq_u32_e32 vcc, 1, v23
	s_and_b64 exec, exec, vcc
	s_cbranch_execz .LBB937_384
; %bb.383:
	s_lshl_b64 s[4:5], s[22:23], 3
	s_add_u32 s4, s2, s4
	s_addc_u32 s5, s3, s5
	v_mov_b32_e32 v23, 0
	v_lshl_add_u64 v[36:37], v[22:23], 3, s[4:5]
	global_store_dwordx2 v[36:37], v[14:15], off
.LBB937_384:
	s_or_b64 exec, exec, s[0:1]
	s_branch .LBB937_361
.LBB937_385:
	v_and_b32_e32 v23, 1, v16
	v_cmp_eq_u32_e32 vcc, 1, v23
	s_and_saveexec_b64 s[0:1], vcc
	s_cbranch_execz .LBB937_387
; %bb.386:
	v_sub_u32_e32 v23, v34, v19
	v_lshlrev_b32_e32 v23, 3, v23
	ds_write_b64 v23, v[10:11]
.LBB937_387:
	s_or_b64 exec, exec, s[0:1]
	v_and_b32_e32 v10, 1, v21
	v_cmp_eq_u32_e32 vcc, 1, v10
	s_and_saveexec_b64 s[0:1], vcc
	s_cbranch_execz .LBB937_389
; %bb.388:
	v_sub_u32_e32 v10, v32, v19
	v_lshlrev_b32_e32 v10, 3, v10
	ds_write_b64 v10, v[12:13]
.LBB937_389:
	s_or_b64 exec, exec, s[0:1]
	v_mov_b32_e32 v10, 1
	v_and_b32_sdwa v10, v10, v16 dst_sel:DWORD dst_unused:UNUSED_PAD src0_sel:DWORD src1_sel:WORD_1
	v_cmp_eq_u32_e32 vcc, 1, v10
	s_and_saveexec_b64 s[0:1], vcc
	s_cbranch_execz .LBB937_391
; %bb.390:
	v_sub_u32_e32 v10, v30, v19
	v_lshlrev_b32_e32 v10, 3, v10
	ds_write_b64 v10, v[6:7]
.LBB937_391:
	s_or_b64 exec, exec, s[0:1]
	v_and_b32_e32 v6, 1, v20
	v_cmp_eq_u32_e32 vcc, 1, v6
	s_and_saveexec_b64 s[0:1], vcc
	s_cbranch_execz .LBB937_393
; %bb.392:
	v_sub_u32_e32 v6, v28, v19
	v_lshlrev_b32_e32 v6, 3, v6
	ds_write_b64 v6, v[8:9]
.LBB937_393:
	s_or_b64 exec, exec, s[0:1]
	v_and_b32_e32 v6, 1, v17
	;; [unrolled: 10-line block ×3, first 2 shown]
	v_cmp_eq_u32_e32 vcc, 1, v1
	s_and_saveexec_b64 s[0:1], vcc
	s_cbranch_execz .LBB937_397
; %bb.396:
	v_sub_u32_e32 v1, v24, v19
	v_lshlrev_b32_e32 v1, 3, v1
	ds_write_b64 v1, v[4:5]
.LBB937_397:
	s_or_b64 exec, exec, s[0:1]
	v_mov_b32_e32 v1, 1
	v_and_b32_sdwa v1, v1, v17 dst_sel:DWORD dst_unused:UNUSED_PAD src0_sel:DWORD src1_sel:WORD_1
	v_cmp_eq_u32_e32 vcc, 1, v1
	s_and_saveexec_b64 s[0:1], vcc
	s_cbranch_execz .LBB937_399
; %bb.398:
	v_sub_u32_e32 v1, v22, v19
	v_lshlrev_b32_e32 v1, 3, v1
	ds_write_b64 v1, v[14:15]
.LBB937_399:
	s_or_b64 exec, exec, s[0:1]
	v_cmp_lt_u32_e32 vcc, v0, v18
	s_waitcnt lgkmcnt(0)
	s_barrier
	s_and_saveexec_b64 s[0:1], vcc
	s_cbranch_execz .LBB937_402
; %bb.400:
	v_mov_b32_e32 v5, 0
	v_mov_b32_e32 v4, v19
	s_lshl_b64 s[4:5], s[22:23], 3
	v_lshlrev_b64 v[6:7], 3, v[4:5]
	v_lshl_add_u64 v[6:7], s[4:5], 0, v[6:7]
	v_lshlrev_b32_e32 v2, 3, v0
	v_mov_b32_e32 v3, v5
	v_lshl_add_u64 v[4:5], s[2:3], 0, v[6:7]
	v_lshl_add_u64 v[4:5], v[4:5], 0, v[2:3]
	s_mov_b64 s[2:3], 0
	s_mov_b64 s[4:5], 0x1000
	v_mov_b32_e32 v1, v0
.LBB937_401:                            ; =>This Inner Loop Header: Depth=1
	ds_read_b64 v[6:7], v2
	v_add_u32_e32 v1, 0x200, v1
	v_cmp_ge_u32_e32 vcc, v1, v18
	v_add_u32_e32 v2, 0x1000, v2
	s_or_b64 s[2:3], vcc, s[2:3]
	s_waitcnt lgkmcnt(0)
	global_store_dwordx2 v[4:5], v[6:7], off
	v_lshl_add_u64 v[4:5], v[4:5], 0, s[4:5]
	s_andn2_b64 exec, exec, s[2:3]
	s_cbranch_execnz .LBB937_401
.LBB937_402:
	s_or_b64 exec, exec, s[0:1]
	v_cmp_eq_u32_e32 vcc, 0, v0
	s_and_b64 s[0:1], vcc, s[24:25]
	s_and_saveexec_b64 s[2:3], s[0:1]
	s_cbranch_execz .LBB937_362
.LBB937_403:
	v_mov_b32_e32 v1, 0
	v_mov_b32_e32 v0, v18
	v_lshl_add_u64 v[2:3], s[22:23], 0, v[0:1]
	v_mov_b32_e32 v0, v19
	v_lshl_add_u64 v[2:3], v[2:3], 0, v[0:1]
	global_store_dwordx2 v1, v[2:3], s[20:21]
	s_endpgm
	.section	.rodata,"a",@progbits
	.p2align	6, 0x0
	.amdhsa_kernel _ZN7rocprim17ROCPRIM_400000_NS6detail17trampoline_kernelINS0_14default_configENS1_25partition_config_selectorILNS1_17partition_subalgoE8ElNS0_10empty_typeEbEEZZNS1_14partition_implILS5_8ELb0ES3_jPlPS6_PKS6_NS0_5tupleIJS9_S6_EEENSD_IJSA_SA_EEENS0_18inequality_wrapperIZN2at6native12_GLOBAL__N_124unique_dim_cuda_templateIfEESt5tupleIJNSH_6TensorESM_SM_EERKSM_lbbbEUlllE0_EEPmJS6_EEE10hipError_tPvRmT3_T4_T5_T6_T7_T9_mT8_P12ihipStream_tbDpT10_ENKUlT_T0_E_clISt17integral_constantIbLb0EES1C_EEDaS17_S18_EUlS17_E_NS1_11comp_targetILNS1_3genE5ELNS1_11target_archE942ELNS1_3gpuE9ELNS1_3repE0EEENS1_30default_config_static_selectorELNS0_4arch9wavefront6targetE1EEEvT1_
		.amdhsa_group_segment_fixed_size 28684
		.amdhsa_private_segment_fixed_size 0
		.amdhsa_kernarg_size 120
		.amdhsa_user_sgpr_count 2
		.amdhsa_user_sgpr_dispatch_ptr 0
		.amdhsa_user_sgpr_queue_ptr 0
		.amdhsa_user_sgpr_kernarg_segment_ptr 1
		.amdhsa_user_sgpr_dispatch_id 0
		.amdhsa_user_sgpr_kernarg_preload_length 0
		.amdhsa_user_sgpr_kernarg_preload_offset 0
		.amdhsa_user_sgpr_private_segment_size 0
		.amdhsa_uses_dynamic_stack 0
		.amdhsa_enable_private_segment 0
		.amdhsa_system_sgpr_workgroup_id_x 1
		.amdhsa_system_sgpr_workgroup_id_y 0
		.amdhsa_system_sgpr_workgroup_id_z 0
		.amdhsa_system_sgpr_workgroup_info 0
		.amdhsa_system_vgpr_workitem_id 0
		.amdhsa_next_free_vgpr 52
		.amdhsa_next_free_sgpr 52
		.amdhsa_accum_offset 52
		.amdhsa_reserve_vcc 1
		.amdhsa_float_round_mode_32 0
		.amdhsa_float_round_mode_16_64 0
		.amdhsa_float_denorm_mode_32 3
		.amdhsa_float_denorm_mode_16_64 3
		.amdhsa_dx10_clamp 1
		.amdhsa_ieee_mode 1
		.amdhsa_fp16_overflow 0
		.amdhsa_tg_split 0
		.amdhsa_exception_fp_ieee_invalid_op 0
		.amdhsa_exception_fp_denorm_src 0
		.amdhsa_exception_fp_ieee_div_zero 0
		.amdhsa_exception_fp_ieee_overflow 0
		.amdhsa_exception_fp_ieee_underflow 0
		.amdhsa_exception_fp_ieee_inexact 0
		.amdhsa_exception_int_div_zero 0
	.end_amdhsa_kernel
	.section	.text._ZN7rocprim17ROCPRIM_400000_NS6detail17trampoline_kernelINS0_14default_configENS1_25partition_config_selectorILNS1_17partition_subalgoE8ElNS0_10empty_typeEbEEZZNS1_14partition_implILS5_8ELb0ES3_jPlPS6_PKS6_NS0_5tupleIJS9_S6_EEENSD_IJSA_SA_EEENS0_18inequality_wrapperIZN2at6native12_GLOBAL__N_124unique_dim_cuda_templateIfEESt5tupleIJNSH_6TensorESM_SM_EERKSM_lbbbEUlllE0_EEPmJS6_EEE10hipError_tPvRmT3_T4_T5_T6_T7_T9_mT8_P12ihipStream_tbDpT10_ENKUlT_T0_E_clISt17integral_constantIbLb0EES1C_EEDaS17_S18_EUlS17_E_NS1_11comp_targetILNS1_3genE5ELNS1_11target_archE942ELNS1_3gpuE9ELNS1_3repE0EEENS1_30default_config_static_selectorELNS0_4arch9wavefront6targetE1EEEvT1_,"axG",@progbits,_ZN7rocprim17ROCPRIM_400000_NS6detail17trampoline_kernelINS0_14default_configENS1_25partition_config_selectorILNS1_17partition_subalgoE8ElNS0_10empty_typeEbEEZZNS1_14partition_implILS5_8ELb0ES3_jPlPS6_PKS6_NS0_5tupleIJS9_S6_EEENSD_IJSA_SA_EEENS0_18inequality_wrapperIZN2at6native12_GLOBAL__N_124unique_dim_cuda_templateIfEESt5tupleIJNSH_6TensorESM_SM_EERKSM_lbbbEUlllE0_EEPmJS6_EEE10hipError_tPvRmT3_T4_T5_T6_T7_T9_mT8_P12ihipStream_tbDpT10_ENKUlT_T0_E_clISt17integral_constantIbLb0EES1C_EEDaS17_S18_EUlS17_E_NS1_11comp_targetILNS1_3genE5ELNS1_11target_archE942ELNS1_3gpuE9ELNS1_3repE0EEENS1_30default_config_static_selectorELNS0_4arch9wavefront6targetE1EEEvT1_,comdat
.Lfunc_end937:
	.size	_ZN7rocprim17ROCPRIM_400000_NS6detail17trampoline_kernelINS0_14default_configENS1_25partition_config_selectorILNS1_17partition_subalgoE8ElNS0_10empty_typeEbEEZZNS1_14partition_implILS5_8ELb0ES3_jPlPS6_PKS6_NS0_5tupleIJS9_S6_EEENSD_IJSA_SA_EEENS0_18inequality_wrapperIZN2at6native12_GLOBAL__N_124unique_dim_cuda_templateIfEESt5tupleIJNSH_6TensorESM_SM_EERKSM_lbbbEUlllE0_EEPmJS6_EEE10hipError_tPvRmT3_T4_T5_T6_T7_T9_mT8_P12ihipStream_tbDpT10_ENKUlT_T0_E_clISt17integral_constantIbLb0EES1C_EEDaS17_S18_EUlS17_E_NS1_11comp_targetILNS1_3genE5ELNS1_11target_archE942ELNS1_3gpuE9ELNS1_3repE0EEENS1_30default_config_static_selectorELNS0_4arch9wavefront6targetE1EEEvT1_, .Lfunc_end937-_ZN7rocprim17ROCPRIM_400000_NS6detail17trampoline_kernelINS0_14default_configENS1_25partition_config_selectorILNS1_17partition_subalgoE8ElNS0_10empty_typeEbEEZZNS1_14partition_implILS5_8ELb0ES3_jPlPS6_PKS6_NS0_5tupleIJS9_S6_EEENSD_IJSA_SA_EEENS0_18inequality_wrapperIZN2at6native12_GLOBAL__N_124unique_dim_cuda_templateIfEESt5tupleIJNSH_6TensorESM_SM_EERKSM_lbbbEUlllE0_EEPmJS6_EEE10hipError_tPvRmT3_T4_T5_T6_T7_T9_mT8_P12ihipStream_tbDpT10_ENKUlT_T0_E_clISt17integral_constantIbLb0EES1C_EEDaS17_S18_EUlS17_E_NS1_11comp_targetILNS1_3genE5ELNS1_11target_archE942ELNS1_3gpuE9ELNS1_3repE0EEENS1_30default_config_static_selectorELNS0_4arch9wavefront6targetE1EEEvT1_
                                        ; -- End function
	.section	.AMDGPU.csdata,"",@progbits
; Kernel info:
; codeLenInByte = 12836
; NumSgprs: 58
; NumVgprs: 52
; NumAgprs: 0
; TotalNumVgprs: 52
; ScratchSize: 0
; MemoryBound: 0
; FloatMode: 240
; IeeeMode: 1
; LDSByteSize: 28684 bytes/workgroup (compile time only)
; SGPRBlocks: 7
; VGPRBlocks: 6
; NumSGPRsForWavesPerEU: 58
; NumVGPRsForWavesPerEU: 52
; AccumOffset: 52
; Occupancy: 4
; WaveLimiterHint : 1
; COMPUTE_PGM_RSRC2:SCRATCH_EN: 0
; COMPUTE_PGM_RSRC2:USER_SGPR: 2
; COMPUTE_PGM_RSRC2:TRAP_HANDLER: 0
; COMPUTE_PGM_RSRC2:TGID_X_EN: 1
; COMPUTE_PGM_RSRC2:TGID_Y_EN: 0
; COMPUTE_PGM_RSRC2:TGID_Z_EN: 0
; COMPUTE_PGM_RSRC2:TIDIG_COMP_CNT: 0
; COMPUTE_PGM_RSRC3_GFX90A:ACCUM_OFFSET: 12
; COMPUTE_PGM_RSRC3_GFX90A:TG_SPLIT: 0
	.section	.text._ZN7rocprim17ROCPRIM_400000_NS6detail17trampoline_kernelINS0_14default_configENS1_25partition_config_selectorILNS1_17partition_subalgoE8ElNS0_10empty_typeEbEEZZNS1_14partition_implILS5_8ELb0ES3_jPlPS6_PKS6_NS0_5tupleIJS9_S6_EEENSD_IJSA_SA_EEENS0_18inequality_wrapperIZN2at6native12_GLOBAL__N_124unique_dim_cuda_templateIfEESt5tupleIJNSH_6TensorESM_SM_EERKSM_lbbbEUlllE0_EEPmJS6_EEE10hipError_tPvRmT3_T4_T5_T6_T7_T9_mT8_P12ihipStream_tbDpT10_ENKUlT_T0_E_clISt17integral_constantIbLb0EES1C_EEDaS17_S18_EUlS17_E_NS1_11comp_targetILNS1_3genE4ELNS1_11target_archE910ELNS1_3gpuE8ELNS1_3repE0EEENS1_30default_config_static_selectorELNS0_4arch9wavefront6targetE1EEEvT1_,"axG",@progbits,_ZN7rocprim17ROCPRIM_400000_NS6detail17trampoline_kernelINS0_14default_configENS1_25partition_config_selectorILNS1_17partition_subalgoE8ElNS0_10empty_typeEbEEZZNS1_14partition_implILS5_8ELb0ES3_jPlPS6_PKS6_NS0_5tupleIJS9_S6_EEENSD_IJSA_SA_EEENS0_18inequality_wrapperIZN2at6native12_GLOBAL__N_124unique_dim_cuda_templateIfEESt5tupleIJNSH_6TensorESM_SM_EERKSM_lbbbEUlllE0_EEPmJS6_EEE10hipError_tPvRmT3_T4_T5_T6_T7_T9_mT8_P12ihipStream_tbDpT10_ENKUlT_T0_E_clISt17integral_constantIbLb0EES1C_EEDaS17_S18_EUlS17_E_NS1_11comp_targetILNS1_3genE4ELNS1_11target_archE910ELNS1_3gpuE8ELNS1_3repE0EEENS1_30default_config_static_selectorELNS0_4arch9wavefront6targetE1EEEvT1_,comdat
	.globl	_ZN7rocprim17ROCPRIM_400000_NS6detail17trampoline_kernelINS0_14default_configENS1_25partition_config_selectorILNS1_17partition_subalgoE8ElNS0_10empty_typeEbEEZZNS1_14partition_implILS5_8ELb0ES3_jPlPS6_PKS6_NS0_5tupleIJS9_S6_EEENSD_IJSA_SA_EEENS0_18inequality_wrapperIZN2at6native12_GLOBAL__N_124unique_dim_cuda_templateIfEESt5tupleIJNSH_6TensorESM_SM_EERKSM_lbbbEUlllE0_EEPmJS6_EEE10hipError_tPvRmT3_T4_T5_T6_T7_T9_mT8_P12ihipStream_tbDpT10_ENKUlT_T0_E_clISt17integral_constantIbLb0EES1C_EEDaS17_S18_EUlS17_E_NS1_11comp_targetILNS1_3genE4ELNS1_11target_archE910ELNS1_3gpuE8ELNS1_3repE0EEENS1_30default_config_static_selectorELNS0_4arch9wavefront6targetE1EEEvT1_ ; -- Begin function _ZN7rocprim17ROCPRIM_400000_NS6detail17trampoline_kernelINS0_14default_configENS1_25partition_config_selectorILNS1_17partition_subalgoE8ElNS0_10empty_typeEbEEZZNS1_14partition_implILS5_8ELb0ES3_jPlPS6_PKS6_NS0_5tupleIJS9_S6_EEENSD_IJSA_SA_EEENS0_18inequality_wrapperIZN2at6native12_GLOBAL__N_124unique_dim_cuda_templateIfEESt5tupleIJNSH_6TensorESM_SM_EERKSM_lbbbEUlllE0_EEPmJS6_EEE10hipError_tPvRmT3_T4_T5_T6_T7_T9_mT8_P12ihipStream_tbDpT10_ENKUlT_T0_E_clISt17integral_constantIbLb0EES1C_EEDaS17_S18_EUlS17_E_NS1_11comp_targetILNS1_3genE4ELNS1_11target_archE910ELNS1_3gpuE8ELNS1_3repE0EEENS1_30default_config_static_selectorELNS0_4arch9wavefront6targetE1EEEvT1_
	.p2align	8
	.type	_ZN7rocprim17ROCPRIM_400000_NS6detail17trampoline_kernelINS0_14default_configENS1_25partition_config_selectorILNS1_17partition_subalgoE8ElNS0_10empty_typeEbEEZZNS1_14partition_implILS5_8ELb0ES3_jPlPS6_PKS6_NS0_5tupleIJS9_S6_EEENSD_IJSA_SA_EEENS0_18inequality_wrapperIZN2at6native12_GLOBAL__N_124unique_dim_cuda_templateIfEESt5tupleIJNSH_6TensorESM_SM_EERKSM_lbbbEUlllE0_EEPmJS6_EEE10hipError_tPvRmT3_T4_T5_T6_T7_T9_mT8_P12ihipStream_tbDpT10_ENKUlT_T0_E_clISt17integral_constantIbLb0EES1C_EEDaS17_S18_EUlS17_E_NS1_11comp_targetILNS1_3genE4ELNS1_11target_archE910ELNS1_3gpuE8ELNS1_3repE0EEENS1_30default_config_static_selectorELNS0_4arch9wavefront6targetE1EEEvT1_,@function
_ZN7rocprim17ROCPRIM_400000_NS6detail17trampoline_kernelINS0_14default_configENS1_25partition_config_selectorILNS1_17partition_subalgoE8ElNS0_10empty_typeEbEEZZNS1_14partition_implILS5_8ELb0ES3_jPlPS6_PKS6_NS0_5tupleIJS9_S6_EEENSD_IJSA_SA_EEENS0_18inequality_wrapperIZN2at6native12_GLOBAL__N_124unique_dim_cuda_templateIfEESt5tupleIJNSH_6TensorESM_SM_EERKSM_lbbbEUlllE0_EEPmJS6_EEE10hipError_tPvRmT3_T4_T5_T6_T7_T9_mT8_P12ihipStream_tbDpT10_ENKUlT_T0_E_clISt17integral_constantIbLb0EES1C_EEDaS17_S18_EUlS17_E_NS1_11comp_targetILNS1_3genE4ELNS1_11target_archE910ELNS1_3gpuE8ELNS1_3repE0EEENS1_30default_config_static_selectorELNS0_4arch9wavefront6targetE1EEEvT1_: ; @_ZN7rocprim17ROCPRIM_400000_NS6detail17trampoline_kernelINS0_14default_configENS1_25partition_config_selectorILNS1_17partition_subalgoE8ElNS0_10empty_typeEbEEZZNS1_14partition_implILS5_8ELb0ES3_jPlPS6_PKS6_NS0_5tupleIJS9_S6_EEENSD_IJSA_SA_EEENS0_18inequality_wrapperIZN2at6native12_GLOBAL__N_124unique_dim_cuda_templateIfEESt5tupleIJNSH_6TensorESM_SM_EERKSM_lbbbEUlllE0_EEPmJS6_EEE10hipError_tPvRmT3_T4_T5_T6_T7_T9_mT8_P12ihipStream_tbDpT10_ENKUlT_T0_E_clISt17integral_constantIbLb0EES1C_EEDaS17_S18_EUlS17_E_NS1_11comp_targetILNS1_3genE4ELNS1_11target_archE910ELNS1_3gpuE8ELNS1_3repE0EEENS1_30default_config_static_selectorELNS0_4arch9wavefront6targetE1EEEvT1_
; %bb.0:
	.section	.rodata,"a",@progbits
	.p2align	6, 0x0
	.amdhsa_kernel _ZN7rocprim17ROCPRIM_400000_NS6detail17trampoline_kernelINS0_14default_configENS1_25partition_config_selectorILNS1_17partition_subalgoE8ElNS0_10empty_typeEbEEZZNS1_14partition_implILS5_8ELb0ES3_jPlPS6_PKS6_NS0_5tupleIJS9_S6_EEENSD_IJSA_SA_EEENS0_18inequality_wrapperIZN2at6native12_GLOBAL__N_124unique_dim_cuda_templateIfEESt5tupleIJNSH_6TensorESM_SM_EERKSM_lbbbEUlllE0_EEPmJS6_EEE10hipError_tPvRmT3_T4_T5_T6_T7_T9_mT8_P12ihipStream_tbDpT10_ENKUlT_T0_E_clISt17integral_constantIbLb0EES1C_EEDaS17_S18_EUlS17_E_NS1_11comp_targetILNS1_3genE4ELNS1_11target_archE910ELNS1_3gpuE8ELNS1_3repE0EEENS1_30default_config_static_selectorELNS0_4arch9wavefront6targetE1EEEvT1_
		.amdhsa_group_segment_fixed_size 0
		.amdhsa_private_segment_fixed_size 0
		.amdhsa_kernarg_size 120
		.amdhsa_user_sgpr_count 2
		.amdhsa_user_sgpr_dispatch_ptr 0
		.amdhsa_user_sgpr_queue_ptr 0
		.amdhsa_user_sgpr_kernarg_segment_ptr 1
		.amdhsa_user_sgpr_dispatch_id 0
		.amdhsa_user_sgpr_kernarg_preload_length 0
		.amdhsa_user_sgpr_kernarg_preload_offset 0
		.amdhsa_user_sgpr_private_segment_size 0
		.amdhsa_uses_dynamic_stack 0
		.amdhsa_enable_private_segment 0
		.amdhsa_system_sgpr_workgroup_id_x 1
		.amdhsa_system_sgpr_workgroup_id_y 0
		.amdhsa_system_sgpr_workgroup_id_z 0
		.amdhsa_system_sgpr_workgroup_info 0
		.amdhsa_system_vgpr_workitem_id 0
		.amdhsa_next_free_vgpr 1
		.amdhsa_next_free_sgpr 0
		.amdhsa_accum_offset 4
		.amdhsa_reserve_vcc 0
		.amdhsa_float_round_mode_32 0
		.amdhsa_float_round_mode_16_64 0
		.amdhsa_float_denorm_mode_32 3
		.amdhsa_float_denorm_mode_16_64 3
		.amdhsa_dx10_clamp 1
		.amdhsa_ieee_mode 1
		.amdhsa_fp16_overflow 0
		.amdhsa_tg_split 0
		.amdhsa_exception_fp_ieee_invalid_op 0
		.amdhsa_exception_fp_denorm_src 0
		.amdhsa_exception_fp_ieee_div_zero 0
		.amdhsa_exception_fp_ieee_overflow 0
		.amdhsa_exception_fp_ieee_underflow 0
		.amdhsa_exception_fp_ieee_inexact 0
		.amdhsa_exception_int_div_zero 0
	.end_amdhsa_kernel
	.section	.text._ZN7rocprim17ROCPRIM_400000_NS6detail17trampoline_kernelINS0_14default_configENS1_25partition_config_selectorILNS1_17partition_subalgoE8ElNS0_10empty_typeEbEEZZNS1_14partition_implILS5_8ELb0ES3_jPlPS6_PKS6_NS0_5tupleIJS9_S6_EEENSD_IJSA_SA_EEENS0_18inequality_wrapperIZN2at6native12_GLOBAL__N_124unique_dim_cuda_templateIfEESt5tupleIJNSH_6TensorESM_SM_EERKSM_lbbbEUlllE0_EEPmJS6_EEE10hipError_tPvRmT3_T4_T5_T6_T7_T9_mT8_P12ihipStream_tbDpT10_ENKUlT_T0_E_clISt17integral_constantIbLb0EES1C_EEDaS17_S18_EUlS17_E_NS1_11comp_targetILNS1_3genE4ELNS1_11target_archE910ELNS1_3gpuE8ELNS1_3repE0EEENS1_30default_config_static_selectorELNS0_4arch9wavefront6targetE1EEEvT1_,"axG",@progbits,_ZN7rocprim17ROCPRIM_400000_NS6detail17trampoline_kernelINS0_14default_configENS1_25partition_config_selectorILNS1_17partition_subalgoE8ElNS0_10empty_typeEbEEZZNS1_14partition_implILS5_8ELb0ES3_jPlPS6_PKS6_NS0_5tupleIJS9_S6_EEENSD_IJSA_SA_EEENS0_18inequality_wrapperIZN2at6native12_GLOBAL__N_124unique_dim_cuda_templateIfEESt5tupleIJNSH_6TensorESM_SM_EERKSM_lbbbEUlllE0_EEPmJS6_EEE10hipError_tPvRmT3_T4_T5_T6_T7_T9_mT8_P12ihipStream_tbDpT10_ENKUlT_T0_E_clISt17integral_constantIbLb0EES1C_EEDaS17_S18_EUlS17_E_NS1_11comp_targetILNS1_3genE4ELNS1_11target_archE910ELNS1_3gpuE8ELNS1_3repE0EEENS1_30default_config_static_selectorELNS0_4arch9wavefront6targetE1EEEvT1_,comdat
.Lfunc_end938:
	.size	_ZN7rocprim17ROCPRIM_400000_NS6detail17trampoline_kernelINS0_14default_configENS1_25partition_config_selectorILNS1_17partition_subalgoE8ElNS0_10empty_typeEbEEZZNS1_14partition_implILS5_8ELb0ES3_jPlPS6_PKS6_NS0_5tupleIJS9_S6_EEENSD_IJSA_SA_EEENS0_18inequality_wrapperIZN2at6native12_GLOBAL__N_124unique_dim_cuda_templateIfEESt5tupleIJNSH_6TensorESM_SM_EERKSM_lbbbEUlllE0_EEPmJS6_EEE10hipError_tPvRmT3_T4_T5_T6_T7_T9_mT8_P12ihipStream_tbDpT10_ENKUlT_T0_E_clISt17integral_constantIbLb0EES1C_EEDaS17_S18_EUlS17_E_NS1_11comp_targetILNS1_3genE4ELNS1_11target_archE910ELNS1_3gpuE8ELNS1_3repE0EEENS1_30default_config_static_selectorELNS0_4arch9wavefront6targetE1EEEvT1_, .Lfunc_end938-_ZN7rocprim17ROCPRIM_400000_NS6detail17trampoline_kernelINS0_14default_configENS1_25partition_config_selectorILNS1_17partition_subalgoE8ElNS0_10empty_typeEbEEZZNS1_14partition_implILS5_8ELb0ES3_jPlPS6_PKS6_NS0_5tupleIJS9_S6_EEENSD_IJSA_SA_EEENS0_18inequality_wrapperIZN2at6native12_GLOBAL__N_124unique_dim_cuda_templateIfEESt5tupleIJNSH_6TensorESM_SM_EERKSM_lbbbEUlllE0_EEPmJS6_EEE10hipError_tPvRmT3_T4_T5_T6_T7_T9_mT8_P12ihipStream_tbDpT10_ENKUlT_T0_E_clISt17integral_constantIbLb0EES1C_EEDaS17_S18_EUlS17_E_NS1_11comp_targetILNS1_3genE4ELNS1_11target_archE910ELNS1_3gpuE8ELNS1_3repE0EEENS1_30default_config_static_selectorELNS0_4arch9wavefront6targetE1EEEvT1_
                                        ; -- End function
	.section	.AMDGPU.csdata,"",@progbits
; Kernel info:
; codeLenInByte = 0
; NumSgprs: 6
; NumVgprs: 0
; NumAgprs: 0
; TotalNumVgprs: 0
; ScratchSize: 0
; MemoryBound: 0
; FloatMode: 240
; IeeeMode: 1
; LDSByteSize: 0 bytes/workgroup (compile time only)
; SGPRBlocks: 0
; VGPRBlocks: 0
; NumSGPRsForWavesPerEU: 6
; NumVGPRsForWavesPerEU: 1
; AccumOffset: 4
; Occupancy: 8
; WaveLimiterHint : 0
; COMPUTE_PGM_RSRC2:SCRATCH_EN: 0
; COMPUTE_PGM_RSRC2:USER_SGPR: 2
; COMPUTE_PGM_RSRC2:TRAP_HANDLER: 0
; COMPUTE_PGM_RSRC2:TGID_X_EN: 1
; COMPUTE_PGM_RSRC2:TGID_Y_EN: 0
; COMPUTE_PGM_RSRC2:TGID_Z_EN: 0
; COMPUTE_PGM_RSRC2:TIDIG_COMP_CNT: 0
; COMPUTE_PGM_RSRC3_GFX90A:ACCUM_OFFSET: 0
; COMPUTE_PGM_RSRC3_GFX90A:TG_SPLIT: 0
	.section	.text._ZN7rocprim17ROCPRIM_400000_NS6detail17trampoline_kernelINS0_14default_configENS1_25partition_config_selectorILNS1_17partition_subalgoE8ElNS0_10empty_typeEbEEZZNS1_14partition_implILS5_8ELb0ES3_jPlPS6_PKS6_NS0_5tupleIJS9_S6_EEENSD_IJSA_SA_EEENS0_18inequality_wrapperIZN2at6native12_GLOBAL__N_124unique_dim_cuda_templateIfEESt5tupleIJNSH_6TensorESM_SM_EERKSM_lbbbEUlllE0_EEPmJS6_EEE10hipError_tPvRmT3_T4_T5_T6_T7_T9_mT8_P12ihipStream_tbDpT10_ENKUlT_T0_E_clISt17integral_constantIbLb0EES1C_EEDaS17_S18_EUlS17_E_NS1_11comp_targetILNS1_3genE3ELNS1_11target_archE908ELNS1_3gpuE7ELNS1_3repE0EEENS1_30default_config_static_selectorELNS0_4arch9wavefront6targetE1EEEvT1_,"axG",@progbits,_ZN7rocprim17ROCPRIM_400000_NS6detail17trampoline_kernelINS0_14default_configENS1_25partition_config_selectorILNS1_17partition_subalgoE8ElNS0_10empty_typeEbEEZZNS1_14partition_implILS5_8ELb0ES3_jPlPS6_PKS6_NS0_5tupleIJS9_S6_EEENSD_IJSA_SA_EEENS0_18inequality_wrapperIZN2at6native12_GLOBAL__N_124unique_dim_cuda_templateIfEESt5tupleIJNSH_6TensorESM_SM_EERKSM_lbbbEUlllE0_EEPmJS6_EEE10hipError_tPvRmT3_T4_T5_T6_T7_T9_mT8_P12ihipStream_tbDpT10_ENKUlT_T0_E_clISt17integral_constantIbLb0EES1C_EEDaS17_S18_EUlS17_E_NS1_11comp_targetILNS1_3genE3ELNS1_11target_archE908ELNS1_3gpuE7ELNS1_3repE0EEENS1_30default_config_static_selectorELNS0_4arch9wavefront6targetE1EEEvT1_,comdat
	.globl	_ZN7rocprim17ROCPRIM_400000_NS6detail17trampoline_kernelINS0_14default_configENS1_25partition_config_selectorILNS1_17partition_subalgoE8ElNS0_10empty_typeEbEEZZNS1_14partition_implILS5_8ELb0ES3_jPlPS6_PKS6_NS0_5tupleIJS9_S6_EEENSD_IJSA_SA_EEENS0_18inequality_wrapperIZN2at6native12_GLOBAL__N_124unique_dim_cuda_templateIfEESt5tupleIJNSH_6TensorESM_SM_EERKSM_lbbbEUlllE0_EEPmJS6_EEE10hipError_tPvRmT3_T4_T5_T6_T7_T9_mT8_P12ihipStream_tbDpT10_ENKUlT_T0_E_clISt17integral_constantIbLb0EES1C_EEDaS17_S18_EUlS17_E_NS1_11comp_targetILNS1_3genE3ELNS1_11target_archE908ELNS1_3gpuE7ELNS1_3repE0EEENS1_30default_config_static_selectorELNS0_4arch9wavefront6targetE1EEEvT1_ ; -- Begin function _ZN7rocprim17ROCPRIM_400000_NS6detail17trampoline_kernelINS0_14default_configENS1_25partition_config_selectorILNS1_17partition_subalgoE8ElNS0_10empty_typeEbEEZZNS1_14partition_implILS5_8ELb0ES3_jPlPS6_PKS6_NS0_5tupleIJS9_S6_EEENSD_IJSA_SA_EEENS0_18inequality_wrapperIZN2at6native12_GLOBAL__N_124unique_dim_cuda_templateIfEESt5tupleIJNSH_6TensorESM_SM_EERKSM_lbbbEUlllE0_EEPmJS6_EEE10hipError_tPvRmT3_T4_T5_T6_T7_T9_mT8_P12ihipStream_tbDpT10_ENKUlT_T0_E_clISt17integral_constantIbLb0EES1C_EEDaS17_S18_EUlS17_E_NS1_11comp_targetILNS1_3genE3ELNS1_11target_archE908ELNS1_3gpuE7ELNS1_3repE0EEENS1_30default_config_static_selectorELNS0_4arch9wavefront6targetE1EEEvT1_
	.p2align	8
	.type	_ZN7rocprim17ROCPRIM_400000_NS6detail17trampoline_kernelINS0_14default_configENS1_25partition_config_selectorILNS1_17partition_subalgoE8ElNS0_10empty_typeEbEEZZNS1_14partition_implILS5_8ELb0ES3_jPlPS6_PKS6_NS0_5tupleIJS9_S6_EEENSD_IJSA_SA_EEENS0_18inequality_wrapperIZN2at6native12_GLOBAL__N_124unique_dim_cuda_templateIfEESt5tupleIJNSH_6TensorESM_SM_EERKSM_lbbbEUlllE0_EEPmJS6_EEE10hipError_tPvRmT3_T4_T5_T6_T7_T9_mT8_P12ihipStream_tbDpT10_ENKUlT_T0_E_clISt17integral_constantIbLb0EES1C_EEDaS17_S18_EUlS17_E_NS1_11comp_targetILNS1_3genE3ELNS1_11target_archE908ELNS1_3gpuE7ELNS1_3repE0EEENS1_30default_config_static_selectorELNS0_4arch9wavefront6targetE1EEEvT1_,@function
_ZN7rocprim17ROCPRIM_400000_NS6detail17trampoline_kernelINS0_14default_configENS1_25partition_config_selectorILNS1_17partition_subalgoE8ElNS0_10empty_typeEbEEZZNS1_14partition_implILS5_8ELb0ES3_jPlPS6_PKS6_NS0_5tupleIJS9_S6_EEENSD_IJSA_SA_EEENS0_18inequality_wrapperIZN2at6native12_GLOBAL__N_124unique_dim_cuda_templateIfEESt5tupleIJNSH_6TensorESM_SM_EERKSM_lbbbEUlllE0_EEPmJS6_EEE10hipError_tPvRmT3_T4_T5_T6_T7_T9_mT8_P12ihipStream_tbDpT10_ENKUlT_T0_E_clISt17integral_constantIbLb0EES1C_EEDaS17_S18_EUlS17_E_NS1_11comp_targetILNS1_3genE3ELNS1_11target_archE908ELNS1_3gpuE7ELNS1_3repE0EEENS1_30default_config_static_selectorELNS0_4arch9wavefront6targetE1EEEvT1_: ; @_ZN7rocprim17ROCPRIM_400000_NS6detail17trampoline_kernelINS0_14default_configENS1_25partition_config_selectorILNS1_17partition_subalgoE8ElNS0_10empty_typeEbEEZZNS1_14partition_implILS5_8ELb0ES3_jPlPS6_PKS6_NS0_5tupleIJS9_S6_EEENSD_IJSA_SA_EEENS0_18inequality_wrapperIZN2at6native12_GLOBAL__N_124unique_dim_cuda_templateIfEESt5tupleIJNSH_6TensorESM_SM_EERKSM_lbbbEUlllE0_EEPmJS6_EEE10hipError_tPvRmT3_T4_T5_T6_T7_T9_mT8_P12ihipStream_tbDpT10_ENKUlT_T0_E_clISt17integral_constantIbLb0EES1C_EEDaS17_S18_EUlS17_E_NS1_11comp_targetILNS1_3genE3ELNS1_11target_archE908ELNS1_3gpuE7ELNS1_3repE0EEENS1_30default_config_static_selectorELNS0_4arch9wavefront6targetE1EEEvT1_
; %bb.0:
	.section	.rodata,"a",@progbits
	.p2align	6, 0x0
	.amdhsa_kernel _ZN7rocprim17ROCPRIM_400000_NS6detail17trampoline_kernelINS0_14default_configENS1_25partition_config_selectorILNS1_17partition_subalgoE8ElNS0_10empty_typeEbEEZZNS1_14partition_implILS5_8ELb0ES3_jPlPS6_PKS6_NS0_5tupleIJS9_S6_EEENSD_IJSA_SA_EEENS0_18inequality_wrapperIZN2at6native12_GLOBAL__N_124unique_dim_cuda_templateIfEESt5tupleIJNSH_6TensorESM_SM_EERKSM_lbbbEUlllE0_EEPmJS6_EEE10hipError_tPvRmT3_T4_T5_T6_T7_T9_mT8_P12ihipStream_tbDpT10_ENKUlT_T0_E_clISt17integral_constantIbLb0EES1C_EEDaS17_S18_EUlS17_E_NS1_11comp_targetILNS1_3genE3ELNS1_11target_archE908ELNS1_3gpuE7ELNS1_3repE0EEENS1_30default_config_static_selectorELNS0_4arch9wavefront6targetE1EEEvT1_
		.amdhsa_group_segment_fixed_size 0
		.amdhsa_private_segment_fixed_size 0
		.amdhsa_kernarg_size 120
		.amdhsa_user_sgpr_count 2
		.amdhsa_user_sgpr_dispatch_ptr 0
		.amdhsa_user_sgpr_queue_ptr 0
		.amdhsa_user_sgpr_kernarg_segment_ptr 1
		.amdhsa_user_sgpr_dispatch_id 0
		.amdhsa_user_sgpr_kernarg_preload_length 0
		.amdhsa_user_sgpr_kernarg_preload_offset 0
		.amdhsa_user_sgpr_private_segment_size 0
		.amdhsa_uses_dynamic_stack 0
		.amdhsa_enable_private_segment 0
		.amdhsa_system_sgpr_workgroup_id_x 1
		.amdhsa_system_sgpr_workgroup_id_y 0
		.amdhsa_system_sgpr_workgroup_id_z 0
		.amdhsa_system_sgpr_workgroup_info 0
		.amdhsa_system_vgpr_workitem_id 0
		.amdhsa_next_free_vgpr 1
		.amdhsa_next_free_sgpr 0
		.amdhsa_accum_offset 4
		.amdhsa_reserve_vcc 0
		.amdhsa_float_round_mode_32 0
		.amdhsa_float_round_mode_16_64 0
		.amdhsa_float_denorm_mode_32 3
		.amdhsa_float_denorm_mode_16_64 3
		.amdhsa_dx10_clamp 1
		.amdhsa_ieee_mode 1
		.amdhsa_fp16_overflow 0
		.amdhsa_tg_split 0
		.amdhsa_exception_fp_ieee_invalid_op 0
		.amdhsa_exception_fp_denorm_src 0
		.amdhsa_exception_fp_ieee_div_zero 0
		.amdhsa_exception_fp_ieee_overflow 0
		.amdhsa_exception_fp_ieee_underflow 0
		.amdhsa_exception_fp_ieee_inexact 0
		.amdhsa_exception_int_div_zero 0
	.end_amdhsa_kernel
	.section	.text._ZN7rocprim17ROCPRIM_400000_NS6detail17trampoline_kernelINS0_14default_configENS1_25partition_config_selectorILNS1_17partition_subalgoE8ElNS0_10empty_typeEbEEZZNS1_14partition_implILS5_8ELb0ES3_jPlPS6_PKS6_NS0_5tupleIJS9_S6_EEENSD_IJSA_SA_EEENS0_18inequality_wrapperIZN2at6native12_GLOBAL__N_124unique_dim_cuda_templateIfEESt5tupleIJNSH_6TensorESM_SM_EERKSM_lbbbEUlllE0_EEPmJS6_EEE10hipError_tPvRmT3_T4_T5_T6_T7_T9_mT8_P12ihipStream_tbDpT10_ENKUlT_T0_E_clISt17integral_constantIbLb0EES1C_EEDaS17_S18_EUlS17_E_NS1_11comp_targetILNS1_3genE3ELNS1_11target_archE908ELNS1_3gpuE7ELNS1_3repE0EEENS1_30default_config_static_selectorELNS0_4arch9wavefront6targetE1EEEvT1_,"axG",@progbits,_ZN7rocprim17ROCPRIM_400000_NS6detail17trampoline_kernelINS0_14default_configENS1_25partition_config_selectorILNS1_17partition_subalgoE8ElNS0_10empty_typeEbEEZZNS1_14partition_implILS5_8ELb0ES3_jPlPS6_PKS6_NS0_5tupleIJS9_S6_EEENSD_IJSA_SA_EEENS0_18inequality_wrapperIZN2at6native12_GLOBAL__N_124unique_dim_cuda_templateIfEESt5tupleIJNSH_6TensorESM_SM_EERKSM_lbbbEUlllE0_EEPmJS6_EEE10hipError_tPvRmT3_T4_T5_T6_T7_T9_mT8_P12ihipStream_tbDpT10_ENKUlT_T0_E_clISt17integral_constantIbLb0EES1C_EEDaS17_S18_EUlS17_E_NS1_11comp_targetILNS1_3genE3ELNS1_11target_archE908ELNS1_3gpuE7ELNS1_3repE0EEENS1_30default_config_static_selectorELNS0_4arch9wavefront6targetE1EEEvT1_,comdat
.Lfunc_end939:
	.size	_ZN7rocprim17ROCPRIM_400000_NS6detail17trampoline_kernelINS0_14default_configENS1_25partition_config_selectorILNS1_17partition_subalgoE8ElNS0_10empty_typeEbEEZZNS1_14partition_implILS5_8ELb0ES3_jPlPS6_PKS6_NS0_5tupleIJS9_S6_EEENSD_IJSA_SA_EEENS0_18inequality_wrapperIZN2at6native12_GLOBAL__N_124unique_dim_cuda_templateIfEESt5tupleIJNSH_6TensorESM_SM_EERKSM_lbbbEUlllE0_EEPmJS6_EEE10hipError_tPvRmT3_T4_T5_T6_T7_T9_mT8_P12ihipStream_tbDpT10_ENKUlT_T0_E_clISt17integral_constantIbLb0EES1C_EEDaS17_S18_EUlS17_E_NS1_11comp_targetILNS1_3genE3ELNS1_11target_archE908ELNS1_3gpuE7ELNS1_3repE0EEENS1_30default_config_static_selectorELNS0_4arch9wavefront6targetE1EEEvT1_, .Lfunc_end939-_ZN7rocprim17ROCPRIM_400000_NS6detail17trampoline_kernelINS0_14default_configENS1_25partition_config_selectorILNS1_17partition_subalgoE8ElNS0_10empty_typeEbEEZZNS1_14partition_implILS5_8ELb0ES3_jPlPS6_PKS6_NS0_5tupleIJS9_S6_EEENSD_IJSA_SA_EEENS0_18inequality_wrapperIZN2at6native12_GLOBAL__N_124unique_dim_cuda_templateIfEESt5tupleIJNSH_6TensorESM_SM_EERKSM_lbbbEUlllE0_EEPmJS6_EEE10hipError_tPvRmT3_T4_T5_T6_T7_T9_mT8_P12ihipStream_tbDpT10_ENKUlT_T0_E_clISt17integral_constantIbLb0EES1C_EEDaS17_S18_EUlS17_E_NS1_11comp_targetILNS1_3genE3ELNS1_11target_archE908ELNS1_3gpuE7ELNS1_3repE0EEENS1_30default_config_static_selectorELNS0_4arch9wavefront6targetE1EEEvT1_
                                        ; -- End function
	.section	.AMDGPU.csdata,"",@progbits
; Kernel info:
; codeLenInByte = 0
; NumSgprs: 6
; NumVgprs: 0
; NumAgprs: 0
; TotalNumVgprs: 0
; ScratchSize: 0
; MemoryBound: 0
; FloatMode: 240
; IeeeMode: 1
; LDSByteSize: 0 bytes/workgroup (compile time only)
; SGPRBlocks: 0
; VGPRBlocks: 0
; NumSGPRsForWavesPerEU: 6
; NumVGPRsForWavesPerEU: 1
; AccumOffset: 4
; Occupancy: 8
; WaveLimiterHint : 0
; COMPUTE_PGM_RSRC2:SCRATCH_EN: 0
; COMPUTE_PGM_RSRC2:USER_SGPR: 2
; COMPUTE_PGM_RSRC2:TRAP_HANDLER: 0
; COMPUTE_PGM_RSRC2:TGID_X_EN: 1
; COMPUTE_PGM_RSRC2:TGID_Y_EN: 0
; COMPUTE_PGM_RSRC2:TGID_Z_EN: 0
; COMPUTE_PGM_RSRC2:TIDIG_COMP_CNT: 0
; COMPUTE_PGM_RSRC3_GFX90A:ACCUM_OFFSET: 0
; COMPUTE_PGM_RSRC3_GFX90A:TG_SPLIT: 0
	.section	.text._ZN7rocprim17ROCPRIM_400000_NS6detail17trampoline_kernelINS0_14default_configENS1_25partition_config_selectorILNS1_17partition_subalgoE8ElNS0_10empty_typeEbEEZZNS1_14partition_implILS5_8ELb0ES3_jPlPS6_PKS6_NS0_5tupleIJS9_S6_EEENSD_IJSA_SA_EEENS0_18inequality_wrapperIZN2at6native12_GLOBAL__N_124unique_dim_cuda_templateIfEESt5tupleIJNSH_6TensorESM_SM_EERKSM_lbbbEUlllE0_EEPmJS6_EEE10hipError_tPvRmT3_T4_T5_T6_T7_T9_mT8_P12ihipStream_tbDpT10_ENKUlT_T0_E_clISt17integral_constantIbLb0EES1C_EEDaS17_S18_EUlS17_E_NS1_11comp_targetILNS1_3genE2ELNS1_11target_archE906ELNS1_3gpuE6ELNS1_3repE0EEENS1_30default_config_static_selectorELNS0_4arch9wavefront6targetE1EEEvT1_,"axG",@progbits,_ZN7rocprim17ROCPRIM_400000_NS6detail17trampoline_kernelINS0_14default_configENS1_25partition_config_selectorILNS1_17partition_subalgoE8ElNS0_10empty_typeEbEEZZNS1_14partition_implILS5_8ELb0ES3_jPlPS6_PKS6_NS0_5tupleIJS9_S6_EEENSD_IJSA_SA_EEENS0_18inequality_wrapperIZN2at6native12_GLOBAL__N_124unique_dim_cuda_templateIfEESt5tupleIJNSH_6TensorESM_SM_EERKSM_lbbbEUlllE0_EEPmJS6_EEE10hipError_tPvRmT3_T4_T5_T6_T7_T9_mT8_P12ihipStream_tbDpT10_ENKUlT_T0_E_clISt17integral_constantIbLb0EES1C_EEDaS17_S18_EUlS17_E_NS1_11comp_targetILNS1_3genE2ELNS1_11target_archE906ELNS1_3gpuE6ELNS1_3repE0EEENS1_30default_config_static_selectorELNS0_4arch9wavefront6targetE1EEEvT1_,comdat
	.globl	_ZN7rocprim17ROCPRIM_400000_NS6detail17trampoline_kernelINS0_14default_configENS1_25partition_config_selectorILNS1_17partition_subalgoE8ElNS0_10empty_typeEbEEZZNS1_14partition_implILS5_8ELb0ES3_jPlPS6_PKS6_NS0_5tupleIJS9_S6_EEENSD_IJSA_SA_EEENS0_18inequality_wrapperIZN2at6native12_GLOBAL__N_124unique_dim_cuda_templateIfEESt5tupleIJNSH_6TensorESM_SM_EERKSM_lbbbEUlllE0_EEPmJS6_EEE10hipError_tPvRmT3_T4_T5_T6_T7_T9_mT8_P12ihipStream_tbDpT10_ENKUlT_T0_E_clISt17integral_constantIbLb0EES1C_EEDaS17_S18_EUlS17_E_NS1_11comp_targetILNS1_3genE2ELNS1_11target_archE906ELNS1_3gpuE6ELNS1_3repE0EEENS1_30default_config_static_selectorELNS0_4arch9wavefront6targetE1EEEvT1_ ; -- Begin function _ZN7rocprim17ROCPRIM_400000_NS6detail17trampoline_kernelINS0_14default_configENS1_25partition_config_selectorILNS1_17partition_subalgoE8ElNS0_10empty_typeEbEEZZNS1_14partition_implILS5_8ELb0ES3_jPlPS6_PKS6_NS0_5tupleIJS9_S6_EEENSD_IJSA_SA_EEENS0_18inequality_wrapperIZN2at6native12_GLOBAL__N_124unique_dim_cuda_templateIfEESt5tupleIJNSH_6TensorESM_SM_EERKSM_lbbbEUlllE0_EEPmJS6_EEE10hipError_tPvRmT3_T4_T5_T6_T7_T9_mT8_P12ihipStream_tbDpT10_ENKUlT_T0_E_clISt17integral_constantIbLb0EES1C_EEDaS17_S18_EUlS17_E_NS1_11comp_targetILNS1_3genE2ELNS1_11target_archE906ELNS1_3gpuE6ELNS1_3repE0EEENS1_30default_config_static_selectorELNS0_4arch9wavefront6targetE1EEEvT1_
	.p2align	8
	.type	_ZN7rocprim17ROCPRIM_400000_NS6detail17trampoline_kernelINS0_14default_configENS1_25partition_config_selectorILNS1_17partition_subalgoE8ElNS0_10empty_typeEbEEZZNS1_14partition_implILS5_8ELb0ES3_jPlPS6_PKS6_NS0_5tupleIJS9_S6_EEENSD_IJSA_SA_EEENS0_18inequality_wrapperIZN2at6native12_GLOBAL__N_124unique_dim_cuda_templateIfEESt5tupleIJNSH_6TensorESM_SM_EERKSM_lbbbEUlllE0_EEPmJS6_EEE10hipError_tPvRmT3_T4_T5_T6_T7_T9_mT8_P12ihipStream_tbDpT10_ENKUlT_T0_E_clISt17integral_constantIbLb0EES1C_EEDaS17_S18_EUlS17_E_NS1_11comp_targetILNS1_3genE2ELNS1_11target_archE906ELNS1_3gpuE6ELNS1_3repE0EEENS1_30default_config_static_selectorELNS0_4arch9wavefront6targetE1EEEvT1_,@function
_ZN7rocprim17ROCPRIM_400000_NS6detail17trampoline_kernelINS0_14default_configENS1_25partition_config_selectorILNS1_17partition_subalgoE8ElNS0_10empty_typeEbEEZZNS1_14partition_implILS5_8ELb0ES3_jPlPS6_PKS6_NS0_5tupleIJS9_S6_EEENSD_IJSA_SA_EEENS0_18inequality_wrapperIZN2at6native12_GLOBAL__N_124unique_dim_cuda_templateIfEESt5tupleIJNSH_6TensorESM_SM_EERKSM_lbbbEUlllE0_EEPmJS6_EEE10hipError_tPvRmT3_T4_T5_T6_T7_T9_mT8_P12ihipStream_tbDpT10_ENKUlT_T0_E_clISt17integral_constantIbLb0EES1C_EEDaS17_S18_EUlS17_E_NS1_11comp_targetILNS1_3genE2ELNS1_11target_archE906ELNS1_3gpuE6ELNS1_3repE0EEENS1_30default_config_static_selectorELNS0_4arch9wavefront6targetE1EEEvT1_: ; @_ZN7rocprim17ROCPRIM_400000_NS6detail17trampoline_kernelINS0_14default_configENS1_25partition_config_selectorILNS1_17partition_subalgoE8ElNS0_10empty_typeEbEEZZNS1_14partition_implILS5_8ELb0ES3_jPlPS6_PKS6_NS0_5tupleIJS9_S6_EEENSD_IJSA_SA_EEENS0_18inequality_wrapperIZN2at6native12_GLOBAL__N_124unique_dim_cuda_templateIfEESt5tupleIJNSH_6TensorESM_SM_EERKSM_lbbbEUlllE0_EEPmJS6_EEE10hipError_tPvRmT3_T4_T5_T6_T7_T9_mT8_P12ihipStream_tbDpT10_ENKUlT_T0_E_clISt17integral_constantIbLb0EES1C_EEDaS17_S18_EUlS17_E_NS1_11comp_targetILNS1_3genE2ELNS1_11target_archE906ELNS1_3gpuE6ELNS1_3repE0EEENS1_30default_config_static_selectorELNS0_4arch9wavefront6targetE1EEEvT1_
; %bb.0:
	.section	.rodata,"a",@progbits
	.p2align	6, 0x0
	.amdhsa_kernel _ZN7rocprim17ROCPRIM_400000_NS6detail17trampoline_kernelINS0_14default_configENS1_25partition_config_selectorILNS1_17partition_subalgoE8ElNS0_10empty_typeEbEEZZNS1_14partition_implILS5_8ELb0ES3_jPlPS6_PKS6_NS0_5tupleIJS9_S6_EEENSD_IJSA_SA_EEENS0_18inequality_wrapperIZN2at6native12_GLOBAL__N_124unique_dim_cuda_templateIfEESt5tupleIJNSH_6TensorESM_SM_EERKSM_lbbbEUlllE0_EEPmJS6_EEE10hipError_tPvRmT3_T4_T5_T6_T7_T9_mT8_P12ihipStream_tbDpT10_ENKUlT_T0_E_clISt17integral_constantIbLb0EES1C_EEDaS17_S18_EUlS17_E_NS1_11comp_targetILNS1_3genE2ELNS1_11target_archE906ELNS1_3gpuE6ELNS1_3repE0EEENS1_30default_config_static_selectorELNS0_4arch9wavefront6targetE1EEEvT1_
		.amdhsa_group_segment_fixed_size 0
		.amdhsa_private_segment_fixed_size 0
		.amdhsa_kernarg_size 120
		.amdhsa_user_sgpr_count 2
		.amdhsa_user_sgpr_dispatch_ptr 0
		.amdhsa_user_sgpr_queue_ptr 0
		.amdhsa_user_sgpr_kernarg_segment_ptr 1
		.amdhsa_user_sgpr_dispatch_id 0
		.amdhsa_user_sgpr_kernarg_preload_length 0
		.amdhsa_user_sgpr_kernarg_preload_offset 0
		.amdhsa_user_sgpr_private_segment_size 0
		.amdhsa_uses_dynamic_stack 0
		.amdhsa_enable_private_segment 0
		.amdhsa_system_sgpr_workgroup_id_x 1
		.amdhsa_system_sgpr_workgroup_id_y 0
		.amdhsa_system_sgpr_workgroup_id_z 0
		.amdhsa_system_sgpr_workgroup_info 0
		.amdhsa_system_vgpr_workitem_id 0
		.amdhsa_next_free_vgpr 1
		.amdhsa_next_free_sgpr 0
		.amdhsa_accum_offset 4
		.amdhsa_reserve_vcc 0
		.amdhsa_float_round_mode_32 0
		.amdhsa_float_round_mode_16_64 0
		.amdhsa_float_denorm_mode_32 3
		.amdhsa_float_denorm_mode_16_64 3
		.amdhsa_dx10_clamp 1
		.amdhsa_ieee_mode 1
		.amdhsa_fp16_overflow 0
		.amdhsa_tg_split 0
		.amdhsa_exception_fp_ieee_invalid_op 0
		.amdhsa_exception_fp_denorm_src 0
		.amdhsa_exception_fp_ieee_div_zero 0
		.amdhsa_exception_fp_ieee_overflow 0
		.amdhsa_exception_fp_ieee_underflow 0
		.amdhsa_exception_fp_ieee_inexact 0
		.amdhsa_exception_int_div_zero 0
	.end_amdhsa_kernel
	.section	.text._ZN7rocprim17ROCPRIM_400000_NS6detail17trampoline_kernelINS0_14default_configENS1_25partition_config_selectorILNS1_17partition_subalgoE8ElNS0_10empty_typeEbEEZZNS1_14partition_implILS5_8ELb0ES3_jPlPS6_PKS6_NS0_5tupleIJS9_S6_EEENSD_IJSA_SA_EEENS0_18inequality_wrapperIZN2at6native12_GLOBAL__N_124unique_dim_cuda_templateIfEESt5tupleIJNSH_6TensorESM_SM_EERKSM_lbbbEUlllE0_EEPmJS6_EEE10hipError_tPvRmT3_T4_T5_T6_T7_T9_mT8_P12ihipStream_tbDpT10_ENKUlT_T0_E_clISt17integral_constantIbLb0EES1C_EEDaS17_S18_EUlS17_E_NS1_11comp_targetILNS1_3genE2ELNS1_11target_archE906ELNS1_3gpuE6ELNS1_3repE0EEENS1_30default_config_static_selectorELNS0_4arch9wavefront6targetE1EEEvT1_,"axG",@progbits,_ZN7rocprim17ROCPRIM_400000_NS6detail17trampoline_kernelINS0_14default_configENS1_25partition_config_selectorILNS1_17partition_subalgoE8ElNS0_10empty_typeEbEEZZNS1_14partition_implILS5_8ELb0ES3_jPlPS6_PKS6_NS0_5tupleIJS9_S6_EEENSD_IJSA_SA_EEENS0_18inequality_wrapperIZN2at6native12_GLOBAL__N_124unique_dim_cuda_templateIfEESt5tupleIJNSH_6TensorESM_SM_EERKSM_lbbbEUlllE0_EEPmJS6_EEE10hipError_tPvRmT3_T4_T5_T6_T7_T9_mT8_P12ihipStream_tbDpT10_ENKUlT_T0_E_clISt17integral_constantIbLb0EES1C_EEDaS17_S18_EUlS17_E_NS1_11comp_targetILNS1_3genE2ELNS1_11target_archE906ELNS1_3gpuE6ELNS1_3repE0EEENS1_30default_config_static_selectorELNS0_4arch9wavefront6targetE1EEEvT1_,comdat
.Lfunc_end940:
	.size	_ZN7rocprim17ROCPRIM_400000_NS6detail17trampoline_kernelINS0_14default_configENS1_25partition_config_selectorILNS1_17partition_subalgoE8ElNS0_10empty_typeEbEEZZNS1_14partition_implILS5_8ELb0ES3_jPlPS6_PKS6_NS0_5tupleIJS9_S6_EEENSD_IJSA_SA_EEENS0_18inequality_wrapperIZN2at6native12_GLOBAL__N_124unique_dim_cuda_templateIfEESt5tupleIJNSH_6TensorESM_SM_EERKSM_lbbbEUlllE0_EEPmJS6_EEE10hipError_tPvRmT3_T4_T5_T6_T7_T9_mT8_P12ihipStream_tbDpT10_ENKUlT_T0_E_clISt17integral_constantIbLb0EES1C_EEDaS17_S18_EUlS17_E_NS1_11comp_targetILNS1_3genE2ELNS1_11target_archE906ELNS1_3gpuE6ELNS1_3repE0EEENS1_30default_config_static_selectorELNS0_4arch9wavefront6targetE1EEEvT1_, .Lfunc_end940-_ZN7rocprim17ROCPRIM_400000_NS6detail17trampoline_kernelINS0_14default_configENS1_25partition_config_selectorILNS1_17partition_subalgoE8ElNS0_10empty_typeEbEEZZNS1_14partition_implILS5_8ELb0ES3_jPlPS6_PKS6_NS0_5tupleIJS9_S6_EEENSD_IJSA_SA_EEENS0_18inequality_wrapperIZN2at6native12_GLOBAL__N_124unique_dim_cuda_templateIfEESt5tupleIJNSH_6TensorESM_SM_EERKSM_lbbbEUlllE0_EEPmJS6_EEE10hipError_tPvRmT3_T4_T5_T6_T7_T9_mT8_P12ihipStream_tbDpT10_ENKUlT_T0_E_clISt17integral_constantIbLb0EES1C_EEDaS17_S18_EUlS17_E_NS1_11comp_targetILNS1_3genE2ELNS1_11target_archE906ELNS1_3gpuE6ELNS1_3repE0EEENS1_30default_config_static_selectorELNS0_4arch9wavefront6targetE1EEEvT1_
                                        ; -- End function
	.section	.AMDGPU.csdata,"",@progbits
; Kernel info:
; codeLenInByte = 0
; NumSgprs: 6
; NumVgprs: 0
; NumAgprs: 0
; TotalNumVgprs: 0
; ScratchSize: 0
; MemoryBound: 0
; FloatMode: 240
; IeeeMode: 1
; LDSByteSize: 0 bytes/workgroup (compile time only)
; SGPRBlocks: 0
; VGPRBlocks: 0
; NumSGPRsForWavesPerEU: 6
; NumVGPRsForWavesPerEU: 1
; AccumOffset: 4
; Occupancy: 8
; WaveLimiterHint : 0
; COMPUTE_PGM_RSRC2:SCRATCH_EN: 0
; COMPUTE_PGM_RSRC2:USER_SGPR: 2
; COMPUTE_PGM_RSRC2:TRAP_HANDLER: 0
; COMPUTE_PGM_RSRC2:TGID_X_EN: 1
; COMPUTE_PGM_RSRC2:TGID_Y_EN: 0
; COMPUTE_PGM_RSRC2:TGID_Z_EN: 0
; COMPUTE_PGM_RSRC2:TIDIG_COMP_CNT: 0
; COMPUTE_PGM_RSRC3_GFX90A:ACCUM_OFFSET: 0
; COMPUTE_PGM_RSRC3_GFX90A:TG_SPLIT: 0
	.section	.text._ZN7rocprim17ROCPRIM_400000_NS6detail17trampoline_kernelINS0_14default_configENS1_25partition_config_selectorILNS1_17partition_subalgoE8ElNS0_10empty_typeEbEEZZNS1_14partition_implILS5_8ELb0ES3_jPlPS6_PKS6_NS0_5tupleIJS9_S6_EEENSD_IJSA_SA_EEENS0_18inequality_wrapperIZN2at6native12_GLOBAL__N_124unique_dim_cuda_templateIfEESt5tupleIJNSH_6TensorESM_SM_EERKSM_lbbbEUlllE0_EEPmJS6_EEE10hipError_tPvRmT3_T4_T5_T6_T7_T9_mT8_P12ihipStream_tbDpT10_ENKUlT_T0_E_clISt17integral_constantIbLb0EES1C_EEDaS17_S18_EUlS17_E_NS1_11comp_targetILNS1_3genE10ELNS1_11target_archE1200ELNS1_3gpuE4ELNS1_3repE0EEENS1_30default_config_static_selectorELNS0_4arch9wavefront6targetE1EEEvT1_,"axG",@progbits,_ZN7rocprim17ROCPRIM_400000_NS6detail17trampoline_kernelINS0_14default_configENS1_25partition_config_selectorILNS1_17partition_subalgoE8ElNS0_10empty_typeEbEEZZNS1_14partition_implILS5_8ELb0ES3_jPlPS6_PKS6_NS0_5tupleIJS9_S6_EEENSD_IJSA_SA_EEENS0_18inequality_wrapperIZN2at6native12_GLOBAL__N_124unique_dim_cuda_templateIfEESt5tupleIJNSH_6TensorESM_SM_EERKSM_lbbbEUlllE0_EEPmJS6_EEE10hipError_tPvRmT3_T4_T5_T6_T7_T9_mT8_P12ihipStream_tbDpT10_ENKUlT_T0_E_clISt17integral_constantIbLb0EES1C_EEDaS17_S18_EUlS17_E_NS1_11comp_targetILNS1_3genE10ELNS1_11target_archE1200ELNS1_3gpuE4ELNS1_3repE0EEENS1_30default_config_static_selectorELNS0_4arch9wavefront6targetE1EEEvT1_,comdat
	.globl	_ZN7rocprim17ROCPRIM_400000_NS6detail17trampoline_kernelINS0_14default_configENS1_25partition_config_selectorILNS1_17partition_subalgoE8ElNS0_10empty_typeEbEEZZNS1_14partition_implILS5_8ELb0ES3_jPlPS6_PKS6_NS0_5tupleIJS9_S6_EEENSD_IJSA_SA_EEENS0_18inequality_wrapperIZN2at6native12_GLOBAL__N_124unique_dim_cuda_templateIfEESt5tupleIJNSH_6TensorESM_SM_EERKSM_lbbbEUlllE0_EEPmJS6_EEE10hipError_tPvRmT3_T4_T5_T6_T7_T9_mT8_P12ihipStream_tbDpT10_ENKUlT_T0_E_clISt17integral_constantIbLb0EES1C_EEDaS17_S18_EUlS17_E_NS1_11comp_targetILNS1_3genE10ELNS1_11target_archE1200ELNS1_3gpuE4ELNS1_3repE0EEENS1_30default_config_static_selectorELNS0_4arch9wavefront6targetE1EEEvT1_ ; -- Begin function _ZN7rocprim17ROCPRIM_400000_NS6detail17trampoline_kernelINS0_14default_configENS1_25partition_config_selectorILNS1_17partition_subalgoE8ElNS0_10empty_typeEbEEZZNS1_14partition_implILS5_8ELb0ES3_jPlPS6_PKS6_NS0_5tupleIJS9_S6_EEENSD_IJSA_SA_EEENS0_18inequality_wrapperIZN2at6native12_GLOBAL__N_124unique_dim_cuda_templateIfEESt5tupleIJNSH_6TensorESM_SM_EERKSM_lbbbEUlllE0_EEPmJS6_EEE10hipError_tPvRmT3_T4_T5_T6_T7_T9_mT8_P12ihipStream_tbDpT10_ENKUlT_T0_E_clISt17integral_constantIbLb0EES1C_EEDaS17_S18_EUlS17_E_NS1_11comp_targetILNS1_3genE10ELNS1_11target_archE1200ELNS1_3gpuE4ELNS1_3repE0EEENS1_30default_config_static_selectorELNS0_4arch9wavefront6targetE1EEEvT1_
	.p2align	8
	.type	_ZN7rocprim17ROCPRIM_400000_NS6detail17trampoline_kernelINS0_14default_configENS1_25partition_config_selectorILNS1_17partition_subalgoE8ElNS0_10empty_typeEbEEZZNS1_14partition_implILS5_8ELb0ES3_jPlPS6_PKS6_NS0_5tupleIJS9_S6_EEENSD_IJSA_SA_EEENS0_18inequality_wrapperIZN2at6native12_GLOBAL__N_124unique_dim_cuda_templateIfEESt5tupleIJNSH_6TensorESM_SM_EERKSM_lbbbEUlllE0_EEPmJS6_EEE10hipError_tPvRmT3_T4_T5_T6_T7_T9_mT8_P12ihipStream_tbDpT10_ENKUlT_T0_E_clISt17integral_constantIbLb0EES1C_EEDaS17_S18_EUlS17_E_NS1_11comp_targetILNS1_3genE10ELNS1_11target_archE1200ELNS1_3gpuE4ELNS1_3repE0EEENS1_30default_config_static_selectorELNS0_4arch9wavefront6targetE1EEEvT1_,@function
_ZN7rocprim17ROCPRIM_400000_NS6detail17trampoline_kernelINS0_14default_configENS1_25partition_config_selectorILNS1_17partition_subalgoE8ElNS0_10empty_typeEbEEZZNS1_14partition_implILS5_8ELb0ES3_jPlPS6_PKS6_NS0_5tupleIJS9_S6_EEENSD_IJSA_SA_EEENS0_18inequality_wrapperIZN2at6native12_GLOBAL__N_124unique_dim_cuda_templateIfEESt5tupleIJNSH_6TensorESM_SM_EERKSM_lbbbEUlllE0_EEPmJS6_EEE10hipError_tPvRmT3_T4_T5_T6_T7_T9_mT8_P12ihipStream_tbDpT10_ENKUlT_T0_E_clISt17integral_constantIbLb0EES1C_EEDaS17_S18_EUlS17_E_NS1_11comp_targetILNS1_3genE10ELNS1_11target_archE1200ELNS1_3gpuE4ELNS1_3repE0EEENS1_30default_config_static_selectorELNS0_4arch9wavefront6targetE1EEEvT1_: ; @_ZN7rocprim17ROCPRIM_400000_NS6detail17trampoline_kernelINS0_14default_configENS1_25partition_config_selectorILNS1_17partition_subalgoE8ElNS0_10empty_typeEbEEZZNS1_14partition_implILS5_8ELb0ES3_jPlPS6_PKS6_NS0_5tupleIJS9_S6_EEENSD_IJSA_SA_EEENS0_18inequality_wrapperIZN2at6native12_GLOBAL__N_124unique_dim_cuda_templateIfEESt5tupleIJNSH_6TensorESM_SM_EERKSM_lbbbEUlllE0_EEPmJS6_EEE10hipError_tPvRmT3_T4_T5_T6_T7_T9_mT8_P12ihipStream_tbDpT10_ENKUlT_T0_E_clISt17integral_constantIbLb0EES1C_EEDaS17_S18_EUlS17_E_NS1_11comp_targetILNS1_3genE10ELNS1_11target_archE1200ELNS1_3gpuE4ELNS1_3repE0EEENS1_30default_config_static_selectorELNS0_4arch9wavefront6targetE1EEEvT1_
; %bb.0:
	.section	.rodata,"a",@progbits
	.p2align	6, 0x0
	.amdhsa_kernel _ZN7rocprim17ROCPRIM_400000_NS6detail17trampoline_kernelINS0_14default_configENS1_25partition_config_selectorILNS1_17partition_subalgoE8ElNS0_10empty_typeEbEEZZNS1_14partition_implILS5_8ELb0ES3_jPlPS6_PKS6_NS0_5tupleIJS9_S6_EEENSD_IJSA_SA_EEENS0_18inequality_wrapperIZN2at6native12_GLOBAL__N_124unique_dim_cuda_templateIfEESt5tupleIJNSH_6TensorESM_SM_EERKSM_lbbbEUlllE0_EEPmJS6_EEE10hipError_tPvRmT3_T4_T5_T6_T7_T9_mT8_P12ihipStream_tbDpT10_ENKUlT_T0_E_clISt17integral_constantIbLb0EES1C_EEDaS17_S18_EUlS17_E_NS1_11comp_targetILNS1_3genE10ELNS1_11target_archE1200ELNS1_3gpuE4ELNS1_3repE0EEENS1_30default_config_static_selectorELNS0_4arch9wavefront6targetE1EEEvT1_
		.amdhsa_group_segment_fixed_size 0
		.amdhsa_private_segment_fixed_size 0
		.amdhsa_kernarg_size 120
		.amdhsa_user_sgpr_count 2
		.amdhsa_user_sgpr_dispatch_ptr 0
		.amdhsa_user_sgpr_queue_ptr 0
		.amdhsa_user_sgpr_kernarg_segment_ptr 1
		.amdhsa_user_sgpr_dispatch_id 0
		.amdhsa_user_sgpr_kernarg_preload_length 0
		.amdhsa_user_sgpr_kernarg_preload_offset 0
		.amdhsa_user_sgpr_private_segment_size 0
		.amdhsa_uses_dynamic_stack 0
		.amdhsa_enable_private_segment 0
		.amdhsa_system_sgpr_workgroup_id_x 1
		.amdhsa_system_sgpr_workgroup_id_y 0
		.amdhsa_system_sgpr_workgroup_id_z 0
		.amdhsa_system_sgpr_workgroup_info 0
		.amdhsa_system_vgpr_workitem_id 0
		.amdhsa_next_free_vgpr 1
		.amdhsa_next_free_sgpr 0
		.amdhsa_accum_offset 4
		.amdhsa_reserve_vcc 0
		.amdhsa_float_round_mode_32 0
		.amdhsa_float_round_mode_16_64 0
		.amdhsa_float_denorm_mode_32 3
		.amdhsa_float_denorm_mode_16_64 3
		.amdhsa_dx10_clamp 1
		.amdhsa_ieee_mode 1
		.amdhsa_fp16_overflow 0
		.amdhsa_tg_split 0
		.amdhsa_exception_fp_ieee_invalid_op 0
		.amdhsa_exception_fp_denorm_src 0
		.amdhsa_exception_fp_ieee_div_zero 0
		.amdhsa_exception_fp_ieee_overflow 0
		.amdhsa_exception_fp_ieee_underflow 0
		.amdhsa_exception_fp_ieee_inexact 0
		.amdhsa_exception_int_div_zero 0
	.end_amdhsa_kernel
	.section	.text._ZN7rocprim17ROCPRIM_400000_NS6detail17trampoline_kernelINS0_14default_configENS1_25partition_config_selectorILNS1_17partition_subalgoE8ElNS0_10empty_typeEbEEZZNS1_14partition_implILS5_8ELb0ES3_jPlPS6_PKS6_NS0_5tupleIJS9_S6_EEENSD_IJSA_SA_EEENS0_18inequality_wrapperIZN2at6native12_GLOBAL__N_124unique_dim_cuda_templateIfEESt5tupleIJNSH_6TensorESM_SM_EERKSM_lbbbEUlllE0_EEPmJS6_EEE10hipError_tPvRmT3_T4_T5_T6_T7_T9_mT8_P12ihipStream_tbDpT10_ENKUlT_T0_E_clISt17integral_constantIbLb0EES1C_EEDaS17_S18_EUlS17_E_NS1_11comp_targetILNS1_3genE10ELNS1_11target_archE1200ELNS1_3gpuE4ELNS1_3repE0EEENS1_30default_config_static_selectorELNS0_4arch9wavefront6targetE1EEEvT1_,"axG",@progbits,_ZN7rocprim17ROCPRIM_400000_NS6detail17trampoline_kernelINS0_14default_configENS1_25partition_config_selectorILNS1_17partition_subalgoE8ElNS0_10empty_typeEbEEZZNS1_14partition_implILS5_8ELb0ES3_jPlPS6_PKS6_NS0_5tupleIJS9_S6_EEENSD_IJSA_SA_EEENS0_18inequality_wrapperIZN2at6native12_GLOBAL__N_124unique_dim_cuda_templateIfEESt5tupleIJNSH_6TensorESM_SM_EERKSM_lbbbEUlllE0_EEPmJS6_EEE10hipError_tPvRmT3_T4_T5_T6_T7_T9_mT8_P12ihipStream_tbDpT10_ENKUlT_T0_E_clISt17integral_constantIbLb0EES1C_EEDaS17_S18_EUlS17_E_NS1_11comp_targetILNS1_3genE10ELNS1_11target_archE1200ELNS1_3gpuE4ELNS1_3repE0EEENS1_30default_config_static_selectorELNS0_4arch9wavefront6targetE1EEEvT1_,comdat
.Lfunc_end941:
	.size	_ZN7rocprim17ROCPRIM_400000_NS6detail17trampoline_kernelINS0_14default_configENS1_25partition_config_selectorILNS1_17partition_subalgoE8ElNS0_10empty_typeEbEEZZNS1_14partition_implILS5_8ELb0ES3_jPlPS6_PKS6_NS0_5tupleIJS9_S6_EEENSD_IJSA_SA_EEENS0_18inequality_wrapperIZN2at6native12_GLOBAL__N_124unique_dim_cuda_templateIfEESt5tupleIJNSH_6TensorESM_SM_EERKSM_lbbbEUlllE0_EEPmJS6_EEE10hipError_tPvRmT3_T4_T5_T6_T7_T9_mT8_P12ihipStream_tbDpT10_ENKUlT_T0_E_clISt17integral_constantIbLb0EES1C_EEDaS17_S18_EUlS17_E_NS1_11comp_targetILNS1_3genE10ELNS1_11target_archE1200ELNS1_3gpuE4ELNS1_3repE0EEENS1_30default_config_static_selectorELNS0_4arch9wavefront6targetE1EEEvT1_, .Lfunc_end941-_ZN7rocprim17ROCPRIM_400000_NS6detail17trampoline_kernelINS0_14default_configENS1_25partition_config_selectorILNS1_17partition_subalgoE8ElNS0_10empty_typeEbEEZZNS1_14partition_implILS5_8ELb0ES3_jPlPS6_PKS6_NS0_5tupleIJS9_S6_EEENSD_IJSA_SA_EEENS0_18inequality_wrapperIZN2at6native12_GLOBAL__N_124unique_dim_cuda_templateIfEESt5tupleIJNSH_6TensorESM_SM_EERKSM_lbbbEUlllE0_EEPmJS6_EEE10hipError_tPvRmT3_T4_T5_T6_T7_T9_mT8_P12ihipStream_tbDpT10_ENKUlT_T0_E_clISt17integral_constantIbLb0EES1C_EEDaS17_S18_EUlS17_E_NS1_11comp_targetILNS1_3genE10ELNS1_11target_archE1200ELNS1_3gpuE4ELNS1_3repE0EEENS1_30default_config_static_selectorELNS0_4arch9wavefront6targetE1EEEvT1_
                                        ; -- End function
	.section	.AMDGPU.csdata,"",@progbits
; Kernel info:
; codeLenInByte = 0
; NumSgprs: 6
; NumVgprs: 0
; NumAgprs: 0
; TotalNumVgprs: 0
; ScratchSize: 0
; MemoryBound: 0
; FloatMode: 240
; IeeeMode: 1
; LDSByteSize: 0 bytes/workgroup (compile time only)
; SGPRBlocks: 0
; VGPRBlocks: 0
; NumSGPRsForWavesPerEU: 6
; NumVGPRsForWavesPerEU: 1
; AccumOffset: 4
; Occupancy: 8
; WaveLimiterHint : 0
; COMPUTE_PGM_RSRC2:SCRATCH_EN: 0
; COMPUTE_PGM_RSRC2:USER_SGPR: 2
; COMPUTE_PGM_RSRC2:TRAP_HANDLER: 0
; COMPUTE_PGM_RSRC2:TGID_X_EN: 1
; COMPUTE_PGM_RSRC2:TGID_Y_EN: 0
; COMPUTE_PGM_RSRC2:TGID_Z_EN: 0
; COMPUTE_PGM_RSRC2:TIDIG_COMP_CNT: 0
; COMPUTE_PGM_RSRC3_GFX90A:ACCUM_OFFSET: 0
; COMPUTE_PGM_RSRC3_GFX90A:TG_SPLIT: 0
	.section	.text._ZN7rocprim17ROCPRIM_400000_NS6detail17trampoline_kernelINS0_14default_configENS1_25partition_config_selectorILNS1_17partition_subalgoE8ElNS0_10empty_typeEbEEZZNS1_14partition_implILS5_8ELb0ES3_jPlPS6_PKS6_NS0_5tupleIJS9_S6_EEENSD_IJSA_SA_EEENS0_18inequality_wrapperIZN2at6native12_GLOBAL__N_124unique_dim_cuda_templateIfEESt5tupleIJNSH_6TensorESM_SM_EERKSM_lbbbEUlllE0_EEPmJS6_EEE10hipError_tPvRmT3_T4_T5_T6_T7_T9_mT8_P12ihipStream_tbDpT10_ENKUlT_T0_E_clISt17integral_constantIbLb0EES1C_EEDaS17_S18_EUlS17_E_NS1_11comp_targetILNS1_3genE9ELNS1_11target_archE1100ELNS1_3gpuE3ELNS1_3repE0EEENS1_30default_config_static_selectorELNS0_4arch9wavefront6targetE1EEEvT1_,"axG",@progbits,_ZN7rocprim17ROCPRIM_400000_NS6detail17trampoline_kernelINS0_14default_configENS1_25partition_config_selectorILNS1_17partition_subalgoE8ElNS0_10empty_typeEbEEZZNS1_14partition_implILS5_8ELb0ES3_jPlPS6_PKS6_NS0_5tupleIJS9_S6_EEENSD_IJSA_SA_EEENS0_18inequality_wrapperIZN2at6native12_GLOBAL__N_124unique_dim_cuda_templateIfEESt5tupleIJNSH_6TensorESM_SM_EERKSM_lbbbEUlllE0_EEPmJS6_EEE10hipError_tPvRmT3_T4_T5_T6_T7_T9_mT8_P12ihipStream_tbDpT10_ENKUlT_T0_E_clISt17integral_constantIbLb0EES1C_EEDaS17_S18_EUlS17_E_NS1_11comp_targetILNS1_3genE9ELNS1_11target_archE1100ELNS1_3gpuE3ELNS1_3repE0EEENS1_30default_config_static_selectorELNS0_4arch9wavefront6targetE1EEEvT1_,comdat
	.globl	_ZN7rocprim17ROCPRIM_400000_NS6detail17trampoline_kernelINS0_14default_configENS1_25partition_config_selectorILNS1_17partition_subalgoE8ElNS0_10empty_typeEbEEZZNS1_14partition_implILS5_8ELb0ES3_jPlPS6_PKS6_NS0_5tupleIJS9_S6_EEENSD_IJSA_SA_EEENS0_18inequality_wrapperIZN2at6native12_GLOBAL__N_124unique_dim_cuda_templateIfEESt5tupleIJNSH_6TensorESM_SM_EERKSM_lbbbEUlllE0_EEPmJS6_EEE10hipError_tPvRmT3_T4_T5_T6_T7_T9_mT8_P12ihipStream_tbDpT10_ENKUlT_T0_E_clISt17integral_constantIbLb0EES1C_EEDaS17_S18_EUlS17_E_NS1_11comp_targetILNS1_3genE9ELNS1_11target_archE1100ELNS1_3gpuE3ELNS1_3repE0EEENS1_30default_config_static_selectorELNS0_4arch9wavefront6targetE1EEEvT1_ ; -- Begin function _ZN7rocprim17ROCPRIM_400000_NS6detail17trampoline_kernelINS0_14default_configENS1_25partition_config_selectorILNS1_17partition_subalgoE8ElNS0_10empty_typeEbEEZZNS1_14partition_implILS5_8ELb0ES3_jPlPS6_PKS6_NS0_5tupleIJS9_S6_EEENSD_IJSA_SA_EEENS0_18inequality_wrapperIZN2at6native12_GLOBAL__N_124unique_dim_cuda_templateIfEESt5tupleIJNSH_6TensorESM_SM_EERKSM_lbbbEUlllE0_EEPmJS6_EEE10hipError_tPvRmT3_T4_T5_T6_T7_T9_mT8_P12ihipStream_tbDpT10_ENKUlT_T0_E_clISt17integral_constantIbLb0EES1C_EEDaS17_S18_EUlS17_E_NS1_11comp_targetILNS1_3genE9ELNS1_11target_archE1100ELNS1_3gpuE3ELNS1_3repE0EEENS1_30default_config_static_selectorELNS0_4arch9wavefront6targetE1EEEvT1_
	.p2align	8
	.type	_ZN7rocprim17ROCPRIM_400000_NS6detail17trampoline_kernelINS0_14default_configENS1_25partition_config_selectorILNS1_17partition_subalgoE8ElNS0_10empty_typeEbEEZZNS1_14partition_implILS5_8ELb0ES3_jPlPS6_PKS6_NS0_5tupleIJS9_S6_EEENSD_IJSA_SA_EEENS0_18inequality_wrapperIZN2at6native12_GLOBAL__N_124unique_dim_cuda_templateIfEESt5tupleIJNSH_6TensorESM_SM_EERKSM_lbbbEUlllE0_EEPmJS6_EEE10hipError_tPvRmT3_T4_T5_T6_T7_T9_mT8_P12ihipStream_tbDpT10_ENKUlT_T0_E_clISt17integral_constantIbLb0EES1C_EEDaS17_S18_EUlS17_E_NS1_11comp_targetILNS1_3genE9ELNS1_11target_archE1100ELNS1_3gpuE3ELNS1_3repE0EEENS1_30default_config_static_selectorELNS0_4arch9wavefront6targetE1EEEvT1_,@function
_ZN7rocprim17ROCPRIM_400000_NS6detail17trampoline_kernelINS0_14default_configENS1_25partition_config_selectorILNS1_17partition_subalgoE8ElNS0_10empty_typeEbEEZZNS1_14partition_implILS5_8ELb0ES3_jPlPS6_PKS6_NS0_5tupleIJS9_S6_EEENSD_IJSA_SA_EEENS0_18inequality_wrapperIZN2at6native12_GLOBAL__N_124unique_dim_cuda_templateIfEESt5tupleIJNSH_6TensorESM_SM_EERKSM_lbbbEUlllE0_EEPmJS6_EEE10hipError_tPvRmT3_T4_T5_T6_T7_T9_mT8_P12ihipStream_tbDpT10_ENKUlT_T0_E_clISt17integral_constantIbLb0EES1C_EEDaS17_S18_EUlS17_E_NS1_11comp_targetILNS1_3genE9ELNS1_11target_archE1100ELNS1_3gpuE3ELNS1_3repE0EEENS1_30default_config_static_selectorELNS0_4arch9wavefront6targetE1EEEvT1_: ; @_ZN7rocprim17ROCPRIM_400000_NS6detail17trampoline_kernelINS0_14default_configENS1_25partition_config_selectorILNS1_17partition_subalgoE8ElNS0_10empty_typeEbEEZZNS1_14partition_implILS5_8ELb0ES3_jPlPS6_PKS6_NS0_5tupleIJS9_S6_EEENSD_IJSA_SA_EEENS0_18inequality_wrapperIZN2at6native12_GLOBAL__N_124unique_dim_cuda_templateIfEESt5tupleIJNSH_6TensorESM_SM_EERKSM_lbbbEUlllE0_EEPmJS6_EEE10hipError_tPvRmT3_T4_T5_T6_T7_T9_mT8_P12ihipStream_tbDpT10_ENKUlT_T0_E_clISt17integral_constantIbLb0EES1C_EEDaS17_S18_EUlS17_E_NS1_11comp_targetILNS1_3genE9ELNS1_11target_archE1100ELNS1_3gpuE3ELNS1_3repE0EEENS1_30default_config_static_selectorELNS0_4arch9wavefront6targetE1EEEvT1_
; %bb.0:
	.section	.rodata,"a",@progbits
	.p2align	6, 0x0
	.amdhsa_kernel _ZN7rocprim17ROCPRIM_400000_NS6detail17trampoline_kernelINS0_14default_configENS1_25partition_config_selectorILNS1_17partition_subalgoE8ElNS0_10empty_typeEbEEZZNS1_14partition_implILS5_8ELb0ES3_jPlPS6_PKS6_NS0_5tupleIJS9_S6_EEENSD_IJSA_SA_EEENS0_18inequality_wrapperIZN2at6native12_GLOBAL__N_124unique_dim_cuda_templateIfEESt5tupleIJNSH_6TensorESM_SM_EERKSM_lbbbEUlllE0_EEPmJS6_EEE10hipError_tPvRmT3_T4_T5_T6_T7_T9_mT8_P12ihipStream_tbDpT10_ENKUlT_T0_E_clISt17integral_constantIbLb0EES1C_EEDaS17_S18_EUlS17_E_NS1_11comp_targetILNS1_3genE9ELNS1_11target_archE1100ELNS1_3gpuE3ELNS1_3repE0EEENS1_30default_config_static_selectorELNS0_4arch9wavefront6targetE1EEEvT1_
		.amdhsa_group_segment_fixed_size 0
		.amdhsa_private_segment_fixed_size 0
		.amdhsa_kernarg_size 120
		.amdhsa_user_sgpr_count 2
		.amdhsa_user_sgpr_dispatch_ptr 0
		.amdhsa_user_sgpr_queue_ptr 0
		.amdhsa_user_sgpr_kernarg_segment_ptr 1
		.amdhsa_user_sgpr_dispatch_id 0
		.amdhsa_user_sgpr_kernarg_preload_length 0
		.amdhsa_user_sgpr_kernarg_preload_offset 0
		.amdhsa_user_sgpr_private_segment_size 0
		.amdhsa_uses_dynamic_stack 0
		.amdhsa_enable_private_segment 0
		.amdhsa_system_sgpr_workgroup_id_x 1
		.amdhsa_system_sgpr_workgroup_id_y 0
		.amdhsa_system_sgpr_workgroup_id_z 0
		.amdhsa_system_sgpr_workgroup_info 0
		.amdhsa_system_vgpr_workitem_id 0
		.amdhsa_next_free_vgpr 1
		.amdhsa_next_free_sgpr 0
		.amdhsa_accum_offset 4
		.amdhsa_reserve_vcc 0
		.amdhsa_float_round_mode_32 0
		.amdhsa_float_round_mode_16_64 0
		.amdhsa_float_denorm_mode_32 3
		.amdhsa_float_denorm_mode_16_64 3
		.amdhsa_dx10_clamp 1
		.amdhsa_ieee_mode 1
		.amdhsa_fp16_overflow 0
		.amdhsa_tg_split 0
		.amdhsa_exception_fp_ieee_invalid_op 0
		.amdhsa_exception_fp_denorm_src 0
		.amdhsa_exception_fp_ieee_div_zero 0
		.amdhsa_exception_fp_ieee_overflow 0
		.amdhsa_exception_fp_ieee_underflow 0
		.amdhsa_exception_fp_ieee_inexact 0
		.amdhsa_exception_int_div_zero 0
	.end_amdhsa_kernel
	.section	.text._ZN7rocprim17ROCPRIM_400000_NS6detail17trampoline_kernelINS0_14default_configENS1_25partition_config_selectorILNS1_17partition_subalgoE8ElNS0_10empty_typeEbEEZZNS1_14partition_implILS5_8ELb0ES3_jPlPS6_PKS6_NS0_5tupleIJS9_S6_EEENSD_IJSA_SA_EEENS0_18inequality_wrapperIZN2at6native12_GLOBAL__N_124unique_dim_cuda_templateIfEESt5tupleIJNSH_6TensorESM_SM_EERKSM_lbbbEUlllE0_EEPmJS6_EEE10hipError_tPvRmT3_T4_T5_T6_T7_T9_mT8_P12ihipStream_tbDpT10_ENKUlT_T0_E_clISt17integral_constantIbLb0EES1C_EEDaS17_S18_EUlS17_E_NS1_11comp_targetILNS1_3genE9ELNS1_11target_archE1100ELNS1_3gpuE3ELNS1_3repE0EEENS1_30default_config_static_selectorELNS0_4arch9wavefront6targetE1EEEvT1_,"axG",@progbits,_ZN7rocprim17ROCPRIM_400000_NS6detail17trampoline_kernelINS0_14default_configENS1_25partition_config_selectorILNS1_17partition_subalgoE8ElNS0_10empty_typeEbEEZZNS1_14partition_implILS5_8ELb0ES3_jPlPS6_PKS6_NS0_5tupleIJS9_S6_EEENSD_IJSA_SA_EEENS0_18inequality_wrapperIZN2at6native12_GLOBAL__N_124unique_dim_cuda_templateIfEESt5tupleIJNSH_6TensorESM_SM_EERKSM_lbbbEUlllE0_EEPmJS6_EEE10hipError_tPvRmT3_T4_T5_T6_T7_T9_mT8_P12ihipStream_tbDpT10_ENKUlT_T0_E_clISt17integral_constantIbLb0EES1C_EEDaS17_S18_EUlS17_E_NS1_11comp_targetILNS1_3genE9ELNS1_11target_archE1100ELNS1_3gpuE3ELNS1_3repE0EEENS1_30default_config_static_selectorELNS0_4arch9wavefront6targetE1EEEvT1_,comdat
.Lfunc_end942:
	.size	_ZN7rocprim17ROCPRIM_400000_NS6detail17trampoline_kernelINS0_14default_configENS1_25partition_config_selectorILNS1_17partition_subalgoE8ElNS0_10empty_typeEbEEZZNS1_14partition_implILS5_8ELb0ES3_jPlPS6_PKS6_NS0_5tupleIJS9_S6_EEENSD_IJSA_SA_EEENS0_18inequality_wrapperIZN2at6native12_GLOBAL__N_124unique_dim_cuda_templateIfEESt5tupleIJNSH_6TensorESM_SM_EERKSM_lbbbEUlllE0_EEPmJS6_EEE10hipError_tPvRmT3_T4_T5_T6_T7_T9_mT8_P12ihipStream_tbDpT10_ENKUlT_T0_E_clISt17integral_constantIbLb0EES1C_EEDaS17_S18_EUlS17_E_NS1_11comp_targetILNS1_3genE9ELNS1_11target_archE1100ELNS1_3gpuE3ELNS1_3repE0EEENS1_30default_config_static_selectorELNS0_4arch9wavefront6targetE1EEEvT1_, .Lfunc_end942-_ZN7rocprim17ROCPRIM_400000_NS6detail17trampoline_kernelINS0_14default_configENS1_25partition_config_selectorILNS1_17partition_subalgoE8ElNS0_10empty_typeEbEEZZNS1_14partition_implILS5_8ELb0ES3_jPlPS6_PKS6_NS0_5tupleIJS9_S6_EEENSD_IJSA_SA_EEENS0_18inequality_wrapperIZN2at6native12_GLOBAL__N_124unique_dim_cuda_templateIfEESt5tupleIJNSH_6TensorESM_SM_EERKSM_lbbbEUlllE0_EEPmJS6_EEE10hipError_tPvRmT3_T4_T5_T6_T7_T9_mT8_P12ihipStream_tbDpT10_ENKUlT_T0_E_clISt17integral_constantIbLb0EES1C_EEDaS17_S18_EUlS17_E_NS1_11comp_targetILNS1_3genE9ELNS1_11target_archE1100ELNS1_3gpuE3ELNS1_3repE0EEENS1_30default_config_static_selectorELNS0_4arch9wavefront6targetE1EEEvT1_
                                        ; -- End function
	.section	.AMDGPU.csdata,"",@progbits
; Kernel info:
; codeLenInByte = 0
; NumSgprs: 6
; NumVgprs: 0
; NumAgprs: 0
; TotalNumVgprs: 0
; ScratchSize: 0
; MemoryBound: 0
; FloatMode: 240
; IeeeMode: 1
; LDSByteSize: 0 bytes/workgroup (compile time only)
; SGPRBlocks: 0
; VGPRBlocks: 0
; NumSGPRsForWavesPerEU: 6
; NumVGPRsForWavesPerEU: 1
; AccumOffset: 4
; Occupancy: 8
; WaveLimiterHint : 0
; COMPUTE_PGM_RSRC2:SCRATCH_EN: 0
; COMPUTE_PGM_RSRC2:USER_SGPR: 2
; COMPUTE_PGM_RSRC2:TRAP_HANDLER: 0
; COMPUTE_PGM_RSRC2:TGID_X_EN: 1
; COMPUTE_PGM_RSRC2:TGID_Y_EN: 0
; COMPUTE_PGM_RSRC2:TGID_Z_EN: 0
; COMPUTE_PGM_RSRC2:TIDIG_COMP_CNT: 0
; COMPUTE_PGM_RSRC3_GFX90A:ACCUM_OFFSET: 0
; COMPUTE_PGM_RSRC3_GFX90A:TG_SPLIT: 0
	.section	.text._ZN7rocprim17ROCPRIM_400000_NS6detail17trampoline_kernelINS0_14default_configENS1_25partition_config_selectorILNS1_17partition_subalgoE8ElNS0_10empty_typeEbEEZZNS1_14partition_implILS5_8ELb0ES3_jPlPS6_PKS6_NS0_5tupleIJS9_S6_EEENSD_IJSA_SA_EEENS0_18inequality_wrapperIZN2at6native12_GLOBAL__N_124unique_dim_cuda_templateIfEESt5tupleIJNSH_6TensorESM_SM_EERKSM_lbbbEUlllE0_EEPmJS6_EEE10hipError_tPvRmT3_T4_T5_T6_T7_T9_mT8_P12ihipStream_tbDpT10_ENKUlT_T0_E_clISt17integral_constantIbLb0EES1C_EEDaS17_S18_EUlS17_E_NS1_11comp_targetILNS1_3genE8ELNS1_11target_archE1030ELNS1_3gpuE2ELNS1_3repE0EEENS1_30default_config_static_selectorELNS0_4arch9wavefront6targetE1EEEvT1_,"axG",@progbits,_ZN7rocprim17ROCPRIM_400000_NS6detail17trampoline_kernelINS0_14default_configENS1_25partition_config_selectorILNS1_17partition_subalgoE8ElNS0_10empty_typeEbEEZZNS1_14partition_implILS5_8ELb0ES3_jPlPS6_PKS6_NS0_5tupleIJS9_S6_EEENSD_IJSA_SA_EEENS0_18inequality_wrapperIZN2at6native12_GLOBAL__N_124unique_dim_cuda_templateIfEESt5tupleIJNSH_6TensorESM_SM_EERKSM_lbbbEUlllE0_EEPmJS6_EEE10hipError_tPvRmT3_T4_T5_T6_T7_T9_mT8_P12ihipStream_tbDpT10_ENKUlT_T0_E_clISt17integral_constantIbLb0EES1C_EEDaS17_S18_EUlS17_E_NS1_11comp_targetILNS1_3genE8ELNS1_11target_archE1030ELNS1_3gpuE2ELNS1_3repE0EEENS1_30default_config_static_selectorELNS0_4arch9wavefront6targetE1EEEvT1_,comdat
	.globl	_ZN7rocprim17ROCPRIM_400000_NS6detail17trampoline_kernelINS0_14default_configENS1_25partition_config_selectorILNS1_17partition_subalgoE8ElNS0_10empty_typeEbEEZZNS1_14partition_implILS5_8ELb0ES3_jPlPS6_PKS6_NS0_5tupleIJS9_S6_EEENSD_IJSA_SA_EEENS0_18inequality_wrapperIZN2at6native12_GLOBAL__N_124unique_dim_cuda_templateIfEESt5tupleIJNSH_6TensorESM_SM_EERKSM_lbbbEUlllE0_EEPmJS6_EEE10hipError_tPvRmT3_T4_T5_T6_T7_T9_mT8_P12ihipStream_tbDpT10_ENKUlT_T0_E_clISt17integral_constantIbLb0EES1C_EEDaS17_S18_EUlS17_E_NS1_11comp_targetILNS1_3genE8ELNS1_11target_archE1030ELNS1_3gpuE2ELNS1_3repE0EEENS1_30default_config_static_selectorELNS0_4arch9wavefront6targetE1EEEvT1_ ; -- Begin function _ZN7rocprim17ROCPRIM_400000_NS6detail17trampoline_kernelINS0_14default_configENS1_25partition_config_selectorILNS1_17partition_subalgoE8ElNS0_10empty_typeEbEEZZNS1_14partition_implILS5_8ELb0ES3_jPlPS6_PKS6_NS0_5tupleIJS9_S6_EEENSD_IJSA_SA_EEENS0_18inequality_wrapperIZN2at6native12_GLOBAL__N_124unique_dim_cuda_templateIfEESt5tupleIJNSH_6TensorESM_SM_EERKSM_lbbbEUlllE0_EEPmJS6_EEE10hipError_tPvRmT3_T4_T5_T6_T7_T9_mT8_P12ihipStream_tbDpT10_ENKUlT_T0_E_clISt17integral_constantIbLb0EES1C_EEDaS17_S18_EUlS17_E_NS1_11comp_targetILNS1_3genE8ELNS1_11target_archE1030ELNS1_3gpuE2ELNS1_3repE0EEENS1_30default_config_static_selectorELNS0_4arch9wavefront6targetE1EEEvT1_
	.p2align	8
	.type	_ZN7rocprim17ROCPRIM_400000_NS6detail17trampoline_kernelINS0_14default_configENS1_25partition_config_selectorILNS1_17partition_subalgoE8ElNS0_10empty_typeEbEEZZNS1_14partition_implILS5_8ELb0ES3_jPlPS6_PKS6_NS0_5tupleIJS9_S6_EEENSD_IJSA_SA_EEENS0_18inequality_wrapperIZN2at6native12_GLOBAL__N_124unique_dim_cuda_templateIfEESt5tupleIJNSH_6TensorESM_SM_EERKSM_lbbbEUlllE0_EEPmJS6_EEE10hipError_tPvRmT3_T4_T5_T6_T7_T9_mT8_P12ihipStream_tbDpT10_ENKUlT_T0_E_clISt17integral_constantIbLb0EES1C_EEDaS17_S18_EUlS17_E_NS1_11comp_targetILNS1_3genE8ELNS1_11target_archE1030ELNS1_3gpuE2ELNS1_3repE0EEENS1_30default_config_static_selectorELNS0_4arch9wavefront6targetE1EEEvT1_,@function
_ZN7rocprim17ROCPRIM_400000_NS6detail17trampoline_kernelINS0_14default_configENS1_25partition_config_selectorILNS1_17partition_subalgoE8ElNS0_10empty_typeEbEEZZNS1_14partition_implILS5_8ELb0ES3_jPlPS6_PKS6_NS0_5tupleIJS9_S6_EEENSD_IJSA_SA_EEENS0_18inequality_wrapperIZN2at6native12_GLOBAL__N_124unique_dim_cuda_templateIfEESt5tupleIJNSH_6TensorESM_SM_EERKSM_lbbbEUlllE0_EEPmJS6_EEE10hipError_tPvRmT3_T4_T5_T6_T7_T9_mT8_P12ihipStream_tbDpT10_ENKUlT_T0_E_clISt17integral_constantIbLb0EES1C_EEDaS17_S18_EUlS17_E_NS1_11comp_targetILNS1_3genE8ELNS1_11target_archE1030ELNS1_3gpuE2ELNS1_3repE0EEENS1_30default_config_static_selectorELNS0_4arch9wavefront6targetE1EEEvT1_: ; @_ZN7rocprim17ROCPRIM_400000_NS6detail17trampoline_kernelINS0_14default_configENS1_25partition_config_selectorILNS1_17partition_subalgoE8ElNS0_10empty_typeEbEEZZNS1_14partition_implILS5_8ELb0ES3_jPlPS6_PKS6_NS0_5tupleIJS9_S6_EEENSD_IJSA_SA_EEENS0_18inequality_wrapperIZN2at6native12_GLOBAL__N_124unique_dim_cuda_templateIfEESt5tupleIJNSH_6TensorESM_SM_EERKSM_lbbbEUlllE0_EEPmJS6_EEE10hipError_tPvRmT3_T4_T5_T6_T7_T9_mT8_P12ihipStream_tbDpT10_ENKUlT_T0_E_clISt17integral_constantIbLb0EES1C_EEDaS17_S18_EUlS17_E_NS1_11comp_targetILNS1_3genE8ELNS1_11target_archE1030ELNS1_3gpuE2ELNS1_3repE0EEENS1_30default_config_static_selectorELNS0_4arch9wavefront6targetE1EEEvT1_
; %bb.0:
	.section	.rodata,"a",@progbits
	.p2align	6, 0x0
	.amdhsa_kernel _ZN7rocprim17ROCPRIM_400000_NS6detail17trampoline_kernelINS0_14default_configENS1_25partition_config_selectorILNS1_17partition_subalgoE8ElNS0_10empty_typeEbEEZZNS1_14partition_implILS5_8ELb0ES3_jPlPS6_PKS6_NS0_5tupleIJS9_S6_EEENSD_IJSA_SA_EEENS0_18inequality_wrapperIZN2at6native12_GLOBAL__N_124unique_dim_cuda_templateIfEESt5tupleIJNSH_6TensorESM_SM_EERKSM_lbbbEUlllE0_EEPmJS6_EEE10hipError_tPvRmT3_T4_T5_T6_T7_T9_mT8_P12ihipStream_tbDpT10_ENKUlT_T0_E_clISt17integral_constantIbLb0EES1C_EEDaS17_S18_EUlS17_E_NS1_11comp_targetILNS1_3genE8ELNS1_11target_archE1030ELNS1_3gpuE2ELNS1_3repE0EEENS1_30default_config_static_selectorELNS0_4arch9wavefront6targetE1EEEvT1_
		.amdhsa_group_segment_fixed_size 0
		.amdhsa_private_segment_fixed_size 0
		.amdhsa_kernarg_size 120
		.amdhsa_user_sgpr_count 2
		.amdhsa_user_sgpr_dispatch_ptr 0
		.amdhsa_user_sgpr_queue_ptr 0
		.amdhsa_user_sgpr_kernarg_segment_ptr 1
		.amdhsa_user_sgpr_dispatch_id 0
		.amdhsa_user_sgpr_kernarg_preload_length 0
		.amdhsa_user_sgpr_kernarg_preload_offset 0
		.amdhsa_user_sgpr_private_segment_size 0
		.amdhsa_uses_dynamic_stack 0
		.amdhsa_enable_private_segment 0
		.amdhsa_system_sgpr_workgroup_id_x 1
		.amdhsa_system_sgpr_workgroup_id_y 0
		.amdhsa_system_sgpr_workgroup_id_z 0
		.amdhsa_system_sgpr_workgroup_info 0
		.amdhsa_system_vgpr_workitem_id 0
		.amdhsa_next_free_vgpr 1
		.amdhsa_next_free_sgpr 0
		.amdhsa_accum_offset 4
		.amdhsa_reserve_vcc 0
		.amdhsa_float_round_mode_32 0
		.amdhsa_float_round_mode_16_64 0
		.amdhsa_float_denorm_mode_32 3
		.amdhsa_float_denorm_mode_16_64 3
		.amdhsa_dx10_clamp 1
		.amdhsa_ieee_mode 1
		.amdhsa_fp16_overflow 0
		.amdhsa_tg_split 0
		.amdhsa_exception_fp_ieee_invalid_op 0
		.amdhsa_exception_fp_denorm_src 0
		.amdhsa_exception_fp_ieee_div_zero 0
		.amdhsa_exception_fp_ieee_overflow 0
		.amdhsa_exception_fp_ieee_underflow 0
		.amdhsa_exception_fp_ieee_inexact 0
		.amdhsa_exception_int_div_zero 0
	.end_amdhsa_kernel
	.section	.text._ZN7rocprim17ROCPRIM_400000_NS6detail17trampoline_kernelINS0_14default_configENS1_25partition_config_selectorILNS1_17partition_subalgoE8ElNS0_10empty_typeEbEEZZNS1_14partition_implILS5_8ELb0ES3_jPlPS6_PKS6_NS0_5tupleIJS9_S6_EEENSD_IJSA_SA_EEENS0_18inequality_wrapperIZN2at6native12_GLOBAL__N_124unique_dim_cuda_templateIfEESt5tupleIJNSH_6TensorESM_SM_EERKSM_lbbbEUlllE0_EEPmJS6_EEE10hipError_tPvRmT3_T4_T5_T6_T7_T9_mT8_P12ihipStream_tbDpT10_ENKUlT_T0_E_clISt17integral_constantIbLb0EES1C_EEDaS17_S18_EUlS17_E_NS1_11comp_targetILNS1_3genE8ELNS1_11target_archE1030ELNS1_3gpuE2ELNS1_3repE0EEENS1_30default_config_static_selectorELNS0_4arch9wavefront6targetE1EEEvT1_,"axG",@progbits,_ZN7rocprim17ROCPRIM_400000_NS6detail17trampoline_kernelINS0_14default_configENS1_25partition_config_selectorILNS1_17partition_subalgoE8ElNS0_10empty_typeEbEEZZNS1_14partition_implILS5_8ELb0ES3_jPlPS6_PKS6_NS0_5tupleIJS9_S6_EEENSD_IJSA_SA_EEENS0_18inequality_wrapperIZN2at6native12_GLOBAL__N_124unique_dim_cuda_templateIfEESt5tupleIJNSH_6TensorESM_SM_EERKSM_lbbbEUlllE0_EEPmJS6_EEE10hipError_tPvRmT3_T4_T5_T6_T7_T9_mT8_P12ihipStream_tbDpT10_ENKUlT_T0_E_clISt17integral_constantIbLb0EES1C_EEDaS17_S18_EUlS17_E_NS1_11comp_targetILNS1_3genE8ELNS1_11target_archE1030ELNS1_3gpuE2ELNS1_3repE0EEENS1_30default_config_static_selectorELNS0_4arch9wavefront6targetE1EEEvT1_,comdat
.Lfunc_end943:
	.size	_ZN7rocprim17ROCPRIM_400000_NS6detail17trampoline_kernelINS0_14default_configENS1_25partition_config_selectorILNS1_17partition_subalgoE8ElNS0_10empty_typeEbEEZZNS1_14partition_implILS5_8ELb0ES3_jPlPS6_PKS6_NS0_5tupleIJS9_S6_EEENSD_IJSA_SA_EEENS0_18inequality_wrapperIZN2at6native12_GLOBAL__N_124unique_dim_cuda_templateIfEESt5tupleIJNSH_6TensorESM_SM_EERKSM_lbbbEUlllE0_EEPmJS6_EEE10hipError_tPvRmT3_T4_T5_T6_T7_T9_mT8_P12ihipStream_tbDpT10_ENKUlT_T0_E_clISt17integral_constantIbLb0EES1C_EEDaS17_S18_EUlS17_E_NS1_11comp_targetILNS1_3genE8ELNS1_11target_archE1030ELNS1_3gpuE2ELNS1_3repE0EEENS1_30default_config_static_selectorELNS0_4arch9wavefront6targetE1EEEvT1_, .Lfunc_end943-_ZN7rocprim17ROCPRIM_400000_NS6detail17trampoline_kernelINS0_14default_configENS1_25partition_config_selectorILNS1_17partition_subalgoE8ElNS0_10empty_typeEbEEZZNS1_14partition_implILS5_8ELb0ES3_jPlPS6_PKS6_NS0_5tupleIJS9_S6_EEENSD_IJSA_SA_EEENS0_18inequality_wrapperIZN2at6native12_GLOBAL__N_124unique_dim_cuda_templateIfEESt5tupleIJNSH_6TensorESM_SM_EERKSM_lbbbEUlllE0_EEPmJS6_EEE10hipError_tPvRmT3_T4_T5_T6_T7_T9_mT8_P12ihipStream_tbDpT10_ENKUlT_T0_E_clISt17integral_constantIbLb0EES1C_EEDaS17_S18_EUlS17_E_NS1_11comp_targetILNS1_3genE8ELNS1_11target_archE1030ELNS1_3gpuE2ELNS1_3repE0EEENS1_30default_config_static_selectorELNS0_4arch9wavefront6targetE1EEEvT1_
                                        ; -- End function
	.section	.AMDGPU.csdata,"",@progbits
; Kernel info:
; codeLenInByte = 0
; NumSgprs: 6
; NumVgprs: 0
; NumAgprs: 0
; TotalNumVgprs: 0
; ScratchSize: 0
; MemoryBound: 0
; FloatMode: 240
; IeeeMode: 1
; LDSByteSize: 0 bytes/workgroup (compile time only)
; SGPRBlocks: 0
; VGPRBlocks: 0
; NumSGPRsForWavesPerEU: 6
; NumVGPRsForWavesPerEU: 1
; AccumOffset: 4
; Occupancy: 8
; WaveLimiterHint : 0
; COMPUTE_PGM_RSRC2:SCRATCH_EN: 0
; COMPUTE_PGM_RSRC2:USER_SGPR: 2
; COMPUTE_PGM_RSRC2:TRAP_HANDLER: 0
; COMPUTE_PGM_RSRC2:TGID_X_EN: 1
; COMPUTE_PGM_RSRC2:TGID_Y_EN: 0
; COMPUTE_PGM_RSRC2:TGID_Z_EN: 0
; COMPUTE_PGM_RSRC2:TIDIG_COMP_CNT: 0
; COMPUTE_PGM_RSRC3_GFX90A:ACCUM_OFFSET: 0
; COMPUTE_PGM_RSRC3_GFX90A:TG_SPLIT: 0
	.section	.text._ZN7rocprim17ROCPRIM_400000_NS6detail17trampoline_kernelINS0_14default_configENS1_25partition_config_selectorILNS1_17partition_subalgoE8ElNS0_10empty_typeEbEEZZNS1_14partition_implILS5_8ELb0ES3_jPlPS6_PKS6_NS0_5tupleIJS9_S6_EEENSD_IJSA_SA_EEENS0_18inequality_wrapperIZN2at6native12_GLOBAL__N_124unique_dim_cuda_templateIfEESt5tupleIJNSH_6TensorESM_SM_EERKSM_lbbbEUlllE0_EEPmJS6_EEE10hipError_tPvRmT3_T4_T5_T6_T7_T9_mT8_P12ihipStream_tbDpT10_ENKUlT_T0_E_clISt17integral_constantIbLb1EES1C_EEDaS17_S18_EUlS17_E_NS1_11comp_targetILNS1_3genE0ELNS1_11target_archE4294967295ELNS1_3gpuE0ELNS1_3repE0EEENS1_30default_config_static_selectorELNS0_4arch9wavefront6targetE1EEEvT1_,"axG",@progbits,_ZN7rocprim17ROCPRIM_400000_NS6detail17trampoline_kernelINS0_14default_configENS1_25partition_config_selectorILNS1_17partition_subalgoE8ElNS0_10empty_typeEbEEZZNS1_14partition_implILS5_8ELb0ES3_jPlPS6_PKS6_NS0_5tupleIJS9_S6_EEENSD_IJSA_SA_EEENS0_18inequality_wrapperIZN2at6native12_GLOBAL__N_124unique_dim_cuda_templateIfEESt5tupleIJNSH_6TensorESM_SM_EERKSM_lbbbEUlllE0_EEPmJS6_EEE10hipError_tPvRmT3_T4_T5_T6_T7_T9_mT8_P12ihipStream_tbDpT10_ENKUlT_T0_E_clISt17integral_constantIbLb1EES1C_EEDaS17_S18_EUlS17_E_NS1_11comp_targetILNS1_3genE0ELNS1_11target_archE4294967295ELNS1_3gpuE0ELNS1_3repE0EEENS1_30default_config_static_selectorELNS0_4arch9wavefront6targetE1EEEvT1_,comdat
	.globl	_ZN7rocprim17ROCPRIM_400000_NS6detail17trampoline_kernelINS0_14default_configENS1_25partition_config_selectorILNS1_17partition_subalgoE8ElNS0_10empty_typeEbEEZZNS1_14partition_implILS5_8ELb0ES3_jPlPS6_PKS6_NS0_5tupleIJS9_S6_EEENSD_IJSA_SA_EEENS0_18inequality_wrapperIZN2at6native12_GLOBAL__N_124unique_dim_cuda_templateIfEESt5tupleIJNSH_6TensorESM_SM_EERKSM_lbbbEUlllE0_EEPmJS6_EEE10hipError_tPvRmT3_T4_T5_T6_T7_T9_mT8_P12ihipStream_tbDpT10_ENKUlT_T0_E_clISt17integral_constantIbLb1EES1C_EEDaS17_S18_EUlS17_E_NS1_11comp_targetILNS1_3genE0ELNS1_11target_archE4294967295ELNS1_3gpuE0ELNS1_3repE0EEENS1_30default_config_static_selectorELNS0_4arch9wavefront6targetE1EEEvT1_ ; -- Begin function _ZN7rocprim17ROCPRIM_400000_NS6detail17trampoline_kernelINS0_14default_configENS1_25partition_config_selectorILNS1_17partition_subalgoE8ElNS0_10empty_typeEbEEZZNS1_14partition_implILS5_8ELb0ES3_jPlPS6_PKS6_NS0_5tupleIJS9_S6_EEENSD_IJSA_SA_EEENS0_18inequality_wrapperIZN2at6native12_GLOBAL__N_124unique_dim_cuda_templateIfEESt5tupleIJNSH_6TensorESM_SM_EERKSM_lbbbEUlllE0_EEPmJS6_EEE10hipError_tPvRmT3_T4_T5_T6_T7_T9_mT8_P12ihipStream_tbDpT10_ENKUlT_T0_E_clISt17integral_constantIbLb1EES1C_EEDaS17_S18_EUlS17_E_NS1_11comp_targetILNS1_3genE0ELNS1_11target_archE4294967295ELNS1_3gpuE0ELNS1_3repE0EEENS1_30default_config_static_selectorELNS0_4arch9wavefront6targetE1EEEvT1_
	.p2align	8
	.type	_ZN7rocprim17ROCPRIM_400000_NS6detail17trampoline_kernelINS0_14default_configENS1_25partition_config_selectorILNS1_17partition_subalgoE8ElNS0_10empty_typeEbEEZZNS1_14partition_implILS5_8ELb0ES3_jPlPS6_PKS6_NS0_5tupleIJS9_S6_EEENSD_IJSA_SA_EEENS0_18inequality_wrapperIZN2at6native12_GLOBAL__N_124unique_dim_cuda_templateIfEESt5tupleIJNSH_6TensorESM_SM_EERKSM_lbbbEUlllE0_EEPmJS6_EEE10hipError_tPvRmT3_T4_T5_T6_T7_T9_mT8_P12ihipStream_tbDpT10_ENKUlT_T0_E_clISt17integral_constantIbLb1EES1C_EEDaS17_S18_EUlS17_E_NS1_11comp_targetILNS1_3genE0ELNS1_11target_archE4294967295ELNS1_3gpuE0ELNS1_3repE0EEENS1_30default_config_static_selectorELNS0_4arch9wavefront6targetE1EEEvT1_,@function
_ZN7rocprim17ROCPRIM_400000_NS6detail17trampoline_kernelINS0_14default_configENS1_25partition_config_selectorILNS1_17partition_subalgoE8ElNS0_10empty_typeEbEEZZNS1_14partition_implILS5_8ELb0ES3_jPlPS6_PKS6_NS0_5tupleIJS9_S6_EEENSD_IJSA_SA_EEENS0_18inequality_wrapperIZN2at6native12_GLOBAL__N_124unique_dim_cuda_templateIfEESt5tupleIJNSH_6TensorESM_SM_EERKSM_lbbbEUlllE0_EEPmJS6_EEE10hipError_tPvRmT3_T4_T5_T6_T7_T9_mT8_P12ihipStream_tbDpT10_ENKUlT_T0_E_clISt17integral_constantIbLb1EES1C_EEDaS17_S18_EUlS17_E_NS1_11comp_targetILNS1_3genE0ELNS1_11target_archE4294967295ELNS1_3gpuE0ELNS1_3repE0EEENS1_30default_config_static_selectorELNS0_4arch9wavefront6targetE1EEEvT1_: ; @_ZN7rocprim17ROCPRIM_400000_NS6detail17trampoline_kernelINS0_14default_configENS1_25partition_config_selectorILNS1_17partition_subalgoE8ElNS0_10empty_typeEbEEZZNS1_14partition_implILS5_8ELb0ES3_jPlPS6_PKS6_NS0_5tupleIJS9_S6_EEENSD_IJSA_SA_EEENS0_18inequality_wrapperIZN2at6native12_GLOBAL__N_124unique_dim_cuda_templateIfEESt5tupleIJNSH_6TensorESM_SM_EERKSM_lbbbEUlllE0_EEPmJS6_EEE10hipError_tPvRmT3_T4_T5_T6_T7_T9_mT8_P12ihipStream_tbDpT10_ENKUlT_T0_E_clISt17integral_constantIbLb1EES1C_EEDaS17_S18_EUlS17_E_NS1_11comp_targetILNS1_3genE0ELNS1_11target_archE4294967295ELNS1_3gpuE0ELNS1_3repE0EEENS1_30default_config_static_selectorELNS0_4arch9wavefront6targetE1EEEvT1_
; %bb.0:
	.section	.rodata,"a",@progbits
	.p2align	6, 0x0
	.amdhsa_kernel _ZN7rocprim17ROCPRIM_400000_NS6detail17trampoline_kernelINS0_14default_configENS1_25partition_config_selectorILNS1_17partition_subalgoE8ElNS0_10empty_typeEbEEZZNS1_14partition_implILS5_8ELb0ES3_jPlPS6_PKS6_NS0_5tupleIJS9_S6_EEENSD_IJSA_SA_EEENS0_18inequality_wrapperIZN2at6native12_GLOBAL__N_124unique_dim_cuda_templateIfEESt5tupleIJNSH_6TensorESM_SM_EERKSM_lbbbEUlllE0_EEPmJS6_EEE10hipError_tPvRmT3_T4_T5_T6_T7_T9_mT8_P12ihipStream_tbDpT10_ENKUlT_T0_E_clISt17integral_constantIbLb1EES1C_EEDaS17_S18_EUlS17_E_NS1_11comp_targetILNS1_3genE0ELNS1_11target_archE4294967295ELNS1_3gpuE0ELNS1_3repE0EEENS1_30default_config_static_selectorELNS0_4arch9wavefront6targetE1EEEvT1_
		.amdhsa_group_segment_fixed_size 0
		.amdhsa_private_segment_fixed_size 0
		.amdhsa_kernarg_size 136
		.amdhsa_user_sgpr_count 2
		.amdhsa_user_sgpr_dispatch_ptr 0
		.amdhsa_user_sgpr_queue_ptr 0
		.amdhsa_user_sgpr_kernarg_segment_ptr 1
		.amdhsa_user_sgpr_dispatch_id 0
		.amdhsa_user_sgpr_kernarg_preload_length 0
		.amdhsa_user_sgpr_kernarg_preload_offset 0
		.amdhsa_user_sgpr_private_segment_size 0
		.amdhsa_uses_dynamic_stack 0
		.amdhsa_enable_private_segment 0
		.amdhsa_system_sgpr_workgroup_id_x 1
		.amdhsa_system_sgpr_workgroup_id_y 0
		.amdhsa_system_sgpr_workgroup_id_z 0
		.amdhsa_system_sgpr_workgroup_info 0
		.amdhsa_system_vgpr_workitem_id 0
		.amdhsa_next_free_vgpr 1
		.amdhsa_next_free_sgpr 0
		.amdhsa_accum_offset 4
		.amdhsa_reserve_vcc 0
		.amdhsa_float_round_mode_32 0
		.amdhsa_float_round_mode_16_64 0
		.amdhsa_float_denorm_mode_32 3
		.amdhsa_float_denorm_mode_16_64 3
		.amdhsa_dx10_clamp 1
		.amdhsa_ieee_mode 1
		.amdhsa_fp16_overflow 0
		.amdhsa_tg_split 0
		.amdhsa_exception_fp_ieee_invalid_op 0
		.amdhsa_exception_fp_denorm_src 0
		.amdhsa_exception_fp_ieee_div_zero 0
		.amdhsa_exception_fp_ieee_overflow 0
		.amdhsa_exception_fp_ieee_underflow 0
		.amdhsa_exception_fp_ieee_inexact 0
		.amdhsa_exception_int_div_zero 0
	.end_amdhsa_kernel
	.section	.text._ZN7rocprim17ROCPRIM_400000_NS6detail17trampoline_kernelINS0_14default_configENS1_25partition_config_selectorILNS1_17partition_subalgoE8ElNS0_10empty_typeEbEEZZNS1_14partition_implILS5_8ELb0ES3_jPlPS6_PKS6_NS0_5tupleIJS9_S6_EEENSD_IJSA_SA_EEENS0_18inequality_wrapperIZN2at6native12_GLOBAL__N_124unique_dim_cuda_templateIfEESt5tupleIJNSH_6TensorESM_SM_EERKSM_lbbbEUlllE0_EEPmJS6_EEE10hipError_tPvRmT3_T4_T5_T6_T7_T9_mT8_P12ihipStream_tbDpT10_ENKUlT_T0_E_clISt17integral_constantIbLb1EES1C_EEDaS17_S18_EUlS17_E_NS1_11comp_targetILNS1_3genE0ELNS1_11target_archE4294967295ELNS1_3gpuE0ELNS1_3repE0EEENS1_30default_config_static_selectorELNS0_4arch9wavefront6targetE1EEEvT1_,"axG",@progbits,_ZN7rocprim17ROCPRIM_400000_NS6detail17trampoline_kernelINS0_14default_configENS1_25partition_config_selectorILNS1_17partition_subalgoE8ElNS0_10empty_typeEbEEZZNS1_14partition_implILS5_8ELb0ES3_jPlPS6_PKS6_NS0_5tupleIJS9_S6_EEENSD_IJSA_SA_EEENS0_18inequality_wrapperIZN2at6native12_GLOBAL__N_124unique_dim_cuda_templateIfEESt5tupleIJNSH_6TensorESM_SM_EERKSM_lbbbEUlllE0_EEPmJS6_EEE10hipError_tPvRmT3_T4_T5_T6_T7_T9_mT8_P12ihipStream_tbDpT10_ENKUlT_T0_E_clISt17integral_constantIbLb1EES1C_EEDaS17_S18_EUlS17_E_NS1_11comp_targetILNS1_3genE0ELNS1_11target_archE4294967295ELNS1_3gpuE0ELNS1_3repE0EEENS1_30default_config_static_selectorELNS0_4arch9wavefront6targetE1EEEvT1_,comdat
.Lfunc_end944:
	.size	_ZN7rocprim17ROCPRIM_400000_NS6detail17trampoline_kernelINS0_14default_configENS1_25partition_config_selectorILNS1_17partition_subalgoE8ElNS0_10empty_typeEbEEZZNS1_14partition_implILS5_8ELb0ES3_jPlPS6_PKS6_NS0_5tupleIJS9_S6_EEENSD_IJSA_SA_EEENS0_18inequality_wrapperIZN2at6native12_GLOBAL__N_124unique_dim_cuda_templateIfEESt5tupleIJNSH_6TensorESM_SM_EERKSM_lbbbEUlllE0_EEPmJS6_EEE10hipError_tPvRmT3_T4_T5_T6_T7_T9_mT8_P12ihipStream_tbDpT10_ENKUlT_T0_E_clISt17integral_constantIbLb1EES1C_EEDaS17_S18_EUlS17_E_NS1_11comp_targetILNS1_3genE0ELNS1_11target_archE4294967295ELNS1_3gpuE0ELNS1_3repE0EEENS1_30default_config_static_selectorELNS0_4arch9wavefront6targetE1EEEvT1_, .Lfunc_end944-_ZN7rocprim17ROCPRIM_400000_NS6detail17trampoline_kernelINS0_14default_configENS1_25partition_config_selectorILNS1_17partition_subalgoE8ElNS0_10empty_typeEbEEZZNS1_14partition_implILS5_8ELb0ES3_jPlPS6_PKS6_NS0_5tupleIJS9_S6_EEENSD_IJSA_SA_EEENS0_18inequality_wrapperIZN2at6native12_GLOBAL__N_124unique_dim_cuda_templateIfEESt5tupleIJNSH_6TensorESM_SM_EERKSM_lbbbEUlllE0_EEPmJS6_EEE10hipError_tPvRmT3_T4_T5_T6_T7_T9_mT8_P12ihipStream_tbDpT10_ENKUlT_T0_E_clISt17integral_constantIbLb1EES1C_EEDaS17_S18_EUlS17_E_NS1_11comp_targetILNS1_3genE0ELNS1_11target_archE4294967295ELNS1_3gpuE0ELNS1_3repE0EEENS1_30default_config_static_selectorELNS0_4arch9wavefront6targetE1EEEvT1_
                                        ; -- End function
	.section	.AMDGPU.csdata,"",@progbits
; Kernel info:
; codeLenInByte = 0
; NumSgprs: 6
; NumVgprs: 0
; NumAgprs: 0
; TotalNumVgprs: 0
; ScratchSize: 0
; MemoryBound: 0
; FloatMode: 240
; IeeeMode: 1
; LDSByteSize: 0 bytes/workgroup (compile time only)
; SGPRBlocks: 0
; VGPRBlocks: 0
; NumSGPRsForWavesPerEU: 6
; NumVGPRsForWavesPerEU: 1
; AccumOffset: 4
; Occupancy: 8
; WaveLimiterHint : 0
; COMPUTE_PGM_RSRC2:SCRATCH_EN: 0
; COMPUTE_PGM_RSRC2:USER_SGPR: 2
; COMPUTE_PGM_RSRC2:TRAP_HANDLER: 0
; COMPUTE_PGM_RSRC2:TGID_X_EN: 1
; COMPUTE_PGM_RSRC2:TGID_Y_EN: 0
; COMPUTE_PGM_RSRC2:TGID_Z_EN: 0
; COMPUTE_PGM_RSRC2:TIDIG_COMP_CNT: 0
; COMPUTE_PGM_RSRC3_GFX90A:ACCUM_OFFSET: 0
; COMPUTE_PGM_RSRC3_GFX90A:TG_SPLIT: 0
	.section	.text._ZN7rocprim17ROCPRIM_400000_NS6detail17trampoline_kernelINS0_14default_configENS1_25partition_config_selectorILNS1_17partition_subalgoE8ElNS0_10empty_typeEbEEZZNS1_14partition_implILS5_8ELb0ES3_jPlPS6_PKS6_NS0_5tupleIJS9_S6_EEENSD_IJSA_SA_EEENS0_18inequality_wrapperIZN2at6native12_GLOBAL__N_124unique_dim_cuda_templateIfEESt5tupleIJNSH_6TensorESM_SM_EERKSM_lbbbEUlllE0_EEPmJS6_EEE10hipError_tPvRmT3_T4_T5_T6_T7_T9_mT8_P12ihipStream_tbDpT10_ENKUlT_T0_E_clISt17integral_constantIbLb1EES1C_EEDaS17_S18_EUlS17_E_NS1_11comp_targetILNS1_3genE5ELNS1_11target_archE942ELNS1_3gpuE9ELNS1_3repE0EEENS1_30default_config_static_selectorELNS0_4arch9wavefront6targetE1EEEvT1_,"axG",@progbits,_ZN7rocprim17ROCPRIM_400000_NS6detail17trampoline_kernelINS0_14default_configENS1_25partition_config_selectorILNS1_17partition_subalgoE8ElNS0_10empty_typeEbEEZZNS1_14partition_implILS5_8ELb0ES3_jPlPS6_PKS6_NS0_5tupleIJS9_S6_EEENSD_IJSA_SA_EEENS0_18inequality_wrapperIZN2at6native12_GLOBAL__N_124unique_dim_cuda_templateIfEESt5tupleIJNSH_6TensorESM_SM_EERKSM_lbbbEUlllE0_EEPmJS6_EEE10hipError_tPvRmT3_T4_T5_T6_T7_T9_mT8_P12ihipStream_tbDpT10_ENKUlT_T0_E_clISt17integral_constantIbLb1EES1C_EEDaS17_S18_EUlS17_E_NS1_11comp_targetILNS1_3genE5ELNS1_11target_archE942ELNS1_3gpuE9ELNS1_3repE0EEENS1_30default_config_static_selectorELNS0_4arch9wavefront6targetE1EEEvT1_,comdat
	.globl	_ZN7rocprim17ROCPRIM_400000_NS6detail17trampoline_kernelINS0_14default_configENS1_25partition_config_selectorILNS1_17partition_subalgoE8ElNS0_10empty_typeEbEEZZNS1_14partition_implILS5_8ELb0ES3_jPlPS6_PKS6_NS0_5tupleIJS9_S6_EEENSD_IJSA_SA_EEENS0_18inequality_wrapperIZN2at6native12_GLOBAL__N_124unique_dim_cuda_templateIfEESt5tupleIJNSH_6TensorESM_SM_EERKSM_lbbbEUlllE0_EEPmJS6_EEE10hipError_tPvRmT3_T4_T5_T6_T7_T9_mT8_P12ihipStream_tbDpT10_ENKUlT_T0_E_clISt17integral_constantIbLb1EES1C_EEDaS17_S18_EUlS17_E_NS1_11comp_targetILNS1_3genE5ELNS1_11target_archE942ELNS1_3gpuE9ELNS1_3repE0EEENS1_30default_config_static_selectorELNS0_4arch9wavefront6targetE1EEEvT1_ ; -- Begin function _ZN7rocprim17ROCPRIM_400000_NS6detail17trampoline_kernelINS0_14default_configENS1_25partition_config_selectorILNS1_17partition_subalgoE8ElNS0_10empty_typeEbEEZZNS1_14partition_implILS5_8ELb0ES3_jPlPS6_PKS6_NS0_5tupleIJS9_S6_EEENSD_IJSA_SA_EEENS0_18inequality_wrapperIZN2at6native12_GLOBAL__N_124unique_dim_cuda_templateIfEESt5tupleIJNSH_6TensorESM_SM_EERKSM_lbbbEUlllE0_EEPmJS6_EEE10hipError_tPvRmT3_T4_T5_T6_T7_T9_mT8_P12ihipStream_tbDpT10_ENKUlT_T0_E_clISt17integral_constantIbLb1EES1C_EEDaS17_S18_EUlS17_E_NS1_11comp_targetILNS1_3genE5ELNS1_11target_archE942ELNS1_3gpuE9ELNS1_3repE0EEENS1_30default_config_static_selectorELNS0_4arch9wavefront6targetE1EEEvT1_
	.p2align	8
	.type	_ZN7rocprim17ROCPRIM_400000_NS6detail17trampoline_kernelINS0_14default_configENS1_25partition_config_selectorILNS1_17partition_subalgoE8ElNS0_10empty_typeEbEEZZNS1_14partition_implILS5_8ELb0ES3_jPlPS6_PKS6_NS0_5tupleIJS9_S6_EEENSD_IJSA_SA_EEENS0_18inequality_wrapperIZN2at6native12_GLOBAL__N_124unique_dim_cuda_templateIfEESt5tupleIJNSH_6TensorESM_SM_EERKSM_lbbbEUlllE0_EEPmJS6_EEE10hipError_tPvRmT3_T4_T5_T6_T7_T9_mT8_P12ihipStream_tbDpT10_ENKUlT_T0_E_clISt17integral_constantIbLb1EES1C_EEDaS17_S18_EUlS17_E_NS1_11comp_targetILNS1_3genE5ELNS1_11target_archE942ELNS1_3gpuE9ELNS1_3repE0EEENS1_30default_config_static_selectorELNS0_4arch9wavefront6targetE1EEEvT1_,@function
_ZN7rocprim17ROCPRIM_400000_NS6detail17trampoline_kernelINS0_14default_configENS1_25partition_config_selectorILNS1_17partition_subalgoE8ElNS0_10empty_typeEbEEZZNS1_14partition_implILS5_8ELb0ES3_jPlPS6_PKS6_NS0_5tupleIJS9_S6_EEENSD_IJSA_SA_EEENS0_18inequality_wrapperIZN2at6native12_GLOBAL__N_124unique_dim_cuda_templateIfEESt5tupleIJNSH_6TensorESM_SM_EERKSM_lbbbEUlllE0_EEPmJS6_EEE10hipError_tPvRmT3_T4_T5_T6_T7_T9_mT8_P12ihipStream_tbDpT10_ENKUlT_T0_E_clISt17integral_constantIbLb1EES1C_EEDaS17_S18_EUlS17_E_NS1_11comp_targetILNS1_3genE5ELNS1_11target_archE942ELNS1_3gpuE9ELNS1_3repE0EEENS1_30default_config_static_selectorELNS0_4arch9wavefront6targetE1EEEvT1_: ; @_ZN7rocprim17ROCPRIM_400000_NS6detail17trampoline_kernelINS0_14default_configENS1_25partition_config_selectorILNS1_17partition_subalgoE8ElNS0_10empty_typeEbEEZZNS1_14partition_implILS5_8ELb0ES3_jPlPS6_PKS6_NS0_5tupleIJS9_S6_EEENSD_IJSA_SA_EEENS0_18inequality_wrapperIZN2at6native12_GLOBAL__N_124unique_dim_cuda_templateIfEESt5tupleIJNSH_6TensorESM_SM_EERKSM_lbbbEUlllE0_EEPmJS6_EEE10hipError_tPvRmT3_T4_T5_T6_T7_T9_mT8_P12ihipStream_tbDpT10_ENKUlT_T0_E_clISt17integral_constantIbLb1EES1C_EEDaS17_S18_EUlS17_E_NS1_11comp_targetILNS1_3genE5ELNS1_11target_archE942ELNS1_3gpuE9ELNS1_3repE0EEENS1_30default_config_static_selectorELNS0_4arch9wavefront6targetE1EEEvT1_
; %bb.0:
	s_load_dwordx2 s[34:35], s[0:1], 0x28
	s_load_dwordx8 s[20:27], s[0:1], 0x40
	s_load_dwordx4 s[28:31], s[0:1], 0x60
	v_cmp_ne_u32_e64 s[2:3], 0, v0
	v_cmp_eq_u32_e64 s[18:19], 0, v0
	s_and_saveexec_b64 s[4:5], s[18:19]
	s_cbranch_execz .LBB945_4
; %bb.1:
	s_mov_b64 s[8:9], exec
	v_mbcnt_lo_u32_b32 v1, s8, 0
	v_mbcnt_hi_u32_b32 v1, s9, v1
	v_cmp_eq_u32_e32 vcc, 0, v1
                                        ; implicit-def: $vgpr2
	s_and_saveexec_b64 s[6:7], vcc
	s_cbranch_execz .LBB945_3
; %bb.2:
	s_load_dwordx2 s[10:11], s[0:1], 0x78
	s_bcnt1_i32_b64 s8, s[8:9]
	v_mov_b32_e32 v2, 0
	v_mov_b32_e32 v3, s8
	s_waitcnt lgkmcnt(0)
	global_atomic_add v2, v2, v3, s[10:11] sc0
.LBB945_3:
	s_or_b64 exec, exec, s[6:7]
	s_waitcnt vmcnt(0)
	v_readfirstlane_b32 s6, v2
	v_mov_b32_e32 v2, 0
	s_nop 0
	v_add_u32_e32 v1, s6, v1
	ds_write_b32 v2, v1
.LBB945_4:
	s_or_b64 exec, exec, s[4:5]
	v_mov_b32_e32 v3, 0
	s_load_dwordx4 s[4:7], s[0:1], 0x8
	s_load_dword s10, s[0:1], 0x70
	s_waitcnt lgkmcnt(0)
	s_barrier
	ds_read_b32 v1, v3
	s_waitcnt lgkmcnt(0)
	s_barrier
	global_load_dwordx2 v[4:5], v3, s[22:23]
	s_lshl_b64 s[0:1], s[6:7], 3
	s_mul_i32 s12, s10, 0xe00
	s_add_u32 s0, s4, s0
	s_addc_u32 s1, s5, s1
	s_add_i32 s4, s12, s6
	s_add_i32 s10, s10, -1
	s_sub_i32 s52, s24, s4
	s_add_u32 s4, s6, s12
	s_movk_i32 s11, 0xe00
	s_addc_u32 s5, s7, 0
	v_readfirstlane_b32 s33, v1
	v_mov_b32_e32 v6, s24
	v_mov_b32_e32 v7, s25
	v_mul_lo_u32 v2, v1, s11
	s_cmp_eq_u32 s33, s10
	v_cmp_ge_u64_e32 vcc, s[4:5], v[6:7]
	v_lshlrev_b64 v[6:7], 3, v[2:3]
	s_cselect_b64 s[24:25], -1, 0
	v_lshl_add_u64 v[18:19], s[0:1], 0, v[6:7]
	s_and_b64 s[0:1], vcc, s[24:25]
	s_xor_b64 s[36:37], s[0:1], -1
	s_mov_b64 s[8:9], -1
	s_and_b64 vcc, exec, s[36:37]
	s_waitcnt vmcnt(0)
	v_readfirstlane_b32 s22, v4
	v_readfirstlane_b32 s23, v5
	s_cbranch_vccz .LBB945_6
; %bb.5:
	v_lshlrev_b32_e32 v2, 3, v0
	v_lshl_add_u64 v[4:5], v[18:19], 0, v[2:3]
	v_add_co_u32_e32 v8, vcc, 0x1000, v4
	v_readfirstlane_b32 s4, v18
	s_nop 0
	v_addc_co_u32_e32 v9, vcc, 0, v5, vcc
	v_add_co_u32_e32 v10, vcc, 0x2000, v4
	v_readfirstlane_b32 s5, v19
	s_nop 0
	v_addc_co_u32_e32 v11, vcc, 0, v5, vcc
	v_add_co_u32_e32 v12, vcc, 0x3000, v4
	s_mov_b64 s[8:9], 0
	s_nop 0
	v_addc_co_u32_e32 v13, vcc, 0, v5, vcc
	v_add_co_u32_e32 v14, vcc, 0x4000, v4
	global_load_dwordx2 v[6:7], v2, s[4:5]
	s_nop 0
	v_addc_co_u32_e32 v15, vcc, 0, v5, vcc
	global_load_dwordx2 v[16:17], v[8:9], off
	global_load_dwordx2 v[20:21], v[10:11], off
	;; [unrolled: 1-line block ×4, first 2 shown]
	v_add_co_u32_e32 v8, vcc, 0x5000, v4
	s_nop 1
	v_addc_co_u32_e32 v9, vcc, 0, v5, vcc
	v_add_co_u32_e32 v4, vcc, 0x6000, v4
	global_load_dwordx2 v[8:9], v[8:9], off
	s_nop 0
	v_addc_co_u32_e32 v5, vcc, 0, v5, vcc
	global_load_dwordx2 v[4:5], v[4:5], off
	s_waitcnt vmcnt(5)
	ds_write2st64_b64 v2, v[6:7], v[16:17] offset1:8
	s_waitcnt vmcnt(3)
	ds_write2st64_b64 v2, v[20:21], v[22:23] offset0:16 offset1:24
	s_waitcnt vmcnt(1)
	ds_write2st64_b64 v2, v[24:25], v[8:9] offset0:32 offset1:40
	s_waitcnt vmcnt(0)
	ds_write_b64 v2, v[4:5] offset:24576
	s_waitcnt lgkmcnt(0)
	s_barrier
.LBB945_6:
	s_andn2_b64 vcc, exec, s[8:9]
	s_addk_i32 s52, 0xe00
	s_cbranch_vccnz .LBB945_22
; %bb.7:
	v_cmp_gt_u32_e32 vcc, s52, v0
                                        ; implicit-def: $vgpr2_vgpr3_vgpr4_vgpr5_vgpr6_vgpr7_vgpr8_vgpr9_vgpr10_vgpr11_vgpr12_vgpr13_vgpr14_vgpr15_vgpr16_vgpr17
	s_and_saveexec_b64 s[4:5], vcc
	s_cbranch_execz .LBB945_9
; %bb.8:
	v_lshlrev_b32_e32 v1, 3, v0
	v_readfirstlane_b32 s8, v18
	v_readfirstlane_b32 s9, v19
	s_nop 4
	global_load_dwordx2 v[2:3], v1, s[8:9]
.LBB945_9:
	s_or_b64 exec, exec, s[4:5]
	v_or_b32_e32 v1, 0x200, v0
	v_cmp_gt_u32_e32 vcc, s52, v1
	s_and_saveexec_b64 s[4:5], vcc
	s_cbranch_execz .LBB945_11
; %bb.10:
	v_lshlrev_b32_e32 v1, 3, v1
	v_readfirstlane_b32 s8, v18
	v_readfirstlane_b32 s9, v19
	s_nop 4
	global_load_dwordx2 v[4:5], v1, s[8:9]
.LBB945_11:
	s_or_b64 exec, exec, s[4:5]
	v_or_b32_e32 v1, 0x400, v0
	v_cmp_gt_u32_e32 vcc, s52, v1
	;; [unrolled: 12-line block ×6, first 2 shown]
	s_and_saveexec_b64 s[4:5], vcc
	s_cbranch_execz .LBB945_21
; %bb.20:
	v_lshlrev_b32_e32 v1, 3, v1
	v_readfirstlane_b32 s8, v18
	v_readfirstlane_b32 s9, v19
	s_nop 4
	global_load_dwordx2 v[14:15], v1, s[8:9]
.LBB945_21:
	s_or_b64 exec, exec, s[4:5]
	v_lshlrev_b32_e32 v1, 3, v0
	s_waitcnt vmcnt(0)
	ds_write2st64_b64 v1, v[2:3], v[4:5] offset1:8
	ds_write2st64_b64 v1, v[6:7], v[8:9] offset0:16 offset1:24
	ds_write2st64_b64 v1, v[10:11], v[12:13] offset0:32 offset1:40
	ds_write_b64 v1, v[14:15] offset:24576
	s_waitcnt lgkmcnt(0)
	s_barrier
.LBB945_22:
	v_mul_u32_u24_e32 v1, 7, v0
	v_lshlrev_b32_e32 v32, 3, v1
	ds_read2_b64 v[10:13], v32 offset1:1
	ds_read2_b64 v[6:9], v32 offset0:2 offset1:3
	ds_read2_b64 v[2:5], v32 offset0:4 offset1:5
	ds_read_b64 v[14:15], v32 offset:48
	s_cmp_lg_u32 s33, 0
	s_cselect_b64 s[16:17], -1, 0
	s_cmp_lg_u64 s[6:7], 0
	s_cselect_b64 s[4:5], -1, 0
	s_or_b64 s[4:5], s[4:5], s[16:17]
	v_mad_u32_u24 v27, v0, 7, 1
	v_mad_u32_u24 v26, v0, 7, 2
	;; [unrolled: 1-line block ×6, first 2 shown]
	s_mov_b64 s[8:9], 0
	s_and_b64 vcc, exec, s[4:5]
	v_cmp_gt_i64_e64 s[4:5], s[26:27], 0
	s_waitcnt lgkmcnt(0)
	s_barrier
	s_cbranch_vccz .LBB945_31
; %bb.23:
	global_load_dwordx2 v[16:17], v[18:19], off offset:-8
	v_cndmask_b32_e64 v18, 0, 1, s[4:5]
	v_lshlrev_b32_e32 v33, 3, v0
	s_mov_b64 s[6:7], 0
	s_and_b64 vcc, exec, s[36:37]
	v_cmp_ne_u32_e64 s[4:5], 1, v18
	ds_write_b64 v33, v[14:15]
	s_cbranch_vccz .LBB945_33
; %bb.24:
	v_mul_lo_u32 v20, v5, s26
	v_mul_lo_u32 v21, v4, s27
	v_mad_u64_u32 v[18:19], s[8:9], v4, s26, 0
	v_add3_u32 v19, v19, v21, v20
	s_and_b64 vcc, exec, s[4:5]
	v_lshl_add_u64 v[18:19], v[18:19], 2, s[28:29]
	s_cbranch_vccnz .LBB945_36
; %bb.25:
	v_mul_lo_u32 v22, v15, s26
	v_mul_lo_u32 v23, v14, s27
	v_mad_u64_u32 v[20:21], s[6:7], v14, s26, 0
	v_add3_u32 v21, v21, v23, v22
	v_lshl_add_u64 v[20:21], v[20:21], 2, s[28:29]
	global_load_dword v22, v[18:19], off
	global_load_dword v23, v[20:21], off
	s_mov_b64 s[6:7], -1
	s_waitcnt vmcnt(0)
	v_cmp_eq_f32_e32 vcc, v22, v23
	s_and_saveexec_b64 s[8:9], vcc
	s_cbranch_execz .LBB945_35
; %bb.26:
	s_add_u32 s6, s26, -1
	v_lshl_add_u64 v[20:21], v[20:21], 0, 4
	v_lshl_add_u64 v[22:23], v[18:19], 0, 4
	s_addc_u32 s7, s27, -1
	s_mov_b64 s[10:11], 0
	s_mov_b64 s[14:15], 0
                                        ; implicit-def: $sgpr12_sgpr13
	s_branch .LBB945_29
.LBB945_27:                             ;   in Loop: Header=BB945_29 Depth=1
	global_load_dword v24, v[22:23], off
	global_load_dword v25, v[20:21], off
	s_add_u32 s14, s14, 1
	s_addc_u32 s15, s15, 0
	s_andn2_b64 s[12:13], s[12:13], exec
	v_lshl_add_u64 v[20:21], v[20:21], 0, 4
	v_lshl_add_u64 v[22:23], v[22:23], 0, 4
	s_waitcnt vmcnt(0)
	v_cmp_neq_f32_e32 vcc, v24, v25
	s_and_b64 s[38:39], vcc, exec
	s_or_b64 s[12:13], s[12:13], s[38:39]
.LBB945_28:                             ;   in Loop: Header=BB945_29 Depth=1
	s_and_b64 s[38:39], exec, s[12:13]
	s_or_b64 s[10:11], s[38:39], s[10:11]
	v_mov_b64_e32 v[24:25], s[14:15]
	s_andn2_b64 exec, exec, s[10:11]
	s_cbranch_execz .LBB945_34
.LBB945_29:                             ; =>This Inner Loop Header: Depth=1
	s_or_b64 s[12:13], s[12:13], exec
	s_cmp_eq_u64 s[6:7], s[14:15]
	s_cbranch_scc0 .LBB945_27
; %bb.30:                               ;   in Loop: Header=BB945_29 Depth=1
                                        ; implicit-def: $vgpr20_vgpr21
                                        ; implicit-def: $vgpr22_vgpr23
	s_mov_b64 s[14:15], s[26:27]
	s_branch .LBB945_28
.LBB945_31:
                                        ; implicit-def: $sgpr12_sgpr13
                                        ; implicit-def: $vgpr35
                                        ; implicit-def: $vgpr34
                                        ; implicit-def: $vgpr25
                                        ; implicit-def: $vgpr20
	s_branch .LBB945_174
.LBB945_32:
                                        ; implicit-def: $vgpr16_vgpr17
	s_branch .LBB945_322
.LBB945_33:
                                        ; implicit-def: $sgpr12_sgpr13
                                        ; implicit-def: $vgpr35
                                        ; implicit-def: $vgpr34
                                        ; implicit-def: $vgpr25
                                        ; implicit-def: $vgpr20
	s_cbranch_execnz .LBB945_93
	s_branch .LBB945_173
.LBB945_34:
	s_or_b64 exec, exec, s[10:11]
	v_cmp_gt_i64_e32 vcc, s[26:27], v[24:25]
	s_orn2_b64 s[6:7], vcc, exec
.LBB945_35:
	s_or_b64 exec, exec, s[8:9]
.LBB945_36:
	v_mul_lo_u32 v22, v3, s26
	v_mul_lo_u32 v23, v2, s27
	v_mad_u64_u32 v[20:21], s[8:9], v2, s26, 0
	v_add3_u32 v21, v21, v23, v22
	s_mov_b64 s[8:9], 0
	s_and_b64 vcc, exec, s[4:5]
	v_lshl_add_u64 v[20:21], v[20:21], 2, s[28:29]
	s_mov_b64 s[10:11], 0
	s_cbranch_vccnz .LBB945_45
; %bb.37:
	global_load_dword v22, v[20:21], off
	global_load_dword v23, v[18:19], off
	s_mov_b64 s[10:11], -1
	s_waitcnt vmcnt(0)
	v_cmp_eq_f32_e32 vcc, v22, v23
	s_and_saveexec_b64 s[12:13], vcc
	s_cbranch_execz .LBB945_44
; %bb.38:
	s_add_u32 s10, s26, -1
	v_lshl_add_u64 v[18:19], v[18:19], 0, 4
	v_lshl_add_u64 v[22:23], v[20:21], 0, 4
	s_addc_u32 s11, s27, -1
	s_mov_b64 s[14:15], 0
	s_mov_b64 s[40:41], 0
                                        ; implicit-def: $sgpr38_sgpr39
	s_branch .LBB945_41
.LBB945_39:                             ;   in Loop: Header=BB945_41 Depth=1
	global_load_dword v24, v[22:23], off
	global_load_dword v25, v[18:19], off
	s_add_u32 s40, s40, 1
	s_addc_u32 s41, s41, 0
	s_andn2_b64 s[38:39], s[38:39], exec
	v_lshl_add_u64 v[18:19], v[18:19], 0, 4
	v_lshl_add_u64 v[22:23], v[22:23], 0, 4
	s_waitcnt vmcnt(0)
	v_cmp_neq_f32_e32 vcc, v24, v25
	s_and_b64 s[42:43], vcc, exec
	s_or_b64 s[38:39], s[38:39], s[42:43]
.LBB945_40:                             ;   in Loop: Header=BB945_41 Depth=1
	s_and_b64 s[42:43], exec, s[38:39]
	s_or_b64 s[14:15], s[42:43], s[14:15]
	v_mov_b64_e32 v[24:25], s[40:41]
	s_andn2_b64 exec, exec, s[14:15]
	s_cbranch_execz .LBB945_43
.LBB945_41:                             ; =>This Inner Loop Header: Depth=1
	s_or_b64 s[38:39], s[38:39], exec
	s_cmp_eq_u64 s[10:11], s[40:41]
	s_cbranch_scc0 .LBB945_39
; %bb.42:                               ;   in Loop: Header=BB945_41 Depth=1
                                        ; implicit-def: $vgpr18_vgpr19
                                        ; implicit-def: $vgpr22_vgpr23
	s_mov_b64 s[40:41], s[26:27]
	s_branch .LBB945_40
.LBB945_43:
	s_or_b64 exec, exec, s[14:15]
	v_cmp_gt_i64_e32 vcc, s[26:27], v[24:25]
	s_orn2_b64 s[10:11], vcc, exec
.LBB945_44:
	s_or_b64 exec, exec, s[12:13]
.LBB945_45:
	v_mul_lo_u32 v22, v9, s26
	v_mul_lo_u32 v23, v8, s27
	v_mad_u64_u32 v[18:19], s[12:13], v8, s26, 0
	v_add3_u32 v19, v19, v23, v22
	s_and_b64 vcc, exec, s[4:5]
	v_lshl_add_u64 v[18:19], v[18:19], 2, s[28:29]
	s_cbranch_vccnz .LBB945_54
; %bb.46:
	global_load_dword v22, v[18:19], off
	global_load_dword v23, v[20:21], off
	s_mov_b64 s[8:9], -1
	s_waitcnt vmcnt(0)
	v_cmp_eq_f32_e32 vcc, v22, v23
	s_and_saveexec_b64 s[12:13], vcc
	s_cbranch_execz .LBB945_53
; %bb.47:
	s_add_u32 s8, s26, -1
	v_lshl_add_u64 v[20:21], v[20:21], 0, 4
	v_lshl_add_u64 v[22:23], v[18:19], 0, 4
	s_addc_u32 s9, s27, -1
	s_mov_b64 s[14:15], 0
	s_mov_b64 s[40:41], 0
                                        ; implicit-def: $sgpr38_sgpr39
	s_branch .LBB945_50
.LBB945_48:                             ;   in Loop: Header=BB945_50 Depth=1
	global_load_dword v24, v[22:23], off
	global_load_dword v25, v[20:21], off
	s_add_u32 s40, s40, 1
	s_addc_u32 s41, s41, 0
	s_andn2_b64 s[38:39], s[38:39], exec
	v_lshl_add_u64 v[20:21], v[20:21], 0, 4
	v_lshl_add_u64 v[22:23], v[22:23], 0, 4
	s_waitcnt vmcnt(0)
	v_cmp_neq_f32_e32 vcc, v24, v25
	s_and_b64 s[42:43], vcc, exec
	s_or_b64 s[38:39], s[38:39], s[42:43]
.LBB945_49:                             ;   in Loop: Header=BB945_50 Depth=1
	s_and_b64 s[42:43], exec, s[38:39]
	s_or_b64 s[14:15], s[42:43], s[14:15]
	v_mov_b64_e32 v[24:25], s[40:41]
	s_andn2_b64 exec, exec, s[14:15]
	s_cbranch_execz .LBB945_52
.LBB945_50:                             ; =>This Inner Loop Header: Depth=1
	s_or_b64 s[38:39], s[38:39], exec
	s_cmp_eq_u64 s[8:9], s[40:41]
	s_cbranch_scc0 .LBB945_48
; %bb.51:                               ;   in Loop: Header=BB945_50 Depth=1
                                        ; implicit-def: $vgpr20_vgpr21
                                        ; implicit-def: $vgpr22_vgpr23
	s_mov_b64 s[40:41], s[26:27]
	s_branch .LBB945_49
.LBB945_52:
	s_or_b64 exec, exec, s[14:15]
	v_cmp_gt_i64_e32 vcc, s[26:27], v[24:25]
	s_orn2_b64 s[8:9], vcc, exec
.LBB945_53:
	s_or_b64 exec, exec, s[12:13]
.LBB945_54:
	v_mul_lo_u32 v22, v7, s26
	v_mul_lo_u32 v23, v6, s27
	v_mad_u64_u32 v[20:21], s[12:13], v6, s26, 0
	v_add3_u32 v21, v21, v23, v22
	s_mov_b64 s[12:13], 0
	s_and_b64 vcc, exec, s[4:5]
	v_lshl_add_u64 v[22:23], v[20:21], 2, s[28:29]
	s_mov_b64 s[14:15], 0
	s_cbranch_vccnz .LBB945_63
; %bb.55:
	global_load_dword v20, v[22:23], off
	global_load_dword v21, v[18:19], off
	s_mov_b64 s[14:15], -1
	s_waitcnt vmcnt(0)
	v_cmp_eq_f32_e32 vcc, v20, v21
	s_and_saveexec_b64 s[38:39], vcc
	s_cbranch_execz .LBB945_62
; %bb.56:
	s_add_u32 s14, s26, -1
	v_lshl_add_u64 v[18:19], v[18:19], 0, 4
	v_lshl_add_u64 v[20:21], v[22:23], 0, 4
	s_addc_u32 s15, s27, -1
	s_mov_b64 s[40:41], 0
	s_mov_b64 s[44:45], 0
                                        ; implicit-def: $sgpr42_sgpr43
	s_branch .LBB945_59
.LBB945_57:                             ;   in Loop: Header=BB945_59 Depth=1
	global_load_dword v24, v[20:21], off
	global_load_dword v25, v[18:19], off
	s_add_u32 s44, s44, 1
	s_addc_u32 s45, s45, 0
	s_andn2_b64 s[42:43], s[42:43], exec
	v_lshl_add_u64 v[18:19], v[18:19], 0, 4
	v_lshl_add_u64 v[20:21], v[20:21], 0, 4
	s_waitcnt vmcnt(0)
	v_cmp_neq_f32_e32 vcc, v24, v25
	s_and_b64 s[46:47], vcc, exec
	s_or_b64 s[42:43], s[42:43], s[46:47]
.LBB945_58:                             ;   in Loop: Header=BB945_59 Depth=1
	s_and_b64 s[46:47], exec, s[42:43]
	s_or_b64 s[40:41], s[46:47], s[40:41]
	v_mov_b64_e32 v[24:25], s[44:45]
	s_andn2_b64 exec, exec, s[40:41]
	s_cbranch_execz .LBB945_61
.LBB945_59:                             ; =>This Inner Loop Header: Depth=1
	s_or_b64 s[42:43], s[42:43], exec
	s_cmp_eq_u64 s[14:15], s[44:45]
	s_cbranch_scc0 .LBB945_57
; %bb.60:                               ;   in Loop: Header=BB945_59 Depth=1
                                        ; implicit-def: $vgpr18_vgpr19
                                        ; implicit-def: $vgpr20_vgpr21
	s_mov_b64 s[44:45], s[26:27]
	s_branch .LBB945_58
.LBB945_61:
	s_or_b64 exec, exec, s[40:41]
	v_cmp_gt_i64_e32 vcc, s[26:27], v[24:25]
	s_orn2_b64 s[14:15], vcc, exec
.LBB945_62:
	s_or_b64 exec, exec, s[38:39]
.LBB945_63:
	v_mul_lo_u32 v20, v13, s26
	v_mul_lo_u32 v21, v12, s27
	v_mad_u64_u32 v[18:19], s[38:39], v12, s26, 0
	v_add3_u32 v19, v19, v21, v20
	s_and_b64 vcc, exec, s[4:5]
	v_lshl_add_u64 v[20:21], v[18:19], 2, s[28:29]
	s_cbranch_vccnz .LBB945_72
; %bb.64:
	global_load_dword v18, v[20:21], off
	global_load_dword v19, v[22:23], off
	s_mov_b64 s[12:13], -1
	s_waitcnt vmcnt(0)
	v_cmp_eq_f32_e32 vcc, v18, v19
	s_and_saveexec_b64 s[38:39], vcc
	s_cbranch_execz .LBB945_71
; %bb.65:
	s_add_u32 s12, s26, -1
	v_lshl_add_u64 v[18:19], v[22:23], 0, 4
	v_lshl_add_u64 v[22:23], v[20:21], 0, 4
	s_addc_u32 s13, s27, -1
	s_mov_b64 s[40:41], 0
	s_mov_b64 s[44:45], 0
                                        ; implicit-def: $sgpr42_sgpr43
	s_branch .LBB945_68
.LBB945_66:                             ;   in Loop: Header=BB945_68 Depth=1
	global_load_dword v24, v[22:23], off
	global_load_dword v25, v[18:19], off
	s_add_u32 s44, s44, 1
	s_addc_u32 s45, s45, 0
	s_andn2_b64 s[42:43], s[42:43], exec
	v_lshl_add_u64 v[18:19], v[18:19], 0, 4
	v_lshl_add_u64 v[22:23], v[22:23], 0, 4
	s_waitcnt vmcnt(0)
	v_cmp_neq_f32_e32 vcc, v24, v25
	s_and_b64 s[46:47], vcc, exec
	s_or_b64 s[42:43], s[42:43], s[46:47]
.LBB945_67:                             ;   in Loop: Header=BB945_68 Depth=1
	s_and_b64 s[46:47], exec, s[42:43]
	s_or_b64 s[40:41], s[46:47], s[40:41]
	v_mov_b64_e32 v[24:25], s[44:45]
	s_andn2_b64 exec, exec, s[40:41]
	s_cbranch_execz .LBB945_70
.LBB945_68:                             ; =>This Inner Loop Header: Depth=1
	s_or_b64 s[42:43], s[42:43], exec
	s_cmp_eq_u64 s[12:13], s[44:45]
	s_cbranch_scc0 .LBB945_66
; %bb.69:                               ;   in Loop: Header=BB945_68 Depth=1
                                        ; implicit-def: $vgpr18_vgpr19
                                        ; implicit-def: $vgpr22_vgpr23
	s_mov_b64 s[44:45], s[26:27]
	s_branch .LBB945_67
.LBB945_70:
	s_or_b64 exec, exec, s[40:41]
	v_cmp_gt_i64_e32 vcc, s[26:27], v[24:25]
	s_orn2_b64 s[12:13], vcc, exec
.LBB945_71:
	s_or_b64 exec, exec, s[38:39]
.LBB945_72:
	v_mul_lo_u32 v22, v11, s26
	v_mul_lo_u32 v23, v10, s27
	v_mad_u64_u32 v[18:19], s[38:39], v10, s26, 0
	v_add3_u32 v19, v19, v23, v22
	s_mov_b64 s[40:41], 0
	s_and_b64 vcc, exec, s[4:5]
	v_lshl_add_u64 v[18:19], v[18:19], 2, s[28:29]
	s_cbranch_vccnz .LBB945_81
; %bb.73:
	global_load_dword v22, v[18:19], off
	global_load_dword v23, v[20:21], off
	s_mov_b64 s[40:41], -1
	s_waitcnt vmcnt(0)
	v_cmp_eq_f32_e32 vcc, v22, v23
	s_and_saveexec_b64 s[38:39], vcc
	s_cbranch_execz .LBB945_80
; %bb.74:
	s_add_u32 s40, s26, -1
	v_lshl_add_u64 v[20:21], v[20:21], 0, 4
	v_lshl_add_u64 v[22:23], v[18:19], 0, 4
	s_addc_u32 s41, s27, -1
	s_mov_b64 s[42:43], 0
	s_mov_b64 s[46:47], 0
                                        ; implicit-def: $sgpr44_sgpr45
	s_branch .LBB945_77
.LBB945_75:                             ;   in Loop: Header=BB945_77 Depth=1
	global_load_dword v24, v[22:23], off
	global_load_dword v25, v[20:21], off
	s_add_u32 s46, s46, 1
	s_addc_u32 s47, s47, 0
	s_andn2_b64 s[44:45], s[44:45], exec
	v_lshl_add_u64 v[20:21], v[20:21], 0, 4
	v_lshl_add_u64 v[22:23], v[22:23], 0, 4
	s_waitcnt vmcnt(0)
	v_cmp_neq_f32_e32 vcc, v24, v25
	s_and_b64 s[48:49], vcc, exec
	s_or_b64 s[44:45], s[44:45], s[48:49]
.LBB945_76:                             ;   in Loop: Header=BB945_77 Depth=1
	s_and_b64 s[48:49], exec, s[44:45]
	s_or_b64 s[42:43], s[48:49], s[42:43]
	v_mov_b64_e32 v[24:25], s[46:47]
	s_andn2_b64 exec, exec, s[42:43]
	s_cbranch_execz .LBB945_79
.LBB945_77:                             ; =>This Inner Loop Header: Depth=1
	s_or_b64 s[44:45], s[44:45], exec
	s_cmp_eq_u64 s[40:41], s[46:47]
	s_cbranch_scc0 .LBB945_75
; %bb.78:                               ;   in Loop: Header=BB945_77 Depth=1
                                        ; implicit-def: $vgpr20_vgpr21
                                        ; implicit-def: $vgpr22_vgpr23
	s_mov_b64 s[46:47], s[26:27]
	s_branch .LBB945_76
.LBB945_79:
	s_or_b64 exec, exec, s[42:43]
	v_cmp_gt_i64_e32 vcc, s[26:27], v[24:25]
	s_orn2_b64 s[40:41], vcc, exec
.LBB945_80:
	s_or_b64 exec, exec, s[38:39]
.LBB945_81:
	s_waitcnt vmcnt(0)
	v_mov_b64_e32 v[20:21], v[16:17]
	s_waitcnt lgkmcnt(0)
	s_barrier
	s_and_saveexec_b64 s[38:39], s[2:3]
	s_cbranch_execz .LBB945_83
; %bb.82:
	v_add_u32_e32 v20, -8, v33
	ds_read_b64 v[20:21], v20
.LBB945_83:
	s_or_b64 exec, exec, s[38:39]
	v_cndmask_b32_e64 v23, 0, 1, s[14:15]
	v_cndmask_b32_e64 v22, 0, 1, s[12:13]
	;; [unrolled: 1-line block ×3, first 2 shown]
	v_lshlrev_b16_e32 v23, 8, v23
	v_lshlrev_b16_e32 v24, 8, v24
	v_or_b32_sdwa v36, v22, v23 dst_sel:WORD_1 dst_unused:UNUSED_PAD src0_sel:DWORD src1_sel:DWORD
	s_mov_b64 s[14:15], 0
	s_and_b64 vcc, exec, s[4:5]
	s_mov_b64 s[12:13], 0
	s_cbranch_vccnz .LBB945_92
; %bb.84:
	s_waitcnt lgkmcnt(0)
	v_mul_lo_u32 v22, v21, s26
	v_mul_lo_u32 v23, v20, s27
	v_mad_u64_u32 v[20:21], s[12:13], v20, s26, 0
	v_add3_u32 v21, v21, v23, v22
	v_lshl_add_u64 v[20:21], v[20:21], 2, s[28:29]
	global_load_dword v22, v[20:21], off
	global_load_dword v23, v[18:19], off
	s_mov_b64 s[12:13], -1
	s_waitcnt vmcnt(0)
	v_cmp_eq_f32_e32 vcc, v22, v23
	s_and_saveexec_b64 s[38:39], vcc
	s_cbranch_execz .LBB945_91
; %bb.85:
	s_add_u32 s12, s26, -1
	v_lshl_add_u64 v[18:19], v[18:19], 0, 4
	v_lshl_add_u64 v[20:21], v[20:21], 0, 4
	s_addc_u32 s13, s27, -1
	s_mov_b64 s[40:41], 0
	s_mov_b64 s[44:45], 0
                                        ; implicit-def: $sgpr42_sgpr43
	s_branch .LBB945_88
.LBB945_86:                             ;   in Loop: Header=BB945_88 Depth=1
	global_load_dword v22, v[20:21], off
	global_load_dword v23, v[18:19], off
	s_add_u32 s44, s44, 1
	s_addc_u32 s45, s45, 0
	s_andn2_b64 s[42:43], s[42:43], exec
	v_lshl_add_u64 v[18:19], v[18:19], 0, 4
	v_lshl_add_u64 v[20:21], v[20:21], 0, 4
	s_waitcnt vmcnt(0)
	v_cmp_neq_f32_e32 vcc, v22, v23
	s_and_b64 s[46:47], vcc, exec
	s_or_b64 s[42:43], s[42:43], s[46:47]
.LBB945_87:                             ;   in Loop: Header=BB945_88 Depth=1
	s_and_b64 s[46:47], exec, s[42:43]
	s_or_b64 s[40:41], s[46:47], s[40:41]
	v_mov_b64_e32 v[22:23], s[44:45]
	s_andn2_b64 exec, exec, s[40:41]
	s_cbranch_execz .LBB945_90
.LBB945_88:                             ; =>This Inner Loop Header: Depth=1
	s_or_b64 s[42:43], s[42:43], exec
	s_cmp_eq_u64 s[12:13], s[44:45]
	s_cbranch_scc0 .LBB945_86
; %bb.89:                               ;   in Loop: Header=BB945_88 Depth=1
                                        ; implicit-def: $vgpr18_vgpr19
                                        ; implicit-def: $vgpr20_vgpr21
	s_mov_b64 s[44:45], s[26:27]
	s_branch .LBB945_87
.LBB945_90:
	s_or_b64 exec, exec, s[40:41]
	v_cmp_gt_i64_e32 vcc, s[26:27], v[22:23]
	s_orn2_b64 s[12:13], vcc, exec
.LBB945_91:
	s_or_b64 exec, exec, s[38:39]
.LBB945_92:
	v_cndmask_b32_e64 v25, 0, 1, s[8:9]
	v_cndmask_b32_e64 v34, 0, 1, s[10:11]
	;; [unrolled: 1-line block ×3, first 2 shown]
	s_waitcnt lgkmcnt(0)
	v_or_b32_e32 v20, v24, v36
	s_and_b64 vcc, exec, s[14:15]
	s_cbranch_vccz .LBB945_173
.LBB945_93:
	v_cmp_gt_u32_e32 vcc, s52, v29
	s_mov_b64 s[8:9], 0
	s_mov_b64 s[6:7], 0
	s_and_saveexec_b64 s[10:11], vcc
	s_cbranch_execz .LBB945_104
; %bb.94:
	s_and_b64 vcc, exec, s[4:5]
	s_mov_b64 s[12:13], 0
	s_cbranch_vccnz .LBB945_103
; %bb.95:
	v_mul_lo_u32 v20, v5, s26
	v_mul_lo_u32 v21, v4, s27
	v_mad_u64_u32 v[18:19], s[6:7], v4, s26, 0
	v_add3_u32 v19, v19, v21, v20
	v_mul_lo_u32 v20, v15, s26
	v_mul_lo_u32 v21, v14, s27
	v_mad_u64_u32 v[22:23], s[6:7], v14, s26, 0
	v_add3_u32 v23, v23, v21, v20
	v_lshl_add_u64 v[20:21], v[18:19], 2, s[28:29]
	v_lshl_add_u64 v[18:19], v[22:23], 2, s[28:29]
	global_load_dword v22, v[20:21], off
	global_load_dword v23, v[18:19], off
	s_mov_b64 s[12:13], -1
	s_waitcnt vmcnt(0)
	v_cmp_eq_f32_e32 vcc, v22, v23
	s_and_saveexec_b64 s[6:7], vcc
	s_cbranch_execz .LBB945_102
; %bb.96:
	s_add_u32 s12, s26, -1
	v_lshl_add_u64 v[18:19], v[18:19], 0, 4
	v_lshl_add_u64 v[20:21], v[20:21], 0, 4
	s_addc_u32 s13, s27, -1
	s_mov_b64 s[14:15], 0
	s_mov_b64 s[40:41], 0
                                        ; implicit-def: $sgpr38_sgpr39
	s_branch .LBB945_99
.LBB945_97:                             ;   in Loop: Header=BB945_99 Depth=1
	global_load_dword v22, v[20:21], off
	global_load_dword v23, v[18:19], off
	s_add_u32 s40, s40, 1
	s_addc_u32 s41, s41, 0
	s_andn2_b64 s[38:39], s[38:39], exec
	v_lshl_add_u64 v[18:19], v[18:19], 0, 4
	v_lshl_add_u64 v[20:21], v[20:21], 0, 4
	s_waitcnt vmcnt(0)
	v_cmp_neq_f32_e32 vcc, v22, v23
	s_and_b64 s[42:43], vcc, exec
	s_or_b64 s[38:39], s[38:39], s[42:43]
.LBB945_98:                             ;   in Loop: Header=BB945_99 Depth=1
	s_and_b64 s[42:43], exec, s[38:39]
	s_or_b64 s[14:15], s[42:43], s[14:15]
	v_mov_b64_e32 v[22:23], s[40:41]
	s_andn2_b64 exec, exec, s[14:15]
	s_cbranch_execz .LBB945_101
.LBB945_99:                             ; =>This Inner Loop Header: Depth=1
	s_or_b64 s[38:39], s[38:39], exec
	s_cmp_eq_u64 s[12:13], s[40:41]
	s_cbranch_scc0 .LBB945_97
; %bb.100:                              ;   in Loop: Header=BB945_99 Depth=1
                                        ; implicit-def: $vgpr18_vgpr19
                                        ; implicit-def: $vgpr20_vgpr21
	s_mov_b64 s[40:41], s[26:27]
	s_branch .LBB945_98
.LBB945_101:
	s_or_b64 exec, exec, s[14:15]
	v_cmp_gt_i64_e32 vcc, s[26:27], v[22:23]
	s_orn2_b64 s[12:13], vcc, exec
.LBB945_102:
	s_or_b64 exec, exec, s[6:7]
.LBB945_103:
	s_and_b64 s[6:7], s[12:13], exec
.LBB945_104:
	s_or_b64 exec, exec, s[10:11]
	v_cmp_gt_u32_e32 vcc, s52, v31
	s_and_saveexec_b64 s[10:11], vcc
	s_cbranch_execz .LBB945_115
; %bb.105:
	s_and_b64 vcc, exec, s[4:5]
	s_mov_b64 s[12:13], 0
	s_cbranch_vccnz .LBB945_114
; %bb.106:
	v_mul_lo_u32 v20, v3, s26
	v_mul_lo_u32 v21, v2, s27
	v_mad_u64_u32 v[18:19], s[8:9], v2, s26, 0
	v_add3_u32 v19, v19, v21, v20
	v_mul_lo_u32 v20, v5, s26
	v_mul_lo_u32 v21, v4, s27
	v_mad_u64_u32 v[22:23], s[8:9], v4, s26, 0
	v_add3_u32 v23, v23, v21, v20
	v_lshl_add_u64 v[20:21], v[18:19], 2, s[28:29]
	v_lshl_add_u64 v[18:19], v[22:23], 2, s[28:29]
	global_load_dword v22, v[20:21], off
	global_load_dword v23, v[18:19], off
	s_mov_b64 s[12:13], -1
	s_waitcnt vmcnt(0)
	v_cmp_eq_f32_e32 vcc, v22, v23
	s_and_saveexec_b64 s[8:9], vcc
	s_cbranch_execz .LBB945_113
; %bb.107:
	s_add_u32 s12, s26, -1
	v_lshl_add_u64 v[18:19], v[18:19], 0, 4
	v_lshl_add_u64 v[20:21], v[20:21], 0, 4
	s_addc_u32 s13, s27, -1
	s_mov_b64 s[14:15], 0
	s_mov_b64 s[40:41], 0
                                        ; implicit-def: $sgpr38_sgpr39
	s_branch .LBB945_110
.LBB945_108:                            ;   in Loop: Header=BB945_110 Depth=1
	global_load_dword v22, v[20:21], off
	global_load_dword v23, v[18:19], off
	s_add_u32 s40, s40, 1
	s_addc_u32 s41, s41, 0
	s_andn2_b64 s[38:39], s[38:39], exec
	v_lshl_add_u64 v[18:19], v[18:19], 0, 4
	v_lshl_add_u64 v[20:21], v[20:21], 0, 4
	s_waitcnt vmcnt(0)
	v_cmp_neq_f32_e32 vcc, v22, v23
	s_and_b64 s[42:43], vcc, exec
	s_or_b64 s[38:39], s[38:39], s[42:43]
.LBB945_109:                            ;   in Loop: Header=BB945_110 Depth=1
	s_and_b64 s[42:43], exec, s[38:39]
	s_or_b64 s[14:15], s[42:43], s[14:15]
	v_mov_b64_e32 v[22:23], s[40:41]
	s_andn2_b64 exec, exec, s[14:15]
	s_cbranch_execz .LBB945_112
.LBB945_110:                            ; =>This Inner Loop Header: Depth=1
	s_or_b64 s[38:39], s[38:39], exec
	s_cmp_eq_u64 s[12:13], s[40:41]
	s_cbranch_scc0 .LBB945_108
; %bb.111:                              ;   in Loop: Header=BB945_110 Depth=1
                                        ; implicit-def: $vgpr18_vgpr19
                                        ; implicit-def: $vgpr20_vgpr21
	s_mov_b64 s[40:41], s[26:27]
	s_branch .LBB945_109
.LBB945_112:
	s_or_b64 exec, exec, s[14:15]
	v_cmp_gt_i64_e32 vcc, s[26:27], v[22:23]
	s_orn2_b64 s[12:13], vcc, exec
.LBB945_113:
	s_or_b64 exec, exec, s[8:9]
.LBB945_114:
	s_and_b64 s[8:9], s[12:13], exec
.LBB945_115:
	s_or_b64 exec, exec, s[10:11]
	v_cmp_gt_u32_e32 vcc, s52, v28
	s_mov_b64 s[12:13], 0
	s_mov_b64 s[10:11], 0
	s_and_saveexec_b64 s[14:15], vcc
	s_cbranch_execz .LBB945_126
; %bb.116:
	s_and_b64 vcc, exec, s[4:5]
	s_mov_b64 s[38:39], 0
	s_cbranch_vccnz .LBB945_125
; %bb.117:
	v_mul_lo_u32 v20, v9, s26
	v_mul_lo_u32 v21, v8, s27
	v_mad_u64_u32 v[18:19], s[10:11], v8, s26, 0
	v_add3_u32 v19, v19, v21, v20
	v_mul_lo_u32 v20, v3, s26
	v_mul_lo_u32 v21, v2, s27
	v_mad_u64_u32 v[22:23], s[10:11], v2, s26, 0
	v_add3_u32 v23, v23, v21, v20
	v_lshl_add_u64 v[20:21], v[18:19], 2, s[28:29]
	v_lshl_add_u64 v[18:19], v[22:23], 2, s[28:29]
	global_load_dword v22, v[20:21], off
	global_load_dword v23, v[18:19], off
	s_mov_b64 s[38:39], -1
	s_waitcnt vmcnt(0)
	v_cmp_eq_f32_e32 vcc, v22, v23
	s_and_saveexec_b64 s[10:11], vcc
	s_cbranch_execz .LBB945_124
; %bb.118:
	s_add_u32 s38, s26, -1
	v_lshl_add_u64 v[18:19], v[18:19], 0, 4
	v_lshl_add_u64 v[20:21], v[20:21], 0, 4
	s_addc_u32 s39, s27, -1
	s_mov_b64 s[40:41], 0
	s_mov_b64 s[44:45], 0
                                        ; implicit-def: $sgpr42_sgpr43
	s_branch .LBB945_121
.LBB945_119:                            ;   in Loop: Header=BB945_121 Depth=1
	global_load_dword v22, v[20:21], off
	global_load_dword v23, v[18:19], off
	s_add_u32 s44, s44, 1
	s_addc_u32 s45, s45, 0
	s_andn2_b64 s[42:43], s[42:43], exec
	v_lshl_add_u64 v[18:19], v[18:19], 0, 4
	v_lshl_add_u64 v[20:21], v[20:21], 0, 4
	s_waitcnt vmcnt(0)
	v_cmp_neq_f32_e32 vcc, v22, v23
	s_and_b64 s[46:47], vcc, exec
	s_or_b64 s[42:43], s[42:43], s[46:47]
.LBB945_120:                            ;   in Loop: Header=BB945_121 Depth=1
	s_and_b64 s[46:47], exec, s[42:43]
	s_or_b64 s[40:41], s[46:47], s[40:41]
	v_mov_b64_e32 v[22:23], s[44:45]
	s_andn2_b64 exec, exec, s[40:41]
	s_cbranch_execz .LBB945_123
.LBB945_121:                            ; =>This Inner Loop Header: Depth=1
	s_or_b64 s[42:43], s[42:43], exec
	s_cmp_eq_u64 s[38:39], s[44:45]
	s_cbranch_scc0 .LBB945_119
; %bb.122:                              ;   in Loop: Header=BB945_121 Depth=1
                                        ; implicit-def: $vgpr18_vgpr19
                                        ; implicit-def: $vgpr20_vgpr21
	s_mov_b64 s[44:45], s[26:27]
	s_branch .LBB945_120
.LBB945_123:
	s_or_b64 exec, exec, s[40:41]
	v_cmp_gt_i64_e32 vcc, s[26:27], v[22:23]
	s_orn2_b64 s[38:39], vcc, exec
.LBB945_124:
	s_or_b64 exec, exec, s[10:11]
.LBB945_125:
	s_and_b64 s[10:11], s[38:39], exec
.LBB945_126:
	s_or_b64 exec, exec, s[14:15]
	v_cmp_gt_u32_e32 vcc, s52, v30
	s_and_saveexec_b64 s[14:15], vcc
	s_cbranch_execz .LBB945_137
; %bb.127:
	s_and_b64 vcc, exec, s[4:5]
	s_mov_b64 s[38:39], 0
	s_cbranch_vccnz .LBB945_136
; %bb.128:
	v_mul_lo_u32 v20, v7, s26
	v_mul_lo_u32 v21, v6, s27
	v_mad_u64_u32 v[18:19], s[12:13], v6, s26, 0
	v_add3_u32 v19, v19, v21, v20
	v_mul_lo_u32 v20, v9, s26
	v_mul_lo_u32 v21, v8, s27
	v_mad_u64_u32 v[22:23], s[12:13], v8, s26, 0
	v_add3_u32 v23, v23, v21, v20
	v_lshl_add_u64 v[20:21], v[18:19], 2, s[28:29]
	v_lshl_add_u64 v[18:19], v[22:23], 2, s[28:29]
	global_load_dword v22, v[20:21], off
	global_load_dword v23, v[18:19], off
	s_mov_b64 s[38:39], -1
	s_waitcnt vmcnt(0)
	v_cmp_eq_f32_e32 vcc, v22, v23
	s_and_saveexec_b64 s[12:13], vcc
	s_cbranch_execz .LBB945_135
; %bb.129:
	s_add_u32 s38, s26, -1
	v_lshl_add_u64 v[18:19], v[18:19], 0, 4
	v_lshl_add_u64 v[20:21], v[20:21], 0, 4
	s_addc_u32 s39, s27, -1
	s_mov_b64 s[40:41], 0
	s_mov_b64 s[44:45], 0
                                        ; implicit-def: $sgpr42_sgpr43
	s_branch .LBB945_132
.LBB945_130:                            ;   in Loop: Header=BB945_132 Depth=1
	global_load_dword v22, v[20:21], off
	global_load_dword v23, v[18:19], off
	s_add_u32 s44, s44, 1
	s_addc_u32 s45, s45, 0
	s_andn2_b64 s[42:43], s[42:43], exec
	v_lshl_add_u64 v[18:19], v[18:19], 0, 4
	v_lshl_add_u64 v[20:21], v[20:21], 0, 4
	s_waitcnt vmcnt(0)
	v_cmp_neq_f32_e32 vcc, v22, v23
	s_and_b64 s[46:47], vcc, exec
	s_or_b64 s[42:43], s[42:43], s[46:47]
.LBB945_131:                            ;   in Loop: Header=BB945_132 Depth=1
	s_and_b64 s[46:47], exec, s[42:43]
	s_or_b64 s[40:41], s[46:47], s[40:41]
	v_mov_b64_e32 v[22:23], s[44:45]
	s_andn2_b64 exec, exec, s[40:41]
	s_cbranch_execz .LBB945_134
.LBB945_132:                            ; =>This Inner Loop Header: Depth=1
	s_or_b64 s[42:43], s[42:43], exec
	s_cmp_eq_u64 s[38:39], s[44:45]
	s_cbranch_scc0 .LBB945_130
; %bb.133:                              ;   in Loop: Header=BB945_132 Depth=1
                                        ; implicit-def: $vgpr18_vgpr19
                                        ; implicit-def: $vgpr20_vgpr21
	s_mov_b64 s[44:45], s[26:27]
	s_branch .LBB945_131
.LBB945_134:
	s_or_b64 exec, exec, s[40:41]
	v_cmp_gt_i64_e32 vcc, s[26:27], v[22:23]
	s_orn2_b64 s[38:39], vcc, exec
.LBB945_135:
	s_or_b64 exec, exec, s[12:13]
.LBB945_136:
	s_and_b64 s[12:13], s[38:39], exec
.LBB945_137:
	s_or_b64 exec, exec, s[14:15]
	v_cmp_gt_u32_e32 vcc, s52, v26
	s_mov_b64 s[14:15], 0
	s_mov_b64 s[38:39], 0
	s_and_saveexec_b64 s[40:41], vcc
	s_cbranch_execz .LBB945_148
; %bb.138:
	s_and_b64 vcc, exec, s[4:5]
	s_mov_b64 s[42:43], 0
	s_cbranch_vccnz .LBB945_147
; %bb.139:
	v_mul_lo_u32 v20, v13, s26
	v_mul_lo_u32 v21, v12, s27
	v_mad_u64_u32 v[18:19], s[38:39], v12, s26, 0
	v_add3_u32 v19, v19, v21, v20
	v_mul_lo_u32 v20, v7, s26
	v_mul_lo_u32 v21, v6, s27
	v_mad_u64_u32 v[22:23], s[38:39], v6, s26, 0
	v_add3_u32 v23, v23, v21, v20
	v_lshl_add_u64 v[20:21], v[18:19], 2, s[28:29]
	v_lshl_add_u64 v[18:19], v[22:23], 2, s[28:29]
	global_load_dword v22, v[20:21], off
	global_load_dword v23, v[18:19], off
	s_mov_b64 s[42:43], -1
	s_waitcnt vmcnt(0)
	v_cmp_eq_f32_e32 vcc, v22, v23
	s_and_saveexec_b64 s[38:39], vcc
	s_cbranch_execz .LBB945_146
; %bb.140:
	s_add_u32 s42, s26, -1
	v_lshl_add_u64 v[18:19], v[18:19], 0, 4
	v_lshl_add_u64 v[20:21], v[20:21], 0, 4
	s_addc_u32 s43, s27, -1
	s_mov_b64 s[44:45], 0
	s_mov_b64 s[48:49], 0
                                        ; implicit-def: $sgpr46_sgpr47
	s_branch .LBB945_143
.LBB945_141:                            ;   in Loop: Header=BB945_143 Depth=1
	global_load_dword v22, v[20:21], off
	global_load_dword v23, v[18:19], off
	s_add_u32 s48, s48, 1
	s_addc_u32 s49, s49, 0
	s_andn2_b64 s[46:47], s[46:47], exec
	v_lshl_add_u64 v[18:19], v[18:19], 0, 4
	v_lshl_add_u64 v[20:21], v[20:21], 0, 4
	s_waitcnt vmcnt(0)
	v_cmp_neq_f32_e32 vcc, v22, v23
	s_and_b64 s[50:51], vcc, exec
	s_or_b64 s[46:47], s[46:47], s[50:51]
.LBB945_142:                            ;   in Loop: Header=BB945_143 Depth=1
	s_and_b64 s[50:51], exec, s[46:47]
	s_or_b64 s[44:45], s[50:51], s[44:45]
	v_mov_b64_e32 v[22:23], s[48:49]
	s_andn2_b64 exec, exec, s[44:45]
	s_cbranch_execz .LBB945_145
.LBB945_143:                            ; =>This Inner Loop Header: Depth=1
	s_or_b64 s[46:47], s[46:47], exec
	s_cmp_eq_u64 s[42:43], s[48:49]
	s_cbranch_scc0 .LBB945_141
; %bb.144:                              ;   in Loop: Header=BB945_143 Depth=1
                                        ; implicit-def: $vgpr18_vgpr19
                                        ; implicit-def: $vgpr20_vgpr21
	s_mov_b64 s[48:49], s[26:27]
	s_branch .LBB945_142
.LBB945_145:
	s_or_b64 exec, exec, s[44:45]
	v_cmp_gt_i64_e32 vcc, s[26:27], v[22:23]
	s_orn2_b64 s[42:43], vcc, exec
.LBB945_146:
	s_or_b64 exec, exec, s[38:39]
.LBB945_147:
	s_and_b64 s[38:39], s[42:43], exec
.LBB945_148:
	s_or_b64 exec, exec, s[40:41]
	v_cmp_gt_u32_e32 vcc, s52, v27
	s_and_saveexec_b64 s[40:41], vcc
	s_cbranch_execz .LBB945_159
; %bb.149:
	s_and_b64 vcc, exec, s[4:5]
	s_mov_b64 s[42:43], 0
	s_cbranch_vccnz .LBB945_158
; %bb.150:
	v_mul_lo_u32 v20, v11, s26
	v_mul_lo_u32 v21, v10, s27
	v_mad_u64_u32 v[18:19], s[14:15], v10, s26, 0
	v_add3_u32 v19, v19, v21, v20
	v_mul_lo_u32 v20, v13, s26
	v_mul_lo_u32 v21, v12, s27
	v_mad_u64_u32 v[22:23], s[14:15], v12, s26, 0
	v_add3_u32 v23, v23, v21, v20
	v_lshl_add_u64 v[20:21], v[18:19], 2, s[28:29]
	v_lshl_add_u64 v[18:19], v[22:23], 2, s[28:29]
	global_load_dword v22, v[20:21], off
	global_load_dword v23, v[18:19], off
	s_mov_b64 s[42:43], -1
	s_waitcnt vmcnt(0)
	v_cmp_eq_f32_e32 vcc, v22, v23
	s_and_saveexec_b64 s[14:15], vcc
	s_cbranch_execz .LBB945_157
; %bb.151:
	s_add_u32 s42, s26, -1
	v_lshl_add_u64 v[18:19], v[18:19], 0, 4
	v_lshl_add_u64 v[20:21], v[20:21], 0, 4
	s_addc_u32 s43, s27, -1
	s_mov_b64 s[44:45], 0
	s_mov_b64 s[48:49], 0
                                        ; implicit-def: $sgpr46_sgpr47
	s_branch .LBB945_154
.LBB945_152:                            ;   in Loop: Header=BB945_154 Depth=1
	global_load_dword v22, v[20:21], off
	global_load_dword v23, v[18:19], off
	s_add_u32 s48, s48, 1
	s_addc_u32 s49, s49, 0
	s_andn2_b64 s[46:47], s[46:47], exec
	v_lshl_add_u64 v[18:19], v[18:19], 0, 4
	v_lshl_add_u64 v[20:21], v[20:21], 0, 4
	s_waitcnt vmcnt(0)
	v_cmp_neq_f32_e32 vcc, v22, v23
	s_and_b64 s[50:51], vcc, exec
	s_or_b64 s[46:47], s[46:47], s[50:51]
.LBB945_153:                            ;   in Loop: Header=BB945_154 Depth=1
	s_and_b64 s[50:51], exec, s[46:47]
	s_or_b64 s[44:45], s[50:51], s[44:45]
	v_mov_b64_e32 v[22:23], s[48:49]
	s_andn2_b64 exec, exec, s[44:45]
	s_cbranch_execz .LBB945_156
.LBB945_154:                            ; =>This Inner Loop Header: Depth=1
	s_or_b64 s[46:47], s[46:47], exec
	s_cmp_eq_u64 s[42:43], s[48:49]
	s_cbranch_scc0 .LBB945_152
; %bb.155:                              ;   in Loop: Header=BB945_154 Depth=1
                                        ; implicit-def: $vgpr18_vgpr19
                                        ; implicit-def: $vgpr20_vgpr21
	s_mov_b64 s[48:49], s[26:27]
	s_branch .LBB945_153
.LBB945_156:
	s_or_b64 exec, exec, s[44:45]
	v_cmp_gt_i64_e32 vcc, s[26:27], v[22:23]
	s_orn2_b64 s[42:43], vcc, exec
.LBB945_157:
	s_or_b64 exec, exec, s[14:15]
.LBB945_158:
	s_and_b64 s[14:15], s[42:43], exec
.LBB945_159:
	s_or_b64 exec, exec, s[40:41]
	s_waitcnt lgkmcnt(0)
	s_barrier
	s_and_saveexec_b64 s[40:41], s[2:3]
	s_cbranch_execz .LBB945_161
; %bb.160:
	s_waitcnt vmcnt(0)
	v_add_u32_e32 v16, -8, v33
	ds_read_b64 v[16:17], v16
.LBB945_161:
	s_or_b64 exec, exec, s[40:41]
	v_cndmask_b32_e64 v19, 0, 1, s[12:13]
	v_cndmask_b32_e64 v18, 0, 1, s[38:39]
	;; [unrolled: 1-line block ×3, first 2 shown]
	v_lshlrev_b16_e32 v19, 8, v19
	v_cmp_gt_u32_e32 vcc, s52, v1
	v_lshlrev_b16_e32 v22, 8, v20
	v_or_b32_sdwa v23, v18, v19 dst_sel:WORD_1 dst_unused:UNUSED_PAD src0_sel:DWORD src1_sel:DWORD
	s_mov_b64 s[12:13], 0
	s_and_saveexec_b64 s[14:15], vcc
	s_cbranch_execz .LBB945_172
; %bb.162:
	s_and_b64 vcc, exec, s[4:5]
	s_cbranch_vccnz .LBB945_171
; %bb.163:
	s_waitcnt vmcnt(0) lgkmcnt(0)
	v_mul_lo_u32 v18, v17, s26
	v_mul_lo_u32 v19, v16, s27
	v_mad_u64_u32 v[16:17], s[4:5], v16, s26, 0
	v_add3_u32 v17, v17, v19, v18
	v_mul_lo_u32 v18, v11, s26
	v_mul_lo_u32 v19, v10, s27
	v_mad_u64_u32 v[20:21], s[4:5], v10, s26, 0
	v_add3_u32 v21, v21, v19, v18
	v_lshl_add_u64 v[18:19], v[16:17], 2, s[28:29]
	v_lshl_add_u64 v[16:17], v[20:21], 2, s[28:29]
	global_load_dword v20, v[18:19], off
	global_load_dword v21, v[16:17], off
	s_mov_b64 s[12:13], -1
	s_waitcnt vmcnt(0)
	v_cmp_eq_f32_e32 vcc, v20, v21
	s_and_saveexec_b64 s[4:5], vcc
	s_cbranch_execz .LBB945_170
; %bb.164:
	s_add_u32 s12, s26, -1
	v_lshl_add_u64 v[16:17], v[16:17], 0, 4
	v_lshl_add_u64 v[18:19], v[18:19], 0, 4
	s_addc_u32 s13, s27, -1
	s_mov_b64 s[38:39], 0
	s_mov_b64 s[42:43], 0
                                        ; implicit-def: $sgpr40_sgpr41
	s_branch .LBB945_167
.LBB945_165:                            ;   in Loop: Header=BB945_167 Depth=1
	global_load_dword v20, v[18:19], off
	global_load_dword v21, v[16:17], off
	s_add_u32 s42, s42, 1
	s_addc_u32 s43, s43, 0
	s_andn2_b64 s[40:41], s[40:41], exec
	v_lshl_add_u64 v[16:17], v[16:17], 0, 4
	v_lshl_add_u64 v[18:19], v[18:19], 0, 4
	s_waitcnt vmcnt(0)
	v_cmp_neq_f32_e32 vcc, v20, v21
	s_and_b64 s[44:45], vcc, exec
	s_or_b64 s[40:41], s[40:41], s[44:45]
.LBB945_166:                            ;   in Loop: Header=BB945_167 Depth=1
	s_and_b64 s[44:45], exec, s[40:41]
	s_or_b64 s[38:39], s[44:45], s[38:39]
	v_mov_b64_e32 v[20:21], s[42:43]
	s_andn2_b64 exec, exec, s[38:39]
	s_cbranch_execz .LBB945_169
.LBB945_167:                            ; =>This Inner Loop Header: Depth=1
	s_or_b64 s[40:41], s[40:41], exec
	s_cmp_eq_u64 s[12:13], s[42:43]
	s_cbranch_scc0 .LBB945_165
; %bb.168:                              ;   in Loop: Header=BB945_167 Depth=1
                                        ; implicit-def: $vgpr16_vgpr17
                                        ; implicit-def: $vgpr18_vgpr19
	s_mov_b64 s[42:43], s[26:27]
	s_branch .LBB945_166
.LBB945_169:
	s_or_b64 exec, exec, s[38:39]
	v_cmp_gt_i64_e32 vcc, s[26:27], v[20:21]
	s_orn2_b64 s[12:13], vcc, exec
.LBB945_170:
	s_or_b64 exec, exec, s[4:5]
.LBB945_171:
	s_and_b64 s[12:13], s[12:13], exec
.LBB945_172:
	s_or_b64 exec, exec, s[14:15]
	v_cndmask_b32_e64 v25, 0, 1, s[10:11]
	v_cndmask_b32_e64 v34, 0, 1, s[8:9]
	;; [unrolled: 1-line block ×3, first 2 shown]
	v_or_b32_e32 v20, v22, v23
.LBB945_173:
	s_mov_b64 s[8:9], -1
	s_cbranch_execnz .LBB945_32
.LBB945_174:
	s_movk_i32 s4, 0xffd0
	v_mad_i32_i24 v24, v0, s4, v32
	s_mov_b64 s[10:11], 0
	v_cmp_gt_i64_e64 s[6:7], s[26:27], 0
	s_and_b64 vcc, exec, s[36:37]
	ds_write_b64 v24, v[14:15]
	s_cbranch_vccz .LBB945_182
; %bb.175:
	v_mul_lo_u32 v18, v5, s26
	v_mul_lo_u32 v19, v4, s27
	s_waitcnt vmcnt(0) lgkmcnt(1)
	v_mad_u64_u32 v[16:17], s[4:5], v4, s26, 0
	v_add3_u32 v17, v17, v19, v18
	v_cndmask_b32_e64 v18, 0, 1, s[6:7]
	v_cmp_ne_u32_e64 s[4:5], 1, v18
	s_andn2_b64 vcc, exec, s[6:7]
	v_lshl_add_u64 v[16:17], v[16:17], 2, s[28:29]
	s_cbranch_vccnz .LBB945_185
; %bb.176:
	v_mul_lo_u32 v20, v15, s26
	v_mul_lo_u32 v21, v14, s27
	v_mad_u64_u32 v[18:19], s[10:11], v14, s26, 0
	v_add3_u32 v19, v19, v21, v20
	v_lshl_add_u64 v[18:19], v[18:19], 2, s[28:29]
	global_load_dword v20, v[16:17], off
	global_load_dword v21, v[18:19], off
	s_mov_b64 s[10:11], -1
	s_waitcnt vmcnt(0)
	v_cmp_eq_f32_e32 vcc, v20, v21
	s_and_saveexec_b64 s[12:13], vcc
	s_cbranch_execz .LBB945_184
; %bb.177:
	s_add_u32 s10, s26, -1
	v_lshl_add_u64 v[18:19], v[18:19], 0, 4
	v_lshl_add_u64 v[20:21], v[16:17], 0, 4
	s_addc_u32 s11, s27, -1
	s_mov_b64 s[14:15], 0
	s_mov_b64 s[40:41], 0
                                        ; implicit-def: $sgpr38_sgpr39
	s_branch .LBB945_180
.LBB945_178:                            ;   in Loop: Header=BB945_180 Depth=1
	global_load_dword v22, v[20:21], off
	global_load_dword v23, v[18:19], off
	s_add_u32 s40, s40, 1
	s_addc_u32 s41, s41, 0
	s_andn2_b64 s[38:39], s[38:39], exec
	v_lshl_add_u64 v[18:19], v[18:19], 0, 4
	v_lshl_add_u64 v[20:21], v[20:21], 0, 4
	s_waitcnt vmcnt(0)
	v_cmp_neq_f32_e32 vcc, v22, v23
	s_and_b64 s[42:43], vcc, exec
	s_or_b64 s[38:39], s[38:39], s[42:43]
.LBB945_179:                            ;   in Loop: Header=BB945_180 Depth=1
	s_and_b64 s[42:43], exec, s[38:39]
	s_or_b64 s[14:15], s[42:43], s[14:15]
	v_mov_b64_e32 v[22:23], s[40:41]
	s_andn2_b64 exec, exec, s[14:15]
	s_cbranch_execz .LBB945_183
.LBB945_180:                            ; =>This Inner Loop Header: Depth=1
	s_or_b64 s[38:39], s[38:39], exec
	s_cmp_eq_u64 s[10:11], s[40:41]
	s_cbranch_scc0 .LBB945_178
; %bb.181:                              ;   in Loop: Header=BB945_180 Depth=1
                                        ; implicit-def: $vgpr18_vgpr19
                                        ; implicit-def: $vgpr20_vgpr21
	s_mov_b64 s[40:41], s[26:27]
	s_branch .LBB945_179
.LBB945_182:
                                        ; implicit-def: $sgpr12_sgpr13
                                        ; implicit-def: $vgpr35
                                        ; implicit-def: $vgpr34
                                        ; implicit-def: $vgpr25
                                        ; implicit-def: $vgpr20
                                        ; implicit-def: $vgpr16_vgpr17
	s_cbranch_execnz .LBB945_242
	s_branch .LBB945_322
.LBB945_183:
	s_or_b64 exec, exec, s[14:15]
	v_cmp_gt_i64_e32 vcc, s[26:27], v[22:23]
	s_orn2_b64 s[10:11], vcc, exec
.LBB945_184:
	s_or_b64 exec, exec, s[12:13]
.LBB945_185:
	v_mul_lo_u32 v20, v3, s26
	v_mul_lo_u32 v21, v2, s27
	v_mad_u64_u32 v[18:19], s[12:13], v2, s26, 0
	v_add3_u32 v19, v19, v21, v20
	s_mov_b64 s[12:13], 0
	s_and_b64 vcc, exec, s[4:5]
	v_lshl_add_u64 v[18:19], v[18:19], 2, s[28:29]
	s_mov_b64 s[14:15], 0
	s_cbranch_vccnz .LBB945_194
; %bb.186:
	global_load_dword v20, v[18:19], off
	global_load_dword v21, v[16:17], off
	s_mov_b64 s[14:15], -1
	s_waitcnt vmcnt(0)
	v_cmp_eq_f32_e32 vcc, v20, v21
	s_and_saveexec_b64 s[38:39], vcc
	s_cbranch_execz .LBB945_193
; %bb.187:
	s_add_u32 s14, s26, -1
	v_lshl_add_u64 v[16:17], v[16:17], 0, 4
	v_lshl_add_u64 v[20:21], v[18:19], 0, 4
	s_addc_u32 s15, s27, -1
	s_mov_b64 s[40:41], 0
	s_mov_b64 s[44:45], 0
                                        ; implicit-def: $sgpr42_sgpr43
	s_branch .LBB945_190
.LBB945_188:                            ;   in Loop: Header=BB945_190 Depth=1
	global_load_dword v22, v[20:21], off
	global_load_dword v23, v[16:17], off
	s_add_u32 s44, s44, 1
	s_addc_u32 s45, s45, 0
	s_andn2_b64 s[42:43], s[42:43], exec
	v_lshl_add_u64 v[16:17], v[16:17], 0, 4
	v_lshl_add_u64 v[20:21], v[20:21], 0, 4
	s_waitcnt vmcnt(0)
	v_cmp_neq_f32_e32 vcc, v22, v23
	s_and_b64 s[46:47], vcc, exec
	s_or_b64 s[42:43], s[42:43], s[46:47]
.LBB945_189:                            ;   in Loop: Header=BB945_190 Depth=1
	s_and_b64 s[46:47], exec, s[42:43]
	s_or_b64 s[40:41], s[46:47], s[40:41]
	v_mov_b64_e32 v[22:23], s[44:45]
	s_andn2_b64 exec, exec, s[40:41]
	s_cbranch_execz .LBB945_192
.LBB945_190:                            ; =>This Inner Loop Header: Depth=1
	s_or_b64 s[42:43], s[42:43], exec
	s_cmp_eq_u64 s[14:15], s[44:45]
	s_cbranch_scc0 .LBB945_188
; %bb.191:                              ;   in Loop: Header=BB945_190 Depth=1
                                        ; implicit-def: $vgpr16_vgpr17
                                        ; implicit-def: $vgpr20_vgpr21
	s_mov_b64 s[44:45], s[26:27]
	s_branch .LBB945_189
.LBB945_192:
	s_or_b64 exec, exec, s[40:41]
	v_cmp_gt_i64_e32 vcc, s[26:27], v[22:23]
	s_orn2_b64 s[14:15], vcc, exec
.LBB945_193:
	s_or_b64 exec, exec, s[38:39]
.LBB945_194:
	v_mul_lo_u32 v20, v9, s26
	v_mul_lo_u32 v21, v8, s27
	v_mad_u64_u32 v[16:17], s[38:39], v8, s26, 0
	v_add3_u32 v17, v17, v21, v20
	s_and_b64 vcc, exec, s[4:5]
	v_lshl_add_u64 v[16:17], v[16:17], 2, s[28:29]
	s_cbranch_vccnz .LBB945_203
; %bb.195:
	global_load_dword v20, v[16:17], off
	global_load_dword v21, v[18:19], off
	s_mov_b64 s[12:13], -1
	s_waitcnt vmcnt(0)
	v_cmp_eq_f32_e32 vcc, v20, v21
	s_and_saveexec_b64 s[38:39], vcc
	s_cbranch_execz .LBB945_202
; %bb.196:
	s_add_u32 s12, s26, -1
	v_lshl_add_u64 v[18:19], v[18:19], 0, 4
	v_lshl_add_u64 v[20:21], v[16:17], 0, 4
	s_addc_u32 s13, s27, -1
	s_mov_b64 s[40:41], 0
	s_mov_b64 s[44:45], 0
                                        ; implicit-def: $sgpr42_sgpr43
	s_branch .LBB945_199
.LBB945_197:                            ;   in Loop: Header=BB945_199 Depth=1
	global_load_dword v22, v[20:21], off
	global_load_dword v23, v[18:19], off
	s_add_u32 s44, s44, 1
	s_addc_u32 s45, s45, 0
	s_andn2_b64 s[42:43], s[42:43], exec
	v_lshl_add_u64 v[18:19], v[18:19], 0, 4
	v_lshl_add_u64 v[20:21], v[20:21], 0, 4
	s_waitcnt vmcnt(0)
	v_cmp_neq_f32_e32 vcc, v22, v23
	s_and_b64 s[46:47], vcc, exec
	s_or_b64 s[42:43], s[42:43], s[46:47]
.LBB945_198:                            ;   in Loop: Header=BB945_199 Depth=1
	s_and_b64 s[46:47], exec, s[42:43]
	s_or_b64 s[40:41], s[46:47], s[40:41]
	v_mov_b64_e32 v[22:23], s[44:45]
	s_andn2_b64 exec, exec, s[40:41]
	s_cbranch_execz .LBB945_201
.LBB945_199:                            ; =>This Inner Loop Header: Depth=1
	s_or_b64 s[42:43], s[42:43], exec
	s_cmp_eq_u64 s[12:13], s[44:45]
	s_cbranch_scc0 .LBB945_197
; %bb.200:                              ;   in Loop: Header=BB945_199 Depth=1
                                        ; implicit-def: $vgpr18_vgpr19
                                        ; implicit-def: $vgpr20_vgpr21
	s_mov_b64 s[44:45], s[26:27]
	s_branch .LBB945_198
.LBB945_201:
	s_or_b64 exec, exec, s[40:41]
	v_cmp_gt_i64_e32 vcc, s[26:27], v[22:23]
	s_orn2_b64 s[12:13], vcc, exec
.LBB945_202:
	s_or_b64 exec, exec, s[38:39]
.LBB945_203:
	v_mul_lo_u32 v20, v7, s26
	v_mul_lo_u32 v21, v6, s27
	v_mad_u64_u32 v[18:19], s[38:39], v6, s26, 0
	v_add3_u32 v19, v19, v21, v20
	s_mov_b64 s[38:39], 0
	s_and_b64 vcc, exec, s[4:5]
	v_lshl_add_u64 v[18:19], v[18:19], 2, s[28:29]
	s_mov_b64 s[40:41], 0
	s_cbranch_vccnz .LBB945_212
; %bb.204:
	global_load_dword v20, v[18:19], off
	global_load_dword v21, v[16:17], off
	s_mov_b64 s[40:41], -1
	s_waitcnt vmcnt(0)
	v_cmp_eq_f32_e32 vcc, v20, v21
	s_and_saveexec_b64 s[42:43], vcc
	s_cbranch_execz .LBB945_211
; %bb.205:
	s_add_u32 s40, s26, -1
	v_lshl_add_u64 v[16:17], v[16:17], 0, 4
	v_lshl_add_u64 v[20:21], v[18:19], 0, 4
	s_addc_u32 s41, s27, -1
	s_mov_b64 s[44:45], 0
	s_mov_b64 s[48:49], 0
                                        ; implicit-def: $sgpr46_sgpr47
	s_branch .LBB945_208
.LBB945_206:                            ;   in Loop: Header=BB945_208 Depth=1
	global_load_dword v22, v[20:21], off
	global_load_dword v23, v[16:17], off
	s_add_u32 s48, s48, 1
	s_addc_u32 s49, s49, 0
	s_andn2_b64 s[46:47], s[46:47], exec
	v_lshl_add_u64 v[16:17], v[16:17], 0, 4
	v_lshl_add_u64 v[20:21], v[20:21], 0, 4
	s_waitcnt vmcnt(0)
	v_cmp_neq_f32_e32 vcc, v22, v23
	s_and_b64 s[50:51], vcc, exec
	s_or_b64 s[46:47], s[46:47], s[50:51]
.LBB945_207:                            ;   in Loop: Header=BB945_208 Depth=1
	s_and_b64 s[50:51], exec, s[46:47]
	s_or_b64 s[44:45], s[50:51], s[44:45]
	v_mov_b64_e32 v[22:23], s[48:49]
	s_andn2_b64 exec, exec, s[44:45]
	s_cbranch_execz .LBB945_210
.LBB945_208:                            ; =>This Inner Loop Header: Depth=1
	s_or_b64 s[46:47], s[46:47], exec
	s_cmp_eq_u64 s[40:41], s[48:49]
	s_cbranch_scc0 .LBB945_206
; %bb.209:                              ;   in Loop: Header=BB945_208 Depth=1
                                        ; implicit-def: $vgpr16_vgpr17
                                        ; implicit-def: $vgpr20_vgpr21
	s_mov_b64 s[48:49], s[26:27]
	s_branch .LBB945_207
.LBB945_210:
	s_or_b64 exec, exec, s[44:45]
	v_cmp_gt_i64_e32 vcc, s[26:27], v[22:23]
	s_orn2_b64 s[40:41], vcc, exec
.LBB945_211:
	s_or_b64 exec, exec, s[42:43]
.LBB945_212:
	v_mul_lo_u32 v20, v13, s26
	v_mul_lo_u32 v21, v12, s27
	v_mad_u64_u32 v[16:17], s[42:43], v12, s26, 0
	v_add3_u32 v17, v17, v21, v20
	s_and_b64 vcc, exec, s[4:5]
	v_lshl_add_u64 v[16:17], v[16:17], 2, s[28:29]
	s_cbranch_vccnz .LBB945_221
; %bb.213:
	global_load_dword v20, v[16:17], off
	global_load_dword v21, v[18:19], off
	s_mov_b64 s[38:39], -1
	s_waitcnt vmcnt(0)
	v_cmp_eq_f32_e32 vcc, v20, v21
	s_and_saveexec_b64 s[42:43], vcc
	s_cbranch_execz .LBB945_220
; %bb.214:
	s_add_u32 s38, s26, -1
	v_lshl_add_u64 v[18:19], v[18:19], 0, 4
	v_lshl_add_u64 v[20:21], v[16:17], 0, 4
	s_addc_u32 s39, s27, -1
	s_mov_b64 s[44:45], 0
	s_mov_b64 s[48:49], 0
                                        ; implicit-def: $sgpr46_sgpr47
	s_branch .LBB945_217
.LBB945_215:                            ;   in Loop: Header=BB945_217 Depth=1
	global_load_dword v22, v[20:21], off
	global_load_dword v23, v[18:19], off
	s_add_u32 s48, s48, 1
	s_addc_u32 s49, s49, 0
	s_andn2_b64 s[46:47], s[46:47], exec
	v_lshl_add_u64 v[18:19], v[18:19], 0, 4
	v_lshl_add_u64 v[20:21], v[20:21], 0, 4
	s_waitcnt vmcnt(0)
	v_cmp_neq_f32_e32 vcc, v22, v23
	s_and_b64 s[50:51], vcc, exec
	s_or_b64 s[46:47], s[46:47], s[50:51]
.LBB945_216:                            ;   in Loop: Header=BB945_217 Depth=1
	s_and_b64 s[50:51], exec, s[46:47]
	s_or_b64 s[44:45], s[50:51], s[44:45]
	v_mov_b64_e32 v[22:23], s[48:49]
	s_andn2_b64 exec, exec, s[44:45]
	s_cbranch_execz .LBB945_219
.LBB945_217:                            ; =>This Inner Loop Header: Depth=1
	s_or_b64 s[46:47], s[46:47], exec
	s_cmp_eq_u64 s[38:39], s[48:49]
	s_cbranch_scc0 .LBB945_215
; %bb.218:                              ;   in Loop: Header=BB945_217 Depth=1
                                        ; implicit-def: $vgpr18_vgpr19
                                        ; implicit-def: $vgpr20_vgpr21
	s_mov_b64 s[48:49], s[26:27]
	s_branch .LBB945_216
.LBB945_219:
	s_or_b64 exec, exec, s[44:45]
	v_cmp_gt_i64_e32 vcc, s[26:27], v[22:23]
	s_orn2_b64 s[38:39], vcc, exec
.LBB945_220:
	s_or_b64 exec, exec, s[42:43]
.LBB945_221:
	v_mul_lo_u32 v20, v11, s26
	v_mul_lo_u32 v21, v10, s27
	v_mad_u64_u32 v[18:19], s[42:43], v10, s26, 0
	v_add3_u32 v19, v19, v21, v20
	s_and_b64 vcc, exec, s[4:5]
	s_mov_b64 s[44:45], 0
	s_cbranch_vccnz .LBB945_230
; %bb.222:
	v_lshl_add_u64 v[20:21], v[18:19], 2, s[28:29]
	global_load_dword v22, v[20:21], off
	global_load_dword v23, v[16:17], off
	s_mov_b64 s[44:45], -1
	s_waitcnt vmcnt(0)
	v_cmp_eq_f32_e32 vcc, v22, v23
	s_and_saveexec_b64 s[42:43], vcc
	s_cbranch_execz .LBB945_229
; %bb.223:
	s_add_u32 s44, s26, -1
	v_lshl_add_u64 v[16:17], v[16:17], 0, 4
	v_lshl_add_u64 v[20:21], v[20:21], 0, 4
	s_addc_u32 s45, s27, -1
	s_mov_b64 s[46:47], 0
	s_mov_b64 s[50:51], 0
                                        ; implicit-def: $sgpr48_sgpr49
	s_branch .LBB945_226
.LBB945_224:                            ;   in Loop: Header=BB945_226 Depth=1
	global_load_dword v22, v[20:21], off
	global_load_dword v23, v[16:17], off
	s_add_u32 s50, s50, 1
	s_addc_u32 s51, s51, 0
	s_andn2_b64 s[48:49], s[48:49], exec
	v_lshl_add_u64 v[16:17], v[16:17], 0, 4
	v_lshl_add_u64 v[20:21], v[20:21], 0, 4
	s_waitcnt vmcnt(0)
	v_cmp_neq_f32_e32 vcc, v22, v23
	s_and_b64 s[54:55], vcc, exec
	s_or_b64 s[48:49], s[48:49], s[54:55]
.LBB945_225:                            ;   in Loop: Header=BB945_226 Depth=1
	s_and_b64 s[54:55], exec, s[48:49]
	s_or_b64 s[46:47], s[54:55], s[46:47]
	v_mov_b64_e32 v[22:23], s[50:51]
	s_andn2_b64 exec, exec, s[46:47]
	s_cbranch_execz .LBB945_228
.LBB945_226:                            ; =>This Inner Loop Header: Depth=1
	s_or_b64 s[48:49], s[48:49], exec
	s_cmp_eq_u64 s[44:45], s[50:51]
	s_cbranch_scc0 .LBB945_224
; %bb.227:                              ;   in Loop: Header=BB945_226 Depth=1
                                        ; implicit-def: $vgpr16_vgpr17
                                        ; implicit-def: $vgpr20_vgpr21
	s_mov_b64 s[50:51], s[26:27]
	s_branch .LBB945_225
.LBB945_228:
	s_or_b64 exec, exec, s[46:47]
	v_cmp_gt_i64_e32 vcc, s[26:27], v[22:23]
	s_orn2_b64 s[44:45], vcc, exec
.LBB945_229:
	s_or_b64 exec, exec, s[42:43]
.LBB945_230:
	v_cndmask_b32_e64 v17, 0, 1, s[40:41]
	v_cndmask_b32_e64 v16, 0, 1, s[38:39]
	;; [unrolled: 1-line block ×3, first 2 shown]
	v_lshlrev_b16_e32 v17, 8, v17
	v_cndmask_b32_e64 v25, 0, 1, s[12:13]
	v_cndmask_b32_e64 v20, 0, 1, s[44:45]
	v_or_b32_sdwa v16, v16, v17 dst_sel:WORD_1 dst_unused:UNUSED_PAD src0_sel:DWORD src1_sel:DWORD
	v_lshlrev_b16_e32 v17, 8, v34
	v_lshlrev_b16_e32 v20, 8, v20
	v_or_b32_e32 v17, v25, v17
	v_or_b32_e32 v20, 1, v20
	v_and_b32_e32 v17, 0xffff, v17
	v_cndmask_b32_e64 v35, 0, 1, s[10:11]
	v_or_b32_sdwa v16, v20, v16 dst_sel:DWORD dst_unused:UNUSED_PAD src0_sel:WORD_0 src1_sel:DWORD
	v_lshl_or_b32 v17, v35, 16, v17
	s_waitcnt lgkmcnt(0)
	s_barrier
	s_waitcnt lgkmcnt(0)
                                        ; implicit-def: $sgpr12_sgpr13
                                        ; implicit-def: $vgpr20
	s_and_saveexec_b64 s[10:11], s[2:3]
	s_xor_b64 s[10:11], exec, s[10:11]
	s_cbranch_execz .LBB945_241
; %bb.231:
	s_mov_b32 s42, 0x3020104
	s_and_b64 vcc, exec, s[4:5]
	s_mov_b64 s[12:13], 0
	s_cbranch_vccnz .LBB945_240
; %bb.232:
	v_add_u32_e32 v17, -8, v24
	ds_read_b64 v[20:21], v17
	v_lshl_add_u64 v[18:19], v[18:19], 2, s[28:29]
	s_mov_b64 s[12:13], -1
	s_waitcnt lgkmcnt(0)
	v_mul_lo_u32 v17, v21, s26
	v_mul_lo_u32 v22, v20, s27
	v_mad_u64_u32 v[20:21], s[4:5], v20, s26, 0
	v_add3_u32 v21, v21, v22, v17
	v_lshl_add_u64 v[20:21], v[20:21], 2, s[28:29]
	global_load_dword v17, v[20:21], off
	global_load_dword v22, v[18:19], off
	s_waitcnt vmcnt(0)
	v_cmp_eq_f32_e32 vcc, v17, v22
	s_and_saveexec_b64 s[4:5], vcc
	s_cbranch_execz .LBB945_239
; %bb.233:
	s_add_u32 s12, s26, -1
	v_lshl_add_u64 v[18:19], v[18:19], 0, 4
	v_lshl_add_u64 v[20:21], v[20:21], 0, 4
	s_addc_u32 s13, s27, -1
	s_mov_b64 s[14:15], 0
	s_mov_b64 s[40:41], 0
                                        ; implicit-def: $sgpr38_sgpr39
	s_branch .LBB945_236
.LBB945_234:                            ;   in Loop: Header=BB945_236 Depth=1
	global_load_dword v17, v[20:21], off
	global_load_dword v22, v[18:19], off
	s_add_u32 s40, s40, 1
	s_addc_u32 s41, s41, 0
	s_andn2_b64 s[38:39], s[38:39], exec
	v_lshl_add_u64 v[18:19], v[18:19], 0, 4
	v_lshl_add_u64 v[20:21], v[20:21], 0, 4
	s_waitcnt vmcnt(0)
	v_cmp_neq_f32_e32 vcc, v17, v22
	s_and_b64 s[44:45], vcc, exec
	s_or_b64 s[38:39], s[38:39], s[44:45]
.LBB945_235:                            ;   in Loop: Header=BB945_236 Depth=1
	s_and_b64 s[44:45], exec, s[38:39]
	s_or_b64 s[14:15], s[44:45], s[14:15]
	v_mov_b64_e32 v[22:23], s[40:41]
	s_andn2_b64 exec, exec, s[14:15]
	s_cbranch_execz .LBB945_238
.LBB945_236:                            ; =>This Inner Loop Header: Depth=1
	s_or_b64 s[38:39], s[38:39], exec
	s_cmp_eq_u64 s[12:13], s[40:41]
	s_cbranch_scc0 .LBB945_234
; %bb.237:                              ;   in Loop: Header=BB945_236 Depth=1
                                        ; implicit-def: $vgpr18_vgpr19
                                        ; implicit-def: $vgpr20_vgpr21
	s_mov_b64 s[40:41], s[26:27]
	s_branch .LBB945_235
.LBB945_238:
	s_or_b64 exec, exec, s[14:15]
	v_cmp_gt_i64_e32 vcc, s[26:27], v[22:23]
	s_orn2_b64 s[12:13], vcc, exec
.LBB945_239:
	s_or_b64 exec, exec, s[4:5]
.LBB945_240:
	v_perm_b32 v20, v16, v16, s42
	s_and_b64 s[12:13], s[12:13], exec
	s_or_b64 s[8:9], s[8:9], exec
                                        ; implicit-def: $vgpr16_vgpr17
.LBB945_241:
	s_or_b64 exec, exec, s[10:11]
	s_branch .LBB945_322
.LBB945_242:
	v_cmp_gt_u32_e32 vcc, s52, v29
	s_mov_b64 s[10:11], 0
	s_mov_b64 s[4:5], 0
	s_and_saveexec_b64 s[12:13], vcc
	s_cbranch_execz .LBB945_253
; %bb.243:
	s_andn2_b64 vcc, exec, s[6:7]
	s_mov_b64 s[14:15], 0
	s_cbranch_vccnz .LBB945_252
; %bb.244:
	v_mul_lo_u32 v18, v5, s26
	v_mul_lo_u32 v19, v4, s27
	s_waitcnt vmcnt(0) lgkmcnt(1)
	v_mad_u64_u32 v[16:17], s[4:5], v4, s26, 0
	v_add3_u32 v17, v17, v19, v18
	v_mul_lo_u32 v18, v15, s26
	v_mul_lo_u32 v19, v14, s27
	v_mad_u64_u32 v[20:21], s[4:5], v14, s26, 0
	v_add3_u32 v21, v21, v19, v18
	v_lshl_add_u64 v[18:19], v[16:17], 2, s[28:29]
	v_lshl_add_u64 v[16:17], v[20:21], 2, s[28:29]
	global_load_dword v20, v[18:19], off
	global_load_dword v21, v[16:17], off
	s_mov_b64 s[14:15], -1
	s_waitcnt vmcnt(0)
	v_cmp_eq_f32_e32 vcc, v20, v21
	s_and_saveexec_b64 s[4:5], vcc
	s_cbranch_execz .LBB945_251
; %bb.245:
	s_add_u32 s14, s26, -1
	v_lshl_add_u64 v[16:17], v[16:17], 0, 4
	v_lshl_add_u64 v[18:19], v[18:19], 0, 4
	s_addc_u32 s15, s27, -1
	s_mov_b64 s[38:39], 0
	s_mov_b64 s[42:43], 0
                                        ; implicit-def: $sgpr40_sgpr41
	s_branch .LBB945_248
.LBB945_246:                            ;   in Loop: Header=BB945_248 Depth=1
	global_load_dword v20, v[18:19], off
	global_load_dword v21, v[16:17], off
	s_add_u32 s42, s42, 1
	s_addc_u32 s43, s43, 0
	s_andn2_b64 s[40:41], s[40:41], exec
	v_lshl_add_u64 v[16:17], v[16:17], 0, 4
	v_lshl_add_u64 v[18:19], v[18:19], 0, 4
	s_waitcnt vmcnt(0)
	v_cmp_neq_f32_e32 vcc, v20, v21
	s_and_b64 s[44:45], vcc, exec
	s_or_b64 s[40:41], s[40:41], s[44:45]
.LBB945_247:                            ;   in Loop: Header=BB945_248 Depth=1
	s_and_b64 s[44:45], exec, s[40:41]
	s_or_b64 s[38:39], s[44:45], s[38:39]
	v_mov_b64_e32 v[20:21], s[42:43]
	s_andn2_b64 exec, exec, s[38:39]
	s_cbranch_execz .LBB945_250
.LBB945_248:                            ; =>This Inner Loop Header: Depth=1
	s_or_b64 s[40:41], s[40:41], exec
	s_cmp_eq_u64 s[14:15], s[42:43]
	s_cbranch_scc0 .LBB945_246
; %bb.249:                              ;   in Loop: Header=BB945_248 Depth=1
                                        ; implicit-def: $vgpr16_vgpr17
                                        ; implicit-def: $vgpr18_vgpr19
	s_mov_b64 s[42:43], s[26:27]
	s_branch .LBB945_247
.LBB945_250:
	s_or_b64 exec, exec, s[38:39]
	v_cmp_gt_i64_e32 vcc, s[26:27], v[20:21]
	s_orn2_b64 s[14:15], vcc, exec
.LBB945_251:
	s_or_b64 exec, exec, s[4:5]
.LBB945_252:
	s_and_b64 s[4:5], s[14:15], exec
.LBB945_253:
	s_or_b64 exec, exec, s[12:13]
	v_cmp_gt_u32_e32 vcc, s52, v31
	s_and_saveexec_b64 s[12:13], vcc
	s_cbranch_execz .LBB945_264
; %bb.254:
	s_andn2_b64 vcc, exec, s[6:7]
	s_mov_b64 s[14:15], 0
	s_cbranch_vccnz .LBB945_263
; %bb.255:
	v_mul_lo_u32 v18, v3, s26
	v_mul_lo_u32 v19, v2, s27
	s_waitcnt vmcnt(0) lgkmcnt(1)
	v_mad_u64_u32 v[16:17], s[10:11], v2, s26, 0
	v_add3_u32 v17, v17, v19, v18
	v_mul_lo_u32 v18, v5, s26
	v_mul_lo_u32 v19, v4, s27
	v_mad_u64_u32 v[20:21], s[10:11], v4, s26, 0
	v_add3_u32 v21, v21, v19, v18
	v_lshl_add_u64 v[18:19], v[16:17], 2, s[28:29]
	v_lshl_add_u64 v[16:17], v[20:21], 2, s[28:29]
	global_load_dword v20, v[18:19], off
	global_load_dword v21, v[16:17], off
	s_mov_b64 s[14:15], -1
	s_waitcnt vmcnt(0)
	v_cmp_eq_f32_e32 vcc, v20, v21
	s_and_saveexec_b64 s[10:11], vcc
	s_cbranch_execz .LBB945_262
; %bb.256:
	s_add_u32 s14, s26, -1
	v_lshl_add_u64 v[16:17], v[16:17], 0, 4
	v_lshl_add_u64 v[18:19], v[18:19], 0, 4
	s_addc_u32 s15, s27, -1
	s_mov_b64 s[38:39], 0
	s_mov_b64 s[42:43], 0
                                        ; implicit-def: $sgpr40_sgpr41
	s_branch .LBB945_259
.LBB945_257:                            ;   in Loop: Header=BB945_259 Depth=1
	global_load_dword v20, v[18:19], off
	global_load_dword v21, v[16:17], off
	s_add_u32 s42, s42, 1
	s_addc_u32 s43, s43, 0
	s_andn2_b64 s[40:41], s[40:41], exec
	v_lshl_add_u64 v[16:17], v[16:17], 0, 4
	v_lshl_add_u64 v[18:19], v[18:19], 0, 4
	s_waitcnt vmcnt(0)
	v_cmp_neq_f32_e32 vcc, v20, v21
	s_and_b64 s[44:45], vcc, exec
	s_or_b64 s[40:41], s[40:41], s[44:45]
.LBB945_258:                            ;   in Loop: Header=BB945_259 Depth=1
	s_and_b64 s[44:45], exec, s[40:41]
	s_or_b64 s[38:39], s[44:45], s[38:39]
	v_mov_b64_e32 v[20:21], s[42:43]
	s_andn2_b64 exec, exec, s[38:39]
	s_cbranch_execz .LBB945_261
.LBB945_259:                            ; =>This Inner Loop Header: Depth=1
	s_or_b64 s[40:41], s[40:41], exec
	s_cmp_eq_u64 s[14:15], s[42:43]
	s_cbranch_scc0 .LBB945_257
; %bb.260:                              ;   in Loop: Header=BB945_259 Depth=1
                                        ; implicit-def: $vgpr16_vgpr17
                                        ; implicit-def: $vgpr18_vgpr19
	s_mov_b64 s[42:43], s[26:27]
	s_branch .LBB945_258
.LBB945_261:
	s_or_b64 exec, exec, s[38:39]
	v_cmp_gt_i64_e32 vcc, s[26:27], v[20:21]
	s_orn2_b64 s[14:15], vcc, exec
.LBB945_262:
	s_or_b64 exec, exec, s[10:11]
.LBB945_263:
	s_and_b64 s[10:11], s[14:15], exec
.LBB945_264:
	s_or_b64 exec, exec, s[12:13]
	v_cmp_gt_u32_e32 vcc, s52, v28
	s_mov_b64 s[14:15], 0
	s_mov_b64 s[12:13], 0
	s_and_saveexec_b64 s[38:39], vcc
	s_cbranch_execz .LBB945_275
; %bb.265:
	s_andn2_b64 vcc, exec, s[6:7]
	s_mov_b64 s[40:41], 0
	s_cbranch_vccnz .LBB945_274
; %bb.266:
	v_mul_lo_u32 v18, v9, s26
	v_mul_lo_u32 v19, v8, s27
	s_waitcnt vmcnt(0) lgkmcnt(1)
	v_mad_u64_u32 v[16:17], s[12:13], v8, s26, 0
	v_add3_u32 v17, v17, v19, v18
	v_mul_lo_u32 v18, v3, s26
	v_mul_lo_u32 v19, v2, s27
	v_mad_u64_u32 v[20:21], s[12:13], v2, s26, 0
	v_add3_u32 v21, v21, v19, v18
	v_lshl_add_u64 v[18:19], v[16:17], 2, s[28:29]
	v_lshl_add_u64 v[16:17], v[20:21], 2, s[28:29]
	global_load_dword v20, v[18:19], off
	global_load_dword v21, v[16:17], off
	s_mov_b64 s[40:41], -1
	s_waitcnt vmcnt(0)
	v_cmp_eq_f32_e32 vcc, v20, v21
	s_and_saveexec_b64 s[12:13], vcc
	s_cbranch_execz .LBB945_273
; %bb.267:
	s_add_u32 s40, s26, -1
	v_lshl_add_u64 v[16:17], v[16:17], 0, 4
	v_lshl_add_u64 v[18:19], v[18:19], 0, 4
	s_addc_u32 s41, s27, -1
	s_mov_b64 s[42:43], 0
	s_mov_b64 s[46:47], 0
                                        ; implicit-def: $sgpr44_sgpr45
	s_branch .LBB945_270
.LBB945_268:                            ;   in Loop: Header=BB945_270 Depth=1
	global_load_dword v20, v[18:19], off
	global_load_dword v21, v[16:17], off
	s_add_u32 s46, s46, 1
	s_addc_u32 s47, s47, 0
	s_andn2_b64 s[44:45], s[44:45], exec
	v_lshl_add_u64 v[16:17], v[16:17], 0, 4
	v_lshl_add_u64 v[18:19], v[18:19], 0, 4
	s_waitcnt vmcnt(0)
	v_cmp_neq_f32_e32 vcc, v20, v21
	s_and_b64 s[48:49], vcc, exec
	s_or_b64 s[44:45], s[44:45], s[48:49]
.LBB945_269:                            ;   in Loop: Header=BB945_270 Depth=1
	s_and_b64 s[48:49], exec, s[44:45]
	s_or_b64 s[42:43], s[48:49], s[42:43]
	v_mov_b64_e32 v[20:21], s[46:47]
	s_andn2_b64 exec, exec, s[42:43]
	s_cbranch_execz .LBB945_272
.LBB945_270:                            ; =>This Inner Loop Header: Depth=1
	s_or_b64 s[44:45], s[44:45], exec
	s_cmp_eq_u64 s[40:41], s[46:47]
	s_cbranch_scc0 .LBB945_268
; %bb.271:                              ;   in Loop: Header=BB945_270 Depth=1
                                        ; implicit-def: $vgpr16_vgpr17
                                        ; implicit-def: $vgpr18_vgpr19
	s_mov_b64 s[46:47], s[26:27]
	s_branch .LBB945_269
.LBB945_272:
	s_or_b64 exec, exec, s[42:43]
	v_cmp_gt_i64_e32 vcc, s[26:27], v[20:21]
	s_orn2_b64 s[40:41], vcc, exec
.LBB945_273:
	s_or_b64 exec, exec, s[12:13]
.LBB945_274:
	s_and_b64 s[12:13], s[40:41], exec
.LBB945_275:
	s_or_b64 exec, exec, s[38:39]
	v_cmp_gt_u32_e32 vcc, s52, v30
	s_and_saveexec_b64 s[38:39], vcc
	s_cbranch_execz .LBB945_286
; %bb.276:
	s_andn2_b64 vcc, exec, s[6:7]
	s_mov_b64 s[40:41], 0
	s_cbranch_vccnz .LBB945_285
; %bb.277:
	v_mul_lo_u32 v18, v7, s26
	v_mul_lo_u32 v19, v6, s27
	s_waitcnt vmcnt(0) lgkmcnt(1)
	v_mad_u64_u32 v[16:17], s[14:15], v6, s26, 0
	v_add3_u32 v17, v17, v19, v18
	v_mul_lo_u32 v18, v9, s26
	v_mul_lo_u32 v19, v8, s27
	v_mad_u64_u32 v[20:21], s[14:15], v8, s26, 0
	v_add3_u32 v21, v21, v19, v18
	v_lshl_add_u64 v[18:19], v[16:17], 2, s[28:29]
	v_lshl_add_u64 v[16:17], v[20:21], 2, s[28:29]
	global_load_dword v20, v[18:19], off
	global_load_dword v21, v[16:17], off
	s_mov_b64 s[40:41], -1
	s_waitcnt vmcnt(0)
	v_cmp_eq_f32_e32 vcc, v20, v21
	s_and_saveexec_b64 s[14:15], vcc
	s_cbranch_execz .LBB945_284
; %bb.278:
	s_add_u32 s40, s26, -1
	v_lshl_add_u64 v[16:17], v[16:17], 0, 4
	v_lshl_add_u64 v[18:19], v[18:19], 0, 4
	s_addc_u32 s41, s27, -1
	s_mov_b64 s[42:43], 0
	s_mov_b64 s[46:47], 0
                                        ; implicit-def: $sgpr44_sgpr45
	s_branch .LBB945_281
.LBB945_279:                            ;   in Loop: Header=BB945_281 Depth=1
	global_load_dword v20, v[18:19], off
	global_load_dword v21, v[16:17], off
	s_add_u32 s46, s46, 1
	s_addc_u32 s47, s47, 0
	s_andn2_b64 s[44:45], s[44:45], exec
	v_lshl_add_u64 v[16:17], v[16:17], 0, 4
	v_lshl_add_u64 v[18:19], v[18:19], 0, 4
	s_waitcnt vmcnt(0)
	v_cmp_neq_f32_e32 vcc, v20, v21
	s_and_b64 s[48:49], vcc, exec
	s_or_b64 s[44:45], s[44:45], s[48:49]
.LBB945_280:                            ;   in Loop: Header=BB945_281 Depth=1
	s_and_b64 s[48:49], exec, s[44:45]
	s_or_b64 s[42:43], s[48:49], s[42:43]
	v_mov_b64_e32 v[20:21], s[46:47]
	s_andn2_b64 exec, exec, s[42:43]
	s_cbranch_execz .LBB945_283
.LBB945_281:                            ; =>This Inner Loop Header: Depth=1
	s_or_b64 s[44:45], s[44:45], exec
	s_cmp_eq_u64 s[40:41], s[46:47]
	s_cbranch_scc0 .LBB945_279
; %bb.282:                              ;   in Loop: Header=BB945_281 Depth=1
                                        ; implicit-def: $vgpr16_vgpr17
                                        ; implicit-def: $vgpr18_vgpr19
	s_mov_b64 s[46:47], s[26:27]
	s_branch .LBB945_280
.LBB945_283:
	s_or_b64 exec, exec, s[42:43]
	v_cmp_gt_i64_e32 vcc, s[26:27], v[20:21]
	s_orn2_b64 s[40:41], vcc, exec
.LBB945_284:
	s_or_b64 exec, exec, s[14:15]
.LBB945_285:
	s_and_b64 s[14:15], s[40:41], exec
.LBB945_286:
	s_or_b64 exec, exec, s[38:39]
	v_cmp_gt_u32_e32 vcc, s52, v26
	s_mov_b64 s[38:39], 0
	s_mov_b64 s[40:41], 0
	s_and_saveexec_b64 s[42:43], vcc
	s_cbranch_execz .LBB945_297
; %bb.287:
	s_andn2_b64 vcc, exec, s[6:7]
	s_mov_b64 s[44:45], 0
	s_cbranch_vccnz .LBB945_296
; %bb.288:
	v_mul_lo_u32 v18, v13, s26
	v_mul_lo_u32 v19, v12, s27
	s_waitcnt vmcnt(0) lgkmcnt(1)
	v_mad_u64_u32 v[16:17], s[40:41], v12, s26, 0
	v_add3_u32 v17, v17, v19, v18
	v_mul_lo_u32 v18, v7, s26
	v_mul_lo_u32 v19, v6, s27
	v_mad_u64_u32 v[20:21], s[40:41], v6, s26, 0
	v_add3_u32 v21, v21, v19, v18
	v_lshl_add_u64 v[18:19], v[16:17], 2, s[28:29]
	v_lshl_add_u64 v[16:17], v[20:21], 2, s[28:29]
	global_load_dword v20, v[18:19], off
	global_load_dword v21, v[16:17], off
	s_mov_b64 s[44:45], -1
	s_waitcnt vmcnt(0)
	v_cmp_eq_f32_e32 vcc, v20, v21
	s_and_saveexec_b64 s[40:41], vcc
	s_cbranch_execz .LBB945_295
; %bb.289:
	s_add_u32 s44, s26, -1
	v_lshl_add_u64 v[16:17], v[16:17], 0, 4
	v_lshl_add_u64 v[18:19], v[18:19], 0, 4
	s_addc_u32 s45, s27, -1
	s_mov_b64 s[46:47], 0
	s_mov_b64 s[50:51], 0
                                        ; implicit-def: $sgpr48_sgpr49
	s_branch .LBB945_292
.LBB945_290:                            ;   in Loop: Header=BB945_292 Depth=1
	global_load_dword v20, v[18:19], off
	global_load_dword v21, v[16:17], off
	s_add_u32 s50, s50, 1
	s_addc_u32 s51, s51, 0
	s_andn2_b64 s[48:49], s[48:49], exec
	v_lshl_add_u64 v[16:17], v[16:17], 0, 4
	v_lshl_add_u64 v[18:19], v[18:19], 0, 4
	s_waitcnt vmcnt(0)
	v_cmp_neq_f32_e32 vcc, v20, v21
	s_and_b64 s[54:55], vcc, exec
	s_or_b64 s[48:49], s[48:49], s[54:55]
.LBB945_291:                            ;   in Loop: Header=BB945_292 Depth=1
	s_and_b64 s[54:55], exec, s[48:49]
	s_or_b64 s[46:47], s[54:55], s[46:47]
	v_mov_b64_e32 v[20:21], s[50:51]
	s_andn2_b64 exec, exec, s[46:47]
	s_cbranch_execz .LBB945_294
.LBB945_292:                            ; =>This Inner Loop Header: Depth=1
	s_or_b64 s[48:49], s[48:49], exec
	s_cmp_eq_u64 s[44:45], s[50:51]
	s_cbranch_scc0 .LBB945_290
; %bb.293:                              ;   in Loop: Header=BB945_292 Depth=1
                                        ; implicit-def: $vgpr16_vgpr17
                                        ; implicit-def: $vgpr18_vgpr19
	s_mov_b64 s[50:51], s[26:27]
	s_branch .LBB945_291
.LBB945_294:
	s_or_b64 exec, exec, s[46:47]
	v_cmp_gt_i64_e32 vcc, s[26:27], v[20:21]
	s_orn2_b64 s[44:45], vcc, exec
.LBB945_295:
	s_or_b64 exec, exec, s[40:41]
.LBB945_296:
	s_and_b64 s[40:41], s[44:45], exec
.LBB945_297:
	s_or_b64 exec, exec, s[42:43]
	v_cmp_gt_u32_e32 vcc, s52, v27
	s_and_saveexec_b64 s[42:43], vcc
	s_cbranch_execz .LBB945_308
; %bb.298:
	s_andn2_b64 vcc, exec, s[6:7]
	s_mov_b64 s[44:45], 0
	s_cbranch_vccnz .LBB945_307
; %bb.299:
	v_mul_lo_u32 v18, v11, s26
	v_mul_lo_u32 v19, v10, s27
	s_waitcnt vmcnt(0) lgkmcnt(1)
	v_mad_u64_u32 v[16:17], s[38:39], v10, s26, 0
	v_add3_u32 v17, v17, v19, v18
	v_mul_lo_u32 v18, v13, s26
	v_mul_lo_u32 v19, v12, s27
	v_mad_u64_u32 v[20:21], s[38:39], v12, s26, 0
	v_add3_u32 v21, v21, v19, v18
	v_lshl_add_u64 v[18:19], v[16:17], 2, s[28:29]
	v_lshl_add_u64 v[16:17], v[20:21], 2, s[28:29]
	global_load_dword v20, v[18:19], off
	global_load_dword v21, v[16:17], off
	s_mov_b64 s[44:45], -1
	s_waitcnt vmcnt(0)
	v_cmp_eq_f32_e32 vcc, v20, v21
	s_and_saveexec_b64 s[38:39], vcc
	s_cbranch_execz .LBB945_306
; %bb.300:
	s_add_u32 s44, s26, -1
	v_lshl_add_u64 v[16:17], v[16:17], 0, 4
	v_lshl_add_u64 v[18:19], v[18:19], 0, 4
	s_addc_u32 s45, s27, -1
	s_mov_b64 s[46:47], 0
	s_mov_b64 s[50:51], 0
                                        ; implicit-def: $sgpr48_sgpr49
	s_branch .LBB945_303
.LBB945_301:                            ;   in Loop: Header=BB945_303 Depth=1
	global_load_dword v20, v[18:19], off
	global_load_dword v21, v[16:17], off
	s_add_u32 s50, s50, 1
	s_addc_u32 s51, s51, 0
	s_andn2_b64 s[48:49], s[48:49], exec
	v_lshl_add_u64 v[16:17], v[16:17], 0, 4
	v_lshl_add_u64 v[18:19], v[18:19], 0, 4
	s_waitcnt vmcnt(0)
	v_cmp_neq_f32_e32 vcc, v20, v21
	s_and_b64 s[54:55], vcc, exec
	s_or_b64 s[48:49], s[48:49], s[54:55]
.LBB945_302:                            ;   in Loop: Header=BB945_303 Depth=1
	s_and_b64 s[54:55], exec, s[48:49]
	s_or_b64 s[46:47], s[54:55], s[46:47]
	v_mov_b64_e32 v[20:21], s[50:51]
	s_andn2_b64 exec, exec, s[46:47]
	s_cbranch_execz .LBB945_305
.LBB945_303:                            ; =>This Inner Loop Header: Depth=1
	s_or_b64 s[48:49], s[48:49], exec
	s_cmp_eq_u64 s[44:45], s[50:51]
	s_cbranch_scc0 .LBB945_301
; %bb.304:                              ;   in Loop: Header=BB945_303 Depth=1
                                        ; implicit-def: $vgpr16_vgpr17
                                        ; implicit-def: $vgpr18_vgpr19
	s_mov_b64 s[50:51], s[26:27]
	s_branch .LBB945_302
.LBB945_305:
	s_or_b64 exec, exec, s[46:47]
	v_cmp_gt_i64_e32 vcc, s[26:27], v[20:21]
	s_orn2_b64 s[44:45], vcc, exec
.LBB945_306:
	s_or_b64 exec, exec, s[38:39]
.LBB945_307:
	s_and_b64 s[38:39], s[44:45], exec
.LBB945_308:
	s_or_b64 exec, exec, s[42:43]
	s_waitcnt vmcnt(0) lgkmcnt(1)
	v_cndmask_b32_e64 v17, 0, 1, s[14:15]
	v_cndmask_b32_e64 v16, 0, 1, s[40:41]
	;; [unrolled: 1-line block ×3, first 2 shown]
	v_lshlrev_b16_e32 v17, 8, v17
	v_cndmask_b32_e64 v25, 0, 1, s[12:13]
	v_cndmask_b32_e64 v18, 0, 1, s[38:39]
	v_or_b32_sdwa v16, v16, v17 dst_sel:WORD_1 dst_unused:UNUSED_PAD src0_sel:DWORD src1_sel:DWORD
	v_lshlrev_b16_e32 v17, 8, v34
	v_lshlrev_b16_e32 v18, 8, v18
	v_or_b32_e32 v17, v25, v17
	v_or_b32_e32 v18, 1, v18
	v_and_b32_e32 v17, 0xffff, v17
	v_cndmask_b32_e64 v35, 0, 1, s[4:5]
	v_or_b32_sdwa v16, v18, v16 dst_sel:DWORD dst_unused:UNUSED_PAD src0_sel:WORD_0 src1_sel:DWORD
	v_lshl_or_b32 v17, v35, 16, v17
	s_waitcnt lgkmcnt(0)
	s_barrier
	s_waitcnt lgkmcnt(0)
                                        ; implicit-def: $sgpr12_sgpr13
                                        ; implicit-def: $vgpr20
	s_and_saveexec_b64 s[4:5], s[2:3]
	s_cbranch_execz .LBB945_321
; %bb.309:
	v_cmp_gt_u32_e32 vcc, s52, v1
	s_mov_b32 s38, 0x3020104
	s_mov_b64 s[10:11], 0
	s_and_saveexec_b64 s[2:3], vcc
	s_cbranch_execz .LBB945_320
; %bb.310:
	s_andn2_b64 vcc, exec, s[6:7]
	s_cbranch_vccnz .LBB945_319
; %bb.311:
	v_add_u32_e32 v17, -8, v24
	ds_read_b64 v[18:19], v17
	v_mul_lo_u32 v17, v11, s26
	v_mad_u64_u32 v[22:23], s[6:7], v10, s26, 0
	s_mov_b64 s[10:11], -1
	s_waitcnt lgkmcnt(0)
	v_mul_lo_u32 v20, v19, s26
	v_mul_lo_u32 v21, v18, s27
	v_mad_u64_u32 v[18:19], s[6:7], v18, s26, 0
	v_add3_u32 v19, v19, v21, v20
	v_mul_lo_u32 v20, v10, s27
	v_add3_u32 v23, v23, v20, v17
	v_lshl_add_u64 v[20:21], v[18:19], 2, s[28:29]
	v_lshl_add_u64 v[18:19], v[22:23], 2, s[28:29]
	global_load_dword v17, v[20:21], off
	global_load_dword v22, v[18:19], off
	s_waitcnt vmcnt(0)
	v_cmp_eq_f32_e32 vcc, v17, v22
	s_and_saveexec_b64 s[6:7], vcc
	s_cbranch_execz .LBB945_318
; %bb.312:
	s_add_u32 s10, s26, -1
	v_lshl_add_u64 v[18:19], v[18:19], 0, 4
	v_lshl_add_u64 v[20:21], v[20:21], 0, 4
	s_addc_u32 s11, s27, -1
	s_mov_b64 s[12:13], 0
	s_mov_b64 s[28:29], 0
                                        ; implicit-def: $sgpr14_sgpr15
	s_branch .LBB945_315
.LBB945_313:                            ;   in Loop: Header=BB945_315 Depth=1
	global_load_dword v17, v[20:21], off
	global_load_dword v22, v[18:19], off
	s_add_u32 s28, s28, 1
	s_addc_u32 s29, s29, 0
	s_andn2_b64 s[14:15], s[14:15], exec
	v_lshl_add_u64 v[18:19], v[18:19], 0, 4
	v_lshl_add_u64 v[20:21], v[20:21], 0, 4
	s_waitcnt vmcnt(0)
	v_cmp_neq_f32_e32 vcc, v17, v22
	s_and_b64 s[40:41], vcc, exec
	s_or_b64 s[14:15], s[14:15], s[40:41]
.LBB945_314:                            ;   in Loop: Header=BB945_315 Depth=1
	s_and_b64 s[40:41], exec, s[14:15]
	s_or_b64 s[12:13], s[40:41], s[12:13]
	v_mov_b64_e32 v[22:23], s[28:29]
	s_andn2_b64 exec, exec, s[12:13]
	s_cbranch_execz .LBB945_317
.LBB945_315:                            ; =>This Inner Loop Header: Depth=1
	s_or_b64 s[14:15], s[14:15], exec
	s_cmp_eq_u64 s[10:11], s[28:29]
	s_cbranch_scc0 .LBB945_313
; %bb.316:                              ;   in Loop: Header=BB945_315 Depth=1
                                        ; implicit-def: $vgpr18_vgpr19
                                        ; implicit-def: $vgpr20_vgpr21
	s_mov_b64 s[28:29], s[26:27]
	s_branch .LBB945_314
.LBB945_317:
	s_or_b64 exec, exec, s[12:13]
	v_cmp_gt_i64_e32 vcc, s[26:27], v[22:23]
	s_orn2_b64 s[10:11], vcc, exec
.LBB945_318:
	s_or_b64 exec, exec, s[6:7]
.LBB945_319:
	s_and_b64 s[10:11], s[10:11], exec
.LBB945_320:
	s_or_b64 exec, exec, s[2:3]
	v_perm_b32 v20, v16, v16, s38
	s_and_b64 s[12:13], s[10:11], exec
	s_or_b64 s[8:9], s[8:9], exec
                                        ; implicit-def: $vgpr16_vgpr17
.LBB945_321:
	s_or_b64 exec, exec, s[4:5]
.LBB945_322:
	s_and_saveexec_b64 s[2:3], s[8:9]
	s_cbranch_execz .LBB945_324
; %bb.323:
	s_waitcnt vmcnt(0) lgkmcnt(0)
	v_lshlrev_b16_e32 v17, 8, v34
	v_and_b32_e32 v18, 0xff, v35
	v_or_b32_sdwa v17, v25, v17 dst_sel:DWORD dst_unused:UNUSED_PAD src0_sel:BYTE_0 src1_sel:DWORD
	v_lshlrev_b32_e32 v18, 16, v18
	s_movk_i32 s4, 0xff
	v_or_b32_sdwa v17, v17, v18 dst_sel:DWORD dst_unused:UNUSED_PAD src0_sel:WORD_0 src1_sel:DWORD
	v_lshrrev_b32_e32 v18, 24, v20
	v_lshlrev_b16_e32 v18, 8, v18
	v_and_b32_sdwa v19, v20, s4 dst_sel:DWORD dst_unused:UNUSED_PAD src0_sel:WORD_1 src1_sel:DWORD
	v_or_b32_sdwa v18, v19, v18 dst_sel:WORD_1 dst_unused:UNUSED_PAD src0_sel:DWORD src1_sel:DWORD
	v_mov_b32_e32 v19, 8
	v_cndmask_b32_e64 v16, 0, 1, s[12:13]
	v_lshrrev_b32_sdwa v19, v19, v20 dst_sel:BYTE_1 dst_unused:UNUSED_PAD src0_sel:DWORD src1_sel:DWORD
	s_nop 0
	v_or_b32_e32 v16, v16, v19
	v_or_b32_sdwa v16, v16, v18 dst_sel:DWORD dst_unused:UNUSED_PAD src0_sel:WORD_0 src1_sel:DWORD
.LBB945_324:
	s_or_b64 exec, exec, s[2:3]
	s_andn2_b64 vcc, exec, s[0:1]
	s_cbranch_vccnz .LBB945_326
; %bb.325:
	s_waitcnt vmcnt(0) lgkmcnt(0)
	v_and_b32_e32 v18, 0xffff0000, v16
	v_cmp_gt_u32_e32 vcc, s52, v1
	s_mov_b32 s0, 0x40c0100
	s_nop 0
	v_cndmask_b32_e32 v1, v18, v16, vcc
	v_and_b32_e32 v1, 0xffff00ff, v1
	v_cmp_gt_u32_e32 vcc, s52, v27
	s_nop 1
	v_cndmask_b32_e32 v1, v1, v16, vcc
	v_lshrrev_b32_e32 v18, 24, v1
	v_perm_b32 v1, v18, v1, s0
	v_cmp_gt_u32_e32 vcc, s52, v26
	v_and_b32_e32 v18, 0xffffff00, v17
	s_nop 0
	v_cndmask_b32_e32 v1, v1, v16, vcc
	v_and_b32_e32 v1, 0xffffff, v1
	v_cmp_gt_u32_e32 vcc, s52, v30
	s_nop 1
	v_cndmask_b32_e32 v1, v1, v16, vcc
	v_cmp_gt_u32_e32 vcc, s52, v28
	s_nop 1
	v_cndmask_b32_e32 v18, v18, v17, vcc
	v_and_b32_e32 v18, 0xffff00ff, v18
	v_cndmask_b32_e32 v1, v1, v16, vcc
	v_cmp_gt_u32_e32 vcc, s52, v31
	s_nop 1
	v_cndmask_b32_e32 v18, v18, v17, vcc
	v_lshrrev_b32_e32 v19, 24, v18
	v_cndmask_b32_e32 v1, v1, v16, vcc
	v_perm_b32 v18, v19, v18, s0
	v_cmp_gt_u32_e32 vcc, s52, v29
	s_mov_b32 s0, 0x3020104
	s_nop 0
	v_cndmask_b32_e32 v1, v1, v16, vcc
	v_cndmask_b32_e32 v16, v18, v17, vcc
	v_mov_b32_e32 v17, 8
	v_lshrrev_b32_sdwa v17, v17, v16 dst_sel:BYTE_1 dst_unused:UNUSED_PAD src0_sel:DWORD src1_sel:DWORD
	s_nop 0
	v_or_b32_sdwa v17, v16, v17 dst_sel:DWORD dst_unused:UNUSED_PAD src0_sel:BYTE_0 src1_sel:DWORD
	v_and_b32_e32 v17, 0xffff, v17
	v_bfe_u32 v16, v16, 16, 8
	v_lshl_or_b32 v17, v16, 16, v17
	v_perm_b32 v16, v1, v1, s0
.LBB945_326:
	s_waitcnt vmcnt(0) lgkmcnt(0)
	v_and_b32_e32 v1, 0xff, v16
	v_bfe_u32 v29, v16, 8, 8
	v_bfe_u32 v31, v16, 16, 8
	v_alignbit_b32 v18, v17, v16, 24
	v_and_b32_e32 v33, 0xff, v18
	v_and_b32_e32 v35, 0xff, v17
	v_add3_u32 v19, v29, v1, v31
	v_bfe_u32 v36, v17, 8, 8
	v_bfe_u32 v18, v17, 16, 8
	v_add3_u32 v19, v19, v33, v35
	v_add3_u32 v39, v19, v36, v18
	v_mbcnt_lo_u32_b32 v18, -1, 0
	v_mbcnt_hi_u32_b32 v37, -1, v18
	v_and_b32_e32 v18, 15, v37
	v_cmp_eq_u32_e64 s[14:15], 0, v18
	v_cmp_lt_u32_e64 s[12:13], 1, v18
	v_cmp_lt_u32_e64 s[10:11], 3, v18
	;; [unrolled: 1-line block ×3, first 2 shown]
	v_and_b32_e32 v18, 16, v37
	v_cmp_eq_u32_e64 s[6:7], 0, v18
	v_or_b32_e32 v18, 63, v0
	v_cmp_lt_u32_e64 s[2:3], 31, v37
	v_lshrrev_b32_e32 v38, 6, v0
	v_cmp_eq_u32_e64 s[4:5], v18, v0
	s_and_b64 vcc, exec, s[16:17]
	s_barrier
	s_cbranch_vccz .LBB945_357
; %bb.327:
	v_mov_b32_dpp v18, v39 row_shr:1 row_mask:0xf bank_mask:0xf
	v_cndmask_b32_e64 v18, v18, 0, s[14:15]
	v_add_u32_e32 v18, v18, v39
	s_nop 1
	v_mov_b32_dpp v19, v18 row_shr:2 row_mask:0xf bank_mask:0xf
	v_cndmask_b32_e64 v19, 0, v19, s[12:13]
	v_add_u32_e32 v18, v18, v19
	s_nop 1
	;; [unrolled: 4-line block ×4, first 2 shown]
	v_mov_b32_dpp v19, v18 row_bcast:15 row_mask:0xf bank_mask:0xf
	v_cndmask_b32_e64 v19, v19, 0, s[6:7]
	v_add_u32_e32 v18, v18, v19
	s_nop 1
	v_mov_b32_dpp v19, v18 row_bcast:31 row_mask:0xf bank_mask:0xf
	v_cndmask_b32_e64 v19, 0, v19, s[2:3]
	v_add_u32_e32 v18, v18, v19
	s_and_saveexec_b64 s[0:1], s[4:5]
	s_cbranch_execz .LBB945_329
; %bb.328:
	v_lshlrev_b32_e32 v19, 2, v38
	ds_write_b32 v19, v18
.LBB945_329:
	s_or_b64 exec, exec, s[0:1]
	v_cmp_gt_u32_e32 vcc, 8, v0
	s_waitcnt lgkmcnt(0)
	s_barrier
	s_and_saveexec_b64 s[0:1], vcc
	s_cbranch_execz .LBB945_331
; %bb.330:
	v_lshlrev_b32_e32 v19, 2, v0
	ds_read_b32 v20, v19
	v_and_b32_e32 v21, 7, v37
	v_cmp_ne_u32_e32 vcc, 0, v21
	s_waitcnt lgkmcnt(0)
	v_mov_b32_dpp v22, v20 row_shr:1 row_mask:0xf bank_mask:0xf
	v_cndmask_b32_e32 v22, 0, v22, vcc
	v_add_u32_e32 v20, v22, v20
	v_cmp_lt_u32_e32 vcc, 1, v21
	s_nop 0
	v_mov_b32_dpp v22, v20 row_shr:2 row_mask:0xf bank_mask:0xf
	v_cndmask_b32_e32 v22, 0, v22, vcc
	v_add_u32_e32 v20, v20, v22
	v_cmp_lt_u32_e32 vcc, 3, v21
	s_nop 0
	v_mov_b32_dpp v22, v20 row_shr:4 row_mask:0xf bank_mask:0xf
	v_cndmask_b32_e32 v21, 0, v22, vcc
	v_add_u32_e32 v20, v20, v21
	ds_write_b32 v19, v20
.LBB945_331:
	s_or_b64 exec, exec, s[0:1]
	v_cmp_gt_u32_e32 vcc, 64, v0
	v_cmp_lt_u32_e64 s[0:1], 63, v0
	s_waitcnt lgkmcnt(0)
	s_barrier
	s_waitcnt lgkmcnt(0)
                                        ; implicit-def: $vgpr28
	s_and_saveexec_b64 s[16:17], s[0:1]
	s_cbranch_execz .LBB945_333
; %bb.332:
	v_lshl_add_u32 v19, v38, 2, -4
	ds_read_b32 v28, v19
	s_waitcnt lgkmcnt(0)
	v_add_u32_e32 v18, v28, v18
.LBB945_333:
	s_or_b64 exec, exec, s[16:17]
	v_add_u32_e32 v19, -1, v37
	v_and_b32_e32 v20, 64, v37
	v_cmp_lt_i32_e64 s[0:1], v19, v20
	v_cmp_eq_u32_e64 s[16:17], 0, v37
	s_nop 0
	v_cndmask_b32_e64 v19, v19, v37, s[0:1]
	v_lshlrev_b32_e32 v19, 2, v19
	ds_bpermute_b32 v30, v19, v18
	s_and_saveexec_b64 s[0:1], vcc
	s_cbranch_execz .LBB945_356
; %bb.334:
	v_mov_b32_e32 v27, 0
	ds_read_b32 v18, v27 offset:28
	s_and_saveexec_b64 s[26:27], s[16:17]
	s_cbranch_execz .LBB945_336
; %bb.335:
	s_add_i32 s28, s33, 64
	s_mov_b32 s29, 0
	s_lshl_b64 s[28:29], s[28:29], 3
	s_add_u32 s28, s30, s28
	v_mov_b32_e32 v19, 1
	s_addc_u32 s29, s31, s29
	s_waitcnt lgkmcnt(0)
	global_store_dwordx2 v27, v[18:19], s[28:29] sc1
.LBB945_336:
	s_or_b64 exec, exec, s[26:27]
	v_xad_u32 v20, v37, -1, s33
	v_add_u32_e32 v26, 64, v20
	v_lshl_add_u64 v[22:23], v[26:27], 3, s[30:31]
	global_load_dwordx2 v[24:25], v[22:23], off sc1
	s_waitcnt vmcnt(0)
	v_cmp_eq_u16_sdwa s[28:29], v25, v27 src0_sel:BYTE_0 src1_sel:DWORD
	s_and_saveexec_b64 s[26:27], s[28:29]
	s_cbranch_execz .LBB945_342
; %bb.337:
	s_mov_b32 s38, 1
	s_mov_b64 s[28:29], 0
	v_mov_b32_e32 v19, 0
.LBB945_338:                            ; =>This Loop Header: Depth=1
                                        ;     Child Loop BB945_339 Depth 2
	s_max_u32 s39, s38, 1
.LBB945_339:                            ;   Parent Loop BB945_338 Depth=1
                                        ; =>  This Inner Loop Header: Depth=2
	s_add_i32 s39, s39, -1
	s_cmp_eq_u32 s39, 0
	s_sleep 1
	s_cbranch_scc0 .LBB945_339
; %bb.340:                              ;   in Loop: Header=BB945_338 Depth=1
	global_load_dwordx2 v[24:25], v[22:23], off sc1
	s_cmp_lt_u32 s38, 32
	s_cselect_b64 s[40:41], -1, 0
	s_cmp_lg_u64 s[40:41], 0
	s_addc_u32 s38, s38, 0
	s_waitcnt vmcnt(0)
	v_cmp_ne_u16_sdwa s[40:41], v25, v19 src0_sel:BYTE_0 src1_sel:DWORD
	s_or_b64 s[28:29], s[40:41], s[28:29]
	s_andn2_b64 exec, exec, s[28:29]
	s_cbranch_execnz .LBB945_338
; %bb.341:
	s_or_b64 exec, exec, s[28:29]
.LBB945_342:
	s_or_b64 exec, exec, s[26:27]
	v_and_b32_e32 v32, 63, v37
	v_mov_b32_e32 v19, 2
	v_cmp_ne_u32_e32 vcc, 63, v32
	v_cmp_eq_u16_sdwa s[26:27], v25, v19 src0_sel:BYTE_0 src1_sel:DWORD
	v_lshlrev_b64 v[22:23], v37, -1
	v_addc_co_u32_e32 v27, vcc, 0, v37, vcc
	v_and_b32_e32 v21, s27, v23
	v_lshlrev_b32_e32 v34, 2, v27
	v_or_b32_e32 v21, 0x80000000, v21
	ds_bpermute_b32 v27, v34, v24
	v_and_b32_e32 v26, s26, v22
	v_ffbl_b32_e32 v21, v21
	v_add_u32_e32 v21, 32, v21
	v_ffbl_b32_e32 v26, v26
	v_min_u32_e32 v21, v26, v21
	v_cmp_lt_u32_e32 vcc, v32, v21
	v_add_u32_e32 v41, 2, v32
	v_add_u32_e32 v43, 4, v32
	s_waitcnt lgkmcnt(0)
	v_cndmask_b32_e32 v26, 0, v27, vcc
	v_cmp_gt_u32_e32 vcc, 62, v32
	v_add_u32_e32 v24, v26, v24
	v_add_u32_e32 v45, 8, v32
	v_cndmask_b32_e64 v26, 0, 1, vcc
	v_lshlrev_b32_e32 v26, 1, v26
	v_add_lshl_u32 v40, v26, v37, 2
	ds_bpermute_b32 v26, v40, v24
	v_cmp_le_u32_e32 vcc, v41, v21
	v_add_u32_e32 v48, 16, v32
	v_add_u32_e32 v50, 32, v32
	s_waitcnt lgkmcnt(0)
	v_cndmask_b32_e32 v26, 0, v26, vcc
	v_cmp_gt_u32_e32 vcc, 60, v32
	v_add_u32_e32 v24, v24, v26
	s_nop 0
	v_cndmask_b32_e64 v26, 0, 1, vcc
	v_lshlrev_b32_e32 v26, 2, v26
	v_add_lshl_u32 v42, v26, v37, 2
	ds_bpermute_b32 v26, v42, v24
	v_cmp_le_u32_e32 vcc, v43, v21
	s_waitcnt lgkmcnt(0)
	s_nop 0
	v_cndmask_b32_e32 v26, 0, v26, vcc
	v_cmp_gt_u32_e32 vcc, 56, v32
	v_add_u32_e32 v24, v24, v26
	s_nop 0
	v_cndmask_b32_e64 v26, 0, 1, vcc
	v_lshlrev_b32_e32 v26, 3, v26
	v_add_lshl_u32 v44, v26, v37, 2
	ds_bpermute_b32 v26, v44, v24
	v_cmp_le_u32_e32 vcc, v45, v21
	s_waitcnt lgkmcnt(0)
	s_nop 0
	;; [unrolled: 11-line block ×4, first 2 shown]
	v_cndmask_b32_e32 v21, 0, v26, vcc
	v_add_u32_e32 v24, v24, v21
	v_mov_b32_e32 v21, 0
	s_branch .LBB945_344
.LBB945_343:                            ;   in Loop: Header=BB945_344 Depth=1
	s_or_b64 exec, exec, s[26:27]
	v_cmp_eq_u16_sdwa s[26:27], v25, v19 src0_sel:BYTE_0 src1_sel:DWORD
	ds_bpermute_b32 v51, v34, v24
	v_subrev_u32_e32 v20, 64, v20
	v_and_b32_e32 v26, s27, v23
	v_or_b32_e32 v26, 0x80000000, v26
	v_and_b32_e32 v27, s26, v22
	v_ffbl_b32_e32 v26, v26
	v_add_u32_e32 v26, 32, v26
	v_ffbl_b32_e32 v27, v27
	v_min_u32_e32 v26, v27, v26
	v_cmp_lt_u32_e32 vcc, v32, v26
	s_waitcnt lgkmcnt(0)
	s_nop 0
	v_cndmask_b32_e32 v27, 0, v51, vcc
	v_add_u32_e32 v24, v27, v24
	ds_bpermute_b32 v27, v40, v24
	v_cmp_le_u32_e32 vcc, v41, v26
	s_waitcnt lgkmcnt(0)
	s_nop 0
	v_cndmask_b32_e32 v27, 0, v27, vcc
	v_add_u32_e32 v24, v24, v27
	ds_bpermute_b32 v27, v42, v24
	v_cmp_le_u32_e32 vcc, v43, v26
	;; [unrolled: 6-line block ×5, first 2 shown]
	s_waitcnt lgkmcnt(0)
	s_nop 0
	v_cndmask_b32_e32 v26, 0, v27, vcc
	v_add3_u32 v24, v26, v46, v24
.LBB945_344:                            ; =>This Loop Header: Depth=1
                                        ;     Child Loop BB945_347 Depth 2
                                        ;       Child Loop BB945_348 Depth 3
	v_cmp_ne_u16_sdwa s[26:27], v25, v19 src0_sel:BYTE_0 src1_sel:DWORD
	v_mov_b32_e32 v46, v24
	s_nop 0
	v_cndmask_b32_e64 v25, 0, 1, s[26:27]
	;;#ASMSTART
	;;#ASMEND
	s_nop 0
	v_cmp_ne_u32_e32 vcc, 0, v25
	s_cmp_lg_u64 vcc, exec
	s_cbranch_scc1 .LBB945_351
; %bb.345:                              ;   in Loop: Header=BB945_344 Depth=1
	v_lshl_add_u64 v[26:27], v[20:21], 3, s[30:31]
	global_load_dwordx2 v[24:25], v[26:27], off sc1
	s_waitcnt vmcnt(0)
	v_cmp_eq_u16_sdwa s[28:29], v25, v21 src0_sel:BYTE_0 src1_sel:DWORD
	s_and_saveexec_b64 s[26:27], s[28:29]
	s_cbranch_execz .LBB945_343
; %bb.346:                              ;   in Loop: Header=BB945_344 Depth=1
	s_mov_b32 s38, 1
	s_mov_b64 s[28:29], 0
.LBB945_347:                            ;   Parent Loop BB945_344 Depth=1
                                        ; =>  This Loop Header: Depth=2
                                        ;       Child Loop BB945_348 Depth 3
	s_max_u32 s39, s38, 1
.LBB945_348:                            ;   Parent Loop BB945_344 Depth=1
                                        ;     Parent Loop BB945_347 Depth=2
                                        ; =>    This Inner Loop Header: Depth=3
	s_add_i32 s39, s39, -1
	s_cmp_eq_u32 s39, 0
	s_sleep 1
	s_cbranch_scc0 .LBB945_348
; %bb.349:                              ;   in Loop: Header=BB945_347 Depth=2
	global_load_dwordx2 v[24:25], v[26:27], off sc1
	s_cmp_lt_u32 s38, 32
	s_cselect_b64 s[40:41], -1, 0
	s_cmp_lg_u64 s[40:41], 0
	s_addc_u32 s38, s38, 0
	s_waitcnt vmcnt(0)
	v_cmp_ne_u16_sdwa s[40:41], v25, v21 src0_sel:BYTE_0 src1_sel:DWORD
	s_or_b64 s[28:29], s[40:41], s[28:29]
	s_andn2_b64 exec, exec, s[28:29]
	s_cbranch_execnz .LBB945_347
; %bb.350:                              ;   in Loop: Header=BB945_344 Depth=1
	s_or_b64 exec, exec, s[28:29]
	s_branch .LBB945_343
.LBB945_351:                            ;   in Loop: Header=BB945_344 Depth=1
                                        ; implicit-def: $vgpr24
                                        ; implicit-def: $vgpr25
	s_cbranch_execz .LBB945_344
; %bb.352:
	s_and_saveexec_b64 s[26:27], s[16:17]
	s_cbranch_execz .LBB945_354
; %bb.353:
	s_add_i32 s28, s33, 64
	s_mov_b32 s29, 0
	s_lshl_b64 s[28:29], s[28:29], 3
	s_add_u32 s28, s30, s28
	v_add_u32_e32 v20, v46, v18
	v_mov_b32_e32 v21, 2
	s_addc_u32 s29, s31, s29
	v_mov_b32_e32 v19, 0
	global_store_dwordx2 v19, v[20:21], s[28:29] sc1
	s_movk_i32 s28, 0x7000
	v_add_u32_e64 v19, s28, 0
	ds_write2_b32 v19, v18, v46 offset1:2
.LBB945_354:
	s_or_b64 exec, exec, s[26:27]
	s_and_b64 exec, exec, s[18:19]
	s_cbranch_execz .LBB945_356
; %bb.355:
	v_mov_b32_e32 v18, 0
	ds_write_b32 v18, v46 offset:28
.LBB945_356:
	s_or_b64 exec, exec, s[0:1]
	v_mov_b32_e32 v18, 0
	s_waitcnt lgkmcnt(0)
	s_barrier
	ds_read_b32 v18, v18 offset:28
	v_cndmask_b32_e64 v19, v30, v28, s[16:17]
	v_cndmask_b32_e64 v19, v19, 0, s[18:19]
	s_movk_i32 s0, 0x7000
	s_waitcnt lgkmcnt(0)
	v_add_u32_e32 v34, v18, v19
	v_add_u32_e32 v32, v34, v1
	v_add_u32_e64 v18, s0, 0
	v_add_u32_e32 v30, v32, v29
	s_barrier
	ds_read2_b32 v[18:19], v18 offset1:2
	v_add_u32_e32 v28, v30, v31
	v_add_u32_e32 v26, v28, v33
	;; [unrolled: 1-line block ×4, first 2 shown]
	v_lshrrev_b64 v[20:21], 24, v[16:17]
	s_branch .LBB945_367
.LBB945_357:
                                        ; implicit-def: $vgpr22
                                        ; implicit-def: $vgpr24
                                        ; implicit-def: $vgpr26
                                        ; implicit-def: $vgpr28
                                        ; implicit-def: $vgpr30
                                        ; implicit-def: $vgpr32
                                        ; implicit-def: $vgpr34
                                        ; implicit-def: $vgpr19
	v_lshrrev_b64 v[20:21], 24, v[16:17]
	s_cbranch_execz .LBB945_367
; %bb.358:
	s_waitcnt lgkmcnt(0)
	v_mov_b32_dpp v18, v39 row_shr:1 row_mask:0xf bank_mask:0xf
	v_cndmask_b32_e64 v18, v18, 0, s[14:15]
	v_add_u32_e32 v18, v18, v39
	s_nop 1
	v_mov_b32_dpp v19, v18 row_shr:2 row_mask:0xf bank_mask:0xf
	v_cndmask_b32_e64 v19, 0, v19, s[12:13]
	v_add_u32_e32 v18, v18, v19
	s_nop 1
	;; [unrolled: 4-line block ×4, first 2 shown]
	v_mov_b32_dpp v19, v18 row_bcast:15 row_mask:0xf bank_mask:0xf
	v_cndmask_b32_e64 v19, v19, 0, s[6:7]
	v_add_u32_e32 v18, v18, v19
	s_nop 1
	v_mov_b32_dpp v19, v18 row_bcast:31 row_mask:0xf bank_mask:0xf
	v_cndmask_b32_e64 v19, 0, v19, s[2:3]
	v_add_u32_e32 v18, v18, v19
	s_and_saveexec_b64 s[0:1], s[4:5]
	s_cbranch_execz .LBB945_360
; %bb.359:
	v_lshlrev_b32_e32 v19, 2, v38
	ds_write_b32 v19, v18
.LBB945_360:
	s_or_b64 exec, exec, s[0:1]
	v_cmp_gt_u32_e32 vcc, 8, v0
	s_waitcnt lgkmcnt(0)
	s_barrier
	s_and_saveexec_b64 s[0:1], vcc
	s_cbranch_execz .LBB945_362
; %bb.361:
	v_lshlrev_b32_e32 v19, 2, v0
	ds_read_b32 v21, v19
	v_and_b32_e32 v22, 7, v37
	v_cmp_ne_u32_e32 vcc, 0, v22
	s_waitcnt lgkmcnt(0)
	v_mov_b32_dpp v23, v21 row_shr:1 row_mask:0xf bank_mask:0xf
	v_cndmask_b32_e32 v23, 0, v23, vcc
	v_add_u32_e32 v21, v23, v21
	v_cmp_lt_u32_e32 vcc, 1, v22
	s_nop 0
	v_mov_b32_dpp v23, v21 row_shr:2 row_mask:0xf bank_mask:0xf
	v_cndmask_b32_e32 v23, 0, v23, vcc
	v_add_u32_e32 v21, v21, v23
	v_cmp_lt_u32_e32 vcc, 3, v22
	s_nop 0
	v_mov_b32_dpp v23, v21 row_shr:4 row_mask:0xf bank_mask:0xf
	v_cndmask_b32_e32 v22, 0, v23, vcc
	v_add_u32_e32 v21, v21, v22
	ds_write_b32 v19, v21
.LBB945_362:
	s_or_b64 exec, exec, s[0:1]
	v_cmp_lt_u32_e32 vcc, 63, v0
	v_mov_b32_e32 v19, 0
	v_mov_b32_e32 v21, 0
	s_waitcnt lgkmcnt(0)
	s_barrier
	s_and_saveexec_b64 s[0:1], vcc
	s_cbranch_execz .LBB945_364
; %bb.363:
	v_lshl_add_u32 v21, v38, 2, -4
	ds_read_b32 v21, v21
.LBB945_364:
	s_or_b64 exec, exec, s[0:1]
	v_add_u32_e32 v22, -1, v37
	v_and_b32_e32 v23, 64, v37
	v_cmp_lt_i32_e32 vcc, v22, v23
	s_waitcnt lgkmcnt(0)
	v_add_u32_e32 v18, v21, v18
	v_cndmask_b32_e32 v22, v22, v37, vcc
	v_lshlrev_b32_e32 v22, 2, v22
	ds_bpermute_b32 v22, v22, v18
	ds_read_b32 v18, v19 offset:28
	s_and_saveexec_b64 s[0:1], s[18:19]
	s_cbranch_execz .LBB945_366
; %bb.365:
	v_mov_b32_e32 v23, 0
	v_mov_b32_e32 v19, 2
	s_waitcnt lgkmcnt(0)
	global_store_dwordx2 v23, v[18:19], s[30:31] offset:512 sc1
.LBB945_366:
	s_or_b64 exec, exec, s[0:1]
	v_cmp_eq_u32_e32 vcc, 0, v37
	v_mov_b32_e32 v19, 0
	s_waitcnt lgkmcnt(0)
	v_cndmask_b32_e32 v21, v22, v21, vcc
	v_cndmask_b32_e64 v34, v21, 0, s[18:19]
	v_add_u32_e32 v32, v34, v1
	v_add_u32_e32 v30, v32, v29
	v_add_u32_e32 v28, v30, v31
	v_add_u32_e32 v26, v28, v33
	v_add_u32_e32 v24, v26, v35
	v_add_u32_e32 v22, v24, v36
	s_barrier
.LBB945_367:
	s_movk_i32 s0, 0x201
	s_waitcnt lgkmcnt(0)
	v_cmp_gt_u32_e32 vcc, s0, v18
	v_lshrrev_b32_e32 v21, 8, v16
	v_lshrrev_b32_e32 v1, 8, v17
	s_mov_b64 s[0:1], -1
	s_cbranch_vccnz .LBB945_371
; %bb.368:
	s_and_b64 vcc, exec, s[0:1]
	s_cbranch_vccnz .LBB945_393
.LBB945_369:
	s_and_b64 s[0:1], s[18:19], s[24:25]
	s_and_saveexec_b64 s[2:3], s[0:1]
	s_cbranch_execnz .LBB945_411
.LBB945_370:
	s_endpgm
.LBB945_371:
	v_add_u32_e32 v23, v19, v18
	v_cmp_lt_u32_e32 vcc, v34, v23
	s_or_b64 s[2:3], s[36:37], vcc
	s_and_saveexec_b64 s[0:1], s[2:3]
	s_cbranch_execz .LBB945_374
; %bb.372:
	v_and_b32_e32 v25, 1, v16
	v_cmp_eq_u32_e32 vcc, 1, v25
	s_and_b64 exec, exec, vcc
	s_cbranch_execz .LBB945_374
; %bb.373:
	s_lshl_b64 s[2:3], s[22:23], 3
	s_add_u32 s2, s34, s2
	s_addc_u32 s3, s35, s3
	v_mov_b32_e32 v35, 0
	v_lshl_add_u64 v[36:37], v[34:35], 3, s[2:3]
	global_store_dwordx2 v[36:37], v[10:11], off
.LBB945_374:
	s_or_b64 exec, exec, s[0:1]
	v_cmp_lt_u32_e32 vcc, v32, v23
	s_or_b64 s[2:3], s[36:37], vcc
	s_and_saveexec_b64 s[0:1], s[2:3]
	s_cbranch_execz .LBB945_377
; %bb.375:
	v_and_b32_e32 v25, 1, v21
	v_cmp_eq_u32_e32 vcc, 1, v25
	s_and_b64 exec, exec, vcc
	s_cbranch_execz .LBB945_377
; %bb.376:
	s_lshl_b64 s[2:3], s[22:23], 3
	s_add_u32 s2, s34, s2
	s_addc_u32 s3, s35, s3
	v_mov_b32_e32 v33, 0
	v_lshl_add_u64 v[36:37], v[32:33], 3, s[2:3]
	global_store_dwordx2 v[36:37], v[12:13], off
.LBB945_377:
	s_or_b64 exec, exec, s[0:1]
	v_cmp_lt_u32_e32 vcc, v30, v23
	s_or_b64 s[2:3], s[36:37], vcc
	s_and_saveexec_b64 s[0:1], s[2:3]
	s_cbranch_execz .LBB945_380
; %bb.378:
	v_mov_b32_e32 v25, 1
	v_and_b32_sdwa v25, v25, v16 dst_sel:DWORD dst_unused:UNUSED_PAD src0_sel:DWORD src1_sel:WORD_1
	v_cmp_eq_u32_e32 vcc, 1, v25
	s_and_b64 exec, exec, vcc
	s_cbranch_execz .LBB945_380
; %bb.379:
	s_lshl_b64 s[2:3], s[22:23], 3
	s_add_u32 s2, s34, s2
	s_addc_u32 s3, s35, s3
	v_mov_b32_e32 v31, 0
	v_lshl_add_u64 v[36:37], v[30:31], 3, s[2:3]
	global_store_dwordx2 v[36:37], v[6:7], off
.LBB945_380:
	s_or_b64 exec, exec, s[0:1]
	v_cmp_lt_u32_e32 vcc, v28, v23
	s_or_b64 s[2:3], s[36:37], vcc
	s_and_saveexec_b64 s[0:1], s[2:3]
	s_cbranch_execz .LBB945_383
; %bb.381:
	v_and_b32_e32 v25, 1, v20
	v_cmp_eq_u32_e32 vcc, 1, v25
	s_and_b64 exec, exec, vcc
	s_cbranch_execz .LBB945_383
; %bb.382:
	s_lshl_b64 s[2:3], s[22:23], 3
	s_add_u32 s2, s34, s2
	s_addc_u32 s3, s35, s3
	v_mov_b32_e32 v29, 0
	v_lshl_add_u64 v[36:37], v[28:29], 3, s[2:3]
	global_store_dwordx2 v[36:37], v[8:9], off
.LBB945_383:
	s_or_b64 exec, exec, s[0:1]
	v_cmp_lt_u32_e32 vcc, v26, v23
	s_or_b64 s[2:3], s[36:37], vcc
	s_and_saveexec_b64 s[0:1], s[2:3]
	s_cbranch_execz .LBB945_386
; %bb.384:
	v_and_b32_e32 v25, 1, v17
	v_cmp_eq_u32_e32 vcc, 1, v25
	s_and_b64 exec, exec, vcc
	s_cbranch_execz .LBB945_386
; %bb.385:
	s_lshl_b64 s[2:3], s[22:23], 3
	s_add_u32 s2, s34, s2
	s_addc_u32 s3, s35, s3
	v_mov_b32_e32 v27, 0
	v_lshl_add_u64 v[36:37], v[26:27], 3, s[2:3]
	global_store_dwordx2 v[36:37], v[2:3], off
.LBB945_386:
	;; [unrolled: 18-line block ×3, first 2 shown]
	s_or_b64 exec, exec, s[0:1]
	v_cmp_lt_u32_e32 vcc, v22, v23
	s_or_b64 s[2:3], s[36:37], vcc
	s_and_saveexec_b64 s[0:1], s[2:3]
	s_cbranch_execz .LBB945_392
; %bb.390:
	v_mov_b32_e32 v23, 1
	v_and_b32_sdwa v23, v23, v17 dst_sel:DWORD dst_unused:UNUSED_PAD src0_sel:DWORD src1_sel:WORD_1
	v_cmp_eq_u32_e32 vcc, 1, v23
	s_and_b64 exec, exec, vcc
	s_cbranch_execz .LBB945_392
; %bb.391:
	s_lshl_b64 s[2:3], s[22:23], 3
	s_add_u32 s2, s34, s2
	s_addc_u32 s3, s35, s3
	v_mov_b32_e32 v23, 0
	v_lshl_add_u64 v[36:37], v[22:23], 3, s[2:3]
	global_store_dwordx2 v[36:37], v[14:15], off
.LBB945_392:
	s_or_b64 exec, exec, s[0:1]
	s_branch .LBB945_369
.LBB945_393:
	v_and_b32_e32 v23, 1, v16
	v_cmp_eq_u32_e32 vcc, 1, v23
	s_and_saveexec_b64 s[0:1], vcc
	s_cbranch_execz .LBB945_395
; %bb.394:
	v_sub_u32_e32 v23, v34, v19
	v_lshlrev_b32_e32 v23, 3, v23
	ds_write_b64 v23, v[10:11]
.LBB945_395:
	s_or_b64 exec, exec, s[0:1]
	v_and_b32_e32 v10, 1, v21
	v_cmp_eq_u32_e32 vcc, 1, v10
	s_and_saveexec_b64 s[0:1], vcc
	s_cbranch_execz .LBB945_397
; %bb.396:
	v_sub_u32_e32 v10, v32, v19
	v_lshlrev_b32_e32 v10, 3, v10
	ds_write_b64 v10, v[12:13]
.LBB945_397:
	s_or_b64 exec, exec, s[0:1]
	v_mov_b32_e32 v10, 1
	v_and_b32_sdwa v10, v10, v16 dst_sel:DWORD dst_unused:UNUSED_PAD src0_sel:DWORD src1_sel:WORD_1
	v_cmp_eq_u32_e32 vcc, 1, v10
	s_and_saveexec_b64 s[0:1], vcc
	s_cbranch_execz .LBB945_399
; %bb.398:
	v_sub_u32_e32 v10, v30, v19
	v_lshlrev_b32_e32 v10, 3, v10
	ds_write_b64 v10, v[6:7]
.LBB945_399:
	s_or_b64 exec, exec, s[0:1]
	v_and_b32_e32 v6, 1, v20
	v_cmp_eq_u32_e32 vcc, 1, v6
	s_and_saveexec_b64 s[0:1], vcc
	s_cbranch_execz .LBB945_401
; %bb.400:
	v_sub_u32_e32 v6, v28, v19
	v_lshlrev_b32_e32 v6, 3, v6
	ds_write_b64 v6, v[8:9]
.LBB945_401:
	s_or_b64 exec, exec, s[0:1]
	v_and_b32_e32 v6, 1, v17
	;; [unrolled: 10-line block ×3, first 2 shown]
	v_cmp_eq_u32_e32 vcc, 1, v1
	s_and_saveexec_b64 s[0:1], vcc
	s_cbranch_execz .LBB945_405
; %bb.404:
	v_sub_u32_e32 v1, v24, v19
	v_lshlrev_b32_e32 v1, 3, v1
	ds_write_b64 v1, v[4:5]
.LBB945_405:
	s_or_b64 exec, exec, s[0:1]
	v_mov_b32_e32 v1, 1
	v_and_b32_sdwa v1, v1, v17 dst_sel:DWORD dst_unused:UNUSED_PAD src0_sel:DWORD src1_sel:WORD_1
	v_cmp_eq_u32_e32 vcc, 1, v1
	s_and_saveexec_b64 s[0:1], vcc
	s_cbranch_execz .LBB945_407
; %bb.406:
	v_sub_u32_e32 v1, v22, v19
	v_lshlrev_b32_e32 v1, 3, v1
	ds_write_b64 v1, v[14:15]
.LBB945_407:
	s_or_b64 exec, exec, s[0:1]
	v_cmp_lt_u32_e32 vcc, v0, v18
	s_waitcnt lgkmcnt(0)
	s_barrier
	s_and_saveexec_b64 s[0:1], vcc
	s_cbranch_execz .LBB945_410
; %bb.408:
	v_mov_b32_e32 v5, 0
	v_mov_b32_e32 v4, v19
	s_lshl_b64 s[2:3], s[22:23], 3
	v_lshlrev_b64 v[6:7], 3, v[4:5]
	v_lshl_add_u64 v[6:7], s[2:3], 0, v[6:7]
	v_lshlrev_b32_e32 v2, 3, v0
	v_mov_b32_e32 v3, v5
	v_lshl_add_u64 v[4:5], s[34:35], 0, v[6:7]
	v_lshl_add_u64 v[4:5], v[4:5], 0, v[2:3]
	s_mov_b64 s[2:3], 0
	s_mov_b64 s[4:5], 0x1000
.LBB945_409:                            ; =>This Inner Loop Header: Depth=1
	ds_read_b64 v[6:7], v2
	v_add_u32_e32 v0, 0x200, v0
	v_cmp_ge_u32_e32 vcc, v0, v18
	v_add_u32_e32 v2, 0x1000, v2
	s_or_b64 s[2:3], vcc, s[2:3]
	s_waitcnt lgkmcnt(0)
	global_store_dwordx2 v[4:5], v[6:7], off
	v_lshl_add_u64 v[4:5], v[4:5], 0, s[4:5]
	s_andn2_b64 exec, exec, s[2:3]
	s_cbranch_execnz .LBB945_409
.LBB945_410:
	s_or_b64 exec, exec, s[0:1]
	s_and_b64 s[0:1], s[18:19], s[24:25]
	s_and_saveexec_b64 s[2:3], s[0:1]
	s_cbranch_execz .LBB945_370
.LBB945_411:
	v_mov_b32_e32 v1, 0
	v_mov_b32_e32 v0, v18
	v_lshl_add_u64 v[2:3], s[22:23], 0, v[0:1]
	v_mov_b32_e32 v0, v19
	v_lshl_add_u64 v[2:3], v[2:3], 0, v[0:1]
	global_store_dwordx2 v1, v[2:3], s[20:21]
	s_endpgm
	.section	.rodata,"a",@progbits
	.p2align	6, 0x0
	.amdhsa_kernel _ZN7rocprim17ROCPRIM_400000_NS6detail17trampoline_kernelINS0_14default_configENS1_25partition_config_selectorILNS1_17partition_subalgoE8ElNS0_10empty_typeEbEEZZNS1_14partition_implILS5_8ELb0ES3_jPlPS6_PKS6_NS0_5tupleIJS9_S6_EEENSD_IJSA_SA_EEENS0_18inequality_wrapperIZN2at6native12_GLOBAL__N_124unique_dim_cuda_templateIfEESt5tupleIJNSH_6TensorESM_SM_EERKSM_lbbbEUlllE0_EEPmJS6_EEE10hipError_tPvRmT3_T4_T5_T6_T7_T9_mT8_P12ihipStream_tbDpT10_ENKUlT_T0_E_clISt17integral_constantIbLb1EES1C_EEDaS17_S18_EUlS17_E_NS1_11comp_targetILNS1_3genE5ELNS1_11target_archE942ELNS1_3gpuE9ELNS1_3repE0EEENS1_30default_config_static_selectorELNS0_4arch9wavefront6targetE1EEEvT1_
		.amdhsa_group_segment_fixed_size 28684
		.amdhsa_private_segment_fixed_size 0
		.amdhsa_kernarg_size 136
		.amdhsa_user_sgpr_count 2
		.amdhsa_user_sgpr_dispatch_ptr 0
		.amdhsa_user_sgpr_queue_ptr 0
		.amdhsa_user_sgpr_kernarg_segment_ptr 1
		.amdhsa_user_sgpr_dispatch_id 0
		.amdhsa_user_sgpr_kernarg_preload_length 0
		.amdhsa_user_sgpr_kernarg_preload_offset 0
		.amdhsa_user_sgpr_private_segment_size 0
		.amdhsa_uses_dynamic_stack 0
		.amdhsa_enable_private_segment 0
		.amdhsa_system_sgpr_workgroup_id_x 1
		.amdhsa_system_sgpr_workgroup_id_y 0
		.amdhsa_system_sgpr_workgroup_id_z 0
		.amdhsa_system_sgpr_workgroup_info 0
		.amdhsa_system_vgpr_workitem_id 0
		.amdhsa_next_free_vgpr 52
		.amdhsa_next_free_sgpr 56
		.amdhsa_accum_offset 52
		.amdhsa_reserve_vcc 1
		.amdhsa_float_round_mode_32 0
		.amdhsa_float_round_mode_16_64 0
		.amdhsa_float_denorm_mode_32 3
		.amdhsa_float_denorm_mode_16_64 3
		.amdhsa_dx10_clamp 1
		.amdhsa_ieee_mode 1
		.amdhsa_fp16_overflow 0
		.amdhsa_tg_split 0
		.amdhsa_exception_fp_ieee_invalid_op 0
		.amdhsa_exception_fp_denorm_src 0
		.amdhsa_exception_fp_ieee_div_zero 0
		.amdhsa_exception_fp_ieee_overflow 0
		.amdhsa_exception_fp_ieee_underflow 0
		.amdhsa_exception_fp_ieee_inexact 0
		.amdhsa_exception_int_div_zero 0
	.end_amdhsa_kernel
	.section	.text._ZN7rocprim17ROCPRIM_400000_NS6detail17trampoline_kernelINS0_14default_configENS1_25partition_config_selectorILNS1_17partition_subalgoE8ElNS0_10empty_typeEbEEZZNS1_14partition_implILS5_8ELb0ES3_jPlPS6_PKS6_NS0_5tupleIJS9_S6_EEENSD_IJSA_SA_EEENS0_18inequality_wrapperIZN2at6native12_GLOBAL__N_124unique_dim_cuda_templateIfEESt5tupleIJNSH_6TensorESM_SM_EERKSM_lbbbEUlllE0_EEPmJS6_EEE10hipError_tPvRmT3_T4_T5_T6_T7_T9_mT8_P12ihipStream_tbDpT10_ENKUlT_T0_E_clISt17integral_constantIbLb1EES1C_EEDaS17_S18_EUlS17_E_NS1_11comp_targetILNS1_3genE5ELNS1_11target_archE942ELNS1_3gpuE9ELNS1_3repE0EEENS1_30default_config_static_selectorELNS0_4arch9wavefront6targetE1EEEvT1_,"axG",@progbits,_ZN7rocprim17ROCPRIM_400000_NS6detail17trampoline_kernelINS0_14default_configENS1_25partition_config_selectorILNS1_17partition_subalgoE8ElNS0_10empty_typeEbEEZZNS1_14partition_implILS5_8ELb0ES3_jPlPS6_PKS6_NS0_5tupleIJS9_S6_EEENSD_IJSA_SA_EEENS0_18inequality_wrapperIZN2at6native12_GLOBAL__N_124unique_dim_cuda_templateIfEESt5tupleIJNSH_6TensorESM_SM_EERKSM_lbbbEUlllE0_EEPmJS6_EEE10hipError_tPvRmT3_T4_T5_T6_T7_T9_mT8_P12ihipStream_tbDpT10_ENKUlT_T0_E_clISt17integral_constantIbLb1EES1C_EEDaS17_S18_EUlS17_E_NS1_11comp_targetILNS1_3genE5ELNS1_11target_archE942ELNS1_3gpuE9ELNS1_3repE0EEENS1_30default_config_static_selectorELNS0_4arch9wavefront6targetE1EEEvT1_,comdat
.Lfunc_end945:
	.size	_ZN7rocprim17ROCPRIM_400000_NS6detail17trampoline_kernelINS0_14default_configENS1_25partition_config_selectorILNS1_17partition_subalgoE8ElNS0_10empty_typeEbEEZZNS1_14partition_implILS5_8ELb0ES3_jPlPS6_PKS6_NS0_5tupleIJS9_S6_EEENSD_IJSA_SA_EEENS0_18inequality_wrapperIZN2at6native12_GLOBAL__N_124unique_dim_cuda_templateIfEESt5tupleIJNSH_6TensorESM_SM_EERKSM_lbbbEUlllE0_EEPmJS6_EEE10hipError_tPvRmT3_T4_T5_T6_T7_T9_mT8_P12ihipStream_tbDpT10_ENKUlT_T0_E_clISt17integral_constantIbLb1EES1C_EEDaS17_S18_EUlS17_E_NS1_11comp_targetILNS1_3genE5ELNS1_11target_archE942ELNS1_3gpuE9ELNS1_3repE0EEENS1_30default_config_static_selectorELNS0_4arch9wavefront6targetE1EEEvT1_, .Lfunc_end945-_ZN7rocprim17ROCPRIM_400000_NS6detail17trampoline_kernelINS0_14default_configENS1_25partition_config_selectorILNS1_17partition_subalgoE8ElNS0_10empty_typeEbEEZZNS1_14partition_implILS5_8ELb0ES3_jPlPS6_PKS6_NS0_5tupleIJS9_S6_EEENSD_IJSA_SA_EEENS0_18inequality_wrapperIZN2at6native12_GLOBAL__N_124unique_dim_cuda_templateIfEESt5tupleIJNSH_6TensorESM_SM_EERKSM_lbbbEUlllE0_EEPmJS6_EEE10hipError_tPvRmT3_T4_T5_T6_T7_T9_mT8_P12ihipStream_tbDpT10_ENKUlT_T0_E_clISt17integral_constantIbLb1EES1C_EEDaS17_S18_EUlS17_E_NS1_11comp_targetILNS1_3genE5ELNS1_11target_archE942ELNS1_3gpuE9ELNS1_3repE0EEENS1_30default_config_static_selectorELNS0_4arch9wavefront6targetE1EEEvT1_
                                        ; -- End function
	.section	.AMDGPU.csdata,"",@progbits
; Kernel info:
; codeLenInByte = 13124
; NumSgprs: 62
; NumVgprs: 52
; NumAgprs: 0
; TotalNumVgprs: 52
; ScratchSize: 0
; MemoryBound: 0
; FloatMode: 240
; IeeeMode: 1
; LDSByteSize: 28684 bytes/workgroup (compile time only)
; SGPRBlocks: 7
; VGPRBlocks: 6
; NumSGPRsForWavesPerEU: 62
; NumVGPRsForWavesPerEU: 52
; AccumOffset: 52
; Occupancy: 4
; WaveLimiterHint : 1
; COMPUTE_PGM_RSRC2:SCRATCH_EN: 0
; COMPUTE_PGM_RSRC2:USER_SGPR: 2
; COMPUTE_PGM_RSRC2:TRAP_HANDLER: 0
; COMPUTE_PGM_RSRC2:TGID_X_EN: 1
; COMPUTE_PGM_RSRC2:TGID_Y_EN: 0
; COMPUTE_PGM_RSRC2:TGID_Z_EN: 0
; COMPUTE_PGM_RSRC2:TIDIG_COMP_CNT: 0
; COMPUTE_PGM_RSRC3_GFX90A:ACCUM_OFFSET: 12
; COMPUTE_PGM_RSRC3_GFX90A:TG_SPLIT: 0
	.section	.text._ZN7rocprim17ROCPRIM_400000_NS6detail17trampoline_kernelINS0_14default_configENS1_25partition_config_selectorILNS1_17partition_subalgoE8ElNS0_10empty_typeEbEEZZNS1_14partition_implILS5_8ELb0ES3_jPlPS6_PKS6_NS0_5tupleIJS9_S6_EEENSD_IJSA_SA_EEENS0_18inequality_wrapperIZN2at6native12_GLOBAL__N_124unique_dim_cuda_templateIfEESt5tupleIJNSH_6TensorESM_SM_EERKSM_lbbbEUlllE0_EEPmJS6_EEE10hipError_tPvRmT3_T4_T5_T6_T7_T9_mT8_P12ihipStream_tbDpT10_ENKUlT_T0_E_clISt17integral_constantIbLb1EES1C_EEDaS17_S18_EUlS17_E_NS1_11comp_targetILNS1_3genE4ELNS1_11target_archE910ELNS1_3gpuE8ELNS1_3repE0EEENS1_30default_config_static_selectorELNS0_4arch9wavefront6targetE1EEEvT1_,"axG",@progbits,_ZN7rocprim17ROCPRIM_400000_NS6detail17trampoline_kernelINS0_14default_configENS1_25partition_config_selectorILNS1_17partition_subalgoE8ElNS0_10empty_typeEbEEZZNS1_14partition_implILS5_8ELb0ES3_jPlPS6_PKS6_NS0_5tupleIJS9_S6_EEENSD_IJSA_SA_EEENS0_18inequality_wrapperIZN2at6native12_GLOBAL__N_124unique_dim_cuda_templateIfEESt5tupleIJNSH_6TensorESM_SM_EERKSM_lbbbEUlllE0_EEPmJS6_EEE10hipError_tPvRmT3_T4_T5_T6_T7_T9_mT8_P12ihipStream_tbDpT10_ENKUlT_T0_E_clISt17integral_constantIbLb1EES1C_EEDaS17_S18_EUlS17_E_NS1_11comp_targetILNS1_3genE4ELNS1_11target_archE910ELNS1_3gpuE8ELNS1_3repE0EEENS1_30default_config_static_selectorELNS0_4arch9wavefront6targetE1EEEvT1_,comdat
	.globl	_ZN7rocprim17ROCPRIM_400000_NS6detail17trampoline_kernelINS0_14default_configENS1_25partition_config_selectorILNS1_17partition_subalgoE8ElNS0_10empty_typeEbEEZZNS1_14partition_implILS5_8ELb0ES3_jPlPS6_PKS6_NS0_5tupleIJS9_S6_EEENSD_IJSA_SA_EEENS0_18inequality_wrapperIZN2at6native12_GLOBAL__N_124unique_dim_cuda_templateIfEESt5tupleIJNSH_6TensorESM_SM_EERKSM_lbbbEUlllE0_EEPmJS6_EEE10hipError_tPvRmT3_T4_T5_T6_T7_T9_mT8_P12ihipStream_tbDpT10_ENKUlT_T0_E_clISt17integral_constantIbLb1EES1C_EEDaS17_S18_EUlS17_E_NS1_11comp_targetILNS1_3genE4ELNS1_11target_archE910ELNS1_3gpuE8ELNS1_3repE0EEENS1_30default_config_static_selectorELNS0_4arch9wavefront6targetE1EEEvT1_ ; -- Begin function _ZN7rocprim17ROCPRIM_400000_NS6detail17trampoline_kernelINS0_14default_configENS1_25partition_config_selectorILNS1_17partition_subalgoE8ElNS0_10empty_typeEbEEZZNS1_14partition_implILS5_8ELb0ES3_jPlPS6_PKS6_NS0_5tupleIJS9_S6_EEENSD_IJSA_SA_EEENS0_18inequality_wrapperIZN2at6native12_GLOBAL__N_124unique_dim_cuda_templateIfEESt5tupleIJNSH_6TensorESM_SM_EERKSM_lbbbEUlllE0_EEPmJS6_EEE10hipError_tPvRmT3_T4_T5_T6_T7_T9_mT8_P12ihipStream_tbDpT10_ENKUlT_T0_E_clISt17integral_constantIbLb1EES1C_EEDaS17_S18_EUlS17_E_NS1_11comp_targetILNS1_3genE4ELNS1_11target_archE910ELNS1_3gpuE8ELNS1_3repE0EEENS1_30default_config_static_selectorELNS0_4arch9wavefront6targetE1EEEvT1_
	.p2align	8
	.type	_ZN7rocprim17ROCPRIM_400000_NS6detail17trampoline_kernelINS0_14default_configENS1_25partition_config_selectorILNS1_17partition_subalgoE8ElNS0_10empty_typeEbEEZZNS1_14partition_implILS5_8ELb0ES3_jPlPS6_PKS6_NS0_5tupleIJS9_S6_EEENSD_IJSA_SA_EEENS0_18inequality_wrapperIZN2at6native12_GLOBAL__N_124unique_dim_cuda_templateIfEESt5tupleIJNSH_6TensorESM_SM_EERKSM_lbbbEUlllE0_EEPmJS6_EEE10hipError_tPvRmT3_T4_T5_T6_T7_T9_mT8_P12ihipStream_tbDpT10_ENKUlT_T0_E_clISt17integral_constantIbLb1EES1C_EEDaS17_S18_EUlS17_E_NS1_11comp_targetILNS1_3genE4ELNS1_11target_archE910ELNS1_3gpuE8ELNS1_3repE0EEENS1_30default_config_static_selectorELNS0_4arch9wavefront6targetE1EEEvT1_,@function
_ZN7rocprim17ROCPRIM_400000_NS6detail17trampoline_kernelINS0_14default_configENS1_25partition_config_selectorILNS1_17partition_subalgoE8ElNS0_10empty_typeEbEEZZNS1_14partition_implILS5_8ELb0ES3_jPlPS6_PKS6_NS0_5tupleIJS9_S6_EEENSD_IJSA_SA_EEENS0_18inequality_wrapperIZN2at6native12_GLOBAL__N_124unique_dim_cuda_templateIfEESt5tupleIJNSH_6TensorESM_SM_EERKSM_lbbbEUlllE0_EEPmJS6_EEE10hipError_tPvRmT3_T4_T5_T6_T7_T9_mT8_P12ihipStream_tbDpT10_ENKUlT_T0_E_clISt17integral_constantIbLb1EES1C_EEDaS17_S18_EUlS17_E_NS1_11comp_targetILNS1_3genE4ELNS1_11target_archE910ELNS1_3gpuE8ELNS1_3repE0EEENS1_30default_config_static_selectorELNS0_4arch9wavefront6targetE1EEEvT1_: ; @_ZN7rocprim17ROCPRIM_400000_NS6detail17trampoline_kernelINS0_14default_configENS1_25partition_config_selectorILNS1_17partition_subalgoE8ElNS0_10empty_typeEbEEZZNS1_14partition_implILS5_8ELb0ES3_jPlPS6_PKS6_NS0_5tupleIJS9_S6_EEENSD_IJSA_SA_EEENS0_18inequality_wrapperIZN2at6native12_GLOBAL__N_124unique_dim_cuda_templateIfEESt5tupleIJNSH_6TensorESM_SM_EERKSM_lbbbEUlllE0_EEPmJS6_EEE10hipError_tPvRmT3_T4_T5_T6_T7_T9_mT8_P12ihipStream_tbDpT10_ENKUlT_T0_E_clISt17integral_constantIbLb1EES1C_EEDaS17_S18_EUlS17_E_NS1_11comp_targetILNS1_3genE4ELNS1_11target_archE910ELNS1_3gpuE8ELNS1_3repE0EEENS1_30default_config_static_selectorELNS0_4arch9wavefront6targetE1EEEvT1_
; %bb.0:
	.section	.rodata,"a",@progbits
	.p2align	6, 0x0
	.amdhsa_kernel _ZN7rocprim17ROCPRIM_400000_NS6detail17trampoline_kernelINS0_14default_configENS1_25partition_config_selectorILNS1_17partition_subalgoE8ElNS0_10empty_typeEbEEZZNS1_14partition_implILS5_8ELb0ES3_jPlPS6_PKS6_NS0_5tupleIJS9_S6_EEENSD_IJSA_SA_EEENS0_18inequality_wrapperIZN2at6native12_GLOBAL__N_124unique_dim_cuda_templateIfEESt5tupleIJNSH_6TensorESM_SM_EERKSM_lbbbEUlllE0_EEPmJS6_EEE10hipError_tPvRmT3_T4_T5_T6_T7_T9_mT8_P12ihipStream_tbDpT10_ENKUlT_T0_E_clISt17integral_constantIbLb1EES1C_EEDaS17_S18_EUlS17_E_NS1_11comp_targetILNS1_3genE4ELNS1_11target_archE910ELNS1_3gpuE8ELNS1_3repE0EEENS1_30default_config_static_selectorELNS0_4arch9wavefront6targetE1EEEvT1_
		.amdhsa_group_segment_fixed_size 0
		.amdhsa_private_segment_fixed_size 0
		.amdhsa_kernarg_size 136
		.amdhsa_user_sgpr_count 2
		.amdhsa_user_sgpr_dispatch_ptr 0
		.amdhsa_user_sgpr_queue_ptr 0
		.amdhsa_user_sgpr_kernarg_segment_ptr 1
		.amdhsa_user_sgpr_dispatch_id 0
		.amdhsa_user_sgpr_kernarg_preload_length 0
		.amdhsa_user_sgpr_kernarg_preload_offset 0
		.amdhsa_user_sgpr_private_segment_size 0
		.amdhsa_uses_dynamic_stack 0
		.amdhsa_enable_private_segment 0
		.amdhsa_system_sgpr_workgroup_id_x 1
		.amdhsa_system_sgpr_workgroup_id_y 0
		.amdhsa_system_sgpr_workgroup_id_z 0
		.amdhsa_system_sgpr_workgroup_info 0
		.amdhsa_system_vgpr_workitem_id 0
		.amdhsa_next_free_vgpr 1
		.amdhsa_next_free_sgpr 0
		.amdhsa_accum_offset 4
		.amdhsa_reserve_vcc 0
		.amdhsa_float_round_mode_32 0
		.amdhsa_float_round_mode_16_64 0
		.amdhsa_float_denorm_mode_32 3
		.amdhsa_float_denorm_mode_16_64 3
		.amdhsa_dx10_clamp 1
		.amdhsa_ieee_mode 1
		.amdhsa_fp16_overflow 0
		.amdhsa_tg_split 0
		.amdhsa_exception_fp_ieee_invalid_op 0
		.amdhsa_exception_fp_denorm_src 0
		.amdhsa_exception_fp_ieee_div_zero 0
		.amdhsa_exception_fp_ieee_overflow 0
		.amdhsa_exception_fp_ieee_underflow 0
		.amdhsa_exception_fp_ieee_inexact 0
		.amdhsa_exception_int_div_zero 0
	.end_amdhsa_kernel
	.section	.text._ZN7rocprim17ROCPRIM_400000_NS6detail17trampoline_kernelINS0_14default_configENS1_25partition_config_selectorILNS1_17partition_subalgoE8ElNS0_10empty_typeEbEEZZNS1_14partition_implILS5_8ELb0ES3_jPlPS6_PKS6_NS0_5tupleIJS9_S6_EEENSD_IJSA_SA_EEENS0_18inequality_wrapperIZN2at6native12_GLOBAL__N_124unique_dim_cuda_templateIfEESt5tupleIJNSH_6TensorESM_SM_EERKSM_lbbbEUlllE0_EEPmJS6_EEE10hipError_tPvRmT3_T4_T5_T6_T7_T9_mT8_P12ihipStream_tbDpT10_ENKUlT_T0_E_clISt17integral_constantIbLb1EES1C_EEDaS17_S18_EUlS17_E_NS1_11comp_targetILNS1_3genE4ELNS1_11target_archE910ELNS1_3gpuE8ELNS1_3repE0EEENS1_30default_config_static_selectorELNS0_4arch9wavefront6targetE1EEEvT1_,"axG",@progbits,_ZN7rocprim17ROCPRIM_400000_NS6detail17trampoline_kernelINS0_14default_configENS1_25partition_config_selectorILNS1_17partition_subalgoE8ElNS0_10empty_typeEbEEZZNS1_14partition_implILS5_8ELb0ES3_jPlPS6_PKS6_NS0_5tupleIJS9_S6_EEENSD_IJSA_SA_EEENS0_18inequality_wrapperIZN2at6native12_GLOBAL__N_124unique_dim_cuda_templateIfEESt5tupleIJNSH_6TensorESM_SM_EERKSM_lbbbEUlllE0_EEPmJS6_EEE10hipError_tPvRmT3_T4_T5_T6_T7_T9_mT8_P12ihipStream_tbDpT10_ENKUlT_T0_E_clISt17integral_constantIbLb1EES1C_EEDaS17_S18_EUlS17_E_NS1_11comp_targetILNS1_3genE4ELNS1_11target_archE910ELNS1_3gpuE8ELNS1_3repE0EEENS1_30default_config_static_selectorELNS0_4arch9wavefront6targetE1EEEvT1_,comdat
.Lfunc_end946:
	.size	_ZN7rocprim17ROCPRIM_400000_NS6detail17trampoline_kernelINS0_14default_configENS1_25partition_config_selectorILNS1_17partition_subalgoE8ElNS0_10empty_typeEbEEZZNS1_14partition_implILS5_8ELb0ES3_jPlPS6_PKS6_NS0_5tupleIJS9_S6_EEENSD_IJSA_SA_EEENS0_18inequality_wrapperIZN2at6native12_GLOBAL__N_124unique_dim_cuda_templateIfEESt5tupleIJNSH_6TensorESM_SM_EERKSM_lbbbEUlllE0_EEPmJS6_EEE10hipError_tPvRmT3_T4_T5_T6_T7_T9_mT8_P12ihipStream_tbDpT10_ENKUlT_T0_E_clISt17integral_constantIbLb1EES1C_EEDaS17_S18_EUlS17_E_NS1_11comp_targetILNS1_3genE4ELNS1_11target_archE910ELNS1_3gpuE8ELNS1_3repE0EEENS1_30default_config_static_selectorELNS0_4arch9wavefront6targetE1EEEvT1_, .Lfunc_end946-_ZN7rocprim17ROCPRIM_400000_NS6detail17trampoline_kernelINS0_14default_configENS1_25partition_config_selectorILNS1_17partition_subalgoE8ElNS0_10empty_typeEbEEZZNS1_14partition_implILS5_8ELb0ES3_jPlPS6_PKS6_NS0_5tupleIJS9_S6_EEENSD_IJSA_SA_EEENS0_18inequality_wrapperIZN2at6native12_GLOBAL__N_124unique_dim_cuda_templateIfEESt5tupleIJNSH_6TensorESM_SM_EERKSM_lbbbEUlllE0_EEPmJS6_EEE10hipError_tPvRmT3_T4_T5_T6_T7_T9_mT8_P12ihipStream_tbDpT10_ENKUlT_T0_E_clISt17integral_constantIbLb1EES1C_EEDaS17_S18_EUlS17_E_NS1_11comp_targetILNS1_3genE4ELNS1_11target_archE910ELNS1_3gpuE8ELNS1_3repE0EEENS1_30default_config_static_selectorELNS0_4arch9wavefront6targetE1EEEvT1_
                                        ; -- End function
	.section	.AMDGPU.csdata,"",@progbits
; Kernel info:
; codeLenInByte = 0
; NumSgprs: 6
; NumVgprs: 0
; NumAgprs: 0
; TotalNumVgprs: 0
; ScratchSize: 0
; MemoryBound: 0
; FloatMode: 240
; IeeeMode: 1
; LDSByteSize: 0 bytes/workgroup (compile time only)
; SGPRBlocks: 0
; VGPRBlocks: 0
; NumSGPRsForWavesPerEU: 6
; NumVGPRsForWavesPerEU: 1
; AccumOffset: 4
; Occupancy: 8
; WaveLimiterHint : 0
; COMPUTE_PGM_RSRC2:SCRATCH_EN: 0
; COMPUTE_PGM_RSRC2:USER_SGPR: 2
; COMPUTE_PGM_RSRC2:TRAP_HANDLER: 0
; COMPUTE_PGM_RSRC2:TGID_X_EN: 1
; COMPUTE_PGM_RSRC2:TGID_Y_EN: 0
; COMPUTE_PGM_RSRC2:TGID_Z_EN: 0
; COMPUTE_PGM_RSRC2:TIDIG_COMP_CNT: 0
; COMPUTE_PGM_RSRC3_GFX90A:ACCUM_OFFSET: 0
; COMPUTE_PGM_RSRC3_GFX90A:TG_SPLIT: 0
	.section	.text._ZN7rocprim17ROCPRIM_400000_NS6detail17trampoline_kernelINS0_14default_configENS1_25partition_config_selectorILNS1_17partition_subalgoE8ElNS0_10empty_typeEbEEZZNS1_14partition_implILS5_8ELb0ES3_jPlPS6_PKS6_NS0_5tupleIJS9_S6_EEENSD_IJSA_SA_EEENS0_18inequality_wrapperIZN2at6native12_GLOBAL__N_124unique_dim_cuda_templateIfEESt5tupleIJNSH_6TensorESM_SM_EERKSM_lbbbEUlllE0_EEPmJS6_EEE10hipError_tPvRmT3_T4_T5_T6_T7_T9_mT8_P12ihipStream_tbDpT10_ENKUlT_T0_E_clISt17integral_constantIbLb1EES1C_EEDaS17_S18_EUlS17_E_NS1_11comp_targetILNS1_3genE3ELNS1_11target_archE908ELNS1_3gpuE7ELNS1_3repE0EEENS1_30default_config_static_selectorELNS0_4arch9wavefront6targetE1EEEvT1_,"axG",@progbits,_ZN7rocprim17ROCPRIM_400000_NS6detail17trampoline_kernelINS0_14default_configENS1_25partition_config_selectorILNS1_17partition_subalgoE8ElNS0_10empty_typeEbEEZZNS1_14partition_implILS5_8ELb0ES3_jPlPS6_PKS6_NS0_5tupleIJS9_S6_EEENSD_IJSA_SA_EEENS0_18inequality_wrapperIZN2at6native12_GLOBAL__N_124unique_dim_cuda_templateIfEESt5tupleIJNSH_6TensorESM_SM_EERKSM_lbbbEUlllE0_EEPmJS6_EEE10hipError_tPvRmT3_T4_T5_T6_T7_T9_mT8_P12ihipStream_tbDpT10_ENKUlT_T0_E_clISt17integral_constantIbLb1EES1C_EEDaS17_S18_EUlS17_E_NS1_11comp_targetILNS1_3genE3ELNS1_11target_archE908ELNS1_3gpuE7ELNS1_3repE0EEENS1_30default_config_static_selectorELNS0_4arch9wavefront6targetE1EEEvT1_,comdat
	.globl	_ZN7rocprim17ROCPRIM_400000_NS6detail17trampoline_kernelINS0_14default_configENS1_25partition_config_selectorILNS1_17partition_subalgoE8ElNS0_10empty_typeEbEEZZNS1_14partition_implILS5_8ELb0ES3_jPlPS6_PKS6_NS0_5tupleIJS9_S6_EEENSD_IJSA_SA_EEENS0_18inequality_wrapperIZN2at6native12_GLOBAL__N_124unique_dim_cuda_templateIfEESt5tupleIJNSH_6TensorESM_SM_EERKSM_lbbbEUlllE0_EEPmJS6_EEE10hipError_tPvRmT3_T4_T5_T6_T7_T9_mT8_P12ihipStream_tbDpT10_ENKUlT_T0_E_clISt17integral_constantIbLb1EES1C_EEDaS17_S18_EUlS17_E_NS1_11comp_targetILNS1_3genE3ELNS1_11target_archE908ELNS1_3gpuE7ELNS1_3repE0EEENS1_30default_config_static_selectorELNS0_4arch9wavefront6targetE1EEEvT1_ ; -- Begin function _ZN7rocprim17ROCPRIM_400000_NS6detail17trampoline_kernelINS0_14default_configENS1_25partition_config_selectorILNS1_17partition_subalgoE8ElNS0_10empty_typeEbEEZZNS1_14partition_implILS5_8ELb0ES3_jPlPS6_PKS6_NS0_5tupleIJS9_S6_EEENSD_IJSA_SA_EEENS0_18inequality_wrapperIZN2at6native12_GLOBAL__N_124unique_dim_cuda_templateIfEESt5tupleIJNSH_6TensorESM_SM_EERKSM_lbbbEUlllE0_EEPmJS6_EEE10hipError_tPvRmT3_T4_T5_T6_T7_T9_mT8_P12ihipStream_tbDpT10_ENKUlT_T0_E_clISt17integral_constantIbLb1EES1C_EEDaS17_S18_EUlS17_E_NS1_11comp_targetILNS1_3genE3ELNS1_11target_archE908ELNS1_3gpuE7ELNS1_3repE0EEENS1_30default_config_static_selectorELNS0_4arch9wavefront6targetE1EEEvT1_
	.p2align	8
	.type	_ZN7rocprim17ROCPRIM_400000_NS6detail17trampoline_kernelINS0_14default_configENS1_25partition_config_selectorILNS1_17partition_subalgoE8ElNS0_10empty_typeEbEEZZNS1_14partition_implILS5_8ELb0ES3_jPlPS6_PKS6_NS0_5tupleIJS9_S6_EEENSD_IJSA_SA_EEENS0_18inequality_wrapperIZN2at6native12_GLOBAL__N_124unique_dim_cuda_templateIfEESt5tupleIJNSH_6TensorESM_SM_EERKSM_lbbbEUlllE0_EEPmJS6_EEE10hipError_tPvRmT3_T4_T5_T6_T7_T9_mT8_P12ihipStream_tbDpT10_ENKUlT_T0_E_clISt17integral_constantIbLb1EES1C_EEDaS17_S18_EUlS17_E_NS1_11comp_targetILNS1_3genE3ELNS1_11target_archE908ELNS1_3gpuE7ELNS1_3repE0EEENS1_30default_config_static_selectorELNS0_4arch9wavefront6targetE1EEEvT1_,@function
_ZN7rocprim17ROCPRIM_400000_NS6detail17trampoline_kernelINS0_14default_configENS1_25partition_config_selectorILNS1_17partition_subalgoE8ElNS0_10empty_typeEbEEZZNS1_14partition_implILS5_8ELb0ES3_jPlPS6_PKS6_NS0_5tupleIJS9_S6_EEENSD_IJSA_SA_EEENS0_18inequality_wrapperIZN2at6native12_GLOBAL__N_124unique_dim_cuda_templateIfEESt5tupleIJNSH_6TensorESM_SM_EERKSM_lbbbEUlllE0_EEPmJS6_EEE10hipError_tPvRmT3_T4_T5_T6_T7_T9_mT8_P12ihipStream_tbDpT10_ENKUlT_T0_E_clISt17integral_constantIbLb1EES1C_EEDaS17_S18_EUlS17_E_NS1_11comp_targetILNS1_3genE3ELNS1_11target_archE908ELNS1_3gpuE7ELNS1_3repE0EEENS1_30default_config_static_selectorELNS0_4arch9wavefront6targetE1EEEvT1_: ; @_ZN7rocprim17ROCPRIM_400000_NS6detail17trampoline_kernelINS0_14default_configENS1_25partition_config_selectorILNS1_17partition_subalgoE8ElNS0_10empty_typeEbEEZZNS1_14partition_implILS5_8ELb0ES3_jPlPS6_PKS6_NS0_5tupleIJS9_S6_EEENSD_IJSA_SA_EEENS0_18inequality_wrapperIZN2at6native12_GLOBAL__N_124unique_dim_cuda_templateIfEESt5tupleIJNSH_6TensorESM_SM_EERKSM_lbbbEUlllE0_EEPmJS6_EEE10hipError_tPvRmT3_T4_T5_T6_T7_T9_mT8_P12ihipStream_tbDpT10_ENKUlT_T0_E_clISt17integral_constantIbLb1EES1C_EEDaS17_S18_EUlS17_E_NS1_11comp_targetILNS1_3genE3ELNS1_11target_archE908ELNS1_3gpuE7ELNS1_3repE0EEENS1_30default_config_static_selectorELNS0_4arch9wavefront6targetE1EEEvT1_
; %bb.0:
	.section	.rodata,"a",@progbits
	.p2align	6, 0x0
	.amdhsa_kernel _ZN7rocprim17ROCPRIM_400000_NS6detail17trampoline_kernelINS0_14default_configENS1_25partition_config_selectorILNS1_17partition_subalgoE8ElNS0_10empty_typeEbEEZZNS1_14partition_implILS5_8ELb0ES3_jPlPS6_PKS6_NS0_5tupleIJS9_S6_EEENSD_IJSA_SA_EEENS0_18inequality_wrapperIZN2at6native12_GLOBAL__N_124unique_dim_cuda_templateIfEESt5tupleIJNSH_6TensorESM_SM_EERKSM_lbbbEUlllE0_EEPmJS6_EEE10hipError_tPvRmT3_T4_T5_T6_T7_T9_mT8_P12ihipStream_tbDpT10_ENKUlT_T0_E_clISt17integral_constantIbLb1EES1C_EEDaS17_S18_EUlS17_E_NS1_11comp_targetILNS1_3genE3ELNS1_11target_archE908ELNS1_3gpuE7ELNS1_3repE0EEENS1_30default_config_static_selectorELNS0_4arch9wavefront6targetE1EEEvT1_
		.amdhsa_group_segment_fixed_size 0
		.amdhsa_private_segment_fixed_size 0
		.amdhsa_kernarg_size 136
		.amdhsa_user_sgpr_count 2
		.amdhsa_user_sgpr_dispatch_ptr 0
		.amdhsa_user_sgpr_queue_ptr 0
		.amdhsa_user_sgpr_kernarg_segment_ptr 1
		.amdhsa_user_sgpr_dispatch_id 0
		.amdhsa_user_sgpr_kernarg_preload_length 0
		.amdhsa_user_sgpr_kernarg_preload_offset 0
		.amdhsa_user_sgpr_private_segment_size 0
		.amdhsa_uses_dynamic_stack 0
		.amdhsa_enable_private_segment 0
		.amdhsa_system_sgpr_workgroup_id_x 1
		.amdhsa_system_sgpr_workgroup_id_y 0
		.amdhsa_system_sgpr_workgroup_id_z 0
		.amdhsa_system_sgpr_workgroup_info 0
		.amdhsa_system_vgpr_workitem_id 0
		.amdhsa_next_free_vgpr 1
		.amdhsa_next_free_sgpr 0
		.amdhsa_accum_offset 4
		.amdhsa_reserve_vcc 0
		.amdhsa_float_round_mode_32 0
		.amdhsa_float_round_mode_16_64 0
		.amdhsa_float_denorm_mode_32 3
		.amdhsa_float_denorm_mode_16_64 3
		.amdhsa_dx10_clamp 1
		.amdhsa_ieee_mode 1
		.amdhsa_fp16_overflow 0
		.amdhsa_tg_split 0
		.amdhsa_exception_fp_ieee_invalid_op 0
		.amdhsa_exception_fp_denorm_src 0
		.amdhsa_exception_fp_ieee_div_zero 0
		.amdhsa_exception_fp_ieee_overflow 0
		.amdhsa_exception_fp_ieee_underflow 0
		.amdhsa_exception_fp_ieee_inexact 0
		.amdhsa_exception_int_div_zero 0
	.end_amdhsa_kernel
	.section	.text._ZN7rocprim17ROCPRIM_400000_NS6detail17trampoline_kernelINS0_14default_configENS1_25partition_config_selectorILNS1_17partition_subalgoE8ElNS0_10empty_typeEbEEZZNS1_14partition_implILS5_8ELb0ES3_jPlPS6_PKS6_NS0_5tupleIJS9_S6_EEENSD_IJSA_SA_EEENS0_18inequality_wrapperIZN2at6native12_GLOBAL__N_124unique_dim_cuda_templateIfEESt5tupleIJNSH_6TensorESM_SM_EERKSM_lbbbEUlllE0_EEPmJS6_EEE10hipError_tPvRmT3_T4_T5_T6_T7_T9_mT8_P12ihipStream_tbDpT10_ENKUlT_T0_E_clISt17integral_constantIbLb1EES1C_EEDaS17_S18_EUlS17_E_NS1_11comp_targetILNS1_3genE3ELNS1_11target_archE908ELNS1_3gpuE7ELNS1_3repE0EEENS1_30default_config_static_selectorELNS0_4arch9wavefront6targetE1EEEvT1_,"axG",@progbits,_ZN7rocprim17ROCPRIM_400000_NS6detail17trampoline_kernelINS0_14default_configENS1_25partition_config_selectorILNS1_17partition_subalgoE8ElNS0_10empty_typeEbEEZZNS1_14partition_implILS5_8ELb0ES3_jPlPS6_PKS6_NS0_5tupleIJS9_S6_EEENSD_IJSA_SA_EEENS0_18inequality_wrapperIZN2at6native12_GLOBAL__N_124unique_dim_cuda_templateIfEESt5tupleIJNSH_6TensorESM_SM_EERKSM_lbbbEUlllE0_EEPmJS6_EEE10hipError_tPvRmT3_T4_T5_T6_T7_T9_mT8_P12ihipStream_tbDpT10_ENKUlT_T0_E_clISt17integral_constantIbLb1EES1C_EEDaS17_S18_EUlS17_E_NS1_11comp_targetILNS1_3genE3ELNS1_11target_archE908ELNS1_3gpuE7ELNS1_3repE0EEENS1_30default_config_static_selectorELNS0_4arch9wavefront6targetE1EEEvT1_,comdat
.Lfunc_end947:
	.size	_ZN7rocprim17ROCPRIM_400000_NS6detail17trampoline_kernelINS0_14default_configENS1_25partition_config_selectorILNS1_17partition_subalgoE8ElNS0_10empty_typeEbEEZZNS1_14partition_implILS5_8ELb0ES3_jPlPS6_PKS6_NS0_5tupleIJS9_S6_EEENSD_IJSA_SA_EEENS0_18inequality_wrapperIZN2at6native12_GLOBAL__N_124unique_dim_cuda_templateIfEESt5tupleIJNSH_6TensorESM_SM_EERKSM_lbbbEUlllE0_EEPmJS6_EEE10hipError_tPvRmT3_T4_T5_T6_T7_T9_mT8_P12ihipStream_tbDpT10_ENKUlT_T0_E_clISt17integral_constantIbLb1EES1C_EEDaS17_S18_EUlS17_E_NS1_11comp_targetILNS1_3genE3ELNS1_11target_archE908ELNS1_3gpuE7ELNS1_3repE0EEENS1_30default_config_static_selectorELNS0_4arch9wavefront6targetE1EEEvT1_, .Lfunc_end947-_ZN7rocprim17ROCPRIM_400000_NS6detail17trampoline_kernelINS0_14default_configENS1_25partition_config_selectorILNS1_17partition_subalgoE8ElNS0_10empty_typeEbEEZZNS1_14partition_implILS5_8ELb0ES3_jPlPS6_PKS6_NS0_5tupleIJS9_S6_EEENSD_IJSA_SA_EEENS0_18inequality_wrapperIZN2at6native12_GLOBAL__N_124unique_dim_cuda_templateIfEESt5tupleIJNSH_6TensorESM_SM_EERKSM_lbbbEUlllE0_EEPmJS6_EEE10hipError_tPvRmT3_T4_T5_T6_T7_T9_mT8_P12ihipStream_tbDpT10_ENKUlT_T0_E_clISt17integral_constantIbLb1EES1C_EEDaS17_S18_EUlS17_E_NS1_11comp_targetILNS1_3genE3ELNS1_11target_archE908ELNS1_3gpuE7ELNS1_3repE0EEENS1_30default_config_static_selectorELNS0_4arch9wavefront6targetE1EEEvT1_
                                        ; -- End function
	.section	.AMDGPU.csdata,"",@progbits
; Kernel info:
; codeLenInByte = 0
; NumSgprs: 6
; NumVgprs: 0
; NumAgprs: 0
; TotalNumVgprs: 0
; ScratchSize: 0
; MemoryBound: 0
; FloatMode: 240
; IeeeMode: 1
; LDSByteSize: 0 bytes/workgroup (compile time only)
; SGPRBlocks: 0
; VGPRBlocks: 0
; NumSGPRsForWavesPerEU: 6
; NumVGPRsForWavesPerEU: 1
; AccumOffset: 4
; Occupancy: 8
; WaveLimiterHint : 0
; COMPUTE_PGM_RSRC2:SCRATCH_EN: 0
; COMPUTE_PGM_RSRC2:USER_SGPR: 2
; COMPUTE_PGM_RSRC2:TRAP_HANDLER: 0
; COMPUTE_PGM_RSRC2:TGID_X_EN: 1
; COMPUTE_PGM_RSRC2:TGID_Y_EN: 0
; COMPUTE_PGM_RSRC2:TGID_Z_EN: 0
; COMPUTE_PGM_RSRC2:TIDIG_COMP_CNT: 0
; COMPUTE_PGM_RSRC3_GFX90A:ACCUM_OFFSET: 0
; COMPUTE_PGM_RSRC3_GFX90A:TG_SPLIT: 0
	.section	.text._ZN7rocprim17ROCPRIM_400000_NS6detail17trampoline_kernelINS0_14default_configENS1_25partition_config_selectorILNS1_17partition_subalgoE8ElNS0_10empty_typeEbEEZZNS1_14partition_implILS5_8ELb0ES3_jPlPS6_PKS6_NS0_5tupleIJS9_S6_EEENSD_IJSA_SA_EEENS0_18inequality_wrapperIZN2at6native12_GLOBAL__N_124unique_dim_cuda_templateIfEESt5tupleIJNSH_6TensorESM_SM_EERKSM_lbbbEUlllE0_EEPmJS6_EEE10hipError_tPvRmT3_T4_T5_T6_T7_T9_mT8_P12ihipStream_tbDpT10_ENKUlT_T0_E_clISt17integral_constantIbLb1EES1C_EEDaS17_S18_EUlS17_E_NS1_11comp_targetILNS1_3genE2ELNS1_11target_archE906ELNS1_3gpuE6ELNS1_3repE0EEENS1_30default_config_static_selectorELNS0_4arch9wavefront6targetE1EEEvT1_,"axG",@progbits,_ZN7rocprim17ROCPRIM_400000_NS6detail17trampoline_kernelINS0_14default_configENS1_25partition_config_selectorILNS1_17partition_subalgoE8ElNS0_10empty_typeEbEEZZNS1_14partition_implILS5_8ELb0ES3_jPlPS6_PKS6_NS0_5tupleIJS9_S6_EEENSD_IJSA_SA_EEENS0_18inequality_wrapperIZN2at6native12_GLOBAL__N_124unique_dim_cuda_templateIfEESt5tupleIJNSH_6TensorESM_SM_EERKSM_lbbbEUlllE0_EEPmJS6_EEE10hipError_tPvRmT3_T4_T5_T6_T7_T9_mT8_P12ihipStream_tbDpT10_ENKUlT_T0_E_clISt17integral_constantIbLb1EES1C_EEDaS17_S18_EUlS17_E_NS1_11comp_targetILNS1_3genE2ELNS1_11target_archE906ELNS1_3gpuE6ELNS1_3repE0EEENS1_30default_config_static_selectorELNS0_4arch9wavefront6targetE1EEEvT1_,comdat
	.globl	_ZN7rocprim17ROCPRIM_400000_NS6detail17trampoline_kernelINS0_14default_configENS1_25partition_config_selectorILNS1_17partition_subalgoE8ElNS0_10empty_typeEbEEZZNS1_14partition_implILS5_8ELb0ES3_jPlPS6_PKS6_NS0_5tupleIJS9_S6_EEENSD_IJSA_SA_EEENS0_18inequality_wrapperIZN2at6native12_GLOBAL__N_124unique_dim_cuda_templateIfEESt5tupleIJNSH_6TensorESM_SM_EERKSM_lbbbEUlllE0_EEPmJS6_EEE10hipError_tPvRmT3_T4_T5_T6_T7_T9_mT8_P12ihipStream_tbDpT10_ENKUlT_T0_E_clISt17integral_constantIbLb1EES1C_EEDaS17_S18_EUlS17_E_NS1_11comp_targetILNS1_3genE2ELNS1_11target_archE906ELNS1_3gpuE6ELNS1_3repE0EEENS1_30default_config_static_selectorELNS0_4arch9wavefront6targetE1EEEvT1_ ; -- Begin function _ZN7rocprim17ROCPRIM_400000_NS6detail17trampoline_kernelINS0_14default_configENS1_25partition_config_selectorILNS1_17partition_subalgoE8ElNS0_10empty_typeEbEEZZNS1_14partition_implILS5_8ELb0ES3_jPlPS6_PKS6_NS0_5tupleIJS9_S6_EEENSD_IJSA_SA_EEENS0_18inequality_wrapperIZN2at6native12_GLOBAL__N_124unique_dim_cuda_templateIfEESt5tupleIJNSH_6TensorESM_SM_EERKSM_lbbbEUlllE0_EEPmJS6_EEE10hipError_tPvRmT3_T4_T5_T6_T7_T9_mT8_P12ihipStream_tbDpT10_ENKUlT_T0_E_clISt17integral_constantIbLb1EES1C_EEDaS17_S18_EUlS17_E_NS1_11comp_targetILNS1_3genE2ELNS1_11target_archE906ELNS1_3gpuE6ELNS1_3repE0EEENS1_30default_config_static_selectorELNS0_4arch9wavefront6targetE1EEEvT1_
	.p2align	8
	.type	_ZN7rocprim17ROCPRIM_400000_NS6detail17trampoline_kernelINS0_14default_configENS1_25partition_config_selectorILNS1_17partition_subalgoE8ElNS0_10empty_typeEbEEZZNS1_14partition_implILS5_8ELb0ES3_jPlPS6_PKS6_NS0_5tupleIJS9_S6_EEENSD_IJSA_SA_EEENS0_18inequality_wrapperIZN2at6native12_GLOBAL__N_124unique_dim_cuda_templateIfEESt5tupleIJNSH_6TensorESM_SM_EERKSM_lbbbEUlllE0_EEPmJS6_EEE10hipError_tPvRmT3_T4_T5_T6_T7_T9_mT8_P12ihipStream_tbDpT10_ENKUlT_T0_E_clISt17integral_constantIbLb1EES1C_EEDaS17_S18_EUlS17_E_NS1_11comp_targetILNS1_3genE2ELNS1_11target_archE906ELNS1_3gpuE6ELNS1_3repE0EEENS1_30default_config_static_selectorELNS0_4arch9wavefront6targetE1EEEvT1_,@function
_ZN7rocprim17ROCPRIM_400000_NS6detail17trampoline_kernelINS0_14default_configENS1_25partition_config_selectorILNS1_17partition_subalgoE8ElNS0_10empty_typeEbEEZZNS1_14partition_implILS5_8ELb0ES3_jPlPS6_PKS6_NS0_5tupleIJS9_S6_EEENSD_IJSA_SA_EEENS0_18inequality_wrapperIZN2at6native12_GLOBAL__N_124unique_dim_cuda_templateIfEESt5tupleIJNSH_6TensorESM_SM_EERKSM_lbbbEUlllE0_EEPmJS6_EEE10hipError_tPvRmT3_T4_T5_T6_T7_T9_mT8_P12ihipStream_tbDpT10_ENKUlT_T0_E_clISt17integral_constantIbLb1EES1C_EEDaS17_S18_EUlS17_E_NS1_11comp_targetILNS1_3genE2ELNS1_11target_archE906ELNS1_3gpuE6ELNS1_3repE0EEENS1_30default_config_static_selectorELNS0_4arch9wavefront6targetE1EEEvT1_: ; @_ZN7rocprim17ROCPRIM_400000_NS6detail17trampoline_kernelINS0_14default_configENS1_25partition_config_selectorILNS1_17partition_subalgoE8ElNS0_10empty_typeEbEEZZNS1_14partition_implILS5_8ELb0ES3_jPlPS6_PKS6_NS0_5tupleIJS9_S6_EEENSD_IJSA_SA_EEENS0_18inequality_wrapperIZN2at6native12_GLOBAL__N_124unique_dim_cuda_templateIfEESt5tupleIJNSH_6TensorESM_SM_EERKSM_lbbbEUlllE0_EEPmJS6_EEE10hipError_tPvRmT3_T4_T5_T6_T7_T9_mT8_P12ihipStream_tbDpT10_ENKUlT_T0_E_clISt17integral_constantIbLb1EES1C_EEDaS17_S18_EUlS17_E_NS1_11comp_targetILNS1_3genE2ELNS1_11target_archE906ELNS1_3gpuE6ELNS1_3repE0EEENS1_30default_config_static_selectorELNS0_4arch9wavefront6targetE1EEEvT1_
; %bb.0:
	.section	.rodata,"a",@progbits
	.p2align	6, 0x0
	.amdhsa_kernel _ZN7rocprim17ROCPRIM_400000_NS6detail17trampoline_kernelINS0_14default_configENS1_25partition_config_selectorILNS1_17partition_subalgoE8ElNS0_10empty_typeEbEEZZNS1_14partition_implILS5_8ELb0ES3_jPlPS6_PKS6_NS0_5tupleIJS9_S6_EEENSD_IJSA_SA_EEENS0_18inequality_wrapperIZN2at6native12_GLOBAL__N_124unique_dim_cuda_templateIfEESt5tupleIJNSH_6TensorESM_SM_EERKSM_lbbbEUlllE0_EEPmJS6_EEE10hipError_tPvRmT3_T4_T5_T6_T7_T9_mT8_P12ihipStream_tbDpT10_ENKUlT_T0_E_clISt17integral_constantIbLb1EES1C_EEDaS17_S18_EUlS17_E_NS1_11comp_targetILNS1_3genE2ELNS1_11target_archE906ELNS1_3gpuE6ELNS1_3repE0EEENS1_30default_config_static_selectorELNS0_4arch9wavefront6targetE1EEEvT1_
		.amdhsa_group_segment_fixed_size 0
		.amdhsa_private_segment_fixed_size 0
		.amdhsa_kernarg_size 136
		.amdhsa_user_sgpr_count 2
		.amdhsa_user_sgpr_dispatch_ptr 0
		.amdhsa_user_sgpr_queue_ptr 0
		.amdhsa_user_sgpr_kernarg_segment_ptr 1
		.amdhsa_user_sgpr_dispatch_id 0
		.amdhsa_user_sgpr_kernarg_preload_length 0
		.amdhsa_user_sgpr_kernarg_preload_offset 0
		.amdhsa_user_sgpr_private_segment_size 0
		.amdhsa_uses_dynamic_stack 0
		.amdhsa_enable_private_segment 0
		.amdhsa_system_sgpr_workgroup_id_x 1
		.amdhsa_system_sgpr_workgroup_id_y 0
		.amdhsa_system_sgpr_workgroup_id_z 0
		.amdhsa_system_sgpr_workgroup_info 0
		.amdhsa_system_vgpr_workitem_id 0
		.amdhsa_next_free_vgpr 1
		.amdhsa_next_free_sgpr 0
		.amdhsa_accum_offset 4
		.amdhsa_reserve_vcc 0
		.amdhsa_float_round_mode_32 0
		.amdhsa_float_round_mode_16_64 0
		.amdhsa_float_denorm_mode_32 3
		.amdhsa_float_denorm_mode_16_64 3
		.amdhsa_dx10_clamp 1
		.amdhsa_ieee_mode 1
		.amdhsa_fp16_overflow 0
		.amdhsa_tg_split 0
		.amdhsa_exception_fp_ieee_invalid_op 0
		.amdhsa_exception_fp_denorm_src 0
		.amdhsa_exception_fp_ieee_div_zero 0
		.amdhsa_exception_fp_ieee_overflow 0
		.amdhsa_exception_fp_ieee_underflow 0
		.amdhsa_exception_fp_ieee_inexact 0
		.amdhsa_exception_int_div_zero 0
	.end_amdhsa_kernel
	.section	.text._ZN7rocprim17ROCPRIM_400000_NS6detail17trampoline_kernelINS0_14default_configENS1_25partition_config_selectorILNS1_17partition_subalgoE8ElNS0_10empty_typeEbEEZZNS1_14partition_implILS5_8ELb0ES3_jPlPS6_PKS6_NS0_5tupleIJS9_S6_EEENSD_IJSA_SA_EEENS0_18inequality_wrapperIZN2at6native12_GLOBAL__N_124unique_dim_cuda_templateIfEESt5tupleIJNSH_6TensorESM_SM_EERKSM_lbbbEUlllE0_EEPmJS6_EEE10hipError_tPvRmT3_T4_T5_T6_T7_T9_mT8_P12ihipStream_tbDpT10_ENKUlT_T0_E_clISt17integral_constantIbLb1EES1C_EEDaS17_S18_EUlS17_E_NS1_11comp_targetILNS1_3genE2ELNS1_11target_archE906ELNS1_3gpuE6ELNS1_3repE0EEENS1_30default_config_static_selectorELNS0_4arch9wavefront6targetE1EEEvT1_,"axG",@progbits,_ZN7rocprim17ROCPRIM_400000_NS6detail17trampoline_kernelINS0_14default_configENS1_25partition_config_selectorILNS1_17partition_subalgoE8ElNS0_10empty_typeEbEEZZNS1_14partition_implILS5_8ELb0ES3_jPlPS6_PKS6_NS0_5tupleIJS9_S6_EEENSD_IJSA_SA_EEENS0_18inequality_wrapperIZN2at6native12_GLOBAL__N_124unique_dim_cuda_templateIfEESt5tupleIJNSH_6TensorESM_SM_EERKSM_lbbbEUlllE0_EEPmJS6_EEE10hipError_tPvRmT3_T4_T5_T6_T7_T9_mT8_P12ihipStream_tbDpT10_ENKUlT_T0_E_clISt17integral_constantIbLb1EES1C_EEDaS17_S18_EUlS17_E_NS1_11comp_targetILNS1_3genE2ELNS1_11target_archE906ELNS1_3gpuE6ELNS1_3repE0EEENS1_30default_config_static_selectorELNS0_4arch9wavefront6targetE1EEEvT1_,comdat
.Lfunc_end948:
	.size	_ZN7rocprim17ROCPRIM_400000_NS6detail17trampoline_kernelINS0_14default_configENS1_25partition_config_selectorILNS1_17partition_subalgoE8ElNS0_10empty_typeEbEEZZNS1_14partition_implILS5_8ELb0ES3_jPlPS6_PKS6_NS0_5tupleIJS9_S6_EEENSD_IJSA_SA_EEENS0_18inequality_wrapperIZN2at6native12_GLOBAL__N_124unique_dim_cuda_templateIfEESt5tupleIJNSH_6TensorESM_SM_EERKSM_lbbbEUlllE0_EEPmJS6_EEE10hipError_tPvRmT3_T4_T5_T6_T7_T9_mT8_P12ihipStream_tbDpT10_ENKUlT_T0_E_clISt17integral_constantIbLb1EES1C_EEDaS17_S18_EUlS17_E_NS1_11comp_targetILNS1_3genE2ELNS1_11target_archE906ELNS1_3gpuE6ELNS1_3repE0EEENS1_30default_config_static_selectorELNS0_4arch9wavefront6targetE1EEEvT1_, .Lfunc_end948-_ZN7rocprim17ROCPRIM_400000_NS6detail17trampoline_kernelINS0_14default_configENS1_25partition_config_selectorILNS1_17partition_subalgoE8ElNS0_10empty_typeEbEEZZNS1_14partition_implILS5_8ELb0ES3_jPlPS6_PKS6_NS0_5tupleIJS9_S6_EEENSD_IJSA_SA_EEENS0_18inequality_wrapperIZN2at6native12_GLOBAL__N_124unique_dim_cuda_templateIfEESt5tupleIJNSH_6TensorESM_SM_EERKSM_lbbbEUlllE0_EEPmJS6_EEE10hipError_tPvRmT3_T4_T5_T6_T7_T9_mT8_P12ihipStream_tbDpT10_ENKUlT_T0_E_clISt17integral_constantIbLb1EES1C_EEDaS17_S18_EUlS17_E_NS1_11comp_targetILNS1_3genE2ELNS1_11target_archE906ELNS1_3gpuE6ELNS1_3repE0EEENS1_30default_config_static_selectorELNS0_4arch9wavefront6targetE1EEEvT1_
                                        ; -- End function
	.section	.AMDGPU.csdata,"",@progbits
; Kernel info:
; codeLenInByte = 0
; NumSgprs: 6
; NumVgprs: 0
; NumAgprs: 0
; TotalNumVgprs: 0
; ScratchSize: 0
; MemoryBound: 0
; FloatMode: 240
; IeeeMode: 1
; LDSByteSize: 0 bytes/workgroup (compile time only)
; SGPRBlocks: 0
; VGPRBlocks: 0
; NumSGPRsForWavesPerEU: 6
; NumVGPRsForWavesPerEU: 1
; AccumOffset: 4
; Occupancy: 8
; WaveLimiterHint : 0
; COMPUTE_PGM_RSRC2:SCRATCH_EN: 0
; COMPUTE_PGM_RSRC2:USER_SGPR: 2
; COMPUTE_PGM_RSRC2:TRAP_HANDLER: 0
; COMPUTE_PGM_RSRC2:TGID_X_EN: 1
; COMPUTE_PGM_RSRC2:TGID_Y_EN: 0
; COMPUTE_PGM_RSRC2:TGID_Z_EN: 0
; COMPUTE_PGM_RSRC2:TIDIG_COMP_CNT: 0
; COMPUTE_PGM_RSRC3_GFX90A:ACCUM_OFFSET: 0
; COMPUTE_PGM_RSRC3_GFX90A:TG_SPLIT: 0
	.section	.text._ZN7rocprim17ROCPRIM_400000_NS6detail17trampoline_kernelINS0_14default_configENS1_25partition_config_selectorILNS1_17partition_subalgoE8ElNS0_10empty_typeEbEEZZNS1_14partition_implILS5_8ELb0ES3_jPlPS6_PKS6_NS0_5tupleIJS9_S6_EEENSD_IJSA_SA_EEENS0_18inequality_wrapperIZN2at6native12_GLOBAL__N_124unique_dim_cuda_templateIfEESt5tupleIJNSH_6TensorESM_SM_EERKSM_lbbbEUlllE0_EEPmJS6_EEE10hipError_tPvRmT3_T4_T5_T6_T7_T9_mT8_P12ihipStream_tbDpT10_ENKUlT_T0_E_clISt17integral_constantIbLb1EES1C_EEDaS17_S18_EUlS17_E_NS1_11comp_targetILNS1_3genE10ELNS1_11target_archE1200ELNS1_3gpuE4ELNS1_3repE0EEENS1_30default_config_static_selectorELNS0_4arch9wavefront6targetE1EEEvT1_,"axG",@progbits,_ZN7rocprim17ROCPRIM_400000_NS6detail17trampoline_kernelINS0_14default_configENS1_25partition_config_selectorILNS1_17partition_subalgoE8ElNS0_10empty_typeEbEEZZNS1_14partition_implILS5_8ELb0ES3_jPlPS6_PKS6_NS0_5tupleIJS9_S6_EEENSD_IJSA_SA_EEENS0_18inequality_wrapperIZN2at6native12_GLOBAL__N_124unique_dim_cuda_templateIfEESt5tupleIJNSH_6TensorESM_SM_EERKSM_lbbbEUlllE0_EEPmJS6_EEE10hipError_tPvRmT3_T4_T5_T6_T7_T9_mT8_P12ihipStream_tbDpT10_ENKUlT_T0_E_clISt17integral_constantIbLb1EES1C_EEDaS17_S18_EUlS17_E_NS1_11comp_targetILNS1_3genE10ELNS1_11target_archE1200ELNS1_3gpuE4ELNS1_3repE0EEENS1_30default_config_static_selectorELNS0_4arch9wavefront6targetE1EEEvT1_,comdat
	.globl	_ZN7rocprim17ROCPRIM_400000_NS6detail17trampoline_kernelINS0_14default_configENS1_25partition_config_selectorILNS1_17partition_subalgoE8ElNS0_10empty_typeEbEEZZNS1_14partition_implILS5_8ELb0ES3_jPlPS6_PKS6_NS0_5tupleIJS9_S6_EEENSD_IJSA_SA_EEENS0_18inequality_wrapperIZN2at6native12_GLOBAL__N_124unique_dim_cuda_templateIfEESt5tupleIJNSH_6TensorESM_SM_EERKSM_lbbbEUlllE0_EEPmJS6_EEE10hipError_tPvRmT3_T4_T5_T6_T7_T9_mT8_P12ihipStream_tbDpT10_ENKUlT_T0_E_clISt17integral_constantIbLb1EES1C_EEDaS17_S18_EUlS17_E_NS1_11comp_targetILNS1_3genE10ELNS1_11target_archE1200ELNS1_3gpuE4ELNS1_3repE0EEENS1_30default_config_static_selectorELNS0_4arch9wavefront6targetE1EEEvT1_ ; -- Begin function _ZN7rocprim17ROCPRIM_400000_NS6detail17trampoline_kernelINS0_14default_configENS1_25partition_config_selectorILNS1_17partition_subalgoE8ElNS0_10empty_typeEbEEZZNS1_14partition_implILS5_8ELb0ES3_jPlPS6_PKS6_NS0_5tupleIJS9_S6_EEENSD_IJSA_SA_EEENS0_18inequality_wrapperIZN2at6native12_GLOBAL__N_124unique_dim_cuda_templateIfEESt5tupleIJNSH_6TensorESM_SM_EERKSM_lbbbEUlllE0_EEPmJS6_EEE10hipError_tPvRmT3_T4_T5_T6_T7_T9_mT8_P12ihipStream_tbDpT10_ENKUlT_T0_E_clISt17integral_constantIbLb1EES1C_EEDaS17_S18_EUlS17_E_NS1_11comp_targetILNS1_3genE10ELNS1_11target_archE1200ELNS1_3gpuE4ELNS1_3repE0EEENS1_30default_config_static_selectorELNS0_4arch9wavefront6targetE1EEEvT1_
	.p2align	8
	.type	_ZN7rocprim17ROCPRIM_400000_NS6detail17trampoline_kernelINS0_14default_configENS1_25partition_config_selectorILNS1_17partition_subalgoE8ElNS0_10empty_typeEbEEZZNS1_14partition_implILS5_8ELb0ES3_jPlPS6_PKS6_NS0_5tupleIJS9_S6_EEENSD_IJSA_SA_EEENS0_18inequality_wrapperIZN2at6native12_GLOBAL__N_124unique_dim_cuda_templateIfEESt5tupleIJNSH_6TensorESM_SM_EERKSM_lbbbEUlllE0_EEPmJS6_EEE10hipError_tPvRmT3_T4_T5_T6_T7_T9_mT8_P12ihipStream_tbDpT10_ENKUlT_T0_E_clISt17integral_constantIbLb1EES1C_EEDaS17_S18_EUlS17_E_NS1_11comp_targetILNS1_3genE10ELNS1_11target_archE1200ELNS1_3gpuE4ELNS1_3repE0EEENS1_30default_config_static_selectorELNS0_4arch9wavefront6targetE1EEEvT1_,@function
_ZN7rocprim17ROCPRIM_400000_NS6detail17trampoline_kernelINS0_14default_configENS1_25partition_config_selectorILNS1_17partition_subalgoE8ElNS0_10empty_typeEbEEZZNS1_14partition_implILS5_8ELb0ES3_jPlPS6_PKS6_NS0_5tupleIJS9_S6_EEENSD_IJSA_SA_EEENS0_18inequality_wrapperIZN2at6native12_GLOBAL__N_124unique_dim_cuda_templateIfEESt5tupleIJNSH_6TensorESM_SM_EERKSM_lbbbEUlllE0_EEPmJS6_EEE10hipError_tPvRmT3_T4_T5_T6_T7_T9_mT8_P12ihipStream_tbDpT10_ENKUlT_T0_E_clISt17integral_constantIbLb1EES1C_EEDaS17_S18_EUlS17_E_NS1_11comp_targetILNS1_3genE10ELNS1_11target_archE1200ELNS1_3gpuE4ELNS1_3repE0EEENS1_30default_config_static_selectorELNS0_4arch9wavefront6targetE1EEEvT1_: ; @_ZN7rocprim17ROCPRIM_400000_NS6detail17trampoline_kernelINS0_14default_configENS1_25partition_config_selectorILNS1_17partition_subalgoE8ElNS0_10empty_typeEbEEZZNS1_14partition_implILS5_8ELb0ES3_jPlPS6_PKS6_NS0_5tupleIJS9_S6_EEENSD_IJSA_SA_EEENS0_18inequality_wrapperIZN2at6native12_GLOBAL__N_124unique_dim_cuda_templateIfEESt5tupleIJNSH_6TensorESM_SM_EERKSM_lbbbEUlllE0_EEPmJS6_EEE10hipError_tPvRmT3_T4_T5_T6_T7_T9_mT8_P12ihipStream_tbDpT10_ENKUlT_T0_E_clISt17integral_constantIbLb1EES1C_EEDaS17_S18_EUlS17_E_NS1_11comp_targetILNS1_3genE10ELNS1_11target_archE1200ELNS1_3gpuE4ELNS1_3repE0EEENS1_30default_config_static_selectorELNS0_4arch9wavefront6targetE1EEEvT1_
; %bb.0:
	.section	.rodata,"a",@progbits
	.p2align	6, 0x0
	.amdhsa_kernel _ZN7rocprim17ROCPRIM_400000_NS6detail17trampoline_kernelINS0_14default_configENS1_25partition_config_selectorILNS1_17partition_subalgoE8ElNS0_10empty_typeEbEEZZNS1_14partition_implILS5_8ELb0ES3_jPlPS6_PKS6_NS0_5tupleIJS9_S6_EEENSD_IJSA_SA_EEENS0_18inequality_wrapperIZN2at6native12_GLOBAL__N_124unique_dim_cuda_templateIfEESt5tupleIJNSH_6TensorESM_SM_EERKSM_lbbbEUlllE0_EEPmJS6_EEE10hipError_tPvRmT3_T4_T5_T6_T7_T9_mT8_P12ihipStream_tbDpT10_ENKUlT_T0_E_clISt17integral_constantIbLb1EES1C_EEDaS17_S18_EUlS17_E_NS1_11comp_targetILNS1_3genE10ELNS1_11target_archE1200ELNS1_3gpuE4ELNS1_3repE0EEENS1_30default_config_static_selectorELNS0_4arch9wavefront6targetE1EEEvT1_
		.amdhsa_group_segment_fixed_size 0
		.amdhsa_private_segment_fixed_size 0
		.amdhsa_kernarg_size 136
		.amdhsa_user_sgpr_count 2
		.amdhsa_user_sgpr_dispatch_ptr 0
		.amdhsa_user_sgpr_queue_ptr 0
		.amdhsa_user_sgpr_kernarg_segment_ptr 1
		.amdhsa_user_sgpr_dispatch_id 0
		.amdhsa_user_sgpr_kernarg_preload_length 0
		.amdhsa_user_sgpr_kernarg_preload_offset 0
		.amdhsa_user_sgpr_private_segment_size 0
		.amdhsa_uses_dynamic_stack 0
		.amdhsa_enable_private_segment 0
		.amdhsa_system_sgpr_workgroup_id_x 1
		.amdhsa_system_sgpr_workgroup_id_y 0
		.amdhsa_system_sgpr_workgroup_id_z 0
		.amdhsa_system_sgpr_workgroup_info 0
		.amdhsa_system_vgpr_workitem_id 0
		.amdhsa_next_free_vgpr 1
		.amdhsa_next_free_sgpr 0
		.amdhsa_accum_offset 4
		.amdhsa_reserve_vcc 0
		.amdhsa_float_round_mode_32 0
		.amdhsa_float_round_mode_16_64 0
		.amdhsa_float_denorm_mode_32 3
		.amdhsa_float_denorm_mode_16_64 3
		.amdhsa_dx10_clamp 1
		.amdhsa_ieee_mode 1
		.amdhsa_fp16_overflow 0
		.amdhsa_tg_split 0
		.amdhsa_exception_fp_ieee_invalid_op 0
		.amdhsa_exception_fp_denorm_src 0
		.amdhsa_exception_fp_ieee_div_zero 0
		.amdhsa_exception_fp_ieee_overflow 0
		.amdhsa_exception_fp_ieee_underflow 0
		.amdhsa_exception_fp_ieee_inexact 0
		.amdhsa_exception_int_div_zero 0
	.end_amdhsa_kernel
	.section	.text._ZN7rocprim17ROCPRIM_400000_NS6detail17trampoline_kernelINS0_14default_configENS1_25partition_config_selectorILNS1_17partition_subalgoE8ElNS0_10empty_typeEbEEZZNS1_14partition_implILS5_8ELb0ES3_jPlPS6_PKS6_NS0_5tupleIJS9_S6_EEENSD_IJSA_SA_EEENS0_18inequality_wrapperIZN2at6native12_GLOBAL__N_124unique_dim_cuda_templateIfEESt5tupleIJNSH_6TensorESM_SM_EERKSM_lbbbEUlllE0_EEPmJS6_EEE10hipError_tPvRmT3_T4_T5_T6_T7_T9_mT8_P12ihipStream_tbDpT10_ENKUlT_T0_E_clISt17integral_constantIbLb1EES1C_EEDaS17_S18_EUlS17_E_NS1_11comp_targetILNS1_3genE10ELNS1_11target_archE1200ELNS1_3gpuE4ELNS1_3repE0EEENS1_30default_config_static_selectorELNS0_4arch9wavefront6targetE1EEEvT1_,"axG",@progbits,_ZN7rocprim17ROCPRIM_400000_NS6detail17trampoline_kernelINS0_14default_configENS1_25partition_config_selectorILNS1_17partition_subalgoE8ElNS0_10empty_typeEbEEZZNS1_14partition_implILS5_8ELb0ES3_jPlPS6_PKS6_NS0_5tupleIJS9_S6_EEENSD_IJSA_SA_EEENS0_18inequality_wrapperIZN2at6native12_GLOBAL__N_124unique_dim_cuda_templateIfEESt5tupleIJNSH_6TensorESM_SM_EERKSM_lbbbEUlllE0_EEPmJS6_EEE10hipError_tPvRmT3_T4_T5_T6_T7_T9_mT8_P12ihipStream_tbDpT10_ENKUlT_T0_E_clISt17integral_constantIbLb1EES1C_EEDaS17_S18_EUlS17_E_NS1_11comp_targetILNS1_3genE10ELNS1_11target_archE1200ELNS1_3gpuE4ELNS1_3repE0EEENS1_30default_config_static_selectorELNS0_4arch9wavefront6targetE1EEEvT1_,comdat
.Lfunc_end949:
	.size	_ZN7rocprim17ROCPRIM_400000_NS6detail17trampoline_kernelINS0_14default_configENS1_25partition_config_selectorILNS1_17partition_subalgoE8ElNS0_10empty_typeEbEEZZNS1_14partition_implILS5_8ELb0ES3_jPlPS6_PKS6_NS0_5tupleIJS9_S6_EEENSD_IJSA_SA_EEENS0_18inequality_wrapperIZN2at6native12_GLOBAL__N_124unique_dim_cuda_templateIfEESt5tupleIJNSH_6TensorESM_SM_EERKSM_lbbbEUlllE0_EEPmJS6_EEE10hipError_tPvRmT3_T4_T5_T6_T7_T9_mT8_P12ihipStream_tbDpT10_ENKUlT_T0_E_clISt17integral_constantIbLb1EES1C_EEDaS17_S18_EUlS17_E_NS1_11comp_targetILNS1_3genE10ELNS1_11target_archE1200ELNS1_3gpuE4ELNS1_3repE0EEENS1_30default_config_static_selectorELNS0_4arch9wavefront6targetE1EEEvT1_, .Lfunc_end949-_ZN7rocprim17ROCPRIM_400000_NS6detail17trampoline_kernelINS0_14default_configENS1_25partition_config_selectorILNS1_17partition_subalgoE8ElNS0_10empty_typeEbEEZZNS1_14partition_implILS5_8ELb0ES3_jPlPS6_PKS6_NS0_5tupleIJS9_S6_EEENSD_IJSA_SA_EEENS0_18inequality_wrapperIZN2at6native12_GLOBAL__N_124unique_dim_cuda_templateIfEESt5tupleIJNSH_6TensorESM_SM_EERKSM_lbbbEUlllE0_EEPmJS6_EEE10hipError_tPvRmT3_T4_T5_T6_T7_T9_mT8_P12ihipStream_tbDpT10_ENKUlT_T0_E_clISt17integral_constantIbLb1EES1C_EEDaS17_S18_EUlS17_E_NS1_11comp_targetILNS1_3genE10ELNS1_11target_archE1200ELNS1_3gpuE4ELNS1_3repE0EEENS1_30default_config_static_selectorELNS0_4arch9wavefront6targetE1EEEvT1_
                                        ; -- End function
	.section	.AMDGPU.csdata,"",@progbits
; Kernel info:
; codeLenInByte = 0
; NumSgprs: 6
; NumVgprs: 0
; NumAgprs: 0
; TotalNumVgprs: 0
; ScratchSize: 0
; MemoryBound: 0
; FloatMode: 240
; IeeeMode: 1
; LDSByteSize: 0 bytes/workgroup (compile time only)
; SGPRBlocks: 0
; VGPRBlocks: 0
; NumSGPRsForWavesPerEU: 6
; NumVGPRsForWavesPerEU: 1
; AccumOffset: 4
; Occupancy: 8
; WaveLimiterHint : 0
; COMPUTE_PGM_RSRC2:SCRATCH_EN: 0
; COMPUTE_PGM_RSRC2:USER_SGPR: 2
; COMPUTE_PGM_RSRC2:TRAP_HANDLER: 0
; COMPUTE_PGM_RSRC2:TGID_X_EN: 1
; COMPUTE_PGM_RSRC2:TGID_Y_EN: 0
; COMPUTE_PGM_RSRC2:TGID_Z_EN: 0
; COMPUTE_PGM_RSRC2:TIDIG_COMP_CNT: 0
; COMPUTE_PGM_RSRC3_GFX90A:ACCUM_OFFSET: 0
; COMPUTE_PGM_RSRC3_GFX90A:TG_SPLIT: 0
	.section	.text._ZN7rocprim17ROCPRIM_400000_NS6detail17trampoline_kernelINS0_14default_configENS1_25partition_config_selectorILNS1_17partition_subalgoE8ElNS0_10empty_typeEbEEZZNS1_14partition_implILS5_8ELb0ES3_jPlPS6_PKS6_NS0_5tupleIJS9_S6_EEENSD_IJSA_SA_EEENS0_18inequality_wrapperIZN2at6native12_GLOBAL__N_124unique_dim_cuda_templateIfEESt5tupleIJNSH_6TensorESM_SM_EERKSM_lbbbEUlllE0_EEPmJS6_EEE10hipError_tPvRmT3_T4_T5_T6_T7_T9_mT8_P12ihipStream_tbDpT10_ENKUlT_T0_E_clISt17integral_constantIbLb1EES1C_EEDaS17_S18_EUlS17_E_NS1_11comp_targetILNS1_3genE9ELNS1_11target_archE1100ELNS1_3gpuE3ELNS1_3repE0EEENS1_30default_config_static_selectorELNS0_4arch9wavefront6targetE1EEEvT1_,"axG",@progbits,_ZN7rocprim17ROCPRIM_400000_NS6detail17trampoline_kernelINS0_14default_configENS1_25partition_config_selectorILNS1_17partition_subalgoE8ElNS0_10empty_typeEbEEZZNS1_14partition_implILS5_8ELb0ES3_jPlPS6_PKS6_NS0_5tupleIJS9_S6_EEENSD_IJSA_SA_EEENS0_18inequality_wrapperIZN2at6native12_GLOBAL__N_124unique_dim_cuda_templateIfEESt5tupleIJNSH_6TensorESM_SM_EERKSM_lbbbEUlllE0_EEPmJS6_EEE10hipError_tPvRmT3_T4_T5_T6_T7_T9_mT8_P12ihipStream_tbDpT10_ENKUlT_T0_E_clISt17integral_constantIbLb1EES1C_EEDaS17_S18_EUlS17_E_NS1_11comp_targetILNS1_3genE9ELNS1_11target_archE1100ELNS1_3gpuE3ELNS1_3repE0EEENS1_30default_config_static_selectorELNS0_4arch9wavefront6targetE1EEEvT1_,comdat
	.globl	_ZN7rocprim17ROCPRIM_400000_NS6detail17trampoline_kernelINS0_14default_configENS1_25partition_config_selectorILNS1_17partition_subalgoE8ElNS0_10empty_typeEbEEZZNS1_14partition_implILS5_8ELb0ES3_jPlPS6_PKS6_NS0_5tupleIJS9_S6_EEENSD_IJSA_SA_EEENS0_18inequality_wrapperIZN2at6native12_GLOBAL__N_124unique_dim_cuda_templateIfEESt5tupleIJNSH_6TensorESM_SM_EERKSM_lbbbEUlllE0_EEPmJS6_EEE10hipError_tPvRmT3_T4_T5_T6_T7_T9_mT8_P12ihipStream_tbDpT10_ENKUlT_T0_E_clISt17integral_constantIbLb1EES1C_EEDaS17_S18_EUlS17_E_NS1_11comp_targetILNS1_3genE9ELNS1_11target_archE1100ELNS1_3gpuE3ELNS1_3repE0EEENS1_30default_config_static_selectorELNS0_4arch9wavefront6targetE1EEEvT1_ ; -- Begin function _ZN7rocprim17ROCPRIM_400000_NS6detail17trampoline_kernelINS0_14default_configENS1_25partition_config_selectorILNS1_17partition_subalgoE8ElNS0_10empty_typeEbEEZZNS1_14partition_implILS5_8ELb0ES3_jPlPS6_PKS6_NS0_5tupleIJS9_S6_EEENSD_IJSA_SA_EEENS0_18inequality_wrapperIZN2at6native12_GLOBAL__N_124unique_dim_cuda_templateIfEESt5tupleIJNSH_6TensorESM_SM_EERKSM_lbbbEUlllE0_EEPmJS6_EEE10hipError_tPvRmT3_T4_T5_T6_T7_T9_mT8_P12ihipStream_tbDpT10_ENKUlT_T0_E_clISt17integral_constantIbLb1EES1C_EEDaS17_S18_EUlS17_E_NS1_11comp_targetILNS1_3genE9ELNS1_11target_archE1100ELNS1_3gpuE3ELNS1_3repE0EEENS1_30default_config_static_selectorELNS0_4arch9wavefront6targetE1EEEvT1_
	.p2align	8
	.type	_ZN7rocprim17ROCPRIM_400000_NS6detail17trampoline_kernelINS0_14default_configENS1_25partition_config_selectorILNS1_17partition_subalgoE8ElNS0_10empty_typeEbEEZZNS1_14partition_implILS5_8ELb0ES3_jPlPS6_PKS6_NS0_5tupleIJS9_S6_EEENSD_IJSA_SA_EEENS0_18inequality_wrapperIZN2at6native12_GLOBAL__N_124unique_dim_cuda_templateIfEESt5tupleIJNSH_6TensorESM_SM_EERKSM_lbbbEUlllE0_EEPmJS6_EEE10hipError_tPvRmT3_T4_T5_T6_T7_T9_mT8_P12ihipStream_tbDpT10_ENKUlT_T0_E_clISt17integral_constantIbLb1EES1C_EEDaS17_S18_EUlS17_E_NS1_11comp_targetILNS1_3genE9ELNS1_11target_archE1100ELNS1_3gpuE3ELNS1_3repE0EEENS1_30default_config_static_selectorELNS0_4arch9wavefront6targetE1EEEvT1_,@function
_ZN7rocprim17ROCPRIM_400000_NS6detail17trampoline_kernelINS0_14default_configENS1_25partition_config_selectorILNS1_17partition_subalgoE8ElNS0_10empty_typeEbEEZZNS1_14partition_implILS5_8ELb0ES3_jPlPS6_PKS6_NS0_5tupleIJS9_S6_EEENSD_IJSA_SA_EEENS0_18inequality_wrapperIZN2at6native12_GLOBAL__N_124unique_dim_cuda_templateIfEESt5tupleIJNSH_6TensorESM_SM_EERKSM_lbbbEUlllE0_EEPmJS6_EEE10hipError_tPvRmT3_T4_T5_T6_T7_T9_mT8_P12ihipStream_tbDpT10_ENKUlT_T0_E_clISt17integral_constantIbLb1EES1C_EEDaS17_S18_EUlS17_E_NS1_11comp_targetILNS1_3genE9ELNS1_11target_archE1100ELNS1_3gpuE3ELNS1_3repE0EEENS1_30default_config_static_selectorELNS0_4arch9wavefront6targetE1EEEvT1_: ; @_ZN7rocprim17ROCPRIM_400000_NS6detail17trampoline_kernelINS0_14default_configENS1_25partition_config_selectorILNS1_17partition_subalgoE8ElNS0_10empty_typeEbEEZZNS1_14partition_implILS5_8ELb0ES3_jPlPS6_PKS6_NS0_5tupleIJS9_S6_EEENSD_IJSA_SA_EEENS0_18inequality_wrapperIZN2at6native12_GLOBAL__N_124unique_dim_cuda_templateIfEESt5tupleIJNSH_6TensorESM_SM_EERKSM_lbbbEUlllE0_EEPmJS6_EEE10hipError_tPvRmT3_T4_T5_T6_T7_T9_mT8_P12ihipStream_tbDpT10_ENKUlT_T0_E_clISt17integral_constantIbLb1EES1C_EEDaS17_S18_EUlS17_E_NS1_11comp_targetILNS1_3genE9ELNS1_11target_archE1100ELNS1_3gpuE3ELNS1_3repE0EEENS1_30default_config_static_selectorELNS0_4arch9wavefront6targetE1EEEvT1_
; %bb.0:
	.section	.rodata,"a",@progbits
	.p2align	6, 0x0
	.amdhsa_kernel _ZN7rocprim17ROCPRIM_400000_NS6detail17trampoline_kernelINS0_14default_configENS1_25partition_config_selectorILNS1_17partition_subalgoE8ElNS0_10empty_typeEbEEZZNS1_14partition_implILS5_8ELb0ES3_jPlPS6_PKS6_NS0_5tupleIJS9_S6_EEENSD_IJSA_SA_EEENS0_18inequality_wrapperIZN2at6native12_GLOBAL__N_124unique_dim_cuda_templateIfEESt5tupleIJNSH_6TensorESM_SM_EERKSM_lbbbEUlllE0_EEPmJS6_EEE10hipError_tPvRmT3_T4_T5_T6_T7_T9_mT8_P12ihipStream_tbDpT10_ENKUlT_T0_E_clISt17integral_constantIbLb1EES1C_EEDaS17_S18_EUlS17_E_NS1_11comp_targetILNS1_3genE9ELNS1_11target_archE1100ELNS1_3gpuE3ELNS1_3repE0EEENS1_30default_config_static_selectorELNS0_4arch9wavefront6targetE1EEEvT1_
		.amdhsa_group_segment_fixed_size 0
		.amdhsa_private_segment_fixed_size 0
		.amdhsa_kernarg_size 136
		.amdhsa_user_sgpr_count 2
		.amdhsa_user_sgpr_dispatch_ptr 0
		.amdhsa_user_sgpr_queue_ptr 0
		.amdhsa_user_sgpr_kernarg_segment_ptr 1
		.amdhsa_user_sgpr_dispatch_id 0
		.amdhsa_user_sgpr_kernarg_preload_length 0
		.amdhsa_user_sgpr_kernarg_preload_offset 0
		.amdhsa_user_sgpr_private_segment_size 0
		.amdhsa_uses_dynamic_stack 0
		.amdhsa_enable_private_segment 0
		.amdhsa_system_sgpr_workgroup_id_x 1
		.amdhsa_system_sgpr_workgroup_id_y 0
		.amdhsa_system_sgpr_workgroup_id_z 0
		.amdhsa_system_sgpr_workgroup_info 0
		.amdhsa_system_vgpr_workitem_id 0
		.amdhsa_next_free_vgpr 1
		.amdhsa_next_free_sgpr 0
		.amdhsa_accum_offset 4
		.amdhsa_reserve_vcc 0
		.amdhsa_float_round_mode_32 0
		.amdhsa_float_round_mode_16_64 0
		.amdhsa_float_denorm_mode_32 3
		.amdhsa_float_denorm_mode_16_64 3
		.amdhsa_dx10_clamp 1
		.amdhsa_ieee_mode 1
		.amdhsa_fp16_overflow 0
		.amdhsa_tg_split 0
		.amdhsa_exception_fp_ieee_invalid_op 0
		.amdhsa_exception_fp_denorm_src 0
		.amdhsa_exception_fp_ieee_div_zero 0
		.amdhsa_exception_fp_ieee_overflow 0
		.amdhsa_exception_fp_ieee_underflow 0
		.amdhsa_exception_fp_ieee_inexact 0
		.amdhsa_exception_int_div_zero 0
	.end_amdhsa_kernel
	.section	.text._ZN7rocprim17ROCPRIM_400000_NS6detail17trampoline_kernelINS0_14default_configENS1_25partition_config_selectorILNS1_17partition_subalgoE8ElNS0_10empty_typeEbEEZZNS1_14partition_implILS5_8ELb0ES3_jPlPS6_PKS6_NS0_5tupleIJS9_S6_EEENSD_IJSA_SA_EEENS0_18inequality_wrapperIZN2at6native12_GLOBAL__N_124unique_dim_cuda_templateIfEESt5tupleIJNSH_6TensorESM_SM_EERKSM_lbbbEUlllE0_EEPmJS6_EEE10hipError_tPvRmT3_T4_T5_T6_T7_T9_mT8_P12ihipStream_tbDpT10_ENKUlT_T0_E_clISt17integral_constantIbLb1EES1C_EEDaS17_S18_EUlS17_E_NS1_11comp_targetILNS1_3genE9ELNS1_11target_archE1100ELNS1_3gpuE3ELNS1_3repE0EEENS1_30default_config_static_selectorELNS0_4arch9wavefront6targetE1EEEvT1_,"axG",@progbits,_ZN7rocprim17ROCPRIM_400000_NS6detail17trampoline_kernelINS0_14default_configENS1_25partition_config_selectorILNS1_17partition_subalgoE8ElNS0_10empty_typeEbEEZZNS1_14partition_implILS5_8ELb0ES3_jPlPS6_PKS6_NS0_5tupleIJS9_S6_EEENSD_IJSA_SA_EEENS0_18inequality_wrapperIZN2at6native12_GLOBAL__N_124unique_dim_cuda_templateIfEESt5tupleIJNSH_6TensorESM_SM_EERKSM_lbbbEUlllE0_EEPmJS6_EEE10hipError_tPvRmT3_T4_T5_T6_T7_T9_mT8_P12ihipStream_tbDpT10_ENKUlT_T0_E_clISt17integral_constantIbLb1EES1C_EEDaS17_S18_EUlS17_E_NS1_11comp_targetILNS1_3genE9ELNS1_11target_archE1100ELNS1_3gpuE3ELNS1_3repE0EEENS1_30default_config_static_selectorELNS0_4arch9wavefront6targetE1EEEvT1_,comdat
.Lfunc_end950:
	.size	_ZN7rocprim17ROCPRIM_400000_NS6detail17trampoline_kernelINS0_14default_configENS1_25partition_config_selectorILNS1_17partition_subalgoE8ElNS0_10empty_typeEbEEZZNS1_14partition_implILS5_8ELb0ES3_jPlPS6_PKS6_NS0_5tupleIJS9_S6_EEENSD_IJSA_SA_EEENS0_18inequality_wrapperIZN2at6native12_GLOBAL__N_124unique_dim_cuda_templateIfEESt5tupleIJNSH_6TensorESM_SM_EERKSM_lbbbEUlllE0_EEPmJS6_EEE10hipError_tPvRmT3_T4_T5_T6_T7_T9_mT8_P12ihipStream_tbDpT10_ENKUlT_T0_E_clISt17integral_constantIbLb1EES1C_EEDaS17_S18_EUlS17_E_NS1_11comp_targetILNS1_3genE9ELNS1_11target_archE1100ELNS1_3gpuE3ELNS1_3repE0EEENS1_30default_config_static_selectorELNS0_4arch9wavefront6targetE1EEEvT1_, .Lfunc_end950-_ZN7rocprim17ROCPRIM_400000_NS6detail17trampoline_kernelINS0_14default_configENS1_25partition_config_selectorILNS1_17partition_subalgoE8ElNS0_10empty_typeEbEEZZNS1_14partition_implILS5_8ELb0ES3_jPlPS6_PKS6_NS0_5tupleIJS9_S6_EEENSD_IJSA_SA_EEENS0_18inequality_wrapperIZN2at6native12_GLOBAL__N_124unique_dim_cuda_templateIfEESt5tupleIJNSH_6TensorESM_SM_EERKSM_lbbbEUlllE0_EEPmJS6_EEE10hipError_tPvRmT3_T4_T5_T6_T7_T9_mT8_P12ihipStream_tbDpT10_ENKUlT_T0_E_clISt17integral_constantIbLb1EES1C_EEDaS17_S18_EUlS17_E_NS1_11comp_targetILNS1_3genE9ELNS1_11target_archE1100ELNS1_3gpuE3ELNS1_3repE0EEENS1_30default_config_static_selectorELNS0_4arch9wavefront6targetE1EEEvT1_
                                        ; -- End function
	.section	.AMDGPU.csdata,"",@progbits
; Kernel info:
; codeLenInByte = 0
; NumSgprs: 6
; NumVgprs: 0
; NumAgprs: 0
; TotalNumVgprs: 0
; ScratchSize: 0
; MemoryBound: 0
; FloatMode: 240
; IeeeMode: 1
; LDSByteSize: 0 bytes/workgroup (compile time only)
; SGPRBlocks: 0
; VGPRBlocks: 0
; NumSGPRsForWavesPerEU: 6
; NumVGPRsForWavesPerEU: 1
; AccumOffset: 4
; Occupancy: 8
; WaveLimiterHint : 0
; COMPUTE_PGM_RSRC2:SCRATCH_EN: 0
; COMPUTE_PGM_RSRC2:USER_SGPR: 2
; COMPUTE_PGM_RSRC2:TRAP_HANDLER: 0
; COMPUTE_PGM_RSRC2:TGID_X_EN: 1
; COMPUTE_PGM_RSRC2:TGID_Y_EN: 0
; COMPUTE_PGM_RSRC2:TGID_Z_EN: 0
; COMPUTE_PGM_RSRC2:TIDIG_COMP_CNT: 0
; COMPUTE_PGM_RSRC3_GFX90A:ACCUM_OFFSET: 0
; COMPUTE_PGM_RSRC3_GFX90A:TG_SPLIT: 0
	.section	.text._ZN7rocprim17ROCPRIM_400000_NS6detail17trampoline_kernelINS0_14default_configENS1_25partition_config_selectorILNS1_17partition_subalgoE8ElNS0_10empty_typeEbEEZZNS1_14partition_implILS5_8ELb0ES3_jPlPS6_PKS6_NS0_5tupleIJS9_S6_EEENSD_IJSA_SA_EEENS0_18inequality_wrapperIZN2at6native12_GLOBAL__N_124unique_dim_cuda_templateIfEESt5tupleIJNSH_6TensorESM_SM_EERKSM_lbbbEUlllE0_EEPmJS6_EEE10hipError_tPvRmT3_T4_T5_T6_T7_T9_mT8_P12ihipStream_tbDpT10_ENKUlT_T0_E_clISt17integral_constantIbLb1EES1C_EEDaS17_S18_EUlS17_E_NS1_11comp_targetILNS1_3genE8ELNS1_11target_archE1030ELNS1_3gpuE2ELNS1_3repE0EEENS1_30default_config_static_selectorELNS0_4arch9wavefront6targetE1EEEvT1_,"axG",@progbits,_ZN7rocprim17ROCPRIM_400000_NS6detail17trampoline_kernelINS0_14default_configENS1_25partition_config_selectorILNS1_17partition_subalgoE8ElNS0_10empty_typeEbEEZZNS1_14partition_implILS5_8ELb0ES3_jPlPS6_PKS6_NS0_5tupleIJS9_S6_EEENSD_IJSA_SA_EEENS0_18inequality_wrapperIZN2at6native12_GLOBAL__N_124unique_dim_cuda_templateIfEESt5tupleIJNSH_6TensorESM_SM_EERKSM_lbbbEUlllE0_EEPmJS6_EEE10hipError_tPvRmT3_T4_T5_T6_T7_T9_mT8_P12ihipStream_tbDpT10_ENKUlT_T0_E_clISt17integral_constantIbLb1EES1C_EEDaS17_S18_EUlS17_E_NS1_11comp_targetILNS1_3genE8ELNS1_11target_archE1030ELNS1_3gpuE2ELNS1_3repE0EEENS1_30default_config_static_selectorELNS0_4arch9wavefront6targetE1EEEvT1_,comdat
	.globl	_ZN7rocprim17ROCPRIM_400000_NS6detail17trampoline_kernelINS0_14default_configENS1_25partition_config_selectorILNS1_17partition_subalgoE8ElNS0_10empty_typeEbEEZZNS1_14partition_implILS5_8ELb0ES3_jPlPS6_PKS6_NS0_5tupleIJS9_S6_EEENSD_IJSA_SA_EEENS0_18inequality_wrapperIZN2at6native12_GLOBAL__N_124unique_dim_cuda_templateIfEESt5tupleIJNSH_6TensorESM_SM_EERKSM_lbbbEUlllE0_EEPmJS6_EEE10hipError_tPvRmT3_T4_T5_T6_T7_T9_mT8_P12ihipStream_tbDpT10_ENKUlT_T0_E_clISt17integral_constantIbLb1EES1C_EEDaS17_S18_EUlS17_E_NS1_11comp_targetILNS1_3genE8ELNS1_11target_archE1030ELNS1_3gpuE2ELNS1_3repE0EEENS1_30default_config_static_selectorELNS0_4arch9wavefront6targetE1EEEvT1_ ; -- Begin function _ZN7rocprim17ROCPRIM_400000_NS6detail17trampoline_kernelINS0_14default_configENS1_25partition_config_selectorILNS1_17partition_subalgoE8ElNS0_10empty_typeEbEEZZNS1_14partition_implILS5_8ELb0ES3_jPlPS6_PKS6_NS0_5tupleIJS9_S6_EEENSD_IJSA_SA_EEENS0_18inequality_wrapperIZN2at6native12_GLOBAL__N_124unique_dim_cuda_templateIfEESt5tupleIJNSH_6TensorESM_SM_EERKSM_lbbbEUlllE0_EEPmJS6_EEE10hipError_tPvRmT3_T4_T5_T6_T7_T9_mT8_P12ihipStream_tbDpT10_ENKUlT_T0_E_clISt17integral_constantIbLb1EES1C_EEDaS17_S18_EUlS17_E_NS1_11comp_targetILNS1_3genE8ELNS1_11target_archE1030ELNS1_3gpuE2ELNS1_3repE0EEENS1_30default_config_static_selectorELNS0_4arch9wavefront6targetE1EEEvT1_
	.p2align	8
	.type	_ZN7rocprim17ROCPRIM_400000_NS6detail17trampoline_kernelINS0_14default_configENS1_25partition_config_selectorILNS1_17partition_subalgoE8ElNS0_10empty_typeEbEEZZNS1_14partition_implILS5_8ELb0ES3_jPlPS6_PKS6_NS0_5tupleIJS9_S6_EEENSD_IJSA_SA_EEENS0_18inequality_wrapperIZN2at6native12_GLOBAL__N_124unique_dim_cuda_templateIfEESt5tupleIJNSH_6TensorESM_SM_EERKSM_lbbbEUlllE0_EEPmJS6_EEE10hipError_tPvRmT3_T4_T5_T6_T7_T9_mT8_P12ihipStream_tbDpT10_ENKUlT_T0_E_clISt17integral_constantIbLb1EES1C_EEDaS17_S18_EUlS17_E_NS1_11comp_targetILNS1_3genE8ELNS1_11target_archE1030ELNS1_3gpuE2ELNS1_3repE0EEENS1_30default_config_static_selectorELNS0_4arch9wavefront6targetE1EEEvT1_,@function
_ZN7rocprim17ROCPRIM_400000_NS6detail17trampoline_kernelINS0_14default_configENS1_25partition_config_selectorILNS1_17partition_subalgoE8ElNS0_10empty_typeEbEEZZNS1_14partition_implILS5_8ELb0ES3_jPlPS6_PKS6_NS0_5tupleIJS9_S6_EEENSD_IJSA_SA_EEENS0_18inequality_wrapperIZN2at6native12_GLOBAL__N_124unique_dim_cuda_templateIfEESt5tupleIJNSH_6TensorESM_SM_EERKSM_lbbbEUlllE0_EEPmJS6_EEE10hipError_tPvRmT3_T4_T5_T6_T7_T9_mT8_P12ihipStream_tbDpT10_ENKUlT_T0_E_clISt17integral_constantIbLb1EES1C_EEDaS17_S18_EUlS17_E_NS1_11comp_targetILNS1_3genE8ELNS1_11target_archE1030ELNS1_3gpuE2ELNS1_3repE0EEENS1_30default_config_static_selectorELNS0_4arch9wavefront6targetE1EEEvT1_: ; @_ZN7rocprim17ROCPRIM_400000_NS6detail17trampoline_kernelINS0_14default_configENS1_25partition_config_selectorILNS1_17partition_subalgoE8ElNS0_10empty_typeEbEEZZNS1_14partition_implILS5_8ELb0ES3_jPlPS6_PKS6_NS0_5tupleIJS9_S6_EEENSD_IJSA_SA_EEENS0_18inequality_wrapperIZN2at6native12_GLOBAL__N_124unique_dim_cuda_templateIfEESt5tupleIJNSH_6TensorESM_SM_EERKSM_lbbbEUlllE0_EEPmJS6_EEE10hipError_tPvRmT3_T4_T5_T6_T7_T9_mT8_P12ihipStream_tbDpT10_ENKUlT_T0_E_clISt17integral_constantIbLb1EES1C_EEDaS17_S18_EUlS17_E_NS1_11comp_targetILNS1_3genE8ELNS1_11target_archE1030ELNS1_3gpuE2ELNS1_3repE0EEENS1_30default_config_static_selectorELNS0_4arch9wavefront6targetE1EEEvT1_
; %bb.0:
	.section	.rodata,"a",@progbits
	.p2align	6, 0x0
	.amdhsa_kernel _ZN7rocprim17ROCPRIM_400000_NS6detail17trampoline_kernelINS0_14default_configENS1_25partition_config_selectorILNS1_17partition_subalgoE8ElNS0_10empty_typeEbEEZZNS1_14partition_implILS5_8ELb0ES3_jPlPS6_PKS6_NS0_5tupleIJS9_S6_EEENSD_IJSA_SA_EEENS0_18inequality_wrapperIZN2at6native12_GLOBAL__N_124unique_dim_cuda_templateIfEESt5tupleIJNSH_6TensorESM_SM_EERKSM_lbbbEUlllE0_EEPmJS6_EEE10hipError_tPvRmT3_T4_T5_T6_T7_T9_mT8_P12ihipStream_tbDpT10_ENKUlT_T0_E_clISt17integral_constantIbLb1EES1C_EEDaS17_S18_EUlS17_E_NS1_11comp_targetILNS1_3genE8ELNS1_11target_archE1030ELNS1_3gpuE2ELNS1_3repE0EEENS1_30default_config_static_selectorELNS0_4arch9wavefront6targetE1EEEvT1_
		.amdhsa_group_segment_fixed_size 0
		.amdhsa_private_segment_fixed_size 0
		.amdhsa_kernarg_size 136
		.amdhsa_user_sgpr_count 2
		.amdhsa_user_sgpr_dispatch_ptr 0
		.amdhsa_user_sgpr_queue_ptr 0
		.amdhsa_user_sgpr_kernarg_segment_ptr 1
		.amdhsa_user_sgpr_dispatch_id 0
		.amdhsa_user_sgpr_kernarg_preload_length 0
		.amdhsa_user_sgpr_kernarg_preload_offset 0
		.amdhsa_user_sgpr_private_segment_size 0
		.amdhsa_uses_dynamic_stack 0
		.amdhsa_enable_private_segment 0
		.amdhsa_system_sgpr_workgroup_id_x 1
		.amdhsa_system_sgpr_workgroup_id_y 0
		.amdhsa_system_sgpr_workgroup_id_z 0
		.amdhsa_system_sgpr_workgroup_info 0
		.amdhsa_system_vgpr_workitem_id 0
		.amdhsa_next_free_vgpr 1
		.amdhsa_next_free_sgpr 0
		.amdhsa_accum_offset 4
		.amdhsa_reserve_vcc 0
		.amdhsa_float_round_mode_32 0
		.amdhsa_float_round_mode_16_64 0
		.amdhsa_float_denorm_mode_32 3
		.amdhsa_float_denorm_mode_16_64 3
		.amdhsa_dx10_clamp 1
		.amdhsa_ieee_mode 1
		.amdhsa_fp16_overflow 0
		.amdhsa_tg_split 0
		.amdhsa_exception_fp_ieee_invalid_op 0
		.amdhsa_exception_fp_denorm_src 0
		.amdhsa_exception_fp_ieee_div_zero 0
		.amdhsa_exception_fp_ieee_overflow 0
		.amdhsa_exception_fp_ieee_underflow 0
		.amdhsa_exception_fp_ieee_inexact 0
		.amdhsa_exception_int_div_zero 0
	.end_amdhsa_kernel
	.section	.text._ZN7rocprim17ROCPRIM_400000_NS6detail17trampoline_kernelINS0_14default_configENS1_25partition_config_selectorILNS1_17partition_subalgoE8ElNS0_10empty_typeEbEEZZNS1_14partition_implILS5_8ELb0ES3_jPlPS6_PKS6_NS0_5tupleIJS9_S6_EEENSD_IJSA_SA_EEENS0_18inequality_wrapperIZN2at6native12_GLOBAL__N_124unique_dim_cuda_templateIfEESt5tupleIJNSH_6TensorESM_SM_EERKSM_lbbbEUlllE0_EEPmJS6_EEE10hipError_tPvRmT3_T4_T5_T6_T7_T9_mT8_P12ihipStream_tbDpT10_ENKUlT_T0_E_clISt17integral_constantIbLb1EES1C_EEDaS17_S18_EUlS17_E_NS1_11comp_targetILNS1_3genE8ELNS1_11target_archE1030ELNS1_3gpuE2ELNS1_3repE0EEENS1_30default_config_static_selectorELNS0_4arch9wavefront6targetE1EEEvT1_,"axG",@progbits,_ZN7rocprim17ROCPRIM_400000_NS6detail17trampoline_kernelINS0_14default_configENS1_25partition_config_selectorILNS1_17partition_subalgoE8ElNS0_10empty_typeEbEEZZNS1_14partition_implILS5_8ELb0ES3_jPlPS6_PKS6_NS0_5tupleIJS9_S6_EEENSD_IJSA_SA_EEENS0_18inequality_wrapperIZN2at6native12_GLOBAL__N_124unique_dim_cuda_templateIfEESt5tupleIJNSH_6TensorESM_SM_EERKSM_lbbbEUlllE0_EEPmJS6_EEE10hipError_tPvRmT3_T4_T5_T6_T7_T9_mT8_P12ihipStream_tbDpT10_ENKUlT_T0_E_clISt17integral_constantIbLb1EES1C_EEDaS17_S18_EUlS17_E_NS1_11comp_targetILNS1_3genE8ELNS1_11target_archE1030ELNS1_3gpuE2ELNS1_3repE0EEENS1_30default_config_static_selectorELNS0_4arch9wavefront6targetE1EEEvT1_,comdat
.Lfunc_end951:
	.size	_ZN7rocprim17ROCPRIM_400000_NS6detail17trampoline_kernelINS0_14default_configENS1_25partition_config_selectorILNS1_17partition_subalgoE8ElNS0_10empty_typeEbEEZZNS1_14partition_implILS5_8ELb0ES3_jPlPS6_PKS6_NS0_5tupleIJS9_S6_EEENSD_IJSA_SA_EEENS0_18inequality_wrapperIZN2at6native12_GLOBAL__N_124unique_dim_cuda_templateIfEESt5tupleIJNSH_6TensorESM_SM_EERKSM_lbbbEUlllE0_EEPmJS6_EEE10hipError_tPvRmT3_T4_T5_T6_T7_T9_mT8_P12ihipStream_tbDpT10_ENKUlT_T0_E_clISt17integral_constantIbLb1EES1C_EEDaS17_S18_EUlS17_E_NS1_11comp_targetILNS1_3genE8ELNS1_11target_archE1030ELNS1_3gpuE2ELNS1_3repE0EEENS1_30default_config_static_selectorELNS0_4arch9wavefront6targetE1EEEvT1_, .Lfunc_end951-_ZN7rocprim17ROCPRIM_400000_NS6detail17trampoline_kernelINS0_14default_configENS1_25partition_config_selectorILNS1_17partition_subalgoE8ElNS0_10empty_typeEbEEZZNS1_14partition_implILS5_8ELb0ES3_jPlPS6_PKS6_NS0_5tupleIJS9_S6_EEENSD_IJSA_SA_EEENS0_18inequality_wrapperIZN2at6native12_GLOBAL__N_124unique_dim_cuda_templateIfEESt5tupleIJNSH_6TensorESM_SM_EERKSM_lbbbEUlllE0_EEPmJS6_EEE10hipError_tPvRmT3_T4_T5_T6_T7_T9_mT8_P12ihipStream_tbDpT10_ENKUlT_T0_E_clISt17integral_constantIbLb1EES1C_EEDaS17_S18_EUlS17_E_NS1_11comp_targetILNS1_3genE8ELNS1_11target_archE1030ELNS1_3gpuE2ELNS1_3repE0EEENS1_30default_config_static_selectorELNS0_4arch9wavefront6targetE1EEEvT1_
                                        ; -- End function
	.section	.AMDGPU.csdata,"",@progbits
; Kernel info:
; codeLenInByte = 0
; NumSgprs: 6
; NumVgprs: 0
; NumAgprs: 0
; TotalNumVgprs: 0
; ScratchSize: 0
; MemoryBound: 0
; FloatMode: 240
; IeeeMode: 1
; LDSByteSize: 0 bytes/workgroup (compile time only)
; SGPRBlocks: 0
; VGPRBlocks: 0
; NumSGPRsForWavesPerEU: 6
; NumVGPRsForWavesPerEU: 1
; AccumOffset: 4
; Occupancy: 8
; WaveLimiterHint : 0
; COMPUTE_PGM_RSRC2:SCRATCH_EN: 0
; COMPUTE_PGM_RSRC2:USER_SGPR: 2
; COMPUTE_PGM_RSRC2:TRAP_HANDLER: 0
; COMPUTE_PGM_RSRC2:TGID_X_EN: 1
; COMPUTE_PGM_RSRC2:TGID_Y_EN: 0
; COMPUTE_PGM_RSRC2:TGID_Z_EN: 0
; COMPUTE_PGM_RSRC2:TIDIG_COMP_CNT: 0
; COMPUTE_PGM_RSRC3_GFX90A:ACCUM_OFFSET: 0
; COMPUTE_PGM_RSRC3_GFX90A:TG_SPLIT: 0
	.section	.text._ZN7rocprim17ROCPRIM_400000_NS6detail17trampoline_kernelINS0_14default_configENS1_25partition_config_selectorILNS1_17partition_subalgoE8ElNS0_10empty_typeEbEEZZNS1_14partition_implILS5_8ELb0ES3_jPlPS6_PKS6_NS0_5tupleIJS9_S6_EEENSD_IJSA_SA_EEENS0_18inequality_wrapperIZN2at6native12_GLOBAL__N_124unique_dim_cuda_templateIfEESt5tupleIJNSH_6TensorESM_SM_EERKSM_lbbbEUlllE0_EEPmJS6_EEE10hipError_tPvRmT3_T4_T5_T6_T7_T9_mT8_P12ihipStream_tbDpT10_ENKUlT_T0_E_clISt17integral_constantIbLb1EES1B_IbLb0EEEEDaS17_S18_EUlS17_E_NS1_11comp_targetILNS1_3genE0ELNS1_11target_archE4294967295ELNS1_3gpuE0ELNS1_3repE0EEENS1_30default_config_static_selectorELNS0_4arch9wavefront6targetE1EEEvT1_,"axG",@progbits,_ZN7rocprim17ROCPRIM_400000_NS6detail17trampoline_kernelINS0_14default_configENS1_25partition_config_selectorILNS1_17partition_subalgoE8ElNS0_10empty_typeEbEEZZNS1_14partition_implILS5_8ELb0ES3_jPlPS6_PKS6_NS0_5tupleIJS9_S6_EEENSD_IJSA_SA_EEENS0_18inequality_wrapperIZN2at6native12_GLOBAL__N_124unique_dim_cuda_templateIfEESt5tupleIJNSH_6TensorESM_SM_EERKSM_lbbbEUlllE0_EEPmJS6_EEE10hipError_tPvRmT3_T4_T5_T6_T7_T9_mT8_P12ihipStream_tbDpT10_ENKUlT_T0_E_clISt17integral_constantIbLb1EES1B_IbLb0EEEEDaS17_S18_EUlS17_E_NS1_11comp_targetILNS1_3genE0ELNS1_11target_archE4294967295ELNS1_3gpuE0ELNS1_3repE0EEENS1_30default_config_static_selectorELNS0_4arch9wavefront6targetE1EEEvT1_,comdat
	.globl	_ZN7rocprim17ROCPRIM_400000_NS6detail17trampoline_kernelINS0_14default_configENS1_25partition_config_selectorILNS1_17partition_subalgoE8ElNS0_10empty_typeEbEEZZNS1_14partition_implILS5_8ELb0ES3_jPlPS6_PKS6_NS0_5tupleIJS9_S6_EEENSD_IJSA_SA_EEENS0_18inequality_wrapperIZN2at6native12_GLOBAL__N_124unique_dim_cuda_templateIfEESt5tupleIJNSH_6TensorESM_SM_EERKSM_lbbbEUlllE0_EEPmJS6_EEE10hipError_tPvRmT3_T4_T5_T6_T7_T9_mT8_P12ihipStream_tbDpT10_ENKUlT_T0_E_clISt17integral_constantIbLb1EES1B_IbLb0EEEEDaS17_S18_EUlS17_E_NS1_11comp_targetILNS1_3genE0ELNS1_11target_archE4294967295ELNS1_3gpuE0ELNS1_3repE0EEENS1_30default_config_static_selectorELNS0_4arch9wavefront6targetE1EEEvT1_ ; -- Begin function _ZN7rocprim17ROCPRIM_400000_NS6detail17trampoline_kernelINS0_14default_configENS1_25partition_config_selectorILNS1_17partition_subalgoE8ElNS0_10empty_typeEbEEZZNS1_14partition_implILS5_8ELb0ES3_jPlPS6_PKS6_NS0_5tupleIJS9_S6_EEENSD_IJSA_SA_EEENS0_18inequality_wrapperIZN2at6native12_GLOBAL__N_124unique_dim_cuda_templateIfEESt5tupleIJNSH_6TensorESM_SM_EERKSM_lbbbEUlllE0_EEPmJS6_EEE10hipError_tPvRmT3_T4_T5_T6_T7_T9_mT8_P12ihipStream_tbDpT10_ENKUlT_T0_E_clISt17integral_constantIbLb1EES1B_IbLb0EEEEDaS17_S18_EUlS17_E_NS1_11comp_targetILNS1_3genE0ELNS1_11target_archE4294967295ELNS1_3gpuE0ELNS1_3repE0EEENS1_30default_config_static_selectorELNS0_4arch9wavefront6targetE1EEEvT1_
	.p2align	8
	.type	_ZN7rocprim17ROCPRIM_400000_NS6detail17trampoline_kernelINS0_14default_configENS1_25partition_config_selectorILNS1_17partition_subalgoE8ElNS0_10empty_typeEbEEZZNS1_14partition_implILS5_8ELb0ES3_jPlPS6_PKS6_NS0_5tupleIJS9_S6_EEENSD_IJSA_SA_EEENS0_18inequality_wrapperIZN2at6native12_GLOBAL__N_124unique_dim_cuda_templateIfEESt5tupleIJNSH_6TensorESM_SM_EERKSM_lbbbEUlllE0_EEPmJS6_EEE10hipError_tPvRmT3_T4_T5_T6_T7_T9_mT8_P12ihipStream_tbDpT10_ENKUlT_T0_E_clISt17integral_constantIbLb1EES1B_IbLb0EEEEDaS17_S18_EUlS17_E_NS1_11comp_targetILNS1_3genE0ELNS1_11target_archE4294967295ELNS1_3gpuE0ELNS1_3repE0EEENS1_30default_config_static_selectorELNS0_4arch9wavefront6targetE1EEEvT1_,@function
_ZN7rocprim17ROCPRIM_400000_NS6detail17trampoline_kernelINS0_14default_configENS1_25partition_config_selectorILNS1_17partition_subalgoE8ElNS0_10empty_typeEbEEZZNS1_14partition_implILS5_8ELb0ES3_jPlPS6_PKS6_NS0_5tupleIJS9_S6_EEENSD_IJSA_SA_EEENS0_18inequality_wrapperIZN2at6native12_GLOBAL__N_124unique_dim_cuda_templateIfEESt5tupleIJNSH_6TensorESM_SM_EERKSM_lbbbEUlllE0_EEPmJS6_EEE10hipError_tPvRmT3_T4_T5_T6_T7_T9_mT8_P12ihipStream_tbDpT10_ENKUlT_T0_E_clISt17integral_constantIbLb1EES1B_IbLb0EEEEDaS17_S18_EUlS17_E_NS1_11comp_targetILNS1_3genE0ELNS1_11target_archE4294967295ELNS1_3gpuE0ELNS1_3repE0EEENS1_30default_config_static_selectorELNS0_4arch9wavefront6targetE1EEEvT1_: ; @_ZN7rocprim17ROCPRIM_400000_NS6detail17trampoline_kernelINS0_14default_configENS1_25partition_config_selectorILNS1_17partition_subalgoE8ElNS0_10empty_typeEbEEZZNS1_14partition_implILS5_8ELb0ES3_jPlPS6_PKS6_NS0_5tupleIJS9_S6_EEENSD_IJSA_SA_EEENS0_18inequality_wrapperIZN2at6native12_GLOBAL__N_124unique_dim_cuda_templateIfEESt5tupleIJNSH_6TensorESM_SM_EERKSM_lbbbEUlllE0_EEPmJS6_EEE10hipError_tPvRmT3_T4_T5_T6_T7_T9_mT8_P12ihipStream_tbDpT10_ENKUlT_T0_E_clISt17integral_constantIbLb1EES1B_IbLb0EEEEDaS17_S18_EUlS17_E_NS1_11comp_targetILNS1_3genE0ELNS1_11target_archE4294967295ELNS1_3gpuE0ELNS1_3repE0EEENS1_30default_config_static_selectorELNS0_4arch9wavefront6targetE1EEEvT1_
; %bb.0:
	.section	.rodata,"a",@progbits
	.p2align	6, 0x0
	.amdhsa_kernel _ZN7rocprim17ROCPRIM_400000_NS6detail17trampoline_kernelINS0_14default_configENS1_25partition_config_selectorILNS1_17partition_subalgoE8ElNS0_10empty_typeEbEEZZNS1_14partition_implILS5_8ELb0ES3_jPlPS6_PKS6_NS0_5tupleIJS9_S6_EEENSD_IJSA_SA_EEENS0_18inequality_wrapperIZN2at6native12_GLOBAL__N_124unique_dim_cuda_templateIfEESt5tupleIJNSH_6TensorESM_SM_EERKSM_lbbbEUlllE0_EEPmJS6_EEE10hipError_tPvRmT3_T4_T5_T6_T7_T9_mT8_P12ihipStream_tbDpT10_ENKUlT_T0_E_clISt17integral_constantIbLb1EES1B_IbLb0EEEEDaS17_S18_EUlS17_E_NS1_11comp_targetILNS1_3genE0ELNS1_11target_archE4294967295ELNS1_3gpuE0ELNS1_3repE0EEENS1_30default_config_static_selectorELNS0_4arch9wavefront6targetE1EEEvT1_
		.amdhsa_group_segment_fixed_size 0
		.amdhsa_private_segment_fixed_size 0
		.amdhsa_kernarg_size 120
		.amdhsa_user_sgpr_count 2
		.amdhsa_user_sgpr_dispatch_ptr 0
		.amdhsa_user_sgpr_queue_ptr 0
		.amdhsa_user_sgpr_kernarg_segment_ptr 1
		.amdhsa_user_sgpr_dispatch_id 0
		.amdhsa_user_sgpr_kernarg_preload_length 0
		.amdhsa_user_sgpr_kernarg_preload_offset 0
		.amdhsa_user_sgpr_private_segment_size 0
		.amdhsa_uses_dynamic_stack 0
		.amdhsa_enable_private_segment 0
		.amdhsa_system_sgpr_workgroup_id_x 1
		.amdhsa_system_sgpr_workgroup_id_y 0
		.amdhsa_system_sgpr_workgroup_id_z 0
		.amdhsa_system_sgpr_workgroup_info 0
		.amdhsa_system_vgpr_workitem_id 0
		.amdhsa_next_free_vgpr 1
		.amdhsa_next_free_sgpr 0
		.amdhsa_accum_offset 4
		.amdhsa_reserve_vcc 0
		.amdhsa_float_round_mode_32 0
		.amdhsa_float_round_mode_16_64 0
		.amdhsa_float_denorm_mode_32 3
		.amdhsa_float_denorm_mode_16_64 3
		.amdhsa_dx10_clamp 1
		.amdhsa_ieee_mode 1
		.amdhsa_fp16_overflow 0
		.amdhsa_tg_split 0
		.amdhsa_exception_fp_ieee_invalid_op 0
		.amdhsa_exception_fp_denorm_src 0
		.amdhsa_exception_fp_ieee_div_zero 0
		.amdhsa_exception_fp_ieee_overflow 0
		.amdhsa_exception_fp_ieee_underflow 0
		.amdhsa_exception_fp_ieee_inexact 0
		.amdhsa_exception_int_div_zero 0
	.end_amdhsa_kernel
	.section	.text._ZN7rocprim17ROCPRIM_400000_NS6detail17trampoline_kernelINS0_14default_configENS1_25partition_config_selectorILNS1_17partition_subalgoE8ElNS0_10empty_typeEbEEZZNS1_14partition_implILS5_8ELb0ES3_jPlPS6_PKS6_NS0_5tupleIJS9_S6_EEENSD_IJSA_SA_EEENS0_18inequality_wrapperIZN2at6native12_GLOBAL__N_124unique_dim_cuda_templateIfEESt5tupleIJNSH_6TensorESM_SM_EERKSM_lbbbEUlllE0_EEPmJS6_EEE10hipError_tPvRmT3_T4_T5_T6_T7_T9_mT8_P12ihipStream_tbDpT10_ENKUlT_T0_E_clISt17integral_constantIbLb1EES1B_IbLb0EEEEDaS17_S18_EUlS17_E_NS1_11comp_targetILNS1_3genE0ELNS1_11target_archE4294967295ELNS1_3gpuE0ELNS1_3repE0EEENS1_30default_config_static_selectorELNS0_4arch9wavefront6targetE1EEEvT1_,"axG",@progbits,_ZN7rocprim17ROCPRIM_400000_NS6detail17trampoline_kernelINS0_14default_configENS1_25partition_config_selectorILNS1_17partition_subalgoE8ElNS0_10empty_typeEbEEZZNS1_14partition_implILS5_8ELb0ES3_jPlPS6_PKS6_NS0_5tupleIJS9_S6_EEENSD_IJSA_SA_EEENS0_18inequality_wrapperIZN2at6native12_GLOBAL__N_124unique_dim_cuda_templateIfEESt5tupleIJNSH_6TensorESM_SM_EERKSM_lbbbEUlllE0_EEPmJS6_EEE10hipError_tPvRmT3_T4_T5_T6_T7_T9_mT8_P12ihipStream_tbDpT10_ENKUlT_T0_E_clISt17integral_constantIbLb1EES1B_IbLb0EEEEDaS17_S18_EUlS17_E_NS1_11comp_targetILNS1_3genE0ELNS1_11target_archE4294967295ELNS1_3gpuE0ELNS1_3repE0EEENS1_30default_config_static_selectorELNS0_4arch9wavefront6targetE1EEEvT1_,comdat
.Lfunc_end952:
	.size	_ZN7rocprim17ROCPRIM_400000_NS6detail17trampoline_kernelINS0_14default_configENS1_25partition_config_selectorILNS1_17partition_subalgoE8ElNS0_10empty_typeEbEEZZNS1_14partition_implILS5_8ELb0ES3_jPlPS6_PKS6_NS0_5tupleIJS9_S6_EEENSD_IJSA_SA_EEENS0_18inequality_wrapperIZN2at6native12_GLOBAL__N_124unique_dim_cuda_templateIfEESt5tupleIJNSH_6TensorESM_SM_EERKSM_lbbbEUlllE0_EEPmJS6_EEE10hipError_tPvRmT3_T4_T5_T6_T7_T9_mT8_P12ihipStream_tbDpT10_ENKUlT_T0_E_clISt17integral_constantIbLb1EES1B_IbLb0EEEEDaS17_S18_EUlS17_E_NS1_11comp_targetILNS1_3genE0ELNS1_11target_archE4294967295ELNS1_3gpuE0ELNS1_3repE0EEENS1_30default_config_static_selectorELNS0_4arch9wavefront6targetE1EEEvT1_, .Lfunc_end952-_ZN7rocprim17ROCPRIM_400000_NS6detail17trampoline_kernelINS0_14default_configENS1_25partition_config_selectorILNS1_17partition_subalgoE8ElNS0_10empty_typeEbEEZZNS1_14partition_implILS5_8ELb0ES3_jPlPS6_PKS6_NS0_5tupleIJS9_S6_EEENSD_IJSA_SA_EEENS0_18inequality_wrapperIZN2at6native12_GLOBAL__N_124unique_dim_cuda_templateIfEESt5tupleIJNSH_6TensorESM_SM_EERKSM_lbbbEUlllE0_EEPmJS6_EEE10hipError_tPvRmT3_T4_T5_T6_T7_T9_mT8_P12ihipStream_tbDpT10_ENKUlT_T0_E_clISt17integral_constantIbLb1EES1B_IbLb0EEEEDaS17_S18_EUlS17_E_NS1_11comp_targetILNS1_3genE0ELNS1_11target_archE4294967295ELNS1_3gpuE0ELNS1_3repE0EEENS1_30default_config_static_selectorELNS0_4arch9wavefront6targetE1EEEvT1_
                                        ; -- End function
	.section	.AMDGPU.csdata,"",@progbits
; Kernel info:
; codeLenInByte = 0
; NumSgprs: 6
; NumVgprs: 0
; NumAgprs: 0
; TotalNumVgprs: 0
; ScratchSize: 0
; MemoryBound: 0
; FloatMode: 240
; IeeeMode: 1
; LDSByteSize: 0 bytes/workgroup (compile time only)
; SGPRBlocks: 0
; VGPRBlocks: 0
; NumSGPRsForWavesPerEU: 6
; NumVGPRsForWavesPerEU: 1
; AccumOffset: 4
; Occupancy: 8
; WaveLimiterHint : 0
; COMPUTE_PGM_RSRC2:SCRATCH_EN: 0
; COMPUTE_PGM_RSRC2:USER_SGPR: 2
; COMPUTE_PGM_RSRC2:TRAP_HANDLER: 0
; COMPUTE_PGM_RSRC2:TGID_X_EN: 1
; COMPUTE_PGM_RSRC2:TGID_Y_EN: 0
; COMPUTE_PGM_RSRC2:TGID_Z_EN: 0
; COMPUTE_PGM_RSRC2:TIDIG_COMP_CNT: 0
; COMPUTE_PGM_RSRC3_GFX90A:ACCUM_OFFSET: 0
; COMPUTE_PGM_RSRC3_GFX90A:TG_SPLIT: 0
	.section	.text._ZN7rocprim17ROCPRIM_400000_NS6detail17trampoline_kernelINS0_14default_configENS1_25partition_config_selectorILNS1_17partition_subalgoE8ElNS0_10empty_typeEbEEZZNS1_14partition_implILS5_8ELb0ES3_jPlPS6_PKS6_NS0_5tupleIJS9_S6_EEENSD_IJSA_SA_EEENS0_18inequality_wrapperIZN2at6native12_GLOBAL__N_124unique_dim_cuda_templateIfEESt5tupleIJNSH_6TensorESM_SM_EERKSM_lbbbEUlllE0_EEPmJS6_EEE10hipError_tPvRmT3_T4_T5_T6_T7_T9_mT8_P12ihipStream_tbDpT10_ENKUlT_T0_E_clISt17integral_constantIbLb1EES1B_IbLb0EEEEDaS17_S18_EUlS17_E_NS1_11comp_targetILNS1_3genE5ELNS1_11target_archE942ELNS1_3gpuE9ELNS1_3repE0EEENS1_30default_config_static_selectorELNS0_4arch9wavefront6targetE1EEEvT1_,"axG",@progbits,_ZN7rocprim17ROCPRIM_400000_NS6detail17trampoline_kernelINS0_14default_configENS1_25partition_config_selectorILNS1_17partition_subalgoE8ElNS0_10empty_typeEbEEZZNS1_14partition_implILS5_8ELb0ES3_jPlPS6_PKS6_NS0_5tupleIJS9_S6_EEENSD_IJSA_SA_EEENS0_18inequality_wrapperIZN2at6native12_GLOBAL__N_124unique_dim_cuda_templateIfEESt5tupleIJNSH_6TensorESM_SM_EERKSM_lbbbEUlllE0_EEPmJS6_EEE10hipError_tPvRmT3_T4_T5_T6_T7_T9_mT8_P12ihipStream_tbDpT10_ENKUlT_T0_E_clISt17integral_constantIbLb1EES1B_IbLb0EEEEDaS17_S18_EUlS17_E_NS1_11comp_targetILNS1_3genE5ELNS1_11target_archE942ELNS1_3gpuE9ELNS1_3repE0EEENS1_30default_config_static_selectorELNS0_4arch9wavefront6targetE1EEEvT1_,comdat
	.globl	_ZN7rocprim17ROCPRIM_400000_NS6detail17trampoline_kernelINS0_14default_configENS1_25partition_config_selectorILNS1_17partition_subalgoE8ElNS0_10empty_typeEbEEZZNS1_14partition_implILS5_8ELb0ES3_jPlPS6_PKS6_NS0_5tupleIJS9_S6_EEENSD_IJSA_SA_EEENS0_18inequality_wrapperIZN2at6native12_GLOBAL__N_124unique_dim_cuda_templateIfEESt5tupleIJNSH_6TensorESM_SM_EERKSM_lbbbEUlllE0_EEPmJS6_EEE10hipError_tPvRmT3_T4_T5_T6_T7_T9_mT8_P12ihipStream_tbDpT10_ENKUlT_T0_E_clISt17integral_constantIbLb1EES1B_IbLb0EEEEDaS17_S18_EUlS17_E_NS1_11comp_targetILNS1_3genE5ELNS1_11target_archE942ELNS1_3gpuE9ELNS1_3repE0EEENS1_30default_config_static_selectorELNS0_4arch9wavefront6targetE1EEEvT1_ ; -- Begin function _ZN7rocprim17ROCPRIM_400000_NS6detail17trampoline_kernelINS0_14default_configENS1_25partition_config_selectorILNS1_17partition_subalgoE8ElNS0_10empty_typeEbEEZZNS1_14partition_implILS5_8ELb0ES3_jPlPS6_PKS6_NS0_5tupleIJS9_S6_EEENSD_IJSA_SA_EEENS0_18inequality_wrapperIZN2at6native12_GLOBAL__N_124unique_dim_cuda_templateIfEESt5tupleIJNSH_6TensorESM_SM_EERKSM_lbbbEUlllE0_EEPmJS6_EEE10hipError_tPvRmT3_T4_T5_T6_T7_T9_mT8_P12ihipStream_tbDpT10_ENKUlT_T0_E_clISt17integral_constantIbLb1EES1B_IbLb0EEEEDaS17_S18_EUlS17_E_NS1_11comp_targetILNS1_3genE5ELNS1_11target_archE942ELNS1_3gpuE9ELNS1_3repE0EEENS1_30default_config_static_selectorELNS0_4arch9wavefront6targetE1EEEvT1_
	.p2align	8
	.type	_ZN7rocprim17ROCPRIM_400000_NS6detail17trampoline_kernelINS0_14default_configENS1_25partition_config_selectorILNS1_17partition_subalgoE8ElNS0_10empty_typeEbEEZZNS1_14partition_implILS5_8ELb0ES3_jPlPS6_PKS6_NS0_5tupleIJS9_S6_EEENSD_IJSA_SA_EEENS0_18inequality_wrapperIZN2at6native12_GLOBAL__N_124unique_dim_cuda_templateIfEESt5tupleIJNSH_6TensorESM_SM_EERKSM_lbbbEUlllE0_EEPmJS6_EEE10hipError_tPvRmT3_T4_T5_T6_T7_T9_mT8_P12ihipStream_tbDpT10_ENKUlT_T0_E_clISt17integral_constantIbLb1EES1B_IbLb0EEEEDaS17_S18_EUlS17_E_NS1_11comp_targetILNS1_3genE5ELNS1_11target_archE942ELNS1_3gpuE9ELNS1_3repE0EEENS1_30default_config_static_selectorELNS0_4arch9wavefront6targetE1EEEvT1_,@function
_ZN7rocprim17ROCPRIM_400000_NS6detail17trampoline_kernelINS0_14default_configENS1_25partition_config_selectorILNS1_17partition_subalgoE8ElNS0_10empty_typeEbEEZZNS1_14partition_implILS5_8ELb0ES3_jPlPS6_PKS6_NS0_5tupleIJS9_S6_EEENSD_IJSA_SA_EEENS0_18inequality_wrapperIZN2at6native12_GLOBAL__N_124unique_dim_cuda_templateIfEESt5tupleIJNSH_6TensorESM_SM_EERKSM_lbbbEUlllE0_EEPmJS6_EEE10hipError_tPvRmT3_T4_T5_T6_T7_T9_mT8_P12ihipStream_tbDpT10_ENKUlT_T0_E_clISt17integral_constantIbLb1EES1B_IbLb0EEEEDaS17_S18_EUlS17_E_NS1_11comp_targetILNS1_3genE5ELNS1_11target_archE942ELNS1_3gpuE9ELNS1_3repE0EEENS1_30default_config_static_selectorELNS0_4arch9wavefront6targetE1EEEvT1_: ; @_ZN7rocprim17ROCPRIM_400000_NS6detail17trampoline_kernelINS0_14default_configENS1_25partition_config_selectorILNS1_17partition_subalgoE8ElNS0_10empty_typeEbEEZZNS1_14partition_implILS5_8ELb0ES3_jPlPS6_PKS6_NS0_5tupleIJS9_S6_EEENSD_IJSA_SA_EEENS0_18inequality_wrapperIZN2at6native12_GLOBAL__N_124unique_dim_cuda_templateIfEESt5tupleIJNSH_6TensorESM_SM_EERKSM_lbbbEUlllE0_EEPmJS6_EEE10hipError_tPvRmT3_T4_T5_T6_T7_T9_mT8_P12ihipStream_tbDpT10_ENKUlT_T0_E_clISt17integral_constantIbLb1EES1B_IbLb0EEEEDaS17_S18_EUlS17_E_NS1_11comp_targetILNS1_3genE5ELNS1_11target_archE942ELNS1_3gpuE9ELNS1_3repE0EEENS1_30default_config_static_selectorELNS0_4arch9wavefront6targetE1EEEvT1_
; %bb.0:
	s_load_dwordx8 s[20:27], s[0:1], 0x40
	s_load_dwordx4 s[4:7], s[0:1], 0x8
	s_load_dwordx4 s[28:31], s[0:1], 0x60
	s_load_dword s3, s[0:1], 0x70
	s_waitcnt lgkmcnt(0)
	v_mov_b32_e32 v2, s24
	s_lshl_b64 s[8:9], s[6:7], 3
	s_add_u32 s12, s4, s8
	s_mul_i32 s8, s3, 0xe00
	s_addc_u32 s13, s5, s9
	s_add_i32 s10, s3, -1
	s_add_i32 s3, s8, s6
	s_sub_i32 s3, s24, s3
	s_add_u32 s8, s6, s8
	s_addc_u32 s9, s7, 0
	v_mov_b32_e32 v3, s25
	s_cmp_eq_u32 s2, s10
	s_load_dwordx2 s[22:23], s[22:23], 0x0
	v_cmp_ge_u64_e32 vcc, s[8:9], v[2:3]
	s_cselect_b64 s[24:25], -1, 0
	s_mul_i32 s4, s2, 0xe00
	s_mov_b32 s5, 0
	s_and_b64 s[8:9], s[24:25], vcc
	s_xor_b64 s[34:35], s[8:9], -1
	s_lshl_b64 s[4:5], s[4:5], 3
	s_add_u32 s4, s12, s4
	s_mov_b64 s[10:11], -1
	s_addc_u32 s5, s13, s5
	s_and_b64 vcc, exec, s[34:35]
	s_cbranch_vccz .LBB953_2
; %bb.1:
	v_lshlrev_b32_e32 v2, 3, v0
	v_mov_b32_e32 v3, 0
	v_lshl_add_u64 v[4:5], s[4:5], 0, v[2:3]
	v_add_co_u32_e32 v8, vcc, 0x1000, v4
	global_load_dwordx2 v[6:7], v2, s[4:5]
	s_nop 0
	v_addc_co_u32_e32 v9, vcc, 0, v5, vcc
	v_add_co_u32_e32 v10, vcc, 0x2000, v4
	s_mov_b64 s[10:11], 0
	s_nop 0
	v_addc_co_u32_e32 v11, vcc, 0, v5, vcc
	v_add_co_u32_e32 v12, vcc, 0x3000, v4
	s_nop 1
	v_addc_co_u32_e32 v13, vcc, 0, v5, vcc
	v_add_co_u32_e32 v14, vcc, 0x4000, v4
	s_nop 1
	v_addc_co_u32_e32 v15, vcc, 0, v5, vcc
	global_load_dwordx2 v[16:17], v[8:9], off
	global_load_dwordx2 v[18:19], v[10:11], off
	;; [unrolled: 1-line block ×4, first 2 shown]
	v_add_co_u32_e32 v8, vcc, 0x5000, v4
	s_nop 1
	v_addc_co_u32_e32 v9, vcc, 0, v5, vcc
	v_add_co_u32_e32 v4, vcc, 0x6000, v4
	global_load_dwordx2 v[8:9], v[8:9], off
	s_nop 0
	v_addc_co_u32_e32 v5, vcc, 0, v5, vcc
	global_load_dwordx2 v[4:5], v[4:5], off
	s_waitcnt vmcnt(5)
	ds_write2st64_b64 v2, v[6:7], v[16:17] offset1:8
	s_waitcnt vmcnt(3)
	ds_write2st64_b64 v2, v[18:19], v[20:21] offset0:16 offset1:24
	s_waitcnt vmcnt(1)
	ds_write2st64_b64 v2, v[22:23], v[8:9] offset0:32 offset1:40
	s_waitcnt vmcnt(0)
	ds_write_b64 v2, v[4:5] offset:24576
	s_waitcnt lgkmcnt(0)
	s_barrier
.LBB953_2:
	s_andn2_b64 vcc, exec, s[10:11]
	s_addk_i32 s3, 0xe00
	s_cbranch_vccnz .LBB953_18
; %bb.3:
	v_cmp_gt_u32_e32 vcc, s3, v0
                                        ; implicit-def: $vgpr2_vgpr3_vgpr4_vgpr5_vgpr6_vgpr7_vgpr8_vgpr9_vgpr10_vgpr11_vgpr12_vgpr13_vgpr14_vgpr15_vgpr16_vgpr17
	s_and_saveexec_b64 s[10:11], vcc
	s_cbranch_execz .LBB953_5
; %bb.4:
	v_lshlrev_b32_e32 v1, 3, v0
	global_load_dwordx2 v[2:3], v1, s[4:5]
.LBB953_5:
	s_or_b64 exec, exec, s[10:11]
	v_or_b32_e32 v1, 0x200, v0
	v_cmp_gt_u32_e32 vcc, s3, v1
	s_and_saveexec_b64 s[10:11], vcc
	s_cbranch_execz .LBB953_7
; %bb.6:
	v_lshlrev_b32_e32 v1, 3, v1
	global_load_dwordx2 v[4:5], v1, s[4:5]
.LBB953_7:
	s_or_b64 exec, exec, s[10:11]
	v_or_b32_e32 v1, 0x400, v0
	v_cmp_gt_u32_e32 vcc, s3, v1
	;; [unrolled: 9-line block ×6, first 2 shown]
	s_and_saveexec_b64 s[10:11], vcc
	s_cbranch_execz .LBB953_17
; %bb.16:
	v_lshlrev_b32_e32 v1, 3, v1
	global_load_dwordx2 v[14:15], v1, s[4:5]
.LBB953_17:
	s_or_b64 exec, exec, s[10:11]
	v_lshlrev_b32_e32 v1, 3, v0
	s_waitcnt vmcnt(0)
	ds_write2st64_b64 v1, v[2:3], v[4:5] offset1:8
	ds_write2st64_b64 v1, v[6:7], v[8:9] offset0:16 offset1:24
	ds_write2st64_b64 v1, v[10:11], v[12:13] offset0:32 offset1:40
	ds_write_b64 v1, v[14:15] offset:24576
	s_waitcnt lgkmcnt(0)
	s_barrier
.LBB953_18:
	v_mul_u32_u24_e32 v1, 7, v0
	v_lshlrev_b32_e32 v30, 3, v1
	s_waitcnt lgkmcnt(0)
	ds_read2_b64 v[10:13], v30 offset1:1
	ds_read2_b64 v[6:9], v30 offset0:2 offset1:3
	ds_read2_b64 v[2:5], v30 offset0:4 offset1:5
	ds_read_b64 v[14:15], v30 offset:48
	s_cmp_lg_u32 s2, 0
	s_cselect_b64 s[16:17], -1, 0
	s_cmp_lg_u64 s[6:7], 0
	s_cselect_b64 s[6:7], -1, 0
	s_or_b64 s[6:7], s[16:17], s[6:7]
	v_mad_u32_u24 v25, v0, 7, 1
	v_mad_u32_u24 v24, v0, 7, 2
	;; [unrolled: 1-line block ×6, first 2 shown]
	s_mov_b64 s[10:11], 0
	s_and_b64 vcc, exec, s[6:7]
	v_cmp_gt_i64_e64 s[12:13], s[26:27], 0
	s_waitcnt lgkmcnt(0)
	s_barrier
	s_cbranch_vccz .LBB953_27
; %bb.19:
	s_add_u32 s4, s4, -8
	s_addc_u32 s5, s5, -1
	s_load_dwordx2 s[6:7], s[4:5], 0x0
	v_cndmask_b32_e64 v16, 0, 1, s[12:13]
	v_lshlrev_b32_e32 v31, 3, v0
	s_and_b64 vcc, exec, s[34:35]
	v_cmp_ne_u32_e64 s[4:5], 1, v16
	ds_write_b64 v31, v[14:15]
	s_cbranch_vccz .LBB953_29
; %bb.20:
	v_mul_lo_u32 v18, v5, s26
	v_mul_lo_u32 v19, v4, s27
	v_mad_u64_u32 v[16:17], s[12:13], v4, s26, 0
	v_add3_u32 v17, v17, v19, v18
	s_and_b64 vcc, exec, s[4:5]
	v_lshl_add_u64 v[16:17], v[16:17], 2, s[28:29]
	s_cbranch_vccnz .LBB953_32
; %bb.21:
	v_mul_lo_u32 v20, v15, s26
	v_mul_lo_u32 v21, v14, s27
	v_mad_u64_u32 v[18:19], s[10:11], v14, s26, 0
	v_add3_u32 v19, v19, v21, v20
	v_lshl_add_u64 v[18:19], v[18:19], 2, s[28:29]
	global_load_dword v20, v[16:17], off
	global_load_dword v21, v[18:19], off
	s_mov_b64 s[10:11], -1
	s_waitcnt vmcnt(0)
	v_cmp_eq_f32_e32 vcc, v20, v21
	s_and_saveexec_b64 s[12:13], vcc
	s_cbranch_execz .LBB953_31
; %bb.22:
	s_add_u32 s10, s26, -1
	v_lshl_add_u64 v[18:19], v[18:19], 0, 4
	v_lshl_add_u64 v[20:21], v[16:17], 0, 4
	s_addc_u32 s11, s27, -1
	s_mov_b64 s[14:15], 0
	s_mov_b64 s[36:37], 0
                                        ; implicit-def: $sgpr18_sgpr19
	s_branch .LBB953_25
.LBB953_23:                             ;   in Loop: Header=BB953_25 Depth=1
	global_load_dword v22, v[20:21], off
	global_load_dword v23, v[18:19], off
	s_add_u32 s36, s36, 1
	s_addc_u32 s37, s37, 0
	s_andn2_b64 s[18:19], s[18:19], exec
	v_lshl_add_u64 v[18:19], v[18:19], 0, 4
	v_lshl_add_u64 v[20:21], v[20:21], 0, 4
	s_waitcnt vmcnt(0)
	v_cmp_neq_f32_e32 vcc, v22, v23
	s_and_b64 s[38:39], vcc, exec
	s_or_b64 s[18:19], s[18:19], s[38:39]
.LBB953_24:                             ;   in Loop: Header=BB953_25 Depth=1
	s_and_b64 s[38:39], exec, s[18:19]
	s_or_b64 s[14:15], s[38:39], s[14:15]
	v_mov_b64_e32 v[22:23], s[36:37]
	s_andn2_b64 exec, exec, s[14:15]
	s_cbranch_execz .LBB953_30
.LBB953_25:                             ; =>This Inner Loop Header: Depth=1
	s_or_b64 s[18:19], s[18:19], exec
	s_cmp_eq_u64 s[10:11], s[36:37]
	s_cbranch_scc0 .LBB953_23
; %bb.26:                               ;   in Loop: Header=BB953_25 Depth=1
                                        ; implicit-def: $vgpr18_vgpr19
                                        ; implicit-def: $vgpr20_vgpr21
	s_mov_b64 s[36:37], s[26:27]
	s_branch .LBB953_24
.LBB953_27:
                                        ; implicit-def: $sgpr18_sgpr19
                                        ; implicit-def: $vgpr34
                                        ; implicit-def: $vgpr33
                                        ; implicit-def: $vgpr32
                                        ; implicit-def: $vgpr20
	s_branch .LBB953_170
.LBB953_28:
                                        ; implicit-def: $vgpr16_vgpr17
	s_branch .LBB953_318
.LBB953_29:
                                        ; implicit-def: $sgpr18_sgpr19
                                        ; implicit-def: $vgpr34
                                        ; implicit-def: $vgpr33
                                        ; implicit-def: $vgpr32
                                        ; implicit-def: $vgpr20
	s_cbranch_execnz .LBB953_89
	s_branch .LBB953_169
.LBB953_30:
	s_or_b64 exec, exec, s[14:15]
	v_cmp_gt_i64_e32 vcc, s[26:27], v[22:23]
	s_orn2_b64 s[10:11], vcc, exec
.LBB953_31:
	s_or_b64 exec, exec, s[12:13]
.LBB953_32:
	v_mul_lo_u32 v20, v3, s26
	v_mul_lo_u32 v21, v2, s27
	v_mad_u64_u32 v[18:19], s[12:13], v2, s26, 0
	v_add3_u32 v19, v19, v21, v20
	s_mov_b64 s[12:13], 0
	s_and_b64 vcc, exec, s[4:5]
	v_lshl_add_u64 v[18:19], v[18:19], 2, s[28:29]
	s_mov_b64 s[14:15], 0
	s_cbranch_vccnz .LBB953_41
; %bb.33:
	global_load_dword v20, v[18:19], off
	global_load_dword v21, v[16:17], off
	s_mov_b64 s[14:15], -1
	s_waitcnt vmcnt(0)
	v_cmp_eq_f32_e32 vcc, v20, v21
	s_and_saveexec_b64 s[18:19], vcc
	s_cbranch_execz .LBB953_40
; %bb.34:
	s_add_u32 s14, s26, -1
	v_lshl_add_u64 v[16:17], v[16:17], 0, 4
	v_lshl_add_u64 v[20:21], v[18:19], 0, 4
	s_addc_u32 s15, s27, -1
	s_mov_b64 s[36:37], 0
	s_mov_b64 s[40:41], 0
                                        ; implicit-def: $sgpr38_sgpr39
	s_branch .LBB953_37
.LBB953_35:                             ;   in Loop: Header=BB953_37 Depth=1
	global_load_dword v22, v[20:21], off
	global_load_dword v23, v[16:17], off
	s_add_u32 s40, s40, 1
	s_addc_u32 s41, s41, 0
	s_andn2_b64 s[38:39], s[38:39], exec
	v_lshl_add_u64 v[16:17], v[16:17], 0, 4
	v_lshl_add_u64 v[20:21], v[20:21], 0, 4
	s_waitcnt vmcnt(0)
	v_cmp_neq_f32_e32 vcc, v22, v23
	s_and_b64 s[42:43], vcc, exec
	s_or_b64 s[38:39], s[38:39], s[42:43]
.LBB953_36:                             ;   in Loop: Header=BB953_37 Depth=1
	s_and_b64 s[42:43], exec, s[38:39]
	s_or_b64 s[36:37], s[42:43], s[36:37]
	v_mov_b64_e32 v[22:23], s[40:41]
	s_andn2_b64 exec, exec, s[36:37]
	s_cbranch_execz .LBB953_39
.LBB953_37:                             ; =>This Inner Loop Header: Depth=1
	s_or_b64 s[38:39], s[38:39], exec
	s_cmp_eq_u64 s[14:15], s[40:41]
	s_cbranch_scc0 .LBB953_35
; %bb.38:                               ;   in Loop: Header=BB953_37 Depth=1
                                        ; implicit-def: $vgpr16_vgpr17
                                        ; implicit-def: $vgpr20_vgpr21
	s_mov_b64 s[40:41], s[26:27]
	s_branch .LBB953_36
.LBB953_39:
	s_or_b64 exec, exec, s[36:37]
	v_cmp_gt_i64_e32 vcc, s[26:27], v[22:23]
	s_orn2_b64 s[14:15], vcc, exec
.LBB953_40:
	s_or_b64 exec, exec, s[18:19]
.LBB953_41:
	v_mul_lo_u32 v20, v9, s26
	v_mul_lo_u32 v21, v8, s27
	v_mad_u64_u32 v[16:17], s[18:19], v8, s26, 0
	v_add3_u32 v17, v17, v21, v20
	s_and_b64 vcc, exec, s[4:5]
	v_lshl_add_u64 v[16:17], v[16:17], 2, s[28:29]
	s_cbranch_vccnz .LBB953_50
; %bb.42:
	global_load_dword v20, v[16:17], off
	global_load_dword v21, v[18:19], off
	s_mov_b64 s[12:13], -1
	s_waitcnt vmcnt(0)
	v_cmp_eq_f32_e32 vcc, v20, v21
	s_and_saveexec_b64 s[18:19], vcc
	s_cbranch_execz .LBB953_49
; %bb.43:
	s_add_u32 s12, s26, -1
	v_lshl_add_u64 v[18:19], v[18:19], 0, 4
	v_lshl_add_u64 v[20:21], v[16:17], 0, 4
	s_addc_u32 s13, s27, -1
	s_mov_b64 s[36:37], 0
	s_mov_b64 s[40:41], 0
                                        ; implicit-def: $sgpr38_sgpr39
	s_branch .LBB953_46
.LBB953_44:                             ;   in Loop: Header=BB953_46 Depth=1
	global_load_dword v22, v[20:21], off
	global_load_dword v23, v[18:19], off
	s_add_u32 s40, s40, 1
	s_addc_u32 s41, s41, 0
	s_andn2_b64 s[38:39], s[38:39], exec
	v_lshl_add_u64 v[18:19], v[18:19], 0, 4
	v_lshl_add_u64 v[20:21], v[20:21], 0, 4
	s_waitcnt vmcnt(0)
	v_cmp_neq_f32_e32 vcc, v22, v23
	s_and_b64 s[42:43], vcc, exec
	s_or_b64 s[38:39], s[38:39], s[42:43]
.LBB953_45:                             ;   in Loop: Header=BB953_46 Depth=1
	s_and_b64 s[42:43], exec, s[38:39]
	s_or_b64 s[36:37], s[42:43], s[36:37]
	v_mov_b64_e32 v[22:23], s[40:41]
	s_andn2_b64 exec, exec, s[36:37]
	s_cbranch_execz .LBB953_48
.LBB953_46:                             ; =>This Inner Loop Header: Depth=1
	s_or_b64 s[38:39], s[38:39], exec
	s_cmp_eq_u64 s[12:13], s[40:41]
	s_cbranch_scc0 .LBB953_44
; %bb.47:                               ;   in Loop: Header=BB953_46 Depth=1
                                        ; implicit-def: $vgpr18_vgpr19
                                        ; implicit-def: $vgpr20_vgpr21
	s_mov_b64 s[40:41], s[26:27]
	s_branch .LBB953_45
.LBB953_48:
	s_or_b64 exec, exec, s[36:37]
	v_cmp_gt_i64_e32 vcc, s[26:27], v[22:23]
	s_orn2_b64 s[12:13], vcc, exec
.LBB953_49:
	s_or_b64 exec, exec, s[18:19]
.LBB953_50:
	v_mul_lo_u32 v20, v7, s26
	v_mul_lo_u32 v21, v6, s27
	v_mad_u64_u32 v[18:19], s[18:19], v6, s26, 0
	v_add3_u32 v19, v19, v21, v20
	s_mov_b64 s[18:19], 0
	s_and_b64 vcc, exec, s[4:5]
	v_lshl_add_u64 v[20:21], v[18:19], 2, s[28:29]
	s_mov_b64 s[36:37], 0
	s_cbranch_vccnz .LBB953_59
; %bb.51:
	global_load_dword v18, v[20:21], off
	global_load_dword v19, v[16:17], off
	s_mov_b64 s[36:37], -1
	s_waitcnt vmcnt(0)
	v_cmp_eq_f32_e32 vcc, v18, v19
	s_and_saveexec_b64 s[38:39], vcc
	s_cbranch_execz .LBB953_58
; %bb.52:
	s_add_u32 s36, s26, -1
	v_lshl_add_u64 v[16:17], v[16:17], 0, 4
	v_lshl_add_u64 v[18:19], v[20:21], 0, 4
	s_addc_u32 s37, s27, -1
	s_mov_b64 s[40:41], 0
	s_mov_b64 s[44:45], 0
                                        ; implicit-def: $sgpr42_sgpr43
	s_branch .LBB953_55
.LBB953_53:                             ;   in Loop: Header=BB953_55 Depth=1
	global_load_dword v22, v[18:19], off
	global_load_dword v23, v[16:17], off
	s_add_u32 s44, s44, 1
	s_addc_u32 s45, s45, 0
	s_andn2_b64 s[42:43], s[42:43], exec
	v_lshl_add_u64 v[16:17], v[16:17], 0, 4
	v_lshl_add_u64 v[18:19], v[18:19], 0, 4
	s_waitcnt vmcnt(0)
	v_cmp_neq_f32_e32 vcc, v22, v23
	s_and_b64 s[46:47], vcc, exec
	s_or_b64 s[42:43], s[42:43], s[46:47]
.LBB953_54:                             ;   in Loop: Header=BB953_55 Depth=1
	s_and_b64 s[46:47], exec, s[42:43]
	s_or_b64 s[40:41], s[46:47], s[40:41]
	v_mov_b64_e32 v[22:23], s[44:45]
	s_andn2_b64 exec, exec, s[40:41]
	s_cbranch_execz .LBB953_57
.LBB953_55:                             ; =>This Inner Loop Header: Depth=1
	s_or_b64 s[42:43], s[42:43], exec
	s_cmp_eq_u64 s[36:37], s[44:45]
	s_cbranch_scc0 .LBB953_53
; %bb.56:                               ;   in Loop: Header=BB953_55 Depth=1
                                        ; implicit-def: $vgpr16_vgpr17
                                        ; implicit-def: $vgpr18_vgpr19
	s_mov_b64 s[44:45], s[26:27]
	s_branch .LBB953_54
.LBB953_57:
	s_or_b64 exec, exec, s[40:41]
	v_cmp_gt_i64_e32 vcc, s[26:27], v[22:23]
	s_orn2_b64 s[36:37], vcc, exec
.LBB953_58:
	s_or_b64 exec, exec, s[38:39]
.LBB953_59:
	v_mul_lo_u32 v18, v13, s26
	v_mul_lo_u32 v19, v12, s27
	v_mad_u64_u32 v[16:17], s[38:39], v12, s26, 0
	v_add3_u32 v17, v17, v19, v18
	s_and_b64 vcc, exec, s[4:5]
	v_lshl_add_u64 v[18:19], v[16:17], 2, s[28:29]
	s_cbranch_vccnz .LBB953_68
; %bb.60:
	global_load_dword v16, v[18:19], off
	global_load_dword v17, v[20:21], off
	s_mov_b64 s[18:19], -1
	s_waitcnt vmcnt(0)
	v_cmp_eq_f32_e32 vcc, v16, v17
	s_and_saveexec_b64 s[38:39], vcc
	s_cbranch_execz .LBB953_67
; %bb.61:
	s_add_u32 s18, s26, -1
	v_lshl_add_u64 v[16:17], v[20:21], 0, 4
	v_lshl_add_u64 v[20:21], v[18:19], 0, 4
	s_addc_u32 s19, s27, -1
	s_mov_b64 s[40:41], 0
	s_mov_b64 s[44:45], 0
                                        ; implicit-def: $sgpr42_sgpr43
	s_branch .LBB953_64
.LBB953_62:                             ;   in Loop: Header=BB953_64 Depth=1
	global_load_dword v22, v[20:21], off
	global_load_dword v23, v[16:17], off
	s_add_u32 s44, s44, 1
	s_addc_u32 s45, s45, 0
	s_andn2_b64 s[42:43], s[42:43], exec
	v_lshl_add_u64 v[16:17], v[16:17], 0, 4
	v_lshl_add_u64 v[20:21], v[20:21], 0, 4
	s_waitcnt vmcnt(0)
	v_cmp_neq_f32_e32 vcc, v22, v23
	s_and_b64 s[46:47], vcc, exec
	s_or_b64 s[42:43], s[42:43], s[46:47]
.LBB953_63:                             ;   in Loop: Header=BB953_64 Depth=1
	s_and_b64 s[46:47], exec, s[42:43]
	s_or_b64 s[40:41], s[46:47], s[40:41]
	v_mov_b64_e32 v[22:23], s[44:45]
	s_andn2_b64 exec, exec, s[40:41]
	s_cbranch_execz .LBB953_66
.LBB953_64:                             ; =>This Inner Loop Header: Depth=1
	s_or_b64 s[42:43], s[42:43], exec
	s_cmp_eq_u64 s[18:19], s[44:45]
	s_cbranch_scc0 .LBB953_62
; %bb.65:                               ;   in Loop: Header=BB953_64 Depth=1
                                        ; implicit-def: $vgpr16_vgpr17
                                        ; implicit-def: $vgpr20_vgpr21
	s_mov_b64 s[44:45], s[26:27]
	s_branch .LBB953_63
.LBB953_66:
	s_or_b64 exec, exec, s[40:41]
	v_cmp_gt_i64_e32 vcc, s[26:27], v[22:23]
	s_orn2_b64 s[18:19], vcc, exec
.LBB953_67:
	s_or_b64 exec, exec, s[38:39]
.LBB953_68:
	v_mul_lo_u32 v20, v11, s26
	v_mul_lo_u32 v21, v10, s27
	v_mad_u64_u32 v[16:17], s[38:39], v10, s26, 0
	v_add3_u32 v17, v17, v21, v20
	s_mov_b64 s[40:41], 0
	s_and_b64 vcc, exec, s[4:5]
	v_lshl_add_u64 v[16:17], v[16:17], 2, s[28:29]
	s_cbranch_vccnz .LBB953_77
; %bb.69:
	global_load_dword v20, v[16:17], off
	global_load_dword v21, v[18:19], off
	s_mov_b64 s[40:41], -1
	s_waitcnt vmcnt(0)
	v_cmp_eq_f32_e32 vcc, v20, v21
	s_and_saveexec_b64 s[38:39], vcc
	s_cbranch_execz .LBB953_76
; %bb.70:
	s_add_u32 s40, s26, -1
	v_lshl_add_u64 v[18:19], v[18:19], 0, 4
	v_lshl_add_u64 v[20:21], v[16:17], 0, 4
	s_addc_u32 s41, s27, -1
	s_mov_b64 s[42:43], 0
	s_mov_b64 s[46:47], 0
                                        ; implicit-def: $sgpr44_sgpr45
	s_branch .LBB953_73
.LBB953_71:                             ;   in Loop: Header=BB953_73 Depth=1
	global_load_dword v22, v[20:21], off
	global_load_dword v23, v[18:19], off
	s_add_u32 s46, s46, 1
	s_addc_u32 s47, s47, 0
	s_andn2_b64 s[44:45], s[44:45], exec
	v_lshl_add_u64 v[18:19], v[18:19], 0, 4
	v_lshl_add_u64 v[20:21], v[20:21], 0, 4
	s_waitcnt vmcnt(0)
	v_cmp_neq_f32_e32 vcc, v22, v23
	s_and_b64 s[48:49], vcc, exec
	s_or_b64 s[44:45], s[44:45], s[48:49]
.LBB953_72:                             ;   in Loop: Header=BB953_73 Depth=1
	s_and_b64 s[48:49], exec, s[44:45]
	s_or_b64 s[42:43], s[48:49], s[42:43]
	v_mov_b64_e32 v[22:23], s[46:47]
	s_andn2_b64 exec, exec, s[42:43]
	s_cbranch_execz .LBB953_75
.LBB953_73:                             ; =>This Inner Loop Header: Depth=1
	s_or_b64 s[44:45], s[44:45], exec
	s_cmp_eq_u64 s[40:41], s[46:47]
	s_cbranch_scc0 .LBB953_71
; %bb.74:                               ;   in Loop: Header=BB953_73 Depth=1
                                        ; implicit-def: $vgpr18_vgpr19
                                        ; implicit-def: $vgpr20_vgpr21
	s_mov_b64 s[46:47], s[26:27]
	s_branch .LBB953_72
.LBB953_75:
	s_or_b64 exec, exec, s[42:43]
	v_cmp_gt_i64_e32 vcc, s[26:27], v[22:23]
	s_orn2_b64 s[40:41], vcc, exec
.LBB953_76:
	s_or_b64 exec, exec, s[38:39]
.LBB953_77:
	v_cmp_ne_u32_e32 vcc, 0, v0
	s_waitcnt lgkmcnt(0)
	v_mov_b64_e32 v[18:19], s[6:7]
	s_barrier
	s_and_saveexec_b64 s[38:39], vcc
	s_cbranch_execz .LBB953_79
; %bb.78:
	v_add_u32_e32 v18, -8, v31
	ds_read_b64 v[18:19], v18
.LBB953_79:
	s_or_b64 exec, exec, s[38:39]
	v_cndmask_b32_e64 v21, 0, 1, s[36:37]
	v_cndmask_b32_e64 v20, 0, 1, s[18:19]
	;; [unrolled: 1-line block ×3, first 2 shown]
	v_lshlrev_b16_e32 v21, 8, v21
	v_lshlrev_b16_e32 v22, 8, v22
	v_or_b32_sdwa v23, v20, v21 dst_sel:WORD_1 dst_unused:UNUSED_PAD src0_sel:DWORD src1_sel:DWORD
	s_mov_b64 s[36:37], 0
	s_and_b64 vcc, exec, s[4:5]
	s_mov_b64 s[18:19], 0
	s_cbranch_vccnz .LBB953_88
; %bb.80:
	s_waitcnt lgkmcnt(0)
	v_mul_lo_u32 v20, v19, s26
	v_mul_lo_u32 v21, v18, s27
	v_mad_u64_u32 v[18:19], s[18:19], v18, s26, 0
	v_add3_u32 v19, v19, v21, v20
	v_lshl_add_u64 v[18:19], v[18:19], 2, s[28:29]
	global_load_dword v20, v[18:19], off
	global_load_dword v21, v[16:17], off
	s_mov_b64 s[18:19], -1
	s_waitcnt vmcnt(0)
	v_cmp_eq_f32_e32 vcc, v20, v21
	s_and_saveexec_b64 s[38:39], vcc
	s_cbranch_execz .LBB953_87
; %bb.81:
	s_add_u32 s18, s26, -1
	v_lshl_add_u64 v[16:17], v[16:17], 0, 4
	v_lshl_add_u64 v[18:19], v[18:19], 0, 4
	s_addc_u32 s19, s27, -1
	s_mov_b64 s[40:41], 0
	s_mov_b64 s[44:45], 0
                                        ; implicit-def: $sgpr42_sgpr43
	s_branch .LBB953_84
.LBB953_82:                             ;   in Loop: Header=BB953_84 Depth=1
	global_load_dword v20, v[18:19], off
	global_load_dword v21, v[16:17], off
	s_add_u32 s44, s44, 1
	s_addc_u32 s45, s45, 0
	s_andn2_b64 s[42:43], s[42:43], exec
	v_lshl_add_u64 v[16:17], v[16:17], 0, 4
	v_lshl_add_u64 v[18:19], v[18:19], 0, 4
	s_waitcnt vmcnt(0)
	v_cmp_neq_f32_e32 vcc, v20, v21
	s_and_b64 s[46:47], vcc, exec
	s_or_b64 s[42:43], s[42:43], s[46:47]
.LBB953_83:                             ;   in Loop: Header=BB953_84 Depth=1
	s_and_b64 s[46:47], exec, s[42:43]
	s_or_b64 s[40:41], s[46:47], s[40:41]
	v_mov_b64_e32 v[20:21], s[44:45]
	s_andn2_b64 exec, exec, s[40:41]
	s_cbranch_execz .LBB953_86
.LBB953_84:                             ; =>This Inner Loop Header: Depth=1
	s_or_b64 s[42:43], s[42:43], exec
	s_cmp_eq_u64 s[18:19], s[44:45]
	s_cbranch_scc0 .LBB953_82
; %bb.85:                               ;   in Loop: Header=BB953_84 Depth=1
                                        ; implicit-def: $vgpr16_vgpr17
                                        ; implicit-def: $vgpr18_vgpr19
	s_mov_b64 s[44:45], s[26:27]
	s_branch .LBB953_83
.LBB953_86:
	s_or_b64 exec, exec, s[40:41]
	v_cmp_gt_i64_e32 vcc, s[26:27], v[20:21]
	s_orn2_b64 s[18:19], vcc, exec
.LBB953_87:
	s_or_b64 exec, exec, s[38:39]
.LBB953_88:
	v_cndmask_b32_e64 v32, 0, 1, s[12:13]
	v_cndmask_b32_e64 v33, 0, 1, s[14:15]
	;; [unrolled: 1-line block ×3, first 2 shown]
	v_or_b32_e32 v20, v22, v23
	s_and_b64 vcc, exec, s[36:37]
	s_cbranch_vccz .LBB953_169
.LBB953_89:
	v_cmp_gt_u32_e32 vcc, s3, v27
	s_mov_b64 s[12:13], 0
	s_mov_b64 s[10:11], 0
	s_and_saveexec_b64 s[14:15], vcc
	s_cbranch_execz .LBB953_100
; %bb.90:
	s_and_b64 vcc, exec, s[4:5]
	s_mov_b64 s[18:19], 0
	s_cbranch_vccnz .LBB953_99
; %bb.91:
	s_waitcnt lgkmcnt(0)
	v_mul_lo_u32 v18, v5, s26
	v_mul_lo_u32 v19, v4, s27
	v_mad_u64_u32 v[16:17], s[10:11], v4, s26, 0
	v_add3_u32 v17, v17, v19, v18
	v_mul_lo_u32 v18, v15, s26
	v_mul_lo_u32 v19, v14, s27
	v_mad_u64_u32 v[20:21], s[10:11], v14, s26, 0
	v_add3_u32 v21, v21, v19, v18
	v_lshl_add_u64 v[18:19], v[16:17], 2, s[28:29]
	v_lshl_add_u64 v[16:17], v[20:21], 2, s[28:29]
	global_load_dword v20, v[18:19], off
	global_load_dword v21, v[16:17], off
	s_mov_b64 s[18:19], -1
	s_waitcnt vmcnt(0)
	v_cmp_eq_f32_e32 vcc, v20, v21
	s_and_saveexec_b64 s[10:11], vcc
	s_cbranch_execz .LBB953_98
; %bb.92:
	s_add_u32 s18, s26, -1
	v_lshl_add_u64 v[16:17], v[16:17], 0, 4
	v_lshl_add_u64 v[18:19], v[18:19], 0, 4
	s_addc_u32 s19, s27, -1
	s_mov_b64 s[36:37], 0
	s_mov_b64 s[40:41], 0
                                        ; implicit-def: $sgpr38_sgpr39
	s_branch .LBB953_95
.LBB953_93:                             ;   in Loop: Header=BB953_95 Depth=1
	global_load_dword v20, v[18:19], off
	global_load_dword v21, v[16:17], off
	s_add_u32 s40, s40, 1
	s_addc_u32 s41, s41, 0
	s_andn2_b64 s[38:39], s[38:39], exec
	v_lshl_add_u64 v[16:17], v[16:17], 0, 4
	v_lshl_add_u64 v[18:19], v[18:19], 0, 4
	s_waitcnt vmcnt(0)
	v_cmp_neq_f32_e32 vcc, v20, v21
	s_and_b64 s[42:43], vcc, exec
	s_or_b64 s[38:39], s[38:39], s[42:43]
.LBB953_94:                             ;   in Loop: Header=BB953_95 Depth=1
	s_and_b64 s[42:43], exec, s[38:39]
	s_or_b64 s[36:37], s[42:43], s[36:37]
	v_mov_b64_e32 v[20:21], s[40:41]
	s_andn2_b64 exec, exec, s[36:37]
	s_cbranch_execz .LBB953_97
.LBB953_95:                             ; =>This Inner Loop Header: Depth=1
	s_or_b64 s[38:39], s[38:39], exec
	s_cmp_eq_u64 s[18:19], s[40:41]
	s_cbranch_scc0 .LBB953_93
; %bb.96:                               ;   in Loop: Header=BB953_95 Depth=1
                                        ; implicit-def: $vgpr16_vgpr17
                                        ; implicit-def: $vgpr18_vgpr19
	s_mov_b64 s[40:41], s[26:27]
	s_branch .LBB953_94
.LBB953_97:
	s_or_b64 exec, exec, s[36:37]
	v_cmp_gt_i64_e32 vcc, s[26:27], v[20:21]
	s_orn2_b64 s[18:19], vcc, exec
.LBB953_98:
	s_or_b64 exec, exec, s[10:11]
.LBB953_99:
	s_and_b64 s[10:11], s[18:19], exec
.LBB953_100:
	s_or_b64 exec, exec, s[14:15]
	v_cmp_gt_u32_e32 vcc, s3, v29
	s_and_saveexec_b64 s[14:15], vcc
	s_cbranch_execz .LBB953_111
; %bb.101:
	s_and_b64 vcc, exec, s[4:5]
	s_mov_b64 s[18:19], 0
	s_cbranch_vccnz .LBB953_110
; %bb.102:
	s_waitcnt lgkmcnt(0)
	v_mul_lo_u32 v18, v3, s26
	v_mul_lo_u32 v19, v2, s27
	v_mad_u64_u32 v[16:17], s[12:13], v2, s26, 0
	v_add3_u32 v17, v17, v19, v18
	v_mul_lo_u32 v18, v5, s26
	v_mul_lo_u32 v19, v4, s27
	v_mad_u64_u32 v[20:21], s[12:13], v4, s26, 0
	v_add3_u32 v21, v21, v19, v18
	v_lshl_add_u64 v[18:19], v[16:17], 2, s[28:29]
	v_lshl_add_u64 v[16:17], v[20:21], 2, s[28:29]
	global_load_dword v20, v[18:19], off
	global_load_dword v21, v[16:17], off
	s_mov_b64 s[18:19], -1
	s_waitcnt vmcnt(0)
	v_cmp_eq_f32_e32 vcc, v20, v21
	s_and_saveexec_b64 s[12:13], vcc
	s_cbranch_execz .LBB953_109
; %bb.103:
	s_add_u32 s18, s26, -1
	v_lshl_add_u64 v[16:17], v[16:17], 0, 4
	v_lshl_add_u64 v[18:19], v[18:19], 0, 4
	s_addc_u32 s19, s27, -1
	s_mov_b64 s[36:37], 0
	s_mov_b64 s[40:41], 0
                                        ; implicit-def: $sgpr38_sgpr39
	s_branch .LBB953_106
.LBB953_104:                            ;   in Loop: Header=BB953_106 Depth=1
	global_load_dword v20, v[18:19], off
	global_load_dword v21, v[16:17], off
	s_add_u32 s40, s40, 1
	s_addc_u32 s41, s41, 0
	s_andn2_b64 s[38:39], s[38:39], exec
	v_lshl_add_u64 v[16:17], v[16:17], 0, 4
	v_lshl_add_u64 v[18:19], v[18:19], 0, 4
	s_waitcnt vmcnt(0)
	v_cmp_neq_f32_e32 vcc, v20, v21
	s_and_b64 s[42:43], vcc, exec
	s_or_b64 s[38:39], s[38:39], s[42:43]
.LBB953_105:                            ;   in Loop: Header=BB953_106 Depth=1
	s_and_b64 s[42:43], exec, s[38:39]
	s_or_b64 s[36:37], s[42:43], s[36:37]
	v_mov_b64_e32 v[20:21], s[40:41]
	s_andn2_b64 exec, exec, s[36:37]
	s_cbranch_execz .LBB953_108
.LBB953_106:                            ; =>This Inner Loop Header: Depth=1
	s_or_b64 s[38:39], s[38:39], exec
	s_cmp_eq_u64 s[18:19], s[40:41]
	s_cbranch_scc0 .LBB953_104
; %bb.107:                              ;   in Loop: Header=BB953_106 Depth=1
                                        ; implicit-def: $vgpr16_vgpr17
                                        ; implicit-def: $vgpr18_vgpr19
	s_mov_b64 s[40:41], s[26:27]
	s_branch .LBB953_105
.LBB953_108:
	s_or_b64 exec, exec, s[36:37]
	v_cmp_gt_i64_e32 vcc, s[26:27], v[20:21]
	s_orn2_b64 s[18:19], vcc, exec
.LBB953_109:
	s_or_b64 exec, exec, s[12:13]
.LBB953_110:
	s_and_b64 s[12:13], s[18:19], exec
.LBB953_111:
	s_or_b64 exec, exec, s[14:15]
	v_cmp_gt_u32_e32 vcc, s3, v26
	s_mov_b64 s[18:19], 0
	s_mov_b64 s[14:15], 0
	s_and_saveexec_b64 s[36:37], vcc
	s_cbranch_execz .LBB953_122
; %bb.112:
	s_and_b64 vcc, exec, s[4:5]
	s_mov_b64 s[38:39], 0
	s_cbranch_vccnz .LBB953_121
; %bb.113:
	s_waitcnt lgkmcnt(0)
	v_mul_lo_u32 v18, v9, s26
	v_mul_lo_u32 v19, v8, s27
	v_mad_u64_u32 v[16:17], s[14:15], v8, s26, 0
	v_add3_u32 v17, v17, v19, v18
	v_mul_lo_u32 v18, v3, s26
	v_mul_lo_u32 v19, v2, s27
	v_mad_u64_u32 v[20:21], s[14:15], v2, s26, 0
	v_add3_u32 v21, v21, v19, v18
	v_lshl_add_u64 v[18:19], v[16:17], 2, s[28:29]
	v_lshl_add_u64 v[16:17], v[20:21], 2, s[28:29]
	global_load_dword v20, v[18:19], off
	global_load_dword v21, v[16:17], off
	s_mov_b64 s[38:39], -1
	s_waitcnt vmcnt(0)
	v_cmp_eq_f32_e32 vcc, v20, v21
	s_and_saveexec_b64 s[14:15], vcc
	s_cbranch_execz .LBB953_120
; %bb.114:
	s_add_u32 s38, s26, -1
	v_lshl_add_u64 v[16:17], v[16:17], 0, 4
	v_lshl_add_u64 v[18:19], v[18:19], 0, 4
	s_addc_u32 s39, s27, -1
	s_mov_b64 s[40:41], 0
	s_mov_b64 s[44:45], 0
                                        ; implicit-def: $sgpr42_sgpr43
	s_branch .LBB953_117
.LBB953_115:                            ;   in Loop: Header=BB953_117 Depth=1
	global_load_dword v20, v[18:19], off
	global_load_dword v21, v[16:17], off
	s_add_u32 s44, s44, 1
	s_addc_u32 s45, s45, 0
	s_andn2_b64 s[42:43], s[42:43], exec
	v_lshl_add_u64 v[16:17], v[16:17], 0, 4
	v_lshl_add_u64 v[18:19], v[18:19], 0, 4
	s_waitcnt vmcnt(0)
	v_cmp_neq_f32_e32 vcc, v20, v21
	s_and_b64 s[46:47], vcc, exec
	s_or_b64 s[42:43], s[42:43], s[46:47]
.LBB953_116:                            ;   in Loop: Header=BB953_117 Depth=1
	s_and_b64 s[46:47], exec, s[42:43]
	s_or_b64 s[40:41], s[46:47], s[40:41]
	v_mov_b64_e32 v[20:21], s[44:45]
	s_andn2_b64 exec, exec, s[40:41]
	s_cbranch_execz .LBB953_119
.LBB953_117:                            ; =>This Inner Loop Header: Depth=1
	s_or_b64 s[42:43], s[42:43], exec
	s_cmp_eq_u64 s[38:39], s[44:45]
	s_cbranch_scc0 .LBB953_115
; %bb.118:                              ;   in Loop: Header=BB953_117 Depth=1
                                        ; implicit-def: $vgpr16_vgpr17
                                        ; implicit-def: $vgpr18_vgpr19
	s_mov_b64 s[44:45], s[26:27]
	s_branch .LBB953_116
.LBB953_119:
	s_or_b64 exec, exec, s[40:41]
	v_cmp_gt_i64_e32 vcc, s[26:27], v[20:21]
	s_orn2_b64 s[38:39], vcc, exec
.LBB953_120:
	s_or_b64 exec, exec, s[14:15]
.LBB953_121:
	s_and_b64 s[14:15], s[38:39], exec
.LBB953_122:
	s_or_b64 exec, exec, s[36:37]
	v_cmp_gt_u32_e32 vcc, s3, v28
	s_and_saveexec_b64 s[36:37], vcc
	s_cbranch_execz .LBB953_133
; %bb.123:
	s_and_b64 vcc, exec, s[4:5]
	s_mov_b64 s[38:39], 0
	s_cbranch_vccnz .LBB953_132
; %bb.124:
	s_waitcnt lgkmcnt(0)
	v_mul_lo_u32 v18, v7, s26
	v_mul_lo_u32 v19, v6, s27
	v_mad_u64_u32 v[16:17], s[18:19], v6, s26, 0
	v_add3_u32 v17, v17, v19, v18
	v_mul_lo_u32 v18, v9, s26
	v_mul_lo_u32 v19, v8, s27
	v_mad_u64_u32 v[20:21], s[18:19], v8, s26, 0
	v_add3_u32 v21, v21, v19, v18
	v_lshl_add_u64 v[18:19], v[16:17], 2, s[28:29]
	v_lshl_add_u64 v[16:17], v[20:21], 2, s[28:29]
	global_load_dword v20, v[18:19], off
	global_load_dword v21, v[16:17], off
	s_mov_b64 s[38:39], -1
	s_waitcnt vmcnt(0)
	v_cmp_eq_f32_e32 vcc, v20, v21
	s_and_saveexec_b64 s[18:19], vcc
	s_cbranch_execz .LBB953_131
; %bb.125:
	s_add_u32 s38, s26, -1
	v_lshl_add_u64 v[16:17], v[16:17], 0, 4
	v_lshl_add_u64 v[18:19], v[18:19], 0, 4
	s_addc_u32 s39, s27, -1
	s_mov_b64 s[40:41], 0
	s_mov_b64 s[44:45], 0
                                        ; implicit-def: $sgpr42_sgpr43
	s_branch .LBB953_128
.LBB953_126:                            ;   in Loop: Header=BB953_128 Depth=1
	global_load_dword v20, v[18:19], off
	global_load_dword v21, v[16:17], off
	s_add_u32 s44, s44, 1
	s_addc_u32 s45, s45, 0
	s_andn2_b64 s[42:43], s[42:43], exec
	v_lshl_add_u64 v[16:17], v[16:17], 0, 4
	v_lshl_add_u64 v[18:19], v[18:19], 0, 4
	s_waitcnt vmcnt(0)
	v_cmp_neq_f32_e32 vcc, v20, v21
	s_and_b64 s[46:47], vcc, exec
	s_or_b64 s[42:43], s[42:43], s[46:47]
.LBB953_127:                            ;   in Loop: Header=BB953_128 Depth=1
	s_and_b64 s[46:47], exec, s[42:43]
	s_or_b64 s[40:41], s[46:47], s[40:41]
	v_mov_b64_e32 v[20:21], s[44:45]
	s_andn2_b64 exec, exec, s[40:41]
	s_cbranch_execz .LBB953_130
.LBB953_128:                            ; =>This Inner Loop Header: Depth=1
	s_or_b64 s[42:43], s[42:43], exec
	s_cmp_eq_u64 s[38:39], s[44:45]
	s_cbranch_scc0 .LBB953_126
; %bb.129:                              ;   in Loop: Header=BB953_128 Depth=1
                                        ; implicit-def: $vgpr16_vgpr17
                                        ; implicit-def: $vgpr18_vgpr19
	s_mov_b64 s[44:45], s[26:27]
	s_branch .LBB953_127
.LBB953_130:
	s_or_b64 exec, exec, s[40:41]
	v_cmp_gt_i64_e32 vcc, s[26:27], v[20:21]
	s_orn2_b64 s[38:39], vcc, exec
.LBB953_131:
	s_or_b64 exec, exec, s[18:19]
.LBB953_132:
	s_and_b64 s[18:19], s[38:39], exec
.LBB953_133:
	s_or_b64 exec, exec, s[36:37]
	v_cmp_gt_u32_e32 vcc, s3, v24
	s_mov_b64 s[36:37], 0
	s_mov_b64 s[38:39], 0
	s_and_saveexec_b64 s[40:41], vcc
	s_cbranch_execz .LBB953_144
; %bb.134:
	s_and_b64 vcc, exec, s[4:5]
	s_mov_b64 s[42:43], 0
	s_cbranch_vccnz .LBB953_143
; %bb.135:
	s_waitcnt lgkmcnt(0)
	v_mul_lo_u32 v18, v13, s26
	v_mul_lo_u32 v19, v12, s27
	v_mad_u64_u32 v[16:17], s[38:39], v12, s26, 0
	v_add3_u32 v17, v17, v19, v18
	v_mul_lo_u32 v18, v7, s26
	v_mul_lo_u32 v19, v6, s27
	v_mad_u64_u32 v[20:21], s[38:39], v6, s26, 0
	v_add3_u32 v21, v21, v19, v18
	v_lshl_add_u64 v[18:19], v[16:17], 2, s[28:29]
	v_lshl_add_u64 v[16:17], v[20:21], 2, s[28:29]
	global_load_dword v20, v[18:19], off
	global_load_dword v21, v[16:17], off
	s_mov_b64 s[42:43], -1
	s_waitcnt vmcnt(0)
	v_cmp_eq_f32_e32 vcc, v20, v21
	s_and_saveexec_b64 s[38:39], vcc
	s_cbranch_execz .LBB953_142
; %bb.136:
	s_add_u32 s42, s26, -1
	v_lshl_add_u64 v[16:17], v[16:17], 0, 4
	v_lshl_add_u64 v[18:19], v[18:19], 0, 4
	s_addc_u32 s43, s27, -1
	s_mov_b64 s[44:45], 0
	s_mov_b64 s[48:49], 0
                                        ; implicit-def: $sgpr46_sgpr47
	s_branch .LBB953_139
.LBB953_137:                            ;   in Loop: Header=BB953_139 Depth=1
	global_load_dword v20, v[18:19], off
	global_load_dword v21, v[16:17], off
	s_add_u32 s48, s48, 1
	s_addc_u32 s49, s49, 0
	s_andn2_b64 s[46:47], s[46:47], exec
	v_lshl_add_u64 v[16:17], v[16:17], 0, 4
	v_lshl_add_u64 v[18:19], v[18:19], 0, 4
	s_waitcnt vmcnt(0)
	v_cmp_neq_f32_e32 vcc, v20, v21
	s_and_b64 s[50:51], vcc, exec
	s_or_b64 s[46:47], s[46:47], s[50:51]
.LBB953_138:                            ;   in Loop: Header=BB953_139 Depth=1
	s_and_b64 s[50:51], exec, s[46:47]
	s_or_b64 s[44:45], s[50:51], s[44:45]
	v_mov_b64_e32 v[20:21], s[48:49]
	s_andn2_b64 exec, exec, s[44:45]
	s_cbranch_execz .LBB953_141
.LBB953_139:                            ; =>This Inner Loop Header: Depth=1
	s_or_b64 s[46:47], s[46:47], exec
	s_cmp_eq_u64 s[42:43], s[48:49]
	s_cbranch_scc0 .LBB953_137
; %bb.140:                              ;   in Loop: Header=BB953_139 Depth=1
                                        ; implicit-def: $vgpr16_vgpr17
                                        ; implicit-def: $vgpr18_vgpr19
	s_mov_b64 s[48:49], s[26:27]
	s_branch .LBB953_138
.LBB953_141:
	s_or_b64 exec, exec, s[44:45]
	v_cmp_gt_i64_e32 vcc, s[26:27], v[20:21]
	s_orn2_b64 s[42:43], vcc, exec
.LBB953_142:
	s_or_b64 exec, exec, s[38:39]
.LBB953_143:
	s_and_b64 s[38:39], s[42:43], exec
.LBB953_144:
	s_or_b64 exec, exec, s[40:41]
	v_cmp_gt_u32_e32 vcc, s3, v25
	s_and_saveexec_b64 s[40:41], vcc
	s_cbranch_execz .LBB953_155
; %bb.145:
	s_and_b64 vcc, exec, s[4:5]
	s_mov_b64 s[42:43], 0
	s_cbranch_vccnz .LBB953_154
; %bb.146:
	s_waitcnt lgkmcnt(0)
	v_mul_lo_u32 v18, v11, s26
	v_mul_lo_u32 v19, v10, s27
	v_mad_u64_u32 v[16:17], s[36:37], v10, s26, 0
	v_add3_u32 v17, v17, v19, v18
	v_mul_lo_u32 v18, v13, s26
	v_mul_lo_u32 v19, v12, s27
	v_mad_u64_u32 v[20:21], s[36:37], v12, s26, 0
	v_add3_u32 v21, v21, v19, v18
	v_lshl_add_u64 v[18:19], v[16:17], 2, s[28:29]
	v_lshl_add_u64 v[16:17], v[20:21], 2, s[28:29]
	global_load_dword v20, v[18:19], off
	global_load_dword v21, v[16:17], off
	s_mov_b64 s[42:43], -1
	s_waitcnt vmcnt(0)
	v_cmp_eq_f32_e32 vcc, v20, v21
	s_and_saveexec_b64 s[36:37], vcc
	s_cbranch_execz .LBB953_153
; %bb.147:
	s_add_u32 s42, s26, -1
	v_lshl_add_u64 v[16:17], v[16:17], 0, 4
	v_lshl_add_u64 v[18:19], v[18:19], 0, 4
	s_addc_u32 s43, s27, -1
	s_mov_b64 s[44:45], 0
	s_mov_b64 s[48:49], 0
                                        ; implicit-def: $sgpr46_sgpr47
	s_branch .LBB953_150
.LBB953_148:                            ;   in Loop: Header=BB953_150 Depth=1
	global_load_dword v20, v[18:19], off
	global_load_dword v21, v[16:17], off
	s_add_u32 s48, s48, 1
	s_addc_u32 s49, s49, 0
	s_andn2_b64 s[46:47], s[46:47], exec
	v_lshl_add_u64 v[16:17], v[16:17], 0, 4
	v_lshl_add_u64 v[18:19], v[18:19], 0, 4
	s_waitcnt vmcnt(0)
	v_cmp_neq_f32_e32 vcc, v20, v21
	s_and_b64 s[50:51], vcc, exec
	s_or_b64 s[46:47], s[46:47], s[50:51]
.LBB953_149:                            ;   in Loop: Header=BB953_150 Depth=1
	s_and_b64 s[50:51], exec, s[46:47]
	s_or_b64 s[44:45], s[50:51], s[44:45]
	v_mov_b64_e32 v[20:21], s[48:49]
	s_andn2_b64 exec, exec, s[44:45]
	s_cbranch_execz .LBB953_152
.LBB953_150:                            ; =>This Inner Loop Header: Depth=1
	s_or_b64 s[46:47], s[46:47], exec
	s_cmp_eq_u64 s[42:43], s[48:49]
	s_cbranch_scc0 .LBB953_148
; %bb.151:                              ;   in Loop: Header=BB953_150 Depth=1
                                        ; implicit-def: $vgpr16_vgpr17
                                        ; implicit-def: $vgpr18_vgpr19
	s_mov_b64 s[48:49], s[26:27]
	s_branch .LBB953_149
.LBB953_152:
	s_or_b64 exec, exec, s[44:45]
	v_cmp_gt_i64_e32 vcc, s[26:27], v[20:21]
	s_orn2_b64 s[42:43], vcc, exec
.LBB953_153:
	s_or_b64 exec, exec, s[36:37]
.LBB953_154:
	s_and_b64 s[36:37], s[42:43], exec
.LBB953_155:
	s_or_b64 exec, exec, s[40:41]
	v_cmp_ne_u32_e32 vcc, 0, v0
	s_waitcnt lgkmcnt(0)
	v_mov_b64_e32 v[16:17], s[6:7]
	s_barrier
	s_and_saveexec_b64 s[6:7], vcc
	s_cbranch_execz .LBB953_157
; %bb.156:
	v_add_u32_e32 v16, -8, v31
	ds_read_b64 v[16:17], v16
.LBB953_157:
	s_or_b64 exec, exec, s[6:7]
	v_cndmask_b32_e64 v19, 0, 1, s[18:19]
	v_cndmask_b32_e64 v18, 0, 1, s[38:39]
	;; [unrolled: 1-line block ×3, first 2 shown]
	v_lshlrev_b16_e32 v19, 8, v19
	v_cmp_gt_u32_e32 vcc, s3, v1
	v_lshlrev_b16_e32 v22, 8, v20
	v_or_b32_sdwa v23, v18, v19 dst_sel:WORD_1 dst_unused:UNUSED_PAD src0_sel:DWORD src1_sel:DWORD
	s_mov_b64 s[18:19], 0
	s_and_saveexec_b64 s[6:7], vcc
	s_cbranch_execz .LBB953_168
; %bb.158:
	s_and_b64 vcc, exec, s[4:5]
	s_cbranch_vccnz .LBB953_167
; %bb.159:
	s_waitcnt lgkmcnt(0)
	v_mul_lo_u32 v18, v17, s26
	v_mul_lo_u32 v19, v16, s27
	v_mad_u64_u32 v[16:17], s[4:5], v16, s26, 0
	v_add3_u32 v17, v17, v19, v18
	v_mul_lo_u32 v18, v11, s26
	v_mul_lo_u32 v19, v10, s27
	v_mad_u64_u32 v[20:21], s[4:5], v10, s26, 0
	v_add3_u32 v21, v21, v19, v18
	v_lshl_add_u64 v[18:19], v[16:17], 2, s[28:29]
	v_lshl_add_u64 v[16:17], v[20:21], 2, s[28:29]
	global_load_dword v20, v[18:19], off
	global_load_dword v21, v[16:17], off
	s_mov_b64 s[18:19], -1
	s_waitcnt vmcnt(0)
	v_cmp_eq_f32_e32 vcc, v20, v21
	s_and_saveexec_b64 s[4:5], vcc
	s_cbranch_execz .LBB953_166
; %bb.160:
	s_add_u32 s18, s26, -1
	v_lshl_add_u64 v[16:17], v[16:17], 0, 4
	v_lshl_add_u64 v[18:19], v[18:19], 0, 4
	s_addc_u32 s19, s27, -1
	s_mov_b64 s[36:37], 0
	s_mov_b64 s[40:41], 0
                                        ; implicit-def: $sgpr38_sgpr39
	s_branch .LBB953_163
.LBB953_161:                            ;   in Loop: Header=BB953_163 Depth=1
	global_load_dword v20, v[18:19], off
	global_load_dword v21, v[16:17], off
	s_add_u32 s40, s40, 1
	s_addc_u32 s41, s41, 0
	s_andn2_b64 s[38:39], s[38:39], exec
	v_lshl_add_u64 v[16:17], v[16:17], 0, 4
	v_lshl_add_u64 v[18:19], v[18:19], 0, 4
	s_waitcnt vmcnt(0)
	v_cmp_neq_f32_e32 vcc, v20, v21
	s_and_b64 s[42:43], vcc, exec
	s_or_b64 s[38:39], s[38:39], s[42:43]
.LBB953_162:                            ;   in Loop: Header=BB953_163 Depth=1
	s_and_b64 s[42:43], exec, s[38:39]
	s_or_b64 s[36:37], s[42:43], s[36:37]
	v_mov_b64_e32 v[20:21], s[40:41]
	s_andn2_b64 exec, exec, s[36:37]
	s_cbranch_execz .LBB953_165
.LBB953_163:                            ; =>This Inner Loop Header: Depth=1
	s_or_b64 s[38:39], s[38:39], exec
	s_cmp_eq_u64 s[18:19], s[40:41]
	s_cbranch_scc0 .LBB953_161
; %bb.164:                              ;   in Loop: Header=BB953_163 Depth=1
                                        ; implicit-def: $vgpr16_vgpr17
                                        ; implicit-def: $vgpr18_vgpr19
	s_mov_b64 s[40:41], s[26:27]
	s_branch .LBB953_162
.LBB953_165:
	s_or_b64 exec, exec, s[36:37]
	v_cmp_gt_i64_e32 vcc, s[26:27], v[20:21]
	s_orn2_b64 s[18:19], vcc, exec
.LBB953_166:
	s_or_b64 exec, exec, s[4:5]
.LBB953_167:
	s_and_b64 s[18:19], s[18:19], exec
.LBB953_168:
	s_or_b64 exec, exec, s[6:7]
	v_cndmask_b32_e64 v32, 0, 1, s[14:15]
	v_cndmask_b32_e64 v33, 0, 1, s[12:13]
	;; [unrolled: 1-line block ×3, first 2 shown]
	v_or_b32_e32 v20, v22, v23
.LBB953_169:
	s_mov_b64 s[10:11], -1
	s_cbranch_execnz .LBB953_28
.LBB953_170:
	s_movk_i32 s4, 0xffd0
	v_mad_i32_i24 v30, v0, s4, v30
	s_mov_b64 s[12:13], 0
	s_waitcnt lgkmcnt(0)
	v_cmp_gt_i64_e64 s[6:7], s[26:27], 0
	s_and_b64 vcc, exec, s[34:35]
	ds_write_b64 v30, v[14:15]
	s_cbranch_vccz .LBB953_178
; %bb.171:
	v_mul_lo_u32 v18, v5, s26
	v_mul_lo_u32 v19, v4, s27
	v_mad_u64_u32 v[16:17], s[4:5], v4, s26, 0
	v_add3_u32 v17, v17, v19, v18
	v_cndmask_b32_e64 v18, 0, 1, s[6:7]
	v_cmp_ne_u32_e64 s[4:5], 1, v18
	s_andn2_b64 vcc, exec, s[6:7]
	v_lshl_add_u64 v[16:17], v[16:17], 2, s[28:29]
	s_cbranch_vccnz .LBB953_181
; %bb.172:
	v_mul_lo_u32 v20, v15, s26
	v_mul_lo_u32 v21, v14, s27
	v_mad_u64_u32 v[18:19], s[12:13], v14, s26, 0
	v_add3_u32 v19, v19, v21, v20
	v_lshl_add_u64 v[18:19], v[18:19], 2, s[28:29]
	global_load_dword v20, v[16:17], off
	global_load_dword v21, v[18:19], off
	s_mov_b64 s[12:13], -1
	s_waitcnt vmcnt(0)
	v_cmp_eq_f32_e32 vcc, v20, v21
	s_and_saveexec_b64 s[14:15], vcc
	s_cbranch_execz .LBB953_180
; %bb.173:
	s_add_u32 s12, s26, -1
	v_lshl_add_u64 v[18:19], v[18:19], 0, 4
	v_lshl_add_u64 v[20:21], v[16:17], 0, 4
	s_addc_u32 s13, s27, -1
	s_mov_b64 s[18:19], 0
	s_mov_b64 s[38:39], 0
                                        ; implicit-def: $sgpr36_sgpr37
	s_branch .LBB953_176
.LBB953_174:                            ;   in Loop: Header=BB953_176 Depth=1
	global_load_dword v22, v[20:21], off
	global_load_dword v23, v[18:19], off
	s_add_u32 s38, s38, 1
	s_addc_u32 s39, s39, 0
	s_andn2_b64 s[36:37], s[36:37], exec
	v_lshl_add_u64 v[18:19], v[18:19], 0, 4
	v_lshl_add_u64 v[20:21], v[20:21], 0, 4
	s_waitcnt vmcnt(0)
	v_cmp_neq_f32_e32 vcc, v22, v23
	s_and_b64 s[40:41], vcc, exec
	s_or_b64 s[36:37], s[36:37], s[40:41]
.LBB953_175:                            ;   in Loop: Header=BB953_176 Depth=1
	s_and_b64 s[40:41], exec, s[36:37]
	s_or_b64 s[18:19], s[40:41], s[18:19]
	v_mov_b64_e32 v[22:23], s[38:39]
	s_andn2_b64 exec, exec, s[18:19]
	s_cbranch_execz .LBB953_179
.LBB953_176:                            ; =>This Inner Loop Header: Depth=1
	s_or_b64 s[36:37], s[36:37], exec
	s_cmp_eq_u64 s[12:13], s[38:39]
	s_cbranch_scc0 .LBB953_174
; %bb.177:                              ;   in Loop: Header=BB953_176 Depth=1
                                        ; implicit-def: $vgpr18_vgpr19
                                        ; implicit-def: $vgpr20_vgpr21
	s_mov_b64 s[38:39], s[26:27]
	s_branch .LBB953_175
.LBB953_178:
                                        ; implicit-def: $sgpr18_sgpr19
                                        ; implicit-def: $vgpr34
                                        ; implicit-def: $vgpr33
                                        ; implicit-def: $vgpr32
                                        ; implicit-def: $vgpr20
                                        ; implicit-def: $vgpr16_vgpr17
	s_cbranch_execnz .LBB953_238
	s_branch .LBB953_318
.LBB953_179:
	s_or_b64 exec, exec, s[18:19]
	v_cmp_gt_i64_e32 vcc, s[26:27], v[22:23]
	s_orn2_b64 s[12:13], vcc, exec
.LBB953_180:
	s_or_b64 exec, exec, s[14:15]
.LBB953_181:
	v_mul_lo_u32 v20, v3, s26
	v_mul_lo_u32 v21, v2, s27
	v_mad_u64_u32 v[18:19], s[14:15], v2, s26, 0
	v_add3_u32 v19, v19, v21, v20
	s_mov_b64 s[14:15], 0
	s_and_b64 vcc, exec, s[4:5]
	v_lshl_add_u64 v[18:19], v[18:19], 2, s[28:29]
	s_mov_b64 s[18:19], 0
	s_cbranch_vccnz .LBB953_190
; %bb.182:
	global_load_dword v20, v[18:19], off
	global_load_dword v21, v[16:17], off
	s_mov_b64 s[18:19], -1
	s_waitcnt vmcnt(0)
	v_cmp_eq_f32_e32 vcc, v20, v21
	s_and_saveexec_b64 s[36:37], vcc
	s_cbranch_execz .LBB953_189
; %bb.183:
	s_add_u32 s18, s26, -1
	v_lshl_add_u64 v[16:17], v[16:17], 0, 4
	v_lshl_add_u64 v[20:21], v[18:19], 0, 4
	s_addc_u32 s19, s27, -1
	s_mov_b64 s[38:39], 0
	s_mov_b64 s[42:43], 0
                                        ; implicit-def: $sgpr40_sgpr41
	s_branch .LBB953_186
.LBB953_184:                            ;   in Loop: Header=BB953_186 Depth=1
	global_load_dword v22, v[20:21], off
	global_load_dword v23, v[16:17], off
	s_add_u32 s42, s42, 1
	s_addc_u32 s43, s43, 0
	s_andn2_b64 s[40:41], s[40:41], exec
	v_lshl_add_u64 v[16:17], v[16:17], 0, 4
	v_lshl_add_u64 v[20:21], v[20:21], 0, 4
	s_waitcnt vmcnt(0)
	v_cmp_neq_f32_e32 vcc, v22, v23
	s_and_b64 s[44:45], vcc, exec
	s_or_b64 s[40:41], s[40:41], s[44:45]
.LBB953_185:                            ;   in Loop: Header=BB953_186 Depth=1
	s_and_b64 s[44:45], exec, s[40:41]
	s_or_b64 s[38:39], s[44:45], s[38:39]
	v_mov_b64_e32 v[22:23], s[42:43]
	s_andn2_b64 exec, exec, s[38:39]
	s_cbranch_execz .LBB953_188
.LBB953_186:                            ; =>This Inner Loop Header: Depth=1
	s_or_b64 s[40:41], s[40:41], exec
	s_cmp_eq_u64 s[18:19], s[42:43]
	s_cbranch_scc0 .LBB953_184
; %bb.187:                              ;   in Loop: Header=BB953_186 Depth=1
                                        ; implicit-def: $vgpr16_vgpr17
                                        ; implicit-def: $vgpr20_vgpr21
	s_mov_b64 s[42:43], s[26:27]
	s_branch .LBB953_185
.LBB953_188:
	s_or_b64 exec, exec, s[38:39]
	v_cmp_gt_i64_e32 vcc, s[26:27], v[22:23]
	s_orn2_b64 s[18:19], vcc, exec
.LBB953_189:
	s_or_b64 exec, exec, s[36:37]
.LBB953_190:
	v_mul_lo_u32 v20, v9, s26
	v_mul_lo_u32 v21, v8, s27
	v_mad_u64_u32 v[16:17], s[36:37], v8, s26, 0
	v_add3_u32 v17, v17, v21, v20
	s_and_b64 vcc, exec, s[4:5]
	v_lshl_add_u64 v[16:17], v[16:17], 2, s[28:29]
	s_cbranch_vccnz .LBB953_199
; %bb.191:
	global_load_dword v20, v[16:17], off
	global_load_dword v21, v[18:19], off
	s_mov_b64 s[14:15], -1
	s_waitcnt vmcnt(0)
	v_cmp_eq_f32_e32 vcc, v20, v21
	s_and_saveexec_b64 s[36:37], vcc
	s_cbranch_execz .LBB953_198
; %bb.192:
	s_add_u32 s14, s26, -1
	v_lshl_add_u64 v[18:19], v[18:19], 0, 4
	v_lshl_add_u64 v[20:21], v[16:17], 0, 4
	s_addc_u32 s15, s27, -1
	s_mov_b64 s[38:39], 0
	s_mov_b64 s[42:43], 0
                                        ; implicit-def: $sgpr40_sgpr41
	s_branch .LBB953_195
.LBB953_193:                            ;   in Loop: Header=BB953_195 Depth=1
	global_load_dword v22, v[20:21], off
	global_load_dword v23, v[18:19], off
	s_add_u32 s42, s42, 1
	s_addc_u32 s43, s43, 0
	s_andn2_b64 s[40:41], s[40:41], exec
	v_lshl_add_u64 v[18:19], v[18:19], 0, 4
	v_lshl_add_u64 v[20:21], v[20:21], 0, 4
	s_waitcnt vmcnt(0)
	v_cmp_neq_f32_e32 vcc, v22, v23
	s_and_b64 s[44:45], vcc, exec
	s_or_b64 s[40:41], s[40:41], s[44:45]
.LBB953_194:                            ;   in Loop: Header=BB953_195 Depth=1
	s_and_b64 s[44:45], exec, s[40:41]
	s_or_b64 s[38:39], s[44:45], s[38:39]
	v_mov_b64_e32 v[22:23], s[42:43]
	s_andn2_b64 exec, exec, s[38:39]
	s_cbranch_execz .LBB953_197
.LBB953_195:                            ; =>This Inner Loop Header: Depth=1
	s_or_b64 s[40:41], s[40:41], exec
	s_cmp_eq_u64 s[14:15], s[42:43]
	s_cbranch_scc0 .LBB953_193
; %bb.196:                              ;   in Loop: Header=BB953_195 Depth=1
                                        ; implicit-def: $vgpr18_vgpr19
                                        ; implicit-def: $vgpr20_vgpr21
	s_mov_b64 s[42:43], s[26:27]
	s_branch .LBB953_194
.LBB953_197:
	s_or_b64 exec, exec, s[38:39]
	v_cmp_gt_i64_e32 vcc, s[26:27], v[22:23]
	s_orn2_b64 s[14:15], vcc, exec
.LBB953_198:
	s_or_b64 exec, exec, s[36:37]
.LBB953_199:
	v_mul_lo_u32 v20, v7, s26
	v_mul_lo_u32 v21, v6, s27
	v_mad_u64_u32 v[18:19], s[36:37], v6, s26, 0
	v_add3_u32 v19, v19, v21, v20
	s_mov_b64 s[36:37], 0
	s_and_b64 vcc, exec, s[4:5]
	v_lshl_add_u64 v[18:19], v[18:19], 2, s[28:29]
	s_mov_b64 s[38:39], 0
	s_cbranch_vccnz .LBB953_208
; %bb.200:
	global_load_dword v20, v[18:19], off
	global_load_dword v21, v[16:17], off
	s_mov_b64 s[38:39], -1
	s_waitcnt vmcnt(0)
	v_cmp_eq_f32_e32 vcc, v20, v21
	s_and_saveexec_b64 s[40:41], vcc
	s_cbranch_execz .LBB953_207
; %bb.201:
	s_add_u32 s38, s26, -1
	v_lshl_add_u64 v[16:17], v[16:17], 0, 4
	v_lshl_add_u64 v[20:21], v[18:19], 0, 4
	s_addc_u32 s39, s27, -1
	s_mov_b64 s[42:43], 0
	s_mov_b64 s[46:47], 0
                                        ; implicit-def: $sgpr44_sgpr45
	s_branch .LBB953_204
.LBB953_202:                            ;   in Loop: Header=BB953_204 Depth=1
	global_load_dword v22, v[20:21], off
	global_load_dword v23, v[16:17], off
	s_add_u32 s46, s46, 1
	s_addc_u32 s47, s47, 0
	s_andn2_b64 s[44:45], s[44:45], exec
	v_lshl_add_u64 v[16:17], v[16:17], 0, 4
	v_lshl_add_u64 v[20:21], v[20:21], 0, 4
	s_waitcnt vmcnt(0)
	v_cmp_neq_f32_e32 vcc, v22, v23
	s_and_b64 s[48:49], vcc, exec
	s_or_b64 s[44:45], s[44:45], s[48:49]
.LBB953_203:                            ;   in Loop: Header=BB953_204 Depth=1
	s_and_b64 s[48:49], exec, s[44:45]
	s_or_b64 s[42:43], s[48:49], s[42:43]
	v_mov_b64_e32 v[22:23], s[46:47]
	s_andn2_b64 exec, exec, s[42:43]
	s_cbranch_execz .LBB953_206
.LBB953_204:                            ; =>This Inner Loop Header: Depth=1
	s_or_b64 s[44:45], s[44:45], exec
	s_cmp_eq_u64 s[38:39], s[46:47]
	s_cbranch_scc0 .LBB953_202
; %bb.205:                              ;   in Loop: Header=BB953_204 Depth=1
                                        ; implicit-def: $vgpr16_vgpr17
                                        ; implicit-def: $vgpr20_vgpr21
	s_mov_b64 s[46:47], s[26:27]
	s_branch .LBB953_203
.LBB953_206:
	s_or_b64 exec, exec, s[42:43]
	v_cmp_gt_i64_e32 vcc, s[26:27], v[22:23]
	s_orn2_b64 s[38:39], vcc, exec
.LBB953_207:
	s_or_b64 exec, exec, s[40:41]
.LBB953_208:
	v_mul_lo_u32 v20, v13, s26
	v_mul_lo_u32 v21, v12, s27
	v_mad_u64_u32 v[16:17], s[40:41], v12, s26, 0
	v_add3_u32 v17, v17, v21, v20
	s_and_b64 vcc, exec, s[4:5]
	v_lshl_add_u64 v[16:17], v[16:17], 2, s[28:29]
	s_cbranch_vccnz .LBB953_217
; %bb.209:
	global_load_dword v20, v[16:17], off
	global_load_dword v21, v[18:19], off
	s_mov_b64 s[36:37], -1
	s_waitcnt vmcnt(0)
	v_cmp_eq_f32_e32 vcc, v20, v21
	s_and_saveexec_b64 s[40:41], vcc
	s_cbranch_execz .LBB953_216
; %bb.210:
	s_add_u32 s36, s26, -1
	v_lshl_add_u64 v[18:19], v[18:19], 0, 4
	v_lshl_add_u64 v[20:21], v[16:17], 0, 4
	s_addc_u32 s37, s27, -1
	s_mov_b64 s[42:43], 0
	s_mov_b64 s[46:47], 0
                                        ; implicit-def: $sgpr44_sgpr45
	s_branch .LBB953_213
.LBB953_211:                            ;   in Loop: Header=BB953_213 Depth=1
	global_load_dword v22, v[20:21], off
	global_load_dword v23, v[18:19], off
	s_add_u32 s46, s46, 1
	s_addc_u32 s47, s47, 0
	s_andn2_b64 s[44:45], s[44:45], exec
	v_lshl_add_u64 v[18:19], v[18:19], 0, 4
	v_lshl_add_u64 v[20:21], v[20:21], 0, 4
	s_waitcnt vmcnt(0)
	v_cmp_neq_f32_e32 vcc, v22, v23
	s_and_b64 s[48:49], vcc, exec
	s_or_b64 s[44:45], s[44:45], s[48:49]
.LBB953_212:                            ;   in Loop: Header=BB953_213 Depth=1
	s_and_b64 s[48:49], exec, s[44:45]
	s_or_b64 s[42:43], s[48:49], s[42:43]
	v_mov_b64_e32 v[22:23], s[46:47]
	s_andn2_b64 exec, exec, s[42:43]
	s_cbranch_execz .LBB953_215
.LBB953_213:                            ; =>This Inner Loop Header: Depth=1
	s_or_b64 s[44:45], s[44:45], exec
	s_cmp_eq_u64 s[36:37], s[46:47]
	s_cbranch_scc0 .LBB953_211
; %bb.214:                              ;   in Loop: Header=BB953_213 Depth=1
                                        ; implicit-def: $vgpr18_vgpr19
                                        ; implicit-def: $vgpr20_vgpr21
	s_mov_b64 s[46:47], s[26:27]
	s_branch .LBB953_212
.LBB953_215:
	s_or_b64 exec, exec, s[42:43]
	v_cmp_gt_i64_e32 vcc, s[26:27], v[22:23]
	s_orn2_b64 s[36:37], vcc, exec
.LBB953_216:
	s_or_b64 exec, exec, s[40:41]
.LBB953_217:
	v_mul_lo_u32 v20, v11, s26
	v_mul_lo_u32 v21, v10, s27
	v_mad_u64_u32 v[18:19], s[40:41], v10, s26, 0
	v_add3_u32 v19, v19, v21, v20
	s_and_b64 vcc, exec, s[4:5]
	s_mov_b64 s[42:43], 0
	s_cbranch_vccnz .LBB953_226
; %bb.218:
	v_lshl_add_u64 v[20:21], v[18:19], 2, s[28:29]
	global_load_dword v22, v[20:21], off
	global_load_dword v23, v[16:17], off
	s_mov_b64 s[42:43], -1
	s_waitcnt vmcnt(0)
	v_cmp_eq_f32_e32 vcc, v22, v23
	s_and_saveexec_b64 s[40:41], vcc
	s_cbranch_execz .LBB953_225
; %bb.219:
	s_add_u32 s42, s26, -1
	v_lshl_add_u64 v[16:17], v[16:17], 0, 4
	v_lshl_add_u64 v[20:21], v[20:21], 0, 4
	s_addc_u32 s43, s27, -1
	s_mov_b64 s[44:45], 0
	s_mov_b64 s[48:49], 0
                                        ; implicit-def: $sgpr46_sgpr47
	s_branch .LBB953_222
.LBB953_220:                            ;   in Loop: Header=BB953_222 Depth=1
	global_load_dword v22, v[20:21], off
	global_load_dword v23, v[16:17], off
	s_add_u32 s48, s48, 1
	s_addc_u32 s49, s49, 0
	s_andn2_b64 s[46:47], s[46:47], exec
	v_lshl_add_u64 v[16:17], v[16:17], 0, 4
	v_lshl_add_u64 v[20:21], v[20:21], 0, 4
	s_waitcnt vmcnt(0)
	v_cmp_neq_f32_e32 vcc, v22, v23
	s_and_b64 s[50:51], vcc, exec
	s_or_b64 s[46:47], s[46:47], s[50:51]
.LBB953_221:                            ;   in Loop: Header=BB953_222 Depth=1
	s_and_b64 s[50:51], exec, s[46:47]
	s_or_b64 s[44:45], s[50:51], s[44:45]
	v_mov_b64_e32 v[22:23], s[48:49]
	s_andn2_b64 exec, exec, s[44:45]
	s_cbranch_execz .LBB953_224
.LBB953_222:                            ; =>This Inner Loop Header: Depth=1
	s_or_b64 s[46:47], s[46:47], exec
	s_cmp_eq_u64 s[42:43], s[48:49]
	s_cbranch_scc0 .LBB953_220
; %bb.223:                              ;   in Loop: Header=BB953_222 Depth=1
                                        ; implicit-def: $vgpr16_vgpr17
                                        ; implicit-def: $vgpr20_vgpr21
	s_mov_b64 s[48:49], s[26:27]
	s_branch .LBB953_221
.LBB953_224:
	s_or_b64 exec, exec, s[44:45]
	v_cmp_gt_i64_e32 vcc, s[26:27], v[22:23]
	s_orn2_b64 s[42:43], vcc, exec
.LBB953_225:
	s_or_b64 exec, exec, s[40:41]
.LBB953_226:
	v_cndmask_b32_e64 v17, 0, 1, s[38:39]
	v_cndmask_b32_e64 v16, 0, 1, s[36:37]
	;; [unrolled: 1-line block ×3, first 2 shown]
	v_lshlrev_b16_e32 v17, 8, v17
	v_cndmask_b32_e64 v32, 0, 1, s[14:15]
	v_cndmask_b32_e64 v20, 0, 1, s[42:43]
	v_or_b32_sdwa v16, v16, v17 dst_sel:WORD_1 dst_unused:UNUSED_PAD src0_sel:DWORD src1_sel:DWORD
	v_lshlrev_b16_e32 v17, 8, v33
	v_lshlrev_b16_e32 v20, 8, v20
	v_or_b32_e32 v17, v32, v17
	v_or_b32_e32 v20, 1, v20
	v_and_b32_e32 v17, 0xffff, v17
	v_cndmask_b32_e64 v34, 0, 1, s[12:13]
	v_or_b32_sdwa v16, v20, v16 dst_sel:DWORD dst_unused:UNUSED_PAD src0_sel:WORD_0 src1_sel:DWORD
	v_lshl_or_b32 v17, v34, 16, v17
	v_cmp_ne_u32_e32 vcc, 0, v0
	s_waitcnt lgkmcnt(0)
	s_barrier
	s_waitcnt lgkmcnt(0)
                                        ; implicit-def: $sgpr18_sgpr19
                                        ; implicit-def: $vgpr20
	s_and_saveexec_b64 s[12:13], vcc
	s_xor_b64 s[12:13], exec, s[12:13]
	s_cbranch_execz .LBB953_237
; %bb.227:
	s_mov_b32 s33, 0x3020104
	s_and_b64 vcc, exec, s[4:5]
	s_mov_b64 s[14:15], 0
	s_cbranch_vccnz .LBB953_236
; %bb.228:
	v_add_u32_e32 v17, -8, v30
	ds_read_b64 v[20:21], v17
	v_lshl_add_u64 v[18:19], v[18:19], 2, s[28:29]
	s_mov_b64 s[14:15], -1
	s_waitcnt lgkmcnt(0)
	v_mul_lo_u32 v17, v21, s26
	v_mul_lo_u32 v22, v20, s27
	v_mad_u64_u32 v[20:21], s[4:5], v20, s26, 0
	v_add3_u32 v21, v21, v22, v17
	v_lshl_add_u64 v[20:21], v[20:21], 2, s[28:29]
	global_load_dword v17, v[20:21], off
	global_load_dword v22, v[18:19], off
	s_waitcnt vmcnt(0)
	v_cmp_eq_f32_e32 vcc, v17, v22
	s_and_saveexec_b64 s[4:5], vcc
	s_cbranch_execz .LBB953_235
; %bb.229:
	s_add_u32 s14, s26, -1
	v_lshl_add_u64 v[18:19], v[18:19], 0, 4
	v_lshl_add_u64 v[20:21], v[20:21], 0, 4
	s_addc_u32 s15, s27, -1
	s_mov_b64 s[18:19], 0
	s_mov_b64 s[38:39], 0
                                        ; implicit-def: $sgpr36_sgpr37
	s_branch .LBB953_232
.LBB953_230:                            ;   in Loop: Header=BB953_232 Depth=1
	global_load_dword v17, v[20:21], off
	global_load_dword v22, v[18:19], off
	s_add_u32 s38, s38, 1
	s_addc_u32 s39, s39, 0
	s_andn2_b64 s[36:37], s[36:37], exec
	v_lshl_add_u64 v[18:19], v[18:19], 0, 4
	v_lshl_add_u64 v[20:21], v[20:21], 0, 4
	s_waitcnt vmcnt(0)
	v_cmp_neq_f32_e32 vcc, v17, v22
	s_and_b64 s[40:41], vcc, exec
	s_or_b64 s[36:37], s[36:37], s[40:41]
.LBB953_231:                            ;   in Loop: Header=BB953_232 Depth=1
	s_and_b64 s[40:41], exec, s[36:37]
	s_or_b64 s[18:19], s[40:41], s[18:19]
	v_mov_b64_e32 v[22:23], s[38:39]
	s_andn2_b64 exec, exec, s[18:19]
	s_cbranch_execz .LBB953_234
.LBB953_232:                            ; =>This Inner Loop Header: Depth=1
	s_or_b64 s[36:37], s[36:37], exec
	s_cmp_eq_u64 s[14:15], s[38:39]
	s_cbranch_scc0 .LBB953_230
; %bb.233:                              ;   in Loop: Header=BB953_232 Depth=1
                                        ; implicit-def: $vgpr18_vgpr19
                                        ; implicit-def: $vgpr20_vgpr21
	s_mov_b64 s[38:39], s[26:27]
	s_branch .LBB953_231
.LBB953_234:
	s_or_b64 exec, exec, s[18:19]
	v_cmp_gt_i64_e32 vcc, s[26:27], v[22:23]
	s_orn2_b64 s[14:15], vcc, exec
.LBB953_235:
	s_or_b64 exec, exec, s[4:5]
.LBB953_236:
	v_perm_b32 v20, v16, v16, s33
	s_and_b64 s[18:19], s[14:15], exec
	s_or_b64 s[10:11], s[10:11], exec
                                        ; implicit-def: $vgpr16_vgpr17
.LBB953_237:
	s_or_b64 exec, exec, s[12:13]
	s_branch .LBB953_318
.LBB953_238:
	v_cmp_gt_u32_e32 vcc, s3, v27
	s_mov_b64 s[12:13], 0
	s_mov_b64 s[4:5], 0
	s_and_saveexec_b64 s[14:15], vcc
	s_cbranch_execz .LBB953_249
; %bb.239:
	s_andn2_b64 vcc, exec, s[6:7]
	s_mov_b64 s[18:19], 0
	s_cbranch_vccnz .LBB953_248
; %bb.240:
	v_mul_lo_u32 v18, v5, s26
	v_mul_lo_u32 v19, v4, s27
	v_mad_u64_u32 v[16:17], s[4:5], v4, s26, 0
	v_add3_u32 v17, v17, v19, v18
	v_mul_lo_u32 v18, v15, s26
	v_mul_lo_u32 v19, v14, s27
	v_mad_u64_u32 v[20:21], s[4:5], v14, s26, 0
	v_add3_u32 v21, v21, v19, v18
	v_lshl_add_u64 v[18:19], v[16:17], 2, s[28:29]
	v_lshl_add_u64 v[16:17], v[20:21], 2, s[28:29]
	global_load_dword v20, v[18:19], off
	global_load_dword v21, v[16:17], off
	s_mov_b64 s[18:19], -1
	s_waitcnt vmcnt(0)
	v_cmp_eq_f32_e32 vcc, v20, v21
	s_and_saveexec_b64 s[4:5], vcc
	s_cbranch_execz .LBB953_247
; %bb.241:
	s_add_u32 s18, s26, -1
	v_lshl_add_u64 v[16:17], v[16:17], 0, 4
	v_lshl_add_u64 v[18:19], v[18:19], 0, 4
	s_addc_u32 s19, s27, -1
	s_mov_b64 s[36:37], 0
	s_mov_b64 s[40:41], 0
                                        ; implicit-def: $sgpr38_sgpr39
	s_branch .LBB953_244
.LBB953_242:                            ;   in Loop: Header=BB953_244 Depth=1
	global_load_dword v20, v[18:19], off
	global_load_dword v21, v[16:17], off
	s_add_u32 s40, s40, 1
	s_addc_u32 s41, s41, 0
	s_andn2_b64 s[38:39], s[38:39], exec
	v_lshl_add_u64 v[16:17], v[16:17], 0, 4
	v_lshl_add_u64 v[18:19], v[18:19], 0, 4
	s_waitcnt vmcnt(0)
	v_cmp_neq_f32_e32 vcc, v20, v21
	s_and_b64 s[42:43], vcc, exec
	s_or_b64 s[38:39], s[38:39], s[42:43]
.LBB953_243:                            ;   in Loop: Header=BB953_244 Depth=1
	s_and_b64 s[42:43], exec, s[38:39]
	s_or_b64 s[36:37], s[42:43], s[36:37]
	v_mov_b64_e32 v[20:21], s[40:41]
	s_andn2_b64 exec, exec, s[36:37]
	s_cbranch_execz .LBB953_246
.LBB953_244:                            ; =>This Inner Loop Header: Depth=1
	s_or_b64 s[38:39], s[38:39], exec
	s_cmp_eq_u64 s[18:19], s[40:41]
	s_cbranch_scc0 .LBB953_242
; %bb.245:                              ;   in Loop: Header=BB953_244 Depth=1
                                        ; implicit-def: $vgpr16_vgpr17
                                        ; implicit-def: $vgpr18_vgpr19
	s_mov_b64 s[40:41], s[26:27]
	s_branch .LBB953_243
.LBB953_246:
	s_or_b64 exec, exec, s[36:37]
	v_cmp_gt_i64_e32 vcc, s[26:27], v[20:21]
	s_orn2_b64 s[18:19], vcc, exec
.LBB953_247:
	s_or_b64 exec, exec, s[4:5]
.LBB953_248:
	s_and_b64 s[4:5], s[18:19], exec
.LBB953_249:
	s_or_b64 exec, exec, s[14:15]
	v_cmp_gt_u32_e32 vcc, s3, v29
	s_and_saveexec_b64 s[14:15], vcc
	s_cbranch_execz .LBB953_260
; %bb.250:
	s_andn2_b64 vcc, exec, s[6:7]
	s_mov_b64 s[18:19], 0
	s_cbranch_vccnz .LBB953_259
; %bb.251:
	v_mul_lo_u32 v18, v3, s26
	v_mul_lo_u32 v19, v2, s27
	v_mad_u64_u32 v[16:17], s[12:13], v2, s26, 0
	v_add3_u32 v17, v17, v19, v18
	v_mul_lo_u32 v18, v5, s26
	v_mul_lo_u32 v19, v4, s27
	v_mad_u64_u32 v[20:21], s[12:13], v4, s26, 0
	v_add3_u32 v21, v21, v19, v18
	v_lshl_add_u64 v[18:19], v[16:17], 2, s[28:29]
	v_lshl_add_u64 v[16:17], v[20:21], 2, s[28:29]
	global_load_dword v20, v[18:19], off
	global_load_dword v21, v[16:17], off
	s_mov_b64 s[18:19], -1
	s_waitcnt vmcnt(0)
	v_cmp_eq_f32_e32 vcc, v20, v21
	s_and_saveexec_b64 s[12:13], vcc
	s_cbranch_execz .LBB953_258
; %bb.252:
	s_add_u32 s18, s26, -1
	v_lshl_add_u64 v[16:17], v[16:17], 0, 4
	v_lshl_add_u64 v[18:19], v[18:19], 0, 4
	s_addc_u32 s19, s27, -1
	s_mov_b64 s[36:37], 0
	s_mov_b64 s[40:41], 0
                                        ; implicit-def: $sgpr38_sgpr39
	s_branch .LBB953_255
.LBB953_253:                            ;   in Loop: Header=BB953_255 Depth=1
	global_load_dword v20, v[18:19], off
	global_load_dword v21, v[16:17], off
	s_add_u32 s40, s40, 1
	s_addc_u32 s41, s41, 0
	s_andn2_b64 s[38:39], s[38:39], exec
	v_lshl_add_u64 v[16:17], v[16:17], 0, 4
	v_lshl_add_u64 v[18:19], v[18:19], 0, 4
	s_waitcnt vmcnt(0)
	v_cmp_neq_f32_e32 vcc, v20, v21
	s_and_b64 s[42:43], vcc, exec
	s_or_b64 s[38:39], s[38:39], s[42:43]
.LBB953_254:                            ;   in Loop: Header=BB953_255 Depth=1
	s_and_b64 s[42:43], exec, s[38:39]
	s_or_b64 s[36:37], s[42:43], s[36:37]
	v_mov_b64_e32 v[20:21], s[40:41]
	s_andn2_b64 exec, exec, s[36:37]
	s_cbranch_execz .LBB953_257
.LBB953_255:                            ; =>This Inner Loop Header: Depth=1
	s_or_b64 s[38:39], s[38:39], exec
	s_cmp_eq_u64 s[18:19], s[40:41]
	s_cbranch_scc0 .LBB953_253
; %bb.256:                              ;   in Loop: Header=BB953_255 Depth=1
                                        ; implicit-def: $vgpr16_vgpr17
                                        ; implicit-def: $vgpr18_vgpr19
	s_mov_b64 s[40:41], s[26:27]
	s_branch .LBB953_254
.LBB953_257:
	s_or_b64 exec, exec, s[36:37]
	v_cmp_gt_i64_e32 vcc, s[26:27], v[20:21]
	s_orn2_b64 s[18:19], vcc, exec
.LBB953_258:
	s_or_b64 exec, exec, s[12:13]
.LBB953_259:
	s_and_b64 s[12:13], s[18:19], exec
.LBB953_260:
	s_or_b64 exec, exec, s[14:15]
	v_cmp_gt_u32_e32 vcc, s3, v26
	s_mov_b64 s[18:19], 0
	s_mov_b64 s[14:15], 0
	s_and_saveexec_b64 s[36:37], vcc
	s_cbranch_execz .LBB953_271
; %bb.261:
	s_andn2_b64 vcc, exec, s[6:7]
	s_mov_b64 s[38:39], 0
	s_cbranch_vccnz .LBB953_270
; %bb.262:
	v_mul_lo_u32 v18, v9, s26
	v_mul_lo_u32 v19, v8, s27
	v_mad_u64_u32 v[16:17], s[14:15], v8, s26, 0
	v_add3_u32 v17, v17, v19, v18
	v_mul_lo_u32 v18, v3, s26
	v_mul_lo_u32 v19, v2, s27
	v_mad_u64_u32 v[20:21], s[14:15], v2, s26, 0
	v_add3_u32 v21, v21, v19, v18
	v_lshl_add_u64 v[18:19], v[16:17], 2, s[28:29]
	v_lshl_add_u64 v[16:17], v[20:21], 2, s[28:29]
	global_load_dword v20, v[18:19], off
	global_load_dword v21, v[16:17], off
	s_mov_b64 s[38:39], -1
	s_waitcnt vmcnt(0)
	v_cmp_eq_f32_e32 vcc, v20, v21
	s_and_saveexec_b64 s[14:15], vcc
	s_cbranch_execz .LBB953_269
; %bb.263:
	s_add_u32 s38, s26, -1
	v_lshl_add_u64 v[16:17], v[16:17], 0, 4
	v_lshl_add_u64 v[18:19], v[18:19], 0, 4
	s_addc_u32 s39, s27, -1
	s_mov_b64 s[40:41], 0
	s_mov_b64 s[44:45], 0
                                        ; implicit-def: $sgpr42_sgpr43
	s_branch .LBB953_266
.LBB953_264:                            ;   in Loop: Header=BB953_266 Depth=1
	global_load_dword v20, v[18:19], off
	global_load_dword v21, v[16:17], off
	s_add_u32 s44, s44, 1
	s_addc_u32 s45, s45, 0
	s_andn2_b64 s[42:43], s[42:43], exec
	v_lshl_add_u64 v[16:17], v[16:17], 0, 4
	v_lshl_add_u64 v[18:19], v[18:19], 0, 4
	s_waitcnt vmcnt(0)
	v_cmp_neq_f32_e32 vcc, v20, v21
	s_and_b64 s[46:47], vcc, exec
	s_or_b64 s[42:43], s[42:43], s[46:47]
.LBB953_265:                            ;   in Loop: Header=BB953_266 Depth=1
	s_and_b64 s[46:47], exec, s[42:43]
	s_or_b64 s[40:41], s[46:47], s[40:41]
	v_mov_b64_e32 v[20:21], s[44:45]
	s_andn2_b64 exec, exec, s[40:41]
	s_cbranch_execz .LBB953_268
.LBB953_266:                            ; =>This Inner Loop Header: Depth=1
	s_or_b64 s[42:43], s[42:43], exec
	s_cmp_eq_u64 s[38:39], s[44:45]
	s_cbranch_scc0 .LBB953_264
; %bb.267:                              ;   in Loop: Header=BB953_266 Depth=1
                                        ; implicit-def: $vgpr16_vgpr17
                                        ; implicit-def: $vgpr18_vgpr19
	s_mov_b64 s[44:45], s[26:27]
	s_branch .LBB953_265
.LBB953_268:
	s_or_b64 exec, exec, s[40:41]
	v_cmp_gt_i64_e32 vcc, s[26:27], v[20:21]
	s_orn2_b64 s[38:39], vcc, exec
.LBB953_269:
	s_or_b64 exec, exec, s[14:15]
.LBB953_270:
	s_and_b64 s[14:15], s[38:39], exec
.LBB953_271:
	s_or_b64 exec, exec, s[36:37]
	v_cmp_gt_u32_e32 vcc, s3, v28
	s_and_saveexec_b64 s[36:37], vcc
	s_cbranch_execz .LBB953_282
; %bb.272:
	s_andn2_b64 vcc, exec, s[6:7]
	s_mov_b64 s[38:39], 0
	s_cbranch_vccnz .LBB953_281
; %bb.273:
	v_mul_lo_u32 v18, v7, s26
	v_mul_lo_u32 v19, v6, s27
	v_mad_u64_u32 v[16:17], s[18:19], v6, s26, 0
	v_add3_u32 v17, v17, v19, v18
	v_mul_lo_u32 v18, v9, s26
	v_mul_lo_u32 v19, v8, s27
	v_mad_u64_u32 v[20:21], s[18:19], v8, s26, 0
	v_add3_u32 v21, v21, v19, v18
	v_lshl_add_u64 v[18:19], v[16:17], 2, s[28:29]
	v_lshl_add_u64 v[16:17], v[20:21], 2, s[28:29]
	global_load_dword v20, v[18:19], off
	global_load_dword v21, v[16:17], off
	s_mov_b64 s[38:39], -1
	s_waitcnt vmcnt(0)
	v_cmp_eq_f32_e32 vcc, v20, v21
	s_and_saveexec_b64 s[18:19], vcc
	s_cbranch_execz .LBB953_280
; %bb.274:
	s_add_u32 s38, s26, -1
	v_lshl_add_u64 v[16:17], v[16:17], 0, 4
	v_lshl_add_u64 v[18:19], v[18:19], 0, 4
	s_addc_u32 s39, s27, -1
	s_mov_b64 s[40:41], 0
	s_mov_b64 s[44:45], 0
                                        ; implicit-def: $sgpr42_sgpr43
	s_branch .LBB953_277
.LBB953_275:                            ;   in Loop: Header=BB953_277 Depth=1
	global_load_dword v20, v[18:19], off
	global_load_dword v21, v[16:17], off
	s_add_u32 s44, s44, 1
	s_addc_u32 s45, s45, 0
	s_andn2_b64 s[42:43], s[42:43], exec
	v_lshl_add_u64 v[16:17], v[16:17], 0, 4
	v_lshl_add_u64 v[18:19], v[18:19], 0, 4
	s_waitcnt vmcnt(0)
	v_cmp_neq_f32_e32 vcc, v20, v21
	s_and_b64 s[46:47], vcc, exec
	s_or_b64 s[42:43], s[42:43], s[46:47]
.LBB953_276:                            ;   in Loop: Header=BB953_277 Depth=1
	s_and_b64 s[46:47], exec, s[42:43]
	s_or_b64 s[40:41], s[46:47], s[40:41]
	v_mov_b64_e32 v[20:21], s[44:45]
	s_andn2_b64 exec, exec, s[40:41]
	s_cbranch_execz .LBB953_279
.LBB953_277:                            ; =>This Inner Loop Header: Depth=1
	s_or_b64 s[42:43], s[42:43], exec
	s_cmp_eq_u64 s[38:39], s[44:45]
	s_cbranch_scc0 .LBB953_275
; %bb.278:                              ;   in Loop: Header=BB953_277 Depth=1
                                        ; implicit-def: $vgpr16_vgpr17
                                        ; implicit-def: $vgpr18_vgpr19
	s_mov_b64 s[44:45], s[26:27]
	s_branch .LBB953_276
.LBB953_279:
	s_or_b64 exec, exec, s[40:41]
	v_cmp_gt_i64_e32 vcc, s[26:27], v[20:21]
	s_orn2_b64 s[38:39], vcc, exec
.LBB953_280:
	s_or_b64 exec, exec, s[18:19]
.LBB953_281:
	s_and_b64 s[18:19], s[38:39], exec
.LBB953_282:
	s_or_b64 exec, exec, s[36:37]
	v_cmp_gt_u32_e32 vcc, s3, v24
	s_mov_b64 s[36:37], 0
	s_mov_b64 s[38:39], 0
	s_and_saveexec_b64 s[40:41], vcc
	s_cbranch_execz .LBB953_293
; %bb.283:
	s_andn2_b64 vcc, exec, s[6:7]
	s_mov_b64 s[42:43], 0
	s_cbranch_vccnz .LBB953_292
; %bb.284:
	v_mul_lo_u32 v18, v13, s26
	v_mul_lo_u32 v19, v12, s27
	v_mad_u64_u32 v[16:17], s[38:39], v12, s26, 0
	v_add3_u32 v17, v17, v19, v18
	v_mul_lo_u32 v18, v7, s26
	v_mul_lo_u32 v19, v6, s27
	v_mad_u64_u32 v[20:21], s[38:39], v6, s26, 0
	v_add3_u32 v21, v21, v19, v18
	v_lshl_add_u64 v[18:19], v[16:17], 2, s[28:29]
	v_lshl_add_u64 v[16:17], v[20:21], 2, s[28:29]
	global_load_dword v20, v[18:19], off
	global_load_dword v21, v[16:17], off
	s_mov_b64 s[42:43], -1
	s_waitcnt vmcnt(0)
	v_cmp_eq_f32_e32 vcc, v20, v21
	s_and_saveexec_b64 s[38:39], vcc
	s_cbranch_execz .LBB953_291
; %bb.285:
	s_add_u32 s42, s26, -1
	v_lshl_add_u64 v[16:17], v[16:17], 0, 4
	v_lshl_add_u64 v[18:19], v[18:19], 0, 4
	s_addc_u32 s43, s27, -1
	s_mov_b64 s[44:45], 0
	s_mov_b64 s[48:49], 0
                                        ; implicit-def: $sgpr46_sgpr47
	s_branch .LBB953_288
.LBB953_286:                            ;   in Loop: Header=BB953_288 Depth=1
	global_load_dword v20, v[18:19], off
	global_load_dword v21, v[16:17], off
	s_add_u32 s48, s48, 1
	s_addc_u32 s49, s49, 0
	s_andn2_b64 s[46:47], s[46:47], exec
	v_lshl_add_u64 v[16:17], v[16:17], 0, 4
	v_lshl_add_u64 v[18:19], v[18:19], 0, 4
	s_waitcnt vmcnt(0)
	v_cmp_neq_f32_e32 vcc, v20, v21
	s_and_b64 s[50:51], vcc, exec
	s_or_b64 s[46:47], s[46:47], s[50:51]
.LBB953_287:                            ;   in Loop: Header=BB953_288 Depth=1
	s_and_b64 s[50:51], exec, s[46:47]
	s_or_b64 s[44:45], s[50:51], s[44:45]
	v_mov_b64_e32 v[20:21], s[48:49]
	s_andn2_b64 exec, exec, s[44:45]
	s_cbranch_execz .LBB953_290
.LBB953_288:                            ; =>This Inner Loop Header: Depth=1
	s_or_b64 s[46:47], s[46:47], exec
	s_cmp_eq_u64 s[42:43], s[48:49]
	s_cbranch_scc0 .LBB953_286
; %bb.289:                              ;   in Loop: Header=BB953_288 Depth=1
                                        ; implicit-def: $vgpr16_vgpr17
                                        ; implicit-def: $vgpr18_vgpr19
	s_mov_b64 s[48:49], s[26:27]
	s_branch .LBB953_287
.LBB953_290:
	s_or_b64 exec, exec, s[44:45]
	v_cmp_gt_i64_e32 vcc, s[26:27], v[20:21]
	s_orn2_b64 s[42:43], vcc, exec
.LBB953_291:
	s_or_b64 exec, exec, s[38:39]
.LBB953_292:
	s_and_b64 s[38:39], s[42:43], exec
.LBB953_293:
	s_or_b64 exec, exec, s[40:41]
	v_cmp_gt_u32_e32 vcc, s3, v25
	s_and_saveexec_b64 s[40:41], vcc
	s_cbranch_execz .LBB953_304
; %bb.294:
	s_andn2_b64 vcc, exec, s[6:7]
	s_mov_b64 s[42:43], 0
	s_cbranch_vccnz .LBB953_303
; %bb.295:
	v_mul_lo_u32 v18, v11, s26
	v_mul_lo_u32 v19, v10, s27
	v_mad_u64_u32 v[16:17], s[36:37], v10, s26, 0
	v_add3_u32 v17, v17, v19, v18
	v_mul_lo_u32 v18, v13, s26
	v_mul_lo_u32 v19, v12, s27
	v_mad_u64_u32 v[20:21], s[36:37], v12, s26, 0
	v_add3_u32 v21, v21, v19, v18
	v_lshl_add_u64 v[18:19], v[16:17], 2, s[28:29]
	v_lshl_add_u64 v[16:17], v[20:21], 2, s[28:29]
	global_load_dword v20, v[18:19], off
	global_load_dword v21, v[16:17], off
	s_mov_b64 s[42:43], -1
	s_waitcnt vmcnt(0)
	v_cmp_eq_f32_e32 vcc, v20, v21
	s_and_saveexec_b64 s[36:37], vcc
	s_cbranch_execz .LBB953_302
; %bb.296:
	s_add_u32 s42, s26, -1
	v_lshl_add_u64 v[16:17], v[16:17], 0, 4
	v_lshl_add_u64 v[18:19], v[18:19], 0, 4
	s_addc_u32 s43, s27, -1
	s_mov_b64 s[44:45], 0
	s_mov_b64 s[48:49], 0
                                        ; implicit-def: $sgpr46_sgpr47
	s_branch .LBB953_299
.LBB953_297:                            ;   in Loop: Header=BB953_299 Depth=1
	global_load_dword v20, v[18:19], off
	global_load_dword v21, v[16:17], off
	s_add_u32 s48, s48, 1
	s_addc_u32 s49, s49, 0
	s_andn2_b64 s[46:47], s[46:47], exec
	v_lshl_add_u64 v[16:17], v[16:17], 0, 4
	v_lshl_add_u64 v[18:19], v[18:19], 0, 4
	s_waitcnt vmcnt(0)
	v_cmp_neq_f32_e32 vcc, v20, v21
	s_and_b64 s[50:51], vcc, exec
	s_or_b64 s[46:47], s[46:47], s[50:51]
.LBB953_298:                            ;   in Loop: Header=BB953_299 Depth=1
	s_and_b64 s[50:51], exec, s[46:47]
	s_or_b64 s[44:45], s[50:51], s[44:45]
	v_mov_b64_e32 v[20:21], s[48:49]
	s_andn2_b64 exec, exec, s[44:45]
	s_cbranch_execz .LBB953_301
.LBB953_299:                            ; =>This Inner Loop Header: Depth=1
	s_or_b64 s[46:47], s[46:47], exec
	s_cmp_eq_u64 s[42:43], s[48:49]
	s_cbranch_scc0 .LBB953_297
; %bb.300:                              ;   in Loop: Header=BB953_299 Depth=1
                                        ; implicit-def: $vgpr16_vgpr17
                                        ; implicit-def: $vgpr18_vgpr19
	s_mov_b64 s[48:49], s[26:27]
	s_branch .LBB953_298
.LBB953_301:
	s_or_b64 exec, exec, s[44:45]
	v_cmp_gt_i64_e32 vcc, s[26:27], v[20:21]
	s_orn2_b64 s[42:43], vcc, exec
.LBB953_302:
	s_or_b64 exec, exec, s[36:37]
.LBB953_303:
	s_and_b64 s[36:37], s[42:43], exec
.LBB953_304:
	s_or_b64 exec, exec, s[40:41]
	v_cndmask_b32_e64 v17, 0, 1, s[18:19]
	v_cndmask_b32_e64 v16, 0, 1, s[38:39]
	;; [unrolled: 1-line block ×3, first 2 shown]
	v_lshlrev_b16_e32 v17, 8, v17
	v_cndmask_b32_e64 v32, 0, 1, s[14:15]
	v_cndmask_b32_e64 v18, 0, 1, s[36:37]
	v_or_b32_sdwa v16, v16, v17 dst_sel:WORD_1 dst_unused:UNUSED_PAD src0_sel:DWORD src1_sel:DWORD
	v_lshlrev_b16_e32 v17, 8, v33
	v_lshlrev_b16_e32 v18, 8, v18
	v_or_b32_e32 v17, v32, v17
	v_or_b32_e32 v18, 1, v18
	v_and_b32_e32 v17, 0xffff, v17
	v_cndmask_b32_e64 v34, 0, 1, s[4:5]
	v_or_b32_sdwa v16, v18, v16 dst_sel:DWORD dst_unused:UNUSED_PAD src0_sel:WORD_0 src1_sel:DWORD
	v_lshl_or_b32 v17, v34, 16, v17
	v_cmp_ne_u32_e32 vcc, 0, v0
	s_waitcnt lgkmcnt(0)
	s_barrier
	s_waitcnt lgkmcnt(0)
                                        ; implicit-def: $sgpr18_sgpr19
                                        ; implicit-def: $vgpr20
	s_and_saveexec_b64 s[4:5], vcc
	s_cbranch_execz .LBB953_317
; %bb.305:
	v_cmp_gt_u32_e32 vcc, s3, v1
	s_mov_b32 s33, 0x3020104
	s_mov_b64 s[14:15], 0
	s_and_saveexec_b64 s[12:13], vcc
	s_cbranch_execz .LBB953_316
; %bb.306:
	s_andn2_b64 vcc, exec, s[6:7]
	s_cbranch_vccnz .LBB953_315
; %bb.307:
	v_add_u32_e32 v17, -8, v30
	ds_read_b64 v[18:19], v17
	v_mul_lo_u32 v17, v11, s26
	v_mad_u64_u32 v[22:23], s[6:7], v10, s26, 0
	s_mov_b64 s[14:15], -1
	s_waitcnt lgkmcnt(0)
	v_mul_lo_u32 v20, v19, s26
	v_mul_lo_u32 v21, v18, s27
	v_mad_u64_u32 v[18:19], s[6:7], v18, s26, 0
	v_add3_u32 v19, v19, v21, v20
	v_mul_lo_u32 v20, v10, s27
	v_add3_u32 v23, v23, v20, v17
	v_lshl_add_u64 v[20:21], v[18:19], 2, s[28:29]
	v_lshl_add_u64 v[18:19], v[22:23], 2, s[28:29]
	global_load_dword v17, v[20:21], off
	global_load_dword v22, v[18:19], off
	s_waitcnt vmcnt(0)
	v_cmp_eq_f32_e32 vcc, v17, v22
	s_and_saveexec_b64 s[6:7], vcc
	s_cbranch_execz .LBB953_314
; %bb.308:
	s_add_u32 s14, s26, -1
	v_lshl_add_u64 v[18:19], v[18:19], 0, 4
	v_lshl_add_u64 v[20:21], v[20:21], 0, 4
	s_addc_u32 s15, s27, -1
	s_mov_b64 s[18:19], 0
	s_mov_b64 s[36:37], 0
                                        ; implicit-def: $sgpr28_sgpr29
	s_branch .LBB953_311
.LBB953_309:                            ;   in Loop: Header=BB953_311 Depth=1
	global_load_dword v17, v[20:21], off
	global_load_dword v22, v[18:19], off
	s_add_u32 s36, s36, 1
	s_addc_u32 s37, s37, 0
	s_andn2_b64 s[28:29], s[28:29], exec
	v_lshl_add_u64 v[18:19], v[18:19], 0, 4
	v_lshl_add_u64 v[20:21], v[20:21], 0, 4
	s_waitcnt vmcnt(0)
	v_cmp_neq_f32_e32 vcc, v17, v22
	s_and_b64 s[38:39], vcc, exec
	s_or_b64 s[28:29], s[28:29], s[38:39]
.LBB953_310:                            ;   in Loop: Header=BB953_311 Depth=1
	s_and_b64 s[38:39], exec, s[28:29]
	s_or_b64 s[18:19], s[38:39], s[18:19]
	v_mov_b64_e32 v[22:23], s[36:37]
	s_andn2_b64 exec, exec, s[18:19]
	s_cbranch_execz .LBB953_313
.LBB953_311:                            ; =>This Inner Loop Header: Depth=1
	s_or_b64 s[28:29], s[28:29], exec
	s_cmp_eq_u64 s[14:15], s[36:37]
	s_cbranch_scc0 .LBB953_309
; %bb.312:                              ;   in Loop: Header=BB953_311 Depth=1
                                        ; implicit-def: $vgpr18_vgpr19
                                        ; implicit-def: $vgpr20_vgpr21
	s_mov_b64 s[36:37], s[26:27]
	s_branch .LBB953_310
.LBB953_313:
	s_or_b64 exec, exec, s[18:19]
	v_cmp_gt_i64_e32 vcc, s[26:27], v[22:23]
	s_orn2_b64 s[14:15], vcc, exec
.LBB953_314:
	s_or_b64 exec, exec, s[6:7]
.LBB953_315:
	s_and_b64 s[14:15], s[14:15], exec
.LBB953_316:
	s_or_b64 exec, exec, s[12:13]
	v_perm_b32 v20, v16, v16, s33
	s_and_b64 s[18:19], s[14:15], exec
	s_or_b64 s[10:11], s[10:11], exec
                                        ; implicit-def: $vgpr16_vgpr17
.LBB953_317:
	s_or_b64 exec, exec, s[4:5]
.LBB953_318:
	s_and_saveexec_b64 s[4:5], s[10:11]
	s_cbranch_execz .LBB953_320
; %bb.319:
	s_waitcnt lgkmcnt(0)
	v_lshlrev_b16_e32 v17, 8, v33
	v_and_b32_e32 v18, 0xff, v34
	v_or_b32_sdwa v17, v32, v17 dst_sel:DWORD dst_unused:UNUSED_PAD src0_sel:BYTE_0 src1_sel:DWORD
	v_lshlrev_b32_e32 v18, 16, v18
	s_movk_i32 s6, 0xff
	v_or_b32_sdwa v17, v17, v18 dst_sel:DWORD dst_unused:UNUSED_PAD src0_sel:WORD_0 src1_sel:DWORD
	v_lshrrev_b32_e32 v18, 24, v20
	v_lshlrev_b16_e32 v18, 8, v18
	v_and_b32_sdwa v19, v20, s6 dst_sel:DWORD dst_unused:UNUSED_PAD src0_sel:WORD_1 src1_sel:DWORD
	v_or_b32_sdwa v18, v19, v18 dst_sel:WORD_1 dst_unused:UNUSED_PAD src0_sel:DWORD src1_sel:DWORD
	v_mov_b32_e32 v19, 8
	v_cndmask_b32_e64 v16, 0, 1, s[18:19]
	v_lshrrev_b32_sdwa v19, v19, v20 dst_sel:BYTE_1 dst_unused:UNUSED_PAD src0_sel:DWORD src1_sel:DWORD
	s_nop 0
	v_or_b32_e32 v16, v16, v19
	v_or_b32_sdwa v16, v16, v18 dst_sel:DWORD dst_unused:UNUSED_PAD src0_sel:WORD_0 src1_sel:DWORD
.LBB953_320:
	s_or_b64 exec, exec, s[4:5]
	s_andn2_b64 vcc, exec, s[8:9]
	s_cbranch_vccnz .LBB953_322
; %bb.321:
	s_waitcnt lgkmcnt(0)
	v_and_b32_e32 v18, 0xffff0000, v16
	v_cmp_gt_u32_e32 vcc, s3, v1
	s_mov_b32 s4, 0x40c0100
	s_nop 0
	v_cndmask_b32_e32 v1, v18, v16, vcc
	v_and_b32_e32 v1, 0xffff00ff, v1
	v_cmp_gt_u32_e32 vcc, s3, v25
	s_nop 1
	v_cndmask_b32_e32 v1, v1, v16, vcc
	v_lshrrev_b32_e32 v18, 24, v1
	v_perm_b32 v1, v18, v1, s4
	v_cmp_gt_u32_e32 vcc, s3, v24
	v_and_b32_e32 v18, 0xffffff00, v17
	s_nop 0
	v_cndmask_b32_e32 v1, v1, v16, vcc
	v_and_b32_e32 v1, 0xffffff, v1
	v_cmp_gt_u32_e32 vcc, s3, v28
	s_nop 1
	v_cndmask_b32_e32 v1, v1, v16, vcc
	v_cmp_gt_u32_e32 vcc, s3, v26
	s_nop 1
	v_cndmask_b32_e32 v18, v18, v17, vcc
	v_and_b32_e32 v18, 0xffff00ff, v18
	v_cndmask_b32_e32 v1, v1, v16, vcc
	v_cmp_gt_u32_e32 vcc, s3, v29
	s_nop 1
	v_cndmask_b32_e32 v18, v18, v17, vcc
	v_lshrrev_b32_e32 v19, 24, v18
	v_cndmask_b32_e32 v1, v1, v16, vcc
	v_perm_b32 v18, v19, v18, s4
	v_cmp_gt_u32_e32 vcc, s3, v27
	s_mov_b32 s3, 0x3020104
	s_nop 0
	v_cndmask_b32_e32 v1, v1, v16, vcc
	v_cndmask_b32_e32 v16, v18, v17, vcc
	v_mov_b32_e32 v17, 8
	v_lshrrev_b32_sdwa v17, v17, v16 dst_sel:BYTE_1 dst_unused:UNUSED_PAD src0_sel:DWORD src1_sel:DWORD
	s_nop 0
	v_or_b32_sdwa v17, v16, v17 dst_sel:DWORD dst_unused:UNUSED_PAD src0_sel:BYTE_0 src1_sel:DWORD
	v_and_b32_e32 v17, 0xffff, v17
	v_bfe_u32 v16, v16, 16, 8
	v_lshl_or_b32 v17, v16, 16, v17
	v_perm_b32 v16, v1, v1, s3
.LBB953_322:
	s_waitcnt lgkmcnt(0)
	v_and_b32_e32 v1, 0xff, v16
	v_bfe_u32 v29, v16, 8, 8
	v_bfe_u32 v31, v16, 16, 8
	v_alignbit_b32 v18, v17, v16, 24
	v_and_b32_e32 v33, 0xff, v18
	v_and_b32_e32 v35, 0xff, v17
	v_add3_u32 v19, v29, v1, v31
	v_bfe_u32 v36, v17, 8, 8
	v_bfe_u32 v18, v17, 16, 8
	v_add3_u32 v19, v19, v33, v35
	v_add3_u32 v39, v19, v36, v18
	v_mbcnt_lo_u32_b32 v18, -1, 0
	v_mbcnt_hi_u32_b32 v37, -1, v18
	v_and_b32_e32 v18, 15, v37
	v_cmp_eq_u32_e64 s[14:15], 0, v18
	v_cmp_lt_u32_e64 s[12:13], 1, v18
	v_cmp_lt_u32_e64 s[10:11], 3, v18
	;; [unrolled: 1-line block ×3, first 2 shown]
	v_and_b32_e32 v18, 16, v37
	v_cmp_eq_u32_e64 s[6:7], 0, v18
	v_or_b32_e32 v18, 63, v0
	v_cmp_lt_u32_e64 s[18:19], 31, v37
	v_lshrrev_b32_e32 v38, 6, v0
	v_cmp_eq_u32_e64 s[4:5], v18, v0
	s_and_b64 vcc, exec, s[16:17]
	s_barrier
	s_cbranch_vccz .LBB953_353
; %bb.323:
	v_mov_b32_dpp v18, v39 row_shr:1 row_mask:0xf bank_mask:0xf
	v_cndmask_b32_e64 v18, v18, 0, s[14:15]
	v_add_u32_e32 v18, v18, v39
	s_nop 1
	v_mov_b32_dpp v19, v18 row_shr:2 row_mask:0xf bank_mask:0xf
	v_cndmask_b32_e64 v19, 0, v19, s[12:13]
	v_add_u32_e32 v18, v18, v19
	s_nop 1
	;; [unrolled: 4-line block ×4, first 2 shown]
	v_mov_b32_dpp v19, v18 row_bcast:15 row_mask:0xf bank_mask:0xf
	v_cndmask_b32_e64 v19, v19, 0, s[6:7]
	v_add_u32_e32 v18, v18, v19
	s_nop 1
	v_mov_b32_dpp v19, v18 row_bcast:31 row_mask:0xf bank_mask:0xf
	v_cndmask_b32_e64 v19, 0, v19, s[18:19]
	v_add_u32_e32 v18, v18, v19
	s_and_saveexec_b64 s[16:17], s[4:5]
	s_cbranch_execz .LBB953_325
; %bb.324:
	v_lshlrev_b32_e32 v19, 2, v38
	ds_write_b32 v19, v18
.LBB953_325:
	s_or_b64 exec, exec, s[16:17]
	v_cmp_gt_u32_e32 vcc, 8, v0
	s_waitcnt lgkmcnt(0)
	s_barrier
	s_and_saveexec_b64 s[16:17], vcc
	s_cbranch_execz .LBB953_327
; %bb.326:
	v_lshlrev_b32_e32 v19, 2, v0
	ds_read_b32 v20, v19
	v_and_b32_e32 v21, 7, v37
	v_cmp_ne_u32_e32 vcc, 0, v21
	s_waitcnt lgkmcnt(0)
	v_mov_b32_dpp v22, v20 row_shr:1 row_mask:0xf bank_mask:0xf
	v_cndmask_b32_e32 v22, 0, v22, vcc
	v_add_u32_e32 v20, v22, v20
	v_cmp_lt_u32_e32 vcc, 1, v21
	s_nop 0
	v_mov_b32_dpp v22, v20 row_shr:2 row_mask:0xf bank_mask:0xf
	v_cndmask_b32_e32 v22, 0, v22, vcc
	v_add_u32_e32 v20, v20, v22
	v_cmp_lt_u32_e32 vcc, 3, v21
	s_nop 0
	v_mov_b32_dpp v22, v20 row_shr:4 row_mask:0xf bank_mask:0xf
	v_cndmask_b32_e32 v21, 0, v22, vcc
	v_add_u32_e32 v20, v20, v21
	ds_write_b32 v19, v20
.LBB953_327:
	s_or_b64 exec, exec, s[16:17]
	v_cmp_gt_u32_e32 vcc, 64, v0
	v_cmp_lt_u32_e64 s[16:17], 63, v0
	s_waitcnt lgkmcnt(0)
	s_barrier
	s_waitcnt lgkmcnt(0)
                                        ; implicit-def: $vgpr28
	s_and_saveexec_b64 s[26:27], s[16:17]
	s_cbranch_execz .LBB953_329
; %bb.328:
	v_lshl_add_u32 v19, v38, 2, -4
	ds_read_b32 v28, v19
	s_waitcnt lgkmcnt(0)
	v_add_u32_e32 v18, v28, v18
.LBB953_329:
	s_or_b64 exec, exec, s[26:27]
	v_add_u32_e32 v19, -1, v37
	v_and_b32_e32 v20, 64, v37
	v_cmp_lt_i32_e64 s[16:17], v19, v20
	s_nop 1
	v_cndmask_b32_e64 v19, v19, v37, s[16:17]
	v_lshlrev_b32_e32 v19, 2, v19
	ds_bpermute_b32 v30, v19, v18
	v_cmp_eq_u32_e64 s[16:17], 0, v37
	s_and_saveexec_b64 s[26:27], vcc
	s_cbranch_execz .LBB953_352
; %bb.330:
	v_mov_b32_e32 v27, 0
	ds_read_b32 v18, v27 offset:28
	s_and_saveexec_b64 s[28:29], s[16:17]
	s_cbranch_execz .LBB953_332
; %bb.331:
	s_add_i32 s36, s2, 64
	s_mov_b32 s37, 0
	s_lshl_b64 s[36:37], s[36:37], 3
	s_add_u32 s36, s30, s36
	v_mov_b32_e32 v19, 1
	s_addc_u32 s37, s31, s37
	s_waitcnt lgkmcnt(0)
	global_store_dwordx2 v27, v[18:19], s[36:37] sc1
.LBB953_332:
	s_or_b64 exec, exec, s[28:29]
	v_xad_u32 v20, v37, -1, s2
	v_add_u32_e32 v26, 64, v20
	v_lshl_add_u64 v[22:23], v[26:27], 3, s[30:31]
	global_load_dwordx2 v[24:25], v[22:23], off sc1
	s_waitcnt vmcnt(0)
	v_cmp_eq_u16_sdwa s[36:37], v25, v27 src0_sel:BYTE_0 src1_sel:DWORD
	s_and_saveexec_b64 s[28:29], s[36:37]
	s_cbranch_execz .LBB953_338
; %bb.333:
	s_mov_b32 s3, 1
	s_mov_b64 s[36:37], 0
	v_mov_b32_e32 v19, 0
.LBB953_334:                            ; =>This Loop Header: Depth=1
                                        ;     Child Loop BB953_335 Depth 2
	s_max_u32 s33, s3, 1
.LBB953_335:                            ;   Parent Loop BB953_334 Depth=1
                                        ; =>  This Inner Loop Header: Depth=2
	s_add_i32 s33, s33, -1
	s_cmp_eq_u32 s33, 0
	s_sleep 1
	s_cbranch_scc0 .LBB953_335
; %bb.336:                              ;   in Loop: Header=BB953_334 Depth=1
	global_load_dwordx2 v[24:25], v[22:23], off sc1
	s_cmp_lt_u32 s3, 32
	s_cselect_b64 s[38:39], -1, 0
	s_cmp_lg_u64 s[38:39], 0
	s_addc_u32 s3, s3, 0
	s_waitcnt vmcnt(0)
	v_cmp_ne_u16_sdwa s[38:39], v25, v19 src0_sel:BYTE_0 src1_sel:DWORD
	s_or_b64 s[36:37], s[38:39], s[36:37]
	s_andn2_b64 exec, exec, s[36:37]
	s_cbranch_execnz .LBB953_334
; %bb.337:
	s_or_b64 exec, exec, s[36:37]
.LBB953_338:
	s_or_b64 exec, exec, s[28:29]
	v_and_b32_e32 v32, 63, v37
	v_mov_b32_e32 v19, 2
	v_cmp_ne_u32_e32 vcc, 63, v32
	v_cmp_eq_u16_sdwa s[28:29], v25, v19 src0_sel:BYTE_0 src1_sel:DWORD
	v_lshlrev_b64 v[22:23], v37, -1
	v_addc_co_u32_e32 v27, vcc, 0, v37, vcc
	v_and_b32_e32 v21, s29, v23
	v_lshlrev_b32_e32 v34, 2, v27
	v_or_b32_e32 v21, 0x80000000, v21
	ds_bpermute_b32 v27, v34, v24
	v_and_b32_e32 v26, s28, v22
	v_ffbl_b32_e32 v21, v21
	v_add_u32_e32 v21, 32, v21
	v_ffbl_b32_e32 v26, v26
	v_min_u32_e32 v21, v26, v21
	v_cmp_lt_u32_e32 vcc, v32, v21
	v_add_u32_e32 v41, 2, v32
	v_add_u32_e32 v43, 4, v32
	s_waitcnt lgkmcnt(0)
	v_cndmask_b32_e32 v26, 0, v27, vcc
	v_cmp_gt_u32_e32 vcc, 62, v32
	v_add_u32_e32 v24, v26, v24
	v_add_u32_e32 v45, 8, v32
	v_cndmask_b32_e64 v26, 0, 1, vcc
	v_lshlrev_b32_e32 v26, 1, v26
	v_add_lshl_u32 v40, v26, v37, 2
	ds_bpermute_b32 v26, v40, v24
	v_cmp_le_u32_e32 vcc, v41, v21
	v_add_u32_e32 v48, 16, v32
	v_add_u32_e32 v50, 32, v32
	s_waitcnt lgkmcnt(0)
	v_cndmask_b32_e32 v26, 0, v26, vcc
	v_cmp_gt_u32_e32 vcc, 60, v32
	v_add_u32_e32 v24, v24, v26
	s_nop 0
	v_cndmask_b32_e64 v26, 0, 1, vcc
	v_lshlrev_b32_e32 v26, 2, v26
	v_add_lshl_u32 v42, v26, v37, 2
	ds_bpermute_b32 v26, v42, v24
	v_cmp_le_u32_e32 vcc, v43, v21
	s_waitcnt lgkmcnt(0)
	s_nop 0
	v_cndmask_b32_e32 v26, 0, v26, vcc
	v_cmp_gt_u32_e32 vcc, 56, v32
	v_add_u32_e32 v24, v24, v26
	s_nop 0
	v_cndmask_b32_e64 v26, 0, 1, vcc
	v_lshlrev_b32_e32 v26, 3, v26
	v_add_lshl_u32 v44, v26, v37, 2
	ds_bpermute_b32 v26, v44, v24
	v_cmp_le_u32_e32 vcc, v45, v21
	s_waitcnt lgkmcnt(0)
	s_nop 0
	;; [unrolled: 11-line block ×4, first 2 shown]
	v_cndmask_b32_e32 v21, 0, v26, vcc
	v_add_u32_e32 v24, v24, v21
	v_mov_b32_e32 v21, 0
	s_branch .LBB953_340
.LBB953_339:                            ;   in Loop: Header=BB953_340 Depth=1
	s_or_b64 exec, exec, s[28:29]
	v_cmp_eq_u16_sdwa s[28:29], v25, v19 src0_sel:BYTE_0 src1_sel:DWORD
	ds_bpermute_b32 v51, v34, v24
	v_subrev_u32_e32 v20, 64, v20
	v_and_b32_e32 v26, s29, v23
	v_or_b32_e32 v26, 0x80000000, v26
	v_and_b32_e32 v27, s28, v22
	v_ffbl_b32_e32 v26, v26
	v_add_u32_e32 v26, 32, v26
	v_ffbl_b32_e32 v27, v27
	v_min_u32_e32 v26, v27, v26
	v_cmp_lt_u32_e32 vcc, v32, v26
	s_waitcnt lgkmcnt(0)
	s_nop 0
	v_cndmask_b32_e32 v27, 0, v51, vcc
	v_add_u32_e32 v24, v27, v24
	ds_bpermute_b32 v27, v40, v24
	v_cmp_le_u32_e32 vcc, v41, v26
	s_waitcnt lgkmcnt(0)
	s_nop 0
	v_cndmask_b32_e32 v27, 0, v27, vcc
	v_add_u32_e32 v24, v24, v27
	ds_bpermute_b32 v27, v42, v24
	v_cmp_le_u32_e32 vcc, v43, v26
	;; [unrolled: 6-line block ×5, first 2 shown]
	s_waitcnt lgkmcnt(0)
	s_nop 0
	v_cndmask_b32_e32 v26, 0, v27, vcc
	v_add3_u32 v24, v26, v46, v24
.LBB953_340:                            ; =>This Loop Header: Depth=1
                                        ;     Child Loop BB953_343 Depth 2
                                        ;       Child Loop BB953_344 Depth 3
	v_cmp_ne_u16_sdwa s[28:29], v25, v19 src0_sel:BYTE_0 src1_sel:DWORD
	v_mov_b32_e32 v46, v24
	s_nop 0
	v_cndmask_b32_e64 v25, 0, 1, s[28:29]
	;;#ASMSTART
	;;#ASMEND
	s_nop 0
	v_cmp_ne_u32_e32 vcc, 0, v25
	s_cmp_lg_u64 vcc, exec
	s_cbranch_scc1 .LBB953_347
; %bb.341:                              ;   in Loop: Header=BB953_340 Depth=1
	v_lshl_add_u64 v[26:27], v[20:21], 3, s[30:31]
	global_load_dwordx2 v[24:25], v[26:27], off sc1
	s_waitcnt vmcnt(0)
	v_cmp_eq_u16_sdwa s[36:37], v25, v21 src0_sel:BYTE_0 src1_sel:DWORD
	s_and_saveexec_b64 s[28:29], s[36:37]
	s_cbranch_execz .LBB953_339
; %bb.342:                              ;   in Loop: Header=BB953_340 Depth=1
	s_mov_b32 s3, 1
	s_mov_b64 s[36:37], 0
.LBB953_343:                            ;   Parent Loop BB953_340 Depth=1
                                        ; =>  This Loop Header: Depth=2
                                        ;       Child Loop BB953_344 Depth 3
	s_max_u32 s33, s3, 1
.LBB953_344:                            ;   Parent Loop BB953_340 Depth=1
                                        ;     Parent Loop BB953_343 Depth=2
                                        ; =>    This Inner Loop Header: Depth=3
	s_add_i32 s33, s33, -1
	s_cmp_eq_u32 s33, 0
	s_sleep 1
	s_cbranch_scc0 .LBB953_344
; %bb.345:                              ;   in Loop: Header=BB953_343 Depth=2
	global_load_dwordx2 v[24:25], v[26:27], off sc1
	s_cmp_lt_u32 s3, 32
	s_cselect_b64 s[38:39], -1, 0
	s_cmp_lg_u64 s[38:39], 0
	s_addc_u32 s3, s3, 0
	s_waitcnt vmcnt(0)
	v_cmp_ne_u16_sdwa s[38:39], v25, v21 src0_sel:BYTE_0 src1_sel:DWORD
	s_or_b64 s[36:37], s[38:39], s[36:37]
	s_andn2_b64 exec, exec, s[36:37]
	s_cbranch_execnz .LBB953_343
; %bb.346:                              ;   in Loop: Header=BB953_340 Depth=1
	s_or_b64 exec, exec, s[36:37]
	s_branch .LBB953_339
.LBB953_347:                            ;   in Loop: Header=BB953_340 Depth=1
                                        ; implicit-def: $vgpr24
                                        ; implicit-def: $vgpr25
	s_cbranch_execz .LBB953_340
; %bb.348:
	s_and_saveexec_b64 s[28:29], s[16:17]
	s_cbranch_execz .LBB953_350
; %bb.349:
	s_add_i32 s2, s2, 64
	s_mov_b32 s3, 0
	s_lshl_b64 s[2:3], s[2:3], 3
	s_add_u32 s2, s30, s2
	v_add_u32_e32 v20, v46, v18
	v_mov_b32_e32 v21, 2
	s_addc_u32 s3, s31, s3
	v_mov_b32_e32 v19, 0
	global_store_dwordx2 v19, v[20:21], s[2:3] sc1
	s_movk_i32 s2, 0x7000
	v_add_u32_e64 v19, s2, 0
	ds_write2_b32 v19, v18, v46 offset1:2
.LBB953_350:
	s_or_b64 exec, exec, s[28:29]
	v_cmp_eq_u32_e32 vcc, 0, v0
	s_and_b64 exec, exec, vcc
	s_cbranch_execz .LBB953_352
; %bb.351:
	v_mov_b32_e32 v18, 0
	ds_write_b32 v18, v46 offset:28
.LBB953_352:
	s_or_b64 exec, exec, s[26:27]
	v_mov_b32_e32 v18, 0
	s_waitcnt lgkmcnt(0)
	s_barrier
	ds_read_b32 v18, v18 offset:28
	v_cndmask_b32_e64 v19, v30, v28, s[16:17]
	v_cmp_ne_u32_e32 vcc, 0, v0
	s_movk_i32 s2, 0x7000
	s_waitcnt lgkmcnt(0)
	v_cndmask_b32_e32 v19, 0, v19, vcc
	v_add_u32_e32 v34, v18, v19
	v_add_u32_e32 v32, v34, v1
	v_add_u32_e64 v18, s2, 0
	v_add_u32_e32 v30, v32, v29
	s_barrier
	ds_read2_b32 v[18:19], v18 offset1:2
	v_add_u32_e32 v28, v30, v31
	v_add_u32_e32 v26, v28, v33
	;; [unrolled: 1-line block ×4, first 2 shown]
	s_load_dwordx2 s[2:3], s[0:1], 0x28
	v_lshrrev_b64 v[20:21], 24, v[16:17]
	s_branch .LBB953_363
.LBB953_353:
                                        ; implicit-def: $vgpr22
                                        ; implicit-def: $vgpr24
                                        ; implicit-def: $vgpr26
                                        ; implicit-def: $vgpr28
                                        ; implicit-def: $vgpr30
                                        ; implicit-def: $vgpr32
                                        ; implicit-def: $vgpr34
                                        ; implicit-def: $vgpr19
	s_load_dwordx2 s[2:3], s[0:1], 0x28
	v_lshrrev_b64 v[20:21], 24, v[16:17]
	s_cbranch_execz .LBB953_363
; %bb.354:
	s_waitcnt lgkmcnt(0)
	v_mov_b32_dpp v18, v39 row_shr:1 row_mask:0xf bank_mask:0xf
	v_cndmask_b32_e64 v18, v18, 0, s[14:15]
	v_add_u32_e32 v18, v18, v39
	s_nop 1
	v_mov_b32_dpp v19, v18 row_shr:2 row_mask:0xf bank_mask:0xf
	v_cndmask_b32_e64 v19, 0, v19, s[12:13]
	v_add_u32_e32 v18, v18, v19
	s_nop 1
	;; [unrolled: 4-line block ×4, first 2 shown]
	v_mov_b32_dpp v19, v18 row_bcast:15 row_mask:0xf bank_mask:0xf
	v_cndmask_b32_e64 v19, v19, 0, s[6:7]
	v_add_u32_e32 v18, v18, v19
	s_nop 1
	v_mov_b32_dpp v19, v18 row_bcast:31 row_mask:0xf bank_mask:0xf
	v_cndmask_b32_e64 v19, 0, v19, s[18:19]
	v_add_u32_e32 v18, v18, v19
	s_and_saveexec_b64 s[0:1], s[4:5]
	s_cbranch_execz .LBB953_356
; %bb.355:
	v_lshlrev_b32_e32 v19, 2, v38
	ds_write_b32 v19, v18
.LBB953_356:
	s_or_b64 exec, exec, s[0:1]
	v_cmp_gt_u32_e32 vcc, 8, v0
	s_waitcnt lgkmcnt(0)
	s_barrier
	s_and_saveexec_b64 s[0:1], vcc
	s_cbranch_execz .LBB953_358
; %bb.357:
	v_lshlrev_b32_e32 v19, 2, v0
	ds_read_b32 v21, v19
	v_and_b32_e32 v22, 7, v37
	v_cmp_ne_u32_e32 vcc, 0, v22
	s_waitcnt lgkmcnt(0)
	v_mov_b32_dpp v23, v21 row_shr:1 row_mask:0xf bank_mask:0xf
	v_cndmask_b32_e32 v23, 0, v23, vcc
	v_add_u32_e32 v21, v23, v21
	v_cmp_lt_u32_e32 vcc, 1, v22
	s_nop 0
	v_mov_b32_dpp v23, v21 row_shr:2 row_mask:0xf bank_mask:0xf
	v_cndmask_b32_e32 v23, 0, v23, vcc
	v_add_u32_e32 v21, v21, v23
	v_cmp_lt_u32_e32 vcc, 3, v22
	s_nop 0
	v_mov_b32_dpp v23, v21 row_shr:4 row_mask:0xf bank_mask:0xf
	v_cndmask_b32_e32 v22, 0, v23, vcc
	v_add_u32_e32 v21, v21, v22
	ds_write_b32 v19, v21
.LBB953_358:
	s_or_b64 exec, exec, s[0:1]
	v_cmp_lt_u32_e32 vcc, 63, v0
	v_mov_b32_e32 v19, 0
	v_mov_b32_e32 v21, 0
	s_waitcnt lgkmcnt(0)
	s_barrier
	s_and_saveexec_b64 s[0:1], vcc
	s_cbranch_execz .LBB953_360
; %bb.359:
	v_lshl_add_u32 v21, v38, 2, -4
	ds_read_b32 v21, v21
.LBB953_360:
	s_or_b64 exec, exec, s[0:1]
	v_add_u32_e32 v22, -1, v37
	v_and_b32_e32 v23, 64, v37
	v_cmp_lt_i32_e32 vcc, v22, v23
	s_waitcnt lgkmcnt(0)
	v_add_u32_e32 v18, v21, v18
	v_cndmask_b32_e32 v22, v22, v37, vcc
	v_lshlrev_b32_e32 v22, 2, v22
	ds_bpermute_b32 v22, v22, v18
	ds_read_b32 v18, v19 offset:28
	v_cmp_eq_u32_e32 vcc, 0, v0
	s_and_saveexec_b64 s[0:1], vcc
	s_cbranch_execz .LBB953_362
; %bb.361:
	v_mov_b32_e32 v23, 0
	v_mov_b32_e32 v19, 2
	s_waitcnt lgkmcnt(0)
	global_store_dwordx2 v23, v[18:19], s[30:31] offset:512 sc1
.LBB953_362:
	s_or_b64 exec, exec, s[0:1]
	v_cmp_eq_u32_e64 s[0:1], 0, v37
	v_mov_b32_e32 v19, 0
	s_waitcnt lgkmcnt(0)
	v_cndmask_b32_e64 v21, v22, v21, s[0:1]
	v_cndmask_b32_e64 v34, v21, 0, vcc
	v_add_u32_e32 v32, v34, v1
	v_add_u32_e32 v30, v32, v29
	;; [unrolled: 1-line block ×6, first 2 shown]
	s_barrier
.LBB953_363:
	s_movk_i32 s0, 0x201
	s_waitcnt lgkmcnt(0)
	v_cmp_gt_u32_e32 vcc, s0, v18
	v_lshrrev_b32_e32 v21, 8, v16
	v_lshrrev_b32_e32 v1, 8, v17
	s_mov_b64 s[0:1], -1
	s_cbranch_vccnz .LBB953_367
; %bb.364:
	s_and_b64 vcc, exec, s[0:1]
	s_cbranch_vccnz .LBB953_389
.LBB953_365:
	v_cmp_eq_u32_e32 vcc, 0, v0
	s_and_b64 s[0:1], vcc, s[24:25]
	s_and_saveexec_b64 s[2:3], s[0:1]
	s_cbranch_execnz .LBB953_407
.LBB953_366:
	s_endpgm
.LBB953_367:
	v_add_u32_e32 v23, v19, v18
	v_cmp_lt_u32_e32 vcc, v34, v23
	s_or_b64 s[4:5], s[34:35], vcc
	s_and_saveexec_b64 s[0:1], s[4:5]
	s_cbranch_execz .LBB953_370
; %bb.368:
	v_and_b32_e32 v25, 1, v16
	v_cmp_eq_u32_e32 vcc, 1, v25
	s_and_b64 exec, exec, vcc
	s_cbranch_execz .LBB953_370
; %bb.369:
	s_lshl_b64 s[4:5], s[22:23], 3
	s_add_u32 s4, s2, s4
	s_addc_u32 s5, s3, s5
	v_mov_b32_e32 v35, 0
	v_lshl_add_u64 v[36:37], v[34:35], 3, s[4:5]
	global_store_dwordx2 v[36:37], v[10:11], off
.LBB953_370:
	s_or_b64 exec, exec, s[0:1]
	v_cmp_lt_u32_e32 vcc, v32, v23
	s_or_b64 s[4:5], s[34:35], vcc
	s_and_saveexec_b64 s[0:1], s[4:5]
	s_cbranch_execz .LBB953_373
; %bb.371:
	v_and_b32_e32 v25, 1, v21
	v_cmp_eq_u32_e32 vcc, 1, v25
	s_and_b64 exec, exec, vcc
	s_cbranch_execz .LBB953_373
; %bb.372:
	s_lshl_b64 s[4:5], s[22:23], 3
	s_add_u32 s4, s2, s4
	s_addc_u32 s5, s3, s5
	v_mov_b32_e32 v33, 0
	v_lshl_add_u64 v[36:37], v[32:33], 3, s[4:5]
	global_store_dwordx2 v[36:37], v[12:13], off
.LBB953_373:
	s_or_b64 exec, exec, s[0:1]
	v_cmp_lt_u32_e32 vcc, v30, v23
	s_or_b64 s[4:5], s[34:35], vcc
	s_and_saveexec_b64 s[0:1], s[4:5]
	s_cbranch_execz .LBB953_376
; %bb.374:
	v_mov_b32_e32 v25, 1
	v_and_b32_sdwa v25, v25, v16 dst_sel:DWORD dst_unused:UNUSED_PAD src0_sel:DWORD src1_sel:WORD_1
	v_cmp_eq_u32_e32 vcc, 1, v25
	s_and_b64 exec, exec, vcc
	s_cbranch_execz .LBB953_376
; %bb.375:
	s_lshl_b64 s[4:5], s[22:23], 3
	s_add_u32 s4, s2, s4
	s_addc_u32 s5, s3, s5
	v_mov_b32_e32 v31, 0
	v_lshl_add_u64 v[36:37], v[30:31], 3, s[4:5]
	global_store_dwordx2 v[36:37], v[6:7], off
.LBB953_376:
	s_or_b64 exec, exec, s[0:1]
	v_cmp_lt_u32_e32 vcc, v28, v23
	s_or_b64 s[4:5], s[34:35], vcc
	s_and_saveexec_b64 s[0:1], s[4:5]
	s_cbranch_execz .LBB953_379
; %bb.377:
	v_and_b32_e32 v25, 1, v20
	v_cmp_eq_u32_e32 vcc, 1, v25
	s_and_b64 exec, exec, vcc
	s_cbranch_execz .LBB953_379
; %bb.378:
	s_lshl_b64 s[4:5], s[22:23], 3
	s_add_u32 s4, s2, s4
	s_addc_u32 s5, s3, s5
	v_mov_b32_e32 v29, 0
	v_lshl_add_u64 v[36:37], v[28:29], 3, s[4:5]
	global_store_dwordx2 v[36:37], v[8:9], off
.LBB953_379:
	s_or_b64 exec, exec, s[0:1]
	v_cmp_lt_u32_e32 vcc, v26, v23
	s_or_b64 s[4:5], s[34:35], vcc
	s_and_saveexec_b64 s[0:1], s[4:5]
	s_cbranch_execz .LBB953_382
; %bb.380:
	v_and_b32_e32 v25, 1, v17
	v_cmp_eq_u32_e32 vcc, 1, v25
	s_and_b64 exec, exec, vcc
	s_cbranch_execz .LBB953_382
; %bb.381:
	s_lshl_b64 s[4:5], s[22:23], 3
	s_add_u32 s4, s2, s4
	s_addc_u32 s5, s3, s5
	v_mov_b32_e32 v27, 0
	v_lshl_add_u64 v[36:37], v[26:27], 3, s[4:5]
	global_store_dwordx2 v[36:37], v[2:3], off
.LBB953_382:
	;; [unrolled: 18-line block ×3, first 2 shown]
	s_or_b64 exec, exec, s[0:1]
	v_cmp_lt_u32_e32 vcc, v22, v23
	s_or_b64 s[4:5], s[34:35], vcc
	s_and_saveexec_b64 s[0:1], s[4:5]
	s_cbranch_execz .LBB953_388
; %bb.386:
	v_mov_b32_e32 v23, 1
	v_and_b32_sdwa v23, v23, v17 dst_sel:DWORD dst_unused:UNUSED_PAD src0_sel:DWORD src1_sel:WORD_1
	v_cmp_eq_u32_e32 vcc, 1, v23
	s_and_b64 exec, exec, vcc
	s_cbranch_execz .LBB953_388
; %bb.387:
	s_lshl_b64 s[4:5], s[22:23], 3
	s_add_u32 s4, s2, s4
	s_addc_u32 s5, s3, s5
	v_mov_b32_e32 v23, 0
	v_lshl_add_u64 v[36:37], v[22:23], 3, s[4:5]
	global_store_dwordx2 v[36:37], v[14:15], off
.LBB953_388:
	s_or_b64 exec, exec, s[0:1]
	s_branch .LBB953_365
.LBB953_389:
	v_and_b32_e32 v23, 1, v16
	v_cmp_eq_u32_e32 vcc, 1, v23
	s_and_saveexec_b64 s[0:1], vcc
	s_cbranch_execz .LBB953_391
; %bb.390:
	v_sub_u32_e32 v23, v34, v19
	v_lshlrev_b32_e32 v23, 3, v23
	ds_write_b64 v23, v[10:11]
.LBB953_391:
	s_or_b64 exec, exec, s[0:1]
	v_and_b32_e32 v10, 1, v21
	v_cmp_eq_u32_e32 vcc, 1, v10
	s_and_saveexec_b64 s[0:1], vcc
	s_cbranch_execz .LBB953_393
; %bb.392:
	v_sub_u32_e32 v10, v32, v19
	v_lshlrev_b32_e32 v10, 3, v10
	ds_write_b64 v10, v[12:13]
.LBB953_393:
	s_or_b64 exec, exec, s[0:1]
	v_mov_b32_e32 v10, 1
	v_and_b32_sdwa v10, v10, v16 dst_sel:DWORD dst_unused:UNUSED_PAD src0_sel:DWORD src1_sel:WORD_1
	v_cmp_eq_u32_e32 vcc, 1, v10
	s_and_saveexec_b64 s[0:1], vcc
	s_cbranch_execz .LBB953_395
; %bb.394:
	v_sub_u32_e32 v10, v30, v19
	v_lshlrev_b32_e32 v10, 3, v10
	ds_write_b64 v10, v[6:7]
.LBB953_395:
	s_or_b64 exec, exec, s[0:1]
	v_and_b32_e32 v6, 1, v20
	v_cmp_eq_u32_e32 vcc, 1, v6
	s_and_saveexec_b64 s[0:1], vcc
	s_cbranch_execz .LBB953_397
; %bb.396:
	v_sub_u32_e32 v6, v28, v19
	v_lshlrev_b32_e32 v6, 3, v6
	ds_write_b64 v6, v[8:9]
.LBB953_397:
	s_or_b64 exec, exec, s[0:1]
	v_and_b32_e32 v6, 1, v17
	;; [unrolled: 10-line block ×3, first 2 shown]
	v_cmp_eq_u32_e32 vcc, 1, v1
	s_and_saveexec_b64 s[0:1], vcc
	s_cbranch_execz .LBB953_401
; %bb.400:
	v_sub_u32_e32 v1, v24, v19
	v_lshlrev_b32_e32 v1, 3, v1
	ds_write_b64 v1, v[4:5]
.LBB953_401:
	s_or_b64 exec, exec, s[0:1]
	v_mov_b32_e32 v1, 1
	v_and_b32_sdwa v1, v1, v17 dst_sel:DWORD dst_unused:UNUSED_PAD src0_sel:DWORD src1_sel:WORD_1
	v_cmp_eq_u32_e32 vcc, 1, v1
	s_and_saveexec_b64 s[0:1], vcc
	s_cbranch_execz .LBB953_403
; %bb.402:
	v_sub_u32_e32 v1, v22, v19
	v_lshlrev_b32_e32 v1, 3, v1
	ds_write_b64 v1, v[14:15]
.LBB953_403:
	s_or_b64 exec, exec, s[0:1]
	v_cmp_lt_u32_e32 vcc, v0, v18
	s_waitcnt lgkmcnt(0)
	s_barrier
	s_and_saveexec_b64 s[0:1], vcc
	s_cbranch_execz .LBB953_406
; %bb.404:
	v_mov_b32_e32 v5, 0
	v_mov_b32_e32 v4, v19
	s_lshl_b64 s[4:5], s[22:23], 3
	v_lshlrev_b64 v[6:7], 3, v[4:5]
	v_lshl_add_u64 v[6:7], s[4:5], 0, v[6:7]
	v_lshlrev_b32_e32 v2, 3, v0
	v_mov_b32_e32 v3, v5
	v_lshl_add_u64 v[4:5], s[2:3], 0, v[6:7]
	v_lshl_add_u64 v[4:5], v[4:5], 0, v[2:3]
	s_mov_b64 s[2:3], 0
	s_mov_b64 s[4:5], 0x1000
	v_mov_b32_e32 v1, v0
.LBB953_405:                            ; =>This Inner Loop Header: Depth=1
	ds_read_b64 v[6:7], v2
	v_add_u32_e32 v1, 0x200, v1
	v_cmp_ge_u32_e32 vcc, v1, v18
	v_add_u32_e32 v2, 0x1000, v2
	s_or_b64 s[2:3], vcc, s[2:3]
	s_waitcnt lgkmcnt(0)
	global_store_dwordx2 v[4:5], v[6:7], off
	v_lshl_add_u64 v[4:5], v[4:5], 0, s[4:5]
	s_andn2_b64 exec, exec, s[2:3]
	s_cbranch_execnz .LBB953_405
.LBB953_406:
	s_or_b64 exec, exec, s[0:1]
	v_cmp_eq_u32_e32 vcc, 0, v0
	s_and_b64 s[0:1], vcc, s[24:25]
	s_and_saveexec_b64 s[2:3], s[0:1]
	s_cbranch_execz .LBB953_366
.LBB953_407:
	v_mov_b32_e32 v1, 0
	v_mov_b32_e32 v0, v18
	v_lshl_add_u64 v[2:3], s[22:23], 0, v[0:1]
	v_mov_b32_e32 v0, v19
	v_lshl_add_u64 v[2:3], v[2:3], 0, v[0:1]
	global_store_dwordx2 v1, v[2:3], s[20:21]
	s_endpgm
	.section	.rodata,"a",@progbits
	.p2align	6, 0x0
	.amdhsa_kernel _ZN7rocprim17ROCPRIM_400000_NS6detail17trampoline_kernelINS0_14default_configENS1_25partition_config_selectorILNS1_17partition_subalgoE8ElNS0_10empty_typeEbEEZZNS1_14partition_implILS5_8ELb0ES3_jPlPS6_PKS6_NS0_5tupleIJS9_S6_EEENSD_IJSA_SA_EEENS0_18inequality_wrapperIZN2at6native12_GLOBAL__N_124unique_dim_cuda_templateIfEESt5tupleIJNSH_6TensorESM_SM_EERKSM_lbbbEUlllE0_EEPmJS6_EEE10hipError_tPvRmT3_T4_T5_T6_T7_T9_mT8_P12ihipStream_tbDpT10_ENKUlT_T0_E_clISt17integral_constantIbLb1EES1B_IbLb0EEEEDaS17_S18_EUlS17_E_NS1_11comp_targetILNS1_3genE5ELNS1_11target_archE942ELNS1_3gpuE9ELNS1_3repE0EEENS1_30default_config_static_selectorELNS0_4arch9wavefront6targetE1EEEvT1_
		.amdhsa_group_segment_fixed_size 28684
		.amdhsa_private_segment_fixed_size 0
		.amdhsa_kernarg_size 120
		.amdhsa_user_sgpr_count 2
		.amdhsa_user_sgpr_dispatch_ptr 0
		.amdhsa_user_sgpr_queue_ptr 0
		.amdhsa_user_sgpr_kernarg_segment_ptr 1
		.amdhsa_user_sgpr_dispatch_id 0
		.amdhsa_user_sgpr_kernarg_preload_length 0
		.amdhsa_user_sgpr_kernarg_preload_offset 0
		.amdhsa_user_sgpr_private_segment_size 0
		.amdhsa_uses_dynamic_stack 0
		.amdhsa_enable_private_segment 0
		.amdhsa_system_sgpr_workgroup_id_x 1
		.amdhsa_system_sgpr_workgroup_id_y 0
		.amdhsa_system_sgpr_workgroup_id_z 0
		.amdhsa_system_sgpr_workgroup_info 0
		.amdhsa_system_vgpr_workitem_id 0
		.amdhsa_next_free_vgpr 52
		.amdhsa_next_free_sgpr 52
		.amdhsa_accum_offset 52
		.amdhsa_reserve_vcc 1
		.amdhsa_float_round_mode_32 0
		.amdhsa_float_round_mode_16_64 0
		.amdhsa_float_denorm_mode_32 3
		.amdhsa_float_denorm_mode_16_64 3
		.amdhsa_dx10_clamp 1
		.amdhsa_ieee_mode 1
		.amdhsa_fp16_overflow 0
		.amdhsa_tg_split 0
		.amdhsa_exception_fp_ieee_invalid_op 0
		.amdhsa_exception_fp_denorm_src 0
		.amdhsa_exception_fp_ieee_div_zero 0
		.amdhsa_exception_fp_ieee_overflow 0
		.amdhsa_exception_fp_ieee_underflow 0
		.amdhsa_exception_fp_ieee_inexact 0
		.amdhsa_exception_int_div_zero 0
	.end_amdhsa_kernel
	.section	.text._ZN7rocprim17ROCPRIM_400000_NS6detail17trampoline_kernelINS0_14default_configENS1_25partition_config_selectorILNS1_17partition_subalgoE8ElNS0_10empty_typeEbEEZZNS1_14partition_implILS5_8ELb0ES3_jPlPS6_PKS6_NS0_5tupleIJS9_S6_EEENSD_IJSA_SA_EEENS0_18inequality_wrapperIZN2at6native12_GLOBAL__N_124unique_dim_cuda_templateIfEESt5tupleIJNSH_6TensorESM_SM_EERKSM_lbbbEUlllE0_EEPmJS6_EEE10hipError_tPvRmT3_T4_T5_T6_T7_T9_mT8_P12ihipStream_tbDpT10_ENKUlT_T0_E_clISt17integral_constantIbLb1EES1B_IbLb0EEEEDaS17_S18_EUlS17_E_NS1_11comp_targetILNS1_3genE5ELNS1_11target_archE942ELNS1_3gpuE9ELNS1_3repE0EEENS1_30default_config_static_selectorELNS0_4arch9wavefront6targetE1EEEvT1_,"axG",@progbits,_ZN7rocprim17ROCPRIM_400000_NS6detail17trampoline_kernelINS0_14default_configENS1_25partition_config_selectorILNS1_17partition_subalgoE8ElNS0_10empty_typeEbEEZZNS1_14partition_implILS5_8ELb0ES3_jPlPS6_PKS6_NS0_5tupleIJS9_S6_EEENSD_IJSA_SA_EEENS0_18inequality_wrapperIZN2at6native12_GLOBAL__N_124unique_dim_cuda_templateIfEESt5tupleIJNSH_6TensorESM_SM_EERKSM_lbbbEUlllE0_EEPmJS6_EEE10hipError_tPvRmT3_T4_T5_T6_T7_T9_mT8_P12ihipStream_tbDpT10_ENKUlT_T0_E_clISt17integral_constantIbLb1EES1B_IbLb0EEEEDaS17_S18_EUlS17_E_NS1_11comp_targetILNS1_3genE5ELNS1_11target_archE942ELNS1_3gpuE9ELNS1_3repE0EEENS1_30default_config_static_selectorELNS0_4arch9wavefront6targetE1EEEvT1_,comdat
.Lfunc_end953:
	.size	_ZN7rocprim17ROCPRIM_400000_NS6detail17trampoline_kernelINS0_14default_configENS1_25partition_config_selectorILNS1_17partition_subalgoE8ElNS0_10empty_typeEbEEZZNS1_14partition_implILS5_8ELb0ES3_jPlPS6_PKS6_NS0_5tupleIJS9_S6_EEENSD_IJSA_SA_EEENS0_18inequality_wrapperIZN2at6native12_GLOBAL__N_124unique_dim_cuda_templateIfEESt5tupleIJNSH_6TensorESM_SM_EERKSM_lbbbEUlllE0_EEPmJS6_EEE10hipError_tPvRmT3_T4_T5_T6_T7_T9_mT8_P12ihipStream_tbDpT10_ENKUlT_T0_E_clISt17integral_constantIbLb1EES1B_IbLb0EEEEDaS17_S18_EUlS17_E_NS1_11comp_targetILNS1_3genE5ELNS1_11target_archE942ELNS1_3gpuE9ELNS1_3repE0EEENS1_30default_config_static_selectorELNS0_4arch9wavefront6targetE1EEEvT1_, .Lfunc_end953-_ZN7rocprim17ROCPRIM_400000_NS6detail17trampoline_kernelINS0_14default_configENS1_25partition_config_selectorILNS1_17partition_subalgoE8ElNS0_10empty_typeEbEEZZNS1_14partition_implILS5_8ELb0ES3_jPlPS6_PKS6_NS0_5tupleIJS9_S6_EEENSD_IJSA_SA_EEENS0_18inequality_wrapperIZN2at6native12_GLOBAL__N_124unique_dim_cuda_templateIfEESt5tupleIJNSH_6TensorESM_SM_EERKSM_lbbbEUlllE0_EEPmJS6_EEE10hipError_tPvRmT3_T4_T5_T6_T7_T9_mT8_P12ihipStream_tbDpT10_ENKUlT_T0_E_clISt17integral_constantIbLb1EES1B_IbLb0EEEEDaS17_S18_EUlS17_E_NS1_11comp_targetILNS1_3genE5ELNS1_11target_archE942ELNS1_3gpuE9ELNS1_3repE0EEENS1_30default_config_static_selectorELNS0_4arch9wavefront6targetE1EEEvT1_
                                        ; -- End function
	.section	.AMDGPU.csdata,"",@progbits
; Kernel info:
; codeLenInByte = 12916
; NumSgprs: 58
; NumVgprs: 52
; NumAgprs: 0
; TotalNumVgprs: 52
; ScratchSize: 0
; MemoryBound: 0
; FloatMode: 240
; IeeeMode: 1
; LDSByteSize: 28684 bytes/workgroup (compile time only)
; SGPRBlocks: 7
; VGPRBlocks: 6
; NumSGPRsForWavesPerEU: 58
; NumVGPRsForWavesPerEU: 52
; AccumOffset: 52
; Occupancy: 4
; WaveLimiterHint : 1
; COMPUTE_PGM_RSRC2:SCRATCH_EN: 0
; COMPUTE_PGM_RSRC2:USER_SGPR: 2
; COMPUTE_PGM_RSRC2:TRAP_HANDLER: 0
; COMPUTE_PGM_RSRC2:TGID_X_EN: 1
; COMPUTE_PGM_RSRC2:TGID_Y_EN: 0
; COMPUTE_PGM_RSRC2:TGID_Z_EN: 0
; COMPUTE_PGM_RSRC2:TIDIG_COMP_CNT: 0
; COMPUTE_PGM_RSRC3_GFX90A:ACCUM_OFFSET: 12
; COMPUTE_PGM_RSRC3_GFX90A:TG_SPLIT: 0
	.section	.text._ZN7rocprim17ROCPRIM_400000_NS6detail17trampoline_kernelINS0_14default_configENS1_25partition_config_selectorILNS1_17partition_subalgoE8ElNS0_10empty_typeEbEEZZNS1_14partition_implILS5_8ELb0ES3_jPlPS6_PKS6_NS0_5tupleIJS9_S6_EEENSD_IJSA_SA_EEENS0_18inequality_wrapperIZN2at6native12_GLOBAL__N_124unique_dim_cuda_templateIfEESt5tupleIJNSH_6TensorESM_SM_EERKSM_lbbbEUlllE0_EEPmJS6_EEE10hipError_tPvRmT3_T4_T5_T6_T7_T9_mT8_P12ihipStream_tbDpT10_ENKUlT_T0_E_clISt17integral_constantIbLb1EES1B_IbLb0EEEEDaS17_S18_EUlS17_E_NS1_11comp_targetILNS1_3genE4ELNS1_11target_archE910ELNS1_3gpuE8ELNS1_3repE0EEENS1_30default_config_static_selectorELNS0_4arch9wavefront6targetE1EEEvT1_,"axG",@progbits,_ZN7rocprim17ROCPRIM_400000_NS6detail17trampoline_kernelINS0_14default_configENS1_25partition_config_selectorILNS1_17partition_subalgoE8ElNS0_10empty_typeEbEEZZNS1_14partition_implILS5_8ELb0ES3_jPlPS6_PKS6_NS0_5tupleIJS9_S6_EEENSD_IJSA_SA_EEENS0_18inequality_wrapperIZN2at6native12_GLOBAL__N_124unique_dim_cuda_templateIfEESt5tupleIJNSH_6TensorESM_SM_EERKSM_lbbbEUlllE0_EEPmJS6_EEE10hipError_tPvRmT3_T4_T5_T6_T7_T9_mT8_P12ihipStream_tbDpT10_ENKUlT_T0_E_clISt17integral_constantIbLb1EES1B_IbLb0EEEEDaS17_S18_EUlS17_E_NS1_11comp_targetILNS1_3genE4ELNS1_11target_archE910ELNS1_3gpuE8ELNS1_3repE0EEENS1_30default_config_static_selectorELNS0_4arch9wavefront6targetE1EEEvT1_,comdat
	.globl	_ZN7rocprim17ROCPRIM_400000_NS6detail17trampoline_kernelINS0_14default_configENS1_25partition_config_selectorILNS1_17partition_subalgoE8ElNS0_10empty_typeEbEEZZNS1_14partition_implILS5_8ELb0ES3_jPlPS6_PKS6_NS0_5tupleIJS9_S6_EEENSD_IJSA_SA_EEENS0_18inequality_wrapperIZN2at6native12_GLOBAL__N_124unique_dim_cuda_templateIfEESt5tupleIJNSH_6TensorESM_SM_EERKSM_lbbbEUlllE0_EEPmJS6_EEE10hipError_tPvRmT3_T4_T5_T6_T7_T9_mT8_P12ihipStream_tbDpT10_ENKUlT_T0_E_clISt17integral_constantIbLb1EES1B_IbLb0EEEEDaS17_S18_EUlS17_E_NS1_11comp_targetILNS1_3genE4ELNS1_11target_archE910ELNS1_3gpuE8ELNS1_3repE0EEENS1_30default_config_static_selectorELNS0_4arch9wavefront6targetE1EEEvT1_ ; -- Begin function _ZN7rocprim17ROCPRIM_400000_NS6detail17trampoline_kernelINS0_14default_configENS1_25partition_config_selectorILNS1_17partition_subalgoE8ElNS0_10empty_typeEbEEZZNS1_14partition_implILS5_8ELb0ES3_jPlPS6_PKS6_NS0_5tupleIJS9_S6_EEENSD_IJSA_SA_EEENS0_18inequality_wrapperIZN2at6native12_GLOBAL__N_124unique_dim_cuda_templateIfEESt5tupleIJNSH_6TensorESM_SM_EERKSM_lbbbEUlllE0_EEPmJS6_EEE10hipError_tPvRmT3_T4_T5_T6_T7_T9_mT8_P12ihipStream_tbDpT10_ENKUlT_T0_E_clISt17integral_constantIbLb1EES1B_IbLb0EEEEDaS17_S18_EUlS17_E_NS1_11comp_targetILNS1_3genE4ELNS1_11target_archE910ELNS1_3gpuE8ELNS1_3repE0EEENS1_30default_config_static_selectorELNS0_4arch9wavefront6targetE1EEEvT1_
	.p2align	8
	.type	_ZN7rocprim17ROCPRIM_400000_NS6detail17trampoline_kernelINS0_14default_configENS1_25partition_config_selectorILNS1_17partition_subalgoE8ElNS0_10empty_typeEbEEZZNS1_14partition_implILS5_8ELb0ES3_jPlPS6_PKS6_NS0_5tupleIJS9_S6_EEENSD_IJSA_SA_EEENS0_18inequality_wrapperIZN2at6native12_GLOBAL__N_124unique_dim_cuda_templateIfEESt5tupleIJNSH_6TensorESM_SM_EERKSM_lbbbEUlllE0_EEPmJS6_EEE10hipError_tPvRmT3_T4_T5_T6_T7_T9_mT8_P12ihipStream_tbDpT10_ENKUlT_T0_E_clISt17integral_constantIbLb1EES1B_IbLb0EEEEDaS17_S18_EUlS17_E_NS1_11comp_targetILNS1_3genE4ELNS1_11target_archE910ELNS1_3gpuE8ELNS1_3repE0EEENS1_30default_config_static_selectorELNS0_4arch9wavefront6targetE1EEEvT1_,@function
_ZN7rocprim17ROCPRIM_400000_NS6detail17trampoline_kernelINS0_14default_configENS1_25partition_config_selectorILNS1_17partition_subalgoE8ElNS0_10empty_typeEbEEZZNS1_14partition_implILS5_8ELb0ES3_jPlPS6_PKS6_NS0_5tupleIJS9_S6_EEENSD_IJSA_SA_EEENS0_18inequality_wrapperIZN2at6native12_GLOBAL__N_124unique_dim_cuda_templateIfEESt5tupleIJNSH_6TensorESM_SM_EERKSM_lbbbEUlllE0_EEPmJS6_EEE10hipError_tPvRmT3_T4_T5_T6_T7_T9_mT8_P12ihipStream_tbDpT10_ENKUlT_T0_E_clISt17integral_constantIbLb1EES1B_IbLb0EEEEDaS17_S18_EUlS17_E_NS1_11comp_targetILNS1_3genE4ELNS1_11target_archE910ELNS1_3gpuE8ELNS1_3repE0EEENS1_30default_config_static_selectorELNS0_4arch9wavefront6targetE1EEEvT1_: ; @_ZN7rocprim17ROCPRIM_400000_NS6detail17trampoline_kernelINS0_14default_configENS1_25partition_config_selectorILNS1_17partition_subalgoE8ElNS0_10empty_typeEbEEZZNS1_14partition_implILS5_8ELb0ES3_jPlPS6_PKS6_NS0_5tupleIJS9_S6_EEENSD_IJSA_SA_EEENS0_18inequality_wrapperIZN2at6native12_GLOBAL__N_124unique_dim_cuda_templateIfEESt5tupleIJNSH_6TensorESM_SM_EERKSM_lbbbEUlllE0_EEPmJS6_EEE10hipError_tPvRmT3_T4_T5_T6_T7_T9_mT8_P12ihipStream_tbDpT10_ENKUlT_T0_E_clISt17integral_constantIbLb1EES1B_IbLb0EEEEDaS17_S18_EUlS17_E_NS1_11comp_targetILNS1_3genE4ELNS1_11target_archE910ELNS1_3gpuE8ELNS1_3repE0EEENS1_30default_config_static_selectorELNS0_4arch9wavefront6targetE1EEEvT1_
; %bb.0:
	.section	.rodata,"a",@progbits
	.p2align	6, 0x0
	.amdhsa_kernel _ZN7rocprim17ROCPRIM_400000_NS6detail17trampoline_kernelINS0_14default_configENS1_25partition_config_selectorILNS1_17partition_subalgoE8ElNS0_10empty_typeEbEEZZNS1_14partition_implILS5_8ELb0ES3_jPlPS6_PKS6_NS0_5tupleIJS9_S6_EEENSD_IJSA_SA_EEENS0_18inequality_wrapperIZN2at6native12_GLOBAL__N_124unique_dim_cuda_templateIfEESt5tupleIJNSH_6TensorESM_SM_EERKSM_lbbbEUlllE0_EEPmJS6_EEE10hipError_tPvRmT3_T4_T5_T6_T7_T9_mT8_P12ihipStream_tbDpT10_ENKUlT_T0_E_clISt17integral_constantIbLb1EES1B_IbLb0EEEEDaS17_S18_EUlS17_E_NS1_11comp_targetILNS1_3genE4ELNS1_11target_archE910ELNS1_3gpuE8ELNS1_3repE0EEENS1_30default_config_static_selectorELNS0_4arch9wavefront6targetE1EEEvT1_
		.amdhsa_group_segment_fixed_size 0
		.amdhsa_private_segment_fixed_size 0
		.amdhsa_kernarg_size 120
		.amdhsa_user_sgpr_count 2
		.amdhsa_user_sgpr_dispatch_ptr 0
		.amdhsa_user_sgpr_queue_ptr 0
		.amdhsa_user_sgpr_kernarg_segment_ptr 1
		.amdhsa_user_sgpr_dispatch_id 0
		.amdhsa_user_sgpr_kernarg_preload_length 0
		.amdhsa_user_sgpr_kernarg_preload_offset 0
		.amdhsa_user_sgpr_private_segment_size 0
		.amdhsa_uses_dynamic_stack 0
		.amdhsa_enable_private_segment 0
		.amdhsa_system_sgpr_workgroup_id_x 1
		.amdhsa_system_sgpr_workgroup_id_y 0
		.amdhsa_system_sgpr_workgroup_id_z 0
		.amdhsa_system_sgpr_workgroup_info 0
		.amdhsa_system_vgpr_workitem_id 0
		.amdhsa_next_free_vgpr 1
		.amdhsa_next_free_sgpr 0
		.amdhsa_accum_offset 4
		.amdhsa_reserve_vcc 0
		.amdhsa_float_round_mode_32 0
		.amdhsa_float_round_mode_16_64 0
		.amdhsa_float_denorm_mode_32 3
		.amdhsa_float_denorm_mode_16_64 3
		.amdhsa_dx10_clamp 1
		.amdhsa_ieee_mode 1
		.amdhsa_fp16_overflow 0
		.amdhsa_tg_split 0
		.amdhsa_exception_fp_ieee_invalid_op 0
		.amdhsa_exception_fp_denorm_src 0
		.amdhsa_exception_fp_ieee_div_zero 0
		.amdhsa_exception_fp_ieee_overflow 0
		.amdhsa_exception_fp_ieee_underflow 0
		.amdhsa_exception_fp_ieee_inexact 0
		.amdhsa_exception_int_div_zero 0
	.end_amdhsa_kernel
	.section	.text._ZN7rocprim17ROCPRIM_400000_NS6detail17trampoline_kernelINS0_14default_configENS1_25partition_config_selectorILNS1_17partition_subalgoE8ElNS0_10empty_typeEbEEZZNS1_14partition_implILS5_8ELb0ES3_jPlPS6_PKS6_NS0_5tupleIJS9_S6_EEENSD_IJSA_SA_EEENS0_18inequality_wrapperIZN2at6native12_GLOBAL__N_124unique_dim_cuda_templateIfEESt5tupleIJNSH_6TensorESM_SM_EERKSM_lbbbEUlllE0_EEPmJS6_EEE10hipError_tPvRmT3_T4_T5_T6_T7_T9_mT8_P12ihipStream_tbDpT10_ENKUlT_T0_E_clISt17integral_constantIbLb1EES1B_IbLb0EEEEDaS17_S18_EUlS17_E_NS1_11comp_targetILNS1_3genE4ELNS1_11target_archE910ELNS1_3gpuE8ELNS1_3repE0EEENS1_30default_config_static_selectorELNS0_4arch9wavefront6targetE1EEEvT1_,"axG",@progbits,_ZN7rocprim17ROCPRIM_400000_NS6detail17trampoline_kernelINS0_14default_configENS1_25partition_config_selectorILNS1_17partition_subalgoE8ElNS0_10empty_typeEbEEZZNS1_14partition_implILS5_8ELb0ES3_jPlPS6_PKS6_NS0_5tupleIJS9_S6_EEENSD_IJSA_SA_EEENS0_18inequality_wrapperIZN2at6native12_GLOBAL__N_124unique_dim_cuda_templateIfEESt5tupleIJNSH_6TensorESM_SM_EERKSM_lbbbEUlllE0_EEPmJS6_EEE10hipError_tPvRmT3_T4_T5_T6_T7_T9_mT8_P12ihipStream_tbDpT10_ENKUlT_T0_E_clISt17integral_constantIbLb1EES1B_IbLb0EEEEDaS17_S18_EUlS17_E_NS1_11comp_targetILNS1_3genE4ELNS1_11target_archE910ELNS1_3gpuE8ELNS1_3repE0EEENS1_30default_config_static_selectorELNS0_4arch9wavefront6targetE1EEEvT1_,comdat
.Lfunc_end954:
	.size	_ZN7rocprim17ROCPRIM_400000_NS6detail17trampoline_kernelINS0_14default_configENS1_25partition_config_selectorILNS1_17partition_subalgoE8ElNS0_10empty_typeEbEEZZNS1_14partition_implILS5_8ELb0ES3_jPlPS6_PKS6_NS0_5tupleIJS9_S6_EEENSD_IJSA_SA_EEENS0_18inequality_wrapperIZN2at6native12_GLOBAL__N_124unique_dim_cuda_templateIfEESt5tupleIJNSH_6TensorESM_SM_EERKSM_lbbbEUlllE0_EEPmJS6_EEE10hipError_tPvRmT3_T4_T5_T6_T7_T9_mT8_P12ihipStream_tbDpT10_ENKUlT_T0_E_clISt17integral_constantIbLb1EES1B_IbLb0EEEEDaS17_S18_EUlS17_E_NS1_11comp_targetILNS1_3genE4ELNS1_11target_archE910ELNS1_3gpuE8ELNS1_3repE0EEENS1_30default_config_static_selectorELNS0_4arch9wavefront6targetE1EEEvT1_, .Lfunc_end954-_ZN7rocprim17ROCPRIM_400000_NS6detail17trampoline_kernelINS0_14default_configENS1_25partition_config_selectorILNS1_17partition_subalgoE8ElNS0_10empty_typeEbEEZZNS1_14partition_implILS5_8ELb0ES3_jPlPS6_PKS6_NS0_5tupleIJS9_S6_EEENSD_IJSA_SA_EEENS0_18inequality_wrapperIZN2at6native12_GLOBAL__N_124unique_dim_cuda_templateIfEESt5tupleIJNSH_6TensorESM_SM_EERKSM_lbbbEUlllE0_EEPmJS6_EEE10hipError_tPvRmT3_T4_T5_T6_T7_T9_mT8_P12ihipStream_tbDpT10_ENKUlT_T0_E_clISt17integral_constantIbLb1EES1B_IbLb0EEEEDaS17_S18_EUlS17_E_NS1_11comp_targetILNS1_3genE4ELNS1_11target_archE910ELNS1_3gpuE8ELNS1_3repE0EEENS1_30default_config_static_selectorELNS0_4arch9wavefront6targetE1EEEvT1_
                                        ; -- End function
	.section	.AMDGPU.csdata,"",@progbits
; Kernel info:
; codeLenInByte = 0
; NumSgprs: 6
; NumVgprs: 0
; NumAgprs: 0
; TotalNumVgprs: 0
; ScratchSize: 0
; MemoryBound: 0
; FloatMode: 240
; IeeeMode: 1
; LDSByteSize: 0 bytes/workgroup (compile time only)
; SGPRBlocks: 0
; VGPRBlocks: 0
; NumSGPRsForWavesPerEU: 6
; NumVGPRsForWavesPerEU: 1
; AccumOffset: 4
; Occupancy: 8
; WaveLimiterHint : 0
; COMPUTE_PGM_RSRC2:SCRATCH_EN: 0
; COMPUTE_PGM_RSRC2:USER_SGPR: 2
; COMPUTE_PGM_RSRC2:TRAP_HANDLER: 0
; COMPUTE_PGM_RSRC2:TGID_X_EN: 1
; COMPUTE_PGM_RSRC2:TGID_Y_EN: 0
; COMPUTE_PGM_RSRC2:TGID_Z_EN: 0
; COMPUTE_PGM_RSRC2:TIDIG_COMP_CNT: 0
; COMPUTE_PGM_RSRC3_GFX90A:ACCUM_OFFSET: 0
; COMPUTE_PGM_RSRC3_GFX90A:TG_SPLIT: 0
	.section	.text._ZN7rocprim17ROCPRIM_400000_NS6detail17trampoline_kernelINS0_14default_configENS1_25partition_config_selectorILNS1_17partition_subalgoE8ElNS0_10empty_typeEbEEZZNS1_14partition_implILS5_8ELb0ES3_jPlPS6_PKS6_NS0_5tupleIJS9_S6_EEENSD_IJSA_SA_EEENS0_18inequality_wrapperIZN2at6native12_GLOBAL__N_124unique_dim_cuda_templateIfEESt5tupleIJNSH_6TensorESM_SM_EERKSM_lbbbEUlllE0_EEPmJS6_EEE10hipError_tPvRmT3_T4_T5_T6_T7_T9_mT8_P12ihipStream_tbDpT10_ENKUlT_T0_E_clISt17integral_constantIbLb1EES1B_IbLb0EEEEDaS17_S18_EUlS17_E_NS1_11comp_targetILNS1_3genE3ELNS1_11target_archE908ELNS1_3gpuE7ELNS1_3repE0EEENS1_30default_config_static_selectorELNS0_4arch9wavefront6targetE1EEEvT1_,"axG",@progbits,_ZN7rocprim17ROCPRIM_400000_NS6detail17trampoline_kernelINS0_14default_configENS1_25partition_config_selectorILNS1_17partition_subalgoE8ElNS0_10empty_typeEbEEZZNS1_14partition_implILS5_8ELb0ES3_jPlPS6_PKS6_NS0_5tupleIJS9_S6_EEENSD_IJSA_SA_EEENS0_18inequality_wrapperIZN2at6native12_GLOBAL__N_124unique_dim_cuda_templateIfEESt5tupleIJNSH_6TensorESM_SM_EERKSM_lbbbEUlllE0_EEPmJS6_EEE10hipError_tPvRmT3_T4_T5_T6_T7_T9_mT8_P12ihipStream_tbDpT10_ENKUlT_T0_E_clISt17integral_constantIbLb1EES1B_IbLb0EEEEDaS17_S18_EUlS17_E_NS1_11comp_targetILNS1_3genE3ELNS1_11target_archE908ELNS1_3gpuE7ELNS1_3repE0EEENS1_30default_config_static_selectorELNS0_4arch9wavefront6targetE1EEEvT1_,comdat
	.globl	_ZN7rocprim17ROCPRIM_400000_NS6detail17trampoline_kernelINS0_14default_configENS1_25partition_config_selectorILNS1_17partition_subalgoE8ElNS0_10empty_typeEbEEZZNS1_14partition_implILS5_8ELb0ES3_jPlPS6_PKS6_NS0_5tupleIJS9_S6_EEENSD_IJSA_SA_EEENS0_18inequality_wrapperIZN2at6native12_GLOBAL__N_124unique_dim_cuda_templateIfEESt5tupleIJNSH_6TensorESM_SM_EERKSM_lbbbEUlllE0_EEPmJS6_EEE10hipError_tPvRmT3_T4_T5_T6_T7_T9_mT8_P12ihipStream_tbDpT10_ENKUlT_T0_E_clISt17integral_constantIbLb1EES1B_IbLb0EEEEDaS17_S18_EUlS17_E_NS1_11comp_targetILNS1_3genE3ELNS1_11target_archE908ELNS1_3gpuE7ELNS1_3repE0EEENS1_30default_config_static_selectorELNS0_4arch9wavefront6targetE1EEEvT1_ ; -- Begin function _ZN7rocprim17ROCPRIM_400000_NS6detail17trampoline_kernelINS0_14default_configENS1_25partition_config_selectorILNS1_17partition_subalgoE8ElNS0_10empty_typeEbEEZZNS1_14partition_implILS5_8ELb0ES3_jPlPS6_PKS6_NS0_5tupleIJS9_S6_EEENSD_IJSA_SA_EEENS0_18inequality_wrapperIZN2at6native12_GLOBAL__N_124unique_dim_cuda_templateIfEESt5tupleIJNSH_6TensorESM_SM_EERKSM_lbbbEUlllE0_EEPmJS6_EEE10hipError_tPvRmT3_T4_T5_T6_T7_T9_mT8_P12ihipStream_tbDpT10_ENKUlT_T0_E_clISt17integral_constantIbLb1EES1B_IbLb0EEEEDaS17_S18_EUlS17_E_NS1_11comp_targetILNS1_3genE3ELNS1_11target_archE908ELNS1_3gpuE7ELNS1_3repE0EEENS1_30default_config_static_selectorELNS0_4arch9wavefront6targetE1EEEvT1_
	.p2align	8
	.type	_ZN7rocprim17ROCPRIM_400000_NS6detail17trampoline_kernelINS0_14default_configENS1_25partition_config_selectorILNS1_17partition_subalgoE8ElNS0_10empty_typeEbEEZZNS1_14partition_implILS5_8ELb0ES3_jPlPS6_PKS6_NS0_5tupleIJS9_S6_EEENSD_IJSA_SA_EEENS0_18inequality_wrapperIZN2at6native12_GLOBAL__N_124unique_dim_cuda_templateIfEESt5tupleIJNSH_6TensorESM_SM_EERKSM_lbbbEUlllE0_EEPmJS6_EEE10hipError_tPvRmT3_T4_T5_T6_T7_T9_mT8_P12ihipStream_tbDpT10_ENKUlT_T0_E_clISt17integral_constantIbLb1EES1B_IbLb0EEEEDaS17_S18_EUlS17_E_NS1_11comp_targetILNS1_3genE3ELNS1_11target_archE908ELNS1_3gpuE7ELNS1_3repE0EEENS1_30default_config_static_selectorELNS0_4arch9wavefront6targetE1EEEvT1_,@function
_ZN7rocprim17ROCPRIM_400000_NS6detail17trampoline_kernelINS0_14default_configENS1_25partition_config_selectorILNS1_17partition_subalgoE8ElNS0_10empty_typeEbEEZZNS1_14partition_implILS5_8ELb0ES3_jPlPS6_PKS6_NS0_5tupleIJS9_S6_EEENSD_IJSA_SA_EEENS0_18inequality_wrapperIZN2at6native12_GLOBAL__N_124unique_dim_cuda_templateIfEESt5tupleIJNSH_6TensorESM_SM_EERKSM_lbbbEUlllE0_EEPmJS6_EEE10hipError_tPvRmT3_T4_T5_T6_T7_T9_mT8_P12ihipStream_tbDpT10_ENKUlT_T0_E_clISt17integral_constantIbLb1EES1B_IbLb0EEEEDaS17_S18_EUlS17_E_NS1_11comp_targetILNS1_3genE3ELNS1_11target_archE908ELNS1_3gpuE7ELNS1_3repE0EEENS1_30default_config_static_selectorELNS0_4arch9wavefront6targetE1EEEvT1_: ; @_ZN7rocprim17ROCPRIM_400000_NS6detail17trampoline_kernelINS0_14default_configENS1_25partition_config_selectorILNS1_17partition_subalgoE8ElNS0_10empty_typeEbEEZZNS1_14partition_implILS5_8ELb0ES3_jPlPS6_PKS6_NS0_5tupleIJS9_S6_EEENSD_IJSA_SA_EEENS0_18inequality_wrapperIZN2at6native12_GLOBAL__N_124unique_dim_cuda_templateIfEESt5tupleIJNSH_6TensorESM_SM_EERKSM_lbbbEUlllE0_EEPmJS6_EEE10hipError_tPvRmT3_T4_T5_T6_T7_T9_mT8_P12ihipStream_tbDpT10_ENKUlT_T0_E_clISt17integral_constantIbLb1EES1B_IbLb0EEEEDaS17_S18_EUlS17_E_NS1_11comp_targetILNS1_3genE3ELNS1_11target_archE908ELNS1_3gpuE7ELNS1_3repE0EEENS1_30default_config_static_selectorELNS0_4arch9wavefront6targetE1EEEvT1_
; %bb.0:
	.section	.rodata,"a",@progbits
	.p2align	6, 0x0
	.amdhsa_kernel _ZN7rocprim17ROCPRIM_400000_NS6detail17trampoline_kernelINS0_14default_configENS1_25partition_config_selectorILNS1_17partition_subalgoE8ElNS0_10empty_typeEbEEZZNS1_14partition_implILS5_8ELb0ES3_jPlPS6_PKS6_NS0_5tupleIJS9_S6_EEENSD_IJSA_SA_EEENS0_18inequality_wrapperIZN2at6native12_GLOBAL__N_124unique_dim_cuda_templateIfEESt5tupleIJNSH_6TensorESM_SM_EERKSM_lbbbEUlllE0_EEPmJS6_EEE10hipError_tPvRmT3_T4_T5_T6_T7_T9_mT8_P12ihipStream_tbDpT10_ENKUlT_T0_E_clISt17integral_constantIbLb1EES1B_IbLb0EEEEDaS17_S18_EUlS17_E_NS1_11comp_targetILNS1_3genE3ELNS1_11target_archE908ELNS1_3gpuE7ELNS1_3repE0EEENS1_30default_config_static_selectorELNS0_4arch9wavefront6targetE1EEEvT1_
		.amdhsa_group_segment_fixed_size 0
		.amdhsa_private_segment_fixed_size 0
		.amdhsa_kernarg_size 120
		.amdhsa_user_sgpr_count 2
		.amdhsa_user_sgpr_dispatch_ptr 0
		.amdhsa_user_sgpr_queue_ptr 0
		.amdhsa_user_sgpr_kernarg_segment_ptr 1
		.amdhsa_user_sgpr_dispatch_id 0
		.amdhsa_user_sgpr_kernarg_preload_length 0
		.amdhsa_user_sgpr_kernarg_preload_offset 0
		.amdhsa_user_sgpr_private_segment_size 0
		.amdhsa_uses_dynamic_stack 0
		.amdhsa_enable_private_segment 0
		.amdhsa_system_sgpr_workgroup_id_x 1
		.amdhsa_system_sgpr_workgroup_id_y 0
		.amdhsa_system_sgpr_workgroup_id_z 0
		.amdhsa_system_sgpr_workgroup_info 0
		.amdhsa_system_vgpr_workitem_id 0
		.amdhsa_next_free_vgpr 1
		.amdhsa_next_free_sgpr 0
		.amdhsa_accum_offset 4
		.amdhsa_reserve_vcc 0
		.amdhsa_float_round_mode_32 0
		.amdhsa_float_round_mode_16_64 0
		.amdhsa_float_denorm_mode_32 3
		.amdhsa_float_denorm_mode_16_64 3
		.amdhsa_dx10_clamp 1
		.amdhsa_ieee_mode 1
		.amdhsa_fp16_overflow 0
		.amdhsa_tg_split 0
		.amdhsa_exception_fp_ieee_invalid_op 0
		.amdhsa_exception_fp_denorm_src 0
		.amdhsa_exception_fp_ieee_div_zero 0
		.amdhsa_exception_fp_ieee_overflow 0
		.amdhsa_exception_fp_ieee_underflow 0
		.amdhsa_exception_fp_ieee_inexact 0
		.amdhsa_exception_int_div_zero 0
	.end_amdhsa_kernel
	.section	.text._ZN7rocprim17ROCPRIM_400000_NS6detail17trampoline_kernelINS0_14default_configENS1_25partition_config_selectorILNS1_17partition_subalgoE8ElNS0_10empty_typeEbEEZZNS1_14partition_implILS5_8ELb0ES3_jPlPS6_PKS6_NS0_5tupleIJS9_S6_EEENSD_IJSA_SA_EEENS0_18inequality_wrapperIZN2at6native12_GLOBAL__N_124unique_dim_cuda_templateIfEESt5tupleIJNSH_6TensorESM_SM_EERKSM_lbbbEUlllE0_EEPmJS6_EEE10hipError_tPvRmT3_T4_T5_T6_T7_T9_mT8_P12ihipStream_tbDpT10_ENKUlT_T0_E_clISt17integral_constantIbLb1EES1B_IbLb0EEEEDaS17_S18_EUlS17_E_NS1_11comp_targetILNS1_3genE3ELNS1_11target_archE908ELNS1_3gpuE7ELNS1_3repE0EEENS1_30default_config_static_selectorELNS0_4arch9wavefront6targetE1EEEvT1_,"axG",@progbits,_ZN7rocprim17ROCPRIM_400000_NS6detail17trampoline_kernelINS0_14default_configENS1_25partition_config_selectorILNS1_17partition_subalgoE8ElNS0_10empty_typeEbEEZZNS1_14partition_implILS5_8ELb0ES3_jPlPS6_PKS6_NS0_5tupleIJS9_S6_EEENSD_IJSA_SA_EEENS0_18inequality_wrapperIZN2at6native12_GLOBAL__N_124unique_dim_cuda_templateIfEESt5tupleIJNSH_6TensorESM_SM_EERKSM_lbbbEUlllE0_EEPmJS6_EEE10hipError_tPvRmT3_T4_T5_T6_T7_T9_mT8_P12ihipStream_tbDpT10_ENKUlT_T0_E_clISt17integral_constantIbLb1EES1B_IbLb0EEEEDaS17_S18_EUlS17_E_NS1_11comp_targetILNS1_3genE3ELNS1_11target_archE908ELNS1_3gpuE7ELNS1_3repE0EEENS1_30default_config_static_selectorELNS0_4arch9wavefront6targetE1EEEvT1_,comdat
.Lfunc_end955:
	.size	_ZN7rocprim17ROCPRIM_400000_NS6detail17trampoline_kernelINS0_14default_configENS1_25partition_config_selectorILNS1_17partition_subalgoE8ElNS0_10empty_typeEbEEZZNS1_14partition_implILS5_8ELb0ES3_jPlPS6_PKS6_NS0_5tupleIJS9_S6_EEENSD_IJSA_SA_EEENS0_18inequality_wrapperIZN2at6native12_GLOBAL__N_124unique_dim_cuda_templateIfEESt5tupleIJNSH_6TensorESM_SM_EERKSM_lbbbEUlllE0_EEPmJS6_EEE10hipError_tPvRmT3_T4_T5_T6_T7_T9_mT8_P12ihipStream_tbDpT10_ENKUlT_T0_E_clISt17integral_constantIbLb1EES1B_IbLb0EEEEDaS17_S18_EUlS17_E_NS1_11comp_targetILNS1_3genE3ELNS1_11target_archE908ELNS1_3gpuE7ELNS1_3repE0EEENS1_30default_config_static_selectorELNS0_4arch9wavefront6targetE1EEEvT1_, .Lfunc_end955-_ZN7rocprim17ROCPRIM_400000_NS6detail17trampoline_kernelINS0_14default_configENS1_25partition_config_selectorILNS1_17partition_subalgoE8ElNS0_10empty_typeEbEEZZNS1_14partition_implILS5_8ELb0ES3_jPlPS6_PKS6_NS0_5tupleIJS9_S6_EEENSD_IJSA_SA_EEENS0_18inequality_wrapperIZN2at6native12_GLOBAL__N_124unique_dim_cuda_templateIfEESt5tupleIJNSH_6TensorESM_SM_EERKSM_lbbbEUlllE0_EEPmJS6_EEE10hipError_tPvRmT3_T4_T5_T6_T7_T9_mT8_P12ihipStream_tbDpT10_ENKUlT_T0_E_clISt17integral_constantIbLb1EES1B_IbLb0EEEEDaS17_S18_EUlS17_E_NS1_11comp_targetILNS1_3genE3ELNS1_11target_archE908ELNS1_3gpuE7ELNS1_3repE0EEENS1_30default_config_static_selectorELNS0_4arch9wavefront6targetE1EEEvT1_
                                        ; -- End function
	.section	.AMDGPU.csdata,"",@progbits
; Kernel info:
; codeLenInByte = 0
; NumSgprs: 6
; NumVgprs: 0
; NumAgprs: 0
; TotalNumVgprs: 0
; ScratchSize: 0
; MemoryBound: 0
; FloatMode: 240
; IeeeMode: 1
; LDSByteSize: 0 bytes/workgroup (compile time only)
; SGPRBlocks: 0
; VGPRBlocks: 0
; NumSGPRsForWavesPerEU: 6
; NumVGPRsForWavesPerEU: 1
; AccumOffset: 4
; Occupancy: 8
; WaveLimiterHint : 0
; COMPUTE_PGM_RSRC2:SCRATCH_EN: 0
; COMPUTE_PGM_RSRC2:USER_SGPR: 2
; COMPUTE_PGM_RSRC2:TRAP_HANDLER: 0
; COMPUTE_PGM_RSRC2:TGID_X_EN: 1
; COMPUTE_PGM_RSRC2:TGID_Y_EN: 0
; COMPUTE_PGM_RSRC2:TGID_Z_EN: 0
; COMPUTE_PGM_RSRC2:TIDIG_COMP_CNT: 0
; COMPUTE_PGM_RSRC3_GFX90A:ACCUM_OFFSET: 0
; COMPUTE_PGM_RSRC3_GFX90A:TG_SPLIT: 0
	.section	.text._ZN7rocprim17ROCPRIM_400000_NS6detail17trampoline_kernelINS0_14default_configENS1_25partition_config_selectorILNS1_17partition_subalgoE8ElNS0_10empty_typeEbEEZZNS1_14partition_implILS5_8ELb0ES3_jPlPS6_PKS6_NS0_5tupleIJS9_S6_EEENSD_IJSA_SA_EEENS0_18inequality_wrapperIZN2at6native12_GLOBAL__N_124unique_dim_cuda_templateIfEESt5tupleIJNSH_6TensorESM_SM_EERKSM_lbbbEUlllE0_EEPmJS6_EEE10hipError_tPvRmT3_T4_T5_T6_T7_T9_mT8_P12ihipStream_tbDpT10_ENKUlT_T0_E_clISt17integral_constantIbLb1EES1B_IbLb0EEEEDaS17_S18_EUlS17_E_NS1_11comp_targetILNS1_3genE2ELNS1_11target_archE906ELNS1_3gpuE6ELNS1_3repE0EEENS1_30default_config_static_selectorELNS0_4arch9wavefront6targetE1EEEvT1_,"axG",@progbits,_ZN7rocprim17ROCPRIM_400000_NS6detail17trampoline_kernelINS0_14default_configENS1_25partition_config_selectorILNS1_17partition_subalgoE8ElNS0_10empty_typeEbEEZZNS1_14partition_implILS5_8ELb0ES3_jPlPS6_PKS6_NS0_5tupleIJS9_S6_EEENSD_IJSA_SA_EEENS0_18inequality_wrapperIZN2at6native12_GLOBAL__N_124unique_dim_cuda_templateIfEESt5tupleIJNSH_6TensorESM_SM_EERKSM_lbbbEUlllE0_EEPmJS6_EEE10hipError_tPvRmT3_T4_T5_T6_T7_T9_mT8_P12ihipStream_tbDpT10_ENKUlT_T0_E_clISt17integral_constantIbLb1EES1B_IbLb0EEEEDaS17_S18_EUlS17_E_NS1_11comp_targetILNS1_3genE2ELNS1_11target_archE906ELNS1_3gpuE6ELNS1_3repE0EEENS1_30default_config_static_selectorELNS0_4arch9wavefront6targetE1EEEvT1_,comdat
	.globl	_ZN7rocprim17ROCPRIM_400000_NS6detail17trampoline_kernelINS0_14default_configENS1_25partition_config_selectorILNS1_17partition_subalgoE8ElNS0_10empty_typeEbEEZZNS1_14partition_implILS5_8ELb0ES3_jPlPS6_PKS6_NS0_5tupleIJS9_S6_EEENSD_IJSA_SA_EEENS0_18inequality_wrapperIZN2at6native12_GLOBAL__N_124unique_dim_cuda_templateIfEESt5tupleIJNSH_6TensorESM_SM_EERKSM_lbbbEUlllE0_EEPmJS6_EEE10hipError_tPvRmT3_T4_T5_T6_T7_T9_mT8_P12ihipStream_tbDpT10_ENKUlT_T0_E_clISt17integral_constantIbLb1EES1B_IbLb0EEEEDaS17_S18_EUlS17_E_NS1_11comp_targetILNS1_3genE2ELNS1_11target_archE906ELNS1_3gpuE6ELNS1_3repE0EEENS1_30default_config_static_selectorELNS0_4arch9wavefront6targetE1EEEvT1_ ; -- Begin function _ZN7rocprim17ROCPRIM_400000_NS6detail17trampoline_kernelINS0_14default_configENS1_25partition_config_selectorILNS1_17partition_subalgoE8ElNS0_10empty_typeEbEEZZNS1_14partition_implILS5_8ELb0ES3_jPlPS6_PKS6_NS0_5tupleIJS9_S6_EEENSD_IJSA_SA_EEENS0_18inequality_wrapperIZN2at6native12_GLOBAL__N_124unique_dim_cuda_templateIfEESt5tupleIJNSH_6TensorESM_SM_EERKSM_lbbbEUlllE0_EEPmJS6_EEE10hipError_tPvRmT3_T4_T5_T6_T7_T9_mT8_P12ihipStream_tbDpT10_ENKUlT_T0_E_clISt17integral_constantIbLb1EES1B_IbLb0EEEEDaS17_S18_EUlS17_E_NS1_11comp_targetILNS1_3genE2ELNS1_11target_archE906ELNS1_3gpuE6ELNS1_3repE0EEENS1_30default_config_static_selectorELNS0_4arch9wavefront6targetE1EEEvT1_
	.p2align	8
	.type	_ZN7rocprim17ROCPRIM_400000_NS6detail17trampoline_kernelINS0_14default_configENS1_25partition_config_selectorILNS1_17partition_subalgoE8ElNS0_10empty_typeEbEEZZNS1_14partition_implILS5_8ELb0ES3_jPlPS6_PKS6_NS0_5tupleIJS9_S6_EEENSD_IJSA_SA_EEENS0_18inequality_wrapperIZN2at6native12_GLOBAL__N_124unique_dim_cuda_templateIfEESt5tupleIJNSH_6TensorESM_SM_EERKSM_lbbbEUlllE0_EEPmJS6_EEE10hipError_tPvRmT3_T4_T5_T6_T7_T9_mT8_P12ihipStream_tbDpT10_ENKUlT_T0_E_clISt17integral_constantIbLb1EES1B_IbLb0EEEEDaS17_S18_EUlS17_E_NS1_11comp_targetILNS1_3genE2ELNS1_11target_archE906ELNS1_3gpuE6ELNS1_3repE0EEENS1_30default_config_static_selectorELNS0_4arch9wavefront6targetE1EEEvT1_,@function
_ZN7rocprim17ROCPRIM_400000_NS6detail17trampoline_kernelINS0_14default_configENS1_25partition_config_selectorILNS1_17partition_subalgoE8ElNS0_10empty_typeEbEEZZNS1_14partition_implILS5_8ELb0ES3_jPlPS6_PKS6_NS0_5tupleIJS9_S6_EEENSD_IJSA_SA_EEENS0_18inequality_wrapperIZN2at6native12_GLOBAL__N_124unique_dim_cuda_templateIfEESt5tupleIJNSH_6TensorESM_SM_EERKSM_lbbbEUlllE0_EEPmJS6_EEE10hipError_tPvRmT3_T4_T5_T6_T7_T9_mT8_P12ihipStream_tbDpT10_ENKUlT_T0_E_clISt17integral_constantIbLb1EES1B_IbLb0EEEEDaS17_S18_EUlS17_E_NS1_11comp_targetILNS1_3genE2ELNS1_11target_archE906ELNS1_3gpuE6ELNS1_3repE0EEENS1_30default_config_static_selectorELNS0_4arch9wavefront6targetE1EEEvT1_: ; @_ZN7rocprim17ROCPRIM_400000_NS6detail17trampoline_kernelINS0_14default_configENS1_25partition_config_selectorILNS1_17partition_subalgoE8ElNS0_10empty_typeEbEEZZNS1_14partition_implILS5_8ELb0ES3_jPlPS6_PKS6_NS0_5tupleIJS9_S6_EEENSD_IJSA_SA_EEENS0_18inequality_wrapperIZN2at6native12_GLOBAL__N_124unique_dim_cuda_templateIfEESt5tupleIJNSH_6TensorESM_SM_EERKSM_lbbbEUlllE0_EEPmJS6_EEE10hipError_tPvRmT3_T4_T5_T6_T7_T9_mT8_P12ihipStream_tbDpT10_ENKUlT_T0_E_clISt17integral_constantIbLb1EES1B_IbLb0EEEEDaS17_S18_EUlS17_E_NS1_11comp_targetILNS1_3genE2ELNS1_11target_archE906ELNS1_3gpuE6ELNS1_3repE0EEENS1_30default_config_static_selectorELNS0_4arch9wavefront6targetE1EEEvT1_
; %bb.0:
	.section	.rodata,"a",@progbits
	.p2align	6, 0x0
	.amdhsa_kernel _ZN7rocprim17ROCPRIM_400000_NS6detail17trampoline_kernelINS0_14default_configENS1_25partition_config_selectorILNS1_17partition_subalgoE8ElNS0_10empty_typeEbEEZZNS1_14partition_implILS5_8ELb0ES3_jPlPS6_PKS6_NS0_5tupleIJS9_S6_EEENSD_IJSA_SA_EEENS0_18inequality_wrapperIZN2at6native12_GLOBAL__N_124unique_dim_cuda_templateIfEESt5tupleIJNSH_6TensorESM_SM_EERKSM_lbbbEUlllE0_EEPmJS6_EEE10hipError_tPvRmT3_T4_T5_T6_T7_T9_mT8_P12ihipStream_tbDpT10_ENKUlT_T0_E_clISt17integral_constantIbLb1EES1B_IbLb0EEEEDaS17_S18_EUlS17_E_NS1_11comp_targetILNS1_3genE2ELNS1_11target_archE906ELNS1_3gpuE6ELNS1_3repE0EEENS1_30default_config_static_selectorELNS0_4arch9wavefront6targetE1EEEvT1_
		.amdhsa_group_segment_fixed_size 0
		.amdhsa_private_segment_fixed_size 0
		.amdhsa_kernarg_size 120
		.amdhsa_user_sgpr_count 2
		.amdhsa_user_sgpr_dispatch_ptr 0
		.amdhsa_user_sgpr_queue_ptr 0
		.amdhsa_user_sgpr_kernarg_segment_ptr 1
		.amdhsa_user_sgpr_dispatch_id 0
		.amdhsa_user_sgpr_kernarg_preload_length 0
		.amdhsa_user_sgpr_kernarg_preload_offset 0
		.amdhsa_user_sgpr_private_segment_size 0
		.amdhsa_uses_dynamic_stack 0
		.amdhsa_enable_private_segment 0
		.amdhsa_system_sgpr_workgroup_id_x 1
		.amdhsa_system_sgpr_workgroup_id_y 0
		.amdhsa_system_sgpr_workgroup_id_z 0
		.amdhsa_system_sgpr_workgroup_info 0
		.amdhsa_system_vgpr_workitem_id 0
		.amdhsa_next_free_vgpr 1
		.amdhsa_next_free_sgpr 0
		.amdhsa_accum_offset 4
		.amdhsa_reserve_vcc 0
		.amdhsa_float_round_mode_32 0
		.amdhsa_float_round_mode_16_64 0
		.amdhsa_float_denorm_mode_32 3
		.amdhsa_float_denorm_mode_16_64 3
		.amdhsa_dx10_clamp 1
		.amdhsa_ieee_mode 1
		.amdhsa_fp16_overflow 0
		.amdhsa_tg_split 0
		.amdhsa_exception_fp_ieee_invalid_op 0
		.amdhsa_exception_fp_denorm_src 0
		.amdhsa_exception_fp_ieee_div_zero 0
		.amdhsa_exception_fp_ieee_overflow 0
		.amdhsa_exception_fp_ieee_underflow 0
		.amdhsa_exception_fp_ieee_inexact 0
		.amdhsa_exception_int_div_zero 0
	.end_amdhsa_kernel
	.section	.text._ZN7rocprim17ROCPRIM_400000_NS6detail17trampoline_kernelINS0_14default_configENS1_25partition_config_selectorILNS1_17partition_subalgoE8ElNS0_10empty_typeEbEEZZNS1_14partition_implILS5_8ELb0ES3_jPlPS6_PKS6_NS0_5tupleIJS9_S6_EEENSD_IJSA_SA_EEENS0_18inequality_wrapperIZN2at6native12_GLOBAL__N_124unique_dim_cuda_templateIfEESt5tupleIJNSH_6TensorESM_SM_EERKSM_lbbbEUlllE0_EEPmJS6_EEE10hipError_tPvRmT3_T4_T5_T6_T7_T9_mT8_P12ihipStream_tbDpT10_ENKUlT_T0_E_clISt17integral_constantIbLb1EES1B_IbLb0EEEEDaS17_S18_EUlS17_E_NS1_11comp_targetILNS1_3genE2ELNS1_11target_archE906ELNS1_3gpuE6ELNS1_3repE0EEENS1_30default_config_static_selectorELNS0_4arch9wavefront6targetE1EEEvT1_,"axG",@progbits,_ZN7rocprim17ROCPRIM_400000_NS6detail17trampoline_kernelINS0_14default_configENS1_25partition_config_selectorILNS1_17partition_subalgoE8ElNS0_10empty_typeEbEEZZNS1_14partition_implILS5_8ELb0ES3_jPlPS6_PKS6_NS0_5tupleIJS9_S6_EEENSD_IJSA_SA_EEENS0_18inequality_wrapperIZN2at6native12_GLOBAL__N_124unique_dim_cuda_templateIfEESt5tupleIJNSH_6TensorESM_SM_EERKSM_lbbbEUlllE0_EEPmJS6_EEE10hipError_tPvRmT3_T4_T5_T6_T7_T9_mT8_P12ihipStream_tbDpT10_ENKUlT_T0_E_clISt17integral_constantIbLb1EES1B_IbLb0EEEEDaS17_S18_EUlS17_E_NS1_11comp_targetILNS1_3genE2ELNS1_11target_archE906ELNS1_3gpuE6ELNS1_3repE0EEENS1_30default_config_static_selectorELNS0_4arch9wavefront6targetE1EEEvT1_,comdat
.Lfunc_end956:
	.size	_ZN7rocprim17ROCPRIM_400000_NS6detail17trampoline_kernelINS0_14default_configENS1_25partition_config_selectorILNS1_17partition_subalgoE8ElNS0_10empty_typeEbEEZZNS1_14partition_implILS5_8ELb0ES3_jPlPS6_PKS6_NS0_5tupleIJS9_S6_EEENSD_IJSA_SA_EEENS0_18inequality_wrapperIZN2at6native12_GLOBAL__N_124unique_dim_cuda_templateIfEESt5tupleIJNSH_6TensorESM_SM_EERKSM_lbbbEUlllE0_EEPmJS6_EEE10hipError_tPvRmT3_T4_T5_T6_T7_T9_mT8_P12ihipStream_tbDpT10_ENKUlT_T0_E_clISt17integral_constantIbLb1EES1B_IbLb0EEEEDaS17_S18_EUlS17_E_NS1_11comp_targetILNS1_3genE2ELNS1_11target_archE906ELNS1_3gpuE6ELNS1_3repE0EEENS1_30default_config_static_selectorELNS0_4arch9wavefront6targetE1EEEvT1_, .Lfunc_end956-_ZN7rocprim17ROCPRIM_400000_NS6detail17trampoline_kernelINS0_14default_configENS1_25partition_config_selectorILNS1_17partition_subalgoE8ElNS0_10empty_typeEbEEZZNS1_14partition_implILS5_8ELb0ES3_jPlPS6_PKS6_NS0_5tupleIJS9_S6_EEENSD_IJSA_SA_EEENS0_18inequality_wrapperIZN2at6native12_GLOBAL__N_124unique_dim_cuda_templateIfEESt5tupleIJNSH_6TensorESM_SM_EERKSM_lbbbEUlllE0_EEPmJS6_EEE10hipError_tPvRmT3_T4_T5_T6_T7_T9_mT8_P12ihipStream_tbDpT10_ENKUlT_T0_E_clISt17integral_constantIbLb1EES1B_IbLb0EEEEDaS17_S18_EUlS17_E_NS1_11comp_targetILNS1_3genE2ELNS1_11target_archE906ELNS1_3gpuE6ELNS1_3repE0EEENS1_30default_config_static_selectorELNS0_4arch9wavefront6targetE1EEEvT1_
                                        ; -- End function
	.section	.AMDGPU.csdata,"",@progbits
; Kernel info:
; codeLenInByte = 0
; NumSgprs: 6
; NumVgprs: 0
; NumAgprs: 0
; TotalNumVgprs: 0
; ScratchSize: 0
; MemoryBound: 0
; FloatMode: 240
; IeeeMode: 1
; LDSByteSize: 0 bytes/workgroup (compile time only)
; SGPRBlocks: 0
; VGPRBlocks: 0
; NumSGPRsForWavesPerEU: 6
; NumVGPRsForWavesPerEU: 1
; AccumOffset: 4
; Occupancy: 8
; WaveLimiterHint : 0
; COMPUTE_PGM_RSRC2:SCRATCH_EN: 0
; COMPUTE_PGM_RSRC2:USER_SGPR: 2
; COMPUTE_PGM_RSRC2:TRAP_HANDLER: 0
; COMPUTE_PGM_RSRC2:TGID_X_EN: 1
; COMPUTE_PGM_RSRC2:TGID_Y_EN: 0
; COMPUTE_PGM_RSRC2:TGID_Z_EN: 0
; COMPUTE_PGM_RSRC2:TIDIG_COMP_CNT: 0
; COMPUTE_PGM_RSRC3_GFX90A:ACCUM_OFFSET: 0
; COMPUTE_PGM_RSRC3_GFX90A:TG_SPLIT: 0
	.section	.text._ZN7rocprim17ROCPRIM_400000_NS6detail17trampoline_kernelINS0_14default_configENS1_25partition_config_selectorILNS1_17partition_subalgoE8ElNS0_10empty_typeEbEEZZNS1_14partition_implILS5_8ELb0ES3_jPlPS6_PKS6_NS0_5tupleIJS9_S6_EEENSD_IJSA_SA_EEENS0_18inequality_wrapperIZN2at6native12_GLOBAL__N_124unique_dim_cuda_templateIfEESt5tupleIJNSH_6TensorESM_SM_EERKSM_lbbbEUlllE0_EEPmJS6_EEE10hipError_tPvRmT3_T4_T5_T6_T7_T9_mT8_P12ihipStream_tbDpT10_ENKUlT_T0_E_clISt17integral_constantIbLb1EES1B_IbLb0EEEEDaS17_S18_EUlS17_E_NS1_11comp_targetILNS1_3genE10ELNS1_11target_archE1200ELNS1_3gpuE4ELNS1_3repE0EEENS1_30default_config_static_selectorELNS0_4arch9wavefront6targetE1EEEvT1_,"axG",@progbits,_ZN7rocprim17ROCPRIM_400000_NS6detail17trampoline_kernelINS0_14default_configENS1_25partition_config_selectorILNS1_17partition_subalgoE8ElNS0_10empty_typeEbEEZZNS1_14partition_implILS5_8ELb0ES3_jPlPS6_PKS6_NS0_5tupleIJS9_S6_EEENSD_IJSA_SA_EEENS0_18inequality_wrapperIZN2at6native12_GLOBAL__N_124unique_dim_cuda_templateIfEESt5tupleIJNSH_6TensorESM_SM_EERKSM_lbbbEUlllE0_EEPmJS6_EEE10hipError_tPvRmT3_T4_T5_T6_T7_T9_mT8_P12ihipStream_tbDpT10_ENKUlT_T0_E_clISt17integral_constantIbLb1EES1B_IbLb0EEEEDaS17_S18_EUlS17_E_NS1_11comp_targetILNS1_3genE10ELNS1_11target_archE1200ELNS1_3gpuE4ELNS1_3repE0EEENS1_30default_config_static_selectorELNS0_4arch9wavefront6targetE1EEEvT1_,comdat
	.globl	_ZN7rocprim17ROCPRIM_400000_NS6detail17trampoline_kernelINS0_14default_configENS1_25partition_config_selectorILNS1_17partition_subalgoE8ElNS0_10empty_typeEbEEZZNS1_14partition_implILS5_8ELb0ES3_jPlPS6_PKS6_NS0_5tupleIJS9_S6_EEENSD_IJSA_SA_EEENS0_18inequality_wrapperIZN2at6native12_GLOBAL__N_124unique_dim_cuda_templateIfEESt5tupleIJNSH_6TensorESM_SM_EERKSM_lbbbEUlllE0_EEPmJS6_EEE10hipError_tPvRmT3_T4_T5_T6_T7_T9_mT8_P12ihipStream_tbDpT10_ENKUlT_T0_E_clISt17integral_constantIbLb1EES1B_IbLb0EEEEDaS17_S18_EUlS17_E_NS1_11comp_targetILNS1_3genE10ELNS1_11target_archE1200ELNS1_3gpuE4ELNS1_3repE0EEENS1_30default_config_static_selectorELNS0_4arch9wavefront6targetE1EEEvT1_ ; -- Begin function _ZN7rocprim17ROCPRIM_400000_NS6detail17trampoline_kernelINS0_14default_configENS1_25partition_config_selectorILNS1_17partition_subalgoE8ElNS0_10empty_typeEbEEZZNS1_14partition_implILS5_8ELb0ES3_jPlPS6_PKS6_NS0_5tupleIJS9_S6_EEENSD_IJSA_SA_EEENS0_18inequality_wrapperIZN2at6native12_GLOBAL__N_124unique_dim_cuda_templateIfEESt5tupleIJNSH_6TensorESM_SM_EERKSM_lbbbEUlllE0_EEPmJS6_EEE10hipError_tPvRmT3_T4_T5_T6_T7_T9_mT8_P12ihipStream_tbDpT10_ENKUlT_T0_E_clISt17integral_constantIbLb1EES1B_IbLb0EEEEDaS17_S18_EUlS17_E_NS1_11comp_targetILNS1_3genE10ELNS1_11target_archE1200ELNS1_3gpuE4ELNS1_3repE0EEENS1_30default_config_static_selectorELNS0_4arch9wavefront6targetE1EEEvT1_
	.p2align	8
	.type	_ZN7rocprim17ROCPRIM_400000_NS6detail17trampoline_kernelINS0_14default_configENS1_25partition_config_selectorILNS1_17partition_subalgoE8ElNS0_10empty_typeEbEEZZNS1_14partition_implILS5_8ELb0ES3_jPlPS6_PKS6_NS0_5tupleIJS9_S6_EEENSD_IJSA_SA_EEENS0_18inequality_wrapperIZN2at6native12_GLOBAL__N_124unique_dim_cuda_templateIfEESt5tupleIJNSH_6TensorESM_SM_EERKSM_lbbbEUlllE0_EEPmJS6_EEE10hipError_tPvRmT3_T4_T5_T6_T7_T9_mT8_P12ihipStream_tbDpT10_ENKUlT_T0_E_clISt17integral_constantIbLb1EES1B_IbLb0EEEEDaS17_S18_EUlS17_E_NS1_11comp_targetILNS1_3genE10ELNS1_11target_archE1200ELNS1_3gpuE4ELNS1_3repE0EEENS1_30default_config_static_selectorELNS0_4arch9wavefront6targetE1EEEvT1_,@function
_ZN7rocprim17ROCPRIM_400000_NS6detail17trampoline_kernelINS0_14default_configENS1_25partition_config_selectorILNS1_17partition_subalgoE8ElNS0_10empty_typeEbEEZZNS1_14partition_implILS5_8ELb0ES3_jPlPS6_PKS6_NS0_5tupleIJS9_S6_EEENSD_IJSA_SA_EEENS0_18inequality_wrapperIZN2at6native12_GLOBAL__N_124unique_dim_cuda_templateIfEESt5tupleIJNSH_6TensorESM_SM_EERKSM_lbbbEUlllE0_EEPmJS6_EEE10hipError_tPvRmT3_T4_T5_T6_T7_T9_mT8_P12ihipStream_tbDpT10_ENKUlT_T0_E_clISt17integral_constantIbLb1EES1B_IbLb0EEEEDaS17_S18_EUlS17_E_NS1_11comp_targetILNS1_3genE10ELNS1_11target_archE1200ELNS1_3gpuE4ELNS1_3repE0EEENS1_30default_config_static_selectorELNS0_4arch9wavefront6targetE1EEEvT1_: ; @_ZN7rocprim17ROCPRIM_400000_NS6detail17trampoline_kernelINS0_14default_configENS1_25partition_config_selectorILNS1_17partition_subalgoE8ElNS0_10empty_typeEbEEZZNS1_14partition_implILS5_8ELb0ES3_jPlPS6_PKS6_NS0_5tupleIJS9_S6_EEENSD_IJSA_SA_EEENS0_18inequality_wrapperIZN2at6native12_GLOBAL__N_124unique_dim_cuda_templateIfEESt5tupleIJNSH_6TensorESM_SM_EERKSM_lbbbEUlllE0_EEPmJS6_EEE10hipError_tPvRmT3_T4_T5_T6_T7_T9_mT8_P12ihipStream_tbDpT10_ENKUlT_T0_E_clISt17integral_constantIbLb1EES1B_IbLb0EEEEDaS17_S18_EUlS17_E_NS1_11comp_targetILNS1_3genE10ELNS1_11target_archE1200ELNS1_3gpuE4ELNS1_3repE0EEENS1_30default_config_static_selectorELNS0_4arch9wavefront6targetE1EEEvT1_
; %bb.0:
	.section	.rodata,"a",@progbits
	.p2align	6, 0x0
	.amdhsa_kernel _ZN7rocprim17ROCPRIM_400000_NS6detail17trampoline_kernelINS0_14default_configENS1_25partition_config_selectorILNS1_17partition_subalgoE8ElNS0_10empty_typeEbEEZZNS1_14partition_implILS5_8ELb0ES3_jPlPS6_PKS6_NS0_5tupleIJS9_S6_EEENSD_IJSA_SA_EEENS0_18inequality_wrapperIZN2at6native12_GLOBAL__N_124unique_dim_cuda_templateIfEESt5tupleIJNSH_6TensorESM_SM_EERKSM_lbbbEUlllE0_EEPmJS6_EEE10hipError_tPvRmT3_T4_T5_T6_T7_T9_mT8_P12ihipStream_tbDpT10_ENKUlT_T0_E_clISt17integral_constantIbLb1EES1B_IbLb0EEEEDaS17_S18_EUlS17_E_NS1_11comp_targetILNS1_3genE10ELNS1_11target_archE1200ELNS1_3gpuE4ELNS1_3repE0EEENS1_30default_config_static_selectorELNS0_4arch9wavefront6targetE1EEEvT1_
		.amdhsa_group_segment_fixed_size 0
		.amdhsa_private_segment_fixed_size 0
		.amdhsa_kernarg_size 120
		.amdhsa_user_sgpr_count 2
		.amdhsa_user_sgpr_dispatch_ptr 0
		.amdhsa_user_sgpr_queue_ptr 0
		.amdhsa_user_sgpr_kernarg_segment_ptr 1
		.amdhsa_user_sgpr_dispatch_id 0
		.amdhsa_user_sgpr_kernarg_preload_length 0
		.amdhsa_user_sgpr_kernarg_preload_offset 0
		.amdhsa_user_sgpr_private_segment_size 0
		.amdhsa_uses_dynamic_stack 0
		.amdhsa_enable_private_segment 0
		.amdhsa_system_sgpr_workgroup_id_x 1
		.amdhsa_system_sgpr_workgroup_id_y 0
		.amdhsa_system_sgpr_workgroup_id_z 0
		.amdhsa_system_sgpr_workgroup_info 0
		.amdhsa_system_vgpr_workitem_id 0
		.amdhsa_next_free_vgpr 1
		.amdhsa_next_free_sgpr 0
		.amdhsa_accum_offset 4
		.amdhsa_reserve_vcc 0
		.amdhsa_float_round_mode_32 0
		.amdhsa_float_round_mode_16_64 0
		.amdhsa_float_denorm_mode_32 3
		.amdhsa_float_denorm_mode_16_64 3
		.amdhsa_dx10_clamp 1
		.amdhsa_ieee_mode 1
		.amdhsa_fp16_overflow 0
		.amdhsa_tg_split 0
		.amdhsa_exception_fp_ieee_invalid_op 0
		.amdhsa_exception_fp_denorm_src 0
		.amdhsa_exception_fp_ieee_div_zero 0
		.amdhsa_exception_fp_ieee_overflow 0
		.amdhsa_exception_fp_ieee_underflow 0
		.amdhsa_exception_fp_ieee_inexact 0
		.amdhsa_exception_int_div_zero 0
	.end_amdhsa_kernel
	.section	.text._ZN7rocprim17ROCPRIM_400000_NS6detail17trampoline_kernelINS0_14default_configENS1_25partition_config_selectorILNS1_17partition_subalgoE8ElNS0_10empty_typeEbEEZZNS1_14partition_implILS5_8ELb0ES3_jPlPS6_PKS6_NS0_5tupleIJS9_S6_EEENSD_IJSA_SA_EEENS0_18inequality_wrapperIZN2at6native12_GLOBAL__N_124unique_dim_cuda_templateIfEESt5tupleIJNSH_6TensorESM_SM_EERKSM_lbbbEUlllE0_EEPmJS6_EEE10hipError_tPvRmT3_T4_T5_T6_T7_T9_mT8_P12ihipStream_tbDpT10_ENKUlT_T0_E_clISt17integral_constantIbLb1EES1B_IbLb0EEEEDaS17_S18_EUlS17_E_NS1_11comp_targetILNS1_3genE10ELNS1_11target_archE1200ELNS1_3gpuE4ELNS1_3repE0EEENS1_30default_config_static_selectorELNS0_4arch9wavefront6targetE1EEEvT1_,"axG",@progbits,_ZN7rocprim17ROCPRIM_400000_NS6detail17trampoline_kernelINS0_14default_configENS1_25partition_config_selectorILNS1_17partition_subalgoE8ElNS0_10empty_typeEbEEZZNS1_14partition_implILS5_8ELb0ES3_jPlPS6_PKS6_NS0_5tupleIJS9_S6_EEENSD_IJSA_SA_EEENS0_18inequality_wrapperIZN2at6native12_GLOBAL__N_124unique_dim_cuda_templateIfEESt5tupleIJNSH_6TensorESM_SM_EERKSM_lbbbEUlllE0_EEPmJS6_EEE10hipError_tPvRmT3_T4_T5_T6_T7_T9_mT8_P12ihipStream_tbDpT10_ENKUlT_T0_E_clISt17integral_constantIbLb1EES1B_IbLb0EEEEDaS17_S18_EUlS17_E_NS1_11comp_targetILNS1_3genE10ELNS1_11target_archE1200ELNS1_3gpuE4ELNS1_3repE0EEENS1_30default_config_static_selectorELNS0_4arch9wavefront6targetE1EEEvT1_,comdat
.Lfunc_end957:
	.size	_ZN7rocprim17ROCPRIM_400000_NS6detail17trampoline_kernelINS0_14default_configENS1_25partition_config_selectorILNS1_17partition_subalgoE8ElNS0_10empty_typeEbEEZZNS1_14partition_implILS5_8ELb0ES3_jPlPS6_PKS6_NS0_5tupleIJS9_S6_EEENSD_IJSA_SA_EEENS0_18inequality_wrapperIZN2at6native12_GLOBAL__N_124unique_dim_cuda_templateIfEESt5tupleIJNSH_6TensorESM_SM_EERKSM_lbbbEUlllE0_EEPmJS6_EEE10hipError_tPvRmT3_T4_T5_T6_T7_T9_mT8_P12ihipStream_tbDpT10_ENKUlT_T0_E_clISt17integral_constantIbLb1EES1B_IbLb0EEEEDaS17_S18_EUlS17_E_NS1_11comp_targetILNS1_3genE10ELNS1_11target_archE1200ELNS1_3gpuE4ELNS1_3repE0EEENS1_30default_config_static_selectorELNS0_4arch9wavefront6targetE1EEEvT1_, .Lfunc_end957-_ZN7rocprim17ROCPRIM_400000_NS6detail17trampoline_kernelINS0_14default_configENS1_25partition_config_selectorILNS1_17partition_subalgoE8ElNS0_10empty_typeEbEEZZNS1_14partition_implILS5_8ELb0ES3_jPlPS6_PKS6_NS0_5tupleIJS9_S6_EEENSD_IJSA_SA_EEENS0_18inequality_wrapperIZN2at6native12_GLOBAL__N_124unique_dim_cuda_templateIfEESt5tupleIJNSH_6TensorESM_SM_EERKSM_lbbbEUlllE0_EEPmJS6_EEE10hipError_tPvRmT3_T4_T5_T6_T7_T9_mT8_P12ihipStream_tbDpT10_ENKUlT_T0_E_clISt17integral_constantIbLb1EES1B_IbLb0EEEEDaS17_S18_EUlS17_E_NS1_11comp_targetILNS1_3genE10ELNS1_11target_archE1200ELNS1_3gpuE4ELNS1_3repE0EEENS1_30default_config_static_selectorELNS0_4arch9wavefront6targetE1EEEvT1_
                                        ; -- End function
	.section	.AMDGPU.csdata,"",@progbits
; Kernel info:
; codeLenInByte = 0
; NumSgprs: 6
; NumVgprs: 0
; NumAgprs: 0
; TotalNumVgprs: 0
; ScratchSize: 0
; MemoryBound: 0
; FloatMode: 240
; IeeeMode: 1
; LDSByteSize: 0 bytes/workgroup (compile time only)
; SGPRBlocks: 0
; VGPRBlocks: 0
; NumSGPRsForWavesPerEU: 6
; NumVGPRsForWavesPerEU: 1
; AccumOffset: 4
; Occupancy: 8
; WaveLimiterHint : 0
; COMPUTE_PGM_RSRC2:SCRATCH_EN: 0
; COMPUTE_PGM_RSRC2:USER_SGPR: 2
; COMPUTE_PGM_RSRC2:TRAP_HANDLER: 0
; COMPUTE_PGM_RSRC2:TGID_X_EN: 1
; COMPUTE_PGM_RSRC2:TGID_Y_EN: 0
; COMPUTE_PGM_RSRC2:TGID_Z_EN: 0
; COMPUTE_PGM_RSRC2:TIDIG_COMP_CNT: 0
; COMPUTE_PGM_RSRC3_GFX90A:ACCUM_OFFSET: 0
; COMPUTE_PGM_RSRC3_GFX90A:TG_SPLIT: 0
	.section	.text._ZN7rocprim17ROCPRIM_400000_NS6detail17trampoline_kernelINS0_14default_configENS1_25partition_config_selectorILNS1_17partition_subalgoE8ElNS0_10empty_typeEbEEZZNS1_14partition_implILS5_8ELb0ES3_jPlPS6_PKS6_NS0_5tupleIJS9_S6_EEENSD_IJSA_SA_EEENS0_18inequality_wrapperIZN2at6native12_GLOBAL__N_124unique_dim_cuda_templateIfEESt5tupleIJNSH_6TensorESM_SM_EERKSM_lbbbEUlllE0_EEPmJS6_EEE10hipError_tPvRmT3_T4_T5_T6_T7_T9_mT8_P12ihipStream_tbDpT10_ENKUlT_T0_E_clISt17integral_constantIbLb1EES1B_IbLb0EEEEDaS17_S18_EUlS17_E_NS1_11comp_targetILNS1_3genE9ELNS1_11target_archE1100ELNS1_3gpuE3ELNS1_3repE0EEENS1_30default_config_static_selectorELNS0_4arch9wavefront6targetE1EEEvT1_,"axG",@progbits,_ZN7rocprim17ROCPRIM_400000_NS6detail17trampoline_kernelINS0_14default_configENS1_25partition_config_selectorILNS1_17partition_subalgoE8ElNS0_10empty_typeEbEEZZNS1_14partition_implILS5_8ELb0ES3_jPlPS6_PKS6_NS0_5tupleIJS9_S6_EEENSD_IJSA_SA_EEENS0_18inequality_wrapperIZN2at6native12_GLOBAL__N_124unique_dim_cuda_templateIfEESt5tupleIJNSH_6TensorESM_SM_EERKSM_lbbbEUlllE0_EEPmJS6_EEE10hipError_tPvRmT3_T4_T5_T6_T7_T9_mT8_P12ihipStream_tbDpT10_ENKUlT_T0_E_clISt17integral_constantIbLb1EES1B_IbLb0EEEEDaS17_S18_EUlS17_E_NS1_11comp_targetILNS1_3genE9ELNS1_11target_archE1100ELNS1_3gpuE3ELNS1_3repE0EEENS1_30default_config_static_selectorELNS0_4arch9wavefront6targetE1EEEvT1_,comdat
	.globl	_ZN7rocprim17ROCPRIM_400000_NS6detail17trampoline_kernelINS0_14default_configENS1_25partition_config_selectorILNS1_17partition_subalgoE8ElNS0_10empty_typeEbEEZZNS1_14partition_implILS5_8ELb0ES3_jPlPS6_PKS6_NS0_5tupleIJS9_S6_EEENSD_IJSA_SA_EEENS0_18inequality_wrapperIZN2at6native12_GLOBAL__N_124unique_dim_cuda_templateIfEESt5tupleIJNSH_6TensorESM_SM_EERKSM_lbbbEUlllE0_EEPmJS6_EEE10hipError_tPvRmT3_T4_T5_T6_T7_T9_mT8_P12ihipStream_tbDpT10_ENKUlT_T0_E_clISt17integral_constantIbLb1EES1B_IbLb0EEEEDaS17_S18_EUlS17_E_NS1_11comp_targetILNS1_3genE9ELNS1_11target_archE1100ELNS1_3gpuE3ELNS1_3repE0EEENS1_30default_config_static_selectorELNS0_4arch9wavefront6targetE1EEEvT1_ ; -- Begin function _ZN7rocprim17ROCPRIM_400000_NS6detail17trampoline_kernelINS0_14default_configENS1_25partition_config_selectorILNS1_17partition_subalgoE8ElNS0_10empty_typeEbEEZZNS1_14partition_implILS5_8ELb0ES3_jPlPS6_PKS6_NS0_5tupleIJS9_S6_EEENSD_IJSA_SA_EEENS0_18inequality_wrapperIZN2at6native12_GLOBAL__N_124unique_dim_cuda_templateIfEESt5tupleIJNSH_6TensorESM_SM_EERKSM_lbbbEUlllE0_EEPmJS6_EEE10hipError_tPvRmT3_T4_T5_T6_T7_T9_mT8_P12ihipStream_tbDpT10_ENKUlT_T0_E_clISt17integral_constantIbLb1EES1B_IbLb0EEEEDaS17_S18_EUlS17_E_NS1_11comp_targetILNS1_3genE9ELNS1_11target_archE1100ELNS1_3gpuE3ELNS1_3repE0EEENS1_30default_config_static_selectorELNS0_4arch9wavefront6targetE1EEEvT1_
	.p2align	8
	.type	_ZN7rocprim17ROCPRIM_400000_NS6detail17trampoline_kernelINS0_14default_configENS1_25partition_config_selectorILNS1_17partition_subalgoE8ElNS0_10empty_typeEbEEZZNS1_14partition_implILS5_8ELb0ES3_jPlPS6_PKS6_NS0_5tupleIJS9_S6_EEENSD_IJSA_SA_EEENS0_18inequality_wrapperIZN2at6native12_GLOBAL__N_124unique_dim_cuda_templateIfEESt5tupleIJNSH_6TensorESM_SM_EERKSM_lbbbEUlllE0_EEPmJS6_EEE10hipError_tPvRmT3_T4_T5_T6_T7_T9_mT8_P12ihipStream_tbDpT10_ENKUlT_T0_E_clISt17integral_constantIbLb1EES1B_IbLb0EEEEDaS17_S18_EUlS17_E_NS1_11comp_targetILNS1_3genE9ELNS1_11target_archE1100ELNS1_3gpuE3ELNS1_3repE0EEENS1_30default_config_static_selectorELNS0_4arch9wavefront6targetE1EEEvT1_,@function
_ZN7rocprim17ROCPRIM_400000_NS6detail17trampoline_kernelINS0_14default_configENS1_25partition_config_selectorILNS1_17partition_subalgoE8ElNS0_10empty_typeEbEEZZNS1_14partition_implILS5_8ELb0ES3_jPlPS6_PKS6_NS0_5tupleIJS9_S6_EEENSD_IJSA_SA_EEENS0_18inequality_wrapperIZN2at6native12_GLOBAL__N_124unique_dim_cuda_templateIfEESt5tupleIJNSH_6TensorESM_SM_EERKSM_lbbbEUlllE0_EEPmJS6_EEE10hipError_tPvRmT3_T4_T5_T6_T7_T9_mT8_P12ihipStream_tbDpT10_ENKUlT_T0_E_clISt17integral_constantIbLb1EES1B_IbLb0EEEEDaS17_S18_EUlS17_E_NS1_11comp_targetILNS1_3genE9ELNS1_11target_archE1100ELNS1_3gpuE3ELNS1_3repE0EEENS1_30default_config_static_selectorELNS0_4arch9wavefront6targetE1EEEvT1_: ; @_ZN7rocprim17ROCPRIM_400000_NS6detail17trampoline_kernelINS0_14default_configENS1_25partition_config_selectorILNS1_17partition_subalgoE8ElNS0_10empty_typeEbEEZZNS1_14partition_implILS5_8ELb0ES3_jPlPS6_PKS6_NS0_5tupleIJS9_S6_EEENSD_IJSA_SA_EEENS0_18inequality_wrapperIZN2at6native12_GLOBAL__N_124unique_dim_cuda_templateIfEESt5tupleIJNSH_6TensorESM_SM_EERKSM_lbbbEUlllE0_EEPmJS6_EEE10hipError_tPvRmT3_T4_T5_T6_T7_T9_mT8_P12ihipStream_tbDpT10_ENKUlT_T0_E_clISt17integral_constantIbLb1EES1B_IbLb0EEEEDaS17_S18_EUlS17_E_NS1_11comp_targetILNS1_3genE9ELNS1_11target_archE1100ELNS1_3gpuE3ELNS1_3repE0EEENS1_30default_config_static_selectorELNS0_4arch9wavefront6targetE1EEEvT1_
; %bb.0:
	.section	.rodata,"a",@progbits
	.p2align	6, 0x0
	.amdhsa_kernel _ZN7rocprim17ROCPRIM_400000_NS6detail17trampoline_kernelINS0_14default_configENS1_25partition_config_selectorILNS1_17partition_subalgoE8ElNS0_10empty_typeEbEEZZNS1_14partition_implILS5_8ELb0ES3_jPlPS6_PKS6_NS0_5tupleIJS9_S6_EEENSD_IJSA_SA_EEENS0_18inequality_wrapperIZN2at6native12_GLOBAL__N_124unique_dim_cuda_templateIfEESt5tupleIJNSH_6TensorESM_SM_EERKSM_lbbbEUlllE0_EEPmJS6_EEE10hipError_tPvRmT3_T4_T5_T6_T7_T9_mT8_P12ihipStream_tbDpT10_ENKUlT_T0_E_clISt17integral_constantIbLb1EES1B_IbLb0EEEEDaS17_S18_EUlS17_E_NS1_11comp_targetILNS1_3genE9ELNS1_11target_archE1100ELNS1_3gpuE3ELNS1_3repE0EEENS1_30default_config_static_selectorELNS0_4arch9wavefront6targetE1EEEvT1_
		.amdhsa_group_segment_fixed_size 0
		.amdhsa_private_segment_fixed_size 0
		.amdhsa_kernarg_size 120
		.amdhsa_user_sgpr_count 2
		.amdhsa_user_sgpr_dispatch_ptr 0
		.amdhsa_user_sgpr_queue_ptr 0
		.amdhsa_user_sgpr_kernarg_segment_ptr 1
		.amdhsa_user_sgpr_dispatch_id 0
		.amdhsa_user_sgpr_kernarg_preload_length 0
		.amdhsa_user_sgpr_kernarg_preload_offset 0
		.amdhsa_user_sgpr_private_segment_size 0
		.amdhsa_uses_dynamic_stack 0
		.amdhsa_enable_private_segment 0
		.amdhsa_system_sgpr_workgroup_id_x 1
		.amdhsa_system_sgpr_workgroup_id_y 0
		.amdhsa_system_sgpr_workgroup_id_z 0
		.amdhsa_system_sgpr_workgroup_info 0
		.amdhsa_system_vgpr_workitem_id 0
		.amdhsa_next_free_vgpr 1
		.amdhsa_next_free_sgpr 0
		.amdhsa_accum_offset 4
		.amdhsa_reserve_vcc 0
		.amdhsa_float_round_mode_32 0
		.amdhsa_float_round_mode_16_64 0
		.amdhsa_float_denorm_mode_32 3
		.amdhsa_float_denorm_mode_16_64 3
		.amdhsa_dx10_clamp 1
		.amdhsa_ieee_mode 1
		.amdhsa_fp16_overflow 0
		.amdhsa_tg_split 0
		.amdhsa_exception_fp_ieee_invalid_op 0
		.amdhsa_exception_fp_denorm_src 0
		.amdhsa_exception_fp_ieee_div_zero 0
		.amdhsa_exception_fp_ieee_overflow 0
		.amdhsa_exception_fp_ieee_underflow 0
		.amdhsa_exception_fp_ieee_inexact 0
		.amdhsa_exception_int_div_zero 0
	.end_amdhsa_kernel
	.section	.text._ZN7rocprim17ROCPRIM_400000_NS6detail17trampoline_kernelINS0_14default_configENS1_25partition_config_selectorILNS1_17partition_subalgoE8ElNS0_10empty_typeEbEEZZNS1_14partition_implILS5_8ELb0ES3_jPlPS6_PKS6_NS0_5tupleIJS9_S6_EEENSD_IJSA_SA_EEENS0_18inequality_wrapperIZN2at6native12_GLOBAL__N_124unique_dim_cuda_templateIfEESt5tupleIJNSH_6TensorESM_SM_EERKSM_lbbbEUlllE0_EEPmJS6_EEE10hipError_tPvRmT3_T4_T5_T6_T7_T9_mT8_P12ihipStream_tbDpT10_ENKUlT_T0_E_clISt17integral_constantIbLb1EES1B_IbLb0EEEEDaS17_S18_EUlS17_E_NS1_11comp_targetILNS1_3genE9ELNS1_11target_archE1100ELNS1_3gpuE3ELNS1_3repE0EEENS1_30default_config_static_selectorELNS0_4arch9wavefront6targetE1EEEvT1_,"axG",@progbits,_ZN7rocprim17ROCPRIM_400000_NS6detail17trampoline_kernelINS0_14default_configENS1_25partition_config_selectorILNS1_17partition_subalgoE8ElNS0_10empty_typeEbEEZZNS1_14partition_implILS5_8ELb0ES3_jPlPS6_PKS6_NS0_5tupleIJS9_S6_EEENSD_IJSA_SA_EEENS0_18inequality_wrapperIZN2at6native12_GLOBAL__N_124unique_dim_cuda_templateIfEESt5tupleIJNSH_6TensorESM_SM_EERKSM_lbbbEUlllE0_EEPmJS6_EEE10hipError_tPvRmT3_T4_T5_T6_T7_T9_mT8_P12ihipStream_tbDpT10_ENKUlT_T0_E_clISt17integral_constantIbLb1EES1B_IbLb0EEEEDaS17_S18_EUlS17_E_NS1_11comp_targetILNS1_3genE9ELNS1_11target_archE1100ELNS1_3gpuE3ELNS1_3repE0EEENS1_30default_config_static_selectorELNS0_4arch9wavefront6targetE1EEEvT1_,comdat
.Lfunc_end958:
	.size	_ZN7rocprim17ROCPRIM_400000_NS6detail17trampoline_kernelINS0_14default_configENS1_25partition_config_selectorILNS1_17partition_subalgoE8ElNS0_10empty_typeEbEEZZNS1_14partition_implILS5_8ELb0ES3_jPlPS6_PKS6_NS0_5tupleIJS9_S6_EEENSD_IJSA_SA_EEENS0_18inequality_wrapperIZN2at6native12_GLOBAL__N_124unique_dim_cuda_templateIfEESt5tupleIJNSH_6TensorESM_SM_EERKSM_lbbbEUlllE0_EEPmJS6_EEE10hipError_tPvRmT3_T4_T5_T6_T7_T9_mT8_P12ihipStream_tbDpT10_ENKUlT_T0_E_clISt17integral_constantIbLb1EES1B_IbLb0EEEEDaS17_S18_EUlS17_E_NS1_11comp_targetILNS1_3genE9ELNS1_11target_archE1100ELNS1_3gpuE3ELNS1_3repE0EEENS1_30default_config_static_selectorELNS0_4arch9wavefront6targetE1EEEvT1_, .Lfunc_end958-_ZN7rocprim17ROCPRIM_400000_NS6detail17trampoline_kernelINS0_14default_configENS1_25partition_config_selectorILNS1_17partition_subalgoE8ElNS0_10empty_typeEbEEZZNS1_14partition_implILS5_8ELb0ES3_jPlPS6_PKS6_NS0_5tupleIJS9_S6_EEENSD_IJSA_SA_EEENS0_18inequality_wrapperIZN2at6native12_GLOBAL__N_124unique_dim_cuda_templateIfEESt5tupleIJNSH_6TensorESM_SM_EERKSM_lbbbEUlllE0_EEPmJS6_EEE10hipError_tPvRmT3_T4_T5_T6_T7_T9_mT8_P12ihipStream_tbDpT10_ENKUlT_T0_E_clISt17integral_constantIbLb1EES1B_IbLb0EEEEDaS17_S18_EUlS17_E_NS1_11comp_targetILNS1_3genE9ELNS1_11target_archE1100ELNS1_3gpuE3ELNS1_3repE0EEENS1_30default_config_static_selectorELNS0_4arch9wavefront6targetE1EEEvT1_
                                        ; -- End function
	.section	.AMDGPU.csdata,"",@progbits
; Kernel info:
; codeLenInByte = 0
; NumSgprs: 6
; NumVgprs: 0
; NumAgprs: 0
; TotalNumVgprs: 0
; ScratchSize: 0
; MemoryBound: 0
; FloatMode: 240
; IeeeMode: 1
; LDSByteSize: 0 bytes/workgroup (compile time only)
; SGPRBlocks: 0
; VGPRBlocks: 0
; NumSGPRsForWavesPerEU: 6
; NumVGPRsForWavesPerEU: 1
; AccumOffset: 4
; Occupancy: 8
; WaveLimiterHint : 0
; COMPUTE_PGM_RSRC2:SCRATCH_EN: 0
; COMPUTE_PGM_RSRC2:USER_SGPR: 2
; COMPUTE_PGM_RSRC2:TRAP_HANDLER: 0
; COMPUTE_PGM_RSRC2:TGID_X_EN: 1
; COMPUTE_PGM_RSRC2:TGID_Y_EN: 0
; COMPUTE_PGM_RSRC2:TGID_Z_EN: 0
; COMPUTE_PGM_RSRC2:TIDIG_COMP_CNT: 0
; COMPUTE_PGM_RSRC3_GFX90A:ACCUM_OFFSET: 0
; COMPUTE_PGM_RSRC3_GFX90A:TG_SPLIT: 0
	.section	.text._ZN7rocprim17ROCPRIM_400000_NS6detail17trampoline_kernelINS0_14default_configENS1_25partition_config_selectorILNS1_17partition_subalgoE8ElNS0_10empty_typeEbEEZZNS1_14partition_implILS5_8ELb0ES3_jPlPS6_PKS6_NS0_5tupleIJS9_S6_EEENSD_IJSA_SA_EEENS0_18inequality_wrapperIZN2at6native12_GLOBAL__N_124unique_dim_cuda_templateIfEESt5tupleIJNSH_6TensorESM_SM_EERKSM_lbbbEUlllE0_EEPmJS6_EEE10hipError_tPvRmT3_T4_T5_T6_T7_T9_mT8_P12ihipStream_tbDpT10_ENKUlT_T0_E_clISt17integral_constantIbLb1EES1B_IbLb0EEEEDaS17_S18_EUlS17_E_NS1_11comp_targetILNS1_3genE8ELNS1_11target_archE1030ELNS1_3gpuE2ELNS1_3repE0EEENS1_30default_config_static_selectorELNS0_4arch9wavefront6targetE1EEEvT1_,"axG",@progbits,_ZN7rocprim17ROCPRIM_400000_NS6detail17trampoline_kernelINS0_14default_configENS1_25partition_config_selectorILNS1_17partition_subalgoE8ElNS0_10empty_typeEbEEZZNS1_14partition_implILS5_8ELb0ES3_jPlPS6_PKS6_NS0_5tupleIJS9_S6_EEENSD_IJSA_SA_EEENS0_18inequality_wrapperIZN2at6native12_GLOBAL__N_124unique_dim_cuda_templateIfEESt5tupleIJNSH_6TensorESM_SM_EERKSM_lbbbEUlllE0_EEPmJS6_EEE10hipError_tPvRmT3_T4_T5_T6_T7_T9_mT8_P12ihipStream_tbDpT10_ENKUlT_T0_E_clISt17integral_constantIbLb1EES1B_IbLb0EEEEDaS17_S18_EUlS17_E_NS1_11comp_targetILNS1_3genE8ELNS1_11target_archE1030ELNS1_3gpuE2ELNS1_3repE0EEENS1_30default_config_static_selectorELNS0_4arch9wavefront6targetE1EEEvT1_,comdat
	.globl	_ZN7rocprim17ROCPRIM_400000_NS6detail17trampoline_kernelINS0_14default_configENS1_25partition_config_selectorILNS1_17partition_subalgoE8ElNS0_10empty_typeEbEEZZNS1_14partition_implILS5_8ELb0ES3_jPlPS6_PKS6_NS0_5tupleIJS9_S6_EEENSD_IJSA_SA_EEENS0_18inequality_wrapperIZN2at6native12_GLOBAL__N_124unique_dim_cuda_templateIfEESt5tupleIJNSH_6TensorESM_SM_EERKSM_lbbbEUlllE0_EEPmJS6_EEE10hipError_tPvRmT3_T4_T5_T6_T7_T9_mT8_P12ihipStream_tbDpT10_ENKUlT_T0_E_clISt17integral_constantIbLb1EES1B_IbLb0EEEEDaS17_S18_EUlS17_E_NS1_11comp_targetILNS1_3genE8ELNS1_11target_archE1030ELNS1_3gpuE2ELNS1_3repE0EEENS1_30default_config_static_selectorELNS0_4arch9wavefront6targetE1EEEvT1_ ; -- Begin function _ZN7rocprim17ROCPRIM_400000_NS6detail17trampoline_kernelINS0_14default_configENS1_25partition_config_selectorILNS1_17partition_subalgoE8ElNS0_10empty_typeEbEEZZNS1_14partition_implILS5_8ELb0ES3_jPlPS6_PKS6_NS0_5tupleIJS9_S6_EEENSD_IJSA_SA_EEENS0_18inequality_wrapperIZN2at6native12_GLOBAL__N_124unique_dim_cuda_templateIfEESt5tupleIJNSH_6TensorESM_SM_EERKSM_lbbbEUlllE0_EEPmJS6_EEE10hipError_tPvRmT3_T4_T5_T6_T7_T9_mT8_P12ihipStream_tbDpT10_ENKUlT_T0_E_clISt17integral_constantIbLb1EES1B_IbLb0EEEEDaS17_S18_EUlS17_E_NS1_11comp_targetILNS1_3genE8ELNS1_11target_archE1030ELNS1_3gpuE2ELNS1_3repE0EEENS1_30default_config_static_selectorELNS0_4arch9wavefront6targetE1EEEvT1_
	.p2align	8
	.type	_ZN7rocprim17ROCPRIM_400000_NS6detail17trampoline_kernelINS0_14default_configENS1_25partition_config_selectorILNS1_17partition_subalgoE8ElNS0_10empty_typeEbEEZZNS1_14partition_implILS5_8ELb0ES3_jPlPS6_PKS6_NS0_5tupleIJS9_S6_EEENSD_IJSA_SA_EEENS0_18inequality_wrapperIZN2at6native12_GLOBAL__N_124unique_dim_cuda_templateIfEESt5tupleIJNSH_6TensorESM_SM_EERKSM_lbbbEUlllE0_EEPmJS6_EEE10hipError_tPvRmT3_T4_T5_T6_T7_T9_mT8_P12ihipStream_tbDpT10_ENKUlT_T0_E_clISt17integral_constantIbLb1EES1B_IbLb0EEEEDaS17_S18_EUlS17_E_NS1_11comp_targetILNS1_3genE8ELNS1_11target_archE1030ELNS1_3gpuE2ELNS1_3repE0EEENS1_30default_config_static_selectorELNS0_4arch9wavefront6targetE1EEEvT1_,@function
_ZN7rocprim17ROCPRIM_400000_NS6detail17trampoline_kernelINS0_14default_configENS1_25partition_config_selectorILNS1_17partition_subalgoE8ElNS0_10empty_typeEbEEZZNS1_14partition_implILS5_8ELb0ES3_jPlPS6_PKS6_NS0_5tupleIJS9_S6_EEENSD_IJSA_SA_EEENS0_18inequality_wrapperIZN2at6native12_GLOBAL__N_124unique_dim_cuda_templateIfEESt5tupleIJNSH_6TensorESM_SM_EERKSM_lbbbEUlllE0_EEPmJS6_EEE10hipError_tPvRmT3_T4_T5_T6_T7_T9_mT8_P12ihipStream_tbDpT10_ENKUlT_T0_E_clISt17integral_constantIbLb1EES1B_IbLb0EEEEDaS17_S18_EUlS17_E_NS1_11comp_targetILNS1_3genE8ELNS1_11target_archE1030ELNS1_3gpuE2ELNS1_3repE0EEENS1_30default_config_static_selectorELNS0_4arch9wavefront6targetE1EEEvT1_: ; @_ZN7rocprim17ROCPRIM_400000_NS6detail17trampoline_kernelINS0_14default_configENS1_25partition_config_selectorILNS1_17partition_subalgoE8ElNS0_10empty_typeEbEEZZNS1_14partition_implILS5_8ELb0ES3_jPlPS6_PKS6_NS0_5tupleIJS9_S6_EEENSD_IJSA_SA_EEENS0_18inequality_wrapperIZN2at6native12_GLOBAL__N_124unique_dim_cuda_templateIfEESt5tupleIJNSH_6TensorESM_SM_EERKSM_lbbbEUlllE0_EEPmJS6_EEE10hipError_tPvRmT3_T4_T5_T6_T7_T9_mT8_P12ihipStream_tbDpT10_ENKUlT_T0_E_clISt17integral_constantIbLb1EES1B_IbLb0EEEEDaS17_S18_EUlS17_E_NS1_11comp_targetILNS1_3genE8ELNS1_11target_archE1030ELNS1_3gpuE2ELNS1_3repE0EEENS1_30default_config_static_selectorELNS0_4arch9wavefront6targetE1EEEvT1_
; %bb.0:
	.section	.rodata,"a",@progbits
	.p2align	6, 0x0
	.amdhsa_kernel _ZN7rocprim17ROCPRIM_400000_NS6detail17trampoline_kernelINS0_14default_configENS1_25partition_config_selectorILNS1_17partition_subalgoE8ElNS0_10empty_typeEbEEZZNS1_14partition_implILS5_8ELb0ES3_jPlPS6_PKS6_NS0_5tupleIJS9_S6_EEENSD_IJSA_SA_EEENS0_18inequality_wrapperIZN2at6native12_GLOBAL__N_124unique_dim_cuda_templateIfEESt5tupleIJNSH_6TensorESM_SM_EERKSM_lbbbEUlllE0_EEPmJS6_EEE10hipError_tPvRmT3_T4_T5_T6_T7_T9_mT8_P12ihipStream_tbDpT10_ENKUlT_T0_E_clISt17integral_constantIbLb1EES1B_IbLb0EEEEDaS17_S18_EUlS17_E_NS1_11comp_targetILNS1_3genE8ELNS1_11target_archE1030ELNS1_3gpuE2ELNS1_3repE0EEENS1_30default_config_static_selectorELNS0_4arch9wavefront6targetE1EEEvT1_
		.amdhsa_group_segment_fixed_size 0
		.amdhsa_private_segment_fixed_size 0
		.amdhsa_kernarg_size 120
		.amdhsa_user_sgpr_count 2
		.amdhsa_user_sgpr_dispatch_ptr 0
		.amdhsa_user_sgpr_queue_ptr 0
		.amdhsa_user_sgpr_kernarg_segment_ptr 1
		.amdhsa_user_sgpr_dispatch_id 0
		.amdhsa_user_sgpr_kernarg_preload_length 0
		.amdhsa_user_sgpr_kernarg_preload_offset 0
		.amdhsa_user_sgpr_private_segment_size 0
		.amdhsa_uses_dynamic_stack 0
		.amdhsa_enable_private_segment 0
		.amdhsa_system_sgpr_workgroup_id_x 1
		.amdhsa_system_sgpr_workgroup_id_y 0
		.amdhsa_system_sgpr_workgroup_id_z 0
		.amdhsa_system_sgpr_workgroup_info 0
		.amdhsa_system_vgpr_workitem_id 0
		.amdhsa_next_free_vgpr 1
		.amdhsa_next_free_sgpr 0
		.amdhsa_accum_offset 4
		.amdhsa_reserve_vcc 0
		.amdhsa_float_round_mode_32 0
		.amdhsa_float_round_mode_16_64 0
		.amdhsa_float_denorm_mode_32 3
		.amdhsa_float_denorm_mode_16_64 3
		.amdhsa_dx10_clamp 1
		.amdhsa_ieee_mode 1
		.amdhsa_fp16_overflow 0
		.amdhsa_tg_split 0
		.amdhsa_exception_fp_ieee_invalid_op 0
		.amdhsa_exception_fp_denorm_src 0
		.amdhsa_exception_fp_ieee_div_zero 0
		.amdhsa_exception_fp_ieee_overflow 0
		.amdhsa_exception_fp_ieee_underflow 0
		.amdhsa_exception_fp_ieee_inexact 0
		.amdhsa_exception_int_div_zero 0
	.end_amdhsa_kernel
	.section	.text._ZN7rocprim17ROCPRIM_400000_NS6detail17trampoline_kernelINS0_14default_configENS1_25partition_config_selectorILNS1_17partition_subalgoE8ElNS0_10empty_typeEbEEZZNS1_14partition_implILS5_8ELb0ES3_jPlPS6_PKS6_NS0_5tupleIJS9_S6_EEENSD_IJSA_SA_EEENS0_18inequality_wrapperIZN2at6native12_GLOBAL__N_124unique_dim_cuda_templateIfEESt5tupleIJNSH_6TensorESM_SM_EERKSM_lbbbEUlllE0_EEPmJS6_EEE10hipError_tPvRmT3_T4_T5_T6_T7_T9_mT8_P12ihipStream_tbDpT10_ENKUlT_T0_E_clISt17integral_constantIbLb1EES1B_IbLb0EEEEDaS17_S18_EUlS17_E_NS1_11comp_targetILNS1_3genE8ELNS1_11target_archE1030ELNS1_3gpuE2ELNS1_3repE0EEENS1_30default_config_static_selectorELNS0_4arch9wavefront6targetE1EEEvT1_,"axG",@progbits,_ZN7rocprim17ROCPRIM_400000_NS6detail17trampoline_kernelINS0_14default_configENS1_25partition_config_selectorILNS1_17partition_subalgoE8ElNS0_10empty_typeEbEEZZNS1_14partition_implILS5_8ELb0ES3_jPlPS6_PKS6_NS0_5tupleIJS9_S6_EEENSD_IJSA_SA_EEENS0_18inequality_wrapperIZN2at6native12_GLOBAL__N_124unique_dim_cuda_templateIfEESt5tupleIJNSH_6TensorESM_SM_EERKSM_lbbbEUlllE0_EEPmJS6_EEE10hipError_tPvRmT3_T4_T5_T6_T7_T9_mT8_P12ihipStream_tbDpT10_ENKUlT_T0_E_clISt17integral_constantIbLb1EES1B_IbLb0EEEEDaS17_S18_EUlS17_E_NS1_11comp_targetILNS1_3genE8ELNS1_11target_archE1030ELNS1_3gpuE2ELNS1_3repE0EEENS1_30default_config_static_selectorELNS0_4arch9wavefront6targetE1EEEvT1_,comdat
.Lfunc_end959:
	.size	_ZN7rocprim17ROCPRIM_400000_NS6detail17trampoline_kernelINS0_14default_configENS1_25partition_config_selectorILNS1_17partition_subalgoE8ElNS0_10empty_typeEbEEZZNS1_14partition_implILS5_8ELb0ES3_jPlPS6_PKS6_NS0_5tupleIJS9_S6_EEENSD_IJSA_SA_EEENS0_18inequality_wrapperIZN2at6native12_GLOBAL__N_124unique_dim_cuda_templateIfEESt5tupleIJNSH_6TensorESM_SM_EERKSM_lbbbEUlllE0_EEPmJS6_EEE10hipError_tPvRmT3_T4_T5_T6_T7_T9_mT8_P12ihipStream_tbDpT10_ENKUlT_T0_E_clISt17integral_constantIbLb1EES1B_IbLb0EEEEDaS17_S18_EUlS17_E_NS1_11comp_targetILNS1_3genE8ELNS1_11target_archE1030ELNS1_3gpuE2ELNS1_3repE0EEENS1_30default_config_static_selectorELNS0_4arch9wavefront6targetE1EEEvT1_, .Lfunc_end959-_ZN7rocprim17ROCPRIM_400000_NS6detail17trampoline_kernelINS0_14default_configENS1_25partition_config_selectorILNS1_17partition_subalgoE8ElNS0_10empty_typeEbEEZZNS1_14partition_implILS5_8ELb0ES3_jPlPS6_PKS6_NS0_5tupleIJS9_S6_EEENSD_IJSA_SA_EEENS0_18inequality_wrapperIZN2at6native12_GLOBAL__N_124unique_dim_cuda_templateIfEESt5tupleIJNSH_6TensorESM_SM_EERKSM_lbbbEUlllE0_EEPmJS6_EEE10hipError_tPvRmT3_T4_T5_T6_T7_T9_mT8_P12ihipStream_tbDpT10_ENKUlT_T0_E_clISt17integral_constantIbLb1EES1B_IbLb0EEEEDaS17_S18_EUlS17_E_NS1_11comp_targetILNS1_3genE8ELNS1_11target_archE1030ELNS1_3gpuE2ELNS1_3repE0EEENS1_30default_config_static_selectorELNS0_4arch9wavefront6targetE1EEEvT1_
                                        ; -- End function
	.section	.AMDGPU.csdata,"",@progbits
; Kernel info:
; codeLenInByte = 0
; NumSgprs: 6
; NumVgprs: 0
; NumAgprs: 0
; TotalNumVgprs: 0
; ScratchSize: 0
; MemoryBound: 0
; FloatMode: 240
; IeeeMode: 1
; LDSByteSize: 0 bytes/workgroup (compile time only)
; SGPRBlocks: 0
; VGPRBlocks: 0
; NumSGPRsForWavesPerEU: 6
; NumVGPRsForWavesPerEU: 1
; AccumOffset: 4
; Occupancy: 8
; WaveLimiterHint : 0
; COMPUTE_PGM_RSRC2:SCRATCH_EN: 0
; COMPUTE_PGM_RSRC2:USER_SGPR: 2
; COMPUTE_PGM_RSRC2:TRAP_HANDLER: 0
; COMPUTE_PGM_RSRC2:TGID_X_EN: 1
; COMPUTE_PGM_RSRC2:TGID_Y_EN: 0
; COMPUTE_PGM_RSRC2:TGID_Z_EN: 0
; COMPUTE_PGM_RSRC2:TIDIG_COMP_CNT: 0
; COMPUTE_PGM_RSRC3_GFX90A:ACCUM_OFFSET: 0
; COMPUTE_PGM_RSRC3_GFX90A:TG_SPLIT: 0
	.section	.text._ZN7rocprim17ROCPRIM_400000_NS6detail17trampoline_kernelINS0_14default_configENS1_25partition_config_selectorILNS1_17partition_subalgoE8ElNS0_10empty_typeEbEEZZNS1_14partition_implILS5_8ELb0ES3_jPlPS6_PKS6_NS0_5tupleIJS9_S6_EEENSD_IJSA_SA_EEENS0_18inequality_wrapperIZN2at6native12_GLOBAL__N_124unique_dim_cuda_templateIfEESt5tupleIJNSH_6TensorESM_SM_EERKSM_lbbbEUlllE0_EEPmJS6_EEE10hipError_tPvRmT3_T4_T5_T6_T7_T9_mT8_P12ihipStream_tbDpT10_ENKUlT_T0_E_clISt17integral_constantIbLb0EES1B_IbLb1EEEEDaS17_S18_EUlS17_E_NS1_11comp_targetILNS1_3genE0ELNS1_11target_archE4294967295ELNS1_3gpuE0ELNS1_3repE0EEENS1_30default_config_static_selectorELNS0_4arch9wavefront6targetE1EEEvT1_,"axG",@progbits,_ZN7rocprim17ROCPRIM_400000_NS6detail17trampoline_kernelINS0_14default_configENS1_25partition_config_selectorILNS1_17partition_subalgoE8ElNS0_10empty_typeEbEEZZNS1_14partition_implILS5_8ELb0ES3_jPlPS6_PKS6_NS0_5tupleIJS9_S6_EEENSD_IJSA_SA_EEENS0_18inequality_wrapperIZN2at6native12_GLOBAL__N_124unique_dim_cuda_templateIfEESt5tupleIJNSH_6TensorESM_SM_EERKSM_lbbbEUlllE0_EEPmJS6_EEE10hipError_tPvRmT3_T4_T5_T6_T7_T9_mT8_P12ihipStream_tbDpT10_ENKUlT_T0_E_clISt17integral_constantIbLb0EES1B_IbLb1EEEEDaS17_S18_EUlS17_E_NS1_11comp_targetILNS1_3genE0ELNS1_11target_archE4294967295ELNS1_3gpuE0ELNS1_3repE0EEENS1_30default_config_static_selectorELNS0_4arch9wavefront6targetE1EEEvT1_,comdat
	.globl	_ZN7rocprim17ROCPRIM_400000_NS6detail17trampoline_kernelINS0_14default_configENS1_25partition_config_selectorILNS1_17partition_subalgoE8ElNS0_10empty_typeEbEEZZNS1_14partition_implILS5_8ELb0ES3_jPlPS6_PKS6_NS0_5tupleIJS9_S6_EEENSD_IJSA_SA_EEENS0_18inequality_wrapperIZN2at6native12_GLOBAL__N_124unique_dim_cuda_templateIfEESt5tupleIJNSH_6TensorESM_SM_EERKSM_lbbbEUlllE0_EEPmJS6_EEE10hipError_tPvRmT3_T4_T5_T6_T7_T9_mT8_P12ihipStream_tbDpT10_ENKUlT_T0_E_clISt17integral_constantIbLb0EES1B_IbLb1EEEEDaS17_S18_EUlS17_E_NS1_11comp_targetILNS1_3genE0ELNS1_11target_archE4294967295ELNS1_3gpuE0ELNS1_3repE0EEENS1_30default_config_static_selectorELNS0_4arch9wavefront6targetE1EEEvT1_ ; -- Begin function _ZN7rocprim17ROCPRIM_400000_NS6detail17trampoline_kernelINS0_14default_configENS1_25partition_config_selectorILNS1_17partition_subalgoE8ElNS0_10empty_typeEbEEZZNS1_14partition_implILS5_8ELb0ES3_jPlPS6_PKS6_NS0_5tupleIJS9_S6_EEENSD_IJSA_SA_EEENS0_18inequality_wrapperIZN2at6native12_GLOBAL__N_124unique_dim_cuda_templateIfEESt5tupleIJNSH_6TensorESM_SM_EERKSM_lbbbEUlllE0_EEPmJS6_EEE10hipError_tPvRmT3_T4_T5_T6_T7_T9_mT8_P12ihipStream_tbDpT10_ENKUlT_T0_E_clISt17integral_constantIbLb0EES1B_IbLb1EEEEDaS17_S18_EUlS17_E_NS1_11comp_targetILNS1_3genE0ELNS1_11target_archE4294967295ELNS1_3gpuE0ELNS1_3repE0EEENS1_30default_config_static_selectorELNS0_4arch9wavefront6targetE1EEEvT1_
	.p2align	8
	.type	_ZN7rocprim17ROCPRIM_400000_NS6detail17trampoline_kernelINS0_14default_configENS1_25partition_config_selectorILNS1_17partition_subalgoE8ElNS0_10empty_typeEbEEZZNS1_14partition_implILS5_8ELb0ES3_jPlPS6_PKS6_NS0_5tupleIJS9_S6_EEENSD_IJSA_SA_EEENS0_18inequality_wrapperIZN2at6native12_GLOBAL__N_124unique_dim_cuda_templateIfEESt5tupleIJNSH_6TensorESM_SM_EERKSM_lbbbEUlllE0_EEPmJS6_EEE10hipError_tPvRmT3_T4_T5_T6_T7_T9_mT8_P12ihipStream_tbDpT10_ENKUlT_T0_E_clISt17integral_constantIbLb0EES1B_IbLb1EEEEDaS17_S18_EUlS17_E_NS1_11comp_targetILNS1_3genE0ELNS1_11target_archE4294967295ELNS1_3gpuE0ELNS1_3repE0EEENS1_30default_config_static_selectorELNS0_4arch9wavefront6targetE1EEEvT1_,@function
_ZN7rocprim17ROCPRIM_400000_NS6detail17trampoline_kernelINS0_14default_configENS1_25partition_config_selectorILNS1_17partition_subalgoE8ElNS0_10empty_typeEbEEZZNS1_14partition_implILS5_8ELb0ES3_jPlPS6_PKS6_NS0_5tupleIJS9_S6_EEENSD_IJSA_SA_EEENS0_18inequality_wrapperIZN2at6native12_GLOBAL__N_124unique_dim_cuda_templateIfEESt5tupleIJNSH_6TensorESM_SM_EERKSM_lbbbEUlllE0_EEPmJS6_EEE10hipError_tPvRmT3_T4_T5_T6_T7_T9_mT8_P12ihipStream_tbDpT10_ENKUlT_T0_E_clISt17integral_constantIbLb0EES1B_IbLb1EEEEDaS17_S18_EUlS17_E_NS1_11comp_targetILNS1_3genE0ELNS1_11target_archE4294967295ELNS1_3gpuE0ELNS1_3repE0EEENS1_30default_config_static_selectorELNS0_4arch9wavefront6targetE1EEEvT1_: ; @_ZN7rocprim17ROCPRIM_400000_NS6detail17trampoline_kernelINS0_14default_configENS1_25partition_config_selectorILNS1_17partition_subalgoE8ElNS0_10empty_typeEbEEZZNS1_14partition_implILS5_8ELb0ES3_jPlPS6_PKS6_NS0_5tupleIJS9_S6_EEENSD_IJSA_SA_EEENS0_18inequality_wrapperIZN2at6native12_GLOBAL__N_124unique_dim_cuda_templateIfEESt5tupleIJNSH_6TensorESM_SM_EERKSM_lbbbEUlllE0_EEPmJS6_EEE10hipError_tPvRmT3_T4_T5_T6_T7_T9_mT8_P12ihipStream_tbDpT10_ENKUlT_T0_E_clISt17integral_constantIbLb0EES1B_IbLb1EEEEDaS17_S18_EUlS17_E_NS1_11comp_targetILNS1_3genE0ELNS1_11target_archE4294967295ELNS1_3gpuE0ELNS1_3repE0EEENS1_30default_config_static_selectorELNS0_4arch9wavefront6targetE1EEEvT1_
; %bb.0:
	.section	.rodata,"a",@progbits
	.p2align	6, 0x0
	.amdhsa_kernel _ZN7rocprim17ROCPRIM_400000_NS6detail17trampoline_kernelINS0_14default_configENS1_25partition_config_selectorILNS1_17partition_subalgoE8ElNS0_10empty_typeEbEEZZNS1_14partition_implILS5_8ELb0ES3_jPlPS6_PKS6_NS0_5tupleIJS9_S6_EEENSD_IJSA_SA_EEENS0_18inequality_wrapperIZN2at6native12_GLOBAL__N_124unique_dim_cuda_templateIfEESt5tupleIJNSH_6TensorESM_SM_EERKSM_lbbbEUlllE0_EEPmJS6_EEE10hipError_tPvRmT3_T4_T5_T6_T7_T9_mT8_P12ihipStream_tbDpT10_ENKUlT_T0_E_clISt17integral_constantIbLb0EES1B_IbLb1EEEEDaS17_S18_EUlS17_E_NS1_11comp_targetILNS1_3genE0ELNS1_11target_archE4294967295ELNS1_3gpuE0ELNS1_3repE0EEENS1_30default_config_static_selectorELNS0_4arch9wavefront6targetE1EEEvT1_
		.amdhsa_group_segment_fixed_size 0
		.amdhsa_private_segment_fixed_size 0
		.amdhsa_kernarg_size 136
		.amdhsa_user_sgpr_count 2
		.amdhsa_user_sgpr_dispatch_ptr 0
		.amdhsa_user_sgpr_queue_ptr 0
		.amdhsa_user_sgpr_kernarg_segment_ptr 1
		.amdhsa_user_sgpr_dispatch_id 0
		.amdhsa_user_sgpr_kernarg_preload_length 0
		.amdhsa_user_sgpr_kernarg_preload_offset 0
		.amdhsa_user_sgpr_private_segment_size 0
		.amdhsa_uses_dynamic_stack 0
		.amdhsa_enable_private_segment 0
		.amdhsa_system_sgpr_workgroup_id_x 1
		.amdhsa_system_sgpr_workgroup_id_y 0
		.amdhsa_system_sgpr_workgroup_id_z 0
		.amdhsa_system_sgpr_workgroup_info 0
		.amdhsa_system_vgpr_workitem_id 0
		.amdhsa_next_free_vgpr 1
		.amdhsa_next_free_sgpr 0
		.amdhsa_accum_offset 4
		.amdhsa_reserve_vcc 0
		.amdhsa_float_round_mode_32 0
		.amdhsa_float_round_mode_16_64 0
		.amdhsa_float_denorm_mode_32 3
		.amdhsa_float_denorm_mode_16_64 3
		.amdhsa_dx10_clamp 1
		.amdhsa_ieee_mode 1
		.amdhsa_fp16_overflow 0
		.amdhsa_tg_split 0
		.amdhsa_exception_fp_ieee_invalid_op 0
		.amdhsa_exception_fp_denorm_src 0
		.amdhsa_exception_fp_ieee_div_zero 0
		.amdhsa_exception_fp_ieee_overflow 0
		.amdhsa_exception_fp_ieee_underflow 0
		.amdhsa_exception_fp_ieee_inexact 0
		.amdhsa_exception_int_div_zero 0
	.end_amdhsa_kernel
	.section	.text._ZN7rocprim17ROCPRIM_400000_NS6detail17trampoline_kernelINS0_14default_configENS1_25partition_config_selectorILNS1_17partition_subalgoE8ElNS0_10empty_typeEbEEZZNS1_14partition_implILS5_8ELb0ES3_jPlPS6_PKS6_NS0_5tupleIJS9_S6_EEENSD_IJSA_SA_EEENS0_18inequality_wrapperIZN2at6native12_GLOBAL__N_124unique_dim_cuda_templateIfEESt5tupleIJNSH_6TensorESM_SM_EERKSM_lbbbEUlllE0_EEPmJS6_EEE10hipError_tPvRmT3_T4_T5_T6_T7_T9_mT8_P12ihipStream_tbDpT10_ENKUlT_T0_E_clISt17integral_constantIbLb0EES1B_IbLb1EEEEDaS17_S18_EUlS17_E_NS1_11comp_targetILNS1_3genE0ELNS1_11target_archE4294967295ELNS1_3gpuE0ELNS1_3repE0EEENS1_30default_config_static_selectorELNS0_4arch9wavefront6targetE1EEEvT1_,"axG",@progbits,_ZN7rocprim17ROCPRIM_400000_NS6detail17trampoline_kernelINS0_14default_configENS1_25partition_config_selectorILNS1_17partition_subalgoE8ElNS0_10empty_typeEbEEZZNS1_14partition_implILS5_8ELb0ES3_jPlPS6_PKS6_NS0_5tupleIJS9_S6_EEENSD_IJSA_SA_EEENS0_18inequality_wrapperIZN2at6native12_GLOBAL__N_124unique_dim_cuda_templateIfEESt5tupleIJNSH_6TensorESM_SM_EERKSM_lbbbEUlllE0_EEPmJS6_EEE10hipError_tPvRmT3_T4_T5_T6_T7_T9_mT8_P12ihipStream_tbDpT10_ENKUlT_T0_E_clISt17integral_constantIbLb0EES1B_IbLb1EEEEDaS17_S18_EUlS17_E_NS1_11comp_targetILNS1_3genE0ELNS1_11target_archE4294967295ELNS1_3gpuE0ELNS1_3repE0EEENS1_30default_config_static_selectorELNS0_4arch9wavefront6targetE1EEEvT1_,comdat
.Lfunc_end960:
	.size	_ZN7rocprim17ROCPRIM_400000_NS6detail17trampoline_kernelINS0_14default_configENS1_25partition_config_selectorILNS1_17partition_subalgoE8ElNS0_10empty_typeEbEEZZNS1_14partition_implILS5_8ELb0ES3_jPlPS6_PKS6_NS0_5tupleIJS9_S6_EEENSD_IJSA_SA_EEENS0_18inequality_wrapperIZN2at6native12_GLOBAL__N_124unique_dim_cuda_templateIfEESt5tupleIJNSH_6TensorESM_SM_EERKSM_lbbbEUlllE0_EEPmJS6_EEE10hipError_tPvRmT3_T4_T5_T6_T7_T9_mT8_P12ihipStream_tbDpT10_ENKUlT_T0_E_clISt17integral_constantIbLb0EES1B_IbLb1EEEEDaS17_S18_EUlS17_E_NS1_11comp_targetILNS1_3genE0ELNS1_11target_archE4294967295ELNS1_3gpuE0ELNS1_3repE0EEENS1_30default_config_static_selectorELNS0_4arch9wavefront6targetE1EEEvT1_, .Lfunc_end960-_ZN7rocprim17ROCPRIM_400000_NS6detail17trampoline_kernelINS0_14default_configENS1_25partition_config_selectorILNS1_17partition_subalgoE8ElNS0_10empty_typeEbEEZZNS1_14partition_implILS5_8ELb0ES3_jPlPS6_PKS6_NS0_5tupleIJS9_S6_EEENSD_IJSA_SA_EEENS0_18inequality_wrapperIZN2at6native12_GLOBAL__N_124unique_dim_cuda_templateIfEESt5tupleIJNSH_6TensorESM_SM_EERKSM_lbbbEUlllE0_EEPmJS6_EEE10hipError_tPvRmT3_T4_T5_T6_T7_T9_mT8_P12ihipStream_tbDpT10_ENKUlT_T0_E_clISt17integral_constantIbLb0EES1B_IbLb1EEEEDaS17_S18_EUlS17_E_NS1_11comp_targetILNS1_3genE0ELNS1_11target_archE4294967295ELNS1_3gpuE0ELNS1_3repE0EEENS1_30default_config_static_selectorELNS0_4arch9wavefront6targetE1EEEvT1_
                                        ; -- End function
	.section	.AMDGPU.csdata,"",@progbits
; Kernel info:
; codeLenInByte = 0
; NumSgprs: 6
; NumVgprs: 0
; NumAgprs: 0
; TotalNumVgprs: 0
; ScratchSize: 0
; MemoryBound: 0
; FloatMode: 240
; IeeeMode: 1
; LDSByteSize: 0 bytes/workgroup (compile time only)
; SGPRBlocks: 0
; VGPRBlocks: 0
; NumSGPRsForWavesPerEU: 6
; NumVGPRsForWavesPerEU: 1
; AccumOffset: 4
; Occupancy: 8
; WaveLimiterHint : 0
; COMPUTE_PGM_RSRC2:SCRATCH_EN: 0
; COMPUTE_PGM_RSRC2:USER_SGPR: 2
; COMPUTE_PGM_RSRC2:TRAP_HANDLER: 0
; COMPUTE_PGM_RSRC2:TGID_X_EN: 1
; COMPUTE_PGM_RSRC2:TGID_Y_EN: 0
; COMPUTE_PGM_RSRC2:TGID_Z_EN: 0
; COMPUTE_PGM_RSRC2:TIDIG_COMP_CNT: 0
; COMPUTE_PGM_RSRC3_GFX90A:ACCUM_OFFSET: 0
; COMPUTE_PGM_RSRC3_GFX90A:TG_SPLIT: 0
	.section	.text._ZN7rocprim17ROCPRIM_400000_NS6detail17trampoline_kernelINS0_14default_configENS1_25partition_config_selectorILNS1_17partition_subalgoE8ElNS0_10empty_typeEbEEZZNS1_14partition_implILS5_8ELb0ES3_jPlPS6_PKS6_NS0_5tupleIJS9_S6_EEENSD_IJSA_SA_EEENS0_18inequality_wrapperIZN2at6native12_GLOBAL__N_124unique_dim_cuda_templateIfEESt5tupleIJNSH_6TensorESM_SM_EERKSM_lbbbEUlllE0_EEPmJS6_EEE10hipError_tPvRmT3_T4_T5_T6_T7_T9_mT8_P12ihipStream_tbDpT10_ENKUlT_T0_E_clISt17integral_constantIbLb0EES1B_IbLb1EEEEDaS17_S18_EUlS17_E_NS1_11comp_targetILNS1_3genE5ELNS1_11target_archE942ELNS1_3gpuE9ELNS1_3repE0EEENS1_30default_config_static_selectorELNS0_4arch9wavefront6targetE1EEEvT1_,"axG",@progbits,_ZN7rocprim17ROCPRIM_400000_NS6detail17trampoline_kernelINS0_14default_configENS1_25partition_config_selectorILNS1_17partition_subalgoE8ElNS0_10empty_typeEbEEZZNS1_14partition_implILS5_8ELb0ES3_jPlPS6_PKS6_NS0_5tupleIJS9_S6_EEENSD_IJSA_SA_EEENS0_18inequality_wrapperIZN2at6native12_GLOBAL__N_124unique_dim_cuda_templateIfEESt5tupleIJNSH_6TensorESM_SM_EERKSM_lbbbEUlllE0_EEPmJS6_EEE10hipError_tPvRmT3_T4_T5_T6_T7_T9_mT8_P12ihipStream_tbDpT10_ENKUlT_T0_E_clISt17integral_constantIbLb0EES1B_IbLb1EEEEDaS17_S18_EUlS17_E_NS1_11comp_targetILNS1_3genE5ELNS1_11target_archE942ELNS1_3gpuE9ELNS1_3repE0EEENS1_30default_config_static_selectorELNS0_4arch9wavefront6targetE1EEEvT1_,comdat
	.globl	_ZN7rocprim17ROCPRIM_400000_NS6detail17trampoline_kernelINS0_14default_configENS1_25partition_config_selectorILNS1_17partition_subalgoE8ElNS0_10empty_typeEbEEZZNS1_14partition_implILS5_8ELb0ES3_jPlPS6_PKS6_NS0_5tupleIJS9_S6_EEENSD_IJSA_SA_EEENS0_18inequality_wrapperIZN2at6native12_GLOBAL__N_124unique_dim_cuda_templateIfEESt5tupleIJNSH_6TensorESM_SM_EERKSM_lbbbEUlllE0_EEPmJS6_EEE10hipError_tPvRmT3_T4_T5_T6_T7_T9_mT8_P12ihipStream_tbDpT10_ENKUlT_T0_E_clISt17integral_constantIbLb0EES1B_IbLb1EEEEDaS17_S18_EUlS17_E_NS1_11comp_targetILNS1_3genE5ELNS1_11target_archE942ELNS1_3gpuE9ELNS1_3repE0EEENS1_30default_config_static_selectorELNS0_4arch9wavefront6targetE1EEEvT1_ ; -- Begin function _ZN7rocprim17ROCPRIM_400000_NS6detail17trampoline_kernelINS0_14default_configENS1_25partition_config_selectorILNS1_17partition_subalgoE8ElNS0_10empty_typeEbEEZZNS1_14partition_implILS5_8ELb0ES3_jPlPS6_PKS6_NS0_5tupleIJS9_S6_EEENSD_IJSA_SA_EEENS0_18inequality_wrapperIZN2at6native12_GLOBAL__N_124unique_dim_cuda_templateIfEESt5tupleIJNSH_6TensorESM_SM_EERKSM_lbbbEUlllE0_EEPmJS6_EEE10hipError_tPvRmT3_T4_T5_T6_T7_T9_mT8_P12ihipStream_tbDpT10_ENKUlT_T0_E_clISt17integral_constantIbLb0EES1B_IbLb1EEEEDaS17_S18_EUlS17_E_NS1_11comp_targetILNS1_3genE5ELNS1_11target_archE942ELNS1_3gpuE9ELNS1_3repE0EEENS1_30default_config_static_selectorELNS0_4arch9wavefront6targetE1EEEvT1_
	.p2align	8
	.type	_ZN7rocprim17ROCPRIM_400000_NS6detail17trampoline_kernelINS0_14default_configENS1_25partition_config_selectorILNS1_17partition_subalgoE8ElNS0_10empty_typeEbEEZZNS1_14partition_implILS5_8ELb0ES3_jPlPS6_PKS6_NS0_5tupleIJS9_S6_EEENSD_IJSA_SA_EEENS0_18inequality_wrapperIZN2at6native12_GLOBAL__N_124unique_dim_cuda_templateIfEESt5tupleIJNSH_6TensorESM_SM_EERKSM_lbbbEUlllE0_EEPmJS6_EEE10hipError_tPvRmT3_T4_T5_T6_T7_T9_mT8_P12ihipStream_tbDpT10_ENKUlT_T0_E_clISt17integral_constantIbLb0EES1B_IbLb1EEEEDaS17_S18_EUlS17_E_NS1_11comp_targetILNS1_3genE5ELNS1_11target_archE942ELNS1_3gpuE9ELNS1_3repE0EEENS1_30default_config_static_selectorELNS0_4arch9wavefront6targetE1EEEvT1_,@function
_ZN7rocprim17ROCPRIM_400000_NS6detail17trampoline_kernelINS0_14default_configENS1_25partition_config_selectorILNS1_17partition_subalgoE8ElNS0_10empty_typeEbEEZZNS1_14partition_implILS5_8ELb0ES3_jPlPS6_PKS6_NS0_5tupleIJS9_S6_EEENSD_IJSA_SA_EEENS0_18inequality_wrapperIZN2at6native12_GLOBAL__N_124unique_dim_cuda_templateIfEESt5tupleIJNSH_6TensorESM_SM_EERKSM_lbbbEUlllE0_EEPmJS6_EEE10hipError_tPvRmT3_T4_T5_T6_T7_T9_mT8_P12ihipStream_tbDpT10_ENKUlT_T0_E_clISt17integral_constantIbLb0EES1B_IbLb1EEEEDaS17_S18_EUlS17_E_NS1_11comp_targetILNS1_3genE5ELNS1_11target_archE942ELNS1_3gpuE9ELNS1_3repE0EEENS1_30default_config_static_selectorELNS0_4arch9wavefront6targetE1EEEvT1_: ; @_ZN7rocprim17ROCPRIM_400000_NS6detail17trampoline_kernelINS0_14default_configENS1_25partition_config_selectorILNS1_17partition_subalgoE8ElNS0_10empty_typeEbEEZZNS1_14partition_implILS5_8ELb0ES3_jPlPS6_PKS6_NS0_5tupleIJS9_S6_EEENSD_IJSA_SA_EEENS0_18inequality_wrapperIZN2at6native12_GLOBAL__N_124unique_dim_cuda_templateIfEESt5tupleIJNSH_6TensorESM_SM_EERKSM_lbbbEUlllE0_EEPmJS6_EEE10hipError_tPvRmT3_T4_T5_T6_T7_T9_mT8_P12ihipStream_tbDpT10_ENKUlT_T0_E_clISt17integral_constantIbLb0EES1B_IbLb1EEEEDaS17_S18_EUlS17_E_NS1_11comp_targetILNS1_3genE5ELNS1_11target_archE942ELNS1_3gpuE9ELNS1_3repE0EEENS1_30default_config_static_selectorELNS0_4arch9wavefront6targetE1EEEvT1_
; %bb.0:
	s_load_dwordx2 s[34:35], s[0:1], 0x28
	s_load_dwordx8 s[20:27], s[0:1], 0x40
	s_load_dwordx4 s[28:31], s[0:1], 0x60
	v_cmp_ne_u32_e64 s[2:3], 0, v0
	v_cmp_eq_u32_e64 s[18:19], 0, v0
	s_and_saveexec_b64 s[4:5], s[18:19]
	s_cbranch_execz .LBB961_4
; %bb.1:
	s_mov_b64 s[8:9], exec
	v_mbcnt_lo_u32_b32 v1, s8, 0
	v_mbcnt_hi_u32_b32 v1, s9, v1
	v_cmp_eq_u32_e32 vcc, 0, v1
                                        ; implicit-def: $vgpr2
	s_and_saveexec_b64 s[6:7], vcc
	s_cbranch_execz .LBB961_3
; %bb.2:
	s_load_dwordx2 s[10:11], s[0:1], 0x78
	s_bcnt1_i32_b64 s8, s[8:9]
	v_mov_b32_e32 v2, 0
	v_mov_b32_e32 v3, s8
	s_waitcnt lgkmcnt(0)
	global_atomic_add v2, v2, v3, s[10:11] sc0
.LBB961_3:
	s_or_b64 exec, exec, s[6:7]
	s_waitcnt vmcnt(0)
	v_readfirstlane_b32 s6, v2
	v_mov_b32_e32 v2, 0
	s_nop 0
	v_add_u32_e32 v1, s6, v1
	ds_write_b32 v2, v1
.LBB961_4:
	s_or_b64 exec, exec, s[4:5]
	v_mov_b32_e32 v3, 0
	s_load_dwordx4 s[4:7], s[0:1], 0x8
	s_load_dword s10, s[0:1], 0x70
	s_waitcnt lgkmcnt(0)
	s_barrier
	ds_read_b32 v1, v3
	s_waitcnt lgkmcnt(0)
	s_barrier
	global_load_dwordx2 v[4:5], v3, s[22:23]
	s_lshl_b64 s[0:1], s[6:7], 3
	s_mul_i32 s12, s10, 0xe00
	s_add_u32 s0, s4, s0
	s_addc_u32 s1, s5, s1
	s_add_i32 s4, s12, s6
	s_add_i32 s10, s10, -1
	s_sub_i32 s52, s24, s4
	s_add_u32 s4, s6, s12
	s_movk_i32 s11, 0xe00
	s_addc_u32 s5, s7, 0
	v_readfirstlane_b32 s33, v1
	v_mov_b32_e32 v6, s24
	v_mov_b32_e32 v7, s25
	v_mul_lo_u32 v2, v1, s11
	s_cmp_eq_u32 s33, s10
	v_cmp_ge_u64_e32 vcc, s[4:5], v[6:7]
	v_lshlrev_b64 v[6:7], 3, v[2:3]
	s_cselect_b64 s[24:25], -1, 0
	v_lshl_add_u64 v[18:19], s[0:1], 0, v[6:7]
	s_and_b64 s[0:1], vcc, s[24:25]
	s_xor_b64 s[36:37], s[0:1], -1
	s_mov_b64 s[8:9], -1
	s_and_b64 vcc, exec, s[36:37]
	s_waitcnt vmcnt(0)
	v_readfirstlane_b32 s22, v4
	v_readfirstlane_b32 s23, v5
	s_cbranch_vccz .LBB961_6
; %bb.5:
	v_lshlrev_b32_e32 v2, 3, v0
	v_lshl_add_u64 v[4:5], v[18:19], 0, v[2:3]
	v_add_co_u32_e32 v8, vcc, 0x1000, v4
	v_readfirstlane_b32 s4, v18
	s_nop 0
	v_addc_co_u32_e32 v9, vcc, 0, v5, vcc
	v_add_co_u32_e32 v10, vcc, 0x2000, v4
	v_readfirstlane_b32 s5, v19
	s_nop 0
	v_addc_co_u32_e32 v11, vcc, 0, v5, vcc
	v_add_co_u32_e32 v12, vcc, 0x3000, v4
	s_mov_b64 s[8:9], 0
	s_nop 0
	v_addc_co_u32_e32 v13, vcc, 0, v5, vcc
	v_add_co_u32_e32 v14, vcc, 0x4000, v4
	global_load_dwordx2 v[6:7], v2, s[4:5]
	s_nop 0
	v_addc_co_u32_e32 v15, vcc, 0, v5, vcc
	global_load_dwordx2 v[16:17], v[8:9], off
	global_load_dwordx2 v[20:21], v[10:11], off
	;; [unrolled: 1-line block ×4, first 2 shown]
	v_add_co_u32_e32 v8, vcc, 0x5000, v4
	s_nop 1
	v_addc_co_u32_e32 v9, vcc, 0, v5, vcc
	v_add_co_u32_e32 v4, vcc, 0x6000, v4
	global_load_dwordx2 v[8:9], v[8:9], off
	s_nop 0
	v_addc_co_u32_e32 v5, vcc, 0, v5, vcc
	global_load_dwordx2 v[4:5], v[4:5], off
	s_waitcnt vmcnt(5)
	ds_write2st64_b64 v2, v[6:7], v[16:17] offset1:8
	s_waitcnt vmcnt(3)
	ds_write2st64_b64 v2, v[20:21], v[22:23] offset0:16 offset1:24
	s_waitcnt vmcnt(1)
	ds_write2st64_b64 v2, v[24:25], v[8:9] offset0:32 offset1:40
	s_waitcnt vmcnt(0)
	ds_write_b64 v2, v[4:5] offset:24576
	s_waitcnt lgkmcnt(0)
	s_barrier
.LBB961_6:
	s_andn2_b64 vcc, exec, s[8:9]
	s_addk_i32 s52, 0xe00
	s_cbranch_vccnz .LBB961_22
; %bb.7:
	v_cmp_gt_u32_e32 vcc, s52, v0
                                        ; implicit-def: $vgpr2_vgpr3_vgpr4_vgpr5_vgpr6_vgpr7_vgpr8_vgpr9_vgpr10_vgpr11_vgpr12_vgpr13_vgpr14_vgpr15_vgpr16_vgpr17
	s_and_saveexec_b64 s[4:5], vcc
	s_cbranch_execz .LBB961_9
; %bb.8:
	v_lshlrev_b32_e32 v1, 3, v0
	v_readfirstlane_b32 s8, v18
	v_readfirstlane_b32 s9, v19
	s_nop 4
	global_load_dwordx2 v[2:3], v1, s[8:9]
.LBB961_9:
	s_or_b64 exec, exec, s[4:5]
	v_or_b32_e32 v1, 0x200, v0
	v_cmp_gt_u32_e32 vcc, s52, v1
	s_and_saveexec_b64 s[4:5], vcc
	s_cbranch_execz .LBB961_11
; %bb.10:
	v_lshlrev_b32_e32 v1, 3, v1
	v_readfirstlane_b32 s8, v18
	v_readfirstlane_b32 s9, v19
	s_nop 4
	global_load_dwordx2 v[4:5], v1, s[8:9]
.LBB961_11:
	s_or_b64 exec, exec, s[4:5]
	v_or_b32_e32 v1, 0x400, v0
	v_cmp_gt_u32_e32 vcc, s52, v1
	;; [unrolled: 12-line block ×6, first 2 shown]
	s_and_saveexec_b64 s[4:5], vcc
	s_cbranch_execz .LBB961_21
; %bb.20:
	v_lshlrev_b32_e32 v1, 3, v1
	v_readfirstlane_b32 s8, v18
	v_readfirstlane_b32 s9, v19
	s_nop 4
	global_load_dwordx2 v[14:15], v1, s[8:9]
.LBB961_21:
	s_or_b64 exec, exec, s[4:5]
	v_lshlrev_b32_e32 v1, 3, v0
	s_waitcnt vmcnt(0)
	ds_write2st64_b64 v1, v[2:3], v[4:5] offset1:8
	ds_write2st64_b64 v1, v[6:7], v[8:9] offset0:16 offset1:24
	ds_write2st64_b64 v1, v[10:11], v[12:13] offset0:32 offset1:40
	ds_write_b64 v1, v[14:15] offset:24576
	s_waitcnt lgkmcnt(0)
	s_barrier
.LBB961_22:
	v_mul_u32_u24_e32 v1, 7, v0
	v_lshlrev_b32_e32 v32, 3, v1
	ds_read2_b64 v[10:13], v32 offset1:1
	ds_read2_b64 v[6:9], v32 offset0:2 offset1:3
	ds_read2_b64 v[2:5], v32 offset0:4 offset1:5
	ds_read_b64 v[14:15], v32 offset:48
	s_cmp_lg_u32 s33, 0
	s_cselect_b64 s[16:17], -1, 0
	s_cmp_lg_u64 s[6:7], 0
	s_cselect_b64 s[4:5], -1, 0
	s_or_b64 s[4:5], s[4:5], s[16:17]
	v_mad_u32_u24 v27, v0, 7, 1
	v_mad_u32_u24 v26, v0, 7, 2
	;; [unrolled: 1-line block ×6, first 2 shown]
	s_mov_b64 s[8:9], 0
	s_and_b64 vcc, exec, s[4:5]
	v_cmp_gt_i64_e64 s[4:5], s[26:27], 0
	s_waitcnt lgkmcnt(0)
	s_barrier
	s_cbranch_vccz .LBB961_31
; %bb.23:
	global_load_dwordx2 v[16:17], v[18:19], off offset:-8
	v_cndmask_b32_e64 v18, 0, 1, s[4:5]
	v_lshlrev_b32_e32 v33, 3, v0
	s_mov_b64 s[6:7], 0
	s_and_b64 vcc, exec, s[36:37]
	v_cmp_ne_u32_e64 s[4:5], 1, v18
	ds_write_b64 v33, v[14:15]
	s_cbranch_vccz .LBB961_33
; %bb.24:
	v_mul_lo_u32 v20, v5, s26
	v_mul_lo_u32 v21, v4, s27
	v_mad_u64_u32 v[18:19], s[8:9], v4, s26, 0
	v_add3_u32 v19, v19, v21, v20
	s_and_b64 vcc, exec, s[4:5]
	v_lshl_add_u64 v[18:19], v[18:19], 2, s[28:29]
	s_cbranch_vccnz .LBB961_36
; %bb.25:
	v_mul_lo_u32 v22, v15, s26
	v_mul_lo_u32 v23, v14, s27
	v_mad_u64_u32 v[20:21], s[6:7], v14, s26, 0
	v_add3_u32 v21, v21, v23, v22
	v_lshl_add_u64 v[20:21], v[20:21], 2, s[28:29]
	global_load_dword v22, v[18:19], off
	global_load_dword v23, v[20:21], off
	s_mov_b64 s[6:7], -1
	s_waitcnt vmcnt(0)
	v_cmp_eq_f32_e32 vcc, v22, v23
	s_and_saveexec_b64 s[8:9], vcc
	s_cbranch_execz .LBB961_35
; %bb.26:
	s_add_u32 s6, s26, -1
	v_lshl_add_u64 v[20:21], v[20:21], 0, 4
	v_lshl_add_u64 v[22:23], v[18:19], 0, 4
	s_addc_u32 s7, s27, -1
	s_mov_b64 s[10:11], 0
	s_mov_b64 s[14:15], 0
                                        ; implicit-def: $sgpr12_sgpr13
	s_branch .LBB961_29
.LBB961_27:                             ;   in Loop: Header=BB961_29 Depth=1
	global_load_dword v24, v[22:23], off
	global_load_dword v25, v[20:21], off
	s_add_u32 s14, s14, 1
	s_addc_u32 s15, s15, 0
	s_andn2_b64 s[12:13], s[12:13], exec
	v_lshl_add_u64 v[20:21], v[20:21], 0, 4
	v_lshl_add_u64 v[22:23], v[22:23], 0, 4
	s_waitcnt vmcnt(0)
	v_cmp_neq_f32_e32 vcc, v24, v25
	s_and_b64 s[38:39], vcc, exec
	s_or_b64 s[12:13], s[12:13], s[38:39]
.LBB961_28:                             ;   in Loop: Header=BB961_29 Depth=1
	s_and_b64 s[38:39], exec, s[12:13]
	s_or_b64 s[10:11], s[38:39], s[10:11]
	v_mov_b64_e32 v[24:25], s[14:15]
	s_andn2_b64 exec, exec, s[10:11]
	s_cbranch_execz .LBB961_34
.LBB961_29:                             ; =>This Inner Loop Header: Depth=1
	s_or_b64 s[12:13], s[12:13], exec
	s_cmp_eq_u64 s[6:7], s[14:15]
	s_cbranch_scc0 .LBB961_27
; %bb.30:                               ;   in Loop: Header=BB961_29 Depth=1
                                        ; implicit-def: $vgpr20_vgpr21
                                        ; implicit-def: $vgpr22_vgpr23
	s_mov_b64 s[14:15], s[26:27]
	s_branch .LBB961_28
.LBB961_31:
                                        ; implicit-def: $sgpr12_sgpr13
                                        ; implicit-def: $vgpr35
                                        ; implicit-def: $vgpr34
                                        ; implicit-def: $vgpr25
                                        ; implicit-def: $vgpr20
	s_branch .LBB961_174
.LBB961_32:
                                        ; implicit-def: $vgpr16_vgpr17
	s_branch .LBB961_322
.LBB961_33:
                                        ; implicit-def: $sgpr12_sgpr13
                                        ; implicit-def: $vgpr35
                                        ; implicit-def: $vgpr34
                                        ; implicit-def: $vgpr25
                                        ; implicit-def: $vgpr20
	s_cbranch_execnz .LBB961_93
	s_branch .LBB961_173
.LBB961_34:
	s_or_b64 exec, exec, s[10:11]
	v_cmp_gt_i64_e32 vcc, s[26:27], v[24:25]
	s_orn2_b64 s[6:7], vcc, exec
.LBB961_35:
	s_or_b64 exec, exec, s[8:9]
.LBB961_36:
	v_mul_lo_u32 v22, v3, s26
	v_mul_lo_u32 v23, v2, s27
	v_mad_u64_u32 v[20:21], s[8:9], v2, s26, 0
	v_add3_u32 v21, v21, v23, v22
	s_mov_b64 s[8:9], 0
	s_and_b64 vcc, exec, s[4:5]
	v_lshl_add_u64 v[20:21], v[20:21], 2, s[28:29]
	s_mov_b64 s[10:11], 0
	s_cbranch_vccnz .LBB961_45
; %bb.37:
	global_load_dword v22, v[20:21], off
	global_load_dword v23, v[18:19], off
	s_mov_b64 s[10:11], -1
	s_waitcnt vmcnt(0)
	v_cmp_eq_f32_e32 vcc, v22, v23
	s_and_saveexec_b64 s[12:13], vcc
	s_cbranch_execz .LBB961_44
; %bb.38:
	s_add_u32 s10, s26, -1
	v_lshl_add_u64 v[18:19], v[18:19], 0, 4
	v_lshl_add_u64 v[22:23], v[20:21], 0, 4
	s_addc_u32 s11, s27, -1
	s_mov_b64 s[14:15], 0
	s_mov_b64 s[40:41], 0
                                        ; implicit-def: $sgpr38_sgpr39
	s_branch .LBB961_41
.LBB961_39:                             ;   in Loop: Header=BB961_41 Depth=1
	global_load_dword v24, v[22:23], off
	global_load_dword v25, v[18:19], off
	s_add_u32 s40, s40, 1
	s_addc_u32 s41, s41, 0
	s_andn2_b64 s[38:39], s[38:39], exec
	v_lshl_add_u64 v[18:19], v[18:19], 0, 4
	v_lshl_add_u64 v[22:23], v[22:23], 0, 4
	s_waitcnt vmcnt(0)
	v_cmp_neq_f32_e32 vcc, v24, v25
	s_and_b64 s[42:43], vcc, exec
	s_or_b64 s[38:39], s[38:39], s[42:43]
.LBB961_40:                             ;   in Loop: Header=BB961_41 Depth=1
	s_and_b64 s[42:43], exec, s[38:39]
	s_or_b64 s[14:15], s[42:43], s[14:15]
	v_mov_b64_e32 v[24:25], s[40:41]
	s_andn2_b64 exec, exec, s[14:15]
	s_cbranch_execz .LBB961_43
.LBB961_41:                             ; =>This Inner Loop Header: Depth=1
	s_or_b64 s[38:39], s[38:39], exec
	s_cmp_eq_u64 s[10:11], s[40:41]
	s_cbranch_scc0 .LBB961_39
; %bb.42:                               ;   in Loop: Header=BB961_41 Depth=1
                                        ; implicit-def: $vgpr18_vgpr19
                                        ; implicit-def: $vgpr22_vgpr23
	s_mov_b64 s[40:41], s[26:27]
	s_branch .LBB961_40
.LBB961_43:
	s_or_b64 exec, exec, s[14:15]
	v_cmp_gt_i64_e32 vcc, s[26:27], v[24:25]
	s_orn2_b64 s[10:11], vcc, exec
.LBB961_44:
	s_or_b64 exec, exec, s[12:13]
.LBB961_45:
	v_mul_lo_u32 v22, v9, s26
	v_mul_lo_u32 v23, v8, s27
	v_mad_u64_u32 v[18:19], s[12:13], v8, s26, 0
	v_add3_u32 v19, v19, v23, v22
	s_and_b64 vcc, exec, s[4:5]
	v_lshl_add_u64 v[18:19], v[18:19], 2, s[28:29]
	s_cbranch_vccnz .LBB961_54
; %bb.46:
	global_load_dword v22, v[18:19], off
	global_load_dword v23, v[20:21], off
	s_mov_b64 s[8:9], -1
	s_waitcnt vmcnt(0)
	v_cmp_eq_f32_e32 vcc, v22, v23
	s_and_saveexec_b64 s[12:13], vcc
	s_cbranch_execz .LBB961_53
; %bb.47:
	s_add_u32 s8, s26, -1
	v_lshl_add_u64 v[20:21], v[20:21], 0, 4
	v_lshl_add_u64 v[22:23], v[18:19], 0, 4
	s_addc_u32 s9, s27, -1
	s_mov_b64 s[14:15], 0
	s_mov_b64 s[40:41], 0
                                        ; implicit-def: $sgpr38_sgpr39
	s_branch .LBB961_50
.LBB961_48:                             ;   in Loop: Header=BB961_50 Depth=1
	global_load_dword v24, v[22:23], off
	global_load_dword v25, v[20:21], off
	s_add_u32 s40, s40, 1
	s_addc_u32 s41, s41, 0
	s_andn2_b64 s[38:39], s[38:39], exec
	v_lshl_add_u64 v[20:21], v[20:21], 0, 4
	v_lshl_add_u64 v[22:23], v[22:23], 0, 4
	s_waitcnt vmcnt(0)
	v_cmp_neq_f32_e32 vcc, v24, v25
	s_and_b64 s[42:43], vcc, exec
	s_or_b64 s[38:39], s[38:39], s[42:43]
.LBB961_49:                             ;   in Loop: Header=BB961_50 Depth=1
	s_and_b64 s[42:43], exec, s[38:39]
	s_or_b64 s[14:15], s[42:43], s[14:15]
	v_mov_b64_e32 v[24:25], s[40:41]
	s_andn2_b64 exec, exec, s[14:15]
	s_cbranch_execz .LBB961_52
.LBB961_50:                             ; =>This Inner Loop Header: Depth=1
	s_or_b64 s[38:39], s[38:39], exec
	s_cmp_eq_u64 s[8:9], s[40:41]
	s_cbranch_scc0 .LBB961_48
; %bb.51:                               ;   in Loop: Header=BB961_50 Depth=1
                                        ; implicit-def: $vgpr20_vgpr21
                                        ; implicit-def: $vgpr22_vgpr23
	s_mov_b64 s[40:41], s[26:27]
	s_branch .LBB961_49
.LBB961_52:
	s_or_b64 exec, exec, s[14:15]
	v_cmp_gt_i64_e32 vcc, s[26:27], v[24:25]
	s_orn2_b64 s[8:9], vcc, exec
.LBB961_53:
	s_or_b64 exec, exec, s[12:13]
.LBB961_54:
	v_mul_lo_u32 v22, v7, s26
	v_mul_lo_u32 v23, v6, s27
	v_mad_u64_u32 v[20:21], s[12:13], v6, s26, 0
	v_add3_u32 v21, v21, v23, v22
	s_mov_b64 s[12:13], 0
	s_and_b64 vcc, exec, s[4:5]
	v_lshl_add_u64 v[22:23], v[20:21], 2, s[28:29]
	s_mov_b64 s[14:15], 0
	s_cbranch_vccnz .LBB961_63
; %bb.55:
	global_load_dword v20, v[22:23], off
	global_load_dword v21, v[18:19], off
	s_mov_b64 s[14:15], -1
	s_waitcnt vmcnt(0)
	v_cmp_eq_f32_e32 vcc, v20, v21
	s_and_saveexec_b64 s[38:39], vcc
	s_cbranch_execz .LBB961_62
; %bb.56:
	s_add_u32 s14, s26, -1
	v_lshl_add_u64 v[18:19], v[18:19], 0, 4
	v_lshl_add_u64 v[20:21], v[22:23], 0, 4
	s_addc_u32 s15, s27, -1
	s_mov_b64 s[40:41], 0
	s_mov_b64 s[44:45], 0
                                        ; implicit-def: $sgpr42_sgpr43
	s_branch .LBB961_59
.LBB961_57:                             ;   in Loop: Header=BB961_59 Depth=1
	global_load_dword v24, v[20:21], off
	global_load_dword v25, v[18:19], off
	s_add_u32 s44, s44, 1
	s_addc_u32 s45, s45, 0
	s_andn2_b64 s[42:43], s[42:43], exec
	v_lshl_add_u64 v[18:19], v[18:19], 0, 4
	v_lshl_add_u64 v[20:21], v[20:21], 0, 4
	s_waitcnt vmcnt(0)
	v_cmp_neq_f32_e32 vcc, v24, v25
	s_and_b64 s[46:47], vcc, exec
	s_or_b64 s[42:43], s[42:43], s[46:47]
.LBB961_58:                             ;   in Loop: Header=BB961_59 Depth=1
	s_and_b64 s[46:47], exec, s[42:43]
	s_or_b64 s[40:41], s[46:47], s[40:41]
	v_mov_b64_e32 v[24:25], s[44:45]
	s_andn2_b64 exec, exec, s[40:41]
	s_cbranch_execz .LBB961_61
.LBB961_59:                             ; =>This Inner Loop Header: Depth=1
	s_or_b64 s[42:43], s[42:43], exec
	s_cmp_eq_u64 s[14:15], s[44:45]
	s_cbranch_scc0 .LBB961_57
; %bb.60:                               ;   in Loop: Header=BB961_59 Depth=1
                                        ; implicit-def: $vgpr18_vgpr19
                                        ; implicit-def: $vgpr20_vgpr21
	s_mov_b64 s[44:45], s[26:27]
	s_branch .LBB961_58
.LBB961_61:
	s_or_b64 exec, exec, s[40:41]
	v_cmp_gt_i64_e32 vcc, s[26:27], v[24:25]
	s_orn2_b64 s[14:15], vcc, exec
.LBB961_62:
	s_or_b64 exec, exec, s[38:39]
.LBB961_63:
	v_mul_lo_u32 v20, v13, s26
	v_mul_lo_u32 v21, v12, s27
	v_mad_u64_u32 v[18:19], s[38:39], v12, s26, 0
	v_add3_u32 v19, v19, v21, v20
	s_and_b64 vcc, exec, s[4:5]
	v_lshl_add_u64 v[20:21], v[18:19], 2, s[28:29]
	s_cbranch_vccnz .LBB961_72
; %bb.64:
	global_load_dword v18, v[20:21], off
	global_load_dword v19, v[22:23], off
	s_mov_b64 s[12:13], -1
	s_waitcnt vmcnt(0)
	v_cmp_eq_f32_e32 vcc, v18, v19
	s_and_saveexec_b64 s[38:39], vcc
	s_cbranch_execz .LBB961_71
; %bb.65:
	s_add_u32 s12, s26, -1
	v_lshl_add_u64 v[18:19], v[22:23], 0, 4
	v_lshl_add_u64 v[22:23], v[20:21], 0, 4
	s_addc_u32 s13, s27, -1
	s_mov_b64 s[40:41], 0
	s_mov_b64 s[44:45], 0
                                        ; implicit-def: $sgpr42_sgpr43
	s_branch .LBB961_68
.LBB961_66:                             ;   in Loop: Header=BB961_68 Depth=1
	global_load_dword v24, v[22:23], off
	global_load_dword v25, v[18:19], off
	s_add_u32 s44, s44, 1
	s_addc_u32 s45, s45, 0
	s_andn2_b64 s[42:43], s[42:43], exec
	v_lshl_add_u64 v[18:19], v[18:19], 0, 4
	v_lshl_add_u64 v[22:23], v[22:23], 0, 4
	s_waitcnt vmcnt(0)
	v_cmp_neq_f32_e32 vcc, v24, v25
	s_and_b64 s[46:47], vcc, exec
	s_or_b64 s[42:43], s[42:43], s[46:47]
.LBB961_67:                             ;   in Loop: Header=BB961_68 Depth=1
	s_and_b64 s[46:47], exec, s[42:43]
	s_or_b64 s[40:41], s[46:47], s[40:41]
	v_mov_b64_e32 v[24:25], s[44:45]
	s_andn2_b64 exec, exec, s[40:41]
	s_cbranch_execz .LBB961_70
.LBB961_68:                             ; =>This Inner Loop Header: Depth=1
	s_or_b64 s[42:43], s[42:43], exec
	s_cmp_eq_u64 s[12:13], s[44:45]
	s_cbranch_scc0 .LBB961_66
; %bb.69:                               ;   in Loop: Header=BB961_68 Depth=1
                                        ; implicit-def: $vgpr18_vgpr19
                                        ; implicit-def: $vgpr22_vgpr23
	s_mov_b64 s[44:45], s[26:27]
	s_branch .LBB961_67
.LBB961_70:
	s_or_b64 exec, exec, s[40:41]
	v_cmp_gt_i64_e32 vcc, s[26:27], v[24:25]
	s_orn2_b64 s[12:13], vcc, exec
.LBB961_71:
	s_or_b64 exec, exec, s[38:39]
.LBB961_72:
	v_mul_lo_u32 v22, v11, s26
	v_mul_lo_u32 v23, v10, s27
	v_mad_u64_u32 v[18:19], s[38:39], v10, s26, 0
	v_add3_u32 v19, v19, v23, v22
	s_mov_b64 s[40:41], 0
	s_and_b64 vcc, exec, s[4:5]
	v_lshl_add_u64 v[18:19], v[18:19], 2, s[28:29]
	s_cbranch_vccnz .LBB961_81
; %bb.73:
	global_load_dword v22, v[18:19], off
	global_load_dword v23, v[20:21], off
	s_mov_b64 s[40:41], -1
	s_waitcnt vmcnt(0)
	v_cmp_eq_f32_e32 vcc, v22, v23
	s_and_saveexec_b64 s[38:39], vcc
	s_cbranch_execz .LBB961_80
; %bb.74:
	s_add_u32 s40, s26, -1
	v_lshl_add_u64 v[20:21], v[20:21], 0, 4
	v_lshl_add_u64 v[22:23], v[18:19], 0, 4
	s_addc_u32 s41, s27, -1
	s_mov_b64 s[42:43], 0
	s_mov_b64 s[46:47], 0
                                        ; implicit-def: $sgpr44_sgpr45
	s_branch .LBB961_77
.LBB961_75:                             ;   in Loop: Header=BB961_77 Depth=1
	global_load_dword v24, v[22:23], off
	global_load_dword v25, v[20:21], off
	s_add_u32 s46, s46, 1
	s_addc_u32 s47, s47, 0
	s_andn2_b64 s[44:45], s[44:45], exec
	v_lshl_add_u64 v[20:21], v[20:21], 0, 4
	v_lshl_add_u64 v[22:23], v[22:23], 0, 4
	s_waitcnt vmcnt(0)
	v_cmp_neq_f32_e32 vcc, v24, v25
	s_and_b64 s[48:49], vcc, exec
	s_or_b64 s[44:45], s[44:45], s[48:49]
.LBB961_76:                             ;   in Loop: Header=BB961_77 Depth=1
	s_and_b64 s[48:49], exec, s[44:45]
	s_or_b64 s[42:43], s[48:49], s[42:43]
	v_mov_b64_e32 v[24:25], s[46:47]
	s_andn2_b64 exec, exec, s[42:43]
	s_cbranch_execz .LBB961_79
.LBB961_77:                             ; =>This Inner Loop Header: Depth=1
	s_or_b64 s[44:45], s[44:45], exec
	s_cmp_eq_u64 s[40:41], s[46:47]
	s_cbranch_scc0 .LBB961_75
; %bb.78:                               ;   in Loop: Header=BB961_77 Depth=1
                                        ; implicit-def: $vgpr20_vgpr21
                                        ; implicit-def: $vgpr22_vgpr23
	s_mov_b64 s[46:47], s[26:27]
	s_branch .LBB961_76
.LBB961_79:
	s_or_b64 exec, exec, s[42:43]
	v_cmp_gt_i64_e32 vcc, s[26:27], v[24:25]
	s_orn2_b64 s[40:41], vcc, exec
.LBB961_80:
	s_or_b64 exec, exec, s[38:39]
.LBB961_81:
	s_waitcnt vmcnt(0)
	v_mov_b64_e32 v[20:21], v[16:17]
	s_waitcnt lgkmcnt(0)
	s_barrier
	s_and_saveexec_b64 s[38:39], s[2:3]
	s_cbranch_execz .LBB961_83
; %bb.82:
	v_add_u32_e32 v20, -8, v33
	ds_read_b64 v[20:21], v20
.LBB961_83:
	s_or_b64 exec, exec, s[38:39]
	v_cndmask_b32_e64 v23, 0, 1, s[14:15]
	v_cndmask_b32_e64 v22, 0, 1, s[12:13]
	;; [unrolled: 1-line block ×3, first 2 shown]
	v_lshlrev_b16_e32 v23, 8, v23
	v_lshlrev_b16_e32 v24, 8, v24
	v_or_b32_sdwa v36, v22, v23 dst_sel:WORD_1 dst_unused:UNUSED_PAD src0_sel:DWORD src1_sel:DWORD
	s_mov_b64 s[14:15], 0
	s_and_b64 vcc, exec, s[4:5]
	s_mov_b64 s[12:13], 0
	s_cbranch_vccnz .LBB961_92
; %bb.84:
	s_waitcnt lgkmcnt(0)
	v_mul_lo_u32 v22, v21, s26
	v_mul_lo_u32 v23, v20, s27
	v_mad_u64_u32 v[20:21], s[12:13], v20, s26, 0
	v_add3_u32 v21, v21, v23, v22
	v_lshl_add_u64 v[20:21], v[20:21], 2, s[28:29]
	global_load_dword v22, v[20:21], off
	global_load_dword v23, v[18:19], off
	s_mov_b64 s[12:13], -1
	s_waitcnt vmcnt(0)
	v_cmp_eq_f32_e32 vcc, v22, v23
	s_and_saveexec_b64 s[38:39], vcc
	s_cbranch_execz .LBB961_91
; %bb.85:
	s_add_u32 s12, s26, -1
	v_lshl_add_u64 v[18:19], v[18:19], 0, 4
	v_lshl_add_u64 v[20:21], v[20:21], 0, 4
	s_addc_u32 s13, s27, -1
	s_mov_b64 s[40:41], 0
	s_mov_b64 s[44:45], 0
                                        ; implicit-def: $sgpr42_sgpr43
	s_branch .LBB961_88
.LBB961_86:                             ;   in Loop: Header=BB961_88 Depth=1
	global_load_dword v22, v[20:21], off
	global_load_dword v23, v[18:19], off
	s_add_u32 s44, s44, 1
	s_addc_u32 s45, s45, 0
	s_andn2_b64 s[42:43], s[42:43], exec
	v_lshl_add_u64 v[18:19], v[18:19], 0, 4
	v_lshl_add_u64 v[20:21], v[20:21], 0, 4
	s_waitcnt vmcnt(0)
	v_cmp_neq_f32_e32 vcc, v22, v23
	s_and_b64 s[46:47], vcc, exec
	s_or_b64 s[42:43], s[42:43], s[46:47]
.LBB961_87:                             ;   in Loop: Header=BB961_88 Depth=1
	s_and_b64 s[46:47], exec, s[42:43]
	s_or_b64 s[40:41], s[46:47], s[40:41]
	v_mov_b64_e32 v[22:23], s[44:45]
	s_andn2_b64 exec, exec, s[40:41]
	s_cbranch_execz .LBB961_90
.LBB961_88:                             ; =>This Inner Loop Header: Depth=1
	s_or_b64 s[42:43], s[42:43], exec
	s_cmp_eq_u64 s[12:13], s[44:45]
	s_cbranch_scc0 .LBB961_86
; %bb.89:                               ;   in Loop: Header=BB961_88 Depth=1
                                        ; implicit-def: $vgpr18_vgpr19
                                        ; implicit-def: $vgpr20_vgpr21
	s_mov_b64 s[44:45], s[26:27]
	s_branch .LBB961_87
.LBB961_90:
	s_or_b64 exec, exec, s[40:41]
	v_cmp_gt_i64_e32 vcc, s[26:27], v[22:23]
	s_orn2_b64 s[12:13], vcc, exec
.LBB961_91:
	s_or_b64 exec, exec, s[38:39]
.LBB961_92:
	v_cndmask_b32_e64 v25, 0, 1, s[8:9]
	v_cndmask_b32_e64 v34, 0, 1, s[10:11]
	;; [unrolled: 1-line block ×3, first 2 shown]
	s_waitcnt lgkmcnt(0)
	v_or_b32_e32 v20, v24, v36
	s_and_b64 vcc, exec, s[14:15]
	s_cbranch_vccz .LBB961_173
.LBB961_93:
	v_cmp_gt_u32_e32 vcc, s52, v29
	s_mov_b64 s[8:9], 0
	s_mov_b64 s[6:7], 0
	s_and_saveexec_b64 s[10:11], vcc
	s_cbranch_execz .LBB961_104
; %bb.94:
	s_and_b64 vcc, exec, s[4:5]
	s_mov_b64 s[12:13], 0
	s_cbranch_vccnz .LBB961_103
; %bb.95:
	v_mul_lo_u32 v20, v5, s26
	v_mul_lo_u32 v21, v4, s27
	v_mad_u64_u32 v[18:19], s[6:7], v4, s26, 0
	v_add3_u32 v19, v19, v21, v20
	v_mul_lo_u32 v20, v15, s26
	v_mul_lo_u32 v21, v14, s27
	v_mad_u64_u32 v[22:23], s[6:7], v14, s26, 0
	v_add3_u32 v23, v23, v21, v20
	v_lshl_add_u64 v[20:21], v[18:19], 2, s[28:29]
	v_lshl_add_u64 v[18:19], v[22:23], 2, s[28:29]
	global_load_dword v22, v[20:21], off
	global_load_dword v23, v[18:19], off
	s_mov_b64 s[12:13], -1
	s_waitcnt vmcnt(0)
	v_cmp_eq_f32_e32 vcc, v22, v23
	s_and_saveexec_b64 s[6:7], vcc
	s_cbranch_execz .LBB961_102
; %bb.96:
	s_add_u32 s12, s26, -1
	v_lshl_add_u64 v[18:19], v[18:19], 0, 4
	v_lshl_add_u64 v[20:21], v[20:21], 0, 4
	s_addc_u32 s13, s27, -1
	s_mov_b64 s[14:15], 0
	s_mov_b64 s[40:41], 0
                                        ; implicit-def: $sgpr38_sgpr39
	s_branch .LBB961_99
.LBB961_97:                             ;   in Loop: Header=BB961_99 Depth=1
	global_load_dword v22, v[20:21], off
	global_load_dword v23, v[18:19], off
	s_add_u32 s40, s40, 1
	s_addc_u32 s41, s41, 0
	s_andn2_b64 s[38:39], s[38:39], exec
	v_lshl_add_u64 v[18:19], v[18:19], 0, 4
	v_lshl_add_u64 v[20:21], v[20:21], 0, 4
	s_waitcnt vmcnt(0)
	v_cmp_neq_f32_e32 vcc, v22, v23
	s_and_b64 s[42:43], vcc, exec
	s_or_b64 s[38:39], s[38:39], s[42:43]
.LBB961_98:                             ;   in Loop: Header=BB961_99 Depth=1
	s_and_b64 s[42:43], exec, s[38:39]
	s_or_b64 s[14:15], s[42:43], s[14:15]
	v_mov_b64_e32 v[22:23], s[40:41]
	s_andn2_b64 exec, exec, s[14:15]
	s_cbranch_execz .LBB961_101
.LBB961_99:                             ; =>This Inner Loop Header: Depth=1
	s_or_b64 s[38:39], s[38:39], exec
	s_cmp_eq_u64 s[12:13], s[40:41]
	s_cbranch_scc0 .LBB961_97
; %bb.100:                              ;   in Loop: Header=BB961_99 Depth=1
                                        ; implicit-def: $vgpr18_vgpr19
                                        ; implicit-def: $vgpr20_vgpr21
	s_mov_b64 s[40:41], s[26:27]
	s_branch .LBB961_98
.LBB961_101:
	s_or_b64 exec, exec, s[14:15]
	v_cmp_gt_i64_e32 vcc, s[26:27], v[22:23]
	s_orn2_b64 s[12:13], vcc, exec
.LBB961_102:
	s_or_b64 exec, exec, s[6:7]
.LBB961_103:
	s_and_b64 s[6:7], s[12:13], exec
.LBB961_104:
	s_or_b64 exec, exec, s[10:11]
	v_cmp_gt_u32_e32 vcc, s52, v31
	s_and_saveexec_b64 s[10:11], vcc
	s_cbranch_execz .LBB961_115
; %bb.105:
	s_and_b64 vcc, exec, s[4:5]
	s_mov_b64 s[12:13], 0
	s_cbranch_vccnz .LBB961_114
; %bb.106:
	v_mul_lo_u32 v20, v3, s26
	v_mul_lo_u32 v21, v2, s27
	v_mad_u64_u32 v[18:19], s[8:9], v2, s26, 0
	v_add3_u32 v19, v19, v21, v20
	v_mul_lo_u32 v20, v5, s26
	v_mul_lo_u32 v21, v4, s27
	v_mad_u64_u32 v[22:23], s[8:9], v4, s26, 0
	v_add3_u32 v23, v23, v21, v20
	v_lshl_add_u64 v[20:21], v[18:19], 2, s[28:29]
	v_lshl_add_u64 v[18:19], v[22:23], 2, s[28:29]
	global_load_dword v22, v[20:21], off
	global_load_dword v23, v[18:19], off
	s_mov_b64 s[12:13], -1
	s_waitcnt vmcnt(0)
	v_cmp_eq_f32_e32 vcc, v22, v23
	s_and_saveexec_b64 s[8:9], vcc
	s_cbranch_execz .LBB961_113
; %bb.107:
	s_add_u32 s12, s26, -1
	v_lshl_add_u64 v[18:19], v[18:19], 0, 4
	v_lshl_add_u64 v[20:21], v[20:21], 0, 4
	s_addc_u32 s13, s27, -1
	s_mov_b64 s[14:15], 0
	s_mov_b64 s[40:41], 0
                                        ; implicit-def: $sgpr38_sgpr39
	s_branch .LBB961_110
.LBB961_108:                            ;   in Loop: Header=BB961_110 Depth=1
	global_load_dword v22, v[20:21], off
	global_load_dword v23, v[18:19], off
	s_add_u32 s40, s40, 1
	s_addc_u32 s41, s41, 0
	s_andn2_b64 s[38:39], s[38:39], exec
	v_lshl_add_u64 v[18:19], v[18:19], 0, 4
	v_lshl_add_u64 v[20:21], v[20:21], 0, 4
	s_waitcnt vmcnt(0)
	v_cmp_neq_f32_e32 vcc, v22, v23
	s_and_b64 s[42:43], vcc, exec
	s_or_b64 s[38:39], s[38:39], s[42:43]
.LBB961_109:                            ;   in Loop: Header=BB961_110 Depth=1
	s_and_b64 s[42:43], exec, s[38:39]
	s_or_b64 s[14:15], s[42:43], s[14:15]
	v_mov_b64_e32 v[22:23], s[40:41]
	s_andn2_b64 exec, exec, s[14:15]
	s_cbranch_execz .LBB961_112
.LBB961_110:                            ; =>This Inner Loop Header: Depth=1
	s_or_b64 s[38:39], s[38:39], exec
	s_cmp_eq_u64 s[12:13], s[40:41]
	s_cbranch_scc0 .LBB961_108
; %bb.111:                              ;   in Loop: Header=BB961_110 Depth=1
                                        ; implicit-def: $vgpr18_vgpr19
                                        ; implicit-def: $vgpr20_vgpr21
	s_mov_b64 s[40:41], s[26:27]
	s_branch .LBB961_109
.LBB961_112:
	s_or_b64 exec, exec, s[14:15]
	v_cmp_gt_i64_e32 vcc, s[26:27], v[22:23]
	s_orn2_b64 s[12:13], vcc, exec
.LBB961_113:
	s_or_b64 exec, exec, s[8:9]
.LBB961_114:
	s_and_b64 s[8:9], s[12:13], exec
.LBB961_115:
	s_or_b64 exec, exec, s[10:11]
	v_cmp_gt_u32_e32 vcc, s52, v28
	s_mov_b64 s[12:13], 0
	s_mov_b64 s[10:11], 0
	s_and_saveexec_b64 s[14:15], vcc
	s_cbranch_execz .LBB961_126
; %bb.116:
	s_and_b64 vcc, exec, s[4:5]
	s_mov_b64 s[38:39], 0
	s_cbranch_vccnz .LBB961_125
; %bb.117:
	v_mul_lo_u32 v20, v9, s26
	v_mul_lo_u32 v21, v8, s27
	v_mad_u64_u32 v[18:19], s[10:11], v8, s26, 0
	v_add3_u32 v19, v19, v21, v20
	v_mul_lo_u32 v20, v3, s26
	v_mul_lo_u32 v21, v2, s27
	v_mad_u64_u32 v[22:23], s[10:11], v2, s26, 0
	v_add3_u32 v23, v23, v21, v20
	v_lshl_add_u64 v[20:21], v[18:19], 2, s[28:29]
	v_lshl_add_u64 v[18:19], v[22:23], 2, s[28:29]
	global_load_dword v22, v[20:21], off
	global_load_dword v23, v[18:19], off
	s_mov_b64 s[38:39], -1
	s_waitcnt vmcnt(0)
	v_cmp_eq_f32_e32 vcc, v22, v23
	s_and_saveexec_b64 s[10:11], vcc
	s_cbranch_execz .LBB961_124
; %bb.118:
	s_add_u32 s38, s26, -1
	v_lshl_add_u64 v[18:19], v[18:19], 0, 4
	v_lshl_add_u64 v[20:21], v[20:21], 0, 4
	s_addc_u32 s39, s27, -1
	s_mov_b64 s[40:41], 0
	s_mov_b64 s[44:45], 0
                                        ; implicit-def: $sgpr42_sgpr43
	s_branch .LBB961_121
.LBB961_119:                            ;   in Loop: Header=BB961_121 Depth=1
	global_load_dword v22, v[20:21], off
	global_load_dword v23, v[18:19], off
	s_add_u32 s44, s44, 1
	s_addc_u32 s45, s45, 0
	s_andn2_b64 s[42:43], s[42:43], exec
	v_lshl_add_u64 v[18:19], v[18:19], 0, 4
	v_lshl_add_u64 v[20:21], v[20:21], 0, 4
	s_waitcnt vmcnt(0)
	v_cmp_neq_f32_e32 vcc, v22, v23
	s_and_b64 s[46:47], vcc, exec
	s_or_b64 s[42:43], s[42:43], s[46:47]
.LBB961_120:                            ;   in Loop: Header=BB961_121 Depth=1
	s_and_b64 s[46:47], exec, s[42:43]
	s_or_b64 s[40:41], s[46:47], s[40:41]
	v_mov_b64_e32 v[22:23], s[44:45]
	s_andn2_b64 exec, exec, s[40:41]
	s_cbranch_execz .LBB961_123
.LBB961_121:                            ; =>This Inner Loop Header: Depth=1
	s_or_b64 s[42:43], s[42:43], exec
	s_cmp_eq_u64 s[38:39], s[44:45]
	s_cbranch_scc0 .LBB961_119
; %bb.122:                              ;   in Loop: Header=BB961_121 Depth=1
                                        ; implicit-def: $vgpr18_vgpr19
                                        ; implicit-def: $vgpr20_vgpr21
	s_mov_b64 s[44:45], s[26:27]
	s_branch .LBB961_120
.LBB961_123:
	s_or_b64 exec, exec, s[40:41]
	v_cmp_gt_i64_e32 vcc, s[26:27], v[22:23]
	s_orn2_b64 s[38:39], vcc, exec
.LBB961_124:
	s_or_b64 exec, exec, s[10:11]
.LBB961_125:
	s_and_b64 s[10:11], s[38:39], exec
.LBB961_126:
	s_or_b64 exec, exec, s[14:15]
	v_cmp_gt_u32_e32 vcc, s52, v30
	s_and_saveexec_b64 s[14:15], vcc
	s_cbranch_execz .LBB961_137
; %bb.127:
	s_and_b64 vcc, exec, s[4:5]
	s_mov_b64 s[38:39], 0
	s_cbranch_vccnz .LBB961_136
; %bb.128:
	v_mul_lo_u32 v20, v7, s26
	v_mul_lo_u32 v21, v6, s27
	v_mad_u64_u32 v[18:19], s[12:13], v6, s26, 0
	v_add3_u32 v19, v19, v21, v20
	v_mul_lo_u32 v20, v9, s26
	v_mul_lo_u32 v21, v8, s27
	v_mad_u64_u32 v[22:23], s[12:13], v8, s26, 0
	v_add3_u32 v23, v23, v21, v20
	v_lshl_add_u64 v[20:21], v[18:19], 2, s[28:29]
	v_lshl_add_u64 v[18:19], v[22:23], 2, s[28:29]
	global_load_dword v22, v[20:21], off
	global_load_dword v23, v[18:19], off
	s_mov_b64 s[38:39], -1
	s_waitcnt vmcnt(0)
	v_cmp_eq_f32_e32 vcc, v22, v23
	s_and_saveexec_b64 s[12:13], vcc
	s_cbranch_execz .LBB961_135
; %bb.129:
	s_add_u32 s38, s26, -1
	v_lshl_add_u64 v[18:19], v[18:19], 0, 4
	v_lshl_add_u64 v[20:21], v[20:21], 0, 4
	s_addc_u32 s39, s27, -1
	s_mov_b64 s[40:41], 0
	s_mov_b64 s[44:45], 0
                                        ; implicit-def: $sgpr42_sgpr43
	s_branch .LBB961_132
.LBB961_130:                            ;   in Loop: Header=BB961_132 Depth=1
	global_load_dword v22, v[20:21], off
	global_load_dword v23, v[18:19], off
	s_add_u32 s44, s44, 1
	s_addc_u32 s45, s45, 0
	s_andn2_b64 s[42:43], s[42:43], exec
	v_lshl_add_u64 v[18:19], v[18:19], 0, 4
	v_lshl_add_u64 v[20:21], v[20:21], 0, 4
	s_waitcnt vmcnt(0)
	v_cmp_neq_f32_e32 vcc, v22, v23
	s_and_b64 s[46:47], vcc, exec
	s_or_b64 s[42:43], s[42:43], s[46:47]
.LBB961_131:                            ;   in Loop: Header=BB961_132 Depth=1
	s_and_b64 s[46:47], exec, s[42:43]
	s_or_b64 s[40:41], s[46:47], s[40:41]
	v_mov_b64_e32 v[22:23], s[44:45]
	s_andn2_b64 exec, exec, s[40:41]
	s_cbranch_execz .LBB961_134
.LBB961_132:                            ; =>This Inner Loop Header: Depth=1
	s_or_b64 s[42:43], s[42:43], exec
	s_cmp_eq_u64 s[38:39], s[44:45]
	s_cbranch_scc0 .LBB961_130
; %bb.133:                              ;   in Loop: Header=BB961_132 Depth=1
                                        ; implicit-def: $vgpr18_vgpr19
                                        ; implicit-def: $vgpr20_vgpr21
	s_mov_b64 s[44:45], s[26:27]
	s_branch .LBB961_131
.LBB961_134:
	s_or_b64 exec, exec, s[40:41]
	v_cmp_gt_i64_e32 vcc, s[26:27], v[22:23]
	s_orn2_b64 s[38:39], vcc, exec
.LBB961_135:
	s_or_b64 exec, exec, s[12:13]
.LBB961_136:
	s_and_b64 s[12:13], s[38:39], exec
.LBB961_137:
	s_or_b64 exec, exec, s[14:15]
	v_cmp_gt_u32_e32 vcc, s52, v26
	s_mov_b64 s[14:15], 0
	s_mov_b64 s[38:39], 0
	s_and_saveexec_b64 s[40:41], vcc
	s_cbranch_execz .LBB961_148
; %bb.138:
	s_and_b64 vcc, exec, s[4:5]
	s_mov_b64 s[42:43], 0
	s_cbranch_vccnz .LBB961_147
; %bb.139:
	v_mul_lo_u32 v20, v13, s26
	v_mul_lo_u32 v21, v12, s27
	v_mad_u64_u32 v[18:19], s[38:39], v12, s26, 0
	v_add3_u32 v19, v19, v21, v20
	v_mul_lo_u32 v20, v7, s26
	v_mul_lo_u32 v21, v6, s27
	v_mad_u64_u32 v[22:23], s[38:39], v6, s26, 0
	v_add3_u32 v23, v23, v21, v20
	v_lshl_add_u64 v[20:21], v[18:19], 2, s[28:29]
	v_lshl_add_u64 v[18:19], v[22:23], 2, s[28:29]
	global_load_dword v22, v[20:21], off
	global_load_dword v23, v[18:19], off
	s_mov_b64 s[42:43], -1
	s_waitcnt vmcnt(0)
	v_cmp_eq_f32_e32 vcc, v22, v23
	s_and_saveexec_b64 s[38:39], vcc
	s_cbranch_execz .LBB961_146
; %bb.140:
	s_add_u32 s42, s26, -1
	v_lshl_add_u64 v[18:19], v[18:19], 0, 4
	v_lshl_add_u64 v[20:21], v[20:21], 0, 4
	s_addc_u32 s43, s27, -1
	s_mov_b64 s[44:45], 0
	s_mov_b64 s[48:49], 0
                                        ; implicit-def: $sgpr46_sgpr47
	s_branch .LBB961_143
.LBB961_141:                            ;   in Loop: Header=BB961_143 Depth=1
	global_load_dword v22, v[20:21], off
	global_load_dword v23, v[18:19], off
	s_add_u32 s48, s48, 1
	s_addc_u32 s49, s49, 0
	s_andn2_b64 s[46:47], s[46:47], exec
	v_lshl_add_u64 v[18:19], v[18:19], 0, 4
	v_lshl_add_u64 v[20:21], v[20:21], 0, 4
	s_waitcnt vmcnt(0)
	v_cmp_neq_f32_e32 vcc, v22, v23
	s_and_b64 s[50:51], vcc, exec
	s_or_b64 s[46:47], s[46:47], s[50:51]
.LBB961_142:                            ;   in Loop: Header=BB961_143 Depth=1
	s_and_b64 s[50:51], exec, s[46:47]
	s_or_b64 s[44:45], s[50:51], s[44:45]
	v_mov_b64_e32 v[22:23], s[48:49]
	s_andn2_b64 exec, exec, s[44:45]
	s_cbranch_execz .LBB961_145
.LBB961_143:                            ; =>This Inner Loop Header: Depth=1
	s_or_b64 s[46:47], s[46:47], exec
	s_cmp_eq_u64 s[42:43], s[48:49]
	s_cbranch_scc0 .LBB961_141
; %bb.144:                              ;   in Loop: Header=BB961_143 Depth=1
                                        ; implicit-def: $vgpr18_vgpr19
                                        ; implicit-def: $vgpr20_vgpr21
	s_mov_b64 s[48:49], s[26:27]
	s_branch .LBB961_142
.LBB961_145:
	s_or_b64 exec, exec, s[44:45]
	v_cmp_gt_i64_e32 vcc, s[26:27], v[22:23]
	s_orn2_b64 s[42:43], vcc, exec
.LBB961_146:
	s_or_b64 exec, exec, s[38:39]
.LBB961_147:
	s_and_b64 s[38:39], s[42:43], exec
.LBB961_148:
	s_or_b64 exec, exec, s[40:41]
	v_cmp_gt_u32_e32 vcc, s52, v27
	s_and_saveexec_b64 s[40:41], vcc
	s_cbranch_execz .LBB961_159
; %bb.149:
	s_and_b64 vcc, exec, s[4:5]
	s_mov_b64 s[42:43], 0
	s_cbranch_vccnz .LBB961_158
; %bb.150:
	v_mul_lo_u32 v20, v11, s26
	v_mul_lo_u32 v21, v10, s27
	v_mad_u64_u32 v[18:19], s[14:15], v10, s26, 0
	v_add3_u32 v19, v19, v21, v20
	v_mul_lo_u32 v20, v13, s26
	v_mul_lo_u32 v21, v12, s27
	v_mad_u64_u32 v[22:23], s[14:15], v12, s26, 0
	v_add3_u32 v23, v23, v21, v20
	v_lshl_add_u64 v[20:21], v[18:19], 2, s[28:29]
	v_lshl_add_u64 v[18:19], v[22:23], 2, s[28:29]
	global_load_dword v22, v[20:21], off
	global_load_dword v23, v[18:19], off
	s_mov_b64 s[42:43], -1
	s_waitcnt vmcnt(0)
	v_cmp_eq_f32_e32 vcc, v22, v23
	s_and_saveexec_b64 s[14:15], vcc
	s_cbranch_execz .LBB961_157
; %bb.151:
	s_add_u32 s42, s26, -1
	v_lshl_add_u64 v[18:19], v[18:19], 0, 4
	v_lshl_add_u64 v[20:21], v[20:21], 0, 4
	s_addc_u32 s43, s27, -1
	s_mov_b64 s[44:45], 0
	s_mov_b64 s[48:49], 0
                                        ; implicit-def: $sgpr46_sgpr47
	s_branch .LBB961_154
.LBB961_152:                            ;   in Loop: Header=BB961_154 Depth=1
	global_load_dword v22, v[20:21], off
	global_load_dword v23, v[18:19], off
	s_add_u32 s48, s48, 1
	s_addc_u32 s49, s49, 0
	s_andn2_b64 s[46:47], s[46:47], exec
	v_lshl_add_u64 v[18:19], v[18:19], 0, 4
	v_lshl_add_u64 v[20:21], v[20:21], 0, 4
	s_waitcnt vmcnt(0)
	v_cmp_neq_f32_e32 vcc, v22, v23
	s_and_b64 s[50:51], vcc, exec
	s_or_b64 s[46:47], s[46:47], s[50:51]
.LBB961_153:                            ;   in Loop: Header=BB961_154 Depth=1
	s_and_b64 s[50:51], exec, s[46:47]
	s_or_b64 s[44:45], s[50:51], s[44:45]
	v_mov_b64_e32 v[22:23], s[48:49]
	s_andn2_b64 exec, exec, s[44:45]
	s_cbranch_execz .LBB961_156
.LBB961_154:                            ; =>This Inner Loop Header: Depth=1
	s_or_b64 s[46:47], s[46:47], exec
	s_cmp_eq_u64 s[42:43], s[48:49]
	s_cbranch_scc0 .LBB961_152
; %bb.155:                              ;   in Loop: Header=BB961_154 Depth=1
                                        ; implicit-def: $vgpr18_vgpr19
                                        ; implicit-def: $vgpr20_vgpr21
	s_mov_b64 s[48:49], s[26:27]
	s_branch .LBB961_153
.LBB961_156:
	s_or_b64 exec, exec, s[44:45]
	v_cmp_gt_i64_e32 vcc, s[26:27], v[22:23]
	s_orn2_b64 s[42:43], vcc, exec
.LBB961_157:
	s_or_b64 exec, exec, s[14:15]
.LBB961_158:
	s_and_b64 s[14:15], s[42:43], exec
.LBB961_159:
	s_or_b64 exec, exec, s[40:41]
	s_waitcnt lgkmcnt(0)
	s_barrier
	s_and_saveexec_b64 s[40:41], s[2:3]
	s_cbranch_execz .LBB961_161
; %bb.160:
	s_waitcnt vmcnt(0)
	v_add_u32_e32 v16, -8, v33
	ds_read_b64 v[16:17], v16
.LBB961_161:
	s_or_b64 exec, exec, s[40:41]
	v_cndmask_b32_e64 v19, 0, 1, s[12:13]
	v_cndmask_b32_e64 v18, 0, 1, s[38:39]
	;; [unrolled: 1-line block ×3, first 2 shown]
	v_lshlrev_b16_e32 v19, 8, v19
	v_cmp_gt_u32_e32 vcc, s52, v1
	v_lshlrev_b16_e32 v22, 8, v20
	v_or_b32_sdwa v23, v18, v19 dst_sel:WORD_1 dst_unused:UNUSED_PAD src0_sel:DWORD src1_sel:DWORD
	s_mov_b64 s[12:13], 0
	s_and_saveexec_b64 s[14:15], vcc
	s_cbranch_execz .LBB961_172
; %bb.162:
	s_and_b64 vcc, exec, s[4:5]
	s_cbranch_vccnz .LBB961_171
; %bb.163:
	s_waitcnt vmcnt(0) lgkmcnt(0)
	v_mul_lo_u32 v18, v17, s26
	v_mul_lo_u32 v19, v16, s27
	v_mad_u64_u32 v[16:17], s[4:5], v16, s26, 0
	v_add3_u32 v17, v17, v19, v18
	v_mul_lo_u32 v18, v11, s26
	v_mul_lo_u32 v19, v10, s27
	v_mad_u64_u32 v[20:21], s[4:5], v10, s26, 0
	v_add3_u32 v21, v21, v19, v18
	v_lshl_add_u64 v[18:19], v[16:17], 2, s[28:29]
	v_lshl_add_u64 v[16:17], v[20:21], 2, s[28:29]
	global_load_dword v20, v[18:19], off
	global_load_dword v21, v[16:17], off
	s_mov_b64 s[12:13], -1
	s_waitcnt vmcnt(0)
	v_cmp_eq_f32_e32 vcc, v20, v21
	s_and_saveexec_b64 s[4:5], vcc
	s_cbranch_execz .LBB961_170
; %bb.164:
	s_add_u32 s12, s26, -1
	v_lshl_add_u64 v[16:17], v[16:17], 0, 4
	v_lshl_add_u64 v[18:19], v[18:19], 0, 4
	s_addc_u32 s13, s27, -1
	s_mov_b64 s[38:39], 0
	s_mov_b64 s[42:43], 0
                                        ; implicit-def: $sgpr40_sgpr41
	s_branch .LBB961_167
.LBB961_165:                            ;   in Loop: Header=BB961_167 Depth=1
	global_load_dword v20, v[18:19], off
	global_load_dword v21, v[16:17], off
	s_add_u32 s42, s42, 1
	s_addc_u32 s43, s43, 0
	s_andn2_b64 s[40:41], s[40:41], exec
	v_lshl_add_u64 v[16:17], v[16:17], 0, 4
	v_lshl_add_u64 v[18:19], v[18:19], 0, 4
	s_waitcnt vmcnt(0)
	v_cmp_neq_f32_e32 vcc, v20, v21
	s_and_b64 s[44:45], vcc, exec
	s_or_b64 s[40:41], s[40:41], s[44:45]
.LBB961_166:                            ;   in Loop: Header=BB961_167 Depth=1
	s_and_b64 s[44:45], exec, s[40:41]
	s_or_b64 s[38:39], s[44:45], s[38:39]
	v_mov_b64_e32 v[20:21], s[42:43]
	s_andn2_b64 exec, exec, s[38:39]
	s_cbranch_execz .LBB961_169
.LBB961_167:                            ; =>This Inner Loop Header: Depth=1
	s_or_b64 s[40:41], s[40:41], exec
	s_cmp_eq_u64 s[12:13], s[42:43]
	s_cbranch_scc0 .LBB961_165
; %bb.168:                              ;   in Loop: Header=BB961_167 Depth=1
                                        ; implicit-def: $vgpr16_vgpr17
                                        ; implicit-def: $vgpr18_vgpr19
	s_mov_b64 s[42:43], s[26:27]
	s_branch .LBB961_166
.LBB961_169:
	s_or_b64 exec, exec, s[38:39]
	v_cmp_gt_i64_e32 vcc, s[26:27], v[20:21]
	s_orn2_b64 s[12:13], vcc, exec
.LBB961_170:
	s_or_b64 exec, exec, s[4:5]
.LBB961_171:
	s_and_b64 s[12:13], s[12:13], exec
.LBB961_172:
	s_or_b64 exec, exec, s[14:15]
	v_cndmask_b32_e64 v25, 0, 1, s[10:11]
	v_cndmask_b32_e64 v34, 0, 1, s[8:9]
	v_cndmask_b32_e64 v35, 0, 1, s[6:7]
	v_or_b32_e32 v20, v22, v23
.LBB961_173:
	s_mov_b64 s[8:9], -1
	s_cbranch_execnz .LBB961_32
.LBB961_174:
	s_movk_i32 s4, 0xffd0
	v_mad_i32_i24 v24, v0, s4, v32
	s_mov_b64 s[10:11], 0
	v_cmp_gt_i64_e64 s[6:7], s[26:27], 0
	s_and_b64 vcc, exec, s[36:37]
	ds_write_b64 v24, v[14:15]
	s_cbranch_vccz .LBB961_182
; %bb.175:
	v_mul_lo_u32 v18, v5, s26
	v_mul_lo_u32 v19, v4, s27
	s_waitcnt vmcnt(0) lgkmcnt(1)
	v_mad_u64_u32 v[16:17], s[4:5], v4, s26, 0
	v_add3_u32 v17, v17, v19, v18
	v_cndmask_b32_e64 v18, 0, 1, s[6:7]
	v_cmp_ne_u32_e64 s[4:5], 1, v18
	s_andn2_b64 vcc, exec, s[6:7]
	v_lshl_add_u64 v[16:17], v[16:17], 2, s[28:29]
	s_cbranch_vccnz .LBB961_185
; %bb.176:
	v_mul_lo_u32 v20, v15, s26
	v_mul_lo_u32 v21, v14, s27
	v_mad_u64_u32 v[18:19], s[10:11], v14, s26, 0
	v_add3_u32 v19, v19, v21, v20
	v_lshl_add_u64 v[18:19], v[18:19], 2, s[28:29]
	global_load_dword v20, v[16:17], off
	global_load_dword v21, v[18:19], off
	s_mov_b64 s[10:11], -1
	s_waitcnt vmcnt(0)
	v_cmp_eq_f32_e32 vcc, v20, v21
	s_and_saveexec_b64 s[12:13], vcc
	s_cbranch_execz .LBB961_184
; %bb.177:
	s_add_u32 s10, s26, -1
	v_lshl_add_u64 v[18:19], v[18:19], 0, 4
	v_lshl_add_u64 v[20:21], v[16:17], 0, 4
	s_addc_u32 s11, s27, -1
	s_mov_b64 s[14:15], 0
	s_mov_b64 s[40:41], 0
                                        ; implicit-def: $sgpr38_sgpr39
	s_branch .LBB961_180
.LBB961_178:                            ;   in Loop: Header=BB961_180 Depth=1
	global_load_dword v22, v[20:21], off
	global_load_dword v23, v[18:19], off
	s_add_u32 s40, s40, 1
	s_addc_u32 s41, s41, 0
	s_andn2_b64 s[38:39], s[38:39], exec
	v_lshl_add_u64 v[18:19], v[18:19], 0, 4
	v_lshl_add_u64 v[20:21], v[20:21], 0, 4
	s_waitcnt vmcnt(0)
	v_cmp_neq_f32_e32 vcc, v22, v23
	s_and_b64 s[42:43], vcc, exec
	s_or_b64 s[38:39], s[38:39], s[42:43]
.LBB961_179:                            ;   in Loop: Header=BB961_180 Depth=1
	s_and_b64 s[42:43], exec, s[38:39]
	s_or_b64 s[14:15], s[42:43], s[14:15]
	v_mov_b64_e32 v[22:23], s[40:41]
	s_andn2_b64 exec, exec, s[14:15]
	s_cbranch_execz .LBB961_183
.LBB961_180:                            ; =>This Inner Loop Header: Depth=1
	s_or_b64 s[38:39], s[38:39], exec
	s_cmp_eq_u64 s[10:11], s[40:41]
	s_cbranch_scc0 .LBB961_178
; %bb.181:                              ;   in Loop: Header=BB961_180 Depth=1
                                        ; implicit-def: $vgpr18_vgpr19
                                        ; implicit-def: $vgpr20_vgpr21
	s_mov_b64 s[40:41], s[26:27]
	s_branch .LBB961_179
.LBB961_182:
                                        ; implicit-def: $sgpr12_sgpr13
                                        ; implicit-def: $vgpr35
                                        ; implicit-def: $vgpr34
                                        ; implicit-def: $vgpr25
                                        ; implicit-def: $vgpr20
                                        ; implicit-def: $vgpr16_vgpr17
	s_cbranch_execnz .LBB961_242
	s_branch .LBB961_322
.LBB961_183:
	s_or_b64 exec, exec, s[14:15]
	v_cmp_gt_i64_e32 vcc, s[26:27], v[22:23]
	s_orn2_b64 s[10:11], vcc, exec
.LBB961_184:
	s_or_b64 exec, exec, s[12:13]
.LBB961_185:
	v_mul_lo_u32 v20, v3, s26
	v_mul_lo_u32 v21, v2, s27
	v_mad_u64_u32 v[18:19], s[12:13], v2, s26, 0
	v_add3_u32 v19, v19, v21, v20
	s_mov_b64 s[12:13], 0
	s_and_b64 vcc, exec, s[4:5]
	v_lshl_add_u64 v[18:19], v[18:19], 2, s[28:29]
	s_mov_b64 s[14:15], 0
	s_cbranch_vccnz .LBB961_194
; %bb.186:
	global_load_dword v20, v[18:19], off
	global_load_dword v21, v[16:17], off
	s_mov_b64 s[14:15], -1
	s_waitcnt vmcnt(0)
	v_cmp_eq_f32_e32 vcc, v20, v21
	s_and_saveexec_b64 s[38:39], vcc
	s_cbranch_execz .LBB961_193
; %bb.187:
	s_add_u32 s14, s26, -1
	v_lshl_add_u64 v[16:17], v[16:17], 0, 4
	v_lshl_add_u64 v[20:21], v[18:19], 0, 4
	s_addc_u32 s15, s27, -1
	s_mov_b64 s[40:41], 0
	s_mov_b64 s[44:45], 0
                                        ; implicit-def: $sgpr42_sgpr43
	s_branch .LBB961_190
.LBB961_188:                            ;   in Loop: Header=BB961_190 Depth=1
	global_load_dword v22, v[20:21], off
	global_load_dword v23, v[16:17], off
	s_add_u32 s44, s44, 1
	s_addc_u32 s45, s45, 0
	s_andn2_b64 s[42:43], s[42:43], exec
	v_lshl_add_u64 v[16:17], v[16:17], 0, 4
	v_lshl_add_u64 v[20:21], v[20:21], 0, 4
	s_waitcnt vmcnt(0)
	v_cmp_neq_f32_e32 vcc, v22, v23
	s_and_b64 s[46:47], vcc, exec
	s_or_b64 s[42:43], s[42:43], s[46:47]
.LBB961_189:                            ;   in Loop: Header=BB961_190 Depth=1
	s_and_b64 s[46:47], exec, s[42:43]
	s_or_b64 s[40:41], s[46:47], s[40:41]
	v_mov_b64_e32 v[22:23], s[44:45]
	s_andn2_b64 exec, exec, s[40:41]
	s_cbranch_execz .LBB961_192
.LBB961_190:                            ; =>This Inner Loop Header: Depth=1
	s_or_b64 s[42:43], s[42:43], exec
	s_cmp_eq_u64 s[14:15], s[44:45]
	s_cbranch_scc0 .LBB961_188
; %bb.191:                              ;   in Loop: Header=BB961_190 Depth=1
                                        ; implicit-def: $vgpr16_vgpr17
                                        ; implicit-def: $vgpr20_vgpr21
	s_mov_b64 s[44:45], s[26:27]
	s_branch .LBB961_189
.LBB961_192:
	s_or_b64 exec, exec, s[40:41]
	v_cmp_gt_i64_e32 vcc, s[26:27], v[22:23]
	s_orn2_b64 s[14:15], vcc, exec
.LBB961_193:
	s_or_b64 exec, exec, s[38:39]
.LBB961_194:
	v_mul_lo_u32 v20, v9, s26
	v_mul_lo_u32 v21, v8, s27
	v_mad_u64_u32 v[16:17], s[38:39], v8, s26, 0
	v_add3_u32 v17, v17, v21, v20
	s_and_b64 vcc, exec, s[4:5]
	v_lshl_add_u64 v[16:17], v[16:17], 2, s[28:29]
	s_cbranch_vccnz .LBB961_203
; %bb.195:
	global_load_dword v20, v[16:17], off
	global_load_dword v21, v[18:19], off
	s_mov_b64 s[12:13], -1
	s_waitcnt vmcnt(0)
	v_cmp_eq_f32_e32 vcc, v20, v21
	s_and_saveexec_b64 s[38:39], vcc
	s_cbranch_execz .LBB961_202
; %bb.196:
	s_add_u32 s12, s26, -1
	v_lshl_add_u64 v[18:19], v[18:19], 0, 4
	v_lshl_add_u64 v[20:21], v[16:17], 0, 4
	s_addc_u32 s13, s27, -1
	s_mov_b64 s[40:41], 0
	s_mov_b64 s[44:45], 0
                                        ; implicit-def: $sgpr42_sgpr43
	s_branch .LBB961_199
.LBB961_197:                            ;   in Loop: Header=BB961_199 Depth=1
	global_load_dword v22, v[20:21], off
	global_load_dword v23, v[18:19], off
	s_add_u32 s44, s44, 1
	s_addc_u32 s45, s45, 0
	s_andn2_b64 s[42:43], s[42:43], exec
	v_lshl_add_u64 v[18:19], v[18:19], 0, 4
	v_lshl_add_u64 v[20:21], v[20:21], 0, 4
	s_waitcnt vmcnt(0)
	v_cmp_neq_f32_e32 vcc, v22, v23
	s_and_b64 s[46:47], vcc, exec
	s_or_b64 s[42:43], s[42:43], s[46:47]
.LBB961_198:                            ;   in Loop: Header=BB961_199 Depth=1
	s_and_b64 s[46:47], exec, s[42:43]
	s_or_b64 s[40:41], s[46:47], s[40:41]
	v_mov_b64_e32 v[22:23], s[44:45]
	s_andn2_b64 exec, exec, s[40:41]
	s_cbranch_execz .LBB961_201
.LBB961_199:                            ; =>This Inner Loop Header: Depth=1
	s_or_b64 s[42:43], s[42:43], exec
	s_cmp_eq_u64 s[12:13], s[44:45]
	s_cbranch_scc0 .LBB961_197
; %bb.200:                              ;   in Loop: Header=BB961_199 Depth=1
                                        ; implicit-def: $vgpr18_vgpr19
                                        ; implicit-def: $vgpr20_vgpr21
	s_mov_b64 s[44:45], s[26:27]
	s_branch .LBB961_198
.LBB961_201:
	s_or_b64 exec, exec, s[40:41]
	v_cmp_gt_i64_e32 vcc, s[26:27], v[22:23]
	s_orn2_b64 s[12:13], vcc, exec
.LBB961_202:
	s_or_b64 exec, exec, s[38:39]
.LBB961_203:
	v_mul_lo_u32 v20, v7, s26
	v_mul_lo_u32 v21, v6, s27
	v_mad_u64_u32 v[18:19], s[38:39], v6, s26, 0
	v_add3_u32 v19, v19, v21, v20
	s_mov_b64 s[38:39], 0
	s_and_b64 vcc, exec, s[4:5]
	v_lshl_add_u64 v[18:19], v[18:19], 2, s[28:29]
	s_mov_b64 s[40:41], 0
	s_cbranch_vccnz .LBB961_212
; %bb.204:
	global_load_dword v20, v[18:19], off
	global_load_dword v21, v[16:17], off
	s_mov_b64 s[40:41], -1
	s_waitcnt vmcnt(0)
	v_cmp_eq_f32_e32 vcc, v20, v21
	s_and_saveexec_b64 s[42:43], vcc
	s_cbranch_execz .LBB961_211
; %bb.205:
	s_add_u32 s40, s26, -1
	v_lshl_add_u64 v[16:17], v[16:17], 0, 4
	v_lshl_add_u64 v[20:21], v[18:19], 0, 4
	s_addc_u32 s41, s27, -1
	s_mov_b64 s[44:45], 0
	s_mov_b64 s[48:49], 0
                                        ; implicit-def: $sgpr46_sgpr47
	s_branch .LBB961_208
.LBB961_206:                            ;   in Loop: Header=BB961_208 Depth=1
	global_load_dword v22, v[20:21], off
	global_load_dword v23, v[16:17], off
	s_add_u32 s48, s48, 1
	s_addc_u32 s49, s49, 0
	s_andn2_b64 s[46:47], s[46:47], exec
	v_lshl_add_u64 v[16:17], v[16:17], 0, 4
	v_lshl_add_u64 v[20:21], v[20:21], 0, 4
	s_waitcnt vmcnt(0)
	v_cmp_neq_f32_e32 vcc, v22, v23
	s_and_b64 s[50:51], vcc, exec
	s_or_b64 s[46:47], s[46:47], s[50:51]
.LBB961_207:                            ;   in Loop: Header=BB961_208 Depth=1
	s_and_b64 s[50:51], exec, s[46:47]
	s_or_b64 s[44:45], s[50:51], s[44:45]
	v_mov_b64_e32 v[22:23], s[48:49]
	s_andn2_b64 exec, exec, s[44:45]
	s_cbranch_execz .LBB961_210
.LBB961_208:                            ; =>This Inner Loop Header: Depth=1
	s_or_b64 s[46:47], s[46:47], exec
	s_cmp_eq_u64 s[40:41], s[48:49]
	s_cbranch_scc0 .LBB961_206
; %bb.209:                              ;   in Loop: Header=BB961_208 Depth=1
                                        ; implicit-def: $vgpr16_vgpr17
                                        ; implicit-def: $vgpr20_vgpr21
	s_mov_b64 s[48:49], s[26:27]
	s_branch .LBB961_207
.LBB961_210:
	s_or_b64 exec, exec, s[44:45]
	v_cmp_gt_i64_e32 vcc, s[26:27], v[22:23]
	s_orn2_b64 s[40:41], vcc, exec
.LBB961_211:
	s_or_b64 exec, exec, s[42:43]
.LBB961_212:
	v_mul_lo_u32 v20, v13, s26
	v_mul_lo_u32 v21, v12, s27
	v_mad_u64_u32 v[16:17], s[42:43], v12, s26, 0
	v_add3_u32 v17, v17, v21, v20
	s_and_b64 vcc, exec, s[4:5]
	v_lshl_add_u64 v[16:17], v[16:17], 2, s[28:29]
	s_cbranch_vccnz .LBB961_221
; %bb.213:
	global_load_dword v20, v[16:17], off
	global_load_dword v21, v[18:19], off
	s_mov_b64 s[38:39], -1
	s_waitcnt vmcnt(0)
	v_cmp_eq_f32_e32 vcc, v20, v21
	s_and_saveexec_b64 s[42:43], vcc
	s_cbranch_execz .LBB961_220
; %bb.214:
	s_add_u32 s38, s26, -1
	v_lshl_add_u64 v[18:19], v[18:19], 0, 4
	v_lshl_add_u64 v[20:21], v[16:17], 0, 4
	s_addc_u32 s39, s27, -1
	s_mov_b64 s[44:45], 0
	s_mov_b64 s[48:49], 0
                                        ; implicit-def: $sgpr46_sgpr47
	s_branch .LBB961_217
.LBB961_215:                            ;   in Loop: Header=BB961_217 Depth=1
	global_load_dword v22, v[20:21], off
	global_load_dword v23, v[18:19], off
	s_add_u32 s48, s48, 1
	s_addc_u32 s49, s49, 0
	s_andn2_b64 s[46:47], s[46:47], exec
	v_lshl_add_u64 v[18:19], v[18:19], 0, 4
	v_lshl_add_u64 v[20:21], v[20:21], 0, 4
	s_waitcnt vmcnt(0)
	v_cmp_neq_f32_e32 vcc, v22, v23
	s_and_b64 s[50:51], vcc, exec
	s_or_b64 s[46:47], s[46:47], s[50:51]
.LBB961_216:                            ;   in Loop: Header=BB961_217 Depth=1
	s_and_b64 s[50:51], exec, s[46:47]
	s_or_b64 s[44:45], s[50:51], s[44:45]
	v_mov_b64_e32 v[22:23], s[48:49]
	s_andn2_b64 exec, exec, s[44:45]
	s_cbranch_execz .LBB961_219
.LBB961_217:                            ; =>This Inner Loop Header: Depth=1
	s_or_b64 s[46:47], s[46:47], exec
	s_cmp_eq_u64 s[38:39], s[48:49]
	s_cbranch_scc0 .LBB961_215
; %bb.218:                              ;   in Loop: Header=BB961_217 Depth=1
                                        ; implicit-def: $vgpr18_vgpr19
                                        ; implicit-def: $vgpr20_vgpr21
	s_mov_b64 s[48:49], s[26:27]
	s_branch .LBB961_216
.LBB961_219:
	s_or_b64 exec, exec, s[44:45]
	v_cmp_gt_i64_e32 vcc, s[26:27], v[22:23]
	s_orn2_b64 s[38:39], vcc, exec
.LBB961_220:
	s_or_b64 exec, exec, s[42:43]
.LBB961_221:
	v_mul_lo_u32 v20, v11, s26
	v_mul_lo_u32 v21, v10, s27
	v_mad_u64_u32 v[18:19], s[42:43], v10, s26, 0
	v_add3_u32 v19, v19, v21, v20
	s_and_b64 vcc, exec, s[4:5]
	s_mov_b64 s[44:45], 0
	s_cbranch_vccnz .LBB961_230
; %bb.222:
	v_lshl_add_u64 v[20:21], v[18:19], 2, s[28:29]
	global_load_dword v22, v[20:21], off
	global_load_dword v23, v[16:17], off
	s_mov_b64 s[44:45], -1
	s_waitcnt vmcnt(0)
	v_cmp_eq_f32_e32 vcc, v22, v23
	s_and_saveexec_b64 s[42:43], vcc
	s_cbranch_execz .LBB961_229
; %bb.223:
	s_add_u32 s44, s26, -1
	v_lshl_add_u64 v[16:17], v[16:17], 0, 4
	v_lshl_add_u64 v[20:21], v[20:21], 0, 4
	s_addc_u32 s45, s27, -1
	s_mov_b64 s[46:47], 0
	s_mov_b64 s[50:51], 0
                                        ; implicit-def: $sgpr48_sgpr49
	s_branch .LBB961_226
.LBB961_224:                            ;   in Loop: Header=BB961_226 Depth=1
	global_load_dword v22, v[20:21], off
	global_load_dword v23, v[16:17], off
	s_add_u32 s50, s50, 1
	s_addc_u32 s51, s51, 0
	s_andn2_b64 s[48:49], s[48:49], exec
	v_lshl_add_u64 v[16:17], v[16:17], 0, 4
	v_lshl_add_u64 v[20:21], v[20:21], 0, 4
	s_waitcnt vmcnt(0)
	v_cmp_neq_f32_e32 vcc, v22, v23
	s_and_b64 s[54:55], vcc, exec
	s_or_b64 s[48:49], s[48:49], s[54:55]
.LBB961_225:                            ;   in Loop: Header=BB961_226 Depth=1
	s_and_b64 s[54:55], exec, s[48:49]
	s_or_b64 s[46:47], s[54:55], s[46:47]
	v_mov_b64_e32 v[22:23], s[50:51]
	s_andn2_b64 exec, exec, s[46:47]
	s_cbranch_execz .LBB961_228
.LBB961_226:                            ; =>This Inner Loop Header: Depth=1
	s_or_b64 s[48:49], s[48:49], exec
	s_cmp_eq_u64 s[44:45], s[50:51]
	s_cbranch_scc0 .LBB961_224
; %bb.227:                              ;   in Loop: Header=BB961_226 Depth=1
                                        ; implicit-def: $vgpr16_vgpr17
                                        ; implicit-def: $vgpr20_vgpr21
	s_mov_b64 s[50:51], s[26:27]
	s_branch .LBB961_225
.LBB961_228:
	s_or_b64 exec, exec, s[46:47]
	v_cmp_gt_i64_e32 vcc, s[26:27], v[22:23]
	s_orn2_b64 s[44:45], vcc, exec
.LBB961_229:
	s_or_b64 exec, exec, s[42:43]
.LBB961_230:
	v_cndmask_b32_e64 v17, 0, 1, s[40:41]
	v_cndmask_b32_e64 v16, 0, 1, s[38:39]
	;; [unrolled: 1-line block ×3, first 2 shown]
	v_lshlrev_b16_e32 v17, 8, v17
	v_cndmask_b32_e64 v25, 0, 1, s[12:13]
	v_cndmask_b32_e64 v20, 0, 1, s[44:45]
	v_or_b32_sdwa v16, v16, v17 dst_sel:WORD_1 dst_unused:UNUSED_PAD src0_sel:DWORD src1_sel:DWORD
	v_lshlrev_b16_e32 v17, 8, v34
	v_lshlrev_b16_e32 v20, 8, v20
	v_or_b32_e32 v17, v25, v17
	v_or_b32_e32 v20, 1, v20
	v_and_b32_e32 v17, 0xffff, v17
	v_cndmask_b32_e64 v35, 0, 1, s[10:11]
	v_or_b32_sdwa v16, v20, v16 dst_sel:DWORD dst_unused:UNUSED_PAD src0_sel:WORD_0 src1_sel:DWORD
	v_lshl_or_b32 v17, v35, 16, v17
	s_waitcnt lgkmcnt(0)
	s_barrier
	s_waitcnt lgkmcnt(0)
                                        ; implicit-def: $sgpr12_sgpr13
                                        ; implicit-def: $vgpr20
	s_and_saveexec_b64 s[10:11], s[2:3]
	s_xor_b64 s[10:11], exec, s[10:11]
	s_cbranch_execz .LBB961_241
; %bb.231:
	s_mov_b32 s42, 0x3020104
	s_and_b64 vcc, exec, s[4:5]
	s_mov_b64 s[12:13], 0
	s_cbranch_vccnz .LBB961_240
; %bb.232:
	v_add_u32_e32 v17, -8, v24
	ds_read_b64 v[20:21], v17
	v_lshl_add_u64 v[18:19], v[18:19], 2, s[28:29]
	s_mov_b64 s[12:13], -1
	s_waitcnt lgkmcnt(0)
	v_mul_lo_u32 v17, v21, s26
	v_mul_lo_u32 v22, v20, s27
	v_mad_u64_u32 v[20:21], s[4:5], v20, s26, 0
	v_add3_u32 v21, v21, v22, v17
	v_lshl_add_u64 v[20:21], v[20:21], 2, s[28:29]
	global_load_dword v17, v[20:21], off
	global_load_dword v22, v[18:19], off
	s_waitcnt vmcnt(0)
	v_cmp_eq_f32_e32 vcc, v17, v22
	s_and_saveexec_b64 s[4:5], vcc
	s_cbranch_execz .LBB961_239
; %bb.233:
	s_add_u32 s12, s26, -1
	v_lshl_add_u64 v[18:19], v[18:19], 0, 4
	v_lshl_add_u64 v[20:21], v[20:21], 0, 4
	s_addc_u32 s13, s27, -1
	s_mov_b64 s[14:15], 0
	s_mov_b64 s[40:41], 0
                                        ; implicit-def: $sgpr38_sgpr39
	s_branch .LBB961_236
.LBB961_234:                            ;   in Loop: Header=BB961_236 Depth=1
	global_load_dword v17, v[20:21], off
	global_load_dword v22, v[18:19], off
	s_add_u32 s40, s40, 1
	s_addc_u32 s41, s41, 0
	s_andn2_b64 s[38:39], s[38:39], exec
	v_lshl_add_u64 v[18:19], v[18:19], 0, 4
	v_lshl_add_u64 v[20:21], v[20:21], 0, 4
	s_waitcnt vmcnt(0)
	v_cmp_neq_f32_e32 vcc, v17, v22
	s_and_b64 s[44:45], vcc, exec
	s_or_b64 s[38:39], s[38:39], s[44:45]
.LBB961_235:                            ;   in Loop: Header=BB961_236 Depth=1
	s_and_b64 s[44:45], exec, s[38:39]
	s_or_b64 s[14:15], s[44:45], s[14:15]
	v_mov_b64_e32 v[22:23], s[40:41]
	s_andn2_b64 exec, exec, s[14:15]
	s_cbranch_execz .LBB961_238
.LBB961_236:                            ; =>This Inner Loop Header: Depth=1
	s_or_b64 s[38:39], s[38:39], exec
	s_cmp_eq_u64 s[12:13], s[40:41]
	s_cbranch_scc0 .LBB961_234
; %bb.237:                              ;   in Loop: Header=BB961_236 Depth=1
                                        ; implicit-def: $vgpr18_vgpr19
                                        ; implicit-def: $vgpr20_vgpr21
	s_mov_b64 s[40:41], s[26:27]
	s_branch .LBB961_235
.LBB961_238:
	s_or_b64 exec, exec, s[14:15]
	v_cmp_gt_i64_e32 vcc, s[26:27], v[22:23]
	s_orn2_b64 s[12:13], vcc, exec
.LBB961_239:
	s_or_b64 exec, exec, s[4:5]
.LBB961_240:
	v_perm_b32 v20, v16, v16, s42
	s_and_b64 s[12:13], s[12:13], exec
	s_or_b64 s[8:9], s[8:9], exec
                                        ; implicit-def: $vgpr16_vgpr17
.LBB961_241:
	s_or_b64 exec, exec, s[10:11]
	s_branch .LBB961_322
.LBB961_242:
	v_cmp_gt_u32_e32 vcc, s52, v29
	s_mov_b64 s[10:11], 0
	s_mov_b64 s[4:5], 0
	s_and_saveexec_b64 s[12:13], vcc
	s_cbranch_execz .LBB961_253
; %bb.243:
	s_andn2_b64 vcc, exec, s[6:7]
	s_mov_b64 s[14:15], 0
	s_cbranch_vccnz .LBB961_252
; %bb.244:
	v_mul_lo_u32 v18, v5, s26
	v_mul_lo_u32 v19, v4, s27
	s_waitcnt vmcnt(0) lgkmcnt(1)
	v_mad_u64_u32 v[16:17], s[4:5], v4, s26, 0
	v_add3_u32 v17, v17, v19, v18
	v_mul_lo_u32 v18, v15, s26
	v_mul_lo_u32 v19, v14, s27
	v_mad_u64_u32 v[20:21], s[4:5], v14, s26, 0
	v_add3_u32 v21, v21, v19, v18
	v_lshl_add_u64 v[18:19], v[16:17], 2, s[28:29]
	v_lshl_add_u64 v[16:17], v[20:21], 2, s[28:29]
	global_load_dword v20, v[18:19], off
	global_load_dword v21, v[16:17], off
	s_mov_b64 s[14:15], -1
	s_waitcnt vmcnt(0)
	v_cmp_eq_f32_e32 vcc, v20, v21
	s_and_saveexec_b64 s[4:5], vcc
	s_cbranch_execz .LBB961_251
; %bb.245:
	s_add_u32 s14, s26, -1
	v_lshl_add_u64 v[16:17], v[16:17], 0, 4
	v_lshl_add_u64 v[18:19], v[18:19], 0, 4
	s_addc_u32 s15, s27, -1
	s_mov_b64 s[38:39], 0
	s_mov_b64 s[42:43], 0
                                        ; implicit-def: $sgpr40_sgpr41
	s_branch .LBB961_248
.LBB961_246:                            ;   in Loop: Header=BB961_248 Depth=1
	global_load_dword v20, v[18:19], off
	global_load_dword v21, v[16:17], off
	s_add_u32 s42, s42, 1
	s_addc_u32 s43, s43, 0
	s_andn2_b64 s[40:41], s[40:41], exec
	v_lshl_add_u64 v[16:17], v[16:17], 0, 4
	v_lshl_add_u64 v[18:19], v[18:19], 0, 4
	s_waitcnt vmcnt(0)
	v_cmp_neq_f32_e32 vcc, v20, v21
	s_and_b64 s[44:45], vcc, exec
	s_or_b64 s[40:41], s[40:41], s[44:45]
.LBB961_247:                            ;   in Loop: Header=BB961_248 Depth=1
	s_and_b64 s[44:45], exec, s[40:41]
	s_or_b64 s[38:39], s[44:45], s[38:39]
	v_mov_b64_e32 v[20:21], s[42:43]
	s_andn2_b64 exec, exec, s[38:39]
	s_cbranch_execz .LBB961_250
.LBB961_248:                            ; =>This Inner Loop Header: Depth=1
	s_or_b64 s[40:41], s[40:41], exec
	s_cmp_eq_u64 s[14:15], s[42:43]
	s_cbranch_scc0 .LBB961_246
; %bb.249:                              ;   in Loop: Header=BB961_248 Depth=1
                                        ; implicit-def: $vgpr16_vgpr17
                                        ; implicit-def: $vgpr18_vgpr19
	s_mov_b64 s[42:43], s[26:27]
	s_branch .LBB961_247
.LBB961_250:
	s_or_b64 exec, exec, s[38:39]
	v_cmp_gt_i64_e32 vcc, s[26:27], v[20:21]
	s_orn2_b64 s[14:15], vcc, exec
.LBB961_251:
	s_or_b64 exec, exec, s[4:5]
.LBB961_252:
	s_and_b64 s[4:5], s[14:15], exec
.LBB961_253:
	s_or_b64 exec, exec, s[12:13]
	v_cmp_gt_u32_e32 vcc, s52, v31
	s_and_saveexec_b64 s[12:13], vcc
	s_cbranch_execz .LBB961_264
; %bb.254:
	s_andn2_b64 vcc, exec, s[6:7]
	s_mov_b64 s[14:15], 0
	s_cbranch_vccnz .LBB961_263
; %bb.255:
	v_mul_lo_u32 v18, v3, s26
	v_mul_lo_u32 v19, v2, s27
	s_waitcnt vmcnt(0) lgkmcnt(1)
	v_mad_u64_u32 v[16:17], s[10:11], v2, s26, 0
	v_add3_u32 v17, v17, v19, v18
	v_mul_lo_u32 v18, v5, s26
	v_mul_lo_u32 v19, v4, s27
	v_mad_u64_u32 v[20:21], s[10:11], v4, s26, 0
	v_add3_u32 v21, v21, v19, v18
	v_lshl_add_u64 v[18:19], v[16:17], 2, s[28:29]
	v_lshl_add_u64 v[16:17], v[20:21], 2, s[28:29]
	global_load_dword v20, v[18:19], off
	global_load_dword v21, v[16:17], off
	s_mov_b64 s[14:15], -1
	s_waitcnt vmcnt(0)
	v_cmp_eq_f32_e32 vcc, v20, v21
	s_and_saveexec_b64 s[10:11], vcc
	s_cbranch_execz .LBB961_262
; %bb.256:
	s_add_u32 s14, s26, -1
	v_lshl_add_u64 v[16:17], v[16:17], 0, 4
	v_lshl_add_u64 v[18:19], v[18:19], 0, 4
	s_addc_u32 s15, s27, -1
	s_mov_b64 s[38:39], 0
	s_mov_b64 s[42:43], 0
                                        ; implicit-def: $sgpr40_sgpr41
	s_branch .LBB961_259
.LBB961_257:                            ;   in Loop: Header=BB961_259 Depth=1
	global_load_dword v20, v[18:19], off
	global_load_dword v21, v[16:17], off
	s_add_u32 s42, s42, 1
	s_addc_u32 s43, s43, 0
	s_andn2_b64 s[40:41], s[40:41], exec
	v_lshl_add_u64 v[16:17], v[16:17], 0, 4
	v_lshl_add_u64 v[18:19], v[18:19], 0, 4
	s_waitcnt vmcnt(0)
	v_cmp_neq_f32_e32 vcc, v20, v21
	s_and_b64 s[44:45], vcc, exec
	s_or_b64 s[40:41], s[40:41], s[44:45]
.LBB961_258:                            ;   in Loop: Header=BB961_259 Depth=1
	s_and_b64 s[44:45], exec, s[40:41]
	s_or_b64 s[38:39], s[44:45], s[38:39]
	v_mov_b64_e32 v[20:21], s[42:43]
	s_andn2_b64 exec, exec, s[38:39]
	s_cbranch_execz .LBB961_261
.LBB961_259:                            ; =>This Inner Loop Header: Depth=1
	s_or_b64 s[40:41], s[40:41], exec
	s_cmp_eq_u64 s[14:15], s[42:43]
	s_cbranch_scc0 .LBB961_257
; %bb.260:                              ;   in Loop: Header=BB961_259 Depth=1
                                        ; implicit-def: $vgpr16_vgpr17
                                        ; implicit-def: $vgpr18_vgpr19
	s_mov_b64 s[42:43], s[26:27]
	s_branch .LBB961_258
.LBB961_261:
	s_or_b64 exec, exec, s[38:39]
	v_cmp_gt_i64_e32 vcc, s[26:27], v[20:21]
	s_orn2_b64 s[14:15], vcc, exec
.LBB961_262:
	s_or_b64 exec, exec, s[10:11]
.LBB961_263:
	s_and_b64 s[10:11], s[14:15], exec
.LBB961_264:
	s_or_b64 exec, exec, s[12:13]
	v_cmp_gt_u32_e32 vcc, s52, v28
	s_mov_b64 s[14:15], 0
	s_mov_b64 s[12:13], 0
	s_and_saveexec_b64 s[38:39], vcc
	s_cbranch_execz .LBB961_275
; %bb.265:
	s_andn2_b64 vcc, exec, s[6:7]
	s_mov_b64 s[40:41], 0
	s_cbranch_vccnz .LBB961_274
; %bb.266:
	v_mul_lo_u32 v18, v9, s26
	v_mul_lo_u32 v19, v8, s27
	s_waitcnt vmcnt(0) lgkmcnt(1)
	v_mad_u64_u32 v[16:17], s[12:13], v8, s26, 0
	v_add3_u32 v17, v17, v19, v18
	v_mul_lo_u32 v18, v3, s26
	v_mul_lo_u32 v19, v2, s27
	v_mad_u64_u32 v[20:21], s[12:13], v2, s26, 0
	v_add3_u32 v21, v21, v19, v18
	v_lshl_add_u64 v[18:19], v[16:17], 2, s[28:29]
	v_lshl_add_u64 v[16:17], v[20:21], 2, s[28:29]
	global_load_dword v20, v[18:19], off
	global_load_dword v21, v[16:17], off
	s_mov_b64 s[40:41], -1
	s_waitcnt vmcnt(0)
	v_cmp_eq_f32_e32 vcc, v20, v21
	s_and_saveexec_b64 s[12:13], vcc
	s_cbranch_execz .LBB961_273
; %bb.267:
	s_add_u32 s40, s26, -1
	v_lshl_add_u64 v[16:17], v[16:17], 0, 4
	v_lshl_add_u64 v[18:19], v[18:19], 0, 4
	s_addc_u32 s41, s27, -1
	s_mov_b64 s[42:43], 0
	s_mov_b64 s[46:47], 0
                                        ; implicit-def: $sgpr44_sgpr45
	s_branch .LBB961_270
.LBB961_268:                            ;   in Loop: Header=BB961_270 Depth=1
	global_load_dword v20, v[18:19], off
	global_load_dword v21, v[16:17], off
	s_add_u32 s46, s46, 1
	s_addc_u32 s47, s47, 0
	s_andn2_b64 s[44:45], s[44:45], exec
	v_lshl_add_u64 v[16:17], v[16:17], 0, 4
	v_lshl_add_u64 v[18:19], v[18:19], 0, 4
	s_waitcnt vmcnt(0)
	v_cmp_neq_f32_e32 vcc, v20, v21
	s_and_b64 s[48:49], vcc, exec
	s_or_b64 s[44:45], s[44:45], s[48:49]
.LBB961_269:                            ;   in Loop: Header=BB961_270 Depth=1
	s_and_b64 s[48:49], exec, s[44:45]
	s_or_b64 s[42:43], s[48:49], s[42:43]
	v_mov_b64_e32 v[20:21], s[46:47]
	s_andn2_b64 exec, exec, s[42:43]
	s_cbranch_execz .LBB961_272
.LBB961_270:                            ; =>This Inner Loop Header: Depth=1
	s_or_b64 s[44:45], s[44:45], exec
	s_cmp_eq_u64 s[40:41], s[46:47]
	s_cbranch_scc0 .LBB961_268
; %bb.271:                              ;   in Loop: Header=BB961_270 Depth=1
                                        ; implicit-def: $vgpr16_vgpr17
                                        ; implicit-def: $vgpr18_vgpr19
	s_mov_b64 s[46:47], s[26:27]
	s_branch .LBB961_269
.LBB961_272:
	s_or_b64 exec, exec, s[42:43]
	v_cmp_gt_i64_e32 vcc, s[26:27], v[20:21]
	s_orn2_b64 s[40:41], vcc, exec
.LBB961_273:
	s_or_b64 exec, exec, s[12:13]
.LBB961_274:
	s_and_b64 s[12:13], s[40:41], exec
.LBB961_275:
	s_or_b64 exec, exec, s[38:39]
	v_cmp_gt_u32_e32 vcc, s52, v30
	s_and_saveexec_b64 s[38:39], vcc
	s_cbranch_execz .LBB961_286
; %bb.276:
	s_andn2_b64 vcc, exec, s[6:7]
	s_mov_b64 s[40:41], 0
	s_cbranch_vccnz .LBB961_285
; %bb.277:
	v_mul_lo_u32 v18, v7, s26
	v_mul_lo_u32 v19, v6, s27
	s_waitcnt vmcnt(0) lgkmcnt(1)
	v_mad_u64_u32 v[16:17], s[14:15], v6, s26, 0
	v_add3_u32 v17, v17, v19, v18
	v_mul_lo_u32 v18, v9, s26
	v_mul_lo_u32 v19, v8, s27
	v_mad_u64_u32 v[20:21], s[14:15], v8, s26, 0
	v_add3_u32 v21, v21, v19, v18
	v_lshl_add_u64 v[18:19], v[16:17], 2, s[28:29]
	v_lshl_add_u64 v[16:17], v[20:21], 2, s[28:29]
	global_load_dword v20, v[18:19], off
	global_load_dword v21, v[16:17], off
	s_mov_b64 s[40:41], -1
	s_waitcnt vmcnt(0)
	v_cmp_eq_f32_e32 vcc, v20, v21
	s_and_saveexec_b64 s[14:15], vcc
	s_cbranch_execz .LBB961_284
; %bb.278:
	s_add_u32 s40, s26, -1
	v_lshl_add_u64 v[16:17], v[16:17], 0, 4
	v_lshl_add_u64 v[18:19], v[18:19], 0, 4
	s_addc_u32 s41, s27, -1
	s_mov_b64 s[42:43], 0
	s_mov_b64 s[46:47], 0
                                        ; implicit-def: $sgpr44_sgpr45
	s_branch .LBB961_281
.LBB961_279:                            ;   in Loop: Header=BB961_281 Depth=1
	global_load_dword v20, v[18:19], off
	global_load_dword v21, v[16:17], off
	s_add_u32 s46, s46, 1
	s_addc_u32 s47, s47, 0
	s_andn2_b64 s[44:45], s[44:45], exec
	v_lshl_add_u64 v[16:17], v[16:17], 0, 4
	v_lshl_add_u64 v[18:19], v[18:19], 0, 4
	s_waitcnt vmcnt(0)
	v_cmp_neq_f32_e32 vcc, v20, v21
	s_and_b64 s[48:49], vcc, exec
	s_or_b64 s[44:45], s[44:45], s[48:49]
.LBB961_280:                            ;   in Loop: Header=BB961_281 Depth=1
	s_and_b64 s[48:49], exec, s[44:45]
	s_or_b64 s[42:43], s[48:49], s[42:43]
	v_mov_b64_e32 v[20:21], s[46:47]
	s_andn2_b64 exec, exec, s[42:43]
	s_cbranch_execz .LBB961_283
.LBB961_281:                            ; =>This Inner Loop Header: Depth=1
	s_or_b64 s[44:45], s[44:45], exec
	s_cmp_eq_u64 s[40:41], s[46:47]
	s_cbranch_scc0 .LBB961_279
; %bb.282:                              ;   in Loop: Header=BB961_281 Depth=1
                                        ; implicit-def: $vgpr16_vgpr17
                                        ; implicit-def: $vgpr18_vgpr19
	s_mov_b64 s[46:47], s[26:27]
	s_branch .LBB961_280
.LBB961_283:
	s_or_b64 exec, exec, s[42:43]
	v_cmp_gt_i64_e32 vcc, s[26:27], v[20:21]
	s_orn2_b64 s[40:41], vcc, exec
.LBB961_284:
	s_or_b64 exec, exec, s[14:15]
.LBB961_285:
	s_and_b64 s[14:15], s[40:41], exec
.LBB961_286:
	s_or_b64 exec, exec, s[38:39]
	v_cmp_gt_u32_e32 vcc, s52, v26
	s_mov_b64 s[38:39], 0
	s_mov_b64 s[40:41], 0
	s_and_saveexec_b64 s[42:43], vcc
	s_cbranch_execz .LBB961_297
; %bb.287:
	s_andn2_b64 vcc, exec, s[6:7]
	s_mov_b64 s[44:45], 0
	s_cbranch_vccnz .LBB961_296
; %bb.288:
	v_mul_lo_u32 v18, v13, s26
	v_mul_lo_u32 v19, v12, s27
	s_waitcnt vmcnt(0) lgkmcnt(1)
	v_mad_u64_u32 v[16:17], s[40:41], v12, s26, 0
	v_add3_u32 v17, v17, v19, v18
	v_mul_lo_u32 v18, v7, s26
	v_mul_lo_u32 v19, v6, s27
	v_mad_u64_u32 v[20:21], s[40:41], v6, s26, 0
	v_add3_u32 v21, v21, v19, v18
	v_lshl_add_u64 v[18:19], v[16:17], 2, s[28:29]
	v_lshl_add_u64 v[16:17], v[20:21], 2, s[28:29]
	global_load_dword v20, v[18:19], off
	global_load_dword v21, v[16:17], off
	s_mov_b64 s[44:45], -1
	s_waitcnt vmcnt(0)
	v_cmp_eq_f32_e32 vcc, v20, v21
	s_and_saveexec_b64 s[40:41], vcc
	s_cbranch_execz .LBB961_295
; %bb.289:
	s_add_u32 s44, s26, -1
	v_lshl_add_u64 v[16:17], v[16:17], 0, 4
	v_lshl_add_u64 v[18:19], v[18:19], 0, 4
	s_addc_u32 s45, s27, -1
	s_mov_b64 s[46:47], 0
	s_mov_b64 s[50:51], 0
                                        ; implicit-def: $sgpr48_sgpr49
	s_branch .LBB961_292
.LBB961_290:                            ;   in Loop: Header=BB961_292 Depth=1
	global_load_dword v20, v[18:19], off
	global_load_dword v21, v[16:17], off
	s_add_u32 s50, s50, 1
	s_addc_u32 s51, s51, 0
	s_andn2_b64 s[48:49], s[48:49], exec
	v_lshl_add_u64 v[16:17], v[16:17], 0, 4
	v_lshl_add_u64 v[18:19], v[18:19], 0, 4
	s_waitcnt vmcnt(0)
	v_cmp_neq_f32_e32 vcc, v20, v21
	s_and_b64 s[54:55], vcc, exec
	s_or_b64 s[48:49], s[48:49], s[54:55]
.LBB961_291:                            ;   in Loop: Header=BB961_292 Depth=1
	s_and_b64 s[54:55], exec, s[48:49]
	s_or_b64 s[46:47], s[54:55], s[46:47]
	v_mov_b64_e32 v[20:21], s[50:51]
	s_andn2_b64 exec, exec, s[46:47]
	s_cbranch_execz .LBB961_294
.LBB961_292:                            ; =>This Inner Loop Header: Depth=1
	s_or_b64 s[48:49], s[48:49], exec
	s_cmp_eq_u64 s[44:45], s[50:51]
	s_cbranch_scc0 .LBB961_290
; %bb.293:                              ;   in Loop: Header=BB961_292 Depth=1
                                        ; implicit-def: $vgpr16_vgpr17
                                        ; implicit-def: $vgpr18_vgpr19
	s_mov_b64 s[50:51], s[26:27]
	s_branch .LBB961_291
.LBB961_294:
	s_or_b64 exec, exec, s[46:47]
	v_cmp_gt_i64_e32 vcc, s[26:27], v[20:21]
	s_orn2_b64 s[44:45], vcc, exec
.LBB961_295:
	s_or_b64 exec, exec, s[40:41]
.LBB961_296:
	s_and_b64 s[40:41], s[44:45], exec
.LBB961_297:
	s_or_b64 exec, exec, s[42:43]
	v_cmp_gt_u32_e32 vcc, s52, v27
	s_and_saveexec_b64 s[42:43], vcc
	s_cbranch_execz .LBB961_308
; %bb.298:
	s_andn2_b64 vcc, exec, s[6:7]
	s_mov_b64 s[44:45], 0
	s_cbranch_vccnz .LBB961_307
; %bb.299:
	v_mul_lo_u32 v18, v11, s26
	v_mul_lo_u32 v19, v10, s27
	s_waitcnt vmcnt(0) lgkmcnt(1)
	v_mad_u64_u32 v[16:17], s[38:39], v10, s26, 0
	v_add3_u32 v17, v17, v19, v18
	v_mul_lo_u32 v18, v13, s26
	v_mul_lo_u32 v19, v12, s27
	v_mad_u64_u32 v[20:21], s[38:39], v12, s26, 0
	v_add3_u32 v21, v21, v19, v18
	v_lshl_add_u64 v[18:19], v[16:17], 2, s[28:29]
	v_lshl_add_u64 v[16:17], v[20:21], 2, s[28:29]
	global_load_dword v20, v[18:19], off
	global_load_dword v21, v[16:17], off
	s_mov_b64 s[44:45], -1
	s_waitcnt vmcnt(0)
	v_cmp_eq_f32_e32 vcc, v20, v21
	s_and_saveexec_b64 s[38:39], vcc
	s_cbranch_execz .LBB961_306
; %bb.300:
	s_add_u32 s44, s26, -1
	v_lshl_add_u64 v[16:17], v[16:17], 0, 4
	v_lshl_add_u64 v[18:19], v[18:19], 0, 4
	s_addc_u32 s45, s27, -1
	s_mov_b64 s[46:47], 0
	s_mov_b64 s[50:51], 0
                                        ; implicit-def: $sgpr48_sgpr49
	s_branch .LBB961_303
.LBB961_301:                            ;   in Loop: Header=BB961_303 Depth=1
	global_load_dword v20, v[18:19], off
	global_load_dword v21, v[16:17], off
	s_add_u32 s50, s50, 1
	s_addc_u32 s51, s51, 0
	s_andn2_b64 s[48:49], s[48:49], exec
	v_lshl_add_u64 v[16:17], v[16:17], 0, 4
	v_lshl_add_u64 v[18:19], v[18:19], 0, 4
	s_waitcnt vmcnt(0)
	v_cmp_neq_f32_e32 vcc, v20, v21
	s_and_b64 s[54:55], vcc, exec
	s_or_b64 s[48:49], s[48:49], s[54:55]
.LBB961_302:                            ;   in Loop: Header=BB961_303 Depth=1
	s_and_b64 s[54:55], exec, s[48:49]
	s_or_b64 s[46:47], s[54:55], s[46:47]
	v_mov_b64_e32 v[20:21], s[50:51]
	s_andn2_b64 exec, exec, s[46:47]
	s_cbranch_execz .LBB961_305
.LBB961_303:                            ; =>This Inner Loop Header: Depth=1
	s_or_b64 s[48:49], s[48:49], exec
	s_cmp_eq_u64 s[44:45], s[50:51]
	s_cbranch_scc0 .LBB961_301
; %bb.304:                              ;   in Loop: Header=BB961_303 Depth=1
                                        ; implicit-def: $vgpr16_vgpr17
                                        ; implicit-def: $vgpr18_vgpr19
	s_mov_b64 s[50:51], s[26:27]
	s_branch .LBB961_302
.LBB961_305:
	s_or_b64 exec, exec, s[46:47]
	v_cmp_gt_i64_e32 vcc, s[26:27], v[20:21]
	s_orn2_b64 s[44:45], vcc, exec
.LBB961_306:
	s_or_b64 exec, exec, s[38:39]
.LBB961_307:
	s_and_b64 s[38:39], s[44:45], exec
.LBB961_308:
	s_or_b64 exec, exec, s[42:43]
	s_waitcnt vmcnt(0) lgkmcnt(1)
	v_cndmask_b32_e64 v17, 0, 1, s[14:15]
	v_cndmask_b32_e64 v16, 0, 1, s[40:41]
	;; [unrolled: 1-line block ×3, first 2 shown]
	v_lshlrev_b16_e32 v17, 8, v17
	v_cndmask_b32_e64 v25, 0, 1, s[12:13]
	v_cndmask_b32_e64 v18, 0, 1, s[38:39]
	v_or_b32_sdwa v16, v16, v17 dst_sel:WORD_1 dst_unused:UNUSED_PAD src0_sel:DWORD src1_sel:DWORD
	v_lshlrev_b16_e32 v17, 8, v34
	v_lshlrev_b16_e32 v18, 8, v18
	v_or_b32_e32 v17, v25, v17
	v_or_b32_e32 v18, 1, v18
	v_and_b32_e32 v17, 0xffff, v17
	v_cndmask_b32_e64 v35, 0, 1, s[4:5]
	v_or_b32_sdwa v16, v18, v16 dst_sel:DWORD dst_unused:UNUSED_PAD src0_sel:WORD_0 src1_sel:DWORD
	v_lshl_or_b32 v17, v35, 16, v17
	s_waitcnt lgkmcnt(0)
	s_barrier
	s_waitcnt lgkmcnt(0)
                                        ; implicit-def: $sgpr12_sgpr13
                                        ; implicit-def: $vgpr20
	s_and_saveexec_b64 s[4:5], s[2:3]
	s_cbranch_execz .LBB961_321
; %bb.309:
	v_cmp_gt_u32_e32 vcc, s52, v1
	s_mov_b32 s38, 0x3020104
	s_mov_b64 s[10:11], 0
	s_and_saveexec_b64 s[2:3], vcc
	s_cbranch_execz .LBB961_320
; %bb.310:
	s_andn2_b64 vcc, exec, s[6:7]
	s_cbranch_vccnz .LBB961_319
; %bb.311:
	v_add_u32_e32 v17, -8, v24
	ds_read_b64 v[18:19], v17
	v_mul_lo_u32 v17, v11, s26
	v_mad_u64_u32 v[22:23], s[6:7], v10, s26, 0
	s_mov_b64 s[10:11], -1
	s_waitcnt lgkmcnt(0)
	v_mul_lo_u32 v20, v19, s26
	v_mul_lo_u32 v21, v18, s27
	v_mad_u64_u32 v[18:19], s[6:7], v18, s26, 0
	v_add3_u32 v19, v19, v21, v20
	v_mul_lo_u32 v20, v10, s27
	v_add3_u32 v23, v23, v20, v17
	v_lshl_add_u64 v[20:21], v[18:19], 2, s[28:29]
	v_lshl_add_u64 v[18:19], v[22:23], 2, s[28:29]
	global_load_dword v17, v[20:21], off
	global_load_dword v22, v[18:19], off
	s_waitcnt vmcnt(0)
	v_cmp_eq_f32_e32 vcc, v17, v22
	s_and_saveexec_b64 s[6:7], vcc
	s_cbranch_execz .LBB961_318
; %bb.312:
	s_add_u32 s10, s26, -1
	v_lshl_add_u64 v[18:19], v[18:19], 0, 4
	v_lshl_add_u64 v[20:21], v[20:21], 0, 4
	s_addc_u32 s11, s27, -1
	s_mov_b64 s[12:13], 0
	s_mov_b64 s[28:29], 0
                                        ; implicit-def: $sgpr14_sgpr15
	s_branch .LBB961_315
.LBB961_313:                            ;   in Loop: Header=BB961_315 Depth=1
	global_load_dword v17, v[20:21], off
	global_load_dword v22, v[18:19], off
	s_add_u32 s28, s28, 1
	s_addc_u32 s29, s29, 0
	s_andn2_b64 s[14:15], s[14:15], exec
	v_lshl_add_u64 v[18:19], v[18:19], 0, 4
	v_lshl_add_u64 v[20:21], v[20:21], 0, 4
	s_waitcnt vmcnt(0)
	v_cmp_neq_f32_e32 vcc, v17, v22
	s_and_b64 s[40:41], vcc, exec
	s_or_b64 s[14:15], s[14:15], s[40:41]
.LBB961_314:                            ;   in Loop: Header=BB961_315 Depth=1
	s_and_b64 s[40:41], exec, s[14:15]
	s_or_b64 s[12:13], s[40:41], s[12:13]
	v_mov_b64_e32 v[22:23], s[28:29]
	s_andn2_b64 exec, exec, s[12:13]
	s_cbranch_execz .LBB961_317
.LBB961_315:                            ; =>This Inner Loop Header: Depth=1
	s_or_b64 s[14:15], s[14:15], exec
	s_cmp_eq_u64 s[10:11], s[28:29]
	s_cbranch_scc0 .LBB961_313
; %bb.316:                              ;   in Loop: Header=BB961_315 Depth=1
                                        ; implicit-def: $vgpr18_vgpr19
                                        ; implicit-def: $vgpr20_vgpr21
	s_mov_b64 s[28:29], s[26:27]
	s_branch .LBB961_314
.LBB961_317:
	s_or_b64 exec, exec, s[12:13]
	v_cmp_gt_i64_e32 vcc, s[26:27], v[22:23]
	s_orn2_b64 s[10:11], vcc, exec
.LBB961_318:
	s_or_b64 exec, exec, s[6:7]
.LBB961_319:
	s_and_b64 s[10:11], s[10:11], exec
.LBB961_320:
	s_or_b64 exec, exec, s[2:3]
	v_perm_b32 v20, v16, v16, s38
	s_and_b64 s[12:13], s[10:11], exec
	s_or_b64 s[8:9], s[8:9], exec
                                        ; implicit-def: $vgpr16_vgpr17
.LBB961_321:
	s_or_b64 exec, exec, s[4:5]
.LBB961_322:
	s_and_saveexec_b64 s[2:3], s[8:9]
	s_cbranch_execz .LBB961_324
; %bb.323:
	s_waitcnt vmcnt(0) lgkmcnt(0)
	v_lshlrev_b16_e32 v17, 8, v34
	v_and_b32_e32 v18, 0xff, v35
	v_or_b32_sdwa v17, v25, v17 dst_sel:DWORD dst_unused:UNUSED_PAD src0_sel:BYTE_0 src1_sel:DWORD
	v_lshlrev_b32_e32 v18, 16, v18
	s_movk_i32 s4, 0xff
	v_or_b32_sdwa v17, v17, v18 dst_sel:DWORD dst_unused:UNUSED_PAD src0_sel:WORD_0 src1_sel:DWORD
	v_lshrrev_b32_e32 v18, 24, v20
	v_lshlrev_b16_e32 v18, 8, v18
	v_and_b32_sdwa v19, v20, s4 dst_sel:DWORD dst_unused:UNUSED_PAD src0_sel:WORD_1 src1_sel:DWORD
	v_or_b32_sdwa v18, v19, v18 dst_sel:WORD_1 dst_unused:UNUSED_PAD src0_sel:DWORD src1_sel:DWORD
	v_mov_b32_e32 v19, 8
	v_cndmask_b32_e64 v16, 0, 1, s[12:13]
	v_lshrrev_b32_sdwa v19, v19, v20 dst_sel:BYTE_1 dst_unused:UNUSED_PAD src0_sel:DWORD src1_sel:DWORD
	s_nop 0
	v_or_b32_e32 v16, v16, v19
	v_or_b32_sdwa v16, v16, v18 dst_sel:DWORD dst_unused:UNUSED_PAD src0_sel:WORD_0 src1_sel:DWORD
.LBB961_324:
	s_or_b64 exec, exec, s[2:3]
	s_andn2_b64 vcc, exec, s[0:1]
	s_cbranch_vccnz .LBB961_326
; %bb.325:
	s_waitcnt vmcnt(0) lgkmcnt(0)
	v_and_b32_e32 v18, 0xffff0000, v16
	v_cmp_gt_u32_e32 vcc, s52, v1
	s_mov_b32 s0, 0x40c0100
	s_nop 0
	v_cndmask_b32_e32 v1, v18, v16, vcc
	v_and_b32_e32 v1, 0xffff00ff, v1
	v_cmp_gt_u32_e32 vcc, s52, v27
	s_nop 1
	v_cndmask_b32_e32 v1, v1, v16, vcc
	v_lshrrev_b32_e32 v18, 24, v1
	v_perm_b32 v1, v18, v1, s0
	v_cmp_gt_u32_e32 vcc, s52, v26
	v_and_b32_e32 v18, 0xffffff00, v17
	s_nop 0
	v_cndmask_b32_e32 v1, v1, v16, vcc
	v_and_b32_e32 v1, 0xffffff, v1
	v_cmp_gt_u32_e32 vcc, s52, v30
	s_nop 1
	v_cndmask_b32_e32 v1, v1, v16, vcc
	v_cmp_gt_u32_e32 vcc, s52, v28
	s_nop 1
	v_cndmask_b32_e32 v18, v18, v17, vcc
	v_and_b32_e32 v18, 0xffff00ff, v18
	v_cndmask_b32_e32 v1, v1, v16, vcc
	v_cmp_gt_u32_e32 vcc, s52, v31
	s_nop 1
	v_cndmask_b32_e32 v18, v18, v17, vcc
	v_lshrrev_b32_e32 v19, 24, v18
	v_cndmask_b32_e32 v1, v1, v16, vcc
	v_perm_b32 v18, v19, v18, s0
	v_cmp_gt_u32_e32 vcc, s52, v29
	s_mov_b32 s0, 0x3020104
	s_nop 0
	v_cndmask_b32_e32 v1, v1, v16, vcc
	v_cndmask_b32_e32 v16, v18, v17, vcc
	v_mov_b32_e32 v17, 8
	v_lshrrev_b32_sdwa v17, v17, v16 dst_sel:BYTE_1 dst_unused:UNUSED_PAD src0_sel:DWORD src1_sel:DWORD
	s_nop 0
	v_or_b32_sdwa v17, v16, v17 dst_sel:DWORD dst_unused:UNUSED_PAD src0_sel:BYTE_0 src1_sel:DWORD
	v_and_b32_e32 v17, 0xffff, v17
	v_bfe_u32 v16, v16, 16, 8
	v_lshl_or_b32 v17, v16, 16, v17
	v_perm_b32 v16, v1, v1, s0
.LBB961_326:
	s_waitcnt vmcnt(0) lgkmcnt(0)
	v_and_b32_e32 v1, 0xff, v16
	v_bfe_u32 v29, v16, 8, 8
	v_bfe_u32 v31, v16, 16, 8
	v_alignbit_b32 v18, v17, v16, 24
	v_and_b32_e32 v33, 0xff, v18
	v_and_b32_e32 v35, 0xff, v17
	v_add3_u32 v19, v29, v1, v31
	v_bfe_u32 v36, v17, 8, 8
	v_bfe_u32 v18, v17, 16, 8
	v_add3_u32 v19, v19, v33, v35
	v_add3_u32 v39, v19, v36, v18
	v_mbcnt_lo_u32_b32 v18, -1, 0
	v_mbcnt_hi_u32_b32 v37, -1, v18
	v_and_b32_e32 v18, 15, v37
	v_cmp_eq_u32_e64 s[14:15], 0, v18
	v_cmp_lt_u32_e64 s[12:13], 1, v18
	v_cmp_lt_u32_e64 s[10:11], 3, v18
	v_cmp_lt_u32_e64 s[8:9], 7, v18
	v_and_b32_e32 v18, 16, v37
	v_cmp_eq_u32_e64 s[6:7], 0, v18
	v_or_b32_e32 v18, 63, v0
	v_cmp_lt_u32_e64 s[2:3], 31, v37
	v_lshrrev_b32_e32 v38, 6, v0
	v_cmp_eq_u32_e64 s[4:5], v18, v0
	s_and_b64 vcc, exec, s[16:17]
	s_barrier
	s_cbranch_vccz .LBB961_353
; %bb.327:
	v_mov_b32_dpp v18, v39 row_shr:1 row_mask:0xf bank_mask:0xf
	v_cndmask_b32_e64 v18, v18, 0, s[14:15]
	v_add_u32_e32 v18, v18, v39
	s_nop 1
	v_mov_b32_dpp v19, v18 row_shr:2 row_mask:0xf bank_mask:0xf
	v_cndmask_b32_e64 v19, 0, v19, s[12:13]
	v_add_u32_e32 v18, v18, v19
	s_nop 1
	;; [unrolled: 4-line block ×4, first 2 shown]
	v_mov_b32_dpp v19, v18 row_bcast:15 row_mask:0xf bank_mask:0xf
	v_cndmask_b32_e64 v19, v19, 0, s[6:7]
	v_add_u32_e32 v18, v18, v19
	s_nop 1
	v_mov_b32_dpp v19, v18 row_bcast:31 row_mask:0xf bank_mask:0xf
	v_cndmask_b32_e64 v19, 0, v19, s[2:3]
	v_add_u32_e32 v18, v18, v19
	s_and_saveexec_b64 s[0:1], s[4:5]
	s_cbranch_execz .LBB961_329
; %bb.328:
	v_lshlrev_b32_e32 v19, 2, v38
	ds_write_b32 v19, v18
.LBB961_329:
	s_or_b64 exec, exec, s[0:1]
	v_cmp_gt_u32_e32 vcc, 8, v0
	s_waitcnt lgkmcnt(0)
	s_barrier
	s_and_saveexec_b64 s[0:1], vcc
	s_cbranch_execz .LBB961_331
; %bb.330:
	v_lshlrev_b32_e32 v19, 2, v0
	ds_read_b32 v20, v19
	v_and_b32_e32 v21, 7, v37
	v_cmp_ne_u32_e32 vcc, 0, v21
	s_waitcnt lgkmcnt(0)
	v_mov_b32_dpp v22, v20 row_shr:1 row_mask:0xf bank_mask:0xf
	v_cndmask_b32_e32 v22, 0, v22, vcc
	v_add_u32_e32 v20, v22, v20
	v_cmp_lt_u32_e32 vcc, 1, v21
	s_nop 0
	v_mov_b32_dpp v22, v20 row_shr:2 row_mask:0xf bank_mask:0xf
	v_cndmask_b32_e32 v22, 0, v22, vcc
	v_add_u32_e32 v20, v20, v22
	v_cmp_lt_u32_e32 vcc, 3, v21
	s_nop 0
	v_mov_b32_dpp v22, v20 row_shr:4 row_mask:0xf bank_mask:0xf
	v_cndmask_b32_e32 v21, 0, v22, vcc
	v_add_u32_e32 v20, v20, v21
	ds_write_b32 v19, v20
.LBB961_331:
	s_or_b64 exec, exec, s[0:1]
	v_cmp_gt_u32_e32 vcc, 64, v0
	v_cmp_lt_u32_e64 s[0:1], 63, v0
	s_waitcnt lgkmcnt(0)
	s_barrier
	s_waitcnt lgkmcnt(0)
                                        ; implicit-def: $vgpr28
	s_and_saveexec_b64 s[16:17], s[0:1]
	s_cbranch_execz .LBB961_333
; %bb.332:
	v_lshl_add_u32 v19, v38, 2, -4
	ds_read_b32 v28, v19
	s_waitcnt lgkmcnt(0)
	v_add_u32_e32 v18, v28, v18
.LBB961_333:
	s_or_b64 exec, exec, s[16:17]
	v_add_u32_e32 v19, -1, v37
	v_and_b32_e32 v20, 64, v37
	v_cmp_lt_i32_e64 s[0:1], v19, v20
	v_cmp_eq_u32_e64 s[16:17], 0, v37
	s_nop 0
	v_cndmask_b32_e64 v19, v19, v37, s[0:1]
	v_lshlrev_b32_e32 v19, 2, v19
	ds_bpermute_b32 v30, v19, v18
	s_and_saveexec_b64 s[0:1], vcc
	s_cbranch_execz .LBB961_352
; %bb.334:
	v_mov_b32_e32 v25, 0
	ds_read_b32 v18, v25 offset:28
	s_and_saveexec_b64 s[26:27], s[16:17]
	s_cbranch_execz .LBB961_336
; %bb.335:
	s_add_i32 s28, s33, 64
	s_mov_b32 s29, 0
	s_lshl_b64 s[28:29], s[28:29], 3
	s_add_u32 s28, s30, s28
	v_mov_b32_e32 v19, 1
	s_addc_u32 s29, s31, s29
	s_waitcnt lgkmcnt(0)
	global_store_dwordx2 v25, v[18:19], s[28:29] sc1
.LBB961_336:
	s_or_b64 exec, exec, s[26:27]
	v_xad_u32 v20, v37, -1, s33
	v_add_u32_e32 v24, 64, v20
	v_lshl_add_u64 v[26:27], v[24:25], 3, s[30:31]
	global_load_dwordx2 v[22:23], v[26:27], off sc1
	s_waitcnt vmcnt(0)
	v_cmp_eq_u16_sdwa s[28:29], v23, v25 src0_sel:BYTE_0 src1_sel:DWORD
	s_and_saveexec_b64 s[26:27], s[28:29]
	s_cbranch_execz .LBB961_340
; %bb.337:
	s_mov_b64 s[28:29], 0
	v_mov_b32_e32 v19, 0
.LBB961_338:                            ; =>This Inner Loop Header: Depth=1
	global_load_dwordx2 v[22:23], v[26:27], off sc1
	s_waitcnt vmcnt(0)
	v_cmp_ne_u16_sdwa s[38:39], v23, v19 src0_sel:BYTE_0 src1_sel:DWORD
	s_or_b64 s[28:29], s[38:39], s[28:29]
	s_andn2_b64 exec, exec, s[28:29]
	s_cbranch_execnz .LBB961_338
; %bb.339:
	s_or_b64 exec, exec, s[28:29]
.LBB961_340:
	s_or_b64 exec, exec, s[26:27]
	v_and_b32_e32 v32, 63, v37
	v_mov_b32_e32 v19, 2
	v_cmp_ne_u32_e32 vcc, 63, v32
	v_cmp_eq_u16_sdwa s[26:27], v23, v19 src0_sel:BYTE_0 src1_sel:DWORD
	v_lshlrev_b64 v[24:25], v37, -1
	v_addc_co_u32_e32 v27, vcc, 0, v37, vcc
	v_and_b32_e32 v21, s27, v25
	v_lshlrev_b32_e32 v34, 2, v27
	v_or_b32_e32 v21, 0x80000000, v21
	ds_bpermute_b32 v27, v34, v22
	v_and_b32_e32 v26, s26, v24
	v_ffbl_b32_e32 v21, v21
	v_add_u32_e32 v21, 32, v21
	v_ffbl_b32_e32 v26, v26
	v_min_u32_e32 v21, v26, v21
	v_cmp_lt_u32_e32 vcc, v32, v21
	v_add_u32_e32 v41, 2, v32
	v_add_u32_e32 v43, 4, v32
	s_waitcnt lgkmcnt(0)
	v_cndmask_b32_e32 v26, 0, v27, vcc
	v_cmp_gt_u32_e32 vcc, 62, v32
	v_add_u32_e32 v22, v26, v22
	v_add_u32_e32 v45, 8, v32
	v_cndmask_b32_e64 v26, 0, 1, vcc
	v_lshlrev_b32_e32 v26, 1, v26
	v_add_lshl_u32 v40, v26, v37, 2
	ds_bpermute_b32 v26, v40, v22
	v_cmp_le_u32_e32 vcc, v41, v21
	v_add_u32_e32 v48, 16, v32
	v_add_u32_e32 v50, 32, v32
	s_waitcnt lgkmcnt(0)
	v_cndmask_b32_e32 v26, 0, v26, vcc
	v_cmp_gt_u32_e32 vcc, 60, v32
	v_add_u32_e32 v22, v22, v26
	s_nop 0
	v_cndmask_b32_e64 v26, 0, 1, vcc
	v_lshlrev_b32_e32 v26, 2, v26
	v_add_lshl_u32 v42, v26, v37, 2
	ds_bpermute_b32 v26, v42, v22
	v_cmp_le_u32_e32 vcc, v43, v21
	s_waitcnt lgkmcnt(0)
	s_nop 0
	v_cndmask_b32_e32 v26, 0, v26, vcc
	v_cmp_gt_u32_e32 vcc, 56, v32
	v_add_u32_e32 v22, v22, v26
	s_nop 0
	v_cndmask_b32_e64 v26, 0, 1, vcc
	v_lshlrev_b32_e32 v26, 3, v26
	v_add_lshl_u32 v44, v26, v37, 2
	ds_bpermute_b32 v26, v44, v22
	v_cmp_le_u32_e32 vcc, v45, v21
	s_waitcnt lgkmcnt(0)
	s_nop 0
	;; [unrolled: 11-line block ×4, first 2 shown]
	v_cndmask_b32_e32 v21, 0, v26, vcc
	v_add_u32_e32 v22, v22, v21
	v_mov_b32_e32 v21, 0
	s_branch .LBB961_342
.LBB961_341:                            ;   in Loop: Header=BB961_342 Depth=1
	s_or_b64 exec, exec, s[26:27]
	v_cmp_eq_u16_sdwa s[26:27], v23, v19 src0_sel:BYTE_0 src1_sel:DWORD
	ds_bpermute_b32 v51, v34, v22
	v_subrev_u32_e32 v20, 64, v20
	v_and_b32_e32 v26, s27, v25
	v_or_b32_e32 v26, 0x80000000, v26
	v_and_b32_e32 v27, s26, v24
	v_ffbl_b32_e32 v26, v26
	v_add_u32_e32 v26, 32, v26
	v_ffbl_b32_e32 v27, v27
	v_min_u32_e32 v26, v27, v26
	v_cmp_lt_u32_e32 vcc, v32, v26
	s_waitcnt lgkmcnt(0)
	s_nop 0
	v_cndmask_b32_e32 v27, 0, v51, vcc
	v_add_u32_e32 v22, v27, v22
	ds_bpermute_b32 v27, v40, v22
	v_cmp_le_u32_e32 vcc, v41, v26
	s_waitcnt lgkmcnt(0)
	s_nop 0
	v_cndmask_b32_e32 v27, 0, v27, vcc
	v_add_u32_e32 v22, v22, v27
	ds_bpermute_b32 v27, v42, v22
	v_cmp_le_u32_e32 vcc, v43, v26
	;; [unrolled: 6-line block ×5, first 2 shown]
	s_waitcnt lgkmcnt(0)
	s_nop 0
	v_cndmask_b32_e32 v26, 0, v27, vcc
	v_add3_u32 v22, v26, v46, v22
.LBB961_342:                            ; =>This Loop Header: Depth=1
                                        ;     Child Loop BB961_345 Depth 2
	v_cmp_ne_u16_sdwa s[26:27], v23, v19 src0_sel:BYTE_0 src1_sel:DWORD
	v_mov_b32_e32 v46, v22
	s_nop 0
	v_cndmask_b32_e64 v23, 0, 1, s[26:27]
	;;#ASMSTART
	;;#ASMEND
	s_nop 0
	v_cmp_ne_u32_e32 vcc, 0, v23
	s_cmp_lg_u64 vcc, exec
	s_cbranch_scc1 .LBB961_347
; %bb.343:                              ;   in Loop: Header=BB961_342 Depth=1
	v_lshl_add_u64 v[26:27], v[20:21], 3, s[30:31]
	global_load_dwordx2 v[22:23], v[26:27], off sc1
	s_waitcnt vmcnt(0)
	v_cmp_eq_u16_sdwa s[28:29], v23, v21 src0_sel:BYTE_0 src1_sel:DWORD
	s_and_saveexec_b64 s[26:27], s[28:29]
	s_cbranch_execz .LBB961_341
; %bb.344:                              ;   in Loop: Header=BB961_342 Depth=1
	s_mov_b64 s[28:29], 0
.LBB961_345:                            ;   Parent Loop BB961_342 Depth=1
                                        ; =>  This Inner Loop Header: Depth=2
	global_load_dwordx2 v[22:23], v[26:27], off sc1
	s_waitcnt vmcnt(0)
	v_cmp_ne_u16_sdwa s[38:39], v23, v21 src0_sel:BYTE_0 src1_sel:DWORD
	s_or_b64 s[28:29], s[38:39], s[28:29]
	s_andn2_b64 exec, exec, s[28:29]
	s_cbranch_execnz .LBB961_345
; %bb.346:                              ;   in Loop: Header=BB961_342 Depth=1
	s_or_b64 exec, exec, s[28:29]
	s_branch .LBB961_341
.LBB961_347:                            ;   in Loop: Header=BB961_342 Depth=1
                                        ; implicit-def: $vgpr22
                                        ; implicit-def: $vgpr23
	s_cbranch_execz .LBB961_342
; %bb.348:
	s_and_saveexec_b64 s[26:27], s[16:17]
	s_cbranch_execz .LBB961_350
; %bb.349:
	s_add_i32 s28, s33, 64
	s_mov_b32 s29, 0
	s_lshl_b64 s[28:29], s[28:29], 3
	s_add_u32 s28, s30, s28
	v_add_u32_e32 v20, v46, v18
	v_mov_b32_e32 v21, 2
	s_addc_u32 s29, s31, s29
	v_mov_b32_e32 v19, 0
	global_store_dwordx2 v19, v[20:21], s[28:29] sc1
	s_movk_i32 s28, 0x7000
	v_add_u32_e64 v19, s28, 0
	ds_write2_b32 v19, v18, v46 offset1:2
.LBB961_350:
	s_or_b64 exec, exec, s[26:27]
	s_and_b64 exec, exec, s[18:19]
	s_cbranch_execz .LBB961_352
; %bb.351:
	v_mov_b32_e32 v18, 0
	ds_write_b32 v18, v46 offset:28
.LBB961_352:
	s_or_b64 exec, exec, s[0:1]
	v_mov_b32_e32 v18, 0
	s_waitcnt lgkmcnt(0)
	s_barrier
	ds_read_b32 v18, v18 offset:28
	v_cndmask_b32_e64 v19, v30, v28, s[16:17]
	v_cndmask_b32_e64 v19, v19, 0, s[18:19]
	s_movk_i32 s0, 0x7000
	s_waitcnt lgkmcnt(0)
	v_add_u32_e32 v34, v18, v19
	v_add_u32_e32 v32, v34, v1
	v_add_u32_e64 v18, s0, 0
	v_add_u32_e32 v30, v32, v29
	s_barrier
	ds_read2_b32 v[18:19], v18 offset1:2
	v_add_u32_e32 v28, v30, v31
	v_add_u32_e32 v26, v28, v33
	;; [unrolled: 1-line block ×4, first 2 shown]
	v_lshrrev_b64 v[20:21], 24, v[16:17]
	s_branch .LBB961_363
.LBB961_353:
                                        ; implicit-def: $vgpr22
                                        ; implicit-def: $vgpr24
                                        ; implicit-def: $vgpr26
                                        ; implicit-def: $vgpr28
                                        ; implicit-def: $vgpr30
                                        ; implicit-def: $vgpr32
                                        ; implicit-def: $vgpr34
                                        ; implicit-def: $vgpr19
	v_lshrrev_b64 v[20:21], 24, v[16:17]
	s_cbranch_execz .LBB961_363
; %bb.354:
	s_waitcnt lgkmcnt(0)
	v_mov_b32_dpp v18, v39 row_shr:1 row_mask:0xf bank_mask:0xf
	v_cndmask_b32_e64 v18, v18, 0, s[14:15]
	v_add_u32_e32 v18, v18, v39
	s_nop 1
	v_mov_b32_dpp v19, v18 row_shr:2 row_mask:0xf bank_mask:0xf
	v_cndmask_b32_e64 v19, 0, v19, s[12:13]
	v_add_u32_e32 v18, v18, v19
	s_nop 1
	;; [unrolled: 4-line block ×4, first 2 shown]
	v_mov_b32_dpp v19, v18 row_bcast:15 row_mask:0xf bank_mask:0xf
	v_cndmask_b32_e64 v19, v19, 0, s[6:7]
	v_add_u32_e32 v18, v18, v19
	s_nop 1
	v_mov_b32_dpp v19, v18 row_bcast:31 row_mask:0xf bank_mask:0xf
	v_cndmask_b32_e64 v19, 0, v19, s[2:3]
	v_add_u32_e32 v18, v18, v19
	s_and_saveexec_b64 s[0:1], s[4:5]
	s_cbranch_execz .LBB961_356
; %bb.355:
	v_lshlrev_b32_e32 v19, 2, v38
	ds_write_b32 v19, v18
.LBB961_356:
	s_or_b64 exec, exec, s[0:1]
	v_cmp_gt_u32_e32 vcc, 8, v0
	s_waitcnt lgkmcnt(0)
	s_barrier
	s_and_saveexec_b64 s[0:1], vcc
	s_cbranch_execz .LBB961_358
; %bb.357:
	v_lshlrev_b32_e32 v19, 2, v0
	ds_read_b32 v21, v19
	v_and_b32_e32 v22, 7, v37
	v_cmp_ne_u32_e32 vcc, 0, v22
	s_waitcnt lgkmcnt(0)
	v_mov_b32_dpp v23, v21 row_shr:1 row_mask:0xf bank_mask:0xf
	v_cndmask_b32_e32 v23, 0, v23, vcc
	v_add_u32_e32 v21, v23, v21
	v_cmp_lt_u32_e32 vcc, 1, v22
	s_nop 0
	v_mov_b32_dpp v23, v21 row_shr:2 row_mask:0xf bank_mask:0xf
	v_cndmask_b32_e32 v23, 0, v23, vcc
	v_add_u32_e32 v21, v21, v23
	v_cmp_lt_u32_e32 vcc, 3, v22
	s_nop 0
	v_mov_b32_dpp v23, v21 row_shr:4 row_mask:0xf bank_mask:0xf
	v_cndmask_b32_e32 v22, 0, v23, vcc
	v_add_u32_e32 v21, v21, v22
	ds_write_b32 v19, v21
.LBB961_358:
	s_or_b64 exec, exec, s[0:1]
	v_cmp_lt_u32_e32 vcc, 63, v0
	v_mov_b32_e32 v19, 0
	v_mov_b32_e32 v21, 0
	s_waitcnt lgkmcnt(0)
	s_barrier
	s_and_saveexec_b64 s[0:1], vcc
	s_cbranch_execz .LBB961_360
; %bb.359:
	v_lshl_add_u32 v21, v38, 2, -4
	ds_read_b32 v21, v21
.LBB961_360:
	s_or_b64 exec, exec, s[0:1]
	v_add_u32_e32 v22, -1, v37
	v_and_b32_e32 v23, 64, v37
	v_cmp_lt_i32_e32 vcc, v22, v23
	s_waitcnt lgkmcnt(0)
	v_add_u32_e32 v18, v21, v18
	v_cndmask_b32_e32 v22, v22, v37, vcc
	v_lshlrev_b32_e32 v22, 2, v22
	ds_bpermute_b32 v22, v22, v18
	ds_read_b32 v18, v19 offset:28
	s_and_saveexec_b64 s[0:1], s[18:19]
	s_cbranch_execz .LBB961_362
; %bb.361:
	v_mov_b32_e32 v23, 0
	v_mov_b32_e32 v19, 2
	s_waitcnt lgkmcnt(0)
	global_store_dwordx2 v23, v[18:19], s[30:31] offset:512 sc1
.LBB961_362:
	s_or_b64 exec, exec, s[0:1]
	v_cmp_eq_u32_e32 vcc, 0, v37
	v_mov_b32_e32 v19, 0
	s_waitcnt lgkmcnt(0)
	v_cndmask_b32_e32 v21, v22, v21, vcc
	v_cndmask_b32_e64 v34, v21, 0, s[18:19]
	v_add_u32_e32 v32, v34, v1
	v_add_u32_e32 v30, v32, v29
	v_add_u32_e32 v28, v30, v31
	v_add_u32_e32 v26, v28, v33
	v_add_u32_e32 v24, v26, v35
	v_add_u32_e32 v22, v24, v36
	s_barrier
.LBB961_363:
	s_movk_i32 s0, 0x201
	s_waitcnt lgkmcnt(0)
	v_cmp_gt_u32_e32 vcc, s0, v18
	v_lshrrev_b32_e32 v21, 8, v16
	v_lshrrev_b32_e32 v1, 8, v17
	s_mov_b64 s[0:1], -1
	s_cbranch_vccnz .LBB961_367
; %bb.364:
	s_and_b64 vcc, exec, s[0:1]
	s_cbranch_vccnz .LBB961_389
.LBB961_365:
	s_and_b64 s[0:1], s[18:19], s[24:25]
	s_and_saveexec_b64 s[2:3], s[0:1]
	s_cbranch_execnz .LBB961_407
.LBB961_366:
	s_endpgm
.LBB961_367:
	v_add_u32_e32 v23, v19, v18
	v_cmp_lt_u32_e32 vcc, v34, v23
	s_or_b64 s[2:3], s[36:37], vcc
	s_and_saveexec_b64 s[0:1], s[2:3]
	s_cbranch_execz .LBB961_370
; %bb.368:
	v_and_b32_e32 v25, 1, v16
	v_cmp_eq_u32_e32 vcc, 1, v25
	s_and_b64 exec, exec, vcc
	s_cbranch_execz .LBB961_370
; %bb.369:
	s_lshl_b64 s[2:3], s[22:23], 3
	s_add_u32 s2, s34, s2
	s_addc_u32 s3, s35, s3
	v_mov_b32_e32 v35, 0
	v_lshl_add_u64 v[36:37], v[34:35], 3, s[2:3]
	global_store_dwordx2 v[36:37], v[10:11], off
.LBB961_370:
	s_or_b64 exec, exec, s[0:1]
	v_cmp_lt_u32_e32 vcc, v32, v23
	s_or_b64 s[2:3], s[36:37], vcc
	s_and_saveexec_b64 s[0:1], s[2:3]
	s_cbranch_execz .LBB961_373
; %bb.371:
	v_and_b32_e32 v25, 1, v21
	v_cmp_eq_u32_e32 vcc, 1, v25
	s_and_b64 exec, exec, vcc
	s_cbranch_execz .LBB961_373
; %bb.372:
	s_lshl_b64 s[2:3], s[22:23], 3
	s_add_u32 s2, s34, s2
	s_addc_u32 s3, s35, s3
	v_mov_b32_e32 v33, 0
	v_lshl_add_u64 v[36:37], v[32:33], 3, s[2:3]
	global_store_dwordx2 v[36:37], v[12:13], off
.LBB961_373:
	s_or_b64 exec, exec, s[0:1]
	v_cmp_lt_u32_e32 vcc, v30, v23
	s_or_b64 s[2:3], s[36:37], vcc
	s_and_saveexec_b64 s[0:1], s[2:3]
	s_cbranch_execz .LBB961_376
; %bb.374:
	v_mov_b32_e32 v25, 1
	v_and_b32_sdwa v25, v25, v16 dst_sel:DWORD dst_unused:UNUSED_PAD src0_sel:DWORD src1_sel:WORD_1
	v_cmp_eq_u32_e32 vcc, 1, v25
	s_and_b64 exec, exec, vcc
	s_cbranch_execz .LBB961_376
; %bb.375:
	s_lshl_b64 s[2:3], s[22:23], 3
	s_add_u32 s2, s34, s2
	s_addc_u32 s3, s35, s3
	v_mov_b32_e32 v31, 0
	v_lshl_add_u64 v[36:37], v[30:31], 3, s[2:3]
	global_store_dwordx2 v[36:37], v[6:7], off
.LBB961_376:
	s_or_b64 exec, exec, s[0:1]
	v_cmp_lt_u32_e32 vcc, v28, v23
	s_or_b64 s[2:3], s[36:37], vcc
	s_and_saveexec_b64 s[0:1], s[2:3]
	s_cbranch_execz .LBB961_379
; %bb.377:
	v_and_b32_e32 v25, 1, v20
	v_cmp_eq_u32_e32 vcc, 1, v25
	s_and_b64 exec, exec, vcc
	s_cbranch_execz .LBB961_379
; %bb.378:
	s_lshl_b64 s[2:3], s[22:23], 3
	s_add_u32 s2, s34, s2
	s_addc_u32 s3, s35, s3
	v_mov_b32_e32 v29, 0
	v_lshl_add_u64 v[36:37], v[28:29], 3, s[2:3]
	global_store_dwordx2 v[36:37], v[8:9], off
.LBB961_379:
	s_or_b64 exec, exec, s[0:1]
	v_cmp_lt_u32_e32 vcc, v26, v23
	s_or_b64 s[2:3], s[36:37], vcc
	s_and_saveexec_b64 s[0:1], s[2:3]
	s_cbranch_execz .LBB961_382
; %bb.380:
	v_and_b32_e32 v25, 1, v17
	v_cmp_eq_u32_e32 vcc, 1, v25
	s_and_b64 exec, exec, vcc
	s_cbranch_execz .LBB961_382
; %bb.381:
	s_lshl_b64 s[2:3], s[22:23], 3
	s_add_u32 s2, s34, s2
	s_addc_u32 s3, s35, s3
	v_mov_b32_e32 v27, 0
	v_lshl_add_u64 v[36:37], v[26:27], 3, s[2:3]
	global_store_dwordx2 v[36:37], v[2:3], off
.LBB961_382:
	;; [unrolled: 18-line block ×3, first 2 shown]
	s_or_b64 exec, exec, s[0:1]
	v_cmp_lt_u32_e32 vcc, v22, v23
	s_or_b64 s[2:3], s[36:37], vcc
	s_and_saveexec_b64 s[0:1], s[2:3]
	s_cbranch_execz .LBB961_388
; %bb.386:
	v_mov_b32_e32 v23, 1
	v_and_b32_sdwa v23, v23, v17 dst_sel:DWORD dst_unused:UNUSED_PAD src0_sel:DWORD src1_sel:WORD_1
	v_cmp_eq_u32_e32 vcc, 1, v23
	s_and_b64 exec, exec, vcc
	s_cbranch_execz .LBB961_388
; %bb.387:
	s_lshl_b64 s[2:3], s[22:23], 3
	s_add_u32 s2, s34, s2
	s_addc_u32 s3, s35, s3
	v_mov_b32_e32 v23, 0
	v_lshl_add_u64 v[36:37], v[22:23], 3, s[2:3]
	global_store_dwordx2 v[36:37], v[14:15], off
.LBB961_388:
	s_or_b64 exec, exec, s[0:1]
	s_branch .LBB961_365
.LBB961_389:
	v_and_b32_e32 v23, 1, v16
	v_cmp_eq_u32_e32 vcc, 1, v23
	s_and_saveexec_b64 s[0:1], vcc
	s_cbranch_execz .LBB961_391
; %bb.390:
	v_sub_u32_e32 v23, v34, v19
	v_lshlrev_b32_e32 v23, 3, v23
	ds_write_b64 v23, v[10:11]
.LBB961_391:
	s_or_b64 exec, exec, s[0:1]
	v_and_b32_e32 v10, 1, v21
	v_cmp_eq_u32_e32 vcc, 1, v10
	s_and_saveexec_b64 s[0:1], vcc
	s_cbranch_execz .LBB961_393
; %bb.392:
	v_sub_u32_e32 v10, v32, v19
	v_lshlrev_b32_e32 v10, 3, v10
	ds_write_b64 v10, v[12:13]
.LBB961_393:
	s_or_b64 exec, exec, s[0:1]
	v_mov_b32_e32 v10, 1
	v_and_b32_sdwa v10, v10, v16 dst_sel:DWORD dst_unused:UNUSED_PAD src0_sel:DWORD src1_sel:WORD_1
	v_cmp_eq_u32_e32 vcc, 1, v10
	s_and_saveexec_b64 s[0:1], vcc
	s_cbranch_execz .LBB961_395
; %bb.394:
	v_sub_u32_e32 v10, v30, v19
	v_lshlrev_b32_e32 v10, 3, v10
	ds_write_b64 v10, v[6:7]
.LBB961_395:
	s_or_b64 exec, exec, s[0:1]
	v_and_b32_e32 v6, 1, v20
	v_cmp_eq_u32_e32 vcc, 1, v6
	s_and_saveexec_b64 s[0:1], vcc
	s_cbranch_execz .LBB961_397
; %bb.396:
	v_sub_u32_e32 v6, v28, v19
	v_lshlrev_b32_e32 v6, 3, v6
	ds_write_b64 v6, v[8:9]
.LBB961_397:
	s_or_b64 exec, exec, s[0:1]
	v_and_b32_e32 v6, 1, v17
	v_cmp_eq_u32_e32 vcc, 1, v6
	s_and_saveexec_b64 s[0:1], vcc
	s_cbranch_execz .LBB961_399
; %bb.398:
	v_sub_u32_e32 v6, v26, v19
	v_lshlrev_b32_e32 v6, 3, v6
	ds_write_b64 v6, v[2:3]
.LBB961_399:
	s_or_b64 exec, exec, s[0:1]
	v_and_b32_e32 v1, 1, v1
	v_cmp_eq_u32_e32 vcc, 1, v1
	s_and_saveexec_b64 s[0:1], vcc
	s_cbranch_execz .LBB961_401
; %bb.400:
	v_sub_u32_e32 v1, v24, v19
	v_lshlrev_b32_e32 v1, 3, v1
	ds_write_b64 v1, v[4:5]
.LBB961_401:
	s_or_b64 exec, exec, s[0:1]
	v_mov_b32_e32 v1, 1
	v_and_b32_sdwa v1, v1, v17 dst_sel:DWORD dst_unused:UNUSED_PAD src0_sel:DWORD src1_sel:WORD_1
	v_cmp_eq_u32_e32 vcc, 1, v1
	s_and_saveexec_b64 s[0:1], vcc
	s_cbranch_execz .LBB961_403
; %bb.402:
	v_sub_u32_e32 v1, v22, v19
	v_lshlrev_b32_e32 v1, 3, v1
	ds_write_b64 v1, v[14:15]
.LBB961_403:
	s_or_b64 exec, exec, s[0:1]
	v_cmp_lt_u32_e32 vcc, v0, v18
	s_waitcnt lgkmcnt(0)
	s_barrier
	s_and_saveexec_b64 s[0:1], vcc
	s_cbranch_execz .LBB961_406
; %bb.404:
	v_mov_b32_e32 v5, 0
	v_mov_b32_e32 v4, v19
	s_lshl_b64 s[2:3], s[22:23], 3
	v_lshlrev_b64 v[6:7], 3, v[4:5]
	v_lshl_add_u64 v[6:7], s[2:3], 0, v[6:7]
	v_lshlrev_b32_e32 v2, 3, v0
	v_mov_b32_e32 v3, v5
	v_lshl_add_u64 v[4:5], s[34:35], 0, v[6:7]
	v_lshl_add_u64 v[4:5], v[4:5], 0, v[2:3]
	s_mov_b64 s[2:3], 0
	s_mov_b64 s[4:5], 0x1000
.LBB961_405:                            ; =>This Inner Loop Header: Depth=1
	ds_read_b64 v[6:7], v2
	v_add_u32_e32 v0, 0x200, v0
	v_cmp_ge_u32_e32 vcc, v0, v18
	v_add_u32_e32 v2, 0x1000, v2
	s_or_b64 s[2:3], vcc, s[2:3]
	s_waitcnt lgkmcnt(0)
	global_store_dwordx2 v[4:5], v[6:7], off
	v_lshl_add_u64 v[4:5], v[4:5], 0, s[4:5]
	s_andn2_b64 exec, exec, s[2:3]
	s_cbranch_execnz .LBB961_405
.LBB961_406:
	s_or_b64 exec, exec, s[0:1]
	s_and_b64 s[0:1], s[18:19], s[24:25]
	s_and_saveexec_b64 s[2:3], s[0:1]
	s_cbranch_execz .LBB961_366
.LBB961_407:
	v_mov_b32_e32 v1, 0
	v_mov_b32_e32 v0, v18
	v_lshl_add_u64 v[2:3], s[22:23], 0, v[0:1]
	v_mov_b32_e32 v0, v19
	v_lshl_add_u64 v[2:3], v[2:3], 0, v[0:1]
	global_store_dwordx2 v1, v[2:3], s[20:21]
	s_endpgm
	.section	.rodata,"a",@progbits
	.p2align	6, 0x0
	.amdhsa_kernel _ZN7rocprim17ROCPRIM_400000_NS6detail17trampoline_kernelINS0_14default_configENS1_25partition_config_selectorILNS1_17partition_subalgoE8ElNS0_10empty_typeEbEEZZNS1_14partition_implILS5_8ELb0ES3_jPlPS6_PKS6_NS0_5tupleIJS9_S6_EEENSD_IJSA_SA_EEENS0_18inequality_wrapperIZN2at6native12_GLOBAL__N_124unique_dim_cuda_templateIfEESt5tupleIJNSH_6TensorESM_SM_EERKSM_lbbbEUlllE0_EEPmJS6_EEE10hipError_tPvRmT3_T4_T5_T6_T7_T9_mT8_P12ihipStream_tbDpT10_ENKUlT_T0_E_clISt17integral_constantIbLb0EES1B_IbLb1EEEEDaS17_S18_EUlS17_E_NS1_11comp_targetILNS1_3genE5ELNS1_11target_archE942ELNS1_3gpuE9ELNS1_3repE0EEENS1_30default_config_static_selectorELNS0_4arch9wavefront6targetE1EEEvT1_
		.amdhsa_group_segment_fixed_size 28684
		.amdhsa_private_segment_fixed_size 0
		.amdhsa_kernarg_size 136
		.amdhsa_user_sgpr_count 2
		.amdhsa_user_sgpr_dispatch_ptr 0
		.amdhsa_user_sgpr_queue_ptr 0
		.amdhsa_user_sgpr_kernarg_segment_ptr 1
		.amdhsa_user_sgpr_dispatch_id 0
		.amdhsa_user_sgpr_kernarg_preload_length 0
		.amdhsa_user_sgpr_kernarg_preload_offset 0
		.amdhsa_user_sgpr_private_segment_size 0
		.amdhsa_uses_dynamic_stack 0
		.amdhsa_enable_private_segment 0
		.amdhsa_system_sgpr_workgroup_id_x 1
		.amdhsa_system_sgpr_workgroup_id_y 0
		.amdhsa_system_sgpr_workgroup_id_z 0
		.amdhsa_system_sgpr_workgroup_info 0
		.amdhsa_system_vgpr_workitem_id 0
		.amdhsa_next_free_vgpr 52
		.amdhsa_next_free_sgpr 56
		.amdhsa_accum_offset 52
		.amdhsa_reserve_vcc 1
		.amdhsa_float_round_mode_32 0
		.amdhsa_float_round_mode_16_64 0
		.amdhsa_float_denorm_mode_32 3
		.amdhsa_float_denorm_mode_16_64 3
		.amdhsa_dx10_clamp 1
		.amdhsa_ieee_mode 1
		.amdhsa_fp16_overflow 0
		.amdhsa_tg_split 0
		.amdhsa_exception_fp_ieee_invalid_op 0
		.amdhsa_exception_fp_denorm_src 0
		.amdhsa_exception_fp_ieee_div_zero 0
		.amdhsa_exception_fp_ieee_overflow 0
		.amdhsa_exception_fp_ieee_underflow 0
		.amdhsa_exception_fp_ieee_inexact 0
		.amdhsa_exception_int_div_zero 0
	.end_amdhsa_kernel
	.section	.text._ZN7rocprim17ROCPRIM_400000_NS6detail17trampoline_kernelINS0_14default_configENS1_25partition_config_selectorILNS1_17partition_subalgoE8ElNS0_10empty_typeEbEEZZNS1_14partition_implILS5_8ELb0ES3_jPlPS6_PKS6_NS0_5tupleIJS9_S6_EEENSD_IJSA_SA_EEENS0_18inequality_wrapperIZN2at6native12_GLOBAL__N_124unique_dim_cuda_templateIfEESt5tupleIJNSH_6TensorESM_SM_EERKSM_lbbbEUlllE0_EEPmJS6_EEE10hipError_tPvRmT3_T4_T5_T6_T7_T9_mT8_P12ihipStream_tbDpT10_ENKUlT_T0_E_clISt17integral_constantIbLb0EES1B_IbLb1EEEEDaS17_S18_EUlS17_E_NS1_11comp_targetILNS1_3genE5ELNS1_11target_archE942ELNS1_3gpuE9ELNS1_3repE0EEENS1_30default_config_static_selectorELNS0_4arch9wavefront6targetE1EEEvT1_,"axG",@progbits,_ZN7rocprim17ROCPRIM_400000_NS6detail17trampoline_kernelINS0_14default_configENS1_25partition_config_selectorILNS1_17partition_subalgoE8ElNS0_10empty_typeEbEEZZNS1_14partition_implILS5_8ELb0ES3_jPlPS6_PKS6_NS0_5tupleIJS9_S6_EEENSD_IJSA_SA_EEENS0_18inequality_wrapperIZN2at6native12_GLOBAL__N_124unique_dim_cuda_templateIfEESt5tupleIJNSH_6TensorESM_SM_EERKSM_lbbbEUlllE0_EEPmJS6_EEE10hipError_tPvRmT3_T4_T5_T6_T7_T9_mT8_P12ihipStream_tbDpT10_ENKUlT_T0_E_clISt17integral_constantIbLb0EES1B_IbLb1EEEEDaS17_S18_EUlS17_E_NS1_11comp_targetILNS1_3genE5ELNS1_11target_archE942ELNS1_3gpuE9ELNS1_3repE0EEENS1_30default_config_static_selectorELNS0_4arch9wavefront6targetE1EEEvT1_,comdat
.Lfunc_end961:
	.size	_ZN7rocprim17ROCPRIM_400000_NS6detail17trampoline_kernelINS0_14default_configENS1_25partition_config_selectorILNS1_17partition_subalgoE8ElNS0_10empty_typeEbEEZZNS1_14partition_implILS5_8ELb0ES3_jPlPS6_PKS6_NS0_5tupleIJS9_S6_EEENSD_IJSA_SA_EEENS0_18inequality_wrapperIZN2at6native12_GLOBAL__N_124unique_dim_cuda_templateIfEESt5tupleIJNSH_6TensorESM_SM_EERKSM_lbbbEUlllE0_EEPmJS6_EEE10hipError_tPvRmT3_T4_T5_T6_T7_T9_mT8_P12ihipStream_tbDpT10_ENKUlT_T0_E_clISt17integral_constantIbLb0EES1B_IbLb1EEEEDaS17_S18_EUlS17_E_NS1_11comp_targetILNS1_3genE5ELNS1_11target_archE942ELNS1_3gpuE9ELNS1_3repE0EEENS1_30default_config_static_selectorELNS0_4arch9wavefront6targetE1EEEvT1_, .Lfunc_end961-_ZN7rocprim17ROCPRIM_400000_NS6detail17trampoline_kernelINS0_14default_configENS1_25partition_config_selectorILNS1_17partition_subalgoE8ElNS0_10empty_typeEbEEZZNS1_14partition_implILS5_8ELb0ES3_jPlPS6_PKS6_NS0_5tupleIJS9_S6_EEENSD_IJSA_SA_EEENS0_18inequality_wrapperIZN2at6native12_GLOBAL__N_124unique_dim_cuda_templateIfEESt5tupleIJNSH_6TensorESM_SM_EERKSM_lbbbEUlllE0_EEPmJS6_EEE10hipError_tPvRmT3_T4_T5_T6_T7_T9_mT8_P12ihipStream_tbDpT10_ENKUlT_T0_E_clISt17integral_constantIbLb0EES1B_IbLb1EEEEDaS17_S18_EUlS17_E_NS1_11comp_targetILNS1_3genE5ELNS1_11target_archE942ELNS1_3gpuE9ELNS1_3repE0EEENS1_30default_config_static_selectorELNS0_4arch9wavefront6targetE1EEEvT1_
                                        ; -- End function
	.section	.AMDGPU.csdata,"",@progbits
; Kernel info:
; codeLenInByte = 13044
; NumSgprs: 62
; NumVgprs: 52
; NumAgprs: 0
; TotalNumVgprs: 52
; ScratchSize: 0
; MemoryBound: 0
; FloatMode: 240
; IeeeMode: 1
; LDSByteSize: 28684 bytes/workgroup (compile time only)
; SGPRBlocks: 7
; VGPRBlocks: 6
; NumSGPRsForWavesPerEU: 62
; NumVGPRsForWavesPerEU: 52
; AccumOffset: 52
; Occupancy: 4
; WaveLimiterHint : 1
; COMPUTE_PGM_RSRC2:SCRATCH_EN: 0
; COMPUTE_PGM_RSRC2:USER_SGPR: 2
; COMPUTE_PGM_RSRC2:TRAP_HANDLER: 0
; COMPUTE_PGM_RSRC2:TGID_X_EN: 1
; COMPUTE_PGM_RSRC2:TGID_Y_EN: 0
; COMPUTE_PGM_RSRC2:TGID_Z_EN: 0
; COMPUTE_PGM_RSRC2:TIDIG_COMP_CNT: 0
; COMPUTE_PGM_RSRC3_GFX90A:ACCUM_OFFSET: 12
; COMPUTE_PGM_RSRC3_GFX90A:TG_SPLIT: 0
	.section	.text._ZN7rocprim17ROCPRIM_400000_NS6detail17trampoline_kernelINS0_14default_configENS1_25partition_config_selectorILNS1_17partition_subalgoE8ElNS0_10empty_typeEbEEZZNS1_14partition_implILS5_8ELb0ES3_jPlPS6_PKS6_NS0_5tupleIJS9_S6_EEENSD_IJSA_SA_EEENS0_18inequality_wrapperIZN2at6native12_GLOBAL__N_124unique_dim_cuda_templateIfEESt5tupleIJNSH_6TensorESM_SM_EERKSM_lbbbEUlllE0_EEPmJS6_EEE10hipError_tPvRmT3_T4_T5_T6_T7_T9_mT8_P12ihipStream_tbDpT10_ENKUlT_T0_E_clISt17integral_constantIbLb0EES1B_IbLb1EEEEDaS17_S18_EUlS17_E_NS1_11comp_targetILNS1_3genE4ELNS1_11target_archE910ELNS1_3gpuE8ELNS1_3repE0EEENS1_30default_config_static_selectorELNS0_4arch9wavefront6targetE1EEEvT1_,"axG",@progbits,_ZN7rocprim17ROCPRIM_400000_NS6detail17trampoline_kernelINS0_14default_configENS1_25partition_config_selectorILNS1_17partition_subalgoE8ElNS0_10empty_typeEbEEZZNS1_14partition_implILS5_8ELb0ES3_jPlPS6_PKS6_NS0_5tupleIJS9_S6_EEENSD_IJSA_SA_EEENS0_18inequality_wrapperIZN2at6native12_GLOBAL__N_124unique_dim_cuda_templateIfEESt5tupleIJNSH_6TensorESM_SM_EERKSM_lbbbEUlllE0_EEPmJS6_EEE10hipError_tPvRmT3_T4_T5_T6_T7_T9_mT8_P12ihipStream_tbDpT10_ENKUlT_T0_E_clISt17integral_constantIbLb0EES1B_IbLb1EEEEDaS17_S18_EUlS17_E_NS1_11comp_targetILNS1_3genE4ELNS1_11target_archE910ELNS1_3gpuE8ELNS1_3repE0EEENS1_30default_config_static_selectorELNS0_4arch9wavefront6targetE1EEEvT1_,comdat
	.globl	_ZN7rocprim17ROCPRIM_400000_NS6detail17trampoline_kernelINS0_14default_configENS1_25partition_config_selectorILNS1_17partition_subalgoE8ElNS0_10empty_typeEbEEZZNS1_14partition_implILS5_8ELb0ES3_jPlPS6_PKS6_NS0_5tupleIJS9_S6_EEENSD_IJSA_SA_EEENS0_18inequality_wrapperIZN2at6native12_GLOBAL__N_124unique_dim_cuda_templateIfEESt5tupleIJNSH_6TensorESM_SM_EERKSM_lbbbEUlllE0_EEPmJS6_EEE10hipError_tPvRmT3_T4_T5_T6_T7_T9_mT8_P12ihipStream_tbDpT10_ENKUlT_T0_E_clISt17integral_constantIbLb0EES1B_IbLb1EEEEDaS17_S18_EUlS17_E_NS1_11comp_targetILNS1_3genE4ELNS1_11target_archE910ELNS1_3gpuE8ELNS1_3repE0EEENS1_30default_config_static_selectorELNS0_4arch9wavefront6targetE1EEEvT1_ ; -- Begin function _ZN7rocprim17ROCPRIM_400000_NS6detail17trampoline_kernelINS0_14default_configENS1_25partition_config_selectorILNS1_17partition_subalgoE8ElNS0_10empty_typeEbEEZZNS1_14partition_implILS5_8ELb0ES3_jPlPS6_PKS6_NS0_5tupleIJS9_S6_EEENSD_IJSA_SA_EEENS0_18inequality_wrapperIZN2at6native12_GLOBAL__N_124unique_dim_cuda_templateIfEESt5tupleIJNSH_6TensorESM_SM_EERKSM_lbbbEUlllE0_EEPmJS6_EEE10hipError_tPvRmT3_T4_T5_T6_T7_T9_mT8_P12ihipStream_tbDpT10_ENKUlT_T0_E_clISt17integral_constantIbLb0EES1B_IbLb1EEEEDaS17_S18_EUlS17_E_NS1_11comp_targetILNS1_3genE4ELNS1_11target_archE910ELNS1_3gpuE8ELNS1_3repE0EEENS1_30default_config_static_selectorELNS0_4arch9wavefront6targetE1EEEvT1_
	.p2align	8
	.type	_ZN7rocprim17ROCPRIM_400000_NS6detail17trampoline_kernelINS0_14default_configENS1_25partition_config_selectorILNS1_17partition_subalgoE8ElNS0_10empty_typeEbEEZZNS1_14partition_implILS5_8ELb0ES3_jPlPS6_PKS6_NS0_5tupleIJS9_S6_EEENSD_IJSA_SA_EEENS0_18inequality_wrapperIZN2at6native12_GLOBAL__N_124unique_dim_cuda_templateIfEESt5tupleIJNSH_6TensorESM_SM_EERKSM_lbbbEUlllE0_EEPmJS6_EEE10hipError_tPvRmT3_T4_T5_T6_T7_T9_mT8_P12ihipStream_tbDpT10_ENKUlT_T0_E_clISt17integral_constantIbLb0EES1B_IbLb1EEEEDaS17_S18_EUlS17_E_NS1_11comp_targetILNS1_3genE4ELNS1_11target_archE910ELNS1_3gpuE8ELNS1_3repE0EEENS1_30default_config_static_selectorELNS0_4arch9wavefront6targetE1EEEvT1_,@function
_ZN7rocprim17ROCPRIM_400000_NS6detail17trampoline_kernelINS0_14default_configENS1_25partition_config_selectorILNS1_17partition_subalgoE8ElNS0_10empty_typeEbEEZZNS1_14partition_implILS5_8ELb0ES3_jPlPS6_PKS6_NS0_5tupleIJS9_S6_EEENSD_IJSA_SA_EEENS0_18inequality_wrapperIZN2at6native12_GLOBAL__N_124unique_dim_cuda_templateIfEESt5tupleIJNSH_6TensorESM_SM_EERKSM_lbbbEUlllE0_EEPmJS6_EEE10hipError_tPvRmT3_T4_T5_T6_T7_T9_mT8_P12ihipStream_tbDpT10_ENKUlT_T0_E_clISt17integral_constantIbLb0EES1B_IbLb1EEEEDaS17_S18_EUlS17_E_NS1_11comp_targetILNS1_3genE4ELNS1_11target_archE910ELNS1_3gpuE8ELNS1_3repE0EEENS1_30default_config_static_selectorELNS0_4arch9wavefront6targetE1EEEvT1_: ; @_ZN7rocprim17ROCPRIM_400000_NS6detail17trampoline_kernelINS0_14default_configENS1_25partition_config_selectorILNS1_17partition_subalgoE8ElNS0_10empty_typeEbEEZZNS1_14partition_implILS5_8ELb0ES3_jPlPS6_PKS6_NS0_5tupleIJS9_S6_EEENSD_IJSA_SA_EEENS0_18inequality_wrapperIZN2at6native12_GLOBAL__N_124unique_dim_cuda_templateIfEESt5tupleIJNSH_6TensorESM_SM_EERKSM_lbbbEUlllE0_EEPmJS6_EEE10hipError_tPvRmT3_T4_T5_T6_T7_T9_mT8_P12ihipStream_tbDpT10_ENKUlT_T0_E_clISt17integral_constantIbLb0EES1B_IbLb1EEEEDaS17_S18_EUlS17_E_NS1_11comp_targetILNS1_3genE4ELNS1_11target_archE910ELNS1_3gpuE8ELNS1_3repE0EEENS1_30default_config_static_selectorELNS0_4arch9wavefront6targetE1EEEvT1_
; %bb.0:
	.section	.rodata,"a",@progbits
	.p2align	6, 0x0
	.amdhsa_kernel _ZN7rocprim17ROCPRIM_400000_NS6detail17trampoline_kernelINS0_14default_configENS1_25partition_config_selectorILNS1_17partition_subalgoE8ElNS0_10empty_typeEbEEZZNS1_14partition_implILS5_8ELb0ES3_jPlPS6_PKS6_NS0_5tupleIJS9_S6_EEENSD_IJSA_SA_EEENS0_18inequality_wrapperIZN2at6native12_GLOBAL__N_124unique_dim_cuda_templateIfEESt5tupleIJNSH_6TensorESM_SM_EERKSM_lbbbEUlllE0_EEPmJS6_EEE10hipError_tPvRmT3_T4_T5_T6_T7_T9_mT8_P12ihipStream_tbDpT10_ENKUlT_T0_E_clISt17integral_constantIbLb0EES1B_IbLb1EEEEDaS17_S18_EUlS17_E_NS1_11comp_targetILNS1_3genE4ELNS1_11target_archE910ELNS1_3gpuE8ELNS1_3repE0EEENS1_30default_config_static_selectorELNS0_4arch9wavefront6targetE1EEEvT1_
		.amdhsa_group_segment_fixed_size 0
		.amdhsa_private_segment_fixed_size 0
		.amdhsa_kernarg_size 136
		.amdhsa_user_sgpr_count 2
		.amdhsa_user_sgpr_dispatch_ptr 0
		.amdhsa_user_sgpr_queue_ptr 0
		.amdhsa_user_sgpr_kernarg_segment_ptr 1
		.amdhsa_user_sgpr_dispatch_id 0
		.amdhsa_user_sgpr_kernarg_preload_length 0
		.amdhsa_user_sgpr_kernarg_preload_offset 0
		.amdhsa_user_sgpr_private_segment_size 0
		.amdhsa_uses_dynamic_stack 0
		.amdhsa_enable_private_segment 0
		.amdhsa_system_sgpr_workgroup_id_x 1
		.amdhsa_system_sgpr_workgroup_id_y 0
		.amdhsa_system_sgpr_workgroup_id_z 0
		.amdhsa_system_sgpr_workgroup_info 0
		.amdhsa_system_vgpr_workitem_id 0
		.amdhsa_next_free_vgpr 1
		.amdhsa_next_free_sgpr 0
		.amdhsa_accum_offset 4
		.amdhsa_reserve_vcc 0
		.amdhsa_float_round_mode_32 0
		.amdhsa_float_round_mode_16_64 0
		.amdhsa_float_denorm_mode_32 3
		.amdhsa_float_denorm_mode_16_64 3
		.amdhsa_dx10_clamp 1
		.amdhsa_ieee_mode 1
		.amdhsa_fp16_overflow 0
		.amdhsa_tg_split 0
		.amdhsa_exception_fp_ieee_invalid_op 0
		.amdhsa_exception_fp_denorm_src 0
		.amdhsa_exception_fp_ieee_div_zero 0
		.amdhsa_exception_fp_ieee_overflow 0
		.amdhsa_exception_fp_ieee_underflow 0
		.amdhsa_exception_fp_ieee_inexact 0
		.amdhsa_exception_int_div_zero 0
	.end_amdhsa_kernel
	.section	.text._ZN7rocprim17ROCPRIM_400000_NS6detail17trampoline_kernelINS0_14default_configENS1_25partition_config_selectorILNS1_17partition_subalgoE8ElNS0_10empty_typeEbEEZZNS1_14partition_implILS5_8ELb0ES3_jPlPS6_PKS6_NS0_5tupleIJS9_S6_EEENSD_IJSA_SA_EEENS0_18inequality_wrapperIZN2at6native12_GLOBAL__N_124unique_dim_cuda_templateIfEESt5tupleIJNSH_6TensorESM_SM_EERKSM_lbbbEUlllE0_EEPmJS6_EEE10hipError_tPvRmT3_T4_T5_T6_T7_T9_mT8_P12ihipStream_tbDpT10_ENKUlT_T0_E_clISt17integral_constantIbLb0EES1B_IbLb1EEEEDaS17_S18_EUlS17_E_NS1_11comp_targetILNS1_3genE4ELNS1_11target_archE910ELNS1_3gpuE8ELNS1_3repE0EEENS1_30default_config_static_selectorELNS0_4arch9wavefront6targetE1EEEvT1_,"axG",@progbits,_ZN7rocprim17ROCPRIM_400000_NS6detail17trampoline_kernelINS0_14default_configENS1_25partition_config_selectorILNS1_17partition_subalgoE8ElNS0_10empty_typeEbEEZZNS1_14partition_implILS5_8ELb0ES3_jPlPS6_PKS6_NS0_5tupleIJS9_S6_EEENSD_IJSA_SA_EEENS0_18inequality_wrapperIZN2at6native12_GLOBAL__N_124unique_dim_cuda_templateIfEESt5tupleIJNSH_6TensorESM_SM_EERKSM_lbbbEUlllE0_EEPmJS6_EEE10hipError_tPvRmT3_T4_T5_T6_T7_T9_mT8_P12ihipStream_tbDpT10_ENKUlT_T0_E_clISt17integral_constantIbLb0EES1B_IbLb1EEEEDaS17_S18_EUlS17_E_NS1_11comp_targetILNS1_3genE4ELNS1_11target_archE910ELNS1_3gpuE8ELNS1_3repE0EEENS1_30default_config_static_selectorELNS0_4arch9wavefront6targetE1EEEvT1_,comdat
.Lfunc_end962:
	.size	_ZN7rocprim17ROCPRIM_400000_NS6detail17trampoline_kernelINS0_14default_configENS1_25partition_config_selectorILNS1_17partition_subalgoE8ElNS0_10empty_typeEbEEZZNS1_14partition_implILS5_8ELb0ES3_jPlPS6_PKS6_NS0_5tupleIJS9_S6_EEENSD_IJSA_SA_EEENS0_18inequality_wrapperIZN2at6native12_GLOBAL__N_124unique_dim_cuda_templateIfEESt5tupleIJNSH_6TensorESM_SM_EERKSM_lbbbEUlllE0_EEPmJS6_EEE10hipError_tPvRmT3_T4_T5_T6_T7_T9_mT8_P12ihipStream_tbDpT10_ENKUlT_T0_E_clISt17integral_constantIbLb0EES1B_IbLb1EEEEDaS17_S18_EUlS17_E_NS1_11comp_targetILNS1_3genE4ELNS1_11target_archE910ELNS1_3gpuE8ELNS1_3repE0EEENS1_30default_config_static_selectorELNS0_4arch9wavefront6targetE1EEEvT1_, .Lfunc_end962-_ZN7rocprim17ROCPRIM_400000_NS6detail17trampoline_kernelINS0_14default_configENS1_25partition_config_selectorILNS1_17partition_subalgoE8ElNS0_10empty_typeEbEEZZNS1_14partition_implILS5_8ELb0ES3_jPlPS6_PKS6_NS0_5tupleIJS9_S6_EEENSD_IJSA_SA_EEENS0_18inequality_wrapperIZN2at6native12_GLOBAL__N_124unique_dim_cuda_templateIfEESt5tupleIJNSH_6TensorESM_SM_EERKSM_lbbbEUlllE0_EEPmJS6_EEE10hipError_tPvRmT3_T4_T5_T6_T7_T9_mT8_P12ihipStream_tbDpT10_ENKUlT_T0_E_clISt17integral_constantIbLb0EES1B_IbLb1EEEEDaS17_S18_EUlS17_E_NS1_11comp_targetILNS1_3genE4ELNS1_11target_archE910ELNS1_3gpuE8ELNS1_3repE0EEENS1_30default_config_static_selectorELNS0_4arch9wavefront6targetE1EEEvT1_
                                        ; -- End function
	.section	.AMDGPU.csdata,"",@progbits
; Kernel info:
; codeLenInByte = 0
; NumSgprs: 6
; NumVgprs: 0
; NumAgprs: 0
; TotalNumVgprs: 0
; ScratchSize: 0
; MemoryBound: 0
; FloatMode: 240
; IeeeMode: 1
; LDSByteSize: 0 bytes/workgroup (compile time only)
; SGPRBlocks: 0
; VGPRBlocks: 0
; NumSGPRsForWavesPerEU: 6
; NumVGPRsForWavesPerEU: 1
; AccumOffset: 4
; Occupancy: 8
; WaveLimiterHint : 0
; COMPUTE_PGM_RSRC2:SCRATCH_EN: 0
; COMPUTE_PGM_RSRC2:USER_SGPR: 2
; COMPUTE_PGM_RSRC2:TRAP_HANDLER: 0
; COMPUTE_PGM_RSRC2:TGID_X_EN: 1
; COMPUTE_PGM_RSRC2:TGID_Y_EN: 0
; COMPUTE_PGM_RSRC2:TGID_Z_EN: 0
; COMPUTE_PGM_RSRC2:TIDIG_COMP_CNT: 0
; COMPUTE_PGM_RSRC3_GFX90A:ACCUM_OFFSET: 0
; COMPUTE_PGM_RSRC3_GFX90A:TG_SPLIT: 0
	.section	.text._ZN7rocprim17ROCPRIM_400000_NS6detail17trampoline_kernelINS0_14default_configENS1_25partition_config_selectorILNS1_17partition_subalgoE8ElNS0_10empty_typeEbEEZZNS1_14partition_implILS5_8ELb0ES3_jPlPS6_PKS6_NS0_5tupleIJS9_S6_EEENSD_IJSA_SA_EEENS0_18inequality_wrapperIZN2at6native12_GLOBAL__N_124unique_dim_cuda_templateIfEESt5tupleIJNSH_6TensorESM_SM_EERKSM_lbbbEUlllE0_EEPmJS6_EEE10hipError_tPvRmT3_T4_T5_T6_T7_T9_mT8_P12ihipStream_tbDpT10_ENKUlT_T0_E_clISt17integral_constantIbLb0EES1B_IbLb1EEEEDaS17_S18_EUlS17_E_NS1_11comp_targetILNS1_3genE3ELNS1_11target_archE908ELNS1_3gpuE7ELNS1_3repE0EEENS1_30default_config_static_selectorELNS0_4arch9wavefront6targetE1EEEvT1_,"axG",@progbits,_ZN7rocprim17ROCPRIM_400000_NS6detail17trampoline_kernelINS0_14default_configENS1_25partition_config_selectorILNS1_17partition_subalgoE8ElNS0_10empty_typeEbEEZZNS1_14partition_implILS5_8ELb0ES3_jPlPS6_PKS6_NS0_5tupleIJS9_S6_EEENSD_IJSA_SA_EEENS0_18inequality_wrapperIZN2at6native12_GLOBAL__N_124unique_dim_cuda_templateIfEESt5tupleIJNSH_6TensorESM_SM_EERKSM_lbbbEUlllE0_EEPmJS6_EEE10hipError_tPvRmT3_T4_T5_T6_T7_T9_mT8_P12ihipStream_tbDpT10_ENKUlT_T0_E_clISt17integral_constantIbLb0EES1B_IbLb1EEEEDaS17_S18_EUlS17_E_NS1_11comp_targetILNS1_3genE3ELNS1_11target_archE908ELNS1_3gpuE7ELNS1_3repE0EEENS1_30default_config_static_selectorELNS0_4arch9wavefront6targetE1EEEvT1_,comdat
	.globl	_ZN7rocprim17ROCPRIM_400000_NS6detail17trampoline_kernelINS0_14default_configENS1_25partition_config_selectorILNS1_17partition_subalgoE8ElNS0_10empty_typeEbEEZZNS1_14partition_implILS5_8ELb0ES3_jPlPS6_PKS6_NS0_5tupleIJS9_S6_EEENSD_IJSA_SA_EEENS0_18inequality_wrapperIZN2at6native12_GLOBAL__N_124unique_dim_cuda_templateIfEESt5tupleIJNSH_6TensorESM_SM_EERKSM_lbbbEUlllE0_EEPmJS6_EEE10hipError_tPvRmT3_T4_T5_T6_T7_T9_mT8_P12ihipStream_tbDpT10_ENKUlT_T0_E_clISt17integral_constantIbLb0EES1B_IbLb1EEEEDaS17_S18_EUlS17_E_NS1_11comp_targetILNS1_3genE3ELNS1_11target_archE908ELNS1_3gpuE7ELNS1_3repE0EEENS1_30default_config_static_selectorELNS0_4arch9wavefront6targetE1EEEvT1_ ; -- Begin function _ZN7rocprim17ROCPRIM_400000_NS6detail17trampoline_kernelINS0_14default_configENS1_25partition_config_selectorILNS1_17partition_subalgoE8ElNS0_10empty_typeEbEEZZNS1_14partition_implILS5_8ELb0ES3_jPlPS6_PKS6_NS0_5tupleIJS9_S6_EEENSD_IJSA_SA_EEENS0_18inequality_wrapperIZN2at6native12_GLOBAL__N_124unique_dim_cuda_templateIfEESt5tupleIJNSH_6TensorESM_SM_EERKSM_lbbbEUlllE0_EEPmJS6_EEE10hipError_tPvRmT3_T4_T5_T6_T7_T9_mT8_P12ihipStream_tbDpT10_ENKUlT_T0_E_clISt17integral_constantIbLb0EES1B_IbLb1EEEEDaS17_S18_EUlS17_E_NS1_11comp_targetILNS1_3genE3ELNS1_11target_archE908ELNS1_3gpuE7ELNS1_3repE0EEENS1_30default_config_static_selectorELNS0_4arch9wavefront6targetE1EEEvT1_
	.p2align	8
	.type	_ZN7rocprim17ROCPRIM_400000_NS6detail17trampoline_kernelINS0_14default_configENS1_25partition_config_selectorILNS1_17partition_subalgoE8ElNS0_10empty_typeEbEEZZNS1_14partition_implILS5_8ELb0ES3_jPlPS6_PKS6_NS0_5tupleIJS9_S6_EEENSD_IJSA_SA_EEENS0_18inequality_wrapperIZN2at6native12_GLOBAL__N_124unique_dim_cuda_templateIfEESt5tupleIJNSH_6TensorESM_SM_EERKSM_lbbbEUlllE0_EEPmJS6_EEE10hipError_tPvRmT3_T4_T5_T6_T7_T9_mT8_P12ihipStream_tbDpT10_ENKUlT_T0_E_clISt17integral_constantIbLb0EES1B_IbLb1EEEEDaS17_S18_EUlS17_E_NS1_11comp_targetILNS1_3genE3ELNS1_11target_archE908ELNS1_3gpuE7ELNS1_3repE0EEENS1_30default_config_static_selectorELNS0_4arch9wavefront6targetE1EEEvT1_,@function
_ZN7rocprim17ROCPRIM_400000_NS6detail17trampoline_kernelINS0_14default_configENS1_25partition_config_selectorILNS1_17partition_subalgoE8ElNS0_10empty_typeEbEEZZNS1_14partition_implILS5_8ELb0ES3_jPlPS6_PKS6_NS0_5tupleIJS9_S6_EEENSD_IJSA_SA_EEENS0_18inequality_wrapperIZN2at6native12_GLOBAL__N_124unique_dim_cuda_templateIfEESt5tupleIJNSH_6TensorESM_SM_EERKSM_lbbbEUlllE0_EEPmJS6_EEE10hipError_tPvRmT3_T4_T5_T6_T7_T9_mT8_P12ihipStream_tbDpT10_ENKUlT_T0_E_clISt17integral_constantIbLb0EES1B_IbLb1EEEEDaS17_S18_EUlS17_E_NS1_11comp_targetILNS1_3genE3ELNS1_11target_archE908ELNS1_3gpuE7ELNS1_3repE0EEENS1_30default_config_static_selectorELNS0_4arch9wavefront6targetE1EEEvT1_: ; @_ZN7rocprim17ROCPRIM_400000_NS6detail17trampoline_kernelINS0_14default_configENS1_25partition_config_selectorILNS1_17partition_subalgoE8ElNS0_10empty_typeEbEEZZNS1_14partition_implILS5_8ELb0ES3_jPlPS6_PKS6_NS0_5tupleIJS9_S6_EEENSD_IJSA_SA_EEENS0_18inequality_wrapperIZN2at6native12_GLOBAL__N_124unique_dim_cuda_templateIfEESt5tupleIJNSH_6TensorESM_SM_EERKSM_lbbbEUlllE0_EEPmJS6_EEE10hipError_tPvRmT3_T4_T5_T6_T7_T9_mT8_P12ihipStream_tbDpT10_ENKUlT_T0_E_clISt17integral_constantIbLb0EES1B_IbLb1EEEEDaS17_S18_EUlS17_E_NS1_11comp_targetILNS1_3genE3ELNS1_11target_archE908ELNS1_3gpuE7ELNS1_3repE0EEENS1_30default_config_static_selectorELNS0_4arch9wavefront6targetE1EEEvT1_
; %bb.0:
	.section	.rodata,"a",@progbits
	.p2align	6, 0x0
	.amdhsa_kernel _ZN7rocprim17ROCPRIM_400000_NS6detail17trampoline_kernelINS0_14default_configENS1_25partition_config_selectorILNS1_17partition_subalgoE8ElNS0_10empty_typeEbEEZZNS1_14partition_implILS5_8ELb0ES3_jPlPS6_PKS6_NS0_5tupleIJS9_S6_EEENSD_IJSA_SA_EEENS0_18inequality_wrapperIZN2at6native12_GLOBAL__N_124unique_dim_cuda_templateIfEESt5tupleIJNSH_6TensorESM_SM_EERKSM_lbbbEUlllE0_EEPmJS6_EEE10hipError_tPvRmT3_T4_T5_T6_T7_T9_mT8_P12ihipStream_tbDpT10_ENKUlT_T0_E_clISt17integral_constantIbLb0EES1B_IbLb1EEEEDaS17_S18_EUlS17_E_NS1_11comp_targetILNS1_3genE3ELNS1_11target_archE908ELNS1_3gpuE7ELNS1_3repE0EEENS1_30default_config_static_selectorELNS0_4arch9wavefront6targetE1EEEvT1_
		.amdhsa_group_segment_fixed_size 0
		.amdhsa_private_segment_fixed_size 0
		.amdhsa_kernarg_size 136
		.amdhsa_user_sgpr_count 2
		.amdhsa_user_sgpr_dispatch_ptr 0
		.amdhsa_user_sgpr_queue_ptr 0
		.amdhsa_user_sgpr_kernarg_segment_ptr 1
		.amdhsa_user_sgpr_dispatch_id 0
		.amdhsa_user_sgpr_kernarg_preload_length 0
		.amdhsa_user_sgpr_kernarg_preload_offset 0
		.amdhsa_user_sgpr_private_segment_size 0
		.amdhsa_uses_dynamic_stack 0
		.amdhsa_enable_private_segment 0
		.amdhsa_system_sgpr_workgroup_id_x 1
		.amdhsa_system_sgpr_workgroup_id_y 0
		.amdhsa_system_sgpr_workgroup_id_z 0
		.amdhsa_system_sgpr_workgroup_info 0
		.amdhsa_system_vgpr_workitem_id 0
		.amdhsa_next_free_vgpr 1
		.amdhsa_next_free_sgpr 0
		.amdhsa_accum_offset 4
		.amdhsa_reserve_vcc 0
		.amdhsa_float_round_mode_32 0
		.amdhsa_float_round_mode_16_64 0
		.amdhsa_float_denorm_mode_32 3
		.amdhsa_float_denorm_mode_16_64 3
		.amdhsa_dx10_clamp 1
		.amdhsa_ieee_mode 1
		.amdhsa_fp16_overflow 0
		.amdhsa_tg_split 0
		.amdhsa_exception_fp_ieee_invalid_op 0
		.amdhsa_exception_fp_denorm_src 0
		.amdhsa_exception_fp_ieee_div_zero 0
		.amdhsa_exception_fp_ieee_overflow 0
		.amdhsa_exception_fp_ieee_underflow 0
		.amdhsa_exception_fp_ieee_inexact 0
		.amdhsa_exception_int_div_zero 0
	.end_amdhsa_kernel
	.section	.text._ZN7rocprim17ROCPRIM_400000_NS6detail17trampoline_kernelINS0_14default_configENS1_25partition_config_selectorILNS1_17partition_subalgoE8ElNS0_10empty_typeEbEEZZNS1_14partition_implILS5_8ELb0ES3_jPlPS6_PKS6_NS0_5tupleIJS9_S6_EEENSD_IJSA_SA_EEENS0_18inequality_wrapperIZN2at6native12_GLOBAL__N_124unique_dim_cuda_templateIfEESt5tupleIJNSH_6TensorESM_SM_EERKSM_lbbbEUlllE0_EEPmJS6_EEE10hipError_tPvRmT3_T4_T5_T6_T7_T9_mT8_P12ihipStream_tbDpT10_ENKUlT_T0_E_clISt17integral_constantIbLb0EES1B_IbLb1EEEEDaS17_S18_EUlS17_E_NS1_11comp_targetILNS1_3genE3ELNS1_11target_archE908ELNS1_3gpuE7ELNS1_3repE0EEENS1_30default_config_static_selectorELNS0_4arch9wavefront6targetE1EEEvT1_,"axG",@progbits,_ZN7rocprim17ROCPRIM_400000_NS6detail17trampoline_kernelINS0_14default_configENS1_25partition_config_selectorILNS1_17partition_subalgoE8ElNS0_10empty_typeEbEEZZNS1_14partition_implILS5_8ELb0ES3_jPlPS6_PKS6_NS0_5tupleIJS9_S6_EEENSD_IJSA_SA_EEENS0_18inequality_wrapperIZN2at6native12_GLOBAL__N_124unique_dim_cuda_templateIfEESt5tupleIJNSH_6TensorESM_SM_EERKSM_lbbbEUlllE0_EEPmJS6_EEE10hipError_tPvRmT3_T4_T5_T6_T7_T9_mT8_P12ihipStream_tbDpT10_ENKUlT_T0_E_clISt17integral_constantIbLb0EES1B_IbLb1EEEEDaS17_S18_EUlS17_E_NS1_11comp_targetILNS1_3genE3ELNS1_11target_archE908ELNS1_3gpuE7ELNS1_3repE0EEENS1_30default_config_static_selectorELNS0_4arch9wavefront6targetE1EEEvT1_,comdat
.Lfunc_end963:
	.size	_ZN7rocprim17ROCPRIM_400000_NS6detail17trampoline_kernelINS0_14default_configENS1_25partition_config_selectorILNS1_17partition_subalgoE8ElNS0_10empty_typeEbEEZZNS1_14partition_implILS5_8ELb0ES3_jPlPS6_PKS6_NS0_5tupleIJS9_S6_EEENSD_IJSA_SA_EEENS0_18inequality_wrapperIZN2at6native12_GLOBAL__N_124unique_dim_cuda_templateIfEESt5tupleIJNSH_6TensorESM_SM_EERKSM_lbbbEUlllE0_EEPmJS6_EEE10hipError_tPvRmT3_T4_T5_T6_T7_T9_mT8_P12ihipStream_tbDpT10_ENKUlT_T0_E_clISt17integral_constantIbLb0EES1B_IbLb1EEEEDaS17_S18_EUlS17_E_NS1_11comp_targetILNS1_3genE3ELNS1_11target_archE908ELNS1_3gpuE7ELNS1_3repE0EEENS1_30default_config_static_selectorELNS0_4arch9wavefront6targetE1EEEvT1_, .Lfunc_end963-_ZN7rocprim17ROCPRIM_400000_NS6detail17trampoline_kernelINS0_14default_configENS1_25partition_config_selectorILNS1_17partition_subalgoE8ElNS0_10empty_typeEbEEZZNS1_14partition_implILS5_8ELb0ES3_jPlPS6_PKS6_NS0_5tupleIJS9_S6_EEENSD_IJSA_SA_EEENS0_18inequality_wrapperIZN2at6native12_GLOBAL__N_124unique_dim_cuda_templateIfEESt5tupleIJNSH_6TensorESM_SM_EERKSM_lbbbEUlllE0_EEPmJS6_EEE10hipError_tPvRmT3_T4_T5_T6_T7_T9_mT8_P12ihipStream_tbDpT10_ENKUlT_T0_E_clISt17integral_constantIbLb0EES1B_IbLb1EEEEDaS17_S18_EUlS17_E_NS1_11comp_targetILNS1_3genE3ELNS1_11target_archE908ELNS1_3gpuE7ELNS1_3repE0EEENS1_30default_config_static_selectorELNS0_4arch9wavefront6targetE1EEEvT1_
                                        ; -- End function
	.section	.AMDGPU.csdata,"",@progbits
; Kernel info:
; codeLenInByte = 0
; NumSgprs: 6
; NumVgprs: 0
; NumAgprs: 0
; TotalNumVgprs: 0
; ScratchSize: 0
; MemoryBound: 0
; FloatMode: 240
; IeeeMode: 1
; LDSByteSize: 0 bytes/workgroup (compile time only)
; SGPRBlocks: 0
; VGPRBlocks: 0
; NumSGPRsForWavesPerEU: 6
; NumVGPRsForWavesPerEU: 1
; AccumOffset: 4
; Occupancy: 8
; WaveLimiterHint : 0
; COMPUTE_PGM_RSRC2:SCRATCH_EN: 0
; COMPUTE_PGM_RSRC2:USER_SGPR: 2
; COMPUTE_PGM_RSRC2:TRAP_HANDLER: 0
; COMPUTE_PGM_RSRC2:TGID_X_EN: 1
; COMPUTE_PGM_RSRC2:TGID_Y_EN: 0
; COMPUTE_PGM_RSRC2:TGID_Z_EN: 0
; COMPUTE_PGM_RSRC2:TIDIG_COMP_CNT: 0
; COMPUTE_PGM_RSRC3_GFX90A:ACCUM_OFFSET: 0
; COMPUTE_PGM_RSRC3_GFX90A:TG_SPLIT: 0
	.section	.text._ZN7rocprim17ROCPRIM_400000_NS6detail17trampoline_kernelINS0_14default_configENS1_25partition_config_selectorILNS1_17partition_subalgoE8ElNS0_10empty_typeEbEEZZNS1_14partition_implILS5_8ELb0ES3_jPlPS6_PKS6_NS0_5tupleIJS9_S6_EEENSD_IJSA_SA_EEENS0_18inequality_wrapperIZN2at6native12_GLOBAL__N_124unique_dim_cuda_templateIfEESt5tupleIJNSH_6TensorESM_SM_EERKSM_lbbbEUlllE0_EEPmJS6_EEE10hipError_tPvRmT3_T4_T5_T6_T7_T9_mT8_P12ihipStream_tbDpT10_ENKUlT_T0_E_clISt17integral_constantIbLb0EES1B_IbLb1EEEEDaS17_S18_EUlS17_E_NS1_11comp_targetILNS1_3genE2ELNS1_11target_archE906ELNS1_3gpuE6ELNS1_3repE0EEENS1_30default_config_static_selectorELNS0_4arch9wavefront6targetE1EEEvT1_,"axG",@progbits,_ZN7rocprim17ROCPRIM_400000_NS6detail17trampoline_kernelINS0_14default_configENS1_25partition_config_selectorILNS1_17partition_subalgoE8ElNS0_10empty_typeEbEEZZNS1_14partition_implILS5_8ELb0ES3_jPlPS6_PKS6_NS0_5tupleIJS9_S6_EEENSD_IJSA_SA_EEENS0_18inequality_wrapperIZN2at6native12_GLOBAL__N_124unique_dim_cuda_templateIfEESt5tupleIJNSH_6TensorESM_SM_EERKSM_lbbbEUlllE0_EEPmJS6_EEE10hipError_tPvRmT3_T4_T5_T6_T7_T9_mT8_P12ihipStream_tbDpT10_ENKUlT_T0_E_clISt17integral_constantIbLb0EES1B_IbLb1EEEEDaS17_S18_EUlS17_E_NS1_11comp_targetILNS1_3genE2ELNS1_11target_archE906ELNS1_3gpuE6ELNS1_3repE0EEENS1_30default_config_static_selectorELNS0_4arch9wavefront6targetE1EEEvT1_,comdat
	.globl	_ZN7rocprim17ROCPRIM_400000_NS6detail17trampoline_kernelINS0_14default_configENS1_25partition_config_selectorILNS1_17partition_subalgoE8ElNS0_10empty_typeEbEEZZNS1_14partition_implILS5_8ELb0ES3_jPlPS6_PKS6_NS0_5tupleIJS9_S6_EEENSD_IJSA_SA_EEENS0_18inequality_wrapperIZN2at6native12_GLOBAL__N_124unique_dim_cuda_templateIfEESt5tupleIJNSH_6TensorESM_SM_EERKSM_lbbbEUlllE0_EEPmJS6_EEE10hipError_tPvRmT3_T4_T5_T6_T7_T9_mT8_P12ihipStream_tbDpT10_ENKUlT_T0_E_clISt17integral_constantIbLb0EES1B_IbLb1EEEEDaS17_S18_EUlS17_E_NS1_11comp_targetILNS1_3genE2ELNS1_11target_archE906ELNS1_3gpuE6ELNS1_3repE0EEENS1_30default_config_static_selectorELNS0_4arch9wavefront6targetE1EEEvT1_ ; -- Begin function _ZN7rocprim17ROCPRIM_400000_NS6detail17trampoline_kernelINS0_14default_configENS1_25partition_config_selectorILNS1_17partition_subalgoE8ElNS0_10empty_typeEbEEZZNS1_14partition_implILS5_8ELb0ES3_jPlPS6_PKS6_NS0_5tupleIJS9_S6_EEENSD_IJSA_SA_EEENS0_18inequality_wrapperIZN2at6native12_GLOBAL__N_124unique_dim_cuda_templateIfEESt5tupleIJNSH_6TensorESM_SM_EERKSM_lbbbEUlllE0_EEPmJS6_EEE10hipError_tPvRmT3_T4_T5_T6_T7_T9_mT8_P12ihipStream_tbDpT10_ENKUlT_T0_E_clISt17integral_constantIbLb0EES1B_IbLb1EEEEDaS17_S18_EUlS17_E_NS1_11comp_targetILNS1_3genE2ELNS1_11target_archE906ELNS1_3gpuE6ELNS1_3repE0EEENS1_30default_config_static_selectorELNS0_4arch9wavefront6targetE1EEEvT1_
	.p2align	8
	.type	_ZN7rocprim17ROCPRIM_400000_NS6detail17trampoline_kernelINS0_14default_configENS1_25partition_config_selectorILNS1_17partition_subalgoE8ElNS0_10empty_typeEbEEZZNS1_14partition_implILS5_8ELb0ES3_jPlPS6_PKS6_NS0_5tupleIJS9_S6_EEENSD_IJSA_SA_EEENS0_18inequality_wrapperIZN2at6native12_GLOBAL__N_124unique_dim_cuda_templateIfEESt5tupleIJNSH_6TensorESM_SM_EERKSM_lbbbEUlllE0_EEPmJS6_EEE10hipError_tPvRmT3_T4_T5_T6_T7_T9_mT8_P12ihipStream_tbDpT10_ENKUlT_T0_E_clISt17integral_constantIbLb0EES1B_IbLb1EEEEDaS17_S18_EUlS17_E_NS1_11comp_targetILNS1_3genE2ELNS1_11target_archE906ELNS1_3gpuE6ELNS1_3repE0EEENS1_30default_config_static_selectorELNS0_4arch9wavefront6targetE1EEEvT1_,@function
_ZN7rocprim17ROCPRIM_400000_NS6detail17trampoline_kernelINS0_14default_configENS1_25partition_config_selectorILNS1_17partition_subalgoE8ElNS0_10empty_typeEbEEZZNS1_14partition_implILS5_8ELb0ES3_jPlPS6_PKS6_NS0_5tupleIJS9_S6_EEENSD_IJSA_SA_EEENS0_18inequality_wrapperIZN2at6native12_GLOBAL__N_124unique_dim_cuda_templateIfEESt5tupleIJNSH_6TensorESM_SM_EERKSM_lbbbEUlllE0_EEPmJS6_EEE10hipError_tPvRmT3_T4_T5_T6_T7_T9_mT8_P12ihipStream_tbDpT10_ENKUlT_T0_E_clISt17integral_constantIbLb0EES1B_IbLb1EEEEDaS17_S18_EUlS17_E_NS1_11comp_targetILNS1_3genE2ELNS1_11target_archE906ELNS1_3gpuE6ELNS1_3repE0EEENS1_30default_config_static_selectorELNS0_4arch9wavefront6targetE1EEEvT1_: ; @_ZN7rocprim17ROCPRIM_400000_NS6detail17trampoline_kernelINS0_14default_configENS1_25partition_config_selectorILNS1_17partition_subalgoE8ElNS0_10empty_typeEbEEZZNS1_14partition_implILS5_8ELb0ES3_jPlPS6_PKS6_NS0_5tupleIJS9_S6_EEENSD_IJSA_SA_EEENS0_18inequality_wrapperIZN2at6native12_GLOBAL__N_124unique_dim_cuda_templateIfEESt5tupleIJNSH_6TensorESM_SM_EERKSM_lbbbEUlllE0_EEPmJS6_EEE10hipError_tPvRmT3_T4_T5_T6_T7_T9_mT8_P12ihipStream_tbDpT10_ENKUlT_T0_E_clISt17integral_constantIbLb0EES1B_IbLb1EEEEDaS17_S18_EUlS17_E_NS1_11comp_targetILNS1_3genE2ELNS1_11target_archE906ELNS1_3gpuE6ELNS1_3repE0EEENS1_30default_config_static_selectorELNS0_4arch9wavefront6targetE1EEEvT1_
; %bb.0:
	.section	.rodata,"a",@progbits
	.p2align	6, 0x0
	.amdhsa_kernel _ZN7rocprim17ROCPRIM_400000_NS6detail17trampoline_kernelINS0_14default_configENS1_25partition_config_selectorILNS1_17partition_subalgoE8ElNS0_10empty_typeEbEEZZNS1_14partition_implILS5_8ELb0ES3_jPlPS6_PKS6_NS0_5tupleIJS9_S6_EEENSD_IJSA_SA_EEENS0_18inequality_wrapperIZN2at6native12_GLOBAL__N_124unique_dim_cuda_templateIfEESt5tupleIJNSH_6TensorESM_SM_EERKSM_lbbbEUlllE0_EEPmJS6_EEE10hipError_tPvRmT3_T4_T5_T6_T7_T9_mT8_P12ihipStream_tbDpT10_ENKUlT_T0_E_clISt17integral_constantIbLb0EES1B_IbLb1EEEEDaS17_S18_EUlS17_E_NS1_11comp_targetILNS1_3genE2ELNS1_11target_archE906ELNS1_3gpuE6ELNS1_3repE0EEENS1_30default_config_static_selectorELNS0_4arch9wavefront6targetE1EEEvT1_
		.amdhsa_group_segment_fixed_size 0
		.amdhsa_private_segment_fixed_size 0
		.amdhsa_kernarg_size 136
		.amdhsa_user_sgpr_count 2
		.amdhsa_user_sgpr_dispatch_ptr 0
		.amdhsa_user_sgpr_queue_ptr 0
		.amdhsa_user_sgpr_kernarg_segment_ptr 1
		.amdhsa_user_sgpr_dispatch_id 0
		.amdhsa_user_sgpr_kernarg_preload_length 0
		.amdhsa_user_sgpr_kernarg_preload_offset 0
		.amdhsa_user_sgpr_private_segment_size 0
		.amdhsa_uses_dynamic_stack 0
		.amdhsa_enable_private_segment 0
		.amdhsa_system_sgpr_workgroup_id_x 1
		.amdhsa_system_sgpr_workgroup_id_y 0
		.amdhsa_system_sgpr_workgroup_id_z 0
		.amdhsa_system_sgpr_workgroup_info 0
		.amdhsa_system_vgpr_workitem_id 0
		.amdhsa_next_free_vgpr 1
		.amdhsa_next_free_sgpr 0
		.amdhsa_accum_offset 4
		.amdhsa_reserve_vcc 0
		.amdhsa_float_round_mode_32 0
		.amdhsa_float_round_mode_16_64 0
		.amdhsa_float_denorm_mode_32 3
		.amdhsa_float_denorm_mode_16_64 3
		.amdhsa_dx10_clamp 1
		.amdhsa_ieee_mode 1
		.amdhsa_fp16_overflow 0
		.amdhsa_tg_split 0
		.amdhsa_exception_fp_ieee_invalid_op 0
		.amdhsa_exception_fp_denorm_src 0
		.amdhsa_exception_fp_ieee_div_zero 0
		.amdhsa_exception_fp_ieee_overflow 0
		.amdhsa_exception_fp_ieee_underflow 0
		.amdhsa_exception_fp_ieee_inexact 0
		.amdhsa_exception_int_div_zero 0
	.end_amdhsa_kernel
	.section	.text._ZN7rocprim17ROCPRIM_400000_NS6detail17trampoline_kernelINS0_14default_configENS1_25partition_config_selectorILNS1_17partition_subalgoE8ElNS0_10empty_typeEbEEZZNS1_14partition_implILS5_8ELb0ES3_jPlPS6_PKS6_NS0_5tupleIJS9_S6_EEENSD_IJSA_SA_EEENS0_18inequality_wrapperIZN2at6native12_GLOBAL__N_124unique_dim_cuda_templateIfEESt5tupleIJNSH_6TensorESM_SM_EERKSM_lbbbEUlllE0_EEPmJS6_EEE10hipError_tPvRmT3_T4_T5_T6_T7_T9_mT8_P12ihipStream_tbDpT10_ENKUlT_T0_E_clISt17integral_constantIbLb0EES1B_IbLb1EEEEDaS17_S18_EUlS17_E_NS1_11comp_targetILNS1_3genE2ELNS1_11target_archE906ELNS1_3gpuE6ELNS1_3repE0EEENS1_30default_config_static_selectorELNS0_4arch9wavefront6targetE1EEEvT1_,"axG",@progbits,_ZN7rocprim17ROCPRIM_400000_NS6detail17trampoline_kernelINS0_14default_configENS1_25partition_config_selectorILNS1_17partition_subalgoE8ElNS0_10empty_typeEbEEZZNS1_14partition_implILS5_8ELb0ES3_jPlPS6_PKS6_NS0_5tupleIJS9_S6_EEENSD_IJSA_SA_EEENS0_18inequality_wrapperIZN2at6native12_GLOBAL__N_124unique_dim_cuda_templateIfEESt5tupleIJNSH_6TensorESM_SM_EERKSM_lbbbEUlllE0_EEPmJS6_EEE10hipError_tPvRmT3_T4_T5_T6_T7_T9_mT8_P12ihipStream_tbDpT10_ENKUlT_T0_E_clISt17integral_constantIbLb0EES1B_IbLb1EEEEDaS17_S18_EUlS17_E_NS1_11comp_targetILNS1_3genE2ELNS1_11target_archE906ELNS1_3gpuE6ELNS1_3repE0EEENS1_30default_config_static_selectorELNS0_4arch9wavefront6targetE1EEEvT1_,comdat
.Lfunc_end964:
	.size	_ZN7rocprim17ROCPRIM_400000_NS6detail17trampoline_kernelINS0_14default_configENS1_25partition_config_selectorILNS1_17partition_subalgoE8ElNS0_10empty_typeEbEEZZNS1_14partition_implILS5_8ELb0ES3_jPlPS6_PKS6_NS0_5tupleIJS9_S6_EEENSD_IJSA_SA_EEENS0_18inequality_wrapperIZN2at6native12_GLOBAL__N_124unique_dim_cuda_templateIfEESt5tupleIJNSH_6TensorESM_SM_EERKSM_lbbbEUlllE0_EEPmJS6_EEE10hipError_tPvRmT3_T4_T5_T6_T7_T9_mT8_P12ihipStream_tbDpT10_ENKUlT_T0_E_clISt17integral_constantIbLb0EES1B_IbLb1EEEEDaS17_S18_EUlS17_E_NS1_11comp_targetILNS1_3genE2ELNS1_11target_archE906ELNS1_3gpuE6ELNS1_3repE0EEENS1_30default_config_static_selectorELNS0_4arch9wavefront6targetE1EEEvT1_, .Lfunc_end964-_ZN7rocprim17ROCPRIM_400000_NS6detail17trampoline_kernelINS0_14default_configENS1_25partition_config_selectorILNS1_17partition_subalgoE8ElNS0_10empty_typeEbEEZZNS1_14partition_implILS5_8ELb0ES3_jPlPS6_PKS6_NS0_5tupleIJS9_S6_EEENSD_IJSA_SA_EEENS0_18inequality_wrapperIZN2at6native12_GLOBAL__N_124unique_dim_cuda_templateIfEESt5tupleIJNSH_6TensorESM_SM_EERKSM_lbbbEUlllE0_EEPmJS6_EEE10hipError_tPvRmT3_T4_T5_T6_T7_T9_mT8_P12ihipStream_tbDpT10_ENKUlT_T0_E_clISt17integral_constantIbLb0EES1B_IbLb1EEEEDaS17_S18_EUlS17_E_NS1_11comp_targetILNS1_3genE2ELNS1_11target_archE906ELNS1_3gpuE6ELNS1_3repE0EEENS1_30default_config_static_selectorELNS0_4arch9wavefront6targetE1EEEvT1_
                                        ; -- End function
	.section	.AMDGPU.csdata,"",@progbits
; Kernel info:
; codeLenInByte = 0
; NumSgprs: 6
; NumVgprs: 0
; NumAgprs: 0
; TotalNumVgprs: 0
; ScratchSize: 0
; MemoryBound: 0
; FloatMode: 240
; IeeeMode: 1
; LDSByteSize: 0 bytes/workgroup (compile time only)
; SGPRBlocks: 0
; VGPRBlocks: 0
; NumSGPRsForWavesPerEU: 6
; NumVGPRsForWavesPerEU: 1
; AccumOffset: 4
; Occupancy: 8
; WaveLimiterHint : 0
; COMPUTE_PGM_RSRC2:SCRATCH_EN: 0
; COMPUTE_PGM_RSRC2:USER_SGPR: 2
; COMPUTE_PGM_RSRC2:TRAP_HANDLER: 0
; COMPUTE_PGM_RSRC2:TGID_X_EN: 1
; COMPUTE_PGM_RSRC2:TGID_Y_EN: 0
; COMPUTE_PGM_RSRC2:TGID_Z_EN: 0
; COMPUTE_PGM_RSRC2:TIDIG_COMP_CNT: 0
; COMPUTE_PGM_RSRC3_GFX90A:ACCUM_OFFSET: 0
; COMPUTE_PGM_RSRC3_GFX90A:TG_SPLIT: 0
	.section	.text._ZN7rocprim17ROCPRIM_400000_NS6detail17trampoline_kernelINS0_14default_configENS1_25partition_config_selectorILNS1_17partition_subalgoE8ElNS0_10empty_typeEbEEZZNS1_14partition_implILS5_8ELb0ES3_jPlPS6_PKS6_NS0_5tupleIJS9_S6_EEENSD_IJSA_SA_EEENS0_18inequality_wrapperIZN2at6native12_GLOBAL__N_124unique_dim_cuda_templateIfEESt5tupleIJNSH_6TensorESM_SM_EERKSM_lbbbEUlllE0_EEPmJS6_EEE10hipError_tPvRmT3_T4_T5_T6_T7_T9_mT8_P12ihipStream_tbDpT10_ENKUlT_T0_E_clISt17integral_constantIbLb0EES1B_IbLb1EEEEDaS17_S18_EUlS17_E_NS1_11comp_targetILNS1_3genE10ELNS1_11target_archE1200ELNS1_3gpuE4ELNS1_3repE0EEENS1_30default_config_static_selectorELNS0_4arch9wavefront6targetE1EEEvT1_,"axG",@progbits,_ZN7rocprim17ROCPRIM_400000_NS6detail17trampoline_kernelINS0_14default_configENS1_25partition_config_selectorILNS1_17partition_subalgoE8ElNS0_10empty_typeEbEEZZNS1_14partition_implILS5_8ELb0ES3_jPlPS6_PKS6_NS0_5tupleIJS9_S6_EEENSD_IJSA_SA_EEENS0_18inequality_wrapperIZN2at6native12_GLOBAL__N_124unique_dim_cuda_templateIfEESt5tupleIJNSH_6TensorESM_SM_EERKSM_lbbbEUlllE0_EEPmJS6_EEE10hipError_tPvRmT3_T4_T5_T6_T7_T9_mT8_P12ihipStream_tbDpT10_ENKUlT_T0_E_clISt17integral_constantIbLb0EES1B_IbLb1EEEEDaS17_S18_EUlS17_E_NS1_11comp_targetILNS1_3genE10ELNS1_11target_archE1200ELNS1_3gpuE4ELNS1_3repE0EEENS1_30default_config_static_selectorELNS0_4arch9wavefront6targetE1EEEvT1_,comdat
	.globl	_ZN7rocprim17ROCPRIM_400000_NS6detail17trampoline_kernelINS0_14default_configENS1_25partition_config_selectorILNS1_17partition_subalgoE8ElNS0_10empty_typeEbEEZZNS1_14partition_implILS5_8ELb0ES3_jPlPS6_PKS6_NS0_5tupleIJS9_S6_EEENSD_IJSA_SA_EEENS0_18inequality_wrapperIZN2at6native12_GLOBAL__N_124unique_dim_cuda_templateIfEESt5tupleIJNSH_6TensorESM_SM_EERKSM_lbbbEUlllE0_EEPmJS6_EEE10hipError_tPvRmT3_T4_T5_T6_T7_T9_mT8_P12ihipStream_tbDpT10_ENKUlT_T0_E_clISt17integral_constantIbLb0EES1B_IbLb1EEEEDaS17_S18_EUlS17_E_NS1_11comp_targetILNS1_3genE10ELNS1_11target_archE1200ELNS1_3gpuE4ELNS1_3repE0EEENS1_30default_config_static_selectorELNS0_4arch9wavefront6targetE1EEEvT1_ ; -- Begin function _ZN7rocprim17ROCPRIM_400000_NS6detail17trampoline_kernelINS0_14default_configENS1_25partition_config_selectorILNS1_17partition_subalgoE8ElNS0_10empty_typeEbEEZZNS1_14partition_implILS5_8ELb0ES3_jPlPS6_PKS6_NS0_5tupleIJS9_S6_EEENSD_IJSA_SA_EEENS0_18inequality_wrapperIZN2at6native12_GLOBAL__N_124unique_dim_cuda_templateIfEESt5tupleIJNSH_6TensorESM_SM_EERKSM_lbbbEUlllE0_EEPmJS6_EEE10hipError_tPvRmT3_T4_T5_T6_T7_T9_mT8_P12ihipStream_tbDpT10_ENKUlT_T0_E_clISt17integral_constantIbLb0EES1B_IbLb1EEEEDaS17_S18_EUlS17_E_NS1_11comp_targetILNS1_3genE10ELNS1_11target_archE1200ELNS1_3gpuE4ELNS1_3repE0EEENS1_30default_config_static_selectorELNS0_4arch9wavefront6targetE1EEEvT1_
	.p2align	8
	.type	_ZN7rocprim17ROCPRIM_400000_NS6detail17trampoline_kernelINS0_14default_configENS1_25partition_config_selectorILNS1_17partition_subalgoE8ElNS0_10empty_typeEbEEZZNS1_14partition_implILS5_8ELb0ES3_jPlPS6_PKS6_NS0_5tupleIJS9_S6_EEENSD_IJSA_SA_EEENS0_18inequality_wrapperIZN2at6native12_GLOBAL__N_124unique_dim_cuda_templateIfEESt5tupleIJNSH_6TensorESM_SM_EERKSM_lbbbEUlllE0_EEPmJS6_EEE10hipError_tPvRmT3_T4_T5_T6_T7_T9_mT8_P12ihipStream_tbDpT10_ENKUlT_T0_E_clISt17integral_constantIbLb0EES1B_IbLb1EEEEDaS17_S18_EUlS17_E_NS1_11comp_targetILNS1_3genE10ELNS1_11target_archE1200ELNS1_3gpuE4ELNS1_3repE0EEENS1_30default_config_static_selectorELNS0_4arch9wavefront6targetE1EEEvT1_,@function
_ZN7rocprim17ROCPRIM_400000_NS6detail17trampoline_kernelINS0_14default_configENS1_25partition_config_selectorILNS1_17partition_subalgoE8ElNS0_10empty_typeEbEEZZNS1_14partition_implILS5_8ELb0ES3_jPlPS6_PKS6_NS0_5tupleIJS9_S6_EEENSD_IJSA_SA_EEENS0_18inequality_wrapperIZN2at6native12_GLOBAL__N_124unique_dim_cuda_templateIfEESt5tupleIJNSH_6TensorESM_SM_EERKSM_lbbbEUlllE0_EEPmJS6_EEE10hipError_tPvRmT3_T4_T5_T6_T7_T9_mT8_P12ihipStream_tbDpT10_ENKUlT_T0_E_clISt17integral_constantIbLb0EES1B_IbLb1EEEEDaS17_S18_EUlS17_E_NS1_11comp_targetILNS1_3genE10ELNS1_11target_archE1200ELNS1_3gpuE4ELNS1_3repE0EEENS1_30default_config_static_selectorELNS0_4arch9wavefront6targetE1EEEvT1_: ; @_ZN7rocprim17ROCPRIM_400000_NS6detail17trampoline_kernelINS0_14default_configENS1_25partition_config_selectorILNS1_17partition_subalgoE8ElNS0_10empty_typeEbEEZZNS1_14partition_implILS5_8ELb0ES3_jPlPS6_PKS6_NS0_5tupleIJS9_S6_EEENSD_IJSA_SA_EEENS0_18inequality_wrapperIZN2at6native12_GLOBAL__N_124unique_dim_cuda_templateIfEESt5tupleIJNSH_6TensorESM_SM_EERKSM_lbbbEUlllE0_EEPmJS6_EEE10hipError_tPvRmT3_T4_T5_T6_T7_T9_mT8_P12ihipStream_tbDpT10_ENKUlT_T0_E_clISt17integral_constantIbLb0EES1B_IbLb1EEEEDaS17_S18_EUlS17_E_NS1_11comp_targetILNS1_3genE10ELNS1_11target_archE1200ELNS1_3gpuE4ELNS1_3repE0EEENS1_30default_config_static_selectorELNS0_4arch9wavefront6targetE1EEEvT1_
; %bb.0:
	.section	.rodata,"a",@progbits
	.p2align	6, 0x0
	.amdhsa_kernel _ZN7rocprim17ROCPRIM_400000_NS6detail17trampoline_kernelINS0_14default_configENS1_25partition_config_selectorILNS1_17partition_subalgoE8ElNS0_10empty_typeEbEEZZNS1_14partition_implILS5_8ELb0ES3_jPlPS6_PKS6_NS0_5tupleIJS9_S6_EEENSD_IJSA_SA_EEENS0_18inequality_wrapperIZN2at6native12_GLOBAL__N_124unique_dim_cuda_templateIfEESt5tupleIJNSH_6TensorESM_SM_EERKSM_lbbbEUlllE0_EEPmJS6_EEE10hipError_tPvRmT3_T4_T5_T6_T7_T9_mT8_P12ihipStream_tbDpT10_ENKUlT_T0_E_clISt17integral_constantIbLb0EES1B_IbLb1EEEEDaS17_S18_EUlS17_E_NS1_11comp_targetILNS1_3genE10ELNS1_11target_archE1200ELNS1_3gpuE4ELNS1_3repE0EEENS1_30default_config_static_selectorELNS0_4arch9wavefront6targetE1EEEvT1_
		.amdhsa_group_segment_fixed_size 0
		.amdhsa_private_segment_fixed_size 0
		.amdhsa_kernarg_size 136
		.amdhsa_user_sgpr_count 2
		.amdhsa_user_sgpr_dispatch_ptr 0
		.amdhsa_user_sgpr_queue_ptr 0
		.amdhsa_user_sgpr_kernarg_segment_ptr 1
		.amdhsa_user_sgpr_dispatch_id 0
		.amdhsa_user_sgpr_kernarg_preload_length 0
		.amdhsa_user_sgpr_kernarg_preload_offset 0
		.amdhsa_user_sgpr_private_segment_size 0
		.amdhsa_uses_dynamic_stack 0
		.amdhsa_enable_private_segment 0
		.amdhsa_system_sgpr_workgroup_id_x 1
		.amdhsa_system_sgpr_workgroup_id_y 0
		.amdhsa_system_sgpr_workgroup_id_z 0
		.amdhsa_system_sgpr_workgroup_info 0
		.amdhsa_system_vgpr_workitem_id 0
		.amdhsa_next_free_vgpr 1
		.amdhsa_next_free_sgpr 0
		.amdhsa_accum_offset 4
		.amdhsa_reserve_vcc 0
		.amdhsa_float_round_mode_32 0
		.amdhsa_float_round_mode_16_64 0
		.amdhsa_float_denorm_mode_32 3
		.amdhsa_float_denorm_mode_16_64 3
		.amdhsa_dx10_clamp 1
		.amdhsa_ieee_mode 1
		.amdhsa_fp16_overflow 0
		.amdhsa_tg_split 0
		.amdhsa_exception_fp_ieee_invalid_op 0
		.amdhsa_exception_fp_denorm_src 0
		.amdhsa_exception_fp_ieee_div_zero 0
		.amdhsa_exception_fp_ieee_overflow 0
		.amdhsa_exception_fp_ieee_underflow 0
		.amdhsa_exception_fp_ieee_inexact 0
		.amdhsa_exception_int_div_zero 0
	.end_amdhsa_kernel
	.section	.text._ZN7rocprim17ROCPRIM_400000_NS6detail17trampoline_kernelINS0_14default_configENS1_25partition_config_selectorILNS1_17partition_subalgoE8ElNS0_10empty_typeEbEEZZNS1_14partition_implILS5_8ELb0ES3_jPlPS6_PKS6_NS0_5tupleIJS9_S6_EEENSD_IJSA_SA_EEENS0_18inequality_wrapperIZN2at6native12_GLOBAL__N_124unique_dim_cuda_templateIfEESt5tupleIJNSH_6TensorESM_SM_EERKSM_lbbbEUlllE0_EEPmJS6_EEE10hipError_tPvRmT3_T4_T5_T6_T7_T9_mT8_P12ihipStream_tbDpT10_ENKUlT_T0_E_clISt17integral_constantIbLb0EES1B_IbLb1EEEEDaS17_S18_EUlS17_E_NS1_11comp_targetILNS1_3genE10ELNS1_11target_archE1200ELNS1_3gpuE4ELNS1_3repE0EEENS1_30default_config_static_selectorELNS0_4arch9wavefront6targetE1EEEvT1_,"axG",@progbits,_ZN7rocprim17ROCPRIM_400000_NS6detail17trampoline_kernelINS0_14default_configENS1_25partition_config_selectorILNS1_17partition_subalgoE8ElNS0_10empty_typeEbEEZZNS1_14partition_implILS5_8ELb0ES3_jPlPS6_PKS6_NS0_5tupleIJS9_S6_EEENSD_IJSA_SA_EEENS0_18inequality_wrapperIZN2at6native12_GLOBAL__N_124unique_dim_cuda_templateIfEESt5tupleIJNSH_6TensorESM_SM_EERKSM_lbbbEUlllE0_EEPmJS6_EEE10hipError_tPvRmT3_T4_T5_T6_T7_T9_mT8_P12ihipStream_tbDpT10_ENKUlT_T0_E_clISt17integral_constantIbLb0EES1B_IbLb1EEEEDaS17_S18_EUlS17_E_NS1_11comp_targetILNS1_3genE10ELNS1_11target_archE1200ELNS1_3gpuE4ELNS1_3repE0EEENS1_30default_config_static_selectorELNS0_4arch9wavefront6targetE1EEEvT1_,comdat
.Lfunc_end965:
	.size	_ZN7rocprim17ROCPRIM_400000_NS6detail17trampoline_kernelINS0_14default_configENS1_25partition_config_selectorILNS1_17partition_subalgoE8ElNS0_10empty_typeEbEEZZNS1_14partition_implILS5_8ELb0ES3_jPlPS6_PKS6_NS0_5tupleIJS9_S6_EEENSD_IJSA_SA_EEENS0_18inequality_wrapperIZN2at6native12_GLOBAL__N_124unique_dim_cuda_templateIfEESt5tupleIJNSH_6TensorESM_SM_EERKSM_lbbbEUlllE0_EEPmJS6_EEE10hipError_tPvRmT3_T4_T5_T6_T7_T9_mT8_P12ihipStream_tbDpT10_ENKUlT_T0_E_clISt17integral_constantIbLb0EES1B_IbLb1EEEEDaS17_S18_EUlS17_E_NS1_11comp_targetILNS1_3genE10ELNS1_11target_archE1200ELNS1_3gpuE4ELNS1_3repE0EEENS1_30default_config_static_selectorELNS0_4arch9wavefront6targetE1EEEvT1_, .Lfunc_end965-_ZN7rocprim17ROCPRIM_400000_NS6detail17trampoline_kernelINS0_14default_configENS1_25partition_config_selectorILNS1_17partition_subalgoE8ElNS0_10empty_typeEbEEZZNS1_14partition_implILS5_8ELb0ES3_jPlPS6_PKS6_NS0_5tupleIJS9_S6_EEENSD_IJSA_SA_EEENS0_18inequality_wrapperIZN2at6native12_GLOBAL__N_124unique_dim_cuda_templateIfEESt5tupleIJNSH_6TensorESM_SM_EERKSM_lbbbEUlllE0_EEPmJS6_EEE10hipError_tPvRmT3_T4_T5_T6_T7_T9_mT8_P12ihipStream_tbDpT10_ENKUlT_T0_E_clISt17integral_constantIbLb0EES1B_IbLb1EEEEDaS17_S18_EUlS17_E_NS1_11comp_targetILNS1_3genE10ELNS1_11target_archE1200ELNS1_3gpuE4ELNS1_3repE0EEENS1_30default_config_static_selectorELNS0_4arch9wavefront6targetE1EEEvT1_
                                        ; -- End function
	.section	.AMDGPU.csdata,"",@progbits
; Kernel info:
; codeLenInByte = 0
; NumSgprs: 6
; NumVgprs: 0
; NumAgprs: 0
; TotalNumVgprs: 0
; ScratchSize: 0
; MemoryBound: 0
; FloatMode: 240
; IeeeMode: 1
; LDSByteSize: 0 bytes/workgroup (compile time only)
; SGPRBlocks: 0
; VGPRBlocks: 0
; NumSGPRsForWavesPerEU: 6
; NumVGPRsForWavesPerEU: 1
; AccumOffset: 4
; Occupancy: 8
; WaveLimiterHint : 0
; COMPUTE_PGM_RSRC2:SCRATCH_EN: 0
; COMPUTE_PGM_RSRC2:USER_SGPR: 2
; COMPUTE_PGM_RSRC2:TRAP_HANDLER: 0
; COMPUTE_PGM_RSRC2:TGID_X_EN: 1
; COMPUTE_PGM_RSRC2:TGID_Y_EN: 0
; COMPUTE_PGM_RSRC2:TGID_Z_EN: 0
; COMPUTE_PGM_RSRC2:TIDIG_COMP_CNT: 0
; COMPUTE_PGM_RSRC3_GFX90A:ACCUM_OFFSET: 0
; COMPUTE_PGM_RSRC3_GFX90A:TG_SPLIT: 0
	.section	.text._ZN7rocprim17ROCPRIM_400000_NS6detail17trampoline_kernelINS0_14default_configENS1_25partition_config_selectorILNS1_17partition_subalgoE8ElNS0_10empty_typeEbEEZZNS1_14partition_implILS5_8ELb0ES3_jPlPS6_PKS6_NS0_5tupleIJS9_S6_EEENSD_IJSA_SA_EEENS0_18inequality_wrapperIZN2at6native12_GLOBAL__N_124unique_dim_cuda_templateIfEESt5tupleIJNSH_6TensorESM_SM_EERKSM_lbbbEUlllE0_EEPmJS6_EEE10hipError_tPvRmT3_T4_T5_T6_T7_T9_mT8_P12ihipStream_tbDpT10_ENKUlT_T0_E_clISt17integral_constantIbLb0EES1B_IbLb1EEEEDaS17_S18_EUlS17_E_NS1_11comp_targetILNS1_3genE9ELNS1_11target_archE1100ELNS1_3gpuE3ELNS1_3repE0EEENS1_30default_config_static_selectorELNS0_4arch9wavefront6targetE1EEEvT1_,"axG",@progbits,_ZN7rocprim17ROCPRIM_400000_NS6detail17trampoline_kernelINS0_14default_configENS1_25partition_config_selectorILNS1_17partition_subalgoE8ElNS0_10empty_typeEbEEZZNS1_14partition_implILS5_8ELb0ES3_jPlPS6_PKS6_NS0_5tupleIJS9_S6_EEENSD_IJSA_SA_EEENS0_18inequality_wrapperIZN2at6native12_GLOBAL__N_124unique_dim_cuda_templateIfEESt5tupleIJNSH_6TensorESM_SM_EERKSM_lbbbEUlllE0_EEPmJS6_EEE10hipError_tPvRmT3_T4_T5_T6_T7_T9_mT8_P12ihipStream_tbDpT10_ENKUlT_T0_E_clISt17integral_constantIbLb0EES1B_IbLb1EEEEDaS17_S18_EUlS17_E_NS1_11comp_targetILNS1_3genE9ELNS1_11target_archE1100ELNS1_3gpuE3ELNS1_3repE0EEENS1_30default_config_static_selectorELNS0_4arch9wavefront6targetE1EEEvT1_,comdat
	.globl	_ZN7rocprim17ROCPRIM_400000_NS6detail17trampoline_kernelINS0_14default_configENS1_25partition_config_selectorILNS1_17partition_subalgoE8ElNS0_10empty_typeEbEEZZNS1_14partition_implILS5_8ELb0ES3_jPlPS6_PKS6_NS0_5tupleIJS9_S6_EEENSD_IJSA_SA_EEENS0_18inequality_wrapperIZN2at6native12_GLOBAL__N_124unique_dim_cuda_templateIfEESt5tupleIJNSH_6TensorESM_SM_EERKSM_lbbbEUlllE0_EEPmJS6_EEE10hipError_tPvRmT3_T4_T5_T6_T7_T9_mT8_P12ihipStream_tbDpT10_ENKUlT_T0_E_clISt17integral_constantIbLb0EES1B_IbLb1EEEEDaS17_S18_EUlS17_E_NS1_11comp_targetILNS1_3genE9ELNS1_11target_archE1100ELNS1_3gpuE3ELNS1_3repE0EEENS1_30default_config_static_selectorELNS0_4arch9wavefront6targetE1EEEvT1_ ; -- Begin function _ZN7rocprim17ROCPRIM_400000_NS6detail17trampoline_kernelINS0_14default_configENS1_25partition_config_selectorILNS1_17partition_subalgoE8ElNS0_10empty_typeEbEEZZNS1_14partition_implILS5_8ELb0ES3_jPlPS6_PKS6_NS0_5tupleIJS9_S6_EEENSD_IJSA_SA_EEENS0_18inequality_wrapperIZN2at6native12_GLOBAL__N_124unique_dim_cuda_templateIfEESt5tupleIJNSH_6TensorESM_SM_EERKSM_lbbbEUlllE0_EEPmJS6_EEE10hipError_tPvRmT3_T4_T5_T6_T7_T9_mT8_P12ihipStream_tbDpT10_ENKUlT_T0_E_clISt17integral_constantIbLb0EES1B_IbLb1EEEEDaS17_S18_EUlS17_E_NS1_11comp_targetILNS1_3genE9ELNS1_11target_archE1100ELNS1_3gpuE3ELNS1_3repE0EEENS1_30default_config_static_selectorELNS0_4arch9wavefront6targetE1EEEvT1_
	.p2align	8
	.type	_ZN7rocprim17ROCPRIM_400000_NS6detail17trampoline_kernelINS0_14default_configENS1_25partition_config_selectorILNS1_17partition_subalgoE8ElNS0_10empty_typeEbEEZZNS1_14partition_implILS5_8ELb0ES3_jPlPS6_PKS6_NS0_5tupleIJS9_S6_EEENSD_IJSA_SA_EEENS0_18inequality_wrapperIZN2at6native12_GLOBAL__N_124unique_dim_cuda_templateIfEESt5tupleIJNSH_6TensorESM_SM_EERKSM_lbbbEUlllE0_EEPmJS6_EEE10hipError_tPvRmT3_T4_T5_T6_T7_T9_mT8_P12ihipStream_tbDpT10_ENKUlT_T0_E_clISt17integral_constantIbLb0EES1B_IbLb1EEEEDaS17_S18_EUlS17_E_NS1_11comp_targetILNS1_3genE9ELNS1_11target_archE1100ELNS1_3gpuE3ELNS1_3repE0EEENS1_30default_config_static_selectorELNS0_4arch9wavefront6targetE1EEEvT1_,@function
_ZN7rocprim17ROCPRIM_400000_NS6detail17trampoline_kernelINS0_14default_configENS1_25partition_config_selectorILNS1_17partition_subalgoE8ElNS0_10empty_typeEbEEZZNS1_14partition_implILS5_8ELb0ES3_jPlPS6_PKS6_NS0_5tupleIJS9_S6_EEENSD_IJSA_SA_EEENS0_18inequality_wrapperIZN2at6native12_GLOBAL__N_124unique_dim_cuda_templateIfEESt5tupleIJNSH_6TensorESM_SM_EERKSM_lbbbEUlllE0_EEPmJS6_EEE10hipError_tPvRmT3_T4_T5_T6_T7_T9_mT8_P12ihipStream_tbDpT10_ENKUlT_T0_E_clISt17integral_constantIbLb0EES1B_IbLb1EEEEDaS17_S18_EUlS17_E_NS1_11comp_targetILNS1_3genE9ELNS1_11target_archE1100ELNS1_3gpuE3ELNS1_3repE0EEENS1_30default_config_static_selectorELNS0_4arch9wavefront6targetE1EEEvT1_: ; @_ZN7rocprim17ROCPRIM_400000_NS6detail17trampoline_kernelINS0_14default_configENS1_25partition_config_selectorILNS1_17partition_subalgoE8ElNS0_10empty_typeEbEEZZNS1_14partition_implILS5_8ELb0ES3_jPlPS6_PKS6_NS0_5tupleIJS9_S6_EEENSD_IJSA_SA_EEENS0_18inequality_wrapperIZN2at6native12_GLOBAL__N_124unique_dim_cuda_templateIfEESt5tupleIJNSH_6TensorESM_SM_EERKSM_lbbbEUlllE0_EEPmJS6_EEE10hipError_tPvRmT3_T4_T5_T6_T7_T9_mT8_P12ihipStream_tbDpT10_ENKUlT_T0_E_clISt17integral_constantIbLb0EES1B_IbLb1EEEEDaS17_S18_EUlS17_E_NS1_11comp_targetILNS1_3genE9ELNS1_11target_archE1100ELNS1_3gpuE3ELNS1_3repE0EEENS1_30default_config_static_selectorELNS0_4arch9wavefront6targetE1EEEvT1_
; %bb.0:
	.section	.rodata,"a",@progbits
	.p2align	6, 0x0
	.amdhsa_kernel _ZN7rocprim17ROCPRIM_400000_NS6detail17trampoline_kernelINS0_14default_configENS1_25partition_config_selectorILNS1_17partition_subalgoE8ElNS0_10empty_typeEbEEZZNS1_14partition_implILS5_8ELb0ES3_jPlPS6_PKS6_NS0_5tupleIJS9_S6_EEENSD_IJSA_SA_EEENS0_18inequality_wrapperIZN2at6native12_GLOBAL__N_124unique_dim_cuda_templateIfEESt5tupleIJNSH_6TensorESM_SM_EERKSM_lbbbEUlllE0_EEPmJS6_EEE10hipError_tPvRmT3_T4_T5_T6_T7_T9_mT8_P12ihipStream_tbDpT10_ENKUlT_T0_E_clISt17integral_constantIbLb0EES1B_IbLb1EEEEDaS17_S18_EUlS17_E_NS1_11comp_targetILNS1_3genE9ELNS1_11target_archE1100ELNS1_3gpuE3ELNS1_3repE0EEENS1_30default_config_static_selectorELNS0_4arch9wavefront6targetE1EEEvT1_
		.amdhsa_group_segment_fixed_size 0
		.amdhsa_private_segment_fixed_size 0
		.amdhsa_kernarg_size 136
		.amdhsa_user_sgpr_count 2
		.amdhsa_user_sgpr_dispatch_ptr 0
		.amdhsa_user_sgpr_queue_ptr 0
		.amdhsa_user_sgpr_kernarg_segment_ptr 1
		.amdhsa_user_sgpr_dispatch_id 0
		.amdhsa_user_sgpr_kernarg_preload_length 0
		.amdhsa_user_sgpr_kernarg_preload_offset 0
		.amdhsa_user_sgpr_private_segment_size 0
		.amdhsa_uses_dynamic_stack 0
		.amdhsa_enable_private_segment 0
		.amdhsa_system_sgpr_workgroup_id_x 1
		.amdhsa_system_sgpr_workgroup_id_y 0
		.amdhsa_system_sgpr_workgroup_id_z 0
		.amdhsa_system_sgpr_workgroup_info 0
		.amdhsa_system_vgpr_workitem_id 0
		.amdhsa_next_free_vgpr 1
		.amdhsa_next_free_sgpr 0
		.amdhsa_accum_offset 4
		.amdhsa_reserve_vcc 0
		.amdhsa_float_round_mode_32 0
		.amdhsa_float_round_mode_16_64 0
		.amdhsa_float_denorm_mode_32 3
		.amdhsa_float_denorm_mode_16_64 3
		.amdhsa_dx10_clamp 1
		.amdhsa_ieee_mode 1
		.amdhsa_fp16_overflow 0
		.amdhsa_tg_split 0
		.amdhsa_exception_fp_ieee_invalid_op 0
		.amdhsa_exception_fp_denorm_src 0
		.amdhsa_exception_fp_ieee_div_zero 0
		.amdhsa_exception_fp_ieee_overflow 0
		.amdhsa_exception_fp_ieee_underflow 0
		.amdhsa_exception_fp_ieee_inexact 0
		.amdhsa_exception_int_div_zero 0
	.end_amdhsa_kernel
	.section	.text._ZN7rocprim17ROCPRIM_400000_NS6detail17trampoline_kernelINS0_14default_configENS1_25partition_config_selectorILNS1_17partition_subalgoE8ElNS0_10empty_typeEbEEZZNS1_14partition_implILS5_8ELb0ES3_jPlPS6_PKS6_NS0_5tupleIJS9_S6_EEENSD_IJSA_SA_EEENS0_18inequality_wrapperIZN2at6native12_GLOBAL__N_124unique_dim_cuda_templateIfEESt5tupleIJNSH_6TensorESM_SM_EERKSM_lbbbEUlllE0_EEPmJS6_EEE10hipError_tPvRmT3_T4_T5_T6_T7_T9_mT8_P12ihipStream_tbDpT10_ENKUlT_T0_E_clISt17integral_constantIbLb0EES1B_IbLb1EEEEDaS17_S18_EUlS17_E_NS1_11comp_targetILNS1_3genE9ELNS1_11target_archE1100ELNS1_3gpuE3ELNS1_3repE0EEENS1_30default_config_static_selectorELNS0_4arch9wavefront6targetE1EEEvT1_,"axG",@progbits,_ZN7rocprim17ROCPRIM_400000_NS6detail17trampoline_kernelINS0_14default_configENS1_25partition_config_selectorILNS1_17partition_subalgoE8ElNS0_10empty_typeEbEEZZNS1_14partition_implILS5_8ELb0ES3_jPlPS6_PKS6_NS0_5tupleIJS9_S6_EEENSD_IJSA_SA_EEENS0_18inequality_wrapperIZN2at6native12_GLOBAL__N_124unique_dim_cuda_templateIfEESt5tupleIJNSH_6TensorESM_SM_EERKSM_lbbbEUlllE0_EEPmJS6_EEE10hipError_tPvRmT3_T4_T5_T6_T7_T9_mT8_P12ihipStream_tbDpT10_ENKUlT_T0_E_clISt17integral_constantIbLb0EES1B_IbLb1EEEEDaS17_S18_EUlS17_E_NS1_11comp_targetILNS1_3genE9ELNS1_11target_archE1100ELNS1_3gpuE3ELNS1_3repE0EEENS1_30default_config_static_selectorELNS0_4arch9wavefront6targetE1EEEvT1_,comdat
.Lfunc_end966:
	.size	_ZN7rocprim17ROCPRIM_400000_NS6detail17trampoline_kernelINS0_14default_configENS1_25partition_config_selectorILNS1_17partition_subalgoE8ElNS0_10empty_typeEbEEZZNS1_14partition_implILS5_8ELb0ES3_jPlPS6_PKS6_NS0_5tupleIJS9_S6_EEENSD_IJSA_SA_EEENS0_18inequality_wrapperIZN2at6native12_GLOBAL__N_124unique_dim_cuda_templateIfEESt5tupleIJNSH_6TensorESM_SM_EERKSM_lbbbEUlllE0_EEPmJS6_EEE10hipError_tPvRmT3_T4_T5_T6_T7_T9_mT8_P12ihipStream_tbDpT10_ENKUlT_T0_E_clISt17integral_constantIbLb0EES1B_IbLb1EEEEDaS17_S18_EUlS17_E_NS1_11comp_targetILNS1_3genE9ELNS1_11target_archE1100ELNS1_3gpuE3ELNS1_3repE0EEENS1_30default_config_static_selectorELNS0_4arch9wavefront6targetE1EEEvT1_, .Lfunc_end966-_ZN7rocprim17ROCPRIM_400000_NS6detail17trampoline_kernelINS0_14default_configENS1_25partition_config_selectorILNS1_17partition_subalgoE8ElNS0_10empty_typeEbEEZZNS1_14partition_implILS5_8ELb0ES3_jPlPS6_PKS6_NS0_5tupleIJS9_S6_EEENSD_IJSA_SA_EEENS0_18inequality_wrapperIZN2at6native12_GLOBAL__N_124unique_dim_cuda_templateIfEESt5tupleIJNSH_6TensorESM_SM_EERKSM_lbbbEUlllE0_EEPmJS6_EEE10hipError_tPvRmT3_T4_T5_T6_T7_T9_mT8_P12ihipStream_tbDpT10_ENKUlT_T0_E_clISt17integral_constantIbLb0EES1B_IbLb1EEEEDaS17_S18_EUlS17_E_NS1_11comp_targetILNS1_3genE9ELNS1_11target_archE1100ELNS1_3gpuE3ELNS1_3repE0EEENS1_30default_config_static_selectorELNS0_4arch9wavefront6targetE1EEEvT1_
                                        ; -- End function
	.section	.AMDGPU.csdata,"",@progbits
; Kernel info:
; codeLenInByte = 0
; NumSgprs: 6
; NumVgprs: 0
; NumAgprs: 0
; TotalNumVgprs: 0
; ScratchSize: 0
; MemoryBound: 0
; FloatMode: 240
; IeeeMode: 1
; LDSByteSize: 0 bytes/workgroup (compile time only)
; SGPRBlocks: 0
; VGPRBlocks: 0
; NumSGPRsForWavesPerEU: 6
; NumVGPRsForWavesPerEU: 1
; AccumOffset: 4
; Occupancy: 8
; WaveLimiterHint : 0
; COMPUTE_PGM_RSRC2:SCRATCH_EN: 0
; COMPUTE_PGM_RSRC2:USER_SGPR: 2
; COMPUTE_PGM_RSRC2:TRAP_HANDLER: 0
; COMPUTE_PGM_RSRC2:TGID_X_EN: 1
; COMPUTE_PGM_RSRC2:TGID_Y_EN: 0
; COMPUTE_PGM_RSRC2:TGID_Z_EN: 0
; COMPUTE_PGM_RSRC2:TIDIG_COMP_CNT: 0
; COMPUTE_PGM_RSRC3_GFX90A:ACCUM_OFFSET: 0
; COMPUTE_PGM_RSRC3_GFX90A:TG_SPLIT: 0
	.section	.text._ZN7rocprim17ROCPRIM_400000_NS6detail17trampoline_kernelINS0_14default_configENS1_25partition_config_selectorILNS1_17partition_subalgoE8ElNS0_10empty_typeEbEEZZNS1_14partition_implILS5_8ELb0ES3_jPlPS6_PKS6_NS0_5tupleIJS9_S6_EEENSD_IJSA_SA_EEENS0_18inequality_wrapperIZN2at6native12_GLOBAL__N_124unique_dim_cuda_templateIfEESt5tupleIJNSH_6TensorESM_SM_EERKSM_lbbbEUlllE0_EEPmJS6_EEE10hipError_tPvRmT3_T4_T5_T6_T7_T9_mT8_P12ihipStream_tbDpT10_ENKUlT_T0_E_clISt17integral_constantIbLb0EES1B_IbLb1EEEEDaS17_S18_EUlS17_E_NS1_11comp_targetILNS1_3genE8ELNS1_11target_archE1030ELNS1_3gpuE2ELNS1_3repE0EEENS1_30default_config_static_selectorELNS0_4arch9wavefront6targetE1EEEvT1_,"axG",@progbits,_ZN7rocprim17ROCPRIM_400000_NS6detail17trampoline_kernelINS0_14default_configENS1_25partition_config_selectorILNS1_17partition_subalgoE8ElNS0_10empty_typeEbEEZZNS1_14partition_implILS5_8ELb0ES3_jPlPS6_PKS6_NS0_5tupleIJS9_S6_EEENSD_IJSA_SA_EEENS0_18inequality_wrapperIZN2at6native12_GLOBAL__N_124unique_dim_cuda_templateIfEESt5tupleIJNSH_6TensorESM_SM_EERKSM_lbbbEUlllE0_EEPmJS6_EEE10hipError_tPvRmT3_T4_T5_T6_T7_T9_mT8_P12ihipStream_tbDpT10_ENKUlT_T0_E_clISt17integral_constantIbLb0EES1B_IbLb1EEEEDaS17_S18_EUlS17_E_NS1_11comp_targetILNS1_3genE8ELNS1_11target_archE1030ELNS1_3gpuE2ELNS1_3repE0EEENS1_30default_config_static_selectorELNS0_4arch9wavefront6targetE1EEEvT1_,comdat
	.globl	_ZN7rocprim17ROCPRIM_400000_NS6detail17trampoline_kernelINS0_14default_configENS1_25partition_config_selectorILNS1_17partition_subalgoE8ElNS0_10empty_typeEbEEZZNS1_14partition_implILS5_8ELb0ES3_jPlPS6_PKS6_NS0_5tupleIJS9_S6_EEENSD_IJSA_SA_EEENS0_18inequality_wrapperIZN2at6native12_GLOBAL__N_124unique_dim_cuda_templateIfEESt5tupleIJNSH_6TensorESM_SM_EERKSM_lbbbEUlllE0_EEPmJS6_EEE10hipError_tPvRmT3_T4_T5_T6_T7_T9_mT8_P12ihipStream_tbDpT10_ENKUlT_T0_E_clISt17integral_constantIbLb0EES1B_IbLb1EEEEDaS17_S18_EUlS17_E_NS1_11comp_targetILNS1_3genE8ELNS1_11target_archE1030ELNS1_3gpuE2ELNS1_3repE0EEENS1_30default_config_static_selectorELNS0_4arch9wavefront6targetE1EEEvT1_ ; -- Begin function _ZN7rocprim17ROCPRIM_400000_NS6detail17trampoline_kernelINS0_14default_configENS1_25partition_config_selectorILNS1_17partition_subalgoE8ElNS0_10empty_typeEbEEZZNS1_14partition_implILS5_8ELb0ES3_jPlPS6_PKS6_NS0_5tupleIJS9_S6_EEENSD_IJSA_SA_EEENS0_18inequality_wrapperIZN2at6native12_GLOBAL__N_124unique_dim_cuda_templateIfEESt5tupleIJNSH_6TensorESM_SM_EERKSM_lbbbEUlllE0_EEPmJS6_EEE10hipError_tPvRmT3_T4_T5_T6_T7_T9_mT8_P12ihipStream_tbDpT10_ENKUlT_T0_E_clISt17integral_constantIbLb0EES1B_IbLb1EEEEDaS17_S18_EUlS17_E_NS1_11comp_targetILNS1_3genE8ELNS1_11target_archE1030ELNS1_3gpuE2ELNS1_3repE0EEENS1_30default_config_static_selectorELNS0_4arch9wavefront6targetE1EEEvT1_
	.p2align	8
	.type	_ZN7rocprim17ROCPRIM_400000_NS6detail17trampoline_kernelINS0_14default_configENS1_25partition_config_selectorILNS1_17partition_subalgoE8ElNS0_10empty_typeEbEEZZNS1_14partition_implILS5_8ELb0ES3_jPlPS6_PKS6_NS0_5tupleIJS9_S6_EEENSD_IJSA_SA_EEENS0_18inequality_wrapperIZN2at6native12_GLOBAL__N_124unique_dim_cuda_templateIfEESt5tupleIJNSH_6TensorESM_SM_EERKSM_lbbbEUlllE0_EEPmJS6_EEE10hipError_tPvRmT3_T4_T5_T6_T7_T9_mT8_P12ihipStream_tbDpT10_ENKUlT_T0_E_clISt17integral_constantIbLb0EES1B_IbLb1EEEEDaS17_S18_EUlS17_E_NS1_11comp_targetILNS1_3genE8ELNS1_11target_archE1030ELNS1_3gpuE2ELNS1_3repE0EEENS1_30default_config_static_selectorELNS0_4arch9wavefront6targetE1EEEvT1_,@function
_ZN7rocprim17ROCPRIM_400000_NS6detail17trampoline_kernelINS0_14default_configENS1_25partition_config_selectorILNS1_17partition_subalgoE8ElNS0_10empty_typeEbEEZZNS1_14partition_implILS5_8ELb0ES3_jPlPS6_PKS6_NS0_5tupleIJS9_S6_EEENSD_IJSA_SA_EEENS0_18inequality_wrapperIZN2at6native12_GLOBAL__N_124unique_dim_cuda_templateIfEESt5tupleIJNSH_6TensorESM_SM_EERKSM_lbbbEUlllE0_EEPmJS6_EEE10hipError_tPvRmT3_T4_T5_T6_T7_T9_mT8_P12ihipStream_tbDpT10_ENKUlT_T0_E_clISt17integral_constantIbLb0EES1B_IbLb1EEEEDaS17_S18_EUlS17_E_NS1_11comp_targetILNS1_3genE8ELNS1_11target_archE1030ELNS1_3gpuE2ELNS1_3repE0EEENS1_30default_config_static_selectorELNS0_4arch9wavefront6targetE1EEEvT1_: ; @_ZN7rocprim17ROCPRIM_400000_NS6detail17trampoline_kernelINS0_14default_configENS1_25partition_config_selectorILNS1_17partition_subalgoE8ElNS0_10empty_typeEbEEZZNS1_14partition_implILS5_8ELb0ES3_jPlPS6_PKS6_NS0_5tupleIJS9_S6_EEENSD_IJSA_SA_EEENS0_18inequality_wrapperIZN2at6native12_GLOBAL__N_124unique_dim_cuda_templateIfEESt5tupleIJNSH_6TensorESM_SM_EERKSM_lbbbEUlllE0_EEPmJS6_EEE10hipError_tPvRmT3_T4_T5_T6_T7_T9_mT8_P12ihipStream_tbDpT10_ENKUlT_T0_E_clISt17integral_constantIbLb0EES1B_IbLb1EEEEDaS17_S18_EUlS17_E_NS1_11comp_targetILNS1_3genE8ELNS1_11target_archE1030ELNS1_3gpuE2ELNS1_3repE0EEENS1_30default_config_static_selectorELNS0_4arch9wavefront6targetE1EEEvT1_
; %bb.0:
	.section	.rodata,"a",@progbits
	.p2align	6, 0x0
	.amdhsa_kernel _ZN7rocprim17ROCPRIM_400000_NS6detail17trampoline_kernelINS0_14default_configENS1_25partition_config_selectorILNS1_17partition_subalgoE8ElNS0_10empty_typeEbEEZZNS1_14partition_implILS5_8ELb0ES3_jPlPS6_PKS6_NS0_5tupleIJS9_S6_EEENSD_IJSA_SA_EEENS0_18inequality_wrapperIZN2at6native12_GLOBAL__N_124unique_dim_cuda_templateIfEESt5tupleIJNSH_6TensorESM_SM_EERKSM_lbbbEUlllE0_EEPmJS6_EEE10hipError_tPvRmT3_T4_T5_T6_T7_T9_mT8_P12ihipStream_tbDpT10_ENKUlT_T0_E_clISt17integral_constantIbLb0EES1B_IbLb1EEEEDaS17_S18_EUlS17_E_NS1_11comp_targetILNS1_3genE8ELNS1_11target_archE1030ELNS1_3gpuE2ELNS1_3repE0EEENS1_30default_config_static_selectorELNS0_4arch9wavefront6targetE1EEEvT1_
		.amdhsa_group_segment_fixed_size 0
		.amdhsa_private_segment_fixed_size 0
		.amdhsa_kernarg_size 136
		.amdhsa_user_sgpr_count 2
		.amdhsa_user_sgpr_dispatch_ptr 0
		.amdhsa_user_sgpr_queue_ptr 0
		.amdhsa_user_sgpr_kernarg_segment_ptr 1
		.amdhsa_user_sgpr_dispatch_id 0
		.amdhsa_user_sgpr_kernarg_preload_length 0
		.amdhsa_user_sgpr_kernarg_preload_offset 0
		.amdhsa_user_sgpr_private_segment_size 0
		.amdhsa_uses_dynamic_stack 0
		.amdhsa_enable_private_segment 0
		.amdhsa_system_sgpr_workgroup_id_x 1
		.amdhsa_system_sgpr_workgroup_id_y 0
		.amdhsa_system_sgpr_workgroup_id_z 0
		.amdhsa_system_sgpr_workgroup_info 0
		.amdhsa_system_vgpr_workitem_id 0
		.amdhsa_next_free_vgpr 1
		.amdhsa_next_free_sgpr 0
		.amdhsa_accum_offset 4
		.amdhsa_reserve_vcc 0
		.amdhsa_float_round_mode_32 0
		.amdhsa_float_round_mode_16_64 0
		.amdhsa_float_denorm_mode_32 3
		.amdhsa_float_denorm_mode_16_64 3
		.amdhsa_dx10_clamp 1
		.amdhsa_ieee_mode 1
		.amdhsa_fp16_overflow 0
		.amdhsa_tg_split 0
		.amdhsa_exception_fp_ieee_invalid_op 0
		.amdhsa_exception_fp_denorm_src 0
		.amdhsa_exception_fp_ieee_div_zero 0
		.amdhsa_exception_fp_ieee_overflow 0
		.amdhsa_exception_fp_ieee_underflow 0
		.amdhsa_exception_fp_ieee_inexact 0
		.amdhsa_exception_int_div_zero 0
	.end_amdhsa_kernel
	.section	.text._ZN7rocprim17ROCPRIM_400000_NS6detail17trampoline_kernelINS0_14default_configENS1_25partition_config_selectorILNS1_17partition_subalgoE8ElNS0_10empty_typeEbEEZZNS1_14partition_implILS5_8ELb0ES3_jPlPS6_PKS6_NS0_5tupleIJS9_S6_EEENSD_IJSA_SA_EEENS0_18inequality_wrapperIZN2at6native12_GLOBAL__N_124unique_dim_cuda_templateIfEESt5tupleIJNSH_6TensorESM_SM_EERKSM_lbbbEUlllE0_EEPmJS6_EEE10hipError_tPvRmT3_T4_T5_T6_T7_T9_mT8_P12ihipStream_tbDpT10_ENKUlT_T0_E_clISt17integral_constantIbLb0EES1B_IbLb1EEEEDaS17_S18_EUlS17_E_NS1_11comp_targetILNS1_3genE8ELNS1_11target_archE1030ELNS1_3gpuE2ELNS1_3repE0EEENS1_30default_config_static_selectorELNS0_4arch9wavefront6targetE1EEEvT1_,"axG",@progbits,_ZN7rocprim17ROCPRIM_400000_NS6detail17trampoline_kernelINS0_14default_configENS1_25partition_config_selectorILNS1_17partition_subalgoE8ElNS0_10empty_typeEbEEZZNS1_14partition_implILS5_8ELb0ES3_jPlPS6_PKS6_NS0_5tupleIJS9_S6_EEENSD_IJSA_SA_EEENS0_18inequality_wrapperIZN2at6native12_GLOBAL__N_124unique_dim_cuda_templateIfEESt5tupleIJNSH_6TensorESM_SM_EERKSM_lbbbEUlllE0_EEPmJS6_EEE10hipError_tPvRmT3_T4_T5_T6_T7_T9_mT8_P12ihipStream_tbDpT10_ENKUlT_T0_E_clISt17integral_constantIbLb0EES1B_IbLb1EEEEDaS17_S18_EUlS17_E_NS1_11comp_targetILNS1_3genE8ELNS1_11target_archE1030ELNS1_3gpuE2ELNS1_3repE0EEENS1_30default_config_static_selectorELNS0_4arch9wavefront6targetE1EEEvT1_,comdat
.Lfunc_end967:
	.size	_ZN7rocprim17ROCPRIM_400000_NS6detail17trampoline_kernelINS0_14default_configENS1_25partition_config_selectorILNS1_17partition_subalgoE8ElNS0_10empty_typeEbEEZZNS1_14partition_implILS5_8ELb0ES3_jPlPS6_PKS6_NS0_5tupleIJS9_S6_EEENSD_IJSA_SA_EEENS0_18inequality_wrapperIZN2at6native12_GLOBAL__N_124unique_dim_cuda_templateIfEESt5tupleIJNSH_6TensorESM_SM_EERKSM_lbbbEUlllE0_EEPmJS6_EEE10hipError_tPvRmT3_T4_T5_T6_T7_T9_mT8_P12ihipStream_tbDpT10_ENKUlT_T0_E_clISt17integral_constantIbLb0EES1B_IbLb1EEEEDaS17_S18_EUlS17_E_NS1_11comp_targetILNS1_3genE8ELNS1_11target_archE1030ELNS1_3gpuE2ELNS1_3repE0EEENS1_30default_config_static_selectorELNS0_4arch9wavefront6targetE1EEEvT1_, .Lfunc_end967-_ZN7rocprim17ROCPRIM_400000_NS6detail17trampoline_kernelINS0_14default_configENS1_25partition_config_selectorILNS1_17partition_subalgoE8ElNS0_10empty_typeEbEEZZNS1_14partition_implILS5_8ELb0ES3_jPlPS6_PKS6_NS0_5tupleIJS9_S6_EEENSD_IJSA_SA_EEENS0_18inequality_wrapperIZN2at6native12_GLOBAL__N_124unique_dim_cuda_templateIfEESt5tupleIJNSH_6TensorESM_SM_EERKSM_lbbbEUlllE0_EEPmJS6_EEE10hipError_tPvRmT3_T4_T5_T6_T7_T9_mT8_P12ihipStream_tbDpT10_ENKUlT_T0_E_clISt17integral_constantIbLb0EES1B_IbLb1EEEEDaS17_S18_EUlS17_E_NS1_11comp_targetILNS1_3genE8ELNS1_11target_archE1030ELNS1_3gpuE2ELNS1_3repE0EEENS1_30default_config_static_selectorELNS0_4arch9wavefront6targetE1EEEvT1_
                                        ; -- End function
	.section	.AMDGPU.csdata,"",@progbits
; Kernel info:
; codeLenInByte = 0
; NumSgprs: 6
; NumVgprs: 0
; NumAgprs: 0
; TotalNumVgprs: 0
; ScratchSize: 0
; MemoryBound: 0
; FloatMode: 240
; IeeeMode: 1
; LDSByteSize: 0 bytes/workgroup (compile time only)
; SGPRBlocks: 0
; VGPRBlocks: 0
; NumSGPRsForWavesPerEU: 6
; NumVGPRsForWavesPerEU: 1
; AccumOffset: 4
; Occupancy: 8
; WaveLimiterHint : 0
; COMPUTE_PGM_RSRC2:SCRATCH_EN: 0
; COMPUTE_PGM_RSRC2:USER_SGPR: 2
; COMPUTE_PGM_RSRC2:TRAP_HANDLER: 0
; COMPUTE_PGM_RSRC2:TGID_X_EN: 1
; COMPUTE_PGM_RSRC2:TGID_Y_EN: 0
; COMPUTE_PGM_RSRC2:TGID_Z_EN: 0
; COMPUTE_PGM_RSRC2:TIDIG_COMP_CNT: 0
; COMPUTE_PGM_RSRC3_GFX90A:ACCUM_OFFSET: 0
; COMPUTE_PGM_RSRC3_GFX90A:TG_SPLIT: 0
	.section	.text._ZN7rocprim17ROCPRIM_400000_NS6detail17trampoline_kernelINS0_14default_configENS1_25partition_config_selectorILNS1_17partition_subalgoE9EllbEEZZNS1_14partition_implILS5_9ELb0ES3_jPlS8_PNS0_10empty_typeENS0_5tupleIJS8_S9_EEENSB_IJS8_SA_EEENS0_18inequality_wrapperIZN2at6native12_GLOBAL__N_124unique_dim_cuda_templateIfEESt5tupleIJNSF_6TensorESK_SK_EERKSK_lbbbEUlllE0_EEPmJS9_EEE10hipError_tPvRmT3_T4_T5_T6_T7_T9_mT8_P12ihipStream_tbDpT10_ENKUlT_T0_E_clISt17integral_constantIbLb0EES1A_EEDaS15_S16_EUlS15_E_NS1_11comp_targetILNS1_3genE0ELNS1_11target_archE4294967295ELNS1_3gpuE0ELNS1_3repE0EEENS1_30default_config_static_selectorELNS0_4arch9wavefront6targetE1EEEvT1_,"axG",@progbits,_ZN7rocprim17ROCPRIM_400000_NS6detail17trampoline_kernelINS0_14default_configENS1_25partition_config_selectorILNS1_17partition_subalgoE9EllbEEZZNS1_14partition_implILS5_9ELb0ES3_jPlS8_PNS0_10empty_typeENS0_5tupleIJS8_S9_EEENSB_IJS8_SA_EEENS0_18inequality_wrapperIZN2at6native12_GLOBAL__N_124unique_dim_cuda_templateIfEESt5tupleIJNSF_6TensorESK_SK_EERKSK_lbbbEUlllE0_EEPmJS9_EEE10hipError_tPvRmT3_T4_T5_T6_T7_T9_mT8_P12ihipStream_tbDpT10_ENKUlT_T0_E_clISt17integral_constantIbLb0EES1A_EEDaS15_S16_EUlS15_E_NS1_11comp_targetILNS1_3genE0ELNS1_11target_archE4294967295ELNS1_3gpuE0ELNS1_3repE0EEENS1_30default_config_static_selectorELNS0_4arch9wavefront6targetE1EEEvT1_,comdat
	.globl	_ZN7rocprim17ROCPRIM_400000_NS6detail17trampoline_kernelINS0_14default_configENS1_25partition_config_selectorILNS1_17partition_subalgoE9EllbEEZZNS1_14partition_implILS5_9ELb0ES3_jPlS8_PNS0_10empty_typeENS0_5tupleIJS8_S9_EEENSB_IJS8_SA_EEENS0_18inequality_wrapperIZN2at6native12_GLOBAL__N_124unique_dim_cuda_templateIfEESt5tupleIJNSF_6TensorESK_SK_EERKSK_lbbbEUlllE0_EEPmJS9_EEE10hipError_tPvRmT3_T4_T5_T6_T7_T9_mT8_P12ihipStream_tbDpT10_ENKUlT_T0_E_clISt17integral_constantIbLb0EES1A_EEDaS15_S16_EUlS15_E_NS1_11comp_targetILNS1_3genE0ELNS1_11target_archE4294967295ELNS1_3gpuE0ELNS1_3repE0EEENS1_30default_config_static_selectorELNS0_4arch9wavefront6targetE1EEEvT1_ ; -- Begin function _ZN7rocprim17ROCPRIM_400000_NS6detail17trampoline_kernelINS0_14default_configENS1_25partition_config_selectorILNS1_17partition_subalgoE9EllbEEZZNS1_14partition_implILS5_9ELb0ES3_jPlS8_PNS0_10empty_typeENS0_5tupleIJS8_S9_EEENSB_IJS8_SA_EEENS0_18inequality_wrapperIZN2at6native12_GLOBAL__N_124unique_dim_cuda_templateIfEESt5tupleIJNSF_6TensorESK_SK_EERKSK_lbbbEUlllE0_EEPmJS9_EEE10hipError_tPvRmT3_T4_T5_T6_T7_T9_mT8_P12ihipStream_tbDpT10_ENKUlT_T0_E_clISt17integral_constantIbLb0EES1A_EEDaS15_S16_EUlS15_E_NS1_11comp_targetILNS1_3genE0ELNS1_11target_archE4294967295ELNS1_3gpuE0ELNS1_3repE0EEENS1_30default_config_static_selectorELNS0_4arch9wavefront6targetE1EEEvT1_
	.p2align	8
	.type	_ZN7rocprim17ROCPRIM_400000_NS6detail17trampoline_kernelINS0_14default_configENS1_25partition_config_selectorILNS1_17partition_subalgoE9EllbEEZZNS1_14partition_implILS5_9ELb0ES3_jPlS8_PNS0_10empty_typeENS0_5tupleIJS8_S9_EEENSB_IJS8_SA_EEENS0_18inequality_wrapperIZN2at6native12_GLOBAL__N_124unique_dim_cuda_templateIfEESt5tupleIJNSF_6TensorESK_SK_EERKSK_lbbbEUlllE0_EEPmJS9_EEE10hipError_tPvRmT3_T4_T5_T6_T7_T9_mT8_P12ihipStream_tbDpT10_ENKUlT_T0_E_clISt17integral_constantIbLb0EES1A_EEDaS15_S16_EUlS15_E_NS1_11comp_targetILNS1_3genE0ELNS1_11target_archE4294967295ELNS1_3gpuE0ELNS1_3repE0EEENS1_30default_config_static_selectorELNS0_4arch9wavefront6targetE1EEEvT1_,@function
_ZN7rocprim17ROCPRIM_400000_NS6detail17trampoline_kernelINS0_14default_configENS1_25partition_config_selectorILNS1_17partition_subalgoE9EllbEEZZNS1_14partition_implILS5_9ELb0ES3_jPlS8_PNS0_10empty_typeENS0_5tupleIJS8_S9_EEENSB_IJS8_SA_EEENS0_18inequality_wrapperIZN2at6native12_GLOBAL__N_124unique_dim_cuda_templateIfEESt5tupleIJNSF_6TensorESK_SK_EERKSK_lbbbEUlllE0_EEPmJS9_EEE10hipError_tPvRmT3_T4_T5_T6_T7_T9_mT8_P12ihipStream_tbDpT10_ENKUlT_T0_E_clISt17integral_constantIbLb0EES1A_EEDaS15_S16_EUlS15_E_NS1_11comp_targetILNS1_3genE0ELNS1_11target_archE4294967295ELNS1_3gpuE0ELNS1_3repE0EEENS1_30default_config_static_selectorELNS0_4arch9wavefront6targetE1EEEvT1_: ; @_ZN7rocprim17ROCPRIM_400000_NS6detail17trampoline_kernelINS0_14default_configENS1_25partition_config_selectorILNS1_17partition_subalgoE9EllbEEZZNS1_14partition_implILS5_9ELb0ES3_jPlS8_PNS0_10empty_typeENS0_5tupleIJS8_S9_EEENSB_IJS8_SA_EEENS0_18inequality_wrapperIZN2at6native12_GLOBAL__N_124unique_dim_cuda_templateIfEESt5tupleIJNSF_6TensorESK_SK_EERKSK_lbbbEUlllE0_EEPmJS9_EEE10hipError_tPvRmT3_T4_T5_T6_T7_T9_mT8_P12ihipStream_tbDpT10_ENKUlT_T0_E_clISt17integral_constantIbLb0EES1A_EEDaS15_S16_EUlS15_E_NS1_11comp_targetILNS1_3genE0ELNS1_11target_archE4294967295ELNS1_3gpuE0ELNS1_3repE0EEENS1_30default_config_static_selectorELNS0_4arch9wavefront6targetE1EEEvT1_
; %bb.0:
	.section	.rodata,"a",@progbits
	.p2align	6, 0x0
	.amdhsa_kernel _ZN7rocprim17ROCPRIM_400000_NS6detail17trampoline_kernelINS0_14default_configENS1_25partition_config_selectorILNS1_17partition_subalgoE9EllbEEZZNS1_14partition_implILS5_9ELb0ES3_jPlS8_PNS0_10empty_typeENS0_5tupleIJS8_S9_EEENSB_IJS8_SA_EEENS0_18inequality_wrapperIZN2at6native12_GLOBAL__N_124unique_dim_cuda_templateIfEESt5tupleIJNSF_6TensorESK_SK_EERKSK_lbbbEUlllE0_EEPmJS9_EEE10hipError_tPvRmT3_T4_T5_T6_T7_T9_mT8_P12ihipStream_tbDpT10_ENKUlT_T0_E_clISt17integral_constantIbLb0EES1A_EEDaS15_S16_EUlS15_E_NS1_11comp_targetILNS1_3genE0ELNS1_11target_archE4294967295ELNS1_3gpuE0ELNS1_3repE0EEENS1_30default_config_static_selectorELNS0_4arch9wavefront6targetE1EEEvT1_
		.amdhsa_group_segment_fixed_size 0
		.amdhsa_private_segment_fixed_size 0
		.amdhsa_kernarg_size 120
		.amdhsa_user_sgpr_count 2
		.amdhsa_user_sgpr_dispatch_ptr 0
		.amdhsa_user_sgpr_queue_ptr 0
		.amdhsa_user_sgpr_kernarg_segment_ptr 1
		.amdhsa_user_sgpr_dispatch_id 0
		.amdhsa_user_sgpr_kernarg_preload_length 0
		.amdhsa_user_sgpr_kernarg_preload_offset 0
		.amdhsa_user_sgpr_private_segment_size 0
		.amdhsa_uses_dynamic_stack 0
		.amdhsa_enable_private_segment 0
		.amdhsa_system_sgpr_workgroup_id_x 1
		.amdhsa_system_sgpr_workgroup_id_y 0
		.amdhsa_system_sgpr_workgroup_id_z 0
		.amdhsa_system_sgpr_workgroup_info 0
		.amdhsa_system_vgpr_workitem_id 0
		.amdhsa_next_free_vgpr 1
		.amdhsa_next_free_sgpr 0
		.amdhsa_accum_offset 4
		.amdhsa_reserve_vcc 0
		.amdhsa_float_round_mode_32 0
		.amdhsa_float_round_mode_16_64 0
		.amdhsa_float_denorm_mode_32 3
		.amdhsa_float_denorm_mode_16_64 3
		.amdhsa_dx10_clamp 1
		.amdhsa_ieee_mode 1
		.amdhsa_fp16_overflow 0
		.amdhsa_tg_split 0
		.amdhsa_exception_fp_ieee_invalid_op 0
		.amdhsa_exception_fp_denorm_src 0
		.amdhsa_exception_fp_ieee_div_zero 0
		.amdhsa_exception_fp_ieee_overflow 0
		.amdhsa_exception_fp_ieee_underflow 0
		.amdhsa_exception_fp_ieee_inexact 0
		.amdhsa_exception_int_div_zero 0
	.end_amdhsa_kernel
	.section	.text._ZN7rocprim17ROCPRIM_400000_NS6detail17trampoline_kernelINS0_14default_configENS1_25partition_config_selectorILNS1_17partition_subalgoE9EllbEEZZNS1_14partition_implILS5_9ELb0ES3_jPlS8_PNS0_10empty_typeENS0_5tupleIJS8_S9_EEENSB_IJS8_SA_EEENS0_18inequality_wrapperIZN2at6native12_GLOBAL__N_124unique_dim_cuda_templateIfEESt5tupleIJNSF_6TensorESK_SK_EERKSK_lbbbEUlllE0_EEPmJS9_EEE10hipError_tPvRmT3_T4_T5_T6_T7_T9_mT8_P12ihipStream_tbDpT10_ENKUlT_T0_E_clISt17integral_constantIbLb0EES1A_EEDaS15_S16_EUlS15_E_NS1_11comp_targetILNS1_3genE0ELNS1_11target_archE4294967295ELNS1_3gpuE0ELNS1_3repE0EEENS1_30default_config_static_selectorELNS0_4arch9wavefront6targetE1EEEvT1_,"axG",@progbits,_ZN7rocprim17ROCPRIM_400000_NS6detail17trampoline_kernelINS0_14default_configENS1_25partition_config_selectorILNS1_17partition_subalgoE9EllbEEZZNS1_14partition_implILS5_9ELb0ES3_jPlS8_PNS0_10empty_typeENS0_5tupleIJS8_S9_EEENSB_IJS8_SA_EEENS0_18inequality_wrapperIZN2at6native12_GLOBAL__N_124unique_dim_cuda_templateIfEESt5tupleIJNSF_6TensorESK_SK_EERKSK_lbbbEUlllE0_EEPmJS9_EEE10hipError_tPvRmT3_T4_T5_T6_T7_T9_mT8_P12ihipStream_tbDpT10_ENKUlT_T0_E_clISt17integral_constantIbLb0EES1A_EEDaS15_S16_EUlS15_E_NS1_11comp_targetILNS1_3genE0ELNS1_11target_archE4294967295ELNS1_3gpuE0ELNS1_3repE0EEENS1_30default_config_static_selectorELNS0_4arch9wavefront6targetE1EEEvT1_,comdat
.Lfunc_end968:
	.size	_ZN7rocprim17ROCPRIM_400000_NS6detail17trampoline_kernelINS0_14default_configENS1_25partition_config_selectorILNS1_17partition_subalgoE9EllbEEZZNS1_14partition_implILS5_9ELb0ES3_jPlS8_PNS0_10empty_typeENS0_5tupleIJS8_S9_EEENSB_IJS8_SA_EEENS0_18inequality_wrapperIZN2at6native12_GLOBAL__N_124unique_dim_cuda_templateIfEESt5tupleIJNSF_6TensorESK_SK_EERKSK_lbbbEUlllE0_EEPmJS9_EEE10hipError_tPvRmT3_T4_T5_T6_T7_T9_mT8_P12ihipStream_tbDpT10_ENKUlT_T0_E_clISt17integral_constantIbLb0EES1A_EEDaS15_S16_EUlS15_E_NS1_11comp_targetILNS1_3genE0ELNS1_11target_archE4294967295ELNS1_3gpuE0ELNS1_3repE0EEENS1_30default_config_static_selectorELNS0_4arch9wavefront6targetE1EEEvT1_, .Lfunc_end968-_ZN7rocprim17ROCPRIM_400000_NS6detail17trampoline_kernelINS0_14default_configENS1_25partition_config_selectorILNS1_17partition_subalgoE9EllbEEZZNS1_14partition_implILS5_9ELb0ES3_jPlS8_PNS0_10empty_typeENS0_5tupleIJS8_S9_EEENSB_IJS8_SA_EEENS0_18inequality_wrapperIZN2at6native12_GLOBAL__N_124unique_dim_cuda_templateIfEESt5tupleIJNSF_6TensorESK_SK_EERKSK_lbbbEUlllE0_EEPmJS9_EEE10hipError_tPvRmT3_T4_T5_T6_T7_T9_mT8_P12ihipStream_tbDpT10_ENKUlT_T0_E_clISt17integral_constantIbLb0EES1A_EEDaS15_S16_EUlS15_E_NS1_11comp_targetILNS1_3genE0ELNS1_11target_archE4294967295ELNS1_3gpuE0ELNS1_3repE0EEENS1_30default_config_static_selectorELNS0_4arch9wavefront6targetE1EEEvT1_
                                        ; -- End function
	.section	.AMDGPU.csdata,"",@progbits
; Kernel info:
; codeLenInByte = 0
; NumSgprs: 6
; NumVgprs: 0
; NumAgprs: 0
; TotalNumVgprs: 0
; ScratchSize: 0
; MemoryBound: 0
; FloatMode: 240
; IeeeMode: 1
; LDSByteSize: 0 bytes/workgroup (compile time only)
; SGPRBlocks: 0
; VGPRBlocks: 0
; NumSGPRsForWavesPerEU: 6
; NumVGPRsForWavesPerEU: 1
; AccumOffset: 4
; Occupancy: 8
; WaveLimiterHint : 0
; COMPUTE_PGM_RSRC2:SCRATCH_EN: 0
; COMPUTE_PGM_RSRC2:USER_SGPR: 2
; COMPUTE_PGM_RSRC2:TRAP_HANDLER: 0
; COMPUTE_PGM_RSRC2:TGID_X_EN: 1
; COMPUTE_PGM_RSRC2:TGID_Y_EN: 0
; COMPUTE_PGM_RSRC2:TGID_Z_EN: 0
; COMPUTE_PGM_RSRC2:TIDIG_COMP_CNT: 0
; COMPUTE_PGM_RSRC3_GFX90A:ACCUM_OFFSET: 0
; COMPUTE_PGM_RSRC3_GFX90A:TG_SPLIT: 0
	.section	.text._ZN7rocprim17ROCPRIM_400000_NS6detail17trampoline_kernelINS0_14default_configENS1_25partition_config_selectorILNS1_17partition_subalgoE9EllbEEZZNS1_14partition_implILS5_9ELb0ES3_jPlS8_PNS0_10empty_typeENS0_5tupleIJS8_S9_EEENSB_IJS8_SA_EEENS0_18inequality_wrapperIZN2at6native12_GLOBAL__N_124unique_dim_cuda_templateIfEESt5tupleIJNSF_6TensorESK_SK_EERKSK_lbbbEUlllE0_EEPmJS9_EEE10hipError_tPvRmT3_T4_T5_T6_T7_T9_mT8_P12ihipStream_tbDpT10_ENKUlT_T0_E_clISt17integral_constantIbLb0EES1A_EEDaS15_S16_EUlS15_E_NS1_11comp_targetILNS1_3genE5ELNS1_11target_archE942ELNS1_3gpuE9ELNS1_3repE0EEENS1_30default_config_static_selectorELNS0_4arch9wavefront6targetE1EEEvT1_,"axG",@progbits,_ZN7rocprim17ROCPRIM_400000_NS6detail17trampoline_kernelINS0_14default_configENS1_25partition_config_selectorILNS1_17partition_subalgoE9EllbEEZZNS1_14partition_implILS5_9ELb0ES3_jPlS8_PNS0_10empty_typeENS0_5tupleIJS8_S9_EEENSB_IJS8_SA_EEENS0_18inequality_wrapperIZN2at6native12_GLOBAL__N_124unique_dim_cuda_templateIfEESt5tupleIJNSF_6TensorESK_SK_EERKSK_lbbbEUlllE0_EEPmJS9_EEE10hipError_tPvRmT3_T4_T5_T6_T7_T9_mT8_P12ihipStream_tbDpT10_ENKUlT_T0_E_clISt17integral_constantIbLb0EES1A_EEDaS15_S16_EUlS15_E_NS1_11comp_targetILNS1_3genE5ELNS1_11target_archE942ELNS1_3gpuE9ELNS1_3repE0EEENS1_30default_config_static_selectorELNS0_4arch9wavefront6targetE1EEEvT1_,comdat
	.globl	_ZN7rocprim17ROCPRIM_400000_NS6detail17trampoline_kernelINS0_14default_configENS1_25partition_config_selectorILNS1_17partition_subalgoE9EllbEEZZNS1_14partition_implILS5_9ELb0ES3_jPlS8_PNS0_10empty_typeENS0_5tupleIJS8_S9_EEENSB_IJS8_SA_EEENS0_18inequality_wrapperIZN2at6native12_GLOBAL__N_124unique_dim_cuda_templateIfEESt5tupleIJNSF_6TensorESK_SK_EERKSK_lbbbEUlllE0_EEPmJS9_EEE10hipError_tPvRmT3_T4_T5_T6_T7_T9_mT8_P12ihipStream_tbDpT10_ENKUlT_T0_E_clISt17integral_constantIbLb0EES1A_EEDaS15_S16_EUlS15_E_NS1_11comp_targetILNS1_3genE5ELNS1_11target_archE942ELNS1_3gpuE9ELNS1_3repE0EEENS1_30default_config_static_selectorELNS0_4arch9wavefront6targetE1EEEvT1_ ; -- Begin function _ZN7rocprim17ROCPRIM_400000_NS6detail17trampoline_kernelINS0_14default_configENS1_25partition_config_selectorILNS1_17partition_subalgoE9EllbEEZZNS1_14partition_implILS5_9ELb0ES3_jPlS8_PNS0_10empty_typeENS0_5tupleIJS8_S9_EEENSB_IJS8_SA_EEENS0_18inequality_wrapperIZN2at6native12_GLOBAL__N_124unique_dim_cuda_templateIfEESt5tupleIJNSF_6TensorESK_SK_EERKSK_lbbbEUlllE0_EEPmJS9_EEE10hipError_tPvRmT3_T4_T5_T6_T7_T9_mT8_P12ihipStream_tbDpT10_ENKUlT_T0_E_clISt17integral_constantIbLb0EES1A_EEDaS15_S16_EUlS15_E_NS1_11comp_targetILNS1_3genE5ELNS1_11target_archE942ELNS1_3gpuE9ELNS1_3repE0EEENS1_30default_config_static_selectorELNS0_4arch9wavefront6targetE1EEEvT1_
	.p2align	8
	.type	_ZN7rocprim17ROCPRIM_400000_NS6detail17trampoline_kernelINS0_14default_configENS1_25partition_config_selectorILNS1_17partition_subalgoE9EllbEEZZNS1_14partition_implILS5_9ELb0ES3_jPlS8_PNS0_10empty_typeENS0_5tupleIJS8_S9_EEENSB_IJS8_SA_EEENS0_18inequality_wrapperIZN2at6native12_GLOBAL__N_124unique_dim_cuda_templateIfEESt5tupleIJNSF_6TensorESK_SK_EERKSK_lbbbEUlllE0_EEPmJS9_EEE10hipError_tPvRmT3_T4_T5_T6_T7_T9_mT8_P12ihipStream_tbDpT10_ENKUlT_T0_E_clISt17integral_constantIbLb0EES1A_EEDaS15_S16_EUlS15_E_NS1_11comp_targetILNS1_3genE5ELNS1_11target_archE942ELNS1_3gpuE9ELNS1_3repE0EEENS1_30default_config_static_selectorELNS0_4arch9wavefront6targetE1EEEvT1_,@function
_ZN7rocprim17ROCPRIM_400000_NS6detail17trampoline_kernelINS0_14default_configENS1_25partition_config_selectorILNS1_17partition_subalgoE9EllbEEZZNS1_14partition_implILS5_9ELb0ES3_jPlS8_PNS0_10empty_typeENS0_5tupleIJS8_S9_EEENSB_IJS8_SA_EEENS0_18inequality_wrapperIZN2at6native12_GLOBAL__N_124unique_dim_cuda_templateIfEESt5tupleIJNSF_6TensorESK_SK_EERKSK_lbbbEUlllE0_EEPmJS9_EEE10hipError_tPvRmT3_T4_T5_T6_T7_T9_mT8_P12ihipStream_tbDpT10_ENKUlT_T0_E_clISt17integral_constantIbLb0EES1A_EEDaS15_S16_EUlS15_E_NS1_11comp_targetILNS1_3genE5ELNS1_11target_archE942ELNS1_3gpuE9ELNS1_3repE0EEENS1_30default_config_static_selectorELNS0_4arch9wavefront6targetE1EEEvT1_: ; @_ZN7rocprim17ROCPRIM_400000_NS6detail17trampoline_kernelINS0_14default_configENS1_25partition_config_selectorILNS1_17partition_subalgoE9EllbEEZZNS1_14partition_implILS5_9ELb0ES3_jPlS8_PNS0_10empty_typeENS0_5tupleIJS8_S9_EEENSB_IJS8_SA_EEENS0_18inequality_wrapperIZN2at6native12_GLOBAL__N_124unique_dim_cuda_templateIfEESt5tupleIJNSF_6TensorESK_SK_EERKSK_lbbbEUlllE0_EEPmJS9_EEE10hipError_tPvRmT3_T4_T5_T6_T7_T9_mT8_P12ihipStream_tbDpT10_ENKUlT_T0_E_clISt17integral_constantIbLb0EES1A_EEDaS15_S16_EUlS15_E_NS1_11comp_targetILNS1_3genE5ELNS1_11target_archE942ELNS1_3gpuE9ELNS1_3repE0EEENS1_30default_config_static_selectorELNS0_4arch9wavefront6targetE1EEEvT1_
; %bb.0:
	s_load_dwordx8 s[20:27], s[0:1], 0x40
	s_load_dwordx4 s[4:7], s[0:1], 0x8
	s_load_dwordx2 s[10:11], s[0:1], 0x18
	s_load_dword s3, s[0:1], 0x70
	s_mul_i32 s12, s2, 0xe00
	s_waitcnt lgkmcnt(0)
	v_mov_b32_e32 v2, s24
	s_lshl_b64 s[14:15], s[6:7], 3
	s_add_u32 s18, s4, s14
	s_mul_i32 s4, s3, 0xe00
	s_addc_u32 s19, s5, s15
	s_add_i32 s8, s3, -1
	s_add_i32 s3, s4, s6
	s_sub_i32 s3, s24, s3
	s_addk_i32 s3, 0xe00
	s_add_u32 s4, s6, s4
	s_addc_u32 s5, s7, 0
	v_mov_b32_e32 v3, s25
	s_cmp_eq_u32 s2, s8
	s_load_dwordx2 s[22:23], s[22:23], 0x0
	v_cmp_ge_u64_e32 vcc, s[4:5], v[2:3]
	s_cselect_b64 s[24:25], -1, 0
	s_mov_b32 s13, 0
	s_and_b64 s[8:9], s[24:25], vcc
	s_xor_b64 s[34:35], s[8:9], -1
	s_lshl_b64 s[16:17], s[12:13], 3
	s_add_u32 s12, s18, s16
	s_mov_b64 s[4:5], -1
	s_addc_u32 s13, s19, s17
	s_and_b64 vcc, exec, s[34:35]
	s_cbranch_vccz .LBB969_2
; %bb.1:
	v_lshlrev_b32_e32 v2, 3, v0
	v_mov_b32_e32 v3, 0
	v_lshl_add_u64 v[4:5], s[12:13], 0, v[2:3]
	v_add_co_u32_e32 v8, vcc, 0x1000, v4
	global_load_dwordx2 v[6:7], v2, s[12:13]
	s_nop 0
	v_addc_co_u32_e32 v9, vcc, 0, v5, vcc
	v_add_co_u32_e32 v10, vcc, 0x2000, v4
	s_mov_b64 s[4:5], 0
	s_nop 0
	v_addc_co_u32_e32 v11, vcc, 0, v5, vcc
	v_add_co_u32_e32 v12, vcc, 0x3000, v4
	s_nop 1
	v_addc_co_u32_e32 v13, vcc, 0, v5, vcc
	v_add_co_u32_e32 v14, vcc, 0x4000, v4
	s_nop 1
	v_addc_co_u32_e32 v15, vcc, 0, v5, vcc
	global_load_dwordx2 v[16:17], v[8:9], off
	global_load_dwordx2 v[18:19], v[10:11], off
	;; [unrolled: 1-line block ×4, first 2 shown]
	v_add_co_u32_e32 v8, vcc, 0x5000, v4
	s_nop 1
	v_addc_co_u32_e32 v9, vcc, 0, v5, vcc
	v_add_co_u32_e32 v4, vcc, 0x6000, v4
	global_load_dwordx2 v[8:9], v[8:9], off
	s_nop 0
	v_addc_co_u32_e32 v5, vcc, 0, v5, vcc
	global_load_dwordx2 v[4:5], v[4:5], off
	s_waitcnt vmcnt(5)
	ds_write2st64_b64 v2, v[6:7], v[16:17] offset1:8
	s_waitcnt vmcnt(3)
	ds_write2st64_b64 v2, v[18:19], v[20:21] offset0:16 offset1:24
	s_waitcnt vmcnt(1)
	ds_write2st64_b64 v2, v[22:23], v[8:9] offset0:32 offset1:40
	s_waitcnt vmcnt(0)
	ds_write_b64 v2, v[4:5] offset:24576
	s_waitcnt lgkmcnt(0)
	s_barrier
.LBB969_2:
	s_load_dwordx4 s[28:31], s[0:1], 0x60
	s_andn2_b64 vcc, exec, s[4:5]
	v_cmp_gt_u32_e64 s[4:5], s3, v0
	s_cbranch_vccnz .LBB969_18
; %bb.3:
                                        ; implicit-def: $vgpr2_vgpr3_vgpr4_vgpr5_vgpr6_vgpr7_vgpr8_vgpr9_vgpr10_vgpr11_vgpr12_vgpr13_vgpr14_vgpr15_vgpr16_vgpr17
	s_and_saveexec_b64 s[18:19], s[4:5]
	s_cbranch_execz .LBB969_5
; %bb.4:
	v_lshlrev_b32_e32 v1, 3, v0
	global_load_dwordx2 v[2:3], v1, s[12:13]
.LBB969_5:
	s_or_b64 exec, exec, s[18:19]
	v_or_b32_e32 v1, 0x200, v0
	v_cmp_gt_u32_e32 vcc, s3, v1
	s_and_saveexec_b64 s[4:5], vcc
	s_cbranch_execz .LBB969_7
; %bb.6:
	v_lshlrev_b32_e32 v1, 3, v1
	global_load_dwordx2 v[4:5], v1, s[12:13]
.LBB969_7:
	s_or_b64 exec, exec, s[4:5]
	v_or_b32_e32 v1, 0x400, v0
	v_cmp_gt_u32_e32 vcc, s3, v1
	s_and_saveexec_b64 s[4:5], vcc
	;; [unrolled: 9-line block ×6, first 2 shown]
	s_cbranch_execz .LBB969_17
; %bb.16:
	v_lshlrev_b32_e32 v1, 3, v1
	global_load_dwordx2 v[14:15], v1, s[12:13]
.LBB969_17:
	s_or_b64 exec, exec, s[4:5]
	v_lshlrev_b32_e32 v1, 3, v0
	s_waitcnt vmcnt(0)
	ds_write2st64_b64 v1, v[2:3], v[4:5] offset1:8
	ds_write2st64_b64 v1, v[6:7], v[8:9] offset0:16 offset1:24
	ds_write2st64_b64 v1, v[10:11], v[12:13] offset0:32 offset1:40
	ds_write_b64 v1, v[14:15] offset:24576
	s_waitcnt lgkmcnt(0)
	s_barrier
.LBB969_18:
	v_mul_u32_u24_e32 v1, 7, v0
	v_lshlrev_b32_e32 v44, 3, v1
	s_waitcnt lgkmcnt(0)
	ds_read2_b64 v[22:25], v44 offset1:1
	ds_read2_b64 v[18:21], v44 offset0:2 offset1:3
	ds_read2_b64 v[14:17], v44 offset0:4 offset1:5
	ds_read_b64 v[28:29], v44 offset:48
	s_add_u32 s4, s10, s14
	s_addc_u32 s5, s11, s15
	s_add_u32 s4, s4, s16
	s_addc_u32 s5, s5, s17
	s_mov_b64 s[10:11], -1
	s_and_b64 vcc, exec, s[34:35]
	s_waitcnt lgkmcnt(0)
	s_barrier
	s_cbranch_vccz .LBB969_20
; %bb.19:
	v_lshlrev_b32_e32 v2, 3, v0
	v_mov_b32_e32 v3, 0
	v_lshl_add_u64 v[4:5], s[4:5], 0, v[2:3]
	v_add_co_u32_e32 v8, vcc, 0x1000, v4
	global_load_dwordx2 v[6:7], v2, s[4:5]
	s_nop 0
	v_addc_co_u32_e32 v9, vcc, 0, v5, vcc
	v_add_co_u32_e32 v10, vcc, 0x2000, v4
	s_mov_b64 s[10:11], 0
	s_nop 0
	v_addc_co_u32_e32 v11, vcc, 0, v5, vcc
	v_add_co_u32_e32 v12, vcc, 0x3000, v4
	s_nop 1
	v_addc_co_u32_e32 v13, vcc, 0, v5, vcc
	v_add_co_u32_e32 v26, vcc, 0x4000, v4
	s_nop 1
	v_addc_co_u32_e32 v27, vcc, 0, v5, vcc
	global_load_dwordx2 v[30:31], v[8:9], off
	global_load_dwordx2 v[32:33], v[10:11], off
	;; [unrolled: 1-line block ×4, first 2 shown]
	v_add_co_u32_e32 v8, vcc, 0x5000, v4
	s_nop 1
	v_addc_co_u32_e32 v9, vcc, 0, v5, vcc
	v_add_co_u32_e32 v4, vcc, 0x6000, v4
	global_load_dwordx2 v[8:9], v[8:9], off
	s_nop 0
	v_addc_co_u32_e32 v5, vcc, 0, v5, vcc
	global_load_dwordx2 v[4:5], v[4:5], off
	s_waitcnt vmcnt(5)
	ds_write2st64_b64 v2, v[6:7], v[30:31] offset1:8
	s_waitcnt vmcnt(3)
	ds_write2st64_b64 v2, v[32:33], v[34:35] offset0:16 offset1:24
	s_waitcnt vmcnt(1)
	ds_write2st64_b64 v2, v[36:37], v[8:9] offset0:32 offset1:40
	s_waitcnt vmcnt(0)
	ds_write_b64 v2, v[4:5] offset:24576
	s_waitcnt lgkmcnt(0)
	s_barrier
.LBB969_20:
	s_andn2_b64 vcc, exec, s[10:11]
	s_cbranch_vccnz .LBB969_36
; %bb.21:
	v_cmp_gt_u32_e32 vcc, s3, v0
                                        ; implicit-def: $vgpr2_vgpr3
	s_and_saveexec_b64 s[10:11], vcc
	s_cbranch_execz .LBB969_23
; %bb.22:
	v_lshlrev_b32_e32 v2, 3, v0
	global_load_dwordx2 v[2:3], v2, s[4:5]
.LBB969_23:
	s_or_b64 exec, exec, s[10:11]
	v_or_b32_e32 v6, 0x200, v0
	v_cmp_gt_u32_e32 vcc, s3, v6
                                        ; implicit-def: $vgpr4_vgpr5
	s_and_saveexec_b64 s[10:11], vcc
	s_cbranch_execz .LBB969_25
; %bb.24:
	v_lshlrev_b32_e32 v4, 3, v6
	global_load_dwordx2 v[4:5], v4, s[4:5]
.LBB969_25:
	s_or_b64 exec, exec, s[10:11]
	v_or_b32_e32 v8, 0x400, v0
	v_cmp_gt_u32_e32 vcc, s3, v8
                                        ; implicit-def: $vgpr6_vgpr7
	s_and_saveexec_b64 s[10:11], vcc
	s_cbranch_execz .LBB969_27
; %bb.26:
	v_lshlrev_b32_e32 v6, 3, v8
	global_load_dwordx2 v[6:7], v6, s[4:5]
.LBB969_27:
	s_or_b64 exec, exec, s[10:11]
	v_or_b32_e32 v10, 0x600, v0
	v_cmp_gt_u32_e32 vcc, s3, v10
                                        ; implicit-def: $vgpr8_vgpr9
	s_and_saveexec_b64 s[10:11], vcc
	s_cbranch_execz .LBB969_29
; %bb.28:
	v_lshlrev_b32_e32 v8, 3, v10
	global_load_dwordx2 v[8:9], v8, s[4:5]
.LBB969_29:
	s_or_b64 exec, exec, s[10:11]
	v_or_b32_e32 v12, 0x800, v0
	v_cmp_gt_u32_e32 vcc, s3, v12
                                        ; implicit-def: $vgpr10_vgpr11
	s_and_saveexec_b64 s[10:11], vcc
	s_cbranch_execz .LBB969_31
; %bb.30:
	v_lshlrev_b32_e32 v10, 3, v12
	global_load_dwordx2 v[10:11], v10, s[4:5]
.LBB969_31:
	s_or_b64 exec, exec, s[10:11]
	v_or_b32_e32 v26, 0xa00, v0
	v_cmp_gt_u32_e32 vcc, s3, v26
                                        ; implicit-def: $vgpr12_vgpr13
	s_and_saveexec_b64 s[10:11], vcc
	s_cbranch_execz .LBB969_33
; %bb.32:
	v_lshlrev_b32_e32 v12, 3, v26
	global_load_dwordx2 v[12:13], v12, s[4:5]
.LBB969_33:
	s_or_b64 exec, exec, s[10:11]
	v_or_b32_e32 v30, 0xc00, v0
	v_cmp_gt_u32_e32 vcc, s3, v30
                                        ; implicit-def: $vgpr26_vgpr27
	s_and_saveexec_b64 s[10:11], vcc
	s_cbranch_execz .LBB969_35
; %bb.34:
	v_lshlrev_b32_e32 v26, 3, v30
	global_load_dwordx2 v[26:27], v26, s[4:5]
.LBB969_35:
	s_or_b64 exec, exec, s[10:11]
	s_movk_i32 s4, 0xffd0
	v_mad_i32_i24 v30, v0, s4, v44
	s_waitcnt vmcnt(0)
	ds_write2st64_b64 v30, v[2:3], v[4:5] offset1:8
	ds_write2st64_b64 v30, v[6:7], v[8:9] offset0:16 offset1:24
	ds_write2st64_b64 v30, v[10:11], v[12:13] offset0:32 offset1:40
	ds_write_b64 v30, v[26:27] offset:24576
	s_waitcnt lgkmcnt(0)
	s_barrier
.LBB969_36:
	ds_read2_b64 v[10:13], v44 offset1:1
	ds_read2_b64 v[6:9], v44 offset0:2 offset1:3
	ds_read2_b64 v[2:5], v44 offset0:4 offset1:5
	ds_read_b64 v[26:27], v44 offset:48
	s_cmp_lg_u32 s2, 0
	s_cselect_b64 s[16:17], -1, 0
	s_cmp_lg_u64 s[6:7], 0
	s_cselect_b64 s[4:5], -1, 0
	s_or_b64 s[4:5], s[16:17], s[4:5]
	v_add_u32_e32 v41, 1, v1
	v_add_u32_e32 v38, 2, v1
	;; [unrolled: 1-line block ×6, first 2 shown]
	s_mov_b64 s[10:11], 0
	s_and_b64 vcc, exec, s[4:5]
	v_cmp_gt_i64_e64 s[4:5], s[26:27], 0
	s_waitcnt lgkmcnt(0)
	s_barrier
	s_cbranch_vccz .LBB969_45
; %bb.37:
	s_add_u32 s6, s12, -8
	s_addc_u32 s7, s13, -1
	s_load_dwordx2 s[6:7], s[6:7], 0x0
	v_cndmask_b32_e64 v30, 0, 1, s[4:5]
	v_lshlrev_b32_e32 v45, 3, v0
	s_and_b64 vcc, exec, s[34:35]
	v_cmp_ne_u32_e64 s[4:5], 1, v30
	ds_write_b64 v45, v[28:29]
	s_cbranch_vccz .LBB969_47
; %bb.38:
	v_mul_lo_u32 v32, v17, s26
	v_mul_lo_u32 v33, v16, s27
	v_mad_u64_u32 v[30:31], s[12:13], v16, s26, 0
	v_add3_u32 v31, v31, v33, v32
	s_and_b64 vcc, exec, s[4:5]
	v_lshl_add_u64 v[30:31], v[30:31], 2, s[28:29]
	s_cbranch_vccnz .LBB969_50
; %bb.39:
	v_mul_lo_u32 v34, v29, s26
	v_mul_lo_u32 v35, v28, s27
	v_mad_u64_u32 v[32:33], s[10:11], v28, s26, 0
	v_add3_u32 v33, v33, v35, v34
	v_lshl_add_u64 v[32:33], v[32:33], 2, s[28:29]
	global_load_dword v34, v[30:31], off
	global_load_dword v35, v[32:33], off
	s_mov_b64 s[10:11], -1
	s_waitcnt vmcnt(0)
	v_cmp_eq_f32_e32 vcc, v34, v35
	s_and_saveexec_b64 s[12:13], vcc
	s_cbranch_execz .LBB969_49
; %bb.40:
	s_add_u32 s10, s26, -1
	v_lshl_add_u64 v[32:33], v[32:33], 0, 4
	v_lshl_add_u64 v[34:35], v[30:31], 0, 4
	s_addc_u32 s11, s27, -1
	s_mov_b64 s[14:15], 0
	s_mov_b64 s[36:37], 0
                                        ; implicit-def: $sgpr18_sgpr19
	s_branch .LBB969_43
.LBB969_41:                             ;   in Loop: Header=BB969_43 Depth=1
	global_load_dword v36, v[34:35], off
	global_load_dword v37, v[32:33], off
	s_add_u32 s36, s36, 1
	s_addc_u32 s37, s37, 0
	s_andn2_b64 s[18:19], s[18:19], exec
	v_lshl_add_u64 v[32:33], v[32:33], 0, 4
	v_lshl_add_u64 v[34:35], v[34:35], 0, 4
	s_waitcnt vmcnt(0)
	v_cmp_neq_f32_e32 vcc, v36, v37
	s_and_b64 s[38:39], vcc, exec
	s_or_b64 s[18:19], s[18:19], s[38:39]
.LBB969_42:                             ;   in Loop: Header=BB969_43 Depth=1
	s_and_b64 s[38:39], exec, s[18:19]
	s_or_b64 s[14:15], s[38:39], s[14:15]
	v_mov_b64_e32 v[36:37], s[36:37]
	s_andn2_b64 exec, exec, s[14:15]
	s_cbranch_execz .LBB969_48
.LBB969_43:                             ; =>This Inner Loop Header: Depth=1
	s_or_b64 s[18:19], s[18:19], exec
	s_cmp_eq_u64 s[10:11], s[36:37]
	s_cbranch_scc0 .LBB969_41
; %bb.44:                               ;   in Loop: Header=BB969_43 Depth=1
                                        ; implicit-def: $vgpr32_vgpr33
                                        ; implicit-def: $vgpr34_vgpr35
	s_mov_b64 s[36:37], s[26:27]
	s_branch .LBB969_42
.LBB969_45:
                                        ; implicit-def: $sgpr18_sgpr19
                                        ; implicit-def: $vgpr48
                                        ; implicit-def: $vgpr47
                                        ; implicit-def: $vgpr46
                                        ; implicit-def: $vgpr34
	s_branch .LBB969_188
.LBB969_46:
                                        ; implicit-def: $vgpr30_vgpr31
	s_branch .LBB969_336
.LBB969_47:
                                        ; implicit-def: $sgpr18_sgpr19
                                        ; implicit-def: $vgpr48
                                        ; implicit-def: $vgpr47
                                        ; implicit-def: $vgpr46
                                        ; implicit-def: $vgpr34
	s_cbranch_execnz .LBB969_107
	s_branch .LBB969_187
.LBB969_48:
	s_or_b64 exec, exec, s[14:15]
	v_cmp_gt_i64_e32 vcc, s[26:27], v[36:37]
	s_orn2_b64 s[10:11], vcc, exec
.LBB969_49:
	s_or_b64 exec, exec, s[12:13]
.LBB969_50:
	v_mul_lo_u32 v34, v15, s26
	v_mul_lo_u32 v35, v14, s27
	v_mad_u64_u32 v[32:33], s[12:13], v14, s26, 0
	v_add3_u32 v33, v33, v35, v34
	s_mov_b64 s[12:13], 0
	s_and_b64 vcc, exec, s[4:5]
	v_lshl_add_u64 v[32:33], v[32:33], 2, s[28:29]
	s_mov_b64 s[14:15], 0
	s_cbranch_vccnz .LBB969_59
; %bb.51:
	global_load_dword v34, v[32:33], off
	global_load_dword v35, v[30:31], off
	s_mov_b64 s[14:15], -1
	s_waitcnt vmcnt(0)
	v_cmp_eq_f32_e32 vcc, v34, v35
	s_and_saveexec_b64 s[18:19], vcc
	s_cbranch_execz .LBB969_58
; %bb.52:
	s_add_u32 s14, s26, -1
	v_lshl_add_u64 v[30:31], v[30:31], 0, 4
	v_lshl_add_u64 v[34:35], v[32:33], 0, 4
	s_addc_u32 s15, s27, -1
	s_mov_b64 s[36:37], 0
	s_mov_b64 s[40:41], 0
                                        ; implicit-def: $sgpr38_sgpr39
	s_branch .LBB969_55
.LBB969_53:                             ;   in Loop: Header=BB969_55 Depth=1
	global_load_dword v36, v[34:35], off
	global_load_dword v37, v[30:31], off
	s_add_u32 s40, s40, 1
	s_addc_u32 s41, s41, 0
	s_andn2_b64 s[38:39], s[38:39], exec
	v_lshl_add_u64 v[30:31], v[30:31], 0, 4
	v_lshl_add_u64 v[34:35], v[34:35], 0, 4
	s_waitcnt vmcnt(0)
	v_cmp_neq_f32_e32 vcc, v36, v37
	s_and_b64 s[42:43], vcc, exec
	s_or_b64 s[38:39], s[38:39], s[42:43]
.LBB969_54:                             ;   in Loop: Header=BB969_55 Depth=1
	s_and_b64 s[42:43], exec, s[38:39]
	s_or_b64 s[36:37], s[42:43], s[36:37]
	v_mov_b64_e32 v[36:37], s[40:41]
	s_andn2_b64 exec, exec, s[36:37]
	s_cbranch_execz .LBB969_57
.LBB969_55:                             ; =>This Inner Loop Header: Depth=1
	s_or_b64 s[38:39], s[38:39], exec
	s_cmp_eq_u64 s[14:15], s[40:41]
	s_cbranch_scc0 .LBB969_53
; %bb.56:                               ;   in Loop: Header=BB969_55 Depth=1
                                        ; implicit-def: $vgpr30_vgpr31
                                        ; implicit-def: $vgpr34_vgpr35
	s_mov_b64 s[40:41], s[26:27]
	s_branch .LBB969_54
.LBB969_57:
	s_or_b64 exec, exec, s[36:37]
	v_cmp_gt_i64_e32 vcc, s[26:27], v[36:37]
	s_orn2_b64 s[14:15], vcc, exec
.LBB969_58:
	s_or_b64 exec, exec, s[18:19]
.LBB969_59:
	v_mul_lo_u32 v34, v21, s26
	v_mul_lo_u32 v35, v20, s27
	v_mad_u64_u32 v[30:31], s[18:19], v20, s26, 0
	v_add3_u32 v31, v31, v35, v34
	s_and_b64 vcc, exec, s[4:5]
	v_lshl_add_u64 v[30:31], v[30:31], 2, s[28:29]
	s_cbranch_vccnz .LBB969_68
; %bb.60:
	global_load_dword v34, v[30:31], off
	global_load_dword v35, v[32:33], off
	s_mov_b64 s[12:13], -1
	s_waitcnt vmcnt(0)
	v_cmp_eq_f32_e32 vcc, v34, v35
	s_and_saveexec_b64 s[18:19], vcc
	s_cbranch_execz .LBB969_67
; %bb.61:
	s_add_u32 s12, s26, -1
	v_lshl_add_u64 v[32:33], v[32:33], 0, 4
	v_lshl_add_u64 v[34:35], v[30:31], 0, 4
	s_addc_u32 s13, s27, -1
	s_mov_b64 s[36:37], 0
	s_mov_b64 s[40:41], 0
                                        ; implicit-def: $sgpr38_sgpr39
	s_branch .LBB969_64
.LBB969_62:                             ;   in Loop: Header=BB969_64 Depth=1
	global_load_dword v36, v[34:35], off
	global_load_dword v37, v[32:33], off
	s_add_u32 s40, s40, 1
	s_addc_u32 s41, s41, 0
	s_andn2_b64 s[38:39], s[38:39], exec
	v_lshl_add_u64 v[32:33], v[32:33], 0, 4
	v_lshl_add_u64 v[34:35], v[34:35], 0, 4
	s_waitcnt vmcnt(0)
	v_cmp_neq_f32_e32 vcc, v36, v37
	s_and_b64 s[42:43], vcc, exec
	s_or_b64 s[38:39], s[38:39], s[42:43]
.LBB969_63:                             ;   in Loop: Header=BB969_64 Depth=1
	s_and_b64 s[42:43], exec, s[38:39]
	s_or_b64 s[36:37], s[42:43], s[36:37]
	v_mov_b64_e32 v[36:37], s[40:41]
	s_andn2_b64 exec, exec, s[36:37]
	s_cbranch_execz .LBB969_66
.LBB969_64:                             ; =>This Inner Loop Header: Depth=1
	s_or_b64 s[38:39], s[38:39], exec
	s_cmp_eq_u64 s[12:13], s[40:41]
	s_cbranch_scc0 .LBB969_62
; %bb.65:                               ;   in Loop: Header=BB969_64 Depth=1
                                        ; implicit-def: $vgpr32_vgpr33
                                        ; implicit-def: $vgpr34_vgpr35
	s_mov_b64 s[40:41], s[26:27]
	s_branch .LBB969_63
.LBB969_66:
	s_or_b64 exec, exec, s[36:37]
	v_cmp_gt_i64_e32 vcc, s[26:27], v[36:37]
	s_orn2_b64 s[12:13], vcc, exec
.LBB969_67:
	s_or_b64 exec, exec, s[18:19]
.LBB969_68:
	v_mul_lo_u32 v34, v19, s26
	v_mul_lo_u32 v35, v18, s27
	v_mad_u64_u32 v[32:33], s[18:19], v18, s26, 0
	v_add3_u32 v33, v33, v35, v34
	s_mov_b64 s[18:19], 0
	s_and_b64 vcc, exec, s[4:5]
	v_lshl_add_u64 v[34:35], v[32:33], 2, s[28:29]
	s_mov_b64 s[36:37], 0
	s_cbranch_vccnz .LBB969_77
; %bb.69:
	global_load_dword v32, v[34:35], off
	global_load_dword v33, v[30:31], off
	s_mov_b64 s[36:37], -1
	s_waitcnt vmcnt(0)
	v_cmp_eq_f32_e32 vcc, v32, v33
	s_and_saveexec_b64 s[38:39], vcc
	s_cbranch_execz .LBB969_76
; %bb.70:
	s_add_u32 s36, s26, -1
	v_lshl_add_u64 v[30:31], v[30:31], 0, 4
	v_lshl_add_u64 v[32:33], v[34:35], 0, 4
	s_addc_u32 s37, s27, -1
	s_mov_b64 s[40:41], 0
	s_mov_b64 s[44:45], 0
                                        ; implicit-def: $sgpr42_sgpr43
	s_branch .LBB969_73
.LBB969_71:                             ;   in Loop: Header=BB969_73 Depth=1
	global_load_dword v36, v[32:33], off
	global_load_dword v37, v[30:31], off
	s_add_u32 s44, s44, 1
	s_addc_u32 s45, s45, 0
	s_andn2_b64 s[42:43], s[42:43], exec
	v_lshl_add_u64 v[30:31], v[30:31], 0, 4
	v_lshl_add_u64 v[32:33], v[32:33], 0, 4
	s_waitcnt vmcnt(0)
	v_cmp_neq_f32_e32 vcc, v36, v37
	s_and_b64 s[46:47], vcc, exec
	s_or_b64 s[42:43], s[42:43], s[46:47]
.LBB969_72:                             ;   in Loop: Header=BB969_73 Depth=1
	s_and_b64 s[46:47], exec, s[42:43]
	s_or_b64 s[40:41], s[46:47], s[40:41]
	v_mov_b64_e32 v[36:37], s[44:45]
	s_andn2_b64 exec, exec, s[40:41]
	s_cbranch_execz .LBB969_75
.LBB969_73:                             ; =>This Inner Loop Header: Depth=1
	s_or_b64 s[42:43], s[42:43], exec
	s_cmp_eq_u64 s[36:37], s[44:45]
	s_cbranch_scc0 .LBB969_71
; %bb.74:                               ;   in Loop: Header=BB969_73 Depth=1
                                        ; implicit-def: $vgpr30_vgpr31
                                        ; implicit-def: $vgpr32_vgpr33
	s_mov_b64 s[44:45], s[26:27]
	s_branch .LBB969_72
.LBB969_75:
	s_or_b64 exec, exec, s[40:41]
	v_cmp_gt_i64_e32 vcc, s[26:27], v[36:37]
	s_orn2_b64 s[36:37], vcc, exec
.LBB969_76:
	s_or_b64 exec, exec, s[38:39]
.LBB969_77:
	v_mul_lo_u32 v32, v25, s26
	v_mul_lo_u32 v33, v24, s27
	v_mad_u64_u32 v[30:31], s[38:39], v24, s26, 0
	v_add3_u32 v31, v31, v33, v32
	s_and_b64 vcc, exec, s[4:5]
	v_lshl_add_u64 v[32:33], v[30:31], 2, s[28:29]
	s_cbranch_vccnz .LBB969_86
; %bb.78:
	global_load_dword v30, v[32:33], off
	global_load_dword v31, v[34:35], off
	s_mov_b64 s[18:19], -1
	s_waitcnt vmcnt(0)
	v_cmp_eq_f32_e32 vcc, v30, v31
	s_and_saveexec_b64 s[38:39], vcc
	s_cbranch_execz .LBB969_85
; %bb.79:
	s_add_u32 s18, s26, -1
	v_lshl_add_u64 v[30:31], v[34:35], 0, 4
	v_lshl_add_u64 v[34:35], v[32:33], 0, 4
	s_addc_u32 s19, s27, -1
	s_mov_b64 s[40:41], 0
	s_mov_b64 s[44:45], 0
                                        ; implicit-def: $sgpr42_sgpr43
	s_branch .LBB969_82
.LBB969_80:                             ;   in Loop: Header=BB969_82 Depth=1
	global_load_dword v36, v[34:35], off
	global_load_dword v37, v[30:31], off
	s_add_u32 s44, s44, 1
	s_addc_u32 s45, s45, 0
	s_andn2_b64 s[42:43], s[42:43], exec
	v_lshl_add_u64 v[30:31], v[30:31], 0, 4
	v_lshl_add_u64 v[34:35], v[34:35], 0, 4
	s_waitcnt vmcnt(0)
	v_cmp_neq_f32_e32 vcc, v36, v37
	s_and_b64 s[46:47], vcc, exec
	s_or_b64 s[42:43], s[42:43], s[46:47]
.LBB969_81:                             ;   in Loop: Header=BB969_82 Depth=1
	s_and_b64 s[46:47], exec, s[42:43]
	s_or_b64 s[40:41], s[46:47], s[40:41]
	v_mov_b64_e32 v[36:37], s[44:45]
	s_andn2_b64 exec, exec, s[40:41]
	s_cbranch_execz .LBB969_84
.LBB969_82:                             ; =>This Inner Loop Header: Depth=1
	s_or_b64 s[42:43], s[42:43], exec
	s_cmp_eq_u64 s[18:19], s[44:45]
	s_cbranch_scc0 .LBB969_80
; %bb.83:                               ;   in Loop: Header=BB969_82 Depth=1
                                        ; implicit-def: $vgpr30_vgpr31
                                        ; implicit-def: $vgpr34_vgpr35
	s_mov_b64 s[44:45], s[26:27]
	s_branch .LBB969_81
.LBB969_84:
	s_or_b64 exec, exec, s[40:41]
	v_cmp_gt_i64_e32 vcc, s[26:27], v[36:37]
	s_orn2_b64 s[18:19], vcc, exec
.LBB969_85:
	s_or_b64 exec, exec, s[38:39]
.LBB969_86:
	v_mul_lo_u32 v34, v23, s26
	v_mul_lo_u32 v35, v22, s27
	v_mad_u64_u32 v[30:31], s[38:39], v22, s26, 0
	v_add3_u32 v31, v31, v35, v34
	s_mov_b64 s[40:41], 0
	s_and_b64 vcc, exec, s[4:5]
	v_lshl_add_u64 v[30:31], v[30:31], 2, s[28:29]
	s_cbranch_vccnz .LBB969_95
; %bb.87:
	global_load_dword v34, v[30:31], off
	global_load_dword v35, v[32:33], off
	s_mov_b64 s[40:41], -1
	s_waitcnt vmcnt(0)
	v_cmp_eq_f32_e32 vcc, v34, v35
	s_and_saveexec_b64 s[38:39], vcc
	s_cbranch_execz .LBB969_94
; %bb.88:
	s_add_u32 s40, s26, -1
	v_lshl_add_u64 v[32:33], v[32:33], 0, 4
	v_lshl_add_u64 v[34:35], v[30:31], 0, 4
	s_addc_u32 s41, s27, -1
	s_mov_b64 s[42:43], 0
	s_mov_b64 s[46:47], 0
                                        ; implicit-def: $sgpr44_sgpr45
	s_branch .LBB969_91
.LBB969_89:                             ;   in Loop: Header=BB969_91 Depth=1
	global_load_dword v36, v[34:35], off
	global_load_dword v37, v[32:33], off
	s_add_u32 s46, s46, 1
	s_addc_u32 s47, s47, 0
	s_andn2_b64 s[44:45], s[44:45], exec
	v_lshl_add_u64 v[32:33], v[32:33], 0, 4
	v_lshl_add_u64 v[34:35], v[34:35], 0, 4
	s_waitcnt vmcnt(0)
	v_cmp_neq_f32_e32 vcc, v36, v37
	s_and_b64 s[48:49], vcc, exec
	s_or_b64 s[44:45], s[44:45], s[48:49]
.LBB969_90:                             ;   in Loop: Header=BB969_91 Depth=1
	s_and_b64 s[48:49], exec, s[44:45]
	s_or_b64 s[42:43], s[48:49], s[42:43]
	v_mov_b64_e32 v[36:37], s[46:47]
	s_andn2_b64 exec, exec, s[42:43]
	s_cbranch_execz .LBB969_93
.LBB969_91:                             ; =>This Inner Loop Header: Depth=1
	s_or_b64 s[44:45], s[44:45], exec
	s_cmp_eq_u64 s[40:41], s[46:47]
	s_cbranch_scc0 .LBB969_89
; %bb.92:                               ;   in Loop: Header=BB969_91 Depth=1
                                        ; implicit-def: $vgpr32_vgpr33
                                        ; implicit-def: $vgpr34_vgpr35
	s_mov_b64 s[46:47], s[26:27]
	s_branch .LBB969_90
.LBB969_93:
	s_or_b64 exec, exec, s[42:43]
	v_cmp_gt_i64_e32 vcc, s[26:27], v[36:37]
	s_orn2_b64 s[40:41], vcc, exec
.LBB969_94:
	s_or_b64 exec, exec, s[38:39]
.LBB969_95:
	v_cmp_ne_u32_e32 vcc, 0, v0
	s_waitcnt lgkmcnt(0)
	v_mov_b64_e32 v[32:33], s[6:7]
	s_barrier
	s_and_saveexec_b64 s[38:39], vcc
	s_cbranch_execz .LBB969_97
; %bb.96:
	v_add_u32_e32 v32, -8, v45
	ds_read_b64 v[32:33], v32
.LBB969_97:
	s_or_b64 exec, exec, s[38:39]
	v_cndmask_b32_e64 v35, 0, 1, s[36:37]
	v_cndmask_b32_e64 v34, 0, 1, s[18:19]
	;; [unrolled: 1-line block ×3, first 2 shown]
	v_lshlrev_b16_e32 v35, 8, v35
	v_lshlrev_b16_e32 v36, 8, v36
	v_or_b32_sdwa v37, v34, v35 dst_sel:WORD_1 dst_unused:UNUSED_PAD src0_sel:DWORD src1_sel:DWORD
	s_mov_b64 s[36:37], 0
	s_and_b64 vcc, exec, s[4:5]
	s_mov_b64 s[18:19], 0
	s_cbranch_vccnz .LBB969_106
; %bb.98:
	s_waitcnt lgkmcnt(0)
	v_mul_lo_u32 v34, v33, s26
	v_mul_lo_u32 v35, v32, s27
	v_mad_u64_u32 v[32:33], s[18:19], v32, s26, 0
	v_add3_u32 v33, v33, v35, v34
	v_lshl_add_u64 v[32:33], v[32:33], 2, s[28:29]
	global_load_dword v34, v[32:33], off
	global_load_dword v35, v[30:31], off
	s_mov_b64 s[18:19], -1
	s_waitcnt vmcnt(0)
	v_cmp_eq_f32_e32 vcc, v34, v35
	s_and_saveexec_b64 s[38:39], vcc
	s_cbranch_execz .LBB969_105
; %bb.99:
	s_add_u32 s18, s26, -1
	v_lshl_add_u64 v[30:31], v[30:31], 0, 4
	v_lshl_add_u64 v[32:33], v[32:33], 0, 4
	s_addc_u32 s19, s27, -1
	s_mov_b64 s[40:41], 0
	s_mov_b64 s[44:45], 0
                                        ; implicit-def: $sgpr42_sgpr43
	s_branch .LBB969_102
.LBB969_100:                            ;   in Loop: Header=BB969_102 Depth=1
	global_load_dword v34, v[32:33], off
	global_load_dword v35, v[30:31], off
	s_add_u32 s44, s44, 1
	s_addc_u32 s45, s45, 0
	s_andn2_b64 s[42:43], s[42:43], exec
	v_lshl_add_u64 v[30:31], v[30:31], 0, 4
	v_lshl_add_u64 v[32:33], v[32:33], 0, 4
	s_waitcnt vmcnt(0)
	v_cmp_neq_f32_e32 vcc, v34, v35
	s_and_b64 s[46:47], vcc, exec
	s_or_b64 s[42:43], s[42:43], s[46:47]
.LBB969_101:                            ;   in Loop: Header=BB969_102 Depth=1
	s_and_b64 s[46:47], exec, s[42:43]
	s_or_b64 s[40:41], s[46:47], s[40:41]
	v_mov_b64_e32 v[34:35], s[44:45]
	s_andn2_b64 exec, exec, s[40:41]
	s_cbranch_execz .LBB969_104
.LBB969_102:                            ; =>This Inner Loop Header: Depth=1
	s_or_b64 s[42:43], s[42:43], exec
	s_cmp_eq_u64 s[18:19], s[44:45]
	s_cbranch_scc0 .LBB969_100
; %bb.103:                              ;   in Loop: Header=BB969_102 Depth=1
                                        ; implicit-def: $vgpr30_vgpr31
                                        ; implicit-def: $vgpr32_vgpr33
	s_mov_b64 s[44:45], s[26:27]
	s_branch .LBB969_101
.LBB969_104:
	s_or_b64 exec, exec, s[40:41]
	v_cmp_gt_i64_e32 vcc, s[26:27], v[34:35]
	s_orn2_b64 s[18:19], vcc, exec
.LBB969_105:
	s_or_b64 exec, exec, s[38:39]
.LBB969_106:
	v_cndmask_b32_e64 v46, 0, 1, s[12:13]
	v_cndmask_b32_e64 v47, 0, 1, s[14:15]
	;; [unrolled: 1-line block ×3, first 2 shown]
	v_or_b32_e32 v34, v36, v37
	s_and_b64 vcc, exec, s[36:37]
	s_cbranch_vccz .LBB969_187
.LBB969_107:
	v_cmp_gt_u32_e32 vcc, s3, v40
	s_mov_b64 s[12:13], 0
	s_mov_b64 s[10:11], 0
	s_and_saveexec_b64 s[14:15], vcc
	s_cbranch_execz .LBB969_118
; %bb.108:
	s_and_b64 vcc, exec, s[4:5]
	s_mov_b64 s[18:19], 0
	s_cbranch_vccnz .LBB969_117
; %bb.109:
	s_waitcnt lgkmcnt(0)
	v_mul_lo_u32 v32, v17, s26
	v_mul_lo_u32 v33, v16, s27
	v_mad_u64_u32 v[30:31], s[10:11], v16, s26, 0
	v_add3_u32 v31, v31, v33, v32
	v_mul_lo_u32 v32, v29, s26
	v_mul_lo_u32 v33, v28, s27
	v_mad_u64_u32 v[34:35], s[10:11], v28, s26, 0
	v_add3_u32 v35, v35, v33, v32
	v_lshl_add_u64 v[32:33], v[30:31], 2, s[28:29]
	v_lshl_add_u64 v[30:31], v[34:35], 2, s[28:29]
	global_load_dword v34, v[32:33], off
	global_load_dword v35, v[30:31], off
	s_mov_b64 s[18:19], -1
	s_waitcnt vmcnt(0)
	v_cmp_eq_f32_e32 vcc, v34, v35
	s_and_saveexec_b64 s[10:11], vcc
	s_cbranch_execz .LBB969_116
; %bb.110:
	s_add_u32 s18, s26, -1
	v_lshl_add_u64 v[30:31], v[30:31], 0, 4
	v_lshl_add_u64 v[32:33], v[32:33], 0, 4
	s_addc_u32 s19, s27, -1
	s_mov_b64 s[36:37], 0
	s_mov_b64 s[40:41], 0
                                        ; implicit-def: $sgpr38_sgpr39
	s_branch .LBB969_113
.LBB969_111:                            ;   in Loop: Header=BB969_113 Depth=1
	global_load_dword v34, v[32:33], off
	global_load_dword v35, v[30:31], off
	s_add_u32 s40, s40, 1
	s_addc_u32 s41, s41, 0
	s_andn2_b64 s[38:39], s[38:39], exec
	v_lshl_add_u64 v[30:31], v[30:31], 0, 4
	v_lshl_add_u64 v[32:33], v[32:33], 0, 4
	s_waitcnt vmcnt(0)
	v_cmp_neq_f32_e32 vcc, v34, v35
	s_and_b64 s[42:43], vcc, exec
	s_or_b64 s[38:39], s[38:39], s[42:43]
.LBB969_112:                            ;   in Loop: Header=BB969_113 Depth=1
	s_and_b64 s[42:43], exec, s[38:39]
	s_or_b64 s[36:37], s[42:43], s[36:37]
	v_mov_b64_e32 v[34:35], s[40:41]
	s_andn2_b64 exec, exec, s[36:37]
	s_cbranch_execz .LBB969_115
.LBB969_113:                            ; =>This Inner Loop Header: Depth=1
	s_or_b64 s[38:39], s[38:39], exec
	s_cmp_eq_u64 s[18:19], s[40:41]
	s_cbranch_scc0 .LBB969_111
; %bb.114:                              ;   in Loop: Header=BB969_113 Depth=1
                                        ; implicit-def: $vgpr30_vgpr31
                                        ; implicit-def: $vgpr32_vgpr33
	s_mov_b64 s[40:41], s[26:27]
	s_branch .LBB969_112
.LBB969_115:
	s_or_b64 exec, exec, s[36:37]
	v_cmp_gt_i64_e32 vcc, s[26:27], v[34:35]
	s_orn2_b64 s[18:19], vcc, exec
.LBB969_116:
	s_or_b64 exec, exec, s[10:11]
.LBB969_117:
	s_and_b64 s[10:11], s[18:19], exec
.LBB969_118:
	s_or_b64 exec, exec, s[14:15]
	v_cmp_gt_u32_e32 vcc, s3, v43
	s_and_saveexec_b64 s[14:15], vcc
	s_cbranch_execz .LBB969_129
; %bb.119:
	s_and_b64 vcc, exec, s[4:5]
	s_mov_b64 s[18:19], 0
	s_cbranch_vccnz .LBB969_128
; %bb.120:
	s_waitcnt lgkmcnt(0)
	v_mul_lo_u32 v32, v15, s26
	v_mul_lo_u32 v33, v14, s27
	v_mad_u64_u32 v[30:31], s[12:13], v14, s26, 0
	v_add3_u32 v31, v31, v33, v32
	v_mul_lo_u32 v32, v17, s26
	v_mul_lo_u32 v33, v16, s27
	v_mad_u64_u32 v[34:35], s[12:13], v16, s26, 0
	v_add3_u32 v35, v35, v33, v32
	v_lshl_add_u64 v[32:33], v[30:31], 2, s[28:29]
	v_lshl_add_u64 v[30:31], v[34:35], 2, s[28:29]
	global_load_dword v34, v[32:33], off
	global_load_dword v35, v[30:31], off
	s_mov_b64 s[18:19], -1
	s_waitcnt vmcnt(0)
	v_cmp_eq_f32_e32 vcc, v34, v35
	s_and_saveexec_b64 s[12:13], vcc
	s_cbranch_execz .LBB969_127
; %bb.121:
	s_add_u32 s18, s26, -1
	v_lshl_add_u64 v[30:31], v[30:31], 0, 4
	v_lshl_add_u64 v[32:33], v[32:33], 0, 4
	s_addc_u32 s19, s27, -1
	s_mov_b64 s[36:37], 0
	s_mov_b64 s[40:41], 0
                                        ; implicit-def: $sgpr38_sgpr39
	s_branch .LBB969_124
.LBB969_122:                            ;   in Loop: Header=BB969_124 Depth=1
	global_load_dword v34, v[32:33], off
	global_load_dword v35, v[30:31], off
	s_add_u32 s40, s40, 1
	s_addc_u32 s41, s41, 0
	s_andn2_b64 s[38:39], s[38:39], exec
	v_lshl_add_u64 v[30:31], v[30:31], 0, 4
	v_lshl_add_u64 v[32:33], v[32:33], 0, 4
	s_waitcnt vmcnt(0)
	v_cmp_neq_f32_e32 vcc, v34, v35
	s_and_b64 s[42:43], vcc, exec
	s_or_b64 s[38:39], s[38:39], s[42:43]
.LBB969_123:                            ;   in Loop: Header=BB969_124 Depth=1
	s_and_b64 s[42:43], exec, s[38:39]
	s_or_b64 s[36:37], s[42:43], s[36:37]
	v_mov_b64_e32 v[34:35], s[40:41]
	s_andn2_b64 exec, exec, s[36:37]
	s_cbranch_execz .LBB969_126
.LBB969_124:                            ; =>This Inner Loop Header: Depth=1
	s_or_b64 s[38:39], s[38:39], exec
	s_cmp_eq_u64 s[18:19], s[40:41]
	s_cbranch_scc0 .LBB969_122
; %bb.125:                              ;   in Loop: Header=BB969_124 Depth=1
                                        ; implicit-def: $vgpr30_vgpr31
                                        ; implicit-def: $vgpr32_vgpr33
	s_mov_b64 s[40:41], s[26:27]
	s_branch .LBB969_123
.LBB969_126:
	s_or_b64 exec, exec, s[36:37]
	v_cmp_gt_i64_e32 vcc, s[26:27], v[34:35]
	s_orn2_b64 s[18:19], vcc, exec
.LBB969_127:
	s_or_b64 exec, exec, s[12:13]
.LBB969_128:
	s_and_b64 s[12:13], s[18:19], exec
.LBB969_129:
	s_or_b64 exec, exec, s[14:15]
	v_cmp_gt_u32_e32 vcc, s3, v39
	s_mov_b64 s[18:19], 0
	s_mov_b64 s[14:15], 0
	s_and_saveexec_b64 s[36:37], vcc
	s_cbranch_execz .LBB969_140
; %bb.130:
	s_and_b64 vcc, exec, s[4:5]
	s_mov_b64 s[38:39], 0
	s_cbranch_vccnz .LBB969_139
; %bb.131:
	s_waitcnt lgkmcnt(0)
	v_mul_lo_u32 v32, v21, s26
	v_mul_lo_u32 v33, v20, s27
	v_mad_u64_u32 v[30:31], s[14:15], v20, s26, 0
	v_add3_u32 v31, v31, v33, v32
	v_mul_lo_u32 v32, v15, s26
	v_mul_lo_u32 v33, v14, s27
	v_mad_u64_u32 v[34:35], s[14:15], v14, s26, 0
	v_add3_u32 v35, v35, v33, v32
	v_lshl_add_u64 v[32:33], v[30:31], 2, s[28:29]
	v_lshl_add_u64 v[30:31], v[34:35], 2, s[28:29]
	global_load_dword v34, v[32:33], off
	global_load_dword v35, v[30:31], off
	s_mov_b64 s[38:39], -1
	s_waitcnt vmcnt(0)
	v_cmp_eq_f32_e32 vcc, v34, v35
	s_and_saveexec_b64 s[14:15], vcc
	s_cbranch_execz .LBB969_138
; %bb.132:
	s_add_u32 s38, s26, -1
	v_lshl_add_u64 v[30:31], v[30:31], 0, 4
	v_lshl_add_u64 v[32:33], v[32:33], 0, 4
	s_addc_u32 s39, s27, -1
	s_mov_b64 s[40:41], 0
	s_mov_b64 s[44:45], 0
                                        ; implicit-def: $sgpr42_sgpr43
	s_branch .LBB969_135
.LBB969_133:                            ;   in Loop: Header=BB969_135 Depth=1
	global_load_dword v34, v[32:33], off
	global_load_dword v35, v[30:31], off
	s_add_u32 s44, s44, 1
	s_addc_u32 s45, s45, 0
	s_andn2_b64 s[42:43], s[42:43], exec
	v_lshl_add_u64 v[30:31], v[30:31], 0, 4
	v_lshl_add_u64 v[32:33], v[32:33], 0, 4
	s_waitcnt vmcnt(0)
	v_cmp_neq_f32_e32 vcc, v34, v35
	s_and_b64 s[46:47], vcc, exec
	s_or_b64 s[42:43], s[42:43], s[46:47]
.LBB969_134:                            ;   in Loop: Header=BB969_135 Depth=1
	s_and_b64 s[46:47], exec, s[42:43]
	s_or_b64 s[40:41], s[46:47], s[40:41]
	v_mov_b64_e32 v[34:35], s[44:45]
	s_andn2_b64 exec, exec, s[40:41]
	s_cbranch_execz .LBB969_137
.LBB969_135:                            ; =>This Inner Loop Header: Depth=1
	s_or_b64 s[42:43], s[42:43], exec
	s_cmp_eq_u64 s[38:39], s[44:45]
	s_cbranch_scc0 .LBB969_133
; %bb.136:                              ;   in Loop: Header=BB969_135 Depth=1
                                        ; implicit-def: $vgpr30_vgpr31
                                        ; implicit-def: $vgpr32_vgpr33
	s_mov_b64 s[44:45], s[26:27]
	s_branch .LBB969_134
.LBB969_137:
	s_or_b64 exec, exec, s[40:41]
	v_cmp_gt_i64_e32 vcc, s[26:27], v[34:35]
	s_orn2_b64 s[38:39], vcc, exec
.LBB969_138:
	s_or_b64 exec, exec, s[14:15]
.LBB969_139:
	s_and_b64 s[14:15], s[38:39], exec
.LBB969_140:
	s_or_b64 exec, exec, s[36:37]
	v_cmp_gt_u32_e32 vcc, s3, v42
	s_and_saveexec_b64 s[36:37], vcc
	s_cbranch_execz .LBB969_151
; %bb.141:
	s_and_b64 vcc, exec, s[4:5]
	s_mov_b64 s[38:39], 0
	s_cbranch_vccnz .LBB969_150
; %bb.142:
	s_waitcnt lgkmcnt(0)
	v_mul_lo_u32 v32, v19, s26
	v_mul_lo_u32 v33, v18, s27
	v_mad_u64_u32 v[30:31], s[18:19], v18, s26, 0
	v_add3_u32 v31, v31, v33, v32
	v_mul_lo_u32 v32, v21, s26
	v_mul_lo_u32 v33, v20, s27
	v_mad_u64_u32 v[34:35], s[18:19], v20, s26, 0
	v_add3_u32 v35, v35, v33, v32
	v_lshl_add_u64 v[32:33], v[30:31], 2, s[28:29]
	v_lshl_add_u64 v[30:31], v[34:35], 2, s[28:29]
	global_load_dword v34, v[32:33], off
	global_load_dword v35, v[30:31], off
	s_mov_b64 s[38:39], -1
	s_waitcnt vmcnt(0)
	v_cmp_eq_f32_e32 vcc, v34, v35
	s_and_saveexec_b64 s[18:19], vcc
	s_cbranch_execz .LBB969_149
; %bb.143:
	s_add_u32 s38, s26, -1
	v_lshl_add_u64 v[30:31], v[30:31], 0, 4
	v_lshl_add_u64 v[32:33], v[32:33], 0, 4
	s_addc_u32 s39, s27, -1
	s_mov_b64 s[40:41], 0
	s_mov_b64 s[44:45], 0
                                        ; implicit-def: $sgpr42_sgpr43
	s_branch .LBB969_146
.LBB969_144:                            ;   in Loop: Header=BB969_146 Depth=1
	global_load_dword v34, v[32:33], off
	global_load_dword v35, v[30:31], off
	s_add_u32 s44, s44, 1
	s_addc_u32 s45, s45, 0
	s_andn2_b64 s[42:43], s[42:43], exec
	v_lshl_add_u64 v[30:31], v[30:31], 0, 4
	v_lshl_add_u64 v[32:33], v[32:33], 0, 4
	s_waitcnt vmcnt(0)
	v_cmp_neq_f32_e32 vcc, v34, v35
	s_and_b64 s[46:47], vcc, exec
	s_or_b64 s[42:43], s[42:43], s[46:47]
.LBB969_145:                            ;   in Loop: Header=BB969_146 Depth=1
	s_and_b64 s[46:47], exec, s[42:43]
	s_or_b64 s[40:41], s[46:47], s[40:41]
	v_mov_b64_e32 v[34:35], s[44:45]
	s_andn2_b64 exec, exec, s[40:41]
	s_cbranch_execz .LBB969_148
.LBB969_146:                            ; =>This Inner Loop Header: Depth=1
	s_or_b64 s[42:43], s[42:43], exec
	s_cmp_eq_u64 s[38:39], s[44:45]
	s_cbranch_scc0 .LBB969_144
; %bb.147:                              ;   in Loop: Header=BB969_146 Depth=1
                                        ; implicit-def: $vgpr30_vgpr31
                                        ; implicit-def: $vgpr32_vgpr33
	s_mov_b64 s[44:45], s[26:27]
	s_branch .LBB969_145
.LBB969_148:
	s_or_b64 exec, exec, s[40:41]
	v_cmp_gt_i64_e32 vcc, s[26:27], v[34:35]
	s_orn2_b64 s[38:39], vcc, exec
.LBB969_149:
	s_or_b64 exec, exec, s[18:19]
.LBB969_150:
	s_and_b64 s[18:19], s[38:39], exec
.LBB969_151:
	s_or_b64 exec, exec, s[36:37]
	v_cmp_gt_u32_e32 vcc, s3, v38
	s_mov_b64 s[36:37], 0
	s_mov_b64 s[38:39], 0
	s_and_saveexec_b64 s[40:41], vcc
	s_cbranch_execz .LBB969_162
; %bb.152:
	s_and_b64 vcc, exec, s[4:5]
	s_mov_b64 s[42:43], 0
	s_cbranch_vccnz .LBB969_161
; %bb.153:
	s_waitcnt lgkmcnt(0)
	v_mul_lo_u32 v32, v25, s26
	v_mul_lo_u32 v33, v24, s27
	v_mad_u64_u32 v[30:31], s[38:39], v24, s26, 0
	v_add3_u32 v31, v31, v33, v32
	v_mul_lo_u32 v32, v19, s26
	v_mul_lo_u32 v33, v18, s27
	v_mad_u64_u32 v[34:35], s[38:39], v18, s26, 0
	v_add3_u32 v35, v35, v33, v32
	v_lshl_add_u64 v[32:33], v[30:31], 2, s[28:29]
	v_lshl_add_u64 v[30:31], v[34:35], 2, s[28:29]
	global_load_dword v34, v[32:33], off
	global_load_dword v35, v[30:31], off
	s_mov_b64 s[42:43], -1
	s_waitcnt vmcnt(0)
	v_cmp_eq_f32_e32 vcc, v34, v35
	s_and_saveexec_b64 s[38:39], vcc
	s_cbranch_execz .LBB969_160
; %bb.154:
	s_add_u32 s42, s26, -1
	v_lshl_add_u64 v[30:31], v[30:31], 0, 4
	v_lshl_add_u64 v[32:33], v[32:33], 0, 4
	s_addc_u32 s43, s27, -1
	s_mov_b64 s[44:45], 0
	s_mov_b64 s[48:49], 0
                                        ; implicit-def: $sgpr46_sgpr47
	s_branch .LBB969_157
.LBB969_155:                            ;   in Loop: Header=BB969_157 Depth=1
	global_load_dword v34, v[32:33], off
	global_load_dword v35, v[30:31], off
	s_add_u32 s48, s48, 1
	s_addc_u32 s49, s49, 0
	s_andn2_b64 s[46:47], s[46:47], exec
	v_lshl_add_u64 v[30:31], v[30:31], 0, 4
	v_lshl_add_u64 v[32:33], v[32:33], 0, 4
	s_waitcnt vmcnt(0)
	v_cmp_neq_f32_e32 vcc, v34, v35
	s_and_b64 s[50:51], vcc, exec
	s_or_b64 s[46:47], s[46:47], s[50:51]
.LBB969_156:                            ;   in Loop: Header=BB969_157 Depth=1
	s_and_b64 s[50:51], exec, s[46:47]
	s_or_b64 s[44:45], s[50:51], s[44:45]
	v_mov_b64_e32 v[34:35], s[48:49]
	s_andn2_b64 exec, exec, s[44:45]
	s_cbranch_execz .LBB969_159
.LBB969_157:                            ; =>This Inner Loop Header: Depth=1
	s_or_b64 s[46:47], s[46:47], exec
	s_cmp_eq_u64 s[42:43], s[48:49]
	s_cbranch_scc0 .LBB969_155
; %bb.158:                              ;   in Loop: Header=BB969_157 Depth=1
                                        ; implicit-def: $vgpr30_vgpr31
                                        ; implicit-def: $vgpr32_vgpr33
	s_mov_b64 s[48:49], s[26:27]
	s_branch .LBB969_156
.LBB969_159:
	s_or_b64 exec, exec, s[44:45]
	v_cmp_gt_i64_e32 vcc, s[26:27], v[34:35]
	s_orn2_b64 s[42:43], vcc, exec
.LBB969_160:
	s_or_b64 exec, exec, s[38:39]
.LBB969_161:
	s_and_b64 s[38:39], s[42:43], exec
.LBB969_162:
	s_or_b64 exec, exec, s[40:41]
	v_cmp_gt_u32_e32 vcc, s3, v41
	s_and_saveexec_b64 s[40:41], vcc
	s_cbranch_execz .LBB969_173
; %bb.163:
	s_and_b64 vcc, exec, s[4:5]
	s_mov_b64 s[42:43], 0
	s_cbranch_vccnz .LBB969_172
; %bb.164:
	s_waitcnt lgkmcnt(0)
	v_mul_lo_u32 v32, v23, s26
	v_mul_lo_u32 v33, v22, s27
	v_mad_u64_u32 v[30:31], s[36:37], v22, s26, 0
	v_add3_u32 v31, v31, v33, v32
	v_mul_lo_u32 v32, v25, s26
	v_mul_lo_u32 v33, v24, s27
	v_mad_u64_u32 v[34:35], s[36:37], v24, s26, 0
	v_add3_u32 v35, v35, v33, v32
	v_lshl_add_u64 v[32:33], v[30:31], 2, s[28:29]
	v_lshl_add_u64 v[30:31], v[34:35], 2, s[28:29]
	global_load_dword v34, v[32:33], off
	global_load_dword v35, v[30:31], off
	s_mov_b64 s[42:43], -1
	s_waitcnt vmcnt(0)
	v_cmp_eq_f32_e32 vcc, v34, v35
	s_and_saveexec_b64 s[36:37], vcc
	s_cbranch_execz .LBB969_171
; %bb.165:
	s_add_u32 s42, s26, -1
	v_lshl_add_u64 v[30:31], v[30:31], 0, 4
	v_lshl_add_u64 v[32:33], v[32:33], 0, 4
	s_addc_u32 s43, s27, -1
	s_mov_b64 s[44:45], 0
	s_mov_b64 s[48:49], 0
                                        ; implicit-def: $sgpr46_sgpr47
	s_branch .LBB969_168
.LBB969_166:                            ;   in Loop: Header=BB969_168 Depth=1
	global_load_dword v34, v[32:33], off
	global_load_dword v35, v[30:31], off
	s_add_u32 s48, s48, 1
	s_addc_u32 s49, s49, 0
	s_andn2_b64 s[46:47], s[46:47], exec
	v_lshl_add_u64 v[30:31], v[30:31], 0, 4
	v_lshl_add_u64 v[32:33], v[32:33], 0, 4
	s_waitcnt vmcnt(0)
	v_cmp_neq_f32_e32 vcc, v34, v35
	s_and_b64 s[50:51], vcc, exec
	s_or_b64 s[46:47], s[46:47], s[50:51]
.LBB969_167:                            ;   in Loop: Header=BB969_168 Depth=1
	s_and_b64 s[50:51], exec, s[46:47]
	s_or_b64 s[44:45], s[50:51], s[44:45]
	v_mov_b64_e32 v[34:35], s[48:49]
	s_andn2_b64 exec, exec, s[44:45]
	s_cbranch_execz .LBB969_170
.LBB969_168:                            ; =>This Inner Loop Header: Depth=1
	s_or_b64 s[46:47], s[46:47], exec
	s_cmp_eq_u64 s[42:43], s[48:49]
	s_cbranch_scc0 .LBB969_166
; %bb.169:                              ;   in Loop: Header=BB969_168 Depth=1
                                        ; implicit-def: $vgpr30_vgpr31
                                        ; implicit-def: $vgpr32_vgpr33
	s_mov_b64 s[48:49], s[26:27]
	s_branch .LBB969_167
.LBB969_170:
	s_or_b64 exec, exec, s[44:45]
	v_cmp_gt_i64_e32 vcc, s[26:27], v[34:35]
	s_orn2_b64 s[42:43], vcc, exec
.LBB969_171:
	s_or_b64 exec, exec, s[36:37]
.LBB969_172:
	s_and_b64 s[36:37], s[42:43], exec
.LBB969_173:
	s_or_b64 exec, exec, s[40:41]
	v_cmp_ne_u32_e32 vcc, 0, v0
	s_waitcnt lgkmcnt(0)
	v_mov_b64_e32 v[30:31], s[6:7]
	s_barrier
	s_and_saveexec_b64 s[6:7], vcc
	s_cbranch_execz .LBB969_175
; %bb.174:
	v_add_u32_e32 v30, -8, v45
	ds_read_b64 v[30:31], v30
.LBB969_175:
	s_or_b64 exec, exec, s[6:7]
	v_cndmask_b32_e64 v33, 0, 1, s[18:19]
	v_cndmask_b32_e64 v32, 0, 1, s[38:39]
	;; [unrolled: 1-line block ×3, first 2 shown]
	v_lshlrev_b16_e32 v33, 8, v33
	v_cmp_gt_u32_e32 vcc, s3, v1
	v_lshlrev_b16_e32 v36, 8, v34
	v_or_b32_sdwa v37, v32, v33 dst_sel:WORD_1 dst_unused:UNUSED_PAD src0_sel:DWORD src1_sel:DWORD
	s_mov_b64 s[18:19], 0
	s_and_saveexec_b64 s[6:7], vcc
	s_cbranch_execz .LBB969_186
; %bb.176:
	s_and_b64 vcc, exec, s[4:5]
	s_cbranch_vccnz .LBB969_185
; %bb.177:
	s_waitcnt lgkmcnt(0)
	v_mul_lo_u32 v32, v31, s26
	v_mul_lo_u32 v33, v30, s27
	v_mad_u64_u32 v[30:31], s[4:5], v30, s26, 0
	v_add3_u32 v31, v31, v33, v32
	v_mul_lo_u32 v32, v23, s26
	v_mul_lo_u32 v33, v22, s27
	v_mad_u64_u32 v[34:35], s[4:5], v22, s26, 0
	v_add3_u32 v35, v35, v33, v32
	v_lshl_add_u64 v[32:33], v[30:31], 2, s[28:29]
	v_lshl_add_u64 v[30:31], v[34:35], 2, s[28:29]
	global_load_dword v34, v[32:33], off
	global_load_dword v35, v[30:31], off
	s_mov_b64 s[18:19], -1
	s_waitcnt vmcnt(0)
	v_cmp_eq_f32_e32 vcc, v34, v35
	s_and_saveexec_b64 s[4:5], vcc
	s_cbranch_execz .LBB969_184
; %bb.178:
	s_add_u32 s18, s26, -1
	v_lshl_add_u64 v[30:31], v[30:31], 0, 4
	v_lshl_add_u64 v[32:33], v[32:33], 0, 4
	s_addc_u32 s19, s27, -1
	s_mov_b64 s[36:37], 0
	s_mov_b64 s[40:41], 0
                                        ; implicit-def: $sgpr38_sgpr39
	s_branch .LBB969_181
.LBB969_179:                            ;   in Loop: Header=BB969_181 Depth=1
	global_load_dword v34, v[32:33], off
	global_load_dword v35, v[30:31], off
	s_add_u32 s40, s40, 1
	s_addc_u32 s41, s41, 0
	s_andn2_b64 s[38:39], s[38:39], exec
	v_lshl_add_u64 v[30:31], v[30:31], 0, 4
	v_lshl_add_u64 v[32:33], v[32:33], 0, 4
	s_waitcnt vmcnt(0)
	v_cmp_neq_f32_e32 vcc, v34, v35
	s_and_b64 s[42:43], vcc, exec
	s_or_b64 s[38:39], s[38:39], s[42:43]
.LBB969_180:                            ;   in Loop: Header=BB969_181 Depth=1
	s_and_b64 s[42:43], exec, s[38:39]
	s_or_b64 s[36:37], s[42:43], s[36:37]
	v_mov_b64_e32 v[34:35], s[40:41]
	s_andn2_b64 exec, exec, s[36:37]
	s_cbranch_execz .LBB969_183
.LBB969_181:                            ; =>This Inner Loop Header: Depth=1
	s_or_b64 s[38:39], s[38:39], exec
	s_cmp_eq_u64 s[18:19], s[40:41]
	s_cbranch_scc0 .LBB969_179
; %bb.182:                              ;   in Loop: Header=BB969_181 Depth=1
                                        ; implicit-def: $vgpr30_vgpr31
                                        ; implicit-def: $vgpr32_vgpr33
	s_mov_b64 s[40:41], s[26:27]
	s_branch .LBB969_180
.LBB969_183:
	s_or_b64 exec, exec, s[36:37]
	v_cmp_gt_i64_e32 vcc, s[26:27], v[34:35]
	s_orn2_b64 s[18:19], vcc, exec
.LBB969_184:
	s_or_b64 exec, exec, s[4:5]
.LBB969_185:
	s_and_b64 s[18:19], s[18:19], exec
.LBB969_186:
	s_or_b64 exec, exec, s[6:7]
	v_cndmask_b32_e64 v46, 0, 1, s[14:15]
	v_cndmask_b32_e64 v47, 0, 1, s[12:13]
	;; [unrolled: 1-line block ×3, first 2 shown]
	v_or_b32_e32 v34, v36, v37
.LBB969_187:
	s_mov_b64 s[10:11], -1
	s_cbranch_execnz .LBB969_46
.LBB969_188:
	s_movk_i32 s4, 0xffd0
	v_mad_i32_i24 v44, v0, s4, v44
	s_mov_b64 s[12:13], 0
	s_waitcnt lgkmcnt(0)
	v_cmp_gt_i64_e64 s[6:7], s[26:27], 0
	s_and_b64 vcc, exec, s[34:35]
	ds_write_b64 v44, v[28:29]
	s_cbranch_vccz .LBB969_196
; %bb.189:
	v_mul_lo_u32 v32, v17, s26
	v_mul_lo_u32 v33, v16, s27
	v_mad_u64_u32 v[30:31], s[4:5], v16, s26, 0
	v_add3_u32 v31, v31, v33, v32
	v_cndmask_b32_e64 v32, 0, 1, s[6:7]
	v_cmp_ne_u32_e64 s[4:5], 1, v32
	s_andn2_b64 vcc, exec, s[6:7]
	v_lshl_add_u64 v[30:31], v[30:31], 2, s[28:29]
	s_cbranch_vccnz .LBB969_199
; %bb.190:
	v_mul_lo_u32 v34, v29, s26
	v_mul_lo_u32 v35, v28, s27
	v_mad_u64_u32 v[32:33], s[12:13], v28, s26, 0
	v_add3_u32 v33, v33, v35, v34
	v_lshl_add_u64 v[32:33], v[32:33], 2, s[28:29]
	global_load_dword v34, v[30:31], off
	global_load_dword v35, v[32:33], off
	s_mov_b64 s[12:13], -1
	s_waitcnt vmcnt(0)
	v_cmp_eq_f32_e32 vcc, v34, v35
	s_and_saveexec_b64 s[14:15], vcc
	s_cbranch_execz .LBB969_198
; %bb.191:
	s_add_u32 s12, s26, -1
	v_lshl_add_u64 v[32:33], v[32:33], 0, 4
	v_lshl_add_u64 v[34:35], v[30:31], 0, 4
	s_addc_u32 s13, s27, -1
	s_mov_b64 s[18:19], 0
	s_mov_b64 s[38:39], 0
                                        ; implicit-def: $sgpr36_sgpr37
	s_branch .LBB969_194
.LBB969_192:                            ;   in Loop: Header=BB969_194 Depth=1
	global_load_dword v36, v[34:35], off
	global_load_dword v37, v[32:33], off
	s_add_u32 s38, s38, 1
	s_addc_u32 s39, s39, 0
	s_andn2_b64 s[36:37], s[36:37], exec
	v_lshl_add_u64 v[32:33], v[32:33], 0, 4
	v_lshl_add_u64 v[34:35], v[34:35], 0, 4
	s_waitcnt vmcnt(0)
	v_cmp_neq_f32_e32 vcc, v36, v37
	s_and_b64 s[40:41], vcc, exec
	s_or_b64 s[36:37], s[36:37], s[40:41]
.LBB969_193:                            ;   in Loop: Header=BB969_194 Depth=1
	s_and_b64 s[40:41], exec, s[36:37]
	s_or_b64 s[18:19], s[40:41], s[18:19]
	v_mov_b64_e32 v[36:37], s[38:39]
	s_andn2_b64 exec, exec, s[18:19]
	s_cbranch_execz .LBB969_197
.LBB969_194:                            ; =>This Inner Loop Header: Depth=1
	s_or_b64 s[36:37], s[36:37], exec
	s_cmp_eq_u64 s[12:13], s[38:39]
	s_cbranch_scc0 .LBB969_192
; %bb.195:                              ;   in Loop: Header=BB969_194 Depth=1
                                        ; implicit-def: $vgpr32_vgpr33
                                        ; implicit-def: $vgpr34_vgpr35
	s_mov_b64 s[38:39], s[26:27]
	s_branch .LBB969_193
.LBB969_196:
                                        ; implicit-def: $sgpr18_sgpr19
                                        ; implicit-def: $vgpr48
                                        ; implicit-def: $vgpr47
                                        ; implicit-def: $vgpr46
                                        ; implicit-def: $vgpr34
                                        ; implicit-def: $vgpr30_vgpr31
	s_cbranch_execnz .LBB969_256
	s_branch .LBB969_336
.LBB969_197:
	s_or_b64 exec, exec, s[18:19]
	v_cmp_gt_i64_e32 vcc, s[26:27], v[36:37]
	s_orn2_b64 s[12:13], vcc, exec
.LBB969_198:
	s_or_b64 exec, exec, s[14:15]
.LBB969_199:
	v_mul_lo_u32 v34, v15, s26
	v_mul_lo_u32 v35, v14, s27
	v_mad_u64_u32 v[32:33], s[14:15], v14, s26, 0
	v_add3_u32 v33, v33, v35, v34
	s_mov_b64 s[14:15], 0
	s_and_b64 vcc, exec, s[4:5]
	v_lshl_add_u64 v[32:33], v[32:33], 2, s[28:29]
	s_mov_b64 s[18:19], 0
	s_cbranch_vccnz .LBB969_208
; %bb.200:
	global_load_dword v34, v[32:33], off
	global_load_dword v35, v[30:31], off
	s_mov_b64 s[18:19], -1
	s_waitcnt vmcnt(0)
	v_cmp_eq_f32_e32 vcc, v34, v35
	s_and_saveexec_b64 s[36:37], vcc
	s_cbranch_execz .LBB969_207
; %bb.201:
	s_add_u32 s18, s26, -1
	v_lshl_add_u64 v[30:31], v[30:31], 0, 4
	v_lshl_add_u64 v[34:35], v[32:33], 0, 4
	s_addc_u32 s19, s27, -1
	s_mov_b64 s[38:39], 0
	s_mov_b64 s[42:43], 0
                                        ; implicit-def: $sgpr40_sgpr41
	s_branch .LBB969_204
.LBB969_202:                            ;   in Loop: Header=BB969_204 Depth=1
	global_load_dword v36, v[34:35], off
	global_load_dword v37, v[30:31], off
	s_add_u32 s42, s42, 1
	s_addc_u32 s43, s43, 0
	s_andn2_b64 s[40:41], s[40:41], exec
	v_lshl_add_u64 v[30:31], v[30:31], 0, 4
	v_lshl_add_u64 v[34:35], v[34:35], 0, 4
	s_waitcnt vmcnt(0)
	v_cmp_neq_f32_e32 vcc, v36, v37
	s_and_b64 s[44:45], vcc, exec
	s_or_b64 s[40:41], s[40:41], s[44:45]
.LBB969_203:                            ;   in Loop: Header=BB969_204 Depth=1
	s_and_b64 s[44:45], exec, s[40:41]
	s_or_b64 s[38:39], s[44:45], s[38:39]
	v_mov_b64_e32 v[36:37], s[42:43]
	s_andn2_b64 exec, exec, s[38:39]
	s_cbranch_execz .LBB969_206
.LBB969_204:                            ; =>This Inner Loop Header: Depth=1
	s_or_b64 s[40:41], s[40:41], exec
	s_cmp_eq_u64 s[18:19], s[42:43]
	s_cbranch_scc0 .LBB969_202
; %bb.205:                              ;   in Loop: Header=BB969_204 Depth=1
                                        ; implicit-def: $vgpr30_vgpr31
                                        ; implicit-def: $vgpr34_vgpr35
	s_mov_b64 s[42:43], s[26:27]
	s_branch .LBB969_203
.LBB969_206:
	s_or_b64 exec, exec, s[38:39]
	v_cmp_gt_i64_e32 vcc, s[26:27], v[36:37]
	s_orn2_b64 s[18:19], vcc, exec
.LBB969_207:
	s_or_b64 exec, exec, s[36:37]
.LBB969_208:
	v_mul_lo_u32 v34, v21, s26
	v_mul_lo_u32 v35, v20, s27
	v_mad_u64_u32 v[30:31], s[36:37], v20, s26, 0
	v_add3_u32 v31, v31, v35, v34
	s_and_b64 vcc, exec, s[4:5]
	v_lshl_add_u64 v[30:31], v[30:31], 2, s[28:29]
	s_cbranch_vccnz .LBB969_217
; %bb.209:
	global_load_dword v34, v[30:31], off
	global_load_dword v35, v[32:33], off
	s_mov_b64 s[14:15], -1
	s_waitcnt vmcnt(0)
	v_cmp_eq_f32_e32 vcc, v34, v35
	s_and_saveexec_b64 s[36:37], vcc
	s_cbranch_execz .LBB969_216
; %bb.210:
	s_add_u32 s14, s26, -1
	v_lshl_add_u64 v[32:33], v[32:33], 0, 4
	v_lshl_add_u64 v[34:35], v[30:31], 0, 4
	s_addc_u32 s15, s27, -1
	s_mov_b64 s[38:39], 0
	s_mov_b64 s[42:43], 0
                                        ; implicit-def: $sgpr40_sgpr41
	s_branch .LBB969_213
.LBB969_211:                            ;   in Loop: Header=BB969_213 Depth=1
	global_load_dword v36, v[34:35], off
	global_load_dword v37, v[32:33], off
	s_add_u32 s42, s42, 1
	s_addc_u32 s43, s43, 0
	s_andn2_b64 s[40:41], s[40:41], exec
	v_lshl_add_u64 v[32:33], v[32:33], 0, 4
	v_lshl_add_u64 v[34:35], v[34:35], 0, 4
	s_waitcnt vmcnt(0)
	v_cmp_neq_f32_e32 vcc, v36, v37
	s_and_b64 s[44:45], vcc, exec
	s_or_b64 s[40:41], s[40:41], s[44:45]
.LBB969_212:                            ;   in Loop: Header=BB969_213 Depth=1
	s_and_b64 s[44:45], exec, s[40:41]
	s_or_b64 s[38:39], s[44:45], s[38:39]
	v_mov_b64_e32 v[36:37], s[42:43]
	s_andn2_b64 exec, exec, s[38:39]
	s_cbranch_execz .LBB969_215
.LBB969_213:                            ; =>This Inner Loop Header: Depth=1
	s_or_b64 s[40:41], s[40:41], exec
	s_cmp_eq_u64 s[14:15], s[42:43]
	s_cbranch_scc0 .LBB969_211
; %bb.214:                              ;   in Loop: Header=BB969_213 Depth=1
                                        ; implicit-def: $vgpr32_vgpr33
                                        ; implicit-def: $vgpr34_vgpr35
	s_mov_b64 s[42:43], s[26:27]
	s_branch .LBB969_212
.LBB969_215:
	s_or_b64 exec, exec, s[38:39]
	v_cmp_gt_i64_e32 vcc, s[26:27], v[36:37]
	s_orn2_b64 s[14:15], vcc, exec
.LBB969_216:
	s_or_b64 exec, exec, s[36:37]
.LBB969_217:
	v_mul_lo_u32 v34, v19, s26
	v_mul_lo_u32 v35, v18, s27
	v_mad_u64_u32 v[32:33], s[36:37], v18, s26, 0
	v_add3_u32 v33, v33, v35, v34
	s_mov_b64 s[36:37], 0
	s_and_b64 vcc, exec, s[4:5]
	v_lshl_add_u64 v[32:33], v[32:33], 2, s[28:29]
	s_mov_b64 s[38:39], 0
	s_cbranch_vccnz .LBB969_226
; %bb.218:
	global_load_dword v34, v[32:33], off
	global_load_dword v35, v[30:31], off
	s_mov_b64 s[38:39], -1
	s_waitcnt vmcnt(0)
	v_cmp_eq_f32_e32 vcc, v34, v35
	s_and_saveexec_b64 s[40:41], vcc
	s_cbranch_execz .LBB969_225
; %bb.219:
	s_add_u32 s38, s26, -1
	v_lshl_add_u64 v[30:31], v[30:31], 0, 4
	v_lshl_add_u64 v[34:35], v[32:33], 0, 4
	s_addc_u32 s39, s27, -1
	s_mov_b64 s[42:43], 0
	s_mov_b64 s[46:47], 0
                                        ; implicit-def: $sgpr44_sgpr45
	s_branch .LBB969_222
.LBB969_220:                            ;   in Loop: Header=BB969_222 Depth=1
	global_load_dword v36, v[34:35], off
	global_load_dword v37, v[30:31], off
	s_add_u32 s46, s46, 1
	s_addc_u32 s47, s47, 0
	s_andn2_b64 s[44:45], s[44:45], exec
	v_lshl_add_u64 v[30:31], v[30:31], 0, 4
	v_lshl_add_u64 v[34:35], v[34:35], 0, 4
	s_waitcnt vmcnt(0)
	v_cmp_neq_f32_e32 vcc, v36, v37
	s_and_b64 s[48:49], vcc, exec
	s_or_b64 s[44:45], s[44:45], s[48:49]
.LBB969_221:                            ;   in Loop: Header=BB969_222 Depth=1
	s_and_b64 s[48:49], exec, s[44:45]
	s_or_b64 s[42:43], s[48:49], s[42:43]
	v_mov_b64_e32 v[36:37], s[46:47]
	s_andn2_b64 exec, exec, s[42:43]
	s_cbranch_execz .LBB969_224
.LBB969_222:                            ; =>This Inner Loop Header: Depth=1
	s_or_b64 s[44:45], s[44:45], exec
	s_cmp_eq_u64 s[38:39], s[46:47]
	s_cbranch_scc0 .LBB969_220
; %bb.223:                              ;   in Loop: Header=BB969_222 Depth=1
                                        ; implicit-def: $vgpr30_vgpr31
                                        ; implicit-def: $vgpr34_vgpr35
	s_mov_b64 s[46:47], s[26:27]
	s_branch .LBB969_221
.LBB969_224:
	s_or_b64 exec, exec, s[42:43]
	v_cmp_gt_i64_e32 vcc, s[26:27], v[36:37]
	s_orn2_b64 s[38:39], vcc, exec
.LBB969_225:
	s_or_b64 exec, exec, s[40:41]
.LBB969_226:
	v_mul_lo_u32 v34, v25, s26
	v_mul_lo_u32 v35, v24, s27
	v_mad_u64_u32 v[30:31], s[40:41], v24, s26, 0
	v_add3_u32 v31, v31, v35, v34
	s_and_b64 vcc, exec, s[4:5]
	v_lshl_add_u64 v[30:31], v[30:31], 2, s[28:29]
	s_cbranch_vccnz .LBB969_235
; %bb.227:
	global_load_dword v34, v[30:31], off
	global_load_dword v35, v[32:33], off
	s_mov_b64 s[36:37], -1
	s_waitcnt vmcnt(0)
	v_cmp_eq_f32_e32 vcc, v34, v35
	s_and_saveexec_b64 s[40:41], vcc
	s_cbranch_execz .LBB969_234
; %bb.228:
	s_add_u32 s36, s26, -1
	v_lshl_add_u64 v[32:33], v[32:33], 0, 4
	v_lshl_add_u64 v[34:35], v[30:31], 0, 4
	s_addc_u32 s37, s27, -1
	s_mov_b64 s[42:43], 0
	s_mov_b64 s[46:47], 0
                                        ; implicit-def: $sgpr44_sgpr45
	s_branch .LBB969_231
.LBB969_229:                            ;   in Loop: Header=BB969_231 Depth=1
	global_load_dword v36, v[34:35], off
	global_load_dword v37, v[32:33], off
	s_add_u32 s46, s46, 1
	s_addc_u32 s47, s47, 0
	s_andn2_b64 s[44:45], s[44:45], exec
	v_lshl_add_u64 v[32:33], v[32:33], 0, 4
	v_lshl_add_u64 v[34:35], v[34:35], 0, 4
	s_waitcnt vmcnt(0)
	v_cmp_neq_f32_e32 vcc, v36, v37
	s_and_b64 s[48:49], vcc, exec
	s_or_b64 s[44:45], s[44:45], s[48:49]
.LBB969_230:                            ;   in Loop: Header=BB969_231 Depth=1
	s_and_b64 s[48:49], exec, s[44:45]
	s_or_b64 s[42:43], s[48:49], s[42:43]
	v_mov_b64_e32 v[36:37], s[46:47]
	s_andn2_b64 exec, exec, s[42:43]
	s_cbranch_execz .LBB969_233
.LBB969_231:                            ; =>This Inner Loop Header: Depth=1
	s_or_b64 s[44:45], s[44:45], exec
	s_cmp_eq_u64 s[36:37], s[46:47]
	s_cbranch_scc0 .LBB969_229
; %bb.232:                              ;   in Loop: Header=BB969_231 Depth=1
                                        ; implicit-def: $vgpr32_vgpr33
                                        ; implicit-def: $vgpr34_vgpr35
	s_mov_b64 s[46:47], s[26:27]
	s_branch .LBB969_230
.LBB969_233:
	s_or_b64 exec, exec, s[42:43]
	v_cmp_gt_i64_e32 vcc, s[26:27], v[36:37]
	s_orn2_b64 s[36:37], vcc, exec
.LBB969_234:
	s_or_b64 exec, exec, s[40:41]
.LBB969_235:
	v_mul_lo_u32 v34, v23, s26
	v_mul_lo_u32 v35, v22, s27
	v_mad_u64_u32 v[32:33], s[40:41], v22, s26, 0
	v_add3_u32 v33, v33, v35, v34
	s_and_b64 vcc, exec, s[4:5]
	s_mov_b64 s[42:43], 0
	s_cbranch_vccnz .LBB969_244
; %bb.236:
	v_lshl_add_u64 v[34:35], v[32:33], 2, s[28:29]
	global_load_dword v36, v[34:35], off
	global_load_dword v37, v[30:31], off
	s_mov_b64 s[42:43], -1
	s_waitcnt vmcnt(0)
	v_cmp_eq_f32_e32 vcc, v36, v37
	s_and_saveexec_b64 s[40:41], vcc
	s_cbranch_execz .LBB969_243
; %bb.237:
	s_add_u32 s42, s26, -1
	v_lshl_add_u64 v[30:31], v[30:31], 0, 4
	v_lshl_add_u64 v[34:35], v[34:35], 0, 4
	s_addc_u32 s43, s27, -1
	s_mov_b64 s[44:45], 0
	s_mov_b64 s[48:49], 0
                                        ; implicit-def: $sgpr46_sgpr47
	s_branch .LBB969_240
.LBB969_238:                            ;   in Loop: Header=BB969_240 Depth=1
	global_load_dword v36, v[34:35], off
	global_load_dword v37, v[30:31], off
	s_add_u32 s48, s48, 1
	s_addc_u32 s49, s49, 0
	s_andn2_b64 s[46:47], s[46:47], exec
	v_lshl_add_u64 v[30:31], v[30:31], 0, 4
	v_lshl_add_u64 v[34:35], v[34:35], 0, 4
	s_waitcnt vmcnt(0)
	v_cmp_neq_f32_e32 vcc, v36, v37
	s_and_b64 s[50:51], vcc, exec
	s_or_b64 s[46:47], s[46:47], s[50:51]
.LBB969_239:                            ;   in Loop: Header=BB969_240 Depth=1
	s_and_b64 s[50:51], exec, s[46:47]
	s_or_b64 s[44:45], s[50:51], s[44:45]
	v_mov_b64_e32 v[36:37], s[48:49]
	s_andn2_b64 exec, exec, s[44:45]
	s_cbranch_execz .LBB969_242
.LBB969_240:                            ; =>This Inner Loop Header: Depth=1
	s_or_b64 s[46:47], s[46:47], exec
	s_cmp_eq_u64 s[42:43], s[48:49]
	s_cbranch_scc0 .LBB969_238
; %bb.241:                              ;   in Loop: Header=BB969_240 Depth=1
                                        ; implicit-def: $vgpr30_vgpr31
                                        ; implicit-def: $vgpr34_vgpr35
	s_mov_b64 s[48:49], s[26:27]
	s_branch .LBB969_239
.LBB969_242:
	s_or_b64 exec, exec, s[44:45]
	v_cmp_gt_i64_e32 vcc, s[26:27], v[36:37]
	s_orn2_b64 s[42:43], vcc, exec
.LBB969_243:
	s_or_b64 exec, exec, s[40:41]
.LBB969_244:
	v_cndmask_b32_e64 v31, 0, 1, s[38:39]
	v_cndmask_b32_e64 v30, 0, 1, s[36:37]
	;; [unrolled: 1-line block ×3, first 2 shown]
	v_lshlrev_b16_e32 v31, 8, v31
	v_cndmask_b32_e64 v46, 0, 1, s[14:15]
	v_cndmask_b32_e64 v34, 0, 1, s[42:43]
	v_or_b32_sdwa v30, v30, v31 dst_sel:WORD_1 dst_unused:UNUSED_PAD src0_sel:DWORD src1_sel:DWORD
	v_lshlrev_b16_e32 v31, 8, v47
	v_lshlrev_b16_e32 v34, 8, v34
	v_or_b32_e32 v31, v46, v31
	v_or_b32_e32 v34, 1, v34
	v_and_b32_e32 v31, 0xffff, v31
	v_cndmask_b32_e64 v48, 0, 1, s[12:13]
	v_or_b32_sdwa v30, v34, v30 dst_sel:DWORD dst_unused:UNUSED_PAD src0_sel:WORD_0 src1_sel:DWORD
	v_lshl_or_b32 v31, v48, 16, v31
	v_cmp_ne_u32_e32 vcc, 0, v0
	s_waitcnt lgkmcnt(0)
	s_barrier
	s_waitcnt lgkmcnt(0)
                                        ; implicit-def: $sgpr18_sgpr19
                                        ; implicit-def: $vgpr34
	s_and_saveexec_b64 s[12:13], vcc
	s_xor_b64 s[12:13], exec, s[12:13]
	s_cbranch_execz .LBB969_255
; %bb.245:
	s_mov_b32 s33, 0x3020104
	s_and_b64 vcc, exec, s[4:5]
	s_mov_b64 s[14:15], 0
	s_cbranch_vccnz .LBB969_254
; %bb.246:
	v_add_u32_e32 v31, -8, v44
	ds_read_b64 v[34:35], v31
	v_lshl_add_u64 v[32:33], v[32:33], 2, s[28:29]
	s_mov_b64 s[14:15], -1
	s_waitcnt lgkmcnt(0)
	v_mul_lo_u32 v31, v35, s26
	v_mul_lo_u32 v36, v34, s27
	v_mad_u64_u32 v[34:35], s[4:5], v34, s26, 0
	v_add3_u32 v35, v35, v36, v31
	v_lshl_add_u64 v[34:35], v[34:35], 2, s[28:29]
	global_load_dword v31, v[34:35], off
	global_load_dword v36, v[32:33], off
	s_waitcnt vmcnt(0)
	v_cmp_eq_f32_e32 vcc, v31, v36
	s_and_saveexec_b64 s[4:5], vcc
	s_cbranch_execz .LBB969_253
; %bb.247:
	s_add_u32 s14, s26, -1
	v_lshl_add_u64 v[32:33], v[32:33], 0, 4
	v_lshl_add_u64 v[34:35], v[34:35], 0, 4
	s_addc_u32 s15, s27, -1
	s_mov_b64 s[18:19], 0
	s_mov_b64 s[38:39], 0
                                        ; implicit-def: $sgpr36_sgpr37
	s_branch .LBB969_250
.LBB969_248:                            ;   in Loop: Header=BB969_250 Depth=1
	global_load_dword v31, v[34:35], off
	global_load_dword v36, v[32:33], off
	s_add_u32 s38, s38, 1
	s_addc_u32 s39, s39, 0
	s_andn2_b64 s[36:37], s[36:37], exec
	v_lshl_add_u64 v[32:33], v[32:33], 0, 4
	v_lshl_add_u64 v[34:35], v[34:35], 0, 4
	s_waitcnt vmcnt(0)
	v_cmp_neq_f32_e32 vcc, v31, v36
	s_and_b64 s[40:41], vcc, exec
	s_or_b64 s[36:37], s[36:37], s[40:41]
.LBB969_249:                            ;   in Loop: Header=BB969_250 Depth=1
	s_and_b64 s[40:41], exec, s[36:37]
	s_or_b64 s[18:19], s[40:41], s[18:19]
	v_mov_b64_e32 v[36:37], s[38:39]
	s_andn2_b64 exec, exec, s[18:19]
	s_cbranch_execz .LBB969_252
.LBB969_250:                            ; =>This Inner Loop Header: Depth=1
	s_or_b64 s[36:37], s[36:37], exec
	s_cmp_eq_u64 s[14:15], s[38:39]
	s_cbranch_scc0 .LBB969_248
; %bb.251:                              ;   in Loop: Header=BB969_250 Depth=1
                                        ; implicit-def: $vgpr32_vgpr33
                                        ; implicit-def: $vgpr34_vgpr35
	s_mov_b64 s[38:39], s[26:27]
	s_branch .LBB969_249
.LBB969_252:
	s_or_b64 exec, exec, s[18:19]
	v_cmp_gt_i64_e32 vcc, s[26:27], v[36:37]
	s_orn2_b64 s[14:15], vcc, exec
.LBB969_253:
	s_or_b64 exec, exec, s[4:5]
.LBB969_254:
	v_perm_b32 v34, v30, v30, s33
	s_and_b64 s[18:19], s[14:15], exec
	s_or_b64 s[10:11], s[10:11], exec
                                        ; implicit-def: $vgpr30_vgpr31
.LBB969_255:
	s_or_b64 exec, exec, s[12:13]
	s_branch .LBB969_336
.LBB969_256:
	v_cmp_gt_u32_e32 vcc, s3, v40
	s_mov_b64 s[12:13], 0
	s_mov_b64 s[4:5], 0
	s_and_saveexec_b64 s[14:15], vcc
	s_cbranch_execz .LBB969_267
; %bb.257:
	s_andn2_b64 vcc, exec, s[6:7]
	s_mov_b64 s[18:19], 0
	s_cbranch_vccnz .LBB969_266
; %bb.258:
	v_mul_lo_u32 v32, v17, s26
	v_mul_lo_u32 v33, v16, s27
	v_mad_u64_u32 v[30:31], s[4:5], v16, s26, 0
	v_add3_u32 v31, v31, v33, v32
	v_mul_lo_u32 v32, v29, s26
	v_mul_lo_u32 v33, v28, s27
	v_mad_u64_u32 v[34:35], s[4:5], v28, s26, 0
	v_add3_u32 v35, v35, v33, v32
	v_lshl_add_u64 v[32:33], v[30:31], 2, s[28:29]
	v_lshl_add_u64 v[30:31], v[34:35], 2, s[28:29]
	global_load_dword v34, v[32:33], off
	global_load_dword v35, v[30:31], off
	s_mov_b64 s[18:19], -1
	s_waitcnt vmcnt(0)
	v_cmp_eq_f32_e32 vcc, v34, v35
	s_and_saveexec_b64 s[4:5], vcc
	s_cbranch_execz .LBB969_265
; %bb.259:
	s_add_u32 s18, s26, -1
	v_lshl_add_u64 v[30:31], v[30:31], 0, 4
	v_lshl_add_u64 v[32:33], v[32:33], 0, 4
	s_addc_u32 s19, s27, -1
	s_mov_b64 s[36:37], 0
	s_mov_b64 s[40:41], 0
                                        ; implicit-def: $sgpr38_sgpr39
	s_branch .LBB969_262
.LBB969_260:                            ;   in Loop: Header=BB969_262 Depth=1
	global_load_dword v34, v[32:33], off
	global_load_dword v35, v[30:31], off
	s_add_u32 s40, s40, 1
	s_addc_u32 s41, s41, 0
	s_andn2_b64 s[38:39], s[38:39], exec
	v_lshl_add_u64 v[30:31], v[30:31], 0, 4
	v_lshl_add_u64 v[32:33], v[32:33], 0, 4
	s_waitcnt vmcnt(0)
	v_cmp_neq_f32_e32 vcc, v34, v35
	s_and_b64 s[42:43], vcc, exec
	s_or_b64 s[38:39], s[38:39], s[42:43]
.LBB969_261:                            ;   in Loop: Header=BB969_262 Depth=1
	s_and_b64 s[42:43], exec, s[38:39]
	s_or_b64 s[36:37], s[42:43], s[36:37]
	v_mov_b64_e32 v[34:35], s[40:41]
	s_andn2_b64 exec, exec, s[36:37]
	s_cbranch_execz .LBB969_264
.LBB969_262:                            ; =>This Inner Loop Header: Depth=1
	s_or_b64 s[38:39], s[38:39], exec
	s_cmp_eq_u64 s[18:19], s[40:41]
	s_cbranch_scc0 .LBB969_260
; %bb.263:                              ;   in Loop: Header=BB969_262 Depth=1
                                        ; implicit-def: $vgpr30_vgpr31
                                        ; implicit-def: $vgpr32_vgpr33
	s_mov_b64 s[40:41], s[26:27]
	s_branch .LBB969_261
.LBB969_264:
	s_or_b64 exec, exec, s[36:37]
	v_cmp_gt_i64_e32 vcc, s[26:27], v[34:35]
	s_orn2_b64 s[18:19], vcc, exec
.LBB969_265:
	s_or_b64 exec, exec, s[4:5]
.LBB969_266:
	s_and_b64 s[4:5], s[18:19], exec
.LBB969_267:
	s_or_b64 exec, exec, s[14:15]
	v_cmp_gt_u32_e32 vcc, s3, v43
	s_and_saveexec_b64 s[14:15], vcc
	s_cbranch_execz .LBB969_278
; %bb.268:
	s_andn2_b64 vcc, exec, s[6:7]
	s_mov_b64 s[18:19], 0
	s_cbranch_vccnz .LBB969_277
; %bb.269:
	v_mul_lo_u32 v32, v15, s26
	v_mul_lo_u32 v33, v14, s27
	v_mad_u64_u32 v[30:31], s[12:13], v14, s26, 0
	v_add3_u32 v31, v31, v33, v32
	v_mul_lo_u32 v32, v17, s26
	v_mul_lo_u32 v33, v16, s27
	v_mad_u64_u32 v[34:35], s[12:13], v16, s26, 0
	v_add3_u32 v35, v35, v33, v32
	v_lshl_add_u64 v[32:33], v[30:31], 2, s[28:29]
	v_lshl_add_u64 v[30:31], v[34:35], 2, s[28:29]
	global_load_dword v34, v[32:33], off
	global_load_dword v35, v[30:31], off
	s_mov_b64 s[18:19], -1
	s_waitcnt vmcnt(0)
	v_cmp_eq_f32_e32 vcc, v34, v35
	s_and_saveexec_b64 s[12:13], vcc
	s_cbranch_execz .LBB969_276
; %bb.270:
	s_add_u32 s18, s26, -1
	v_lshl_add_u64 v[30:31], v[30:31], 0, 4
	v_lshl_add_u64 v[32:33], v[32:33], 0, 4
	s_addc_u32 s19, s27, -1
	s_mov_b64 s[36:37], 0
	s_mov_b64 s[40:41], 0
                                        ; implicit-def: $sgpr38_sgpr39
	s_branch .LBB969_273
.LBB969_271:                            ;   in Loop: Header=BB969_273 Depth=1
	global_load_dword v34, v[32:33], off
	global_load_dword v35, v[30:31], off
	s_add_u32 s40, s40, 1
	s_addc_u32 s41, s41, 0
	s_andn2_b64 s[38:39], s[38:39], exec
	v_lshl_add_u64 v[30:31], v[30:31], 0, 4
	v_lshl_add_u64 v[32:33], v[32:33], 0, 4
	s_waitcnt vmcnt(0)
	v_cmp_neq_f32_e32 vcc, v34, v35
	s_and_b64 s[42:43], vcc, exec
	s_or_b64 s[38:39], s[38:39], s[42:43]
.LBB969_272:                            ;   in Loop: Header=BB969_273 Depth=1
	s_and_b64 s[42:43], exec, s[38:39]
	s_or_b64 s[36:37], s[42:43], s[36:37]
	v_mov_b64_e32 v[34:35], s[40:41]
	s_andn2_b64 exec, exec, s[36:37]
	s_cbranch_execz .LBB969_275
.LBB969_273:                            ; =>This Inner Loop Header: Depth=1
	s_or_b64 s[38:39], s[38:39], exec
	s_cmp_eq_u64 s[18:19], s[40:41]
	s_cbranch_scc0 .LBB969_271
; %bb.274:                              ;   in Loop: Header=BB969_273 Depth=1
                                        ; implicit-def: $vgpr30_vgpr31
                                        ; implicit-def: $vgpr32_vgpr33
	s_mov_b64 s[40:41], s[26:27]
	s_branch .LBB969_272
.LBB969_275:
	s_or_b64 exec, exec, s[36:37]
	v_cmp_gt_i64_e32 vcc, s[26:27], v[34:35]
	s_orn2_b64 s[18:19], vcc, exec
.LBB969_276:
	s_or_b64 exec, exec, s[12:13]
.LBB969_277:
	s_and_b64 s[12:13], s[18:19], exec
.LBB969_278:
	s_or_b64 exec, exec, s[14:15]
	v_cmp_gt_u32_e32 vcc, s3, v39
	s_mov_b64 s[18:19], 0
	s_mov_b64 s[14:15], 0
	s_and_saveexec_b64 s[36:37], vcc
	s_cbranch_execz .LBB969_289
; %bb.279:
	s_andn2_b64 vcc, exec, s[6:7]
	s_mov_b64 s[38:39], 0
	s_cbranch_vccnz .LBB969_288
; %bb.280:
	v_mul_lo_u32 v32, v21, s26
	v_mul_lo_u32 v33, v20, s27
	v_mad_u64_u32 v[30:31], s[14:15], v20, s26, 0
	v_add3_u32 v31, v31, v33, v32
	v_mul_lo_u32 v32, v15, s26
	v_mul_lo_u32 v33, v14, s27
	v_mad_u64_u32 v[34:35], s[14:15], v14, s26, 0
	v_add3_u32 v35, v35, v33, v32
	v_lshl_add_u64 v[32:33], v[30:31], 2, s[28:29]
	v_lshl_add_u64 v[30:31], v[34:35], 2, s[28:29]
	global_load_dword v34, v[32:33], off
	global_load_dword v35, v[30:31], off
	s_mov_b64 s[38:39], -1
	s_waitcnt vmcnt(0)
	v_cmp_eq_f32_e32 vcc, v34, v35
	s_and_saveexec_b64 s[14:15], vcc
	s_cbranch_execz .LBB969_287
; %bb.281:
	s_add_u32 s38, s26, -1
	v_lshl_add_u64 v[30:31], v[30:31], 0, 4
	v_lshl_add_u64 v[32:33], v[32:33], 0, 4
	s_addc_u32 s39, s27, -1
	s_mov_b64 s[40:41], 0
	s_mov_b64 s[44:45], 0
                                        ; implicit-def: $sgpr42_sgpr43
	s_branch .LBB969_284
.LBB969_282:                            ;   in Loop: Header=BB969_284 Depth=1
	global_load_dword v34, v[32:33], off
	global_load_dword v35, v[30:31], off
	s_add_u32 s44, s44, 1
	s_addc_u32 s45, s45, 0
	s_andn2_b64 s[42:43], s[42:43], exec
	v_lshl_add_u64 v[30:31], v[30:31], 0, 4
	v_lshl_add_u64 v[32:33], v[32:33], 0, 4
	s_waitcnt vmcnt(0)
	v_cmp_neq_f32_e32 vcc, v34, v35
	s_and_b64 s[46:47], vcc, exec
	s_or_b64 s[42:43], s[42:43], s[46:47]
.LBB969_283:                            ;   in Loop: Header=BB969_284 Depth=1
	s_and_b64 s[46:47], exec, s[42:43]
	s_or_b64 s[40:41], s[46:47], s[40:41]
	v_mov_b64_e32 v[34:35], s[44:45]
	s_andn2_b64 exec, exec, s[40:41]
	s_cbranch_execz .LBB969_286
.LBB969_284:                            ; =>This Inner Loop Header: Depth=1
	s_or_b64 s[42:43], s[42:43], exec
	s_cmp_eq_u64 s[38:39], s[44:45]
	s_cbranch_scc0 .LBB969_282
; %bb.285:                              ;   in Loop: Header=BB969_284 Depth=1
                                        ; implicit-def: $vgpr30_vgpr31
                                        ; implicit-def: $vgpr32_vgpr33
	s_mov_b64 s[44:45], s[26:27]
	s_branch .LBB969_283
.LBB969_286:
	s_or_b64 exec, exec, s[40:41]
	v_cmp_gt_i64_e32 vcc, s[26:27], v[34:35]
	s_orn2_b64 s[38:39], vcc, exec
.LBB969_287:
	s_or_b64 exec, exec, s[14:15]
.LBB969_288:
	s_and_b64 s[14:15], s[38:39], exec
.LBB969_289:
	s_or_b64 exec, exec, s[36:37]
	v_cmp_gt_u32_e32 vcc, s3, v42
	s_and_saveexec_b64 s[36:37], vcc
	s_cbranch_execz .LBB969_300
; %bb.290:
	s_andn2_b64 vcc, exec, s[6:7]
	s_mov_b64 s[38:39], 0
	s_cbranch_vccnz .LBB969_299
; %bb.291:
	v_mul_lo_u32 v32, v19, s26
	v_mul_lo_u32 v33, v18, s27
	v_mad_u64_u32 v[30:31], s[18:19], v18, s26, 0
	v_add3_u32 v31, v31, v33, v32
	v_mul_lo_u32 v32, v21, s26
	v_mul_lo_u32 v33, v20, s27
	v_mad_u64_u32 v[34:35], s[18:19], v20, s26, 0
	v_add3_u32 v35, v35, v33, v32
	v_lshl_add_u64 v[32:33], v[30:31], 2, s[28:29]
	v_lshl_add_u64 v[30:31], v[34:35], 2, s[28:29]
	global_load_dword v34, v[32:33], off
	global_load_dword v35, v[30:31], off
	s_mov_b64 s[38:39], -1
	s_waitcnt vmcnt(0)
	v_cmp_eq_f32_e32 vcc, v34, v35
	s_and_saveexec_b64 s[18:19], vcc
	s_cbranch_execz .LBB969_298
; %bb.292:
	s_add_u32 s38, s26, -1
	v_lshl_add_u64 v[30:31], v[30:31], 0, 4
	v_lshl_add_u64 v[32:33], v[32:33], 0, 4
	s_addc_u32 s39, s27, -1
	s_mov_b64 s[40:41], 0
	s_mov_b64 s[44:45], 0
                                        ; implicit-def: $sgpr42_sgpr43
	s_branch .LBB969_295
.LBB969_293:                            ;   in Loop: Header=BB969_295 Depth=1
	global_load_dword v34, v[32:33], off
	global_load_dword v35, v[30:31], off
	s_add_u32 s44, s44, 1
	s_addc_u32 s45, s45, 0
	s_andn2_b64 s[42:43], s[42:43], exec
	v_lshl_add_u64 v[30:31], v[30:31], 0, 4
	v_lshl_add_u64 v[32:33], v[32:33], 0, 4
	s_waitcnt vmcnt(0)
	v_cmp_neq_f32_e32 vcc, v34, v35
	s_and_b64 s[46:47], vcc, exec
	s_or_b64 s[42:43], s[42:43], s[46:47]
.LBB969_294:                            ;   in Loop: Header=BB969_295 Depth=1
	s_and_b64 s[46:47], exec, s[42:43]
	s_or_b64 s[40:41], s[46:47], s[40:41]
	v_mov_b64_e32 v[34:35], s[44:45]
	s_andn2_b64 exec, exec, s[40:41]
	s_cbranch_execz .LBB969_297
.LBB969_295:                            ; =>This Inner Loop Header: Depth=1
	s_or_b64 s[42:43], s[42:43], exec
	s_cmp_eq_u64 s[38:39], s[44:45]
	s_cbranch_scc0 .LBB969_293
; %bb.296:                              ;   in Loop: Header=BB969_295 Depth=1
                                        ; implicit-def: $vgpr30_vgpr31
                                        ; implicit-def: $vgpr32_vgpr33
	s_mov_b64 s[44:45], s[26:27]
	s_branch .LBB969_294
.LBB969_297:
	s_or_b64 exec, exec, s[40:41]
	v_cmp_gt_i64_e32 vcc, s[26:27], v[34:35]
	s_orn2_b64 s[38:39], vcc, exec
.LBB969_298:
	s_or_b64 exec, exec, s[18:19]
.LBB969_299:
	s_and_b64 s[18:19], s[38:39], exec
.LBB969_300:
	s_or_b64 exec, exec, s[36:37]
	v_cmp_gt_u32_e32 vcc, s3, v38
	s_mov_b64 s[36:37], 0
	s_mov_b64 s[38:39], 0
	s_and_saveexec_b64 s[40:41], vcc
	s_cbranch_execz .LBB969_311
; %bb.301:
	s_andn2_b64 vcc, exec, s[6:7]
	s_mov_b64 s[42:43], 0
	s_cbranch_vccnz .LBB969_310
; %bb.302:
	v_mul_lo_u32 v32, v25, s26
	v_mul_lo_u32 v33, v24, s27
	v_mad_u64_u32 v[30:31], s[38:39], v24, s26, 0
	v_add3_u32 v31, v31, v33, v32
	v_mul_lo_u32 v32, v19, s26
	v_mul_lo_u32 v33, v18, s27
	v_mad_u64_u32 v[34:35], s[38:39], v18, s26, 0
	v_add3_u32 v35, v35, v33, v32
	v_lshl_add_u64 v[32:33], v[30:31], 2, s[28:29]
	v_lshl_add_u64 v[30:31], v[34:35], 2, s[28:29]
	global_load_dword v34, v[32:33], off
	global_load_dword v35, v[30:31], off
	s_mov_b64 s[42:43], -1
	s_waitcnt vmcnt(0)
	v_cmp_eq_f32_e32 vcc, v34, v35
	s_and_saveexec_b64 s[38:39], vcc
	s_cbranch_execz .LBB969_309
; %bb.303:
	s_add_u32 s42, s26, -1
	v_lshl_add_u64 v[30:31], v[30:31], 0, 4
	v_lshl_add_u64 v[32:33], v[32:33], 0, 4
	s_addc_u32 s43, s27, -1
	s_mov_b64 s[44:45], 0
	s_mov_b64 s[48:49], 0
                                        ; implicit-def: $sgpr46_sgpr47
	s_branch .LBB969_306
.LBB969_304:                            ;   in Loop: Header=BB969_306 Depth=1
	global_load_dword v34, v[32:33], off
	global_load_dword v35, v[30:31], off
	s_add_u32 s48, s48, 1
	s_addc_u32 s49, s49, 0
	s_andn2_b64 s[46:47], s[46:47], exec
	v_lshl_add_u64 v[30:31], v[30:31], 0, 4
	v_lshl_add_u64 v[32:33], v[32:33], 0, 4
	s_waitcnt vmcnt(0)
	v_cmp_neq_f32_e32 vcc, v34, v35
	s_and_b64 s[50:51], vcc, exec
	s_or_b64 s[46:47], s[46:47], s[50:51]
.LBB969_305:                            ;   in Loop: Header=BB969_306 Depth=1
	s_and_b64 s[50:51], exec, s[46:47]
	s_or_b64 s[44:45], s[50:51], s[44:45]
	v_mov_b64_e32 v[34:35], s[48:49]
	s_andn2_b64 exec, exec, s[44:45]
	s_cbranch_execz .LBB969_308
.LBB969_306:                            ; =>This Inner Loop Header: Depth=1
	s_or_b64 s[46:47], s[46:47], exec
	s_cmp_eq_u64 s[42:43], s[48:49]
	s_cbranch_scc0 .LBB969_304
; %bb.307:                              ;   in Loop: Header=BB969_306 Depth=1
                                        ; implicit-def: $vgpr30_vgpr31
                                        ; implicit-def: $vgpr32_vgpr33
	s_mov_b64 s[48:49], s[26:27]
	s_branch .LBB969_305
.LBB969_308:
	s_or_b64 exec, exec, s[44:45]
	v_cmp_gt_i64_e32 vcc, s[26:27], v[34:35]
	s_orn2_b64 s[42:43], vcc, exec
.LBB969_309:
	s_or_b64 exec, exec, s[38:39]
.LBB969_310:
	s_and_b64 s[38:39], s[42:43], exec
.LBB969_311:
	s_or_b64 exec, exec, s[40:41]
	v_cmp_gt_u32_e32 vcc, s3, v41
	s_and_saveexec_b64 s[40:41], vcc
	s_cbranch_execz .LBB969_322
; %bb.312:
	s_andn2_b64 vcc, exec, s[6:7]
	s_mov_b64 s[42:43], 0
	s_cbranch_vccnz .LBB969_321
; %bb.313:
	v_mul_lo_u32 v32, v23, s26
	v_mul_lo_u32 v33, v22, s27
	v_mad_u64_u32 v[30:31], s[36:37], v22, s26, 0
	v_add3_u32 v31, v31, v33, v32
	v_mul_lo_u32 v32, v25, s26
	v_mul_lo_u32 v33, v24, s27
	v_mad_u64_u32 v[34:35], s[36:37], v24, s26, 0
	v_add3_u32 v35, v35, v33, v32
	v_lshl_add_u64 v[32:33], v[30:31], 2, s[28:29]
	v_lshl_add_u64 v[30:31], v[34:35], 2, s[28:29]
	global_load_dword v34, v[32:33], off
	global_load_dword v35, v[30:31], off
	s_mov_b64 s[42:43], -1
	s_waitcnt vmcnt(0)
	v_cmp_eq_f32_e32 vcc, v34, v35
	s_and_saveexec_b64 s[36:37], vcc
	s_cbranch_execz .LBB969_320
; %bb.314:
	s_add_u32 s42, s26, -1
	v_lshl_add_u64 v[30:31], v[30:31], 0, 4
	v_lshl_add_u64 v[32:33], v[32:33], 0, 4
	s_addc_u32 s43, s27, -1
	s_mov_b64 s[44:45], 0
	s_mov_b64 s[48:49], 0
                                        ; implicit-def: $sgpr46_sgpr47
	s_branch .LBB969_317
.LBB969_315:                            ;   in Loop: Header=BB969_317 Depth=1
	global_load_dword v34, v[32:33], off
	global_load_dword v35, v[30:31], off
	s_add_u32 s48, s48, 1
	s_addc_u32 s49, s49, 0
	s_andn2_b64 s[46:47], s[46:47], exec
	v_lshl_add_u64 v[30:31], v[30:31], 0, 4
	v_lshl_add_u64 v[32:33], v[32:33], 0, 4
	s_waitcnt vmcnt(0)
	v_cmp_neq_f32_e32 vcc, v34, v35
	s_and_b64 s[50:51], vcc, exec
	s_or_b64 s[46:47], s[46:47], s[50:51]
.LBB969_316:                            ;   in Loop: Header=BB969_317 Depth=1
	s_and_b64 s[50:51], exec, s[46:47]
	s_or_b64 s[44:45], s[50:51], s[44:45]
	v_mov_b64_e32 v[34:35], s[48:49]
	s_andn2_b64 exec, exec, s[44:45]
	s_cbranch_execz .LBB969_319
.LBB969_317:                            ; =>This Inner Loop Header: Depth=1
	s_or_b64 s[46:47], s[46:47], exec
	s_cmp_eq_u64 s[42:43], s[48:49]
	s_cbranch_scc0 .LBB969_315
; %bb.318:                              ;   in Loop: Header=BB969_317 Depth=1
                                        ; implicit-def: $vgpr30_vgpr31
                                        ; implicit-def: $vgpr32_vgpr33
	s_mov_b64 s[48:49], s[26:27]
	s_branch .LBB969_316
.LBB969_319:
	s_or_b64 exec, exec, s[44:45]
	v_cmp_gt_i64_e32 vcc, s[26:27], v[34:35]
	s_orn2_b64 s[42:43], vcc, exec
.LBB969_320:
	s_or_b64 exec, exec, s[36:37]
.LBB969_321:
	s_and_b64 s[36:37], s[42:43], exec
.LBB969_322:
	s_or_b64 exec, exec, s[40:41]
	v_cndmask_b32_e64 v31, 0, 1, s[18:19]
	v_cndmask_b32_e64 v30, 0, 1, s[38:39]
	;; [unrolled: 1-line block ×3, first 2 shown]
	v_lshlrev_b16_e32 v31, 8, v31
	v_cndmask_b32_e64 v46, 0, 1, s[14:15]
	v_cndmask_b32_e64 v32, 0, 1, s[36:37]
	v_or_b32_sdwa v30, v30, v31 dst_sel:WORD_1 dst_unused:UNUSED_PAD src0_sel:DWORD src1_sel:DWORD
	v_lshlrev_b16_e32 v31, 8, v47
	v_lshlrev_b16_e32 v32, 8, v32
	v_or_b32_e32 v31, v46, v31
	v_or_b32_e32 v32, 1, v32
	v_and_b32_e32 v31, 0xffff, v31
	v_cndmask_b32_e64 v48, 0, 1, s[4:5]
	v_or_b32_sdwa v30, v32, v30 dst_sel:DWORD dst_unused:UNUSED_PAD src0_sel:WORD_0 src1_sel:DWORD
	v_lshl_or_b32 v31, v48, 16, v31
	v_cmp_ne_u32_e32 vcc, 0, v0
	s_waitcnt lgkmcnt(0)
	s_barrier
	s_waitcnt lgkmcnt(0)
                                        ; implicit-def: $sgpr18_sgpr19
                                        ; implicit-def: $vgpr34
	s_and_saveexec_b64 s[4:5], vcc
	s_cbranch_execz .LBB969_335
; %bb.323:
	v_cmp_gt_u32_e32 vcc, s3, v1
	s_mov_b32 s33, 0x3020104
	s_mov_b64 s[14:15], 0
	s_and_saveexec_b64 s[12:13], vcc
	s_cbranch_execz .LBB969_334
; %bb.324:
	s_andn2_b64 vcc, exec, s[6:7]
	s_cbranch_vccnz .LBB969_333
; %bb.325:
	v_add_u32_e32 v31, -8, v44
	ds_read_b64 v[32:33], v31
	v_mul_lo_u32 v31, v23, s26
	v_mad_u64_u32 v[36:37], s[6:7], v22, s26, 0
	s_mov_b64 s[14:15], -1
	s_waitcnt lgkmcnt(0)
	v_mul_lo_u32 v34, v33, s26
	v_mul_lo_u32 v35, v32, s27
	v_mad_u64_u32 v[32:33], s[6:7], v32, s26, 0
	v_add3_u32 v33, v33, v35, v34
	v_mul_lo_u32 v34, v22, s27
	v_add3_u32 v37, v37, v34, v31
	v_lshl_add_u64 v[34:35], v[32:33], 2, s[28:29]
	v_lshl_add_u64 v[32:33], v[36:37], 2, s[28:29]
	global_load_dword v31, v[34:35], off
	global_load_dword v36, v[32:33], off
	s_waitcnt vmcnt(0)
	v_cmp_eq_f32_e32 vcc, v31, v36
	s_and_saveexec_b64 s[6:7], vcc
	s_cbranch_execz .LBB969_332
; %bb.326:
	s_add_u32 s14, s26, -1
	v_lshl_add_u64 v[32:33], v[32:33], 0, 4
	v_lshl_add_u64 v[34:35], v[34:35], 0, 4
	s_addc_u32 s15, s27, -1
	s_mov_b64 s[18:19], 0
	s_mov_b64 s[36:37], 0
                                        ; implicit-def: $sgpr28_sgpr29
	s_branch .LBB969_329
.LBB969_327:                            ;   in Loop: Header=BB969_329 Depth=1
	global_load_dword v31, v[34:35], off
	global_load_dword v36, v[32:33], off
	s_add_u32 s36, s36, 1
	s_addc_u32 s37, s37, 0
	s_andn2_b64 s[28:29], s[28:29], exec
	v_lshl_add_u64 v[32:33], v[32:33], 0, 4
	v_lshl_add_u64 v[34:35], v[34:35], 0, 4
	s_waitcnt vmcnt(0)
	v_cmp_neq_f32_e32 vcc, v31, v36
	s_and_b64 s[38:39], vcc, exec
	s_or_b64 s[28:29], s[28:29], s[38:39]
.LBB969_328:                            ;   in Loop: Header=BB969_329 Depth=1
	s_and_b64 s[38:39], exec, s[28:29]
	s_or_b64 s[18:19], s[38:39], s[18:19]
	v_mov_b64_e32 v[36:37], s[36:37]
	s_andn2_b64 exec, exec, s[18:19]
	s_cbranch_execz .LBB969_331
.LBB969_329:                            ; =>This Inner Loop Header: Depth=1
	s_or_b64 s[28:29], s[28:29], exec
	s_cmp_eq_u64 s[14:15], s[36:37]
	s_cbranch_scc0 .LBB969_327
; %bb.330:                              ;   in Loop: Header=BB969_329 Depth=1
                                        ; implicit-def: $vgpr32_vgpr33
                                        ; implicit-def: $vgpr34_vgpr35
	s_mov_b64 s[36:37], s[26:27]
	s_branch .LBB969_328
.LBB969_331:
	s_or_b64 exec, exec, s[18:19]
	v_cmp_gt_i64_e32 vcc, s[26:27], v[36:37]
	s_orn2_b64 s[14:15], vcc, exec
.LBB969_332:
	s_or_b64 exec, exec, s[6:7]
.LBB969_333:
	s_and_b64 s[14:15], s[14:15], exec
.LBB969_334:
	s_or_b64 exec, exec, s[12:13]
	v_perm_b32 v34, v30, v30, s33
	s_and_b64 s[18:19], s[14:15], exec
	s_or_b64 s[10:11], s[10:11], exec
                                        ; implicit-def: $vgpr30_vgpr31
.LBB969_335:
	s_or_b64 exec, exec, s[4:5]
.LBB969_336:
	s_and_saveexec_b64 s[4:5], s[10:11]
	s_cbranch_execz .LBB969_338
; %bb.337:
	s_waitcnt lgkmcnt(0)
	v_lshlrev_b16_e32 v31, 8, v47
	v_and_b32_e32 v32, 0xff, v48
	v_or_b32_sdwa v31, v46, v31 dst_sel:DWORD dst_unused:UNUSED_PAD src0_sel:BYTE_0 src1_sel:DWORD
	v_lshlrev_b32_e32 v32, 16, v32
	s_movk_i32 s6, 0xff
	v_or_b32_sdwa v31, v31, v32 dst_sel:DWORD dst_unused:UNUSED_PAD src0_sel:WORD_0 src1_sel:DWORD
	v_lshrrev_b32_e32 v32, 24, v34
	v_lshlrev_b16_e32 v32, 8, v32
	v_and_b32_sdwa v33, v34, s6 dst_sel:DWORD dst_unused:UNUSED_PAD src0_sel:WORD_1 src1_sel:DWORD
	v_or_b32_sdwa v32, v33, v32 dst_sel:WORD_1 dst_unused:UNUSED_PAD src0_sel:DWORD src1_sel:DWORD
	v_mov_b32_e32 v33, 8
	v_cndmask_b32_e64 v30, 0, 1, s[18:19]
	v_lshrrev_b32_sdwa v33, v33, v34 dst_sel:BYTE_1 dst_unused:UNUSED_PAD src0_sel:DWORD src1_sel:DWORD
	s_nop 0
	v_or_b32_e32 v30, v30, v33
	v_or_b32_sdwa v30, v30, v32 dst_sel:DWORD dst_unused:UNUSED_PAD src0_sel:WORD_0 src1_sel:DWORD
.LBB969_338:
	s_or_b64 exec, exec, s[4:5]
	s_andn2_b64 vcc, exec, s[8:9]
	s_cbranch_vccnz .LBB969_340
; %bb.339:
	s_waitcnt lgkmcnt(0)
	v_and_b32_e32 v32, 0xffff0000, v30
	v_cmp_gt_u32_e32 vcc, s3, v1
	s_mov_b32 s4, 0x40c0100
	s_nop 0
	v_cndmask_b32_e32 v1, v32, v30, vcc
	v_and_b32_e32 v1, 0xffff00ff, v1
	v_cmp_gt_u32_e32 vcc, s3, v41
	s_nop 1
	v_cndmask_b32_e32 v1, v1, v30, vcc
	v_lshrrev_b32_e32 v32, 24, v1
	v_perm_b32 v1, v32, v1, s4
	v_cmp_gt_u32_e32 vcc, s3, v38
	v_and_b32_e32 v32, 0xffffff00, v31
	s_nop 0
	v_cndmask_b32_e32 v1, v1, v30, vcc
	v_and_b32_e32 v1, 0xffffff, v1
	v_cmp_gt_u32_e32 vcc, s3, v42
	s_nop 1
	v_cndmask_b32_e32 v1, v1, v30, vcc
	v_cmp_gt_u32_e32 vcc, s3, v39
	s_nop 1
	v_cndmask_b32_e32 v32, v32, v31, vcc
	v_and_b32_e32 v32, 0xffff00ff, v32
	v_cndmask_b32_e32 v1, v1, v30, vcc
	v_cmp_gt_u32_e32 vcc, s3, v43
	s_nop 1
	v_cndmask_b32_e32 v32, v32, v31, vcc
	v_lshrrev_b32_e32 v33, 24, v32
	v_cndmask_b32_e32 v1, v1, v30, vcc
	v_perm_b32 v32, v33, v32, s4
	v_cmp_gt_u32_e32 vcc, s3, v40
	s_mov_b32 s3, 0x3020104
	s_nop 0
	v_cndmask_b32_e32 v1, v1, v30, vcc
	v_cndmask_b32_e32 v30, v32, v31, vcc
	v_mov_b32_e32 v31, 8
	v_lshrrev_b32_sdwa v31, v31, v30 dst_sel:BYTE_1 dst_unused:UNUSED_PAD src0_sel:DWORD src1_sel:DWORD
	s_nop 0
	v_or_b32_sdwa v31, v30, v31 dst_sel:DWORD dst_unused:UNUSED_PAD src0_sel:BYTE_0 src1_sel:DWORD
	v_and_b32_e32 v31, 0xffff, v31
	v_bfe_u32 v30, v30, 16, 8
	v_lshl_or_b32 v31, v30, 16, v31
	v_perm_b32 v30, v1, v1, s3
.LBB969_340:
	s_waitcnt lgkmcnt(0)
	v_and_b32_e32 v1, 0xff, v30
	v_bfe_u32 v43, v30, 8, 8
	v_bfe_u32 v45, v30, 16, 8
	v_alignbit_b32 v32, v31, v30, 24
	v_and_b32_e32 v47, 0xff, v32
	v_and_b32_e32 v48, 0xff, v31
	v_add3_u32 v33, v43, v1, v45
	v_bfe_u32 v49, v31, 8, 8
	v_bfe_u32 v32, v31, 16, 8
	v_add3_u32 v33, v33, v47, v48
	v_add3_u32 v52, v33, v49, v32
	v_mbcnt_lo_u32_b32 v32, -1, 0
	v_mbcnt_hi_u32_b32 v50, -1, v32
	v_and_b32_e32 v32, 15, v50
	v_cmp_eq_u32_e64 s[14:15], 0, v32
	v_cmp_lt_u32_e64 s[12:13], 1, v32
	v_cmp_lt_u32_e64 s[10:11], 3, v32
	;; [unrolled: 1-line block ×3, first 2 shown]
	v_and_b32_e32 v32, 16, v50
	v_cmp_eq_u32_e64 s[6:7], 0, v32
	v_or_b32_e32 v32, 63, v0
	v_cmp_lt_u32_e64 s[18:19], 31, v50
	v_lshrrev_b32_e32 v51, 6, v0
	v_cmp_eq_u32_e64 s[4:5], v32, v0
	s_and_b64 vcc, exec, s[16:17]
	s_barrier
	s_cbranch_vccz .LBB969_367
; %bb.341:
	v_mov_b32_dpp v32, v52 row_shr:1 row_mask:0xf bank_mask:0xf
	v_cndmask_b32_e64 v32, v32, 0, s[14:15]
	v_add_u32_e32 v32, v32, v52
	s_nop 1
	v_mov_b32_dpp v33, v32 row_shr:2 row_mask:0xf bank_mask:0xf
	v_cndmask_b32_e64 v33, 0, v33, s[12:13]
	v_add_u32_e32 v32, v32, v33
	s_nop 1
	;; [unrolled: 4-line block ×4, first 2 shown]
	v_mov_b32_dpp v33, v32 row_bcast:15 row_mask:0xf bank_mask:0xf
	v_cndmask_b32_e64 v33, v33, 0, s[6:7]
	v_add_u32_e32 v32, v32, v33
	s_nop 1
	v_mov_b32_dpp v33, v32 row_bcast:31 row_mask:0xf bank_mask:0xf
	v_cndmask_b32_e64 v33, 0, v33, s[18:19]
	v_add_u32_e32 v32, v32, v33
	s_and_saveexec_b64 s[16:17], s[4:5]
	s_cbranch_execz .LBB969_343
; %bb.342:
	v_lshlrev_b32_e32 v33, 2, v51
	ds_write_b32 v33, v32
.LBB969_343:
	s_or_b64 exec, exec, s[16:17]
	v_cmp_gt_u32_e32 vcc, 8, v0
	s_waitcnt lgkmcnt(0)
	s_barrier
	s_and_saveexec_b64 s[16:17], vcc
	s_cbranch_execz .LBB969_345
; %bb.344:
	v_lshlrev_b32_e32 v33, 2, v0
	ds_read_b32 v34, v33
	v_and_b32_e32 v35, 7, v50
	v_cmp_ne_u32_e32 vcc, 0, v35
	s_waitcnt lgkmcnt(0)
	v_mov_b32_dpp v36, v34 row_shr:1 row_mask:0xf bank_mask:0xf
	v_cndmask_b32_e32 v36, 0, v36, vcc
	v_add_u32_e32 v34, v36, v34
	v_cmp_lt_u32_e32 vcc, 1, v35
	s_nop 0
	v_mov_b32_dpp v36, v34 row_shr:2 row_mask:0xf bank_mask:0xf
	v_cndmask_b32_e32 v36, 0, v36, vcc
	v_add_u32_e32 v34, v34, v36
	v_cmp_lt_u32_e32 vcc, 3, v35
	s_nop 0
	v_mov_b32_dpp v36, v34 row_shr:4 row_mask:0xf bank_mask:0xf
	v_cndmask_b32_e32 v35, 0, v36, vcc
	v_add_u32_e32 v34, v34, v35
	ds_write_b32 v33, v34
.LBB969_345:
	s_or_b64 exec, exec, s[16:17]
	v_cmp_gt_u32_e32 vcc, 64, v0
	v_cmp_lt_u32_e64 s[16:17], 63, v0
	s_waitcnt lgkmcnt(0)
	s_barrier
	s_waitcnt lgkmcnt(0)
                                        ; implicit-def: $vgpr42
	s_and_saveexec_b64 s[26:27], s[16:17]
	s_cbranch_execz .LBB969_347
; %bb.346:
	v_lshl_add_u32 v33, v51, 2, -4
	ds_read_b32 v42, v33
	s_waitcnt lgkmcnt(0)
	v_add_u32_e32 v32, v42, v32
.LBB969_347:
	s_or_b64 exec, exec, s[26:27]
	v_add_u32_e32 v33, -1, v50
	v_and_b32_e32 v34, 64, v50
	v_cmp_lt_i32_e64 s[16:17], v33, v34
	s_nop 1
	v_cndmask_b32_e64 v33, v33, v50, s[16:17]
	v_lshlrev_b32_e32 v33, 2, v33
	ds_bpermute_b32 v44, v33, v32
	v_cmp_eq_u32_e64 s[16:17], 0, v50
	s_and_saveexec_b64 s[26:27], vcc
	s_cbranch_execz .LBB969_366
; %bb.348:
	v_mov_b32_e32 v39, 0
	ds_read_b32 v32, v39 offset:28
	s_and_saveexec_b64 s[28:29], s[16:17]
	s_cbranch_execz .LBB969_350
; %bb.349:
	s_add_i32 s36, s2, 64
	s_mov_b32 s37, 0
	s_lshl_b64 s[36:37], s[36:37], 3
	s_add_u32 s36, s30, s36
	v_mov_b32_e32 v33, 1
	s_addc_u32 s37, s31, s37
	s_waitcnt lgkmcnt(0)
	global_store_dwordx2 v39, v[32:33], s[36:37] sc1
.LBB969_350:
	s_or_b64 exec, exec, s[28:29]
	v_xad_u32 v34, v50, -1, s2
	v_add_u32_e32 v38, 64, v34
	v_lshl_add_u64 v[40:41], v[38:39], 3, s[30:31]
	global_load_dwordx2 v[36:37], v[40:41], off sc1
	s_waitcnt vmcnt(0)
	v_cmp_eq_u16_sdwa s[36:37], v37, v39 src0_sel:BYTE_0 src1_sel:DWORD
	s_and_saveexec_b64 s[28:29], s[36:37]
	s_cbranch_execz .LBB969_354
; %bb.351:
	s_mov_b64 s[36:37], 0
	v_mov_b32_e32 v33, 0
.LBB969_352:                            ; =>This Inner Loop Header: Depth=1
	global_load_dwordx2 v[36:37], v[40:41], off sc1
	s_waitcnt vmcnt(0)
	v_cmp_ne_u16_sdwa s[38:39], v37, v33 src0_sel:BYTE_0 src1_sel:DWORD
	s_or_b64 s[36:37], s[38:39], s[36:37]
	s_andn2_b64 exec, exec, s[36:37]
	s_cbranch_execnz .LBB969_352
; %bb.353:
	s_or_b64 exec, exec, s[36:37]
.LBB969_354:
	s_or_b64 exec, exec, s[28:29]
	v_and_b32_e32 v46, 63, v50
	v_mov_b32_e32 v33, 2
	v_cmp_ne_u32_e32 vcc, 63, v46
	v_cmp_eq_u16_sdwa s[28:29], v37, v33 src0_sel:BYTE_0 src1_sel:DWORD
	v_lshlrev_b64 v[38:39], v50, -1
	v_addc_co_u32_e32 v41, vcc, 0, v50, vcc
	v_and_b32_e32 v35, s29, v39
	v_lshlrev_b32_e32 v53, 2, v41
	v_or_b32_e32 v35, 0x80000000, v35
	ds_bpermute_b32 v41, v53, v36
	v_and_b32_e32 v40, s28, v38
	v_ffbl_b32_e32 v35, v35
	v_add_u32_e32 v35, 32, v35
	v_ffbl_b32_e32 v40, v40
	v_min_u32_e32 v35, v40, v35
	v_cmp_lt_u32_e32 vcc, v46, v35
	v_add_u32_e32 v55, 2, v46
	v_add_u32_e32 v57, 4, v46
	s_waitcnt lgkmcnt(0)
	v_cndmask_b32_e32 v40, 0, v41, vcc
	v_cmp_gt_u32_e32 vcc, 62, v46
	v_add_u32_e32 v36, v40, v36
	v_add_u32_e32 v59, 8, v46
	v_cndmask_b32_e64 v40, 0, 1, vcc
	v_lshlrev_b32_e32 v40, 1, v40
	v_add_lshl_u32 v54, v40, v50, 2
	ds_bpermute_b32 v40, v54, v36
	v_cmp_le_u32_e32 vcc, v55, v35
	v_add_u32_e32 v62, 16, v46
	v_add_u32_e32 v64, 32, v46
	s_waitcnt lgkmcnt(0)
	v_cndmask_b32_e32 v40, 0, v40, vcc
	v_cmp_gt_u32_e32 vcc, 60, v46
	v_add_u32_e32 v36, v36, v40
	s_nop 0
	v_cndmask_b32_e64 v40, 0, 1, vcc
	v_lshlrev_b32_e32 v40, 2, v40
	v_add_lshl_u32 v56, v40, v50, 2
	ds_bpermute_b32 v40, v56, v36
	v_cmp_le_u32_e32 vcc, v57, v35
	s_waitcnt lgkmcnt(0)
	s_nop 0
	v_cndmask_b32_e32 v40, 0, v40, vcc
	v_cmp_gt_u32_e32 vcc, 56, v46
	v_add_u32_e32 v36, v36, v40
	s_nop 0
	v_cndmask_b32_e64 v40, 0, 1, vcc
	v_lshlrev_b32_e32 v40, 3, v40
	v_add_lshl_u32 v58, v40, v50, 2
	ds_bpermute_b32 v40, v58, v36
	v_cmp_le_u32_e32 vcc, v59, v35
	s_waitcnt lgkmcnt(0)
	s_nop 0
	;; [unrolled: 11-line block ×4, first 2 shown]
	v_cndmask_b32_e32 v35, 0, v40, vcc
	v_add_u32_e32 v36, v36, v35
	v_mov_b32_e32 v35, 0
	s_branch .LBB969_356
.LBB969_355:                            ;   in Loop: Header=BB969_356 Depth=1
	s_or_b64 exec, exec, s[28:29]
	v_cmp_eq_u16_sdwa s[28:29], v37, v33 src0_sel:BYTE_0 src1_sel:DWORD
	ds_bpermute_b32 v65, v53, v36
	v_subrev_u32_e32 v34, 64, v34
	v_and_b32_e32 v40, s29, v39
	v_or_b32_e32 v40, 0x80000000, v40
	v_and_b32_e32 v41, s28, v38
	v_ffbl_b32_e32 v40, v40
	v_add_u32_e32 v40, 32, v40
	v_ffbl_b32_e32 v41, v41
	v_min_u32_e32 v40, v41, v40
	v_cmp_lt_u32_e32 vcc, v46, v40
	s_waitcnt lgkmcnt(0)
	s_nop 0
	v_cndmask_b32_e32 v41, 0, v65, vcc
	v_add_u32_e32 v36, v41, v36
	ds_bpermute_b32 v41, v54, v36
	v_cmp_le_u32_e32 vcc, v55, v40
	s_waitcnt lgkmcnt(0)
	s_nop 0
	v_cndmask_b32_e32 v41, 0, v41, vcc
	v_add_u32_e32 v36, v36, v41
	ds_bpermute_b32 v41, v56, v36
	v_cmp_le_u32_e32 vcc, v57, v40
	;; [unrolled: 6-line block ×5, first 2 shown]
	s_waitcnt lgkmcnt(0)
	s_nop 0
	v_cndmask_b32_e32 v40, 0, v41, vcc
	v_add3_u32 v36, v40, v60, v36
.LBB969_356:                            ; =>This Loop Header: Depth=1
                                        ;     Child Loop BB969_359 Depth 2
	v_cmp_ne_u16_sdwa s[28:29], v37, v33 src0_sel:BYTE_0 src1_sel:DWORD
	v_mov_b32_e32 v60, v36
	s_nop 0
	v_cndmask_b32_e64 v37, 0, 1, s[28:29]
	;;#ASMSTART
	;;#ASMEND
	s_nop 0
	v_cmp_ne_u32_e32 vcc, 0, v37
	s_cmp_lg_u64 vcc, exec
	s_cbranch_scc1 .LBB969_361
; %bb.357:                              ;   in Loop: Header=BB969_356 Depth=1
	v_lshl_add_u64 v[40:41], v[34:35], 3, s[30:31]
	global_load_dwordx2 v[36:37], v[40:41], off sc1
	s_waitcnt vmcnt(0)
	v_cmp_eq_u16_sdwa s[36:37], v37, v35 src0_sel:BYTE_0 src1_sel:DWORD
	s_and_saveexec_b64 s[28:29], s[36:37]
	s_cbranch_execz .LBB969_355
; %bb.358:                              ;   in Loop: Header=BB969_356 Depth=1
	s_mov_b64 s[36:37], 0
.LBB969_359:                            ;   Parent Loop BB969_356 Depth=1
                                        ; =>  This Inner Loop Header: Depth=2
	global_load_dwordx2 v[36:37], v[40:41], off sc1
	s_waitcnt vmcnt(0)
	v_cmp_ne_u16_sdwa s[38:39], v37, v35 src0_sel:BYTE_0 src1_sel:DWORD
	s_or_b64 s[36:37], s[38:39], s[36:37]
	s_andn2_b64 exec, exec, s[36:37]
	s_cbranch_execnz .LBB969_359
; %bb.360:                              ;   in Loop: Header=BB969_356 Depth=1
	s_or_b64 exec, exec, s[36:37]
	s_branch .LBB969_355
.LBB969_361:                            ;   in Loop: Header=BB969_356 Depth=1
                                        ; implicit-def: $vgpr36
                                        ; implicit-def: $vgpr37
	s_cbranch_execz .LBB969_356
; %bb.362:
	s_and_saveexec_b64 s[28:29], s[16:17]
	s_cbranch_execz .LBB969_364
; %bb.363:
	s_add_i32 s2, s2, 64
	s_mov_b32 s3, 0
	s_lshl_b64 s[2:3], s[2:3], 3
	s_add_u32 s2, s30, s2
	v_add_u32_e32 v34, v60, v32
	v_mov_b32_e32 v35, 2
	s_addc_u32 s3, s31, s3
	v_mov_b32_e32 v33, 0
	global_store_dwordx2 v33, v[34:35], s[2:3] sc1
	s_movk_i32 s2, 0x7000
	v_add_u32_e64 v33, s2, 0
	ds_write2_b32 v33, v32, v60 offset1:2
.LBB969_364:
	s_or_b64 exec, exec, s[28:29]
	v_cmp_eq_u32_e32 vcc, 0, v0
	s_and_b64 exec, exec, vcc
	s_cbranch_execz .LBB969_366
; %bb.365:
	v_mov_b32_e32 v32, 0
	ds_write_b32 v32, v60 offset:28
.LBB969_366:
	s_or_b64 exec, exec, s[26:27]
	v_mov_b32_e32 v32, 0
	s_waitcnt lgkmcnt(0)
	s_barrier
	ds_read_b32 v32, v32 offset:28
	v_cndmask_b32_e64 v33, v44, v42, s[16:17]
	v_cmp_ne_u32_e32 vcc, 0, v0
	s_movk_i32 s2, 0x7000
	s_waitcnt lgkmcnt(0)
	v_cndmask_b32_e32 v33, 0, v33, vcc
	v_add_u32_e32 v46, v32, v33
	v_add_u32_e64 v32, s2, 0
	v_add_u32_e32 v44, v46, v1
	s_barrier
	ds_read2_b32 v[32:33], v32 offset1:2
	v_add_u32_e32 v42, v44, v43
	v_add_u32_e32 v40, v42, v45
	;; [unrolled: 1-line block ×5, first 2 shown]
	s_waitcnt lgkmcnt(0)
	v_readfirstlane_b32 s26, v32
	v_readfirstlane_b32 s16, v33
	v_lshrrev_b64 v[32:33], 24, v[30:31]
	s_branch .LBB969_377
.LBB969_367:
                                        ; implicit-def: $vgpr34
                                        ; implicit-def: $vgpr36
                                        ; implicit-def: $vgpr38
                                        ; implicit-def: $vgpr40
                                        ; implicit-def: $vgpr42
                                        ; implicit-def: $vgpr44
                                        ; implicit-def: $vgpr46
                                        ; implicit-def: $sgpr16
                                        ; implicit-def: $sgpr26
	v_lshrrev_b64 v[32:33], 24, v[30:31]
	s_cbranch_execz .LBB969_377
; %bb.368:
	s_nop 0
	v_mov_b32_dpp v33, v52 row_shr:1 row_mask:0xf bank_mask:0xf
	v_cndmask_b32_e64 v33, v33, 0, s[14:15]
	v_add_u32_e32 v33, v33, v52
	s_nop 1
	v_mov_b32_dpp v34, v33 row_shr:2 row_mask:0xf bank_mask:0xf
	v_cndmask_b32_e64 v34, 0, v34, s[12:13]
	v_add_u32_e32 v33, v33, v34
	;; [unrolled: 4-line block ×4, first 2 shown]
	s_nop 1
	v_mov_b32_dpp v34, v33 row_bcast:15 row_mask:0xf bank_mask:0xf
	v_cndmask_b32_e64 v34, v34, 0, s[6:7]
	v_add_u32_e32 v33, v33, v34
	s_nop 1
	v_mov_b32_dpp v34, v33 row_bcast:31 row_mask:0xf bank_mask:0xf
	v_cndmask_b32_e64 v34, 0, v34, s[18:19]
	v_add_u32_e32 v33, v33, v34
	s_and_saveexec_b64 s[2:3], s[4:5]
	s_cbranch_execz .LBB969_370
; %bb.369:
	v_lshlrev_b32_e32 v34, 2, v51
	ds_write_b32 v34, v33
.LBB969_370:
	s_or_b64 exec, exec, s[2:3]
	v_cmp_gt_u32_e32 vcc, 8, v0
	s_waitcnt lgkmcnt(0)
	s_barrier
	s_and_saveexec_b64 s[2:3], vcc
	s_cbranch_execz .LBB969_372
; %bb.371:
	v_lshlrev_b32_e32 v34, 2, v0
	ds_read_b32 v35, v34
	v_and_b32_e32 v36, 7, v50
	v_cmp_ne_u32_e32 vcc, 0, v36
	s_waitcnt lgkmcnt(0)
	v_mov_b32_dpp v37, v35 row_shr:1 row_mask:0xf bank_mask:0xf
	v_cndmask_b32_e32 v37, 0, v37, vcc
	v_add_u32_e32 v35, v37, v35
	v_cmp_lt_u32_e32 vcc, 1, v36
	s_nop 0
	v_mov_b32_dpp v37, v35 row_shr:2 row_mask:0xf bank_mask:0xf
	v_cndmask_b32_e32 v37, 0, v37, vcc
	v_add_u32_e32 v35, v35, v37
	v_cmp_lt_u32_e32 vcc, 3, v36
	s_nop 0
	v_mov_b32_dpp v37, v35 row_shr:4 row_mask:0xf bank_mask:0xf
	v_cndmask_b32_e32 v36, 0, v37, vcc
	v_add_u32_e32 v35, v35, v36
	ds_write_b32 v34, v35
.LBB969_372:
	s_or_b64 exec, exec, s[2:3]
	v_cmp_lt_u32_e32 vcc, 63, v0
	v_mov_b32_e32 v35, 0
	v_mov_b32_e32 v34, 0
	s_waitcnt lgkmcnt(0)
	s_barrier
	s_and_saveexec_b64 s[2:3], vcc
	s_cbranch_execz .LBB969_374
; %bb.373:
	v_lshl_add_u32 v34, v51, 2, -4
	ds_read_b32 v34, v34
.LBB969_374:
	s_or_b64 exec, exec, s[2:3]
	v_add_u32_e32 v36, -1, v50
	v_and_b32_e32 v37, 64, v50
	v_cmp_lt_i32_e32 vcc, v36, v37
	s_waitcnt lgkmcnt(0)
	v_add_u32_e32 v33, v34, v33
	ds_read_b32 v35, v35 offset:28
	v_cndmask_b32_e32 v36, v36, v50, vcc
	v_lshlrev_b32_e32 v36, 2, v36
	ds_bpermute_b32 v33, v36, v33
	s_mov_b32 s16, 0
	v_cmp_eq_u32_e32 vcc, 0, v0
	s_waitcnt lgkmcnt(1)
	v_readfirstlane_b32 s26, v35
	s_and_saveexec_b64 s[2:3], vcc
	s_cbranch_execz .LBB969_376
; %bb.375:
	v_mov_b32_e32 v35, 0
	v_mov_b32_e32 v36, s26
	;; [unrolled: 1-line block ×3, first 2 shown]
	global_store_dwordx2 v35, v[36:37], s[30:31] offset:512 sc1
.LBB969_376:
	s_or_b64 exec, exec, s[2:3]
	v_cmp_eq_u32_e64 s[2:3], 0, v50
	s_waitcnt lgkmcnt(0)
	s_barrier
	v_cndmask_b32_e64 v33, v33, v34, s[2:3]
	v_cndmask_b32_e64 v46, v33, 0, vcc
	v_add_u32_e32 v44, v46, v1
	v_add_u32_e32 v42, v44, v43
	;; [unrolled: 1-line block ×6, first 2 shown]
.LBB969_377:
	s_load_dwordx4 s[4:7], s[0:1], 0x28
	s_cmpk_lt_u32 s26, 0x201
	s_cselect_b64 s[2:3], -1, 0
	v_lshrrev_b32_e32 v33, 8, v30
	v_lshrrev_b32_e32 v1, 8, v31
	s_mov_b64 s[0:1], -1
	s_and_b64 vcc, exec, s[2:3]
	s_cbranch_vccz .LBB969_400
; %bb.378:
	s_add_i32 s8, s16, s26
	v_cmp_gt_u32_e32 vcc, s8, v46
	s_or_b64 s[10:11], s[34:35], vcc
	s_and_saveexec_b64 s[0:1], s[10:11]
	s_cbranch_execz .LBB969_381
; %bb.379:
	v_and_b32_e32 v35, 1, v30
	v_cmp_eq_u32_e32 vcc, 1, v35
	s_and_b64 exec, exec, vcc
	s_cbranch_execz .LBB969_381
; %bb.380:
	s_lshl_b64 s[10:11], s[22:23], 3
	s_waitcnt lgkmcnt(0)
	s_add_u32 s10, s4, s10
	s_addc_u32 s11, s5, s11
	v_mov_b32_e32 v47, 0
	v_lshl_add_u64 v[48:49], v[46:47], 3, s[10:11]
	global_store_dwordx2 v[48:49], v[22:23], off
.LBB969_381:
	s_or_b64 exec, exec, s[0:1]
	v_cmp_gt_u32_e32 vcc, s8, v44
	s_or_b64 s[10:11], s[34:35], vcc
	s_and_saveexec_b64 s[0:1], s[10:11]
	s_cbranch_execz .LBB969_384
; %bb.382:
	v_and_b32_e32 v35, 1, v33
	v_cmp_eq_u32_e32 vcc, 1, v35
	s_and_b64 exec, exec, vcc
	s_cbranch_execz .LBB969_384
; %bb.383:
	s_lshl_b64 s[10:11], s[22:23], 3
	s_waitcnt lgkmcnt(0)
	s_add_u32 s10, s4, s10
	s_addc_u32 s11, s5, s11
	v_mov_b32_e32 v45, 0
	v_lshl_add_u64 v[48:49], v[44:45], 3, s[10:11]
	global_store_dwordx2 v[48:49], v[24:25], off
.LBB969_384:
	s_or_b64 exec, exec, s[0:1]
	v_cmp_gt_u32_e32 vcc, s8, v42
	s_or_b64 s[10:11], s[34:35], vcc
	s_and_saveexec_b64 s[0:1], s[10:11]
	s_cbranch_execz .LBB969_387
; %bb.385:
	v_mov_b32_e32 v35, 1
	v_and_b32_sdwa v35, v35, v30 dst_sel:DWORD dst_unused:UNUSED_PAD src0_sel:DWORD src1_sel:WORD_1
	v_cmp_eq_u32_e32 vcc, 1, v35
	s_and_b64 exec, exec, vcc
	s_cbranch_execz .LBB969_387
; %bb.386:
	s_lshl_b64 s[10:11], s[22:23], 3
	s_waitcnt lgkmcnt(0)
	s_add_u32 s10, s4, s10
	s_addc_u32 s11, s5, s11
	v_mov_b32_e32 v43, 0
	v_lshl_add_u64 v[48:49], v[42:43], 3, s[10:11]
	global_store_dwordx2 v[48:49], v[18:19], off
.LBB969_387:
	s_or_b64 exec, exec, s[0:1]
	v_cmp_gt_u32_e32 vcc, s8, v40
	s_or_b64 s[10:11], s[34:35], vcc
	s_and_saveexec_b64 s[0:1], s[10:11]
	s_cbranch_execz .LBB969_390
; %bb.388:
	v_and_b32_e32 v35, 1, v32
	v_cmp_eq_u32_e32 vcc, 1, v35
	s_and_b64 exec, exec, vcc
	s_cbranch_execz .LBB969_390
; %bb.389:
	s_lshl_b64 s[10:11], s[22:23], 3
	s_waitcnt lgkmcnt(0)
	s_add_u32 s10, s4, s10
	s_addc_u32 s11, s5, s11
	v_mov_b32_e32 v41, 0
	v_lshl_add_u64 v[48:49], v[40:41], 3, s[10:11]
	global_store_dwordx2 v[48:49], v[20:21], off
.LBB969_390:
	s_or_b64 exec, exec, s[0:1]
	v_cmp_gt_u32_e32 vcc, s8, v38
	s_or_b64 s[10:11], s[34:35], vcc
	s_and_saveexec_b64 s[0:1], s[10:11]
	s_cbranch_execz .LBB969_393
; %bb.391:
	v_and_b32_e32 v35, 1, v31
	v_cmp_eq_u32_e32 vcc, 1, v35
	s_and_b64 exec, exec, vcc
	s_cbranch_execz .LBB969_393
; %bb.392:
	s_lshl_b64 s[10:11], s[22:23], 3
	s_waitcnt lgkmcnt(0)
	s_add_u32 s10, s4, s10
	s_addc_u32 s11, s5, s11
	v_mov_b32_e32 v39, 0
	v_lshl_add_u64 v[48:49], v[38:39], 3, s[10:11]
	global_store_dwordx2 v[48:49], v[14:15], off
.LBB969_393:
	;; [unrolled: 19-line block ×3, first 2 shown]
	s_or_b64 exec, exec, s[0:1]
	v_cmp_gt_u32_e32 vcc, s8, v34
	s_or_b64 s[8:9], s[34:35], vcc
	s_and_saveexec_b64 s[0:1], s[8:9]
	s_cbranch_execz .LBB969_399
; %bb.397:
	v_mov_b32_e32 v35, 1
	v_and_b32_sdwa v35, v35, v31 dst_sel:DWORD dst_unused:UNUSED_PAD src0_sel:DWORD src1_sel:WORD_1
	v_cmp_eq_u32_e32 vcc, 1, v35
	s_and_b64 exec, exec, vcc
	s_cbranch_execz .LBB969_399
; %bb.398:
	s_lshl_b64 s[8:9], s[22:23], 3
	s_waitcnt lgkmcnt(0)
	s_add_u32 s8, s4, s8
	s_addc_u32 s9, s5, s9
	v_mov_b32_e32 v35, 0
	v_lshl_add_u64 v[48:49], v[34:35], 3, s[8:9]
	global_store_dwordx2 v[48:49], v[28:29], off
.LBB969_399:
	s_or_b64 exec, exec, s[0:1]
	s_mov_b64 s[0:1], 0
.LBB969_400:
	v_and_b32_e32 v48, 1, v30
	s_and_b64 vcc, exec, s[0:1]
	v_cmp_eq_u32_e64 s[0:1], 1, v48
	s_cbranch_vccz .LBB969_419
; %bb.401:
	s_and_saveexec_b64 s[8:9], s[0:1]
	s_cbranch_execz .LBB969_403
; %bb.402:
	v_subrev_u32_e32 v35, s16, v46
	v_lshlrev_b32_e32 v35, 3, v35
	ds_write_b64 v35, v[22:23]
.LBB969_403:
	s_or_b64 exec, exec, s[8:9]
	v_and_b32_e32 v22, 1, v33
	v_cmp_eq_u32_e32 vcc, 1, v22
	s_and_saveexec_b64 s[0:1], vcc
	s_cbranch_execz .LBB969_405
; %bb.404:
	v_subrev_u32_e32 v22, s16, v44
	v_lshlrev_b32_e32 v22, 3, v22
	ds_write_b64 v22, v[24:25]
.LBB969_405:
	s_or_b64 exec, exec, s[0:1]
	v_mov_b32_e32 v22, 1
	v_and_b32_sdwa v22, v22, v30 dst_sel:DWORD dst_unused:UNUSED_PAD src0_sel:DWORD src1_sel:WORD_1
	v_cmp_eq_u32_e32 vcc, 1, v22
	s_and_saveexec_b64 s[0:1], vcc
	s_cbranch_execz .LBB969_407
; %bb.406:
	v_subrev_u32_e32 v22, s16, v42
	v_lshlrev_b32_e32 v22, 3, v22
	ds_write_b64 v22, v[18:19]
.LBB969_407:
	s_or_b64 exec, exec, s[0:1]
	v_and_b32_e32 v18, 1, v32
	v_cmp_eq_u32_e32 vcc, 1, v18
	s_and_saveexec_b64 s[0:1], vcc
	s_cbranch_execz .LBB969_409
; %bb.408:
	v_subrev_u32_e32 v18, s16, v40
	v_lshlrev_b32_e32 v18, 3, v18
	ds_write_b64 v18, v[20:21]
.LBB969_409:
	s_or_b64 exec, exec, s[0:1]
	v_and_b32_e32 v18, 1, v31
	;; [unrolled: 10-line block ×3, first 2 shown]
	v_cmp_eq_u32_e32 vcc, 1, v14
	s_and_saveexec_b64 s[0:1], vcc
	s_cbranch_execz .LBB969_413
; %bb.412:
	v_subrev_u32_e32 v14, s16, v36
	v_lshlrev_b32_e32 v14, 3, v14
	ds_write_b64 v14, v[16:17]
.LBB969_413:
	s_or_b64 exec, exec, s[0:1]
	v_mov_b32_e32 v14, 1
	v_and_b32_sdwa v14, v14, v31 dst_sel:DWORD dst_unused:UNUSED_PAD src0_sel:DWORD src1_sel:WORD_1
	v_cmp_eq_u32_e32 vcc, 1, v14
	s_and_saveexec_b64 s[0:1], vcc
	s_cbranch_execz .LBB969_415
; %bb.414:
	v_subrev_u32_e32 v14, s16, v34
	v_lshlrev_b32_e32 v14, 3, v14
	ds_write_b64 v14, v[28:29]
.LBB969_415:
	s_or_b64 exec, exec, s[0:1]
	v_cmp_gt_u32_e32 vcc, s26, v0
	s_waitcnt lgkmcnt(0)
	s_barrier
	s_and_saveexec_b64 s[0:1], vcc
	s_cbranch_execz .LBB969_418
; %bb.416:
	s_mov_b32 s17, 0
	s_lshl_b64 s[8:9], s[22:23], 3
	s_lshl_b64 s[10:11], s[16:17], 3
	s_add_u32 s8, s8, s10
	s_addc_u32 s9, s9, s11
	s_add_u32 s4, s4, s8
	v_lshlrev_b32_e32 v14, 3, v0
	v_mov_b32_e32 v15, 0
	s_addc_u32 s5, s5, s9
	v_lshl_add_u64 v[16:17], s[4:5], 0, v[14:15]
	s_mov_b64 s[4:5], 0
	s_mov_b64 s[8:9], 0x1000
	v_mov_b32_e32 v15, v0
.LBB969_417:                            ; =>This Inner Loop Header: Depth=1
	ds_read_b64 v[18:19], v14
	v_add_u32_e32 v15, 0x200, v15
	v_cmp_le_u32_e32 vcc, s26, v15
	v_add_u32_e32 v14, 0x1000, v14
	s_or_b64 s[4:5], vcc, s[4:5]
	s_waitcnt lgkmcnt(0)
	global_store_dwordx2 v[16:17], v[18:19], off
	v_lshl_add_u64 v[16:17], v[16:17], 0, s[8:9]
	s_andn2_b64 exec, exec, s[4:5]
	s_cbranch_execnz .LBB969_417
.LBB969_418:
	s_or_b64 exec, exec, s[0:1]
.LBB969_419:
	s_mov_b64 s[0:1], -1
	s_and_b64 vcc, exec, s[2:3]
	s_waitcnt lgkmcnt(0)
	s_barrier
	s_cbranch_vccnz .LBB969_423
; %bb.420:
	s_and_b64 vcc, exec, s[0:1]
	s_cbranch_vccnz .LBB969_445
.LBB969_421:
	v_cmp_eq_u32_e32 vcc, 0, v0
	s_and_b64 s[0:1], vcc, s[24:25]
	s_and_saveexec_b64 s[2:3], s[0:1]
	s_cbranch_execnz .LBB969_463
.LBB969_422:
	s_endpgm
.LBB969_423:
	s_add_i32 s2, s16, s26
	v_cmp_gt_u32_e32 vcc, s2, v46
	s_or_b64 s[4:5], s[34:35], vcc
	s_and_saveexec_b64 s[0:1], s[4:5]
	s_cbranch_execz .LBB969_426
; %bb.424:
	v_cmp_eq_u32_e32 vcc, 1, v48
	s_and_b64 exec, exec, vcc
	s_cbranch_execz .LBB969_426
; %bb.425:
	s_lshl_b64 s[4:5], s[22:23], 3
	s_add_u32 s4, s6, s4
	s_addc_u32 s5, s7, s5
	v_mov_b32_e32 v47, 0
	v_lshl_add_u64 v[14:15], v[46:47], 3, s[4:5]
	global_store_dwordx2 v[14:15], v[10:11], off
.LBB969_426:
	s_or_b64 exec, exec, s[0:1]
	v_cmp_gt_u32_e32 vcc, s2, v44
	s_or_b64 s[4:5], s[34:35], vcc
	s_and_saveexec_b64 s[0:1], s[4:5]
	s_cbranch_execz .LBB969_429
; %bb.427:
	v_and_b32_e32 v14, 1, v33
	v_cmp_eq_u32_e32 vcc, 1, v14
	s_and_b64 exec, exec, vcc
	s_cbranch_execz .LBB969_429
; %bb.428:
	s_lshl_b64 s[4:5], s[22:23], 3
	s_add_u32 s4, s6, s4
	s_addc_u32 s5, s7, s5
	v_mov_b32_e32 v45, 0
	v_lshl_add_u64 v[14:15], v[44:45], 3, s[4:5]
	global_store_dwordx2 v[14:15], v[12:13], off
.LBB969_429:
	s_or_b64 exec, exec, s[0:1]
	v_cmp_gt_u32_e32 vcc, s2, v42
	s_or_b64 s[4:5], s[34:35], vcc
	s_and_saveexec_b64 s[0:1], s[4:5]
	s_cbranch_execz .LBB969_432
; %bb.430:
	v_mov_b32_e32 v14, 1
	v_and_b32_sdwa v14, v14, v30 dst_sel:DWORD dst_unused:UNUSED_PAD src0_sel:DWORD src1_sel:WORD_1
	v_cmp_eq_u32_e32 vcc, 1, v14
	s_and_b64 exec, exec, vcc
	s_cbranch_execz .LBB969_432
; %bb.431:
	s_lshl_b64 s[4:5], s[22:23], 3
	s_add_u32 s4, s6, s4
	s_addc_u32 s5, s7, s5
	v_mov_b32_e32 v43, 0
	v_lshl_add_u64 v[14:15], v[42:43], 3, s[4:5]
	global_store_dwordx2 v[14:15], v[6:7], off
.LBB969_432:
	s_or_b64 exec, exec, s[0:1]
	v_cmp_gt_u32_e32 vcc, s2, v40
	s_or_b64 s[4:5], s[34:35], vcc
	s_and_saveexec_b64 s[0:1], s[4:5]
	s_cbranch_execz .LBB969_435
; %bb.433:
	v_and_b32_e32 v14, 1, v32
	v_cmp_eq_u32_e32 vcc, 1, v14
	s_and_b64 exec, exec, vcc
	s_cbranch_execz .LBB969_435
; %bb.434:
	s_lshl_b64 s[4:5], s[22:23], 3
	s_add_u32 s4, s6, s4
	s_addc_u32 s5, s7, s5
	v_mov_b32_e32 v41, 0
	v_lshl_add_u64 v[14:15], v[40:41], 3, s[4:5]
	global_store_dwordx2 v[14:15], v[8:9], off
.LBB969_435:
	s_or_b64 exec, exec, s[0:1]
	v_cmp_gt_u32_e32 vcc, s2, v38
	s_or_b64 s[4:5], s[34:35], vcc
	s_and_saveexec_b64 s[0:1], s[4:5]
	s_cbranch_execz .LBB969_438
; %bb.436:
	v_and_b32_e32 v14, 1, v31
	v_cmp_eq_u32_e32 vcc, 1, v14
	s_and_b64 exec, exec, vcc
	s_cbranch_execz .LBB969_438
; %bb.437:
	s_lshl_b64 s[4:5], s[22:23], 3
	s_add_u32 s4, s6, s4
	s_addc_u32 s5, s7, s5
	v_mov_b32_e32 v39, 0
	v_lshl_add_u64 v[14:15], v[38:39], 3, s[4:5]
	global_store_dwordx2 v[14:15], v[2:3], off
.LBB969_438:
	s_or_b64 exec, exec, s[0:1]
	v_cmp_gt_u32_e32 vcc, s2, v36
	s_or_b64 s[4:5], s[34:35], vcc
	s_and_saveexec_b64 s[0:1], s[4:5]
	s_cbranch_execz .LBB969_441
; %bb.439:
	v_and_b32_e32 v14, 1, v1
	v_cmp_eq_u32_e32 vcc, 1, v14
	s_and_b64 exec, exec, vcc
	s_cbranch_execz .LBB969_441
; %bb.440:
	s_lshl_b64 s[4:5], s[22:23], 3
	s_add_u32 s4, s6, s4
	s_addc_u32 s5, s7, s5
	v_mov_b32_e32 v37, 0
	v_lshl_add_u64 v[14:15], v[36:37], 3, s[4:5]
	global_store_dwordx2 v[14:15], v[4:5], off
.LBB969_441:
	s_or_b64 exec, exec, s[0:1]
	v_cmp_gt_u32_e32 vcc, s2, v34
	s_or_b64 s[2:3], s[34:35], vcc
	s_and_saveexec_b64 s[0:1], s[2:3]
	s_cbranch_execz .LBB969_444
; %bb.442:
	v_mov_b32_e32 v14, 1
	v_and_b32_sdwa v14, v14, v31 dst_sel:DWORD dst_unused:UNUSED_PAD src0_sel:DWORD src1_sel:WORD_1
	v_cmp_eq_u32_e32 vcc, 1, v14
	s_and_b64 exec, exec, vcc
	s_cbranch_execz .LBB969_444
; %bb.443:
	s_lshl_b64 s[2:3], s[22:23], 3
	s_add_u32 s2, s6, s2
	s_addc_u32 s3, s7, s3
	v_mov_b32_e32 v35, 0
	v_lshl_add_u64 v[14:15], v[34:35], 3, s[2:3]
	global_store_dwordx2 v[14:15], v[26:27], off
.LBB969_444:
	s_or_b64 exec, exec, s[0:1]
	s_branch .LBB969_421
.LBB969_445:
	v_cmp_eq_u32_e32 vcc, 1, v48
	s_and_saveexec_b64 s[0:1], vcc
	s_cbranch_execz .LBB969_447
; %bb.446:
	v_subrev_u32_e32 v14, s16, v46
	v_lshlrev_b32_e32 v14, 3, v14
	ds_write_b64 v14, v[10:11]
.LBB969_447:
	s_or_b64 exec, exec, s[0:1]
	v_and_b32_e32 v10, 1, v33
	v_cmp_eq_u32_e32 vcc, 1, v10
	s_and_saveexec_b64 s[0:1], vcc
	s_cbranch_execz .LBB969_449
; %bb.448:
	v_subrev_u32_e32 v10, s16, v44
	v_lshlrev_b32_e32 v10, 3, v10
	ds_write_b64 v10, v[12:13]
.LBB969_449:
	s_or_b64 exec, exec, s[0:1]
	v_mov_b32_e32 v10, 1
	v_and_b32_sdwa v10, v10, v30 dst_sel:DWORD dst_unused:UNUSED_PAD src0_sel:DWORD src1_sel:WORD_1
	v_cmp_eq_u32_e32 vcc, 1, v10
	s_and_saveexec_b64 s[0:1], vcc
	s_cbranch_execz .LBB969_451
; %bb.450:
	v_subrev_u32_e32 v10, s16, v42
	v_lshlrev_b32_e32 v10, 3, v10
	ds_write_b64 v10, v[6:7]
.LBB969_451:
	s_or_b64 exec, exec, s[0:1]
	v_and_b32_e32 v6, 1, v32
	v_cmp_eq_u32_e32 vcc, 1, v6
	s_and_saveexec_b64 s[0:1], vcc
	s_cbranch_execz .LBB969_453
; %bb.452:
	v_subrev_u32_e32 v6, s16, v40
	v_lshlrev_b32_e32 v6, 3, v6
	ds_write_b64 v6, v[8:9]
.LBB969_453:
	s_or_b64 exec, exec, s[0:1]
	v_and_b32_e32 v6, 1, v31
	;; [unrolled: 10-line block ×3, first 2 shown]
	v_cmp_eq_u32_e32 vcc, 1, v1
	s_and_saveexec_b64 s[0:1], vcc
	s_cbranch_execz .LBB969_457
; %bb.456:
	v_subrev_u32_e32 v1, s16, v36
	v_lshlrev_b32_e32 v1, 3, v1
	ds_write_b64 v1, v[4:5]
.LBB969_457:
	s_or_b64 exec, exec, s[0:1]
	v_mov_b32_e32 v1, 1
	v_and_b32_sdwa v1, v1, v31 dst_sel:DWORD dst_unused:UNUSED_PAD src0_sel:DWORD src1_sel:WORD_1
	v_cmp_eq_u32_e32 vcc, 1, v1
	s_and_saveexec_b64 s[0:1], vcc
	s_cbranch_execz .LBB969_459
; %bb.458:
	v_subrev_u32_e32 v1, s16, v34
	v_lshlrev_b32_e32 v1, 3, v1
	ds_write_b64 v1, v[26:27]
.LBB969_459:
	s_or_b64 exec, exec, s[0:1]
	v_cmp_gt_u32_e32 vcc, s26, v0
	s_waitcnt lgkmcnt(0)
	s_barrier
	s_and_saveexec_b64 s[0:1], vcc
	s_cbranch_execz .LBB969_462
; %bb.460:
	s_mov_b32 s17, 0
	s_lshl_b64 s[2:3], s[22:23], 3
	s_lshl_b64 s[4:5], s[16:17], 3
	s_add_u32 s2, s2, s4
	s_addc_u32 s3, s3, s5
	s_add_u32 s2, s6, s2
	v_lshlrev_b32_e32 v2, 3, v0
	v_mov_b32_e32 v3, 0
	s_addc_u32 s3, s7, s3
	v_lshl_add_u64 v[4:5], s[2:3], 0, v[2:3]
	s_mov_b64 s[2:3], 0
	s_mov_b64 s[4:5], 0x1000
	v_mov_b32_e32 v1, v0
.LBB969_461:                            ; =>This Inner Loop Header: Depth=1
	ds_read_b64 v[6:7], v2
	v_add_u32_e32 v1, 0x200, v1
	v_cmp_le_u32_e32 vcc, s26, v1
	v_add_u32_e32 v2, 0x1000, v2
	s_or_b64 s[2:3], vcc, s[2:3]
	s_waitcnt lgkmcnt(0)
	global_store_dwordx2 v[4:5], v[6:7], off
	v_lshl_add_u64 v[4:5], v[4:5], 0, s[4:5]
	s_andn2_b64 exec, exec, s[2:3]
	s_cbranch_execnz .LBB969_461
.LBB969_462:
	s_or_b64 exec, exec, s[0:1]
	v_cmp_eq_u32_e32 vcc, 0, v0
	s_and_b64 s[0:1], vcc, s[24:25]
	s_and_saveexec_b64 s[2:3], s[0:1]
	s_cbranch_execz .LBB969_422
.LBB969_463:
	s_add_u32 s0, s22, s26
	s_addc_u32 s1, s23, 0
	s_add_u32 s0, s0, s16
	s_addc_u32 s1, s1, 0
	v_mov_b32_e32 v2, 0
	v_mov_b64_e32 v[0:1], s[0:1]
	global_store_dwordx2 v2, v[0:1], s[20:21]
	s_endpgm
	.section	.rodata,"a",@progbits
	.p2align	6, 0x0
	.amdhsa_kernel _ZN7rocprim17ROCPRIM_400000_NS6detail17trampoline_kernelINS0_14default_configENS1_25partition_config_selectorILNS1_17partition_subalgoE9EllbEEZZNS1_14partition_implILS5_9ELb0ES3_jPlS8_PNS0_10empty_typeENS0_5tupleIJS8_S9_EEENSB_IJS8_SA_EEENS0_18inequality_wrapperIZN2at6native12_GLOBAL__N_124unique_dim_cuda_templateIfEESt5tupleIJNSF_6TensorESK_SK_EERKSK_lbbbEUlllE0_EEPmJS9_EEE10hipError_tPvRmT3_T4_T5_T6_T7_T9_mT8_P12ihipStream_tbDpT10_ENKUlT_T0_E_clISt17integral_constantIbLb0EES1A_EEDaS15_S16_EUlS15_E_NS1_11comp_targetILNS1_3genE5ELNS1_11target_archE942ELNS1_3gpuE9ELNS1_3repE0EEENS1_30default_config_static_selectorELNS0_4arch9wavefront6targetE1EEEvT1_
		.amdhsa_group_segment_fixed_size 28684
		.amdhsa_private_segment_fixed_size 0
		.amdhsa_kernarg_size 120
		.amdhsa_user_sgpr_count 2
		.amdhsa_user_sgpr_dispatch_ptr 0
		.amdhsa_user_sgpr_queue_ptr 0
		.amdhsa_user_sgpr_kernarg_segment_ptr 1
		.amdhsa_user_sgpr_dispatch_id 0
		.amdhsa_user_sgpr_kernarg_preload_length 0
		.amdhsa_user_sgpr_kernarg_preload_offset 0
		.amdhsa_user_sgpr_private_segment_size 0
		.amdhsa_uses_dynamic_stack 0
		.amdhsa_enable_private_segment 0
		.amdhsa_system_sgpr_workgroup_id_x 1
		.amdhsa_system_sgpr_workgroup_id_y 0
		.amdhsa_system_sgpr_workgroup_id_z 0
		.amdhsa_system_sgpr_workgroup_info 0
		.amdhsa_system_vgpr_workitem_id 0
		.amdhsa_next_free_vgpr 66
		.amdhsa_next_free_sgpr 52
		.amdhsa_accum_offset 68
		.amdhsa_reserve_vcc 1
		.amdhsa_float_round_mode_32 0
		.amdhsa_float_round_mode_16_64 0
		.amdhsa_float_denorm_mode_32 3
		.amdhsa_float_denorm_mode_16_64 3
		.amdhsa_dx10_clamp 1
		.amdhsa_ieee_mode 1
		.amdhsa_fp16_overflow 0
		.amdhsa_tg_split 0
		.amdhsa_exception_fp_ieee_invalid_op 0
		.amdhsa_exception_fp_denorm_src 0
		.amdhsa_exception_fp_ieee_div_zero 0
		.amdhsa_exception_fp_ieee_overflow 0
		.amdhsa_exception_fp_ieee_underflow 0
		.amdhsa_exception_fp_ieee_inexact 0
		.amdhsa_exception_int_div_zero 0
	.end_amdhsa_kernel
	.section	.text._ZN7rocprim17ROCPRIM_400000_NS6detail17trampoline_kernelINS0_14default_configENS1_25partition_config_selectorILNS1_17partition_subalgoE9EllbEEZZNS1_14partition_implILS5_9ELb0ES3_jPlS8_PNS0_10empty_typeENS0_5tupleIJS8_S9_EEENSB_IJS8_SA_EEENS0_18inequality_wrapperIZN2at6native12_GLOBAL__N_124unique_dim_cuda_templateIfEESt5tupleIJNSF_6TensorESK_SK_EERKSK_lbbbEUlllE0_EEPmJS9_EEE10hipError_tPvRmT3_T4_T5_T6_T7_T9_mT8_P12ihipStream_tbDpT10_ENKUlT_T0_E_clISt17integral_constantIbLb0EES1A_EEDaS15_S16_EUlS15_E_NS1_11comp_targetILNS1_3genE5ELNS1_11target_archE942ELNS1_3gpuE9ELNS1_3repE0EEENS1_30default_config_static_selectorELNS0_4arch9wavefront6targetE1EEEvT1_,"axG",@progbits,_ZN7rocprim17ROCPRIM_400000_NS6detail17trampoline_kernelINS0_14default_configENS1_25partition_config_selectorILNS1_17partition_subalgoE9EllbEEZZNS1_14partition_implILS5_9ELb0ES3_jPlS8_PNS0_10empty_typeENS0_5tupleIJS8_S9_EEENSB_IJS8_SA_EEENS0_18inequality_wrapperIZN2at6native12_GLOBAL__N_124unique_dim_cuda_templateIfEESt5tupleIJNSF_6TensorESK_SK_EERKSK_lbbbEUlllE0_EEPmJS9_EEE10hipError_tPvRmT3_T4_T5_T6_T7_T9_mT8_P12ihipStream_tbDpT10_ENKUlT_T0_E_clISt17integral_constantIbLb0EES1A_EEDaS15_S16_EUlS15_E_NS1_11comp_targetILNS1_3genE5ELNS1_11target_archE942ELNS1_3gpuE9ELNS1_3repE0EEENS1_30default_config_static_selectorELNS0_4arch9wavefront6targetE1EEEvT1_,comdat
.Lfunc_end969:
	.size	_ZN7rocprim17ROCPRIM_400000_NS6detail17trampoline_kernelINS0_14default_configENS1_25partition_config_selectorILNS1_17partition_subalgoE9EllbEEZZNS1_14partition_implILS5_9ELb0ES3_jPlS8_PNS0_10empty_typeENS0_5tupleIJS8_S9_EEENSB_IJS8_SA_EEENS0_18inequality_wrapperIZN2at6native12_GLOBAL__N_124unique_dim_cuda_templateIfEESt5tupleIJNSF_6TensorESK_SK_EERKSK_lbbbEUlllE0_EEPmJS9_EEE10hipError_tPvRmT3_T4_T5_T6_T7_T9_mT8_P12ihipStream_tbDpT10_ENKUlT_T0_E_clISt17integral_constantIbLb0EES1A_EEDaS15_S16_EUlS15_E_NS1_11comp_targetILNS1_3genE5ELNS1_11target_archE942ELNS1_3gpuE9ELNS1_3repE0EEENS1_30default_config_static_selectorELNS0_4arch9wavefront6targetE1EEEvT1_, .Lfunc_end969-_ZN7rocprim17ROCPRIM_400000_NS6detail17trampoline_kernelINS0_14default_configENS1_25partition_config_selectorILNS1_17partition_subalgoE9EllbEEZZNS1_14partition_implILS5_9ELb0ES3_jPlS8_PNS0_10empty_typeENS0_5tupleIJS8_S9_EEENSB_IJS8_SA_EEENS0_18inequality_wrapperIZN2at6native12_GLOBAL__N_124unique_dim_cuda_templateIfEESt5tupleIJNSF_6TensorESK_SK_EERKSK_lbbbEUlllE0_EEPmJS9_EEE10hipError_tPvRmT3_T4_T5_T6_T7_T9_mT8_P12ihipStream_tbDpT10_ENKUlT_T0_E_clISt17integral_constantIbLb0EES1A_EEDaS15_S16_EUlS15_E_NS1_11comp_targetILNS1_3genE5ELNS1_11target_archE942ELNS1_3gpuE9ELNS1_3repE0EEENS1_30default_config_static_selectorELNS0_4arch9wavefront6targetE1EEEvT1_
                                        ; -- End function
	.section	.AMDGPU.csdata,"",@progbits
; Kernel info:
; codeLenInByte = 14392
; NumSgprs: 58
; NumVgprs: 66
; NumAgprs: 0
; TotalNumVgprs: 66
; ScratchSize: 0
; MemoryBound: 0
; FloatMode: 240
; IeeeMode: 1
; LDSByteSize: 28684 bytes/workgroup (compile time only)
; SGPRBlocks: 7
; VGPRBlocks: 8
; NumSGPRsForWavesPerEU: 58
; NumVGPRsForWavesPerEU: 66
; AccumOffset: 68
; Occupancy: 4
; WaveLimiterHint : 1
; COMPUTE_PGM_RSRC2:SCRATCH_EN: 0
; COMPUTE_PGM_RSRC2:USER_SGPR: 2
; COMPUTE_PGM_RSRC2:TRAP_HANDLER: 0
; COMPUTE_PGM_RSRC2:TGID_X_EN: 1
; COMPUTE_PGM_RSRC2:TGID_Y_EN: 0
; COMPUTE_PGM_RSRC2:TGID_Z_EN: 0
; COMPUTE_PGM_RSRC2:TIDIG_COMP_CNT: 0
; COMPUTE_PGM_RSRC3_GFX90A:ACCUM_OFFSET: 16
; COMPUTE_PGM_RSRC3_GFX90A:TG_SPLIT: 0
	.section	.text._ZN7rocprim17ROCPRIM_400000_NS6detail17trampoline_kernelINS0_14default_configENS1_25partition_config_selectorILNS1_17partition_subalgoE9EllbEEZZNS1_14partition_implILS5_9ELb0ES3_jPlS8_PNS0_10empty_typeENS0_5tupleIJS8_S9_EEENSB_IJS8_SA_EEENS0_18inequality_wrapperIZN2at6native12_GLOBAL__N_124unique_dim_cuda_templateIfEESt5tupleIJNSF_6TensorESK_SK_EERKSK_lbbbEUlllE0_EEPmJS9_EEE10hipError_tPvRmT3_T4_T5_T6_T7_T9_mT8_P12ihipStream_tbDpT10_ENKUlT_T0_E_clISt17integral_constantIbLb0EES1A_EEDaS15_S16_EUlS15_E_NS1_11comp_targetILNS1_3genE4ELNS1_11target_archE910ELNS1_3gpuE8ELNS1_3repE0EEENS1_30default_config_static_selectorELNS0_4arch9wavefront6targetE1EEEvT1_,"axG",@progbits,_ZN7rocprim17ROCPRIM_400000_NS6detail17trampoline_kernelINS0_14default_configENS1_25partition_config_selectorILNS1_17partition_subalgoE9EllbEEZZNS1_14partition_implILS5_9ELb0ES3_jPlS8_PNS0_10empty_typeENS0_5tupleIJS8_S9_EEENSB_IJS8_SA_EEENS0_18inequality_wrapperIZN2at6native12_GLOBAL__N_124unique_dim_cuda_templateIfEESt5tupleIJNSF_6TensorESK_SK_EERKSK_lbbbEUlllE0_EEPmJS9_EEE10hipError_tPvRmT3_T4_T5_T6_T7_T9_mT8_P12ihipStream_tbDpT10_ENKUlT_T0_E_clISt17integral_constantIbLb0EES1A_EEDaS15_S16_EUlS15_E_NS1_11comp_targetILNS1_3genE4ELNS1_11target_archE910ELNS1_3gpuE8ELNS1_3repE0EEENS1_30default_config_static_selectorELNS0_4arch9wavefront6targetE1EEEvT1_,comdat
	.globl	_ZN7rocprim17ROCPRIM_400000_NS6detail17trampoline_kernelINS0_14default_configENS1_25partition_config_selectorILNS1_17partition_subalgoE9EllbEEZZNS1_14partition_implILS5_9ELb0ES3_jPlS8_PNS0_10empty_typeENS0_5tupleIJS8_S9_EEENSB_IJS8_SA_EEENS0_18inequality_wrapperIZN2at6native12_GLOBAL__N_124unique_dim_cuda_templateIfEESt5tupleIJNSF_6TensorESK_SK_EERKSK_lbbbEUlllE0_EEPmJS9_EEE10hipError_tPvRmT3_T4_T5_T6_T7_T9_mT8_P12ihipStream_tbDpT10_ENKUlT_T0_E_clISt17integral_constantIbLb0EES1A_EEDaS15_S16_EUlS15_E_NS1_11comp_targetILNS1_3genE4ELNS1_11target_archE910ELNS1_3gpuE8ELNS1_3repE0EEENS1_30default_config_static_selectorELNS0_4arch9wavefront6targetE1EEEvT1_ ; -- Begin function _ZN7rocprim17ROCPRIM_400000_NS6detail17trampoline_kernelINS0_14default_configENS1_25partition_config_selectorILNS1_17partition_subalgoE9EllbEEZZNS1_14partition_implILS5_9ELb0ES3_jPlS8_PNS0_10empty_typeENS0_5tupleIJS8_S9_EEENSB_IJS8_SA_EEENS0_18inequality_wrapperIZN2at6native12_GLOBAL__N_124unique_dim_cuda_templateIfEESt5tupleIJNSF_6TensorESK_SK_EERKSK_lbbbEUlllE0_EEPmJS9_EEE10hipError_tPvRmT3_T4_T5_T6_T7_T9_mT8_P12ihipStream_tbDpT10_ENKUlT_T0_E_clISt17integral_constantIbLb0EES1A_EEDaS15_S16_EUlS15_E_NS1_11comp_targetILNS1_3genE4ELNS1_11target_archE910ELNS1_3gpuE8ELNS1_3repE0EEENS1_30default_config_static_selectorELNS0_4arch9wavefront6targetE1EEEvT1_
	.p2align	8
	.type	_ZN7rocprim17ROCPRIM_400000_NS6detail17trampoline_kernelINS0_14default_configENS1_25partition_config_selectorILNS1_17partition_subalgoE9EllbEEZZNS1_14partition_implILS5_9ELb0ES3_jPlS8_PNS0_10empty_typeENS0_5tupleIJS8_S9_EEENSB_IJS8_SA_EEENS0_18inequality_wrapperIZN2at6native12_GLOBAL__N_124unique_dim_cuda_templateIfEESt5tupleIJNSF_6TensorESK_SK_EERKSK_lbbbEUlllE0_EEPmJS9_EEE10hipError_tPvRmT3_T4_T5_T6_T7_T9_mT8_P12ihipStream_tbDpT10_ENKUlT_T0_E_clISt17integral_constantIbLb0EES1A_EEDaS15_S16_EUlS15_E_NS1_11comp_targetILNS1_3genE4ELNS1_11target_archE910ELNS1_3gpuE8ELNS1_3repE0EEENS1_30default_config_static_selectorELNS0_4arch9wavefront6targetE1EEEvT1_,@function
_ZN7rocprim17ROCPRIM_400000_NS6detail17trampoline_kernelINS0_14default_configENS1_25partition_config_selectorILNS1_17partition_subalgoE9EllbEEZZNS1_14partition_implILS5_9ELb0ES3_jPlS8_PNS0_10empty_typeENS0_5tupleIJS8_S9_EEENSB_IJS8_SA_EEENS0_18inequality_wrapperIZN2at6native12_GLOBAL__N_124unique_dim_cuda_templateIfEESt5tupleIJNSF_6TensorESK_SK_EERKSK_lbbbEUlllE0_EEPmJS9_EEE10hipError_tPvRmT3_T4_T5_T6_T7_T9_mT8_P12ihipStream_tbDpT10_ENKUlT_T0_E_clISt17integral_constantIbLb0EES1A_EEDaS15_S16_EUlS15_E_NS1_11comp_targetILNS1_3genE4ELNS1_11target_archE910ELNS1_3gpuE8ELNS1_3repE0EEENS1_30default_config_static_selectorELNS0_4arch9wavefront6targetE1EEEvT1_: ; @_ZN7rocprim17ROCPRIM_400000_NS6detail17trampoline_kernelINS0_14default_configENS1_25partition_config_selectorILNS1_17partition_subalgoE9EllbEEZZNS1_14partition_implILS5_9ELb0ES3_jPlS8_PNS0_10empty_typeENS0_5tupleIJS8_S9_EEENSB_IJS8_SA_EEENS0_18inequality_wrapperIZN2at6native12_GLOBAL__N_124unique_dim_cuda_templateIfEESt5tupleIJNSF_6TensorESK_SK_EERKSK_lbbbEUlllE0_EEPmJS9_EEE10hipError_tPvRmT3_T4_T5_T6_T7_T9_mT8_P12ihipStream_tbDpT10_ENKUlT_T0_E_clISt17integral_constantIbLb0EES1A_EEDaS15_S16_EUlS15_E_NS1_11comp_targetILNS1_3genE4ELNS1_11target_archE910ELNS1_3gpuE8ELNS1_3repE0EEENS1_30default_config_static_selectorELNS0_4arch9wavefront6targetE1EEEvT1_
; %bb.0:
	.section	.rodata,"a",@progbits
	.p2align	6, 0x0
	.amdhsa_kernel _ZN7rocprim17ROCPRIM_400000_NS6detail17trampoline_kernelINS0_14default_configENS1_25partition_config_selectorILNS1_17partition_subalgoE9EllbEEZZNS1_14partition_implILS5_9ELb0ES3_jPlS8_PNS0_10empty_typeENS0_5tupleIJS8_S9_EEENSB_IJS8_SA_EEENS0_18inequality_wrapperIZN2at6native12_GLOBAL__N_124unique_dim_cuda_templateIfEESt5tupleIJNSF_6TensorESK_SK_EERKSK_lbbbEUlllE0_EEPmJS9_EEE10hipError_tPvRmT3_T4_T5_T6_T7_T9_mT8_P12ihipStream_tbDpT10_ENKUlT_T0_E_clISt17integral_constantIbLb0EES1A_EEDaS15_S16_EUlS15_E_NS1_11comp_targetILNS1_3genE4ELNS1_11target_archE910ELNS1_3gpuE8ELNS1_3repE0EEENS1_30default_config_static_selectorELNS0_4arch9wavefront6targetE1EEEvT1_
		.amdhsa_group_segment_fixed_size 0
		.amdhsa_private_segment_fixed_size 0
		.amdhsa_kernarg_size 120
		.amdhsa_user_sgpr_count 2
		.amdhsa_user_sgpr_dispatch_ptr 0
		.amdhsa_user_sgpr_queue_ptr 0
		.amdhsa_user_sgpr_kernarg_segment_ptr 1
		.amdhsa_user_sgpr_dispatch_id 0
		.amdhsa_user_sgpr_kernarg_preload_length 0
		.amdhsa_user_sgpr_kernarg_preload_offset 0
		.amdhsa_user_sgpr_private_segment_size 0
		.amdhsa_uses_dynamic_stack 0
		.amdhsa_enable_private_segment 0
		.amdhsa_system_sgpr_workgroup_id_x 1
		.amdhsa_system_sgpr_workgroup_id_y 0
		.amdhsa_system_sgpr_workgroup_id_z 0
		.amdhsa_system_sgpr_workgroup_info 0
		.amdhsa_system_vgpr_workitem_id 0
		.amdhsa_next_free_vgpr 1
		.amdhsa_next_free_sgpr 0
		.amdhsa_accum_offset 4
		.amdhsa_reserve_vcc 0
		.amdhsa_float_round_mode_32 0
		.amdhsa_float_round_mode_16_64 0
		.amdhsa_float_denorm_mode_32 3
		.amdhsa_float_denorm_mode_16_64 3
		.amdhsa_dx10_clamp 1
		.amdhsa_ieee_mode 1
		.amdhsa_fp16_overflow 0
		.amdhsa_tg_split 0
		.amdhsa_exception_fp_ieee_invalid_op 0
		.amdhsa_exception_fp_denorm_src 0
		.amdhsa_exception_fp_ieee_div_zero 0
		.amdhsa_exception_fp_ieee_overflow 0
		.amdhsa_exception_fp_ieee_underflow 0
		.amdhsa_exception_fp_ieee_inexact 0
		.amdhsa_exception_int_div_zero 0
	.end_amdhsa_kernel
	.section	.text._ZN7rocprim17ROCPRIM_400000_NS6detail17trampoline_kernelINS0_14default_configENS1_25partition_config_selectorILNS1_17partition_subalgoE9EllbEEZZNS1_14partition_implILS5_9ELb0ES3_jPlS8_PNS0_10empty_typeENS0_5tupleIJS8_S9_EEENSB_IJS8_SA_EEENS0_18inequality_wrapperIZN2at6native12_GLOBAL__N_124unique_dim_cuda_templateIfEESt5tupleIJNSF_6TensorESK_SK_EERKSK_lbbbEUlllE0_EEPmJS9_EEE10hipError_tPvRmT3_T4_T5_T6_T7_T9_mT8_P12ihipStream_tbDpT10_ENKUlT_T0_E_clISt17integral_constantIbLb0EES1A_EEDaS15_S16_EUlS15_E_NS1_11comp_targetILNS1_3genE4ELNS1_11target_archE910ELNS1_3gpuE8ELNS1_3repE0EEENS1_30default_config_static_selectorELNS0_4arch9wavefront6targetE1EEEvT1_,"axG",@progbits,_ZN7rocprim17ROCPRIM_400000_NS6detail17trampoline_kernelINS0_14default_configENS1_25partition_config_selectorILNS1_17partition_subalgoE9EllbEEZZNS1_14partition_implILS5_9ELb0ES3_jPlS8_PNS0_10empty_typeENS0_5tupleIJS8_S9_EEENSB_IJS8_SA_EEENS0_18inequality_wrapperIZN2at6native12_GLOBAL__N_124unique_dim_cuda_templateIfEESt5tupleIJNSF_6TensorESK_SK_EERKSK_lbbbEUlllE0_EEPmJS9_EEE10hipError_tPvRmT3_T4_T5_T6_T7_T9_mT8_P12ihipStream_tbDpT10_ENKUlT_T0_E_clISt17integral_constantIbLb0EES1A_EEDaS15_S16_EUlS15_E_NS1_11comp_targetILNS1_3genE4ELNS1_11target_archE910ELNS1_3gpuE8ELNS1_3repE0EEENS1_30default_config_static_selectorELNS0_4arch9wavefront6targetE1EEEvT1_,comdat
.Lfunc_end970:
	.size	_ZN7rocprim17ROCPRIM_400000_NS6detail17trampoline_kernelINS0_14default_configENS1_25partition_config_selectorILNS1_17partition_subalgoE9EllbEEZZNS1_14partition_implILS5_9ELb0ES3_jPlS8_PNS0_10empty_typeENS0_5tupleIJS8_S9_EEENSB_IJS8_SA_EEENS0_18inequality_wrapperIZN2at6native12_GLOBAL__N_124unique_dim_cuda_templateIfEESt5tupleIJNSF_6TensorESK_SK_EERKSK_lbbbEUlllE0_EEPmJS9_EEE10hipError_tPvRmT3_T4_T5_T6_T7_T9_mT8_P12ihipStream_tbDpT10_ENKUlT_T0_E_clISt17integral_constantIbLb0EES1A_EEDaS15_S16_EUlS15_E_NS1_11comp_targetILNS1_3genE4ELNS1_11target_archE910ELNS1_3gpuE8ELNS1_3repE0EEENS1_30default_config_static_selectorELNS0_4arch9wavefront6targetE1EEEvT1_, .Lfunc_end970-_ZN7rocprim17ROCPRIM_400000_NS6detail17trampoline_kernelINS0_14default_configENS1_25partition_config_selectorILNS1_17partition_subalgoE9EllbEEZZNS1_14partition_implILS5_9ELb0ES3_jPlS8_PNS0_10empty_typeENS0_5tupleIJS8_S9_EEENSB_IJS8_SA_EEENS0_18inequality_wrapperIZN2at6native12_GLOBAL__N_124unique_dim_cuda_templateIfEESt5tupleIJNSF_6TensorESK_SK_EERKSK_lbbbEUlllE0_EEPmJS9_EEE10hipError_tPvRmT3_T4_T5_T6_T7_T9_mT8_P12ihipStream_tbDpT10_ENKUlT_T0_E_clISt17integral_constantIbLb0EES1A_EEDaS15_S16_EUlS15_E_NS1_11comp_targetILNS1_3genE4ELNS1_11target_archE910ELNS1_3gpuE8ELNS1_3repE0EEENS1_30default_config_static_selectorELNS0_4arch9wavefront6targetE1EEEvT1_
                                        ; -- End function
	.section	.AMDGPU.csdata,"",@progbits
; Kernel info:
; codeLenInByte = 0
; NumSgprs: 6
; NumVgprs: 0
; NumAgprs: 0
; TotalNumVgprs: 0
; ScratchSize: 0
; MemoryBound: 0
; FloatMode: 240
; IeeeMode: 1
; LDSByteSize: 0 bytes/workgroup (compile time only)
; SGPRBlocks: 0
; VGPRBlocks: 0
; NumSGPRsForWavesPerEU: 6
; NumVGPRsForWavesPerEU: 1
; AccumOffset: 4
; Occupancy: 8
; WaveLimiterHint : 0
; COMPUTE_PGM_RSRC2:SCRATCH_EN: 0
; COMPUTE_PGM_RSRC2:USER_SGPR: 2
; COMPUTE_PGM_RSRC2:TRAP_HANDLER: 0
; COMPUTE_PGM_RSRC2:TGID_X_EN: 1
; COMPUTE_PGM_RSRC2:TGID_Y_EN: 0
; COMPUTE_PGM_RSRC2:TGID_Z_EN: 0
; COMPUTE_PGM_RSRC2:TIDIG_COMP_CNT: 0
; COMPUTE_PGM_RSRC3_GFX90A:ACCUM_OFFSET: 0
; COMPUTE_PGM_RSRC3_GFX90A:TG_SPLIT: 0
	.section	.text._ZN7rocprim17ROCPRIM_400000_NS6detail17trampoline_kernelINS0_14default_configENS1_25partition_config_selectorILNS1_17partition_subalgoE9EllbEEZZNS1_14partition_implILS5_9ELb0ES3_jPlS8_PNS0_10empty_typeENS0_5tupleIJS8_S9_EEENSB_IJS8_SA_EEENS0_18inequality_wrapperIZN2at6native12_GLOBAL__N_124unique_dim_cuda_templateIfEESt5tupleIJNSF_6TensorESK_SK_EERKSK_lbbbEUlllE0_EEPmJS9_EEE10hipError_tPvRmT3_T4_T5_T6_T7_T9_mT8_P12ihipStream_tbDpT10_ENKUlT_T0_E_clISt17integral_constantIbLb0EES1A_EEDaS15_S16_EUlS15_E_NS1_11comp_targetILNS1_3genE3ELNS1_11target_archE908ELNS1_3gpuE7ELNS1_3repE0EEENS1_30default_config_static_selectorELNS0_4arch9wavefront6targetE1EEEvT1_,"axG",@progbits,_ZN7rocprim17ROCPRIM_400000_NS6detail17trampoline_kernelINS0_14default_configENS1_25partition_config_selectorILNS1_17partition_subalgoE9EllbEEZZNS1_14partition_implILS5_9ELb0ES3_jPlS8_PNS0_10empty_typeENS0_5tupleIJS8_S9_EEENSB_IJS8_SA_EEENS0_18inequality_wrapperIZN2at6native12_GLOBAL__N_124unique_dim_cuda_templateIfEESt5tupleIJNSF_6TensorESK_SK_EERKSK_lbbbEUlllE0_EEPmJS9_EEE10hipError_tPvRmT3_T4_T5_T6_T7_T9_mT8_P12ihipStream_tbDpT10_ENKUlT_T0_E_clISt17integral_constantIbLb0EES1A_EEDaS15_S16_EUlS15_E_NS1_11comp_targetILNS1_3genE3ELNS1_11target_archE908ELNS1_3gpuE7ELNS1_3repE0EEENS1_30default_config_static_selectorELNS0_4arch9wavefront6targetE1EEEvT1_,comdat
	.globl	_ZN7rocprim17ROCPRIM_400000_NS6detail17trampoline_kernelINS0_14default_configENS1_25partition_config_selectorILNS1_17partition_subalgoE9EllbEEZZNS1_14partition_implILS5_9ELb0ES3_jPlS8_PNS0_10empty_typeENS0_5tupleIJS8_S9_EEENSB_IJS8_SA_EEENS0_18inequality_wrapperIZN2at6native12_GLOBAL__N_124unique_dim_cuda_templateIfEESt5tupleIJNSF_6TensorESK_SK_EERKSK_lbbbEUlllE0_EEPmJS9_EEE10hipError_tPvRmT3_T4_T5_T6_T7_T9_mT8_P12ihipStream_tbDpT10_ENKUlT_T0_E_clISt17integral_constantIbLb0EES1A_EEDaS15_S16_EUlS15_E_NS1_11comp_targetILNS1_3genE3ELNS1_11target_archE908ELNS1_3gpuE7ELNS1_3repE0EEENS1_30default_config_static_selectorELNS0_4arch9wavefront6targetE1EEEvT1_ ; -- Begin function _ZN7rocprim17ROCPRIM_400000_NS6detail17trampoline_kernelINS0_14default_configENS1_25partition_config_selectorILNS1_17partition_subalgoE9EllbEEZZNS1_14partition_implILS5_9ELb0ES3_jPlS8_PNS0_10empty_typeENS0_5tupleIJS8_S9_EEENSB_IJS8_SA_EEENS0_18inequality_wrapperIZN2at6native12_GLOBAL__N_124unique_dim_cuda_templateIfEESt5tupleIJNSF_6TensorESK_SK_EERKSK_lbbbEUlllE0_EEPmJS9_EEE10hipError_tPvRmT3_T4_T5_T6_T7_T9_mT8_P12ihipStream_tbDpT10_ENKUlT_T0_E_clISt17integral_constantIbLb0EES1A_EEDaS15_S16_EUlS15_E_NS1_11comp_targetILNS1_3genE3ELNS1_11target_archE908ELNS1_3gpuE7ELNS1_3repE0EEENS1_30default_config_static_selectorELNS0_4arch9wavefront6targetE1EEEvT1_
	.p2align	8
	.type	_ZN7rocprim17ROCPRIM_400000_NS6detail17trampoline_kernelINS0_14default_configENS1_25partition_config_selectorILNS1_17partition_subalgoE9EllbEEZZNS1_14partition_implILS5_9ELb0ES3_jPlS8_PNS0_10empty_typeENS0_5tupleIJS8_S9_EEENSB_IJS8_SA_EEENS0_18inequality_wrapperIZN2at6native12_GLOBAL__N_124unique_dim_cuda_templateIfEESt5tupleIJNSF_6TensorESK_SK_EERKSK_lbbbEUlllE0_EEPmJS9_EEE10hipError_tPvRmT3_T4_T5_T6_T7_T9_mT8_P12ihipStream_tbDpT10_ENKUlT_T0_E_clISt17integral_constantIbLb0EES1A_EEDaS15_S16_EUlS15_E_NS1_11comp_targetILNS1_3genE3ELNS1_11target_archE908ELNS1_3gpuE7ELNS1_3repE0EEENS1_30default_config_static_selectorELNS0_4arch9wavefront6targetE1EEEvT1_,@function
_ZN7rocprim17ROCPRIM_400000_NS6detail17trampoline_kernelINS0_14default_configENS1_25partition_config_selectorILNS1_17partition_subalgoE9EllbEEZZNS1_14partition_implILS5_9ELb0ES3_jPlS8_PNS0_10empty_typeENS0_5tupleIJS8_S9_EEENSB_IJS8_SA_EEENS0_18inequality_wrapperIZN2at6native12_GLOBAL__N_124unique_dim_cuda_templateIfEESt5tupleIJNSF_6TensorESK_SK_EERKSK_lbbbEUlllE0_EEPmJS9_EEE10hipError_tPvRmT3_T4_T5_T6_T7_T9_mT8_P12ihipStream_tbDpT10_ENKUlT_T0_E_clISt17integral_constantIbLb0EES1A_EEDaS15_S16_EUlS15_E_NS1_11comp_targetILNS1_3genE3ELNS1_11target_archE908ELNS1_3gpuE7ELNS1_3repE0EEENS1_30default_config_static_selectorELNS0_4arch9wavefront6targetE1EEEvT1_: ; @_ZN7rocprim17ROCPRIM_400000_NS6detail17trampoline_kernelINS0_14default_configENS1_25partition_config_selectorILNS1_17partition_subalgoE9EllbEEZZNS1_14partition_implILS5_9ELb0ES3_jPlS8_PNS0_10empty_typeENS0_5tupleIJS8_S9_EEENSB_IJS8_SA_EEENS0_18inequality_wrapperIZN2at6native12_GLOBAL__N_124unique_dim_cuda_templateIfEESt5tupleIJNSF_6TensorESK_SK_EERKSK_lbbbEUlllE0_EEPmJS9_EEE10hipError_tPvRmT3_T4_T5_T6_T7_T9_mT8_P12ihipStream_tbDpT10_ENKUlT_T0_E_clISt17integral_constantIbLb0EES1A_EEDaS15_S16_EUlS15_E_NS1_11comp_targetILNS1_3genE3ELNS1_11target_archE908ELNS1_3gpuE7ELNS1_3repE0EEENS1_30default_config_static_selectorELNS0_4arch9wavefront6targetE1EEEvT1_
; %bb.0:
	.section	.rodata,"a",@progbits
	.p2align	6, 0x0
	.amdhsa_kernel _ZN7rocprim17ROCPRIM_400000_NS6detail17trampoline_kernelINS0_14default_configENS1_25partition_config_selectorILNS1_17partition_subalgoE9EllbEEZZNS1_14partition_implILS5_9ELb0ES3_jPlS8_PNS0_10empty_typeENS0_5tupleIJS8_S9_EEENSB_IJS8_SA_EEENS0_18inequality_wrapperIZN2at6native12_GLOBAL__N_124unique_dim_cuda_templateIfEESt5tupleIJNSF_6TensorESK_SK_EERKSK_lbbbEUlllE0_EEPmJS9_EEE10hipError_tPvRmT3_T4_T5_T6_T7_T9_mT8_P12ihipStream_tbDpT10_ENKUlT_T0_E_clISt17integral_constantIbLb0EES1A_EEDaS15_S16_EUlS15_E_NS1_11comp_targetILNS1_3genE3ELNS1_11target_archE908ELNS1_3gpuE7ELNS1_3repE0EEENS1_30default_config_static_selectorELNS0_4arch9wavefront6targetE1EEEvT1_
		.amdhsa_group_segment_fixed_size 0
		.amdhsa_private_segment_fixed_size 0
		.amdhsa_kernarg_size 120
		.amdhsa_user_sgpr_count 2
		.amdhsa_user_sgpr_dispatch_ptr 0
		.amdhsa_user_sgpr_queue_ptr 0
		.amdhsa_user_sgpr_kernarg_segment_ptr 1
		.amdhsa_user_sgpr_dispatch_id 0
		.amdhsa_user_sgpr_kernarg_preload_length 0
		.amdhsa_user_sgpr_kernarg_preload_offset 0
		.amdhsa_user_sgpr_private_segment_size 0
		.amdhsa_uses_dynamic_stack 0
		.amdhsa_enable_private_segment 0
		.amdhsa_system_sgpr_workgroup_id_x 1
		.amdhsa_system_sgpr_workgroup_id_y 0
		.amdhsa_system_sgpr_workgroup_id_z 0
		.amdhsa_system_sgpr_workgroup_info 0
		.amdhsa_system_vgpr_workitem_id 0
		.amdhsa_next_free_vgpr 1
		.amdhsa_next_free_sgpr 0
		.amdhsa_accum_offset 4
		.amdhsa_reserve_vcc 0
		.amdhsa_float_round_mode_32 0
		.amdhsa_float_round_mode_16_64 0
		.amdhsa_float_denorm_mode_32 3
		.amdhsa_float_denorm_mode_16_64 3
		.amdhsa_dx10_clamp 1
		.amdhsa_ieee_mode 1
		.amdhsa_fp16_overflow 0
		.amdhsa_tg_split 0
		.amdhsa_exception_fp_ieee_invalid_op 0
		.amdhsa_exception_fp_denorm_src 0
		.amdhsa_exception_fp_ieee_div_zero 0
		.amdhsa_exception_fp_ieee_overflow 0
		.amdhsa_exception_fp_ieee_underflow 0
		.amdhsa_exception_fp_ieee_inexact 0
		.amdhsa_exception_int_div_zero 0
	.end_amdhsa_kernel
	.section	.text._ZN7rocprim17ROCPRIM_400000_NS6detail17trampoline_kernelINS0_14default_configENS1_25partition_config_selectorILNS1_17partition_subalgoE9EllbEEZZNS1_14partition_implILS5_9ELb0ES3_jPlS8_PNS0_10empty_typeENS0_5tupleIJS8_S9_EEENSB_IJS8_SA_EEENS0_18inequality_wrapperIZN2at6native12_GLOBAL__N_124unique_dim_cuda_templateIfEESt5tupleIJNSF_6TensorESK_SK_EERKSK_lbbbEUlllE0_EEPmJS9_EEE10hipError_tPvRmT3_T4_T5_T6_T7_T9_mT8_P12ihipStream_tbDpT10_ENKUlT_T0_E_clISt17integral_constantIbLb0EES1A_EEDaS15_S16_EUlS15_E_NS1_11comp_targetILNS1_3genE3ELNS1_11target_archE908ELNS1_3gpuE7ELNS1_3repE0EEENS1_30default_config_static_selectorELNS0_4arch9wavefront6targetE1EEEvT1_,"axG",@progbits,_ZN7rocprim17ROCPRIM_400000_NS6detail17trampoline_kernelINS0_14default_configENS1_25partition_config_selectorILNS1_17partition_subalgoE9EllbEEZZNS1_14partition_implILS5_9ELb0ES3_jPlS8_PNS0_10empty_typeENS0_5tupleIJS8_S9_EEENSB_IJS8_SA_EEENS0_18inequality_wrapperIZN2at6native12_GLOBAL__N_124unique_dim_cuda_templateIfEESt5tupleIJNSF_6TensorESK_SK_EERKSK_lbbbEUlllE0_EEPmJS9_EEE10hipError_tPvRmT3_T4_T5_T6_T7_T9_mT8_P12ihipStream_tbDpT10_ENKUlT_T0_E_clISt17integral_constantIbLb0EES1A_EEDaS15_S16_EUlS15_E_NS1_11comp_targetILNS1_3genE3ELNS1_11target_archE908ELNS1_3gpuE7ELNS1_3repE0EEENS1_30default_config_static_selectorELNS0_4arch9wavefront6targetE1EEEvT1_,comdat
.Lfunc_end971:
	.size	_ZN7rocprim17ROCPRIM_400000_NS6detail17trampoline_kernelINS0_14default_configENS1_25partition_config_selectorILNS1_17partition_subalgoE9EllbEEZZNS1_14partition_implILS5_9ELb0ES3_jPlS8_PNS0_10empty_typeENS0_5tupleIJS8_S9_EEENSB_IJS8_SA_EEENS0_18inequality_wrapperIZN2at6native12_GLOBAL__N_124unique_dim_cuda_templateIfEESt5tupleIJNSF_6TensorESK_SK_EERKSK_lbbbEUlllE0_EEPmJS9_EEE10hipError_tPvRmT3_T4_T5_T6_T7_T9_mT8_P12ihipStream_tbDpT10_ENKUlT_T0_E_clISt17integral_constantIbLb0EES1A_EEDaS15_S16_EUlS15_E_NS1_11comp_targetILNS1_3genE3ELNS1_11target_archE908ELNS1_3gpuE7ELNS1_3repE0EEENS1_30default_config_static_selectorELNS0_4arch9wavefront6targetE1EEEvT1_, .Lfunc_end971-_ZN7rocprim17ROCPRIM_400000_NS6detail17trampoline_kernelINS0_14default_configENS1_25partition_config_selectorILNS1_17partition_subalgoE9EllbEEZZNS1_14partition_implILS5_9ELb0ES3_jPlS8_PNS0_10empty_typeENS0_5tupleIJS8_S9_EEENSB_IJS8_SA_EEENS0_18inequality_wrapperIZN2at6native12_GLOBAL__N_124unique_dim_cuda_templateIfEESt5tupleIJNSF_6TensorESK_SK_EERKSK_lbbbEUlllE0_EEPmJS9_EEE10hipError_tPvRmT3_T4_T5_T6_T7_T9_mT8_P12ihipStream_tbDpT10_ENKUlT_T0_E_clISt17integral_constantIbLb0EES1A_EEDaS15_S16_EUlS15_E_NS1_11comp_targetILNS1_3genE3ELNS1_11target_archE908ELNS1_3gpuE7ELNS1_3repE0EEENS1_30default_config_static_selectorELNS0_4arch9wavefront6targetE1EEEvT1_
                                        ; -- End function
	.section	.AMDGPU.csdata,"",@progbits
; Kernel info:
; codeLenInByte = 0
; NumSgprs: 6
; NumVgprs: 0
; NumAgprs: 0
; TotalNumVgprs: 0
; ScratchSize: 0
; MemoryBound: 0
; FloatMode: 240
; IeeeMode: 1
; LDSByteSize: 0 bytes/workgroup (compile time only)
; SGPRBlocks: 0
; VGPRBlocks: 0
; NumSGPRsForWavesPerEU: 6
; NumVGPRsForWavesPerEU: 1
; AccumOffset: 4
; Occupancy: 8
; WaveLimiterHint : 0
; COMPUTE_PGM_RSRC2:SCRATCH_EN: 0
; COMPUTE_PGM_RSRC2:USER_SGPR: 2
; COMPUTE_PGM_RSRC2:TRAP_HANDLER: 0
; COMPUTE_PGM_RSRC2:TGID_X_EN: 1
; COMPUTE_PGM_RSRC2:TGID_Y_EN: 0
; COMPUTE_PGM_RSRC2:TGID_Z_EN: 0
; COMPUTE_PGM_RSRC2:TIDIG_COMP_CNT: 0
; COMPUTE_PGM_RSRC3_GFX90A:ACCUM_OFFSET: 0
; COMPUTE_PGM_RSRC3_GFX90A:TG_SPLIT: 0
	.section	.text._ZN7rocprim17ROCPRIM_400000_NS6detail17trampoline_kernelINS0_14default_configENS1_25partition_config_selectorILNS1_17partition_subalgoE9EllbEEZZNS1_14partition_implILS5_9ELb0ES3_jPlS8_PNS0_10empty_typeENS0_5tupleIJS8_S9_EEENSB_IJS8_SA_EEENS0_18inequality_wrapperIZN2at6native12_GLOBAL__N_124unique_dim_cuda_templateIfEESt5tupleIJNSF_6TensorESK_SK_EERKSK_lbbbEUlllE0_EEPmJS9_EEE10hipError_tPvRmT3_T4_T5_T6_T7_T9_mT8_P12ihipStream_tbDpT10_ENKUlT_T0_E_clISt17integral_constantIbLb0EES1A_EEDaS15_S16_EUlS15_E_NS1_11comp_targetILNS1_3genE2ELNS1_11target_archE906ELNS1_3gpuE6ELNS1_3repE0EEENS1_30default_config_static_selectorELNS0_4arch9wavefront6targetE1EEEvT1_,"axG",@progbits,_ZN7rocprim17ROCPRIM_400000_NS6detail17trampoline_kernelINS0_14default_configENS1_25partition_config_selectorILNS1_17partition_subalgoE9EllbEEZZNS1_14partition_implILS5_9ELb0ES3_jPlS8_PNS0_10empty_typeENS0_5tupleIJS8_S9_EEENSB_IJS8_SA_EEENS0_18inequality_wrapperIZN2at6native12_GLOBAL__N_124unique_dim_cuda_templateIfEESt5tupleIJNSF_6TensorESK_SK_EERKSK_lbbbEUlllE0_EEPmJS9_EEE10hipError_tPvRmT3_T4_T5_T6_T7_T9_mT8_P12ihipStream_tbDpT10_ENKUlT_T0_E_clISt17integral_constantIbLb0EES1A_EEDaS15_S16_EUlS15_E_NS1_11comp_targetILNS1_3genE2ELNS1_11target_archE906ELNS1_3gpuE6ELNS1_3repE0EEENS1_30default_config_static_selectorELNS0_4arch9wavefront6targetE1EEEvT1_,comdat
	.globl	_ZN7rocprim17ROCPRIM_400000_NS6detail17trampoline_kernelINS0_14default_configENS1_25partition_config_selectorILNS1_17partition_subalgoE9EllbEEZZNS1_14partition_implILS5_9ELb0ES3_jPlS8_PNS0_10empty_typeENS0_5tupleIJS8_S9_EEENSB_IJS8_SA_EEENS0_18inequality_wrapperIZN2at6native12_GLOBAL__N_124unique_dim_cuda_templateIfEESt5tupleIJNSF_6TensorESK_SK_EERKSK_lbbbEUlllE0_EEPmJS9_EEE10hipError_tPvRmT3_T4_T5_T6_T7_T9_mT8_P12ihipStream_tbDpT10_ENKUlT_T0_E_clISt17integral_constantIbLb0EES1A_EEDaS15_S16_EUlS15_E_NS1_11comp_targetILNS1_3genE2ELNS1_11target_archE906ELNS1_3gpuE6ELNS1_3repE0EEENS1_30default_config_static_selectorELNS0_4arch9wavefront6targetE1EEEvT1_ ; -- Begin function _ZN7rocprim17ROCPRIM_400000_NS6detail17trampoline_kernelINS0_14default_configENS1_25partition_config_selectorILNS1_17partition_subalgoE9EllbEEZZNS1_14partition_implILS5_9ELb0ES3_jPlS8_PNS0_10empty_typeENS0_5tupleIJS8_S9_EEENSB_IJS8_SA_EEENS0_18inequality_wrapperIZN2at6native12_GLOBAL__N_124unique_dim_cuda_templateIfEESt5tupleIJNSF_6TensorESK_SK_EERKSK_lbbbEUlllE0_EEPmJS9_EEE10hipError_tPvRmT3_T4_T5_T6_T7_T9_mT8_P12ihipStream_tbDpT10_ENKUlT_T0_E_clISt17integral_constantIbLb0EES1A_EEDaS15_S16_EUlS15_E_NS1_11comp_targetILNS1_3genE2ELNS1_11target_archE906ELNS1_3gpuE6ELNS1_3repE0EEENS1_30default_config_static_selectorELNS0_4arch9wavefront6targetE1EEEvT1_
	.p2align	8
	.type	_ZN7rocprim17ROCPRIM_400000_NS6detail17trampoline_kernelINS0_14default_configENS1_25partition_config_selectorILNS1_17partition_subalgoE9EllbEEZZNS1_14partition_implILS5_9ELb0ES3_jPlS8_PNS0_10empty_typeENS0_5tupleIJS8_S9_EEENSB_IJS8_SA_EEENS0_18inequality_wrapperIZN2at6native12_GLOBAL__N_124unique_dim_cuda_templateIfEESt5tupleIJNSF_6TensorESK_SK_EERKSK_lbbbEUlllE0_EEPmJS9_EEE10hipError_tPvRmT3_T4_T5_T6_T7_T9_mT8_P12ihipStream_tbDpT10_ENKUlT_T0_E_clISt17integral_constantIbLb0EES1A_EEDaS15_S16_EUlS15_E_NS1_11comp_targetILNS1_3genE2ELNS1_11target_archE906ELNS1_3gpuE6ELNS1_3repE0EEENS1_30default_config_static_selectorELNS0_4arch9wavefront6targetE1EEEvT1_,@function
_ZN7rocprim17ROCPRIM_400000_NS6detail17trampoline_kernelINS0_14default_configENS1_25partition_config_selectorILNS1_17partition_subalgoE9EllbEEZZNS1_14partition_implILS5_9ELb0ES3_jPlS8_PNS0_10empty_typeENS0_5tupleIJS8_S9_EEENSB_IJS8_SA_EEENS0_18inequality_wrapperIZN2at6native12_GLOBAL__N_124unique_dim_cuda_templateIfEESt5tupleIJNSF_6TensorESK_SK_EERKSK_lbbbEUlllE0_EEPmJS9_EEE10hipError_tPvRmT3_T4_T5_T6_T7_T9_mT8_P12ihipStream_tbDpT10_ENKUlT_T0_E_clISt17integral_constantIbLb0EES1A_EEDaS15_S16_EUlS15_E_NS1_11comp_targetILNS1_3genE2ELNS1_11target_archE906ELNS1_3gpuE6ELNS1_3repE0EEENS1_30default_config_static_selectorELNS0_4arch9wavefront6targetE1EEEvT1_: ; @_ZN7rocprim17ROCPRIM_400000_NS6detail17trampoline_kernelINS0_14default_configENS1_25partition_config_selectorILNS1_17partition_subalgoE9EllbEEZZNS1_14partition_implILS5_9ELb0ES3_jPlS8_PNS0_10empty_typeENS0_5tupleIJS8_S9_EEENSB_IJS8_SA_EEENS0_18inequality_wrapperIZN2at6native12_GLOBAL__N_124unique_dim_cuda_templateIfEESt5tupleIJNSF_6TensorESK_SK_EERKSK_lbbbEUlllE0_EEPmJS9_EEE10hipError_tPvRmT3_T4_T5_T6_T7_T9_mT8_P12ihipStream_tbDpT10_ENKUlT_T0_E_clISt17integral_constantIbLb0EES1A_EEDaS15_S16_EUlS15_E_NS1_11comp_targetILNS1_3genE2ELNS1_11target_archE906ELNS1_3gpuE6ELNS1_3repE0EEENS1_30default_config_static_selectorELNS0_4arch9wavefront6targetE1EEEvT1_
; %bb.0:
	.section	.rodata,"a",@progbits
	.p2align	6, 0x0
	.amdhsa_kernel _ZN7rocprim17ROCPRIM_400000_NS6detail17trampoline_kernelINS0_14default_configENS1_25partition_config_selectorILNS1_17partition_subalgoE9EllbEEZZNS1_14partition_implILS5_9ELb0ES3_jPlS8_PNS0_10empty_typeENS0_5tupleIJS8_S9_EEENSB_IJS8_SA_EEENS0_18inequality_wrapperIZN2at6native12_GLOBAL__N_124unique_dim_cuda_templateIfEESt5tupleIJNSF_6TensorESK_SK_EERKSK_lbbbEUlllE0_EEPmJS9_EEE10hipError_tPvRmT3_T4_T5_T6_T7_T9_mT8_P12ihipStream_tbDpT10_ENKUlT_T0_E_clISt17integral_constantIbLb0EES1A_EEDaS15_S16_EUlS15_E_NS1_11comp_targetILNS1_3genE2ELNS1_11target_archE906ELNS1_3gpuE6ELNS1_3repE0EEENS1_30default_config_static_selectorELNS0_4arch9wavefront6targetE1EEEvT1_
		.amdhsa_group_segment_fixed_size 0
		.amdhsa_private_segment_fixed_size 0
		.amdhsa_kernarg_size 120
		.amdhsa_user_sgpr_count 2
		.amdhsa_user_sgpr_dispatch_ptr 0
		.amdhsa_user_sgpr_queue_ptr 0
		.amdhsa_user_sgpr_kernarg_segment_ptr 1
		.amdhsa_user_sgpr_dispatch_id 0
		.amdhsa_user_sgpr_kernarg_preload_length 0
		.amdhsa_user_sgpr_kernarg_preload_offset 0
		.amdhsa_user_sgpr_private_segment_size 0
		.amdhsa_uses_dynamic_stack 0
		.amdhsa_enable_private_segment 0
		.amdhsa_system_sgpr_workgroup_id_x 1
		.amdhsa_system_sgpr_workgroup_id_y 0
		.amdhsa_system_sgpr_workgroup_id_z 0
		.amdhsa_system_sgpr_workgroup_info 0
		.amdhsa_system_vgpr_workitem_id 0
		.amdhsa_next_free_vgpr 1
		.amdhsa_next_free_sgpr 0
		.amdhsa_accum_offset 4
		.amdhsa_reserve_vcc 0
		.amdhsa_float_round_mode_32 0
		.amdhsa_float_round_mode_16_64 0
		.amdhsa_float_denorm_mode_32 3
		.amdhsa_float_denorm_mode_16_64 3
		.amdhsa_dx10_clamp 1
		.amdhsa_ieee_mode 1
		.amdhsa_fp16_overflow 0
		.amdhsa_tg_split 0
		.amdhsa_exception_fp_ieee_invalid_op 0
		.amdhsa_exception_fp_denorm_src 0
		.amdhsa_exception_fp_ieee_div_zero 0
		.amdhsa_exception_fp_ieee_overflow 0
		.amdhsa_exception_fp_ieee_underflow 0
		.amdhsa_exception_fp_ieee_inexact 0
		.amdhsa_exception_int_div_zero 0
	.end_amdhsa_kernel
	.section	.text._ZN7rocprim17ROCPRIM_400000_NS6detail17trampoline_kernelINS0_14default_configENS1_25partition_config_selectorILNS1_17partition_subalgoE9EllbEEZZNS1_14partition_implILS5_9ELb0ES3_jPlS8_PNS0_10empty_typeENS0_5tupleIJS8_S9_EEENSB_IJS8_SA_EEENS0_18inequality_wrapperIZN2at6native12_GLOBAL__N_124unique_dim_cuda_templateIfEESt5tupleIJNSF_6TensorESK_SK_EERKSK_lbbbEUlllE0_EEPmJS9_EEE10hipError_tPvRmT3_T4_T5_T6_T7_T9_mT8_P12ihipStream_tbDpT10_ENKUlT_T0_E_clISt17integral_constantIbLb0EES1A_EEDaS15_S16_EUlS15_E_NS1_11comp_targetILNS1_3genE2ELNS1_11target_archE906ELNS1_3gpuE6ELNS1_3repE0EEENS1_30default_config_static_selectorELNS0_4arch9wavefront6targetE1EEEvT1_,"axG",@progbits,_ZN7rocprim17ROCPRIM_400000_NS6detail17trampoline_kernelINS0_14default_configENS1_25partition_config_selectorILNS1_17partition_subalgoE9EllbEEZZNS1_14partition_implILS5_9ELb0ES3_jPlS8_PNS0_10empty_typeENS0_5tupleIJS8_S9_EEENSB_IJS8_SA_EEENS0_18inequality_wrapperIZN2at6native12_GLOBAL__N_124unique_dim_cuda_templateIfEESt5tupleIJNSF_6TensorESK_SK_EERKSK_lbbbEUlllE0_EEPmJS9_EEE10hipError_tPvRmT3_T4_T5_T6_T7_T9_mT8_P12ihipStream_tbDpT10_ENKUlT_T0_E_clISt17integral_constantIbLb0EES1A_EEDaS15_S16_EUlS15_E_NS1_11comp_targetILNS1_3genE2ELNS1_11target_archE906ELNS1_3gpuE6ELNS1_3repE0EEENS1_30default_config_static_selectorELNS0_4arch9wavefront6targetE1EEEvT1_,comdat
.Lfunc_end972:
	.size	_ZN7rocprim17ROCPRIM_400000_NS6detail17trampoline_kernelINS0_14default_configENS1_25partition_config_selectorILNS1_17partition_subalgoE9EllbEEZZNS1_14partition_implILS5_9ELb0ES3_jPlS8_PNS0_10empty_typeENS0_5tupleIJS8_S9_EEENSB_IJS8_SA_EEENS0_18inequality_wrapperIZN2at6native12_GLOBAL__N_124unique_dim_cuda_templateIfEESt5tupleIJNSF_6TensorESK_SK_EERKSK_lbbbEUlllE0_EEPmJS9_EEE10hipError_tPvRmT3_T4_T5_T6_T7_T9_mT8_P12ihipStream_tbDpT10_ENKUlT_T0_E_clISt17integral_constantIbLb0EES1A_EEDaS15_S16_EUlS15_E_NS1_11comp_targetILNS1_3genE2ELNS1_11target_archE906ELNS1_3gpuE6ELNS1_3repE0EEENS1_30default_config_static_selectorELNS0_4arch9wavefront6targetE1EEEvT1_, .Lfunc_end972-_ZN7rocprim17ROCPRIM_400000_NS6detail17trampoline_kernelINS0_14default_configENS1_25partition_config_selectorILNS1_17partition_subalgoE9EllbEEZZNS1_14partition_implILS5_9ELb0ES3_jPlS8_PNS0_10empty_typeENS0_5tupleIJS8_S9_EEENSB_IJS8_SA_EEENS0_18inequality_wrapperIZN2at6native12_GLOBAL__N_124unique_dim_cuda_templateIfEESt5tupleIJNSF_6TensorESK_SK_EERKSK_lbbbEUlllE0_EEPmJS9_EEE10hipError_tPvRmT3_T4_T5_T6_T7_T9_mT8_P12ihipStream_tbDpT10_ENKUlT_T0_E_clISt17integral_constantIbLb0EES1A_EEDaS15_S16_EUlS15_E_NS1_11comp_targetILNS1_3genE2ELNS1_11target_archE906ELNS1_3gpuE6ELNS1_3repE0EEENS1_30default_config_static_selectorELNS0_4arch9wavefront6targetE1EEEvT1_
                                        ; -- End function
	.section	.AMDGPU.csdata,"",@progbits
; Kernel info:
; codeLenInByte = 0
; NumSgprs: 6
; NumVgprs: 0
; NumAgprs: 0
; TotalNumVgprs: 0
; ScratchSize: 0
; MemoryBound: 0
; FloatMode: 240
; IeeeMode: 1
; LDSByteSize: 0 bytes/workgroup (compile time only)
; SGPRBlocks: 0
; VGPRBlocks: 0
; NumSGPRsForWavesPerEU: 6
; NumVGPRsForWavesPerEU: 1
; AccumOffset: 4
; Occupancy: 8
; WaveLimiterHint : 0
; COMPUTE_PGM_RSRC2:SCRATCH_EN: 0
; COMPUTE_PGM_RSRC2:USER_SGPR: 2
; COMPUTE_PGM_RSRC2:TRAP_HANDLER: 0
; COMPUTE_PGM_RSRC2:TGID_X_EN: 1
; COMPUTE_PGM_RSRC2:TGID_Y_EN: 0
; COMPUTE_PGM_RSRC2:TGID_Z_EN: 0
; COMPUTE_PGM_RSRC2:TIDIG_COMP_CNT: 0
; COMPUTE_PGM_RSRC3_GFX90A:ACCUM_OFFSET: 0
; COMPUTE_PGM_RSRC3_GFX90A:TG_SPLIT: 0
	.section	.text._ZN7rocprim17ROCPRIM_400000_NS6detail17trampoline_kernelINS0_14default_configENS1_25partition_config_selectorILNS1_17partition_subalgoE9EllbEEZZNS1_14partition_implILS5_9ELb0ES3_jPlS8_PNS0_10empty_typeENS0_5tupleIJS8_S9_EEENSB_IJS8_SA_EEENS0_18inequality_wrapperIZN2at6native12_GLOBAL__N_124unique_dim_cuda_templateIfEESt5tupleIJNSF_6TensorESK_SK_EERKSK_lbbbEUlllE0_EEPmJS9_EEE10hipError_tPvRmT3_T4_T5_T6_T7_T9_mT8_P12ihipStream_tbDpT10_ENKUlT_T0_E_clISt17integral_constantIbLb0EES1A_EEDaS15_S16_EUlS15_E_NS1_11comp_targetILNS1_3genE10ELNS1_11target_archE1200ELNS1_3gpuE4ELNS1_3repE0EEENS1_30default_config_static_selectorELNS0_4arch9wavefront6targetE1EEEvT1_,"axG",@progbits,_ZN7rocprim17ROCPRIM_400000_NS6detail17trampoline_kernelINS0_14default_configENS1_25partition_config_selectorILNS1_17partition_subalgoE9EllbEEZZNS1_14partition_implILS5_9ELb0ES3_jPlS8_PNS0_10empty_typeENS0_5tupleIJS8_S9_EEENSB_IJS8_SA_EEENS0_18inequality_wrapperIZN2at6native12_GLOBAL__N_124unique_dim_cuda_templateIfEESt5tupleIJNSF_6TensorESK_SK_EERKSK_lbbbEUlllE0_EEPmJS9_EEE10hipError_tPvRmT3_T4_T5_T6_T7_T9_mT8_P12ihipStream_tbDpT10_ENKUlT_T0_E_clISt17integral_constantIbLb0EES1A_EEDaS15_S16_EUlS15_E_NS1_11comp_targetILNS1_3genE10ELNS1_11target_archE1200ELNS1_3gpuE4ELNS1_3repE0EEENS1_30default_config_static_selectorELNS0_4arch9wavefront6targetE1EEEvT1_,comdat
	.globl	_ZN7rocprim17ROCPRIM_400000_NS6detail17trampoline_kernelINS0_14default_configENS1_25partition_config_selectorILNS1_17partition_subalgoE9EllbEEZZNS1_14partition_implILS5_9ELb0ES3_jPlS8_PNS0_10empty_typeENS0_5tupleIJS8_S9_EEENSB_IJS8_SA_EEENS0_18inequality_wrapperIZN2at6native12_GLOBAL__N_124unique_dim_cuda_templateIfEESt5tupleIJNSF_6TensorESK_SK_EERKSK_lbbbEUlllE0_EEPmJS9_EEE10hipError_tPvRmT3_T4_T5_T6_T7_T9_mT8_P12ihipStream_tbDpT10_ENKUlT_T0_E_clISt17integral_constantIbLb0EES1A_EEDaS15_S16_EUlS15_E_NS1_11comp_targetILNS1_3genE10ELNS1_11target_archE1200ELNS1_3gpuE4ELNS1_3repE0EEENS1_30default_config_static_selectorELNS0_4arch9wavefront6targetE1EEEvT1_ ; -- Begin function _ZN7rocprim17ROCPRIM_400000_NS6detail17trampoline_kernelINS0_14default_configENS1_25partition_config_selectorILNS1_17partition_subalgoE9EllbEEZZNS1_14partition_implILS5_9ELb0ES3_jPlS8_PNS0_10empty_typeENS0_5tupleIJS8_S9_EEENSB_IJS8_SA_EEENS0_18inequality_wrapperIZN2at6native12_GLOBAL__N_124unique_dim_cuda_templateIfEESt5tupleIJNSF_6TensorESK_SK_EERKSK_lbbbEUlllE0_EEPmJS9_EEE10hipError_tPvRmT3_T4_T5_T6_T7_T9_mT8_P12ihipStream_tbDpT10_ENKUlT_T0_E_clISt17integral_constantIbLb0EES1A_EEDaS15_S16_EUlS15_E_NS1_11comp_targetILNS1_3genE10ELNS1_11target_archE1200ELNS1_3gpuE4ELNS1_3repE0EEENS1_30default_config_static_selectorELNS0_4arch9wavefront6targetE1EEEvT1_
	.p2align	8
	.type	_ZN7rocprim17ROCPRIM_400000_NS6detail17trampoline_kernelINS0_14default_configENS1_25partition_config_selectorILNS1_17partition_subalgoE9EllbEEZZNS1_14partition_implILS5_9ELb0ES3_jPlS8_PNS0_10empty_typeENS0_5tupleIJS8_S9_EEENSB_IJS8_SA_EEENS0_18inequality_wrapperIZN2at6native12_GLOBAL__N_124unique_dim_cuda_templateIfEESt5tupleIJNSF_6TensorESK_SK_EERKSK_lbbbEUlllE0_EEPmJS9_EEE10hipError_tPvRmT3_T4_T5_T6_T7_T9_mT8_P12ihipStream_tbDpT10_ENKUlT_T0_E_clISt17integral_constantIbLb0EES1A_EEDaS15_S16_EUlS15_E_NS1_11comp_targetILNS1_3genE10ELNS1_11target_archE1200ELNS1_3gpuE4ELNS1_3repE0EEENS1_30default_config_static_selectorELNS0_4arch9wavefront6targetE1EEEvT1_,@function
_ZN7rocprim17ROCPRIM_400000_NS6detail17trampoline_kernelINS0_14default_configENS1_25partition_config_selectorILNS1_17partition_subalgoE9EllbEEZZNS1_14partition_implILS5_9ELb0ES3_jPlS8_PNS0_10empty_typeENS0_5tupleIJS8_S9_EEENSB_IJS8_SA_EEENS0_18inequality_wrapperIZN2at6native12_GLOBAL__N_124unique_dim_cuda_templateIfEESt5tupleIJNSF_6TensorESK_SK_EERKSK_lbbbEUlllE0_EEPmJS9_EEE10hipError_tPvRmT3_T4_T5_T6_T7_T9_mT8_P12ihipStream_tbDpT10_ENKUlT_T0_E_clISt17integral_constantIbLb0EES1A_EEDaS15_S16_EUlS15_E_NS1_11comp_targetILNS1_3genE10ELNS1_11target_archE1200ELNS1_3gpuE4ELNS1_3repE0EEENS1_30default_config_static_selectorELNS0_4arch9wavefront6targetE1EEEvT1_: ; @_ZN7rocprim17ROCPRIM_400000_NS6detail17trampoline_kernelINS0_14default_configENS1_25partition_config_selectorILNS1_17partition_subalgoE9EllbEEZZNS1_14partition_implILS5_9ELb0ES3_jPlS8_PNS0_10empty_typeENS0_5tupleIJS8_S9_EEENSB_IJS8_SA_EEENS0_18inequality_wrapperIZN2at6native12_GLOBAL__N_124unique_dim_cuda_templateIfEESt5tupleIJNSF_6TensorESK_SK_EERKSK_lbbbEUlllE0_EEPmJS9_EEE10hipError_tPvRmT3_T4_T5_T6_T7_T9_mT8_P12ihipStream_tbDpT10_ENKUlT_T0_E_clISt17integral_constantIbLb0EES1A_EEDaS15_S16_EUlS15_E_NS1_11comp_targetILNS1_3genE10ELNS1_11target_archE1200ELNS1_3gpuE4ELNS1_3repE0EEENS1_30default_config_static_selectorELNS0_4arch9wavefront6targetE1EEEvT1_
; %bb.0:
	.section	.rodata,"a",@progbits
	.p2align	6, 0x0
	.amdhsa_kernel _ZN7rocprim17ROCPRIM_400000_NS6detail17trampoline_kernelINS0_14default_configENS1_25partition_config_selectorILNS1_17partition_subalgoE9EllbEEZZNS1_14partition_implILS5_9ELb0ES3_jPlS8_PNS0_10empty_typeENS0_5tupleIJS8_S9_EEENSB_IJS8_SA_EEENS0_18inequality_wrapperIZN2at6native12_GLOBAL__N_124unique_dim_cuda_templateIfEESt5tupleIJNSF_6TensorESK_SK_EERKSK_lbbbEUlllE0_EEPmJS9_EEE10hipError_tPvRmT3_T4_T5_T6_T7_T9_mT8_P12ihipStream_tbDpT10_ENKUlT_T0_E_clISt17integral_constantIbLb0EES1A_EEDaS15_S16_EUlS15_E_NS1_11comp_targetILNS1_3genE10ELNS1_11target_archE1200ELNS1_3gpuE4ELNS1_3repE0EEENS1_30default_config_static_selectorELNS0_4arch9wavefront6targetE1EEEvT1_
		.amdhsa_group_segment_fixed_size 0
		.amdhsa_private_segment_fixed_size 0
		.amdhsa_kernarg_size 120
		.amdhsa_user_sgpr_count 2
		.amdhsa_user_sgpr_dispatch_ptr 0
		.amdhsa_user_sgpr_queue_ptr 0
		.amdhsa_user_sgpr_kernarg_segment_ptr 1
		.amdhsa_user_sgpr_dispatch_id 0
		.amdhsa_user_sgpr_kernarg_preload_length 0
		.amdhsa_user_sgpr_kernarg_preload_offset 0
		.amdhsa_user_sgpr_private_segment_size 0
		.amdhsa_uses_dynamic_stack 0
		.amdhsa_enable_private_segment 0
		.amdhsa_system_sgpr_workgroup_id_x 1
		.amdhsa_system_sgpr_workgroup_id_y 0
		.amdhsa_system_sgpr_workgroup_id_z 0
		.amdhsa_system_sgpr_workgroup_info 0
		.amdhsa_system_vgpr_workitem_id 0
		.amdhsa_next_free_vgpr 1
		.amdhsa_next_free_sgpr 0
		.amdhsa_accum_offset 4
		.amdhsa_reserve_vcc 0
		.amdhsa_float_round_mode_32 0
		.amdhsa_float_round_mode_16_64 0
		.amdhsa_float_denorm_mode_32 3
		.amdhsa_float_denorm_mode_16_64 3
		.amdhsa_dx10_clamp 1
		.amdhsa_ieee_mode 1
		.amdhsa_fp16_overflow 0
		.amdhsa_tg_split 0
		.amdhsa_exception_fp_ieee_invalid_op 0
		.amdhsa_exception_fp_denorm_src 0
		.amdhsa_exception_fp_ieee_div_zero 0
		.amdhsa_exception_fp_ieee_overflow 0
		.amdhsa_exception_fp_ieee_underflow 0
		.amdhsa_exception_fp_ieee_inexact 0
		.amdhsa_exception_int_div_zero 0
	.end_amdhsa_kernel
	.section	.text._ZN7rocprim17ROCPRIM_400000_NS6detail17trampoline_kernelINS0_14default_configENS1_25partition_config_selectorILNS1_17partition_subalgoE9EllbEEZZNS1_14partition_implILS5_9ELb0ES3_jPlS8_PNS0_10empty_typeENS0_5tupleIJS8_S9_EEENSB_IJS8_SA_EEENS0_18inequality_wrapperIZN2at6native12_GLOBAL__N_124unique_dim_cuda_templateIfEESt5tupleIJNSF_6TensorESK_SK_EERKSK_lbbbEUlllE0_EEPmJS9_EEE10hipError_tPvRmT3_T4_T5_T6_T7_T9_mT8_P12ihipStream_tbDpT10_ENKUlT_T0_E_clISt17integral_constantIbLb0EES1A_EEDaS15_S16_EUlS15_E_NS1_11comp_targetILNS1_3genE10ELNS1_11target_archE1200ELNS1_3gpuE4ELNS1_3repE0EEENS1_30default_config_static_selectorELNS0_4arch9wavefront6targetE1EEEvT1_,"axG",@progbits,_ZN7rocprim17ROCPRIM_400000_NS6detail17trampoline_kernelINS0_14default_configENS1_25partition_config_selectorILNS1_17partition_subalgoE9EllbEEZZNS1_14partition_implILS5_9ELb0ES3_jPlS8_PNS0_10empty_typeENS0_5tupleIJS8_S9_EEENSB_IJS8_SA_EEENS0_18inequality_wrapperIZN2at6native12_GLOBAL__N_124unique_dim_cuda_templateIfEESt5tupleIJNSF_6TensorESK_SK_EERKSK_lbbbEUlllE0_EEPmJS9_EEE10hipError_tPvRmT3_T4_T5_T6_T7_T9_mT8_P12ihipStream_tbDpT10_ENKUlT_T0_E_clISt17integral_constantIbLb0EES1A_EEDaS15_S16_EUlS15_E_NS1_11comp_targetILNS1_3genE10ELNS1_11target_archE1200ELNS1_3gpuE4ELNS1_3repE0EEENS1_30default_config_static_selectorELNS0_4arch9wavefront6targetE1EEEvT1_,comdat
.Lfunc_end973:
	.size	_ZN7rocprim17ROCPRIM_400000_NS6detail17trampoline_kernelINS0_14default_configENS1_25partition_config_selectorILNS1_17partition_subalgoE9EllbEEZZNS1_14partition_implILS5_9ELb0ES3_jPlS8_PNS0_10empty_typeENS0_5tupleIJS8_S9_EEENSB_IJS8_SA_EEENS0_18inequality_wrapperIZN2at6native12_GLOBAL__N_124unique_dim_cuda_templateIfEESt5tupleIJNSF_6TensorESK_SK_EERKSK_lbbbEUlllE0_EEPmJS9_EEE10hipError_tPvRmT3_T4_T5_T6_T7_T9_mT8_P12ihipStream_tbDpT10_ENKUlT_T0_E_clISt17integral_constantIbLb0EES1A_EEDaS15_S16_EUlS15_E_NS1_11comp_targetILNS1_3genE10ELNS1_11target_archE1200ELNS1_3gpuE4ELNS1_3repE0EEENS1_30default_config_static_selectorELNS0_4arch9wavefront6targetE1EEEvT1_, .Lfunc_end973-_ZN7rocprim17ROCPRIM_400000_NS6detail17trampoline_kernelINS0_14default_configENS1_25partition_config_selectorILNS1_17partition_subalgoE9EllbEEZZNS1_14partition_implILS5_9ELb0ES3_jPlS8_PNS0_10empty_typeENS0_5tupleIJS8_S9_EEENSB_IJS8_SA_EEENS0_18inequality_wrapperIZN2at6native12_GLOBAL__N_124unique_dim_cuda_templateIfEESt5tupleIJNSF_6TensorESK_SK_EERKSK_lbbbEUlllE0_EEPmJS9_EEE10hipError_tPvRmT3_T4_T5_T6_T7_T9_mT8_P12ihipStream_tbDpT10_ENKUlT_T0_E_clISt17integral_constantIbLb0EES1A_EEDaS15_S16_EUlS15_E_NS1_11comp_targetILNS1_3genE10ELNS1_11target_archE1200ELNS1_3gpuE4ELNS1_3repE0EEENS1_30default_config_static_selectorELNS0_4arch9wavefront6targetE1EEEvT1_
                                        ; -- End function
	.section	.AMDGPU.csdata,"",@progbits
; Kernel info:
; codeLenInByte = 0
; NumSgprs: 6
; NumVgprs: 0
; NumAgprs: 0
; TotalNumVgprs: 0
; ScratchSize: 0
; MemoryBound: 0
; FloatMode: 240
; IeeeMode: 1
; LDSByteSize: 0 bytes/workgroup (compile time only)
; SGPRBlocks: 0
; VGPRBlocks: 0
; NumSGPRsForWavesPerEU: 6
; NumVGPRsForWavesPerEU: 1
; AccumOffset: 4
; Occupancy: 8
; WaveLimiterHint : 0
; COMPUTE_PGM_RSRC2:SCRATCH_EN: 0
; COMPUTE_PGM_RSRC2:USER_SGPR: 2
; COMPUTE_PGM_RSRC2:TRAP_HANDLER: 0
; COMPUTE_PGM_RSRC2:TGID_X_EN: 1
; COMPUTE_PGM_RSRC2:TGID_Y_EN: 0
; COMPUTE_PGM_RSRC2:TGID_Z_EN: 0
; COMPUTE_PGM_RSRC2:TIDIG_COMP_CNT: 0
; COMPUTE_PGM_RSRC3_GFX90A:ACCUM_OFFSET: 0
; COMPUTE_PGM_RSRC3_GFX90A:TG_SPLIT: 0
	.section	.text._ZN7rocprim17ROCPRIM_400000_NS6detail17trampoline_kernelINS0_14default_configENS1_25partition_config_selectorILNS1_17partition_subalgoE9EllbEEZZNS1_14partition_implILS5_9ELb0ES3_jPlS8_PNS0_10empty_typeENS0_5tupleIJS8_S9_EEENSB_IJS8_SA_EEENS0_18inequality_wrapperIZN2at6native12_GLOBAL__N_124unique_dim_cuda_templateIfEESt5tupleIJNSF_6TensorESK_SK_EERKSK_lbbbEUlllE0_EEPmJS9_EEE10hipError_tPvRmT3_T4_T5_T6_T7_T9_mT8_P12ihipStream_tbDpT10_ENKUlT_T0_E_clISt17integral_constantIbLb0EES1A_EEDaS15_S16_EUlS15_E_NS1_11comp_targetILNS1_3genE9ELNS1_11target_archE1100ELNS1_3gpuE3ELNS1_3repE0EEENS1_30default_config_static_selectorELNS0_4arch9wavefront6targetE1EEEvT1_,"axG",@progbits,_ZN7rocprim17ROCPRIM_400000_NS6detail17trampoline_kernelINS0_14default_configENS1_25partition_config_selectorILNS1_17partition_subalgoE9EllbEEZZNS1_14partition_implILS5_9ELb0ES3_jPlS8_PNS0_10empty_typeENS0_5tupleIJS8_S9_EEENSB_IJS8_SA_EEENS0_18inequality_wrapperIZN2at6native12_GLOBAL__N_124unique_dim_cuda_templateIfEESt5tupleIJNSF_6TensorESK_SK_EERKSK_lbbbEUlllE0_EEPmJS9_EEE10hipError_tPvRmT3_T4_T5_T6_T7_T9_mT8_P12ihipStream_tbDpT10_ENKUlT_T0_E_clISt17integral_constantIbLb0EES1A_EEDaS15_S16_EUlS15_E_NS1_11comp_targetILNS1_3genE9ELNS1_11target_archE1100ELNS1_3gpuE3ELNS1_3repE0EEENS1_30default_config_static_selectorELNS0_4arch9wavefront6targetE1EEEvT1_,comdat
	.globl	_ZN7rocprim17ROCPRIM_400000_NS6detail17trampoline_kernelINS0_14default_configENS1_25partition_config_selectorILNS1_17partition_subalgoE9EllbEEZZNS1_14partition_implILS5_9ELb0ES3_jPlS8_PNS0_10empty_typeENS0_5tupleIJS8_S9_EEENSB_IJS8_SA_EEENS0_18inequality_wrapperIZN2at6native12_GLOBAL__N_124unique_dim_cuda_templateIfEESt5tupleIJNSF_6TensorESK_SK_EERKSK_lbbbEUlllE0_EEPmJS9_EEE10hipError_tPvRmT3_T4_T5_T6_T7_T9_mT8_P12ihipStream_tbDpT10_ENKUlT_T0_E_clISt17integral_constantIbLb0EES1A_EEDaS15_S16_EUlS15_E_NS1_11comp_targetILNS1_3genE9ELNS1_11target_archE1100ELNS1_3gpuE3ELNS1_3repE0EEENS1_30default_config_static_selectorELNS0_4arch9wavefront6targetE1EEEvT1_ ; -- Begin function _ZN7rocprim17ROCPRIM_400000_NS6detail17trampoline_kernelINS0_14default_configENS1_25partition_config_selectorILNS1_17partition_subalgoE9EllbEEZZNS1_14partition_implILS5_9ELb0ES3_jPlS8_PNS0_10empty_typeENS0_5tupleIJS8_S9_EEENSB_IJS8_SA_EEENS0_18inequality_wrapperIZN2at6native12_GLOBAL__N_124unique_dim_cuda_templateIfEESt5tupleIJNSF_6TensorESK_SK_EERKSK_lbbbEUlllE0_EEPmJS9_EEE10hipError_tPvRmT3_T4_T5_T6_T7_T9_mT8_P12ihipStream_tbDpT10_ENKUlT_T0_E_clISt17integral_constantIbLb0EES1A_EEDaS15_S16_EUlS15_E_NS1_11comp_targetILNS1_3genE9ELNS1_11target_archE1100ELNS1_3gpuE3ELNS1_3repE0EEENS1_30default_config_static_selectorELNS0_4arch9wavefront6targetE1EEEvT1_
	.p2align	8
	.type	_ZN7rocprim17ROCPRIM_400000_NS6detail17trampoline_kernelINS0_14default_configENS1_25partition_config_selectorILNS1_17partition_subalgoE9EllbEEZZNS1_14partition_implILS5_9ELb0ES3_jPlS8_PNS0_10empty_typeENS0_5tupleIJS8_S9_EEENSB_IJS8_SA_EEENS0_18inequality_wrapperIZN2at6native12_GLOBAL__N_124unique_dim_cuda_templateIfEESt5tupleIJNSF_6TensorESK_SK_EERKSK_lbbbEUlllE0_EEPmJS9_EEE10hipError_tPvRmT3_T4_T5_T6_T7_T9_mT8_P12ihipStream_tbDpT10_ENKUlT_T0_E_clISt17integral_constantIbLb0EES1A_EEDaS15_S16_EUlS15_E_NS1_11comp_targetILNS1_3genE9ELNS1_11target_archE1100ELNS1_3gpuE3ELNS1_3repE0EEENS1_30default_config_static_selectorELNS0_4arch9wavefront6targetE1EEEvT1_,@function
_ZN7rocprim17ROCPRIM_400000_NS6detail17trampoline_kernelINS0_14default_configENS1_25partition_config_selectorILNS1_17partition_subalgoE9EllbEEZZNS1_14partition_implILS5_9ELb0ES3_jPlS8_PNS0_10empty_typeENS0_5tupleIJS8_S9_EEENSB_IJS8_SA_EEENS0_18inequality_wrapperIZN2at6native12_GLOBAL__N_124unique_dim_cuda_templateIfEESt5tupleIJNSF_6TensorESK_SK_EERKSK_lbbbEUlllE0_EEPmJS9_EEE10hipError_tPvRmT3_T4_T5_T6_T7_T9_mT8_P12ihipStream_tbDpT10_ENKUlT_T0_E_clISt17integral_constantIbLb0EES1A_EEDaS15_S16_EUlS15_E_NS1_11comp_targetILNS1_3genE9ELNS1_11target_archE1100ELNS1_3gpuE3ELNS1_3repE0EEENS1_30default_config_static_selectorELNS0_4arch9wavefront6targetE1EEEvT1_: ; @_ZN7rocprim17ROCPRIM_400000_NS6detail17trampoline_kernelINS0_14default_configENS1_25partition_config_selectorILNS1_17partition_subalgoE9EllbEEZZNS1_14partition_implILS5_9ELb0ES3_jPlS8_PNS0_10empty_typeENS0_5tupleIJS8_S9_EEENSB_IJS8_SA_EEENS0_18inequality_wrapperIZN2at6native12_GLOBAL__N_124unique_dim_cuda_templateIfEESt5tupleIJNSF_6TensorESK_SK_EERKSK_lbbbEUlllE0_EEPmJS9_EEE10hipError_tPvRmT3_T4_T5_T6_T7_T9_mT8_P12ihipStream_tbDpT10_ENKUlT_T0_E_clISt17integral_constantIbLb0EES1A_EEDaS15_S16_EUlS15_E_NS1_11comp_targetILNS1_3genE9ELNS1_11target_archE1100ELNS1_3gpuE3ELNS1_3repE0EEENS1_30default_config_static_selectorELNS0_4arch9wavefront6targetE1EEEvT1_
; %bb.0:
	.section	.rodata,"a",@progbits
	.p2align	6, 0x0
	.amdhsa_kernel _ZN7rocprim17ROCPRIM_400000_NS6detail17trampoline_kernelINS0_14default_configENS1_25partition_config_selectorILNS1_17partition_subalgoE9EllbEEZZNS1_14partition_implILS5_9ELb0ES3_jPlS8_PNS0_10empty_typeENS0_5tupleIJS8_S9_EEENSB_IJS8_SA_EEENS0_18inequality_wrapperIZN2at6native12_GLOBAL__N_124unique_dim_cuda_templateIfEESt5tupleIJNSF_6TensorESK_SK_EERKSK_lbbbEUlllE0_EEPmJS9_EEE10hipError_tPvRmT3_T4_T5_T6_T7_T9_mT8_P12ihipStream_tbDpT10_ENKUlT_T0_E_clISt17integral_constantIbLb0EES1A_EEDaS15_S16_EUlS15_E_NS1_11comp_targetILNS1_3genE9ELNS1_11target_archE1100ELNS1_3gpuE3ELNS1_3repE0EEENS1_30default_config_static_selectorELNS0_4arch9wavefront6targetE1EEEvT1_
		.amdhsa_group_segment_fixed_size 0
		.amdhsa_private_segment_fixed_size 0
		.amdhsa_kernarg_size 120
		.amdhsa_user_sgpr_count 2
		.amdhsa_user_sgpr_dispatch_ptr 0
		.amdhsa_user_sgpr_queue_ptr 0
		.amdhsa_user_sgpr_kernarg_segment_ptr 1
		.amdhsa_user_sgpr_dispatch_id 0
		.amdhsa_user_sgpr_kernarg_preload_length 0
		.amdhsa_user_sgpr_kernarg_preload_offset 0
		.amdhsa_user_sgpr_private_segment_size 0
		.amdhsa_uses_dynamic_stack 0
		.amdhsa_enable_private_segment 0
		.amdhsa_system_sgpr_workgroup_id_x 1
		.amdhsa_system_sgpr_workgroup_id_y 0
		.amdhsa_system_sgpr_workgroup_id_z 0
		.amdhsa_system_sgpr_workgroup_info 0
		.amdhsa_system_vgpr_workitem_id 0
		.amdhsa_next_free_vgpr 1
		.amdhsa_next_free_sgpr 0
		.amdhsa_accum_offset 4
		.amdhsa_reserve_vcc 0
		.amdhsa_float_round_mode_32 0
		.amdhsa_float_round_mode_16_64 0
		.amdhsa_float_denorm_mode_32 3
		.amdhsa_float_denorm_mode_16_64 3
		.amdhsa_dx10_clamp 1
		.amdhsa_ieee_mode 1
		.amdhsa_fp16_overflow 0
		.amdhsa_tg_split 0
		.amdhsa_exception_fp_ieee_invalid_op 0
		.amdhsa_exception_fp_denorm_src 0
		.amdhsa_exception_fp_ieee_div_zero 0
		.amdhsa_exception_fp_ieee_overflow 0
		.amdhsa_exception_fp_ieee_underflow 0
		.amdhsa_exception_fp_ieee_inexact 0
		.amdhsa_exception_int_div_zero 0
	.end_amdhsa_kernel
	.section	.text._ZN7rocprim17ROCPRIM_400000_NS6detail17trampoline_kernelINS0_14default_configENS1_25partition_config_selectorILNS1_17partition_subalgoE9EllbEEZZNS1_14partition_implILS5_9ELb0ES3_jPlS8_PNS0_10empty_typeENS0_5tupleIJS8_S9_EEENSB_IJS8_SA_EEENS0_18inequality_wrapperIZN2at6native12_GLOBAL__N_124unique_dim_cuda_templateIfEESt5tupleIJNSF_6TensorESK_SK_EERKSK_lbbbEUlllE0_EEPmJS9_EEE10hipError_tPvRmT3_T4_T5_T6_T7_T9_mT8_P12ihipStream_tbDpT10_ENKUlT_T0_E_clISt17integral_constantIbLb0EES1A_EEDaS15_S16_EUlS15_E_NS1_11comp_targetILNS1_3genE9ELNS1_11target_archE1100ELNS1_3gpuE3ELNS1_3repE0EEENS1_30default_config_static_selectorELNS0_4arch9wavefront6targetE1EEEvT1_,"axG",@progbits,_ZN7rocprim17ROCPRIM_400000_NS6detail17trampoline_kernelINS0_14default_configENS1_25partition_config_selectorILNS1_17partition_subalgoE9EllbEEZZNS1_14partition_implILS5_9ELb0ES3_jPlS8_PNS0_10empty_typeENS0_5tupleIJS8_S9_EEENSB_IJS8_SA_EEENS0_18inequality_wrapperIZN2at6native12_GLOBAL__N_124unique_dim_cuda_templateIfEESt5tupleIJNSF_6TensorESK_SK_EERKSK_lbbbEUlllE0_EEPmJS9_EEE10hipError_tPvRmT3_T4_T5_T6_T7_T9_mT8_P12ihipStream_tbDpT10_ENKUlT_T0_E_clISt17integral_constantIbLb0EES1A_EEDaS15_S16_EUlS15_E_NS1_11comp_targetILNS1_3genE9ELNS1_11target_archE1100ELNS1_3gpuE3ELNS1_3repE0EEENS1_30default_config_static_selectorELNS0_4arch9wavefront6targetE1EEEvT1_,comdat
.Lfunc_end974:
	.size	_ZN7rocprim17ROCPRIM_400000_NS6detail17trampoline_kernelINS0_14default_configENS1_25partition_config_selectorILNS1_17partition_subalgoE9EllbEEZZNS1_14partition_implILS5_9ELb0ES3_jPlS8_PNS0_10empty_typeENS0_5tupleIJS8_S9_EEENSB_IJS8_SA_EEENS0_18inequality_wrapperIZN2at6native12_GLOBAL__N_124unique_dim_cuda_templateIfEESt5tupleIJNSF_6TensorESK_SK_EERKSK_lbbbEUlllE0_EEPmJS9_EEE10hipError_tPvRmT3_T4_T5_T6_T7_T9_mT8_P12ihipStream_tbDpT10_ENKUlT_T0_E_clISt17integral_constantIbLb0EES1A_EEDaS15_S16_EUlS15_E_NS1_11comp_targetILNS1_3genE9ELNS1_11target_archE1100ELNS1_3gpuE3ELNS1_3repE0EEENS1_30default_config_static_selectorELNS0_4arch9wavefront6targetE1EEEvT1_, .Lfunc_end974-_ZN7rocprim17ROCPRIM_400000_NS6detail17trampoline_kernelINS0_14default_configENS1_25partition_config_selectorILNS1_17partition_subalgoE9EllbEEZZNS1_14partition_implILS5_9ELb0ES3_jPlS8_PNS0_10empty_typeENS0_5tupleIJS8_S9_EEENSB_IJS8_SA_EEENS0_18inequality_wrapperIZN2at6native12_GLOBAL__N_124unique_dim_cuda_templateIfEESt5tupleIJNSF_6TensorESK_SK_EERKSK_lbbbEUlllE0_EEPmJS9_EEE10hipError_tPvRmT3_T4_T5_T6_T7_T9_mT8_P12ihipStream_tbDpT10_ENKUlT_T0_E_clISt17integral_constantIbLb0EES1A_EEDaS15_S16_EUlS15_E_NS1_11comp_targetILNS1_3genE9ELNS1_11target_archE1100ELNS1_3gpuE3ELNS1_3repE0EEENS1_30default_config_static_selectorELNS0_4arch9wavefront6targetE1EEEvT1_
                                        ; -- End function
	.section	.AMDGPU.csdata,"",@progbits
; Kernel info:
; codeLenInByte = 0
; NumSgprs: 6
; NumVgprs: 0
; NumAgprs: 0
; TotalNumVgprs: 0
; ScratchSize: 0
; MemoryBound: 0
; FloatMode: 240
; IeeeMode: 1
; LDSByteSize: 0 bytes/workgroup (compile time only)
; SGPRBlocks: 0
; VGPRBlocks: 0
; NumSGPRsForWavesPerEU: 6
; NumVGPRsForWavesPerEU: 1
; AccumOffset: 4
; Occupancy: 8
; WaveLimiterHint : 0
; COMPUTE_PGM_RSRC2:SCRATCH_EN: 0
; COMPUTE_PGM_RSRC2:USER_SGPR: 2
; COMPUTE_PGM_RSRC2:TRAP_HANDLER: 0
; COMPUTE_PGM_RSRC2:TGID_X_EN: 1
; COMPUTE_PGM_RSRC2:TGID_Y_EN: 0
; COMPUTE_PGM_RSRC2:TGID_Z_EN: 0
; COMPUTE_PGM_RSRC2:TIDIG_COMP_CNT: 0
; COMPUTE_PGM_RSRC3_GFX90A:ACCUM_OFFSET: 0
; COMPUTE_PGM_RSRC3_GFX90A:TG_SPLIT: 0
	.section	.text._ZN7rocprim17ROCPRIM_400000_NS6detail17trampoline_kernelINS0_14default_configENS1_25partition_config_selectorILNS1_17partition_subalgoE9EllbEEZZNS1_14partition_implILS5_9ELb0ES3_jPlS8_PNS0_10empty_typeENS0_5tupleIJS8_S9_EEENSB_IJS8_SA_EEENS0_18inequality_wrapperIZN2at6native12_GLOBAL__N_124unique_dim_cuda_templateIfEESt5tupleIJNSF_6TensorESK_SK_EERKSK_lbbbEUlllE0_EEPmJS9_EEE10hipError_tPvRmT3_T4_T5_T6_T7_T9_mT8_P12ihipStream_tbDpT10_ENKUlT_T0_E_clISt17integral_constantIbLb0EES1A_EEDaS15_S16_EUlS15_E_NS1_11comp_targetILNS1_3genE8ELNS1_11target_archE1030ELNS1_3gpuE2ELNS1_3repE0EEENS1_30default_config_static_selectorELNS0_4arch9wavefront6targetE1EEEvT1_,"axG",@progbits,_ZN7rocprim17ROCPRIM_400000_NS6detail17trampoline_kernelINS0_14default_configENS1_25partition_config_selectorILNS1_17partition_subalgoE9EllbEEZZNS1_14partition_implILS5_9ELb0ES3_jPlS8_PNS0_10empty_typeENS0_5tupleIJS8_S9_EEENSB_IJS8_SA_EEENS0_18inequality_wrapperIZN2at6native12_GLOBAL__N_124unique_dim_cuda_templateIfEESt5tupleIJNSF_6TensorESK_SK_EERKSK_lbbbEUlllE0_EEPmJS9_EEE10hipError_tPvRmT3_T4_T5_T6_T7_T9_mT8_P12ihipStream_tbDpT10_ENKUlT_T0_E_clISt17integral_constantIbLb0EES1A_EEDaS15_S16_EUlS15_E_NS1_11comp_targetILNS1_3genE8ELNS1_11target_archE1030ELNS1_3gpuE2ELNS1_3repE0EEENS1_30default_config_static_selectorELNS0_4arch9wavefront6targetE1EEEvT1_,comdat
	.globl	_ZN7rocprim17ROCPRIM_400000_NS6detail17trampoline_kernelINS0_14default_configENS1_25partition_config_selectorILNS1_17partition_subalgoE9EllbEEZZNS1_14partition_implILS5_9ELb0ES3_jPlS8_PNS0_10empty_typeENS0_5tupleIJS8_S9_EEENSB_IJS8_SA_EEENS0_18inequality_wrapperIZN2at6native12_GLOBAL__N_124unique_dim_cuda_templateIfEESt5tupleIJNSF_6TensorESK_SK_EERKSK_lbbbEUlllE0_EEPmJS9_EEE10hipError_tPvRmT3_T4_T5_T6_T7_T9_mT8_P12ihipStream_tbDpT10_ENKUlT_T0_E_clISt17integral_constantIbLb0EES1A_EEDaS15_S16_EUlS15_E_NS1_11comp_targetILNS1_3genE8ELNS1_11target_archE1030ELNS1_3gpuE2ELNS1_3repE0EEENS1_30default_config_static_selectorELNS0_4arch9wavefront6targetE1EEEvT1_ ; -- Begin function _ZN7rocprim17ROCPRIM_400000_NS6detail17trampoline_kernelINS0_14default_configENS1_25partition_config_selectorILNS1_17partition_subalgoE9EllbEEZZNS1_14partition_implILS5_9ELb0ES3_jPlS8_PNS0_10empty_typeENS0_5tupleIJS8_S9_EEENSB_IJS8_SA_EEENS0_18inequality_wrapperIZN2at6native12_GLOBAL__N_124unique_dim_cuda_templateIfEESt5tupleIJNSF_6TensorESK_SK_EERKSK_lbbbEUlllE0_EEPmJS9_EEE10hipError_tPvRmT3_T4_T5_T6_T7_T9_mT8_P12ihipStream_tbDpT10_ENKUlT_T0_E_clISt17integral_constantIbLb0EES1A_EEDaS15_S16_EUlS15_E_NS1_11comp_targetILNS1_3genE8ELNS1_11target_archE1030ELNS1_3gpuE2ELNS1_3repE0EEENS1_30default_config_static_selectorELNS0_4arch9wavefront6targetE1EEEvT1_
	.p2align	8
	.type	_ZN7rocprim17ROCPRIM_400000_NS6detail17trampoline_kernelINS0_14default_configENS1_25partition_config_selectorILNS1_17partition_subalgoE9EllbEEZZNS1_14partition_implILS5_9ELb0ES3_jPlS8_PNS0_10empty_typeENS0_5tupleIJS8_S9_EEENSB_IJS8_SA_EEENS0_18inequality_wrapperIZN2at6native12_GLOBAL__N_124unique_dim_cuda_templateIfEESt5tupleIJNSF_6TensorESK_SK_EERKSK_lbbbEUlllE0_EEPmJS9_EEE10hipError_tPvRmT3_T4_T5_T6_T7_T9_mT8_P12ihipStream_tbDpT10_ENKUlT_T0_E_clISt17integral_constantIbLb0EES1A_EEDaS15_S16_EUlS15_E_NS1_11comp_targetILNS1_3genE8ELNS1_11target_archE1030ELNS1_3gpuE2ELNS1_3repE0EEENS1_30default_config_static_selectorELNS0_4arch9wavefront6targetE1EEEvT1_,@function
_ZN7rocprim17ROCPRIM_400000_NS6detail17trampoline_kernelINS0_14default_configENS1_25partition_config_selectorILNS1_17partition_subalgoE9EllbEEZZNS1_14partition_implILS5_9ELb0ES3_jPlS8_PNS0_10empty_typeENS0_5tupleIJS8_S9_EEENSB_IJS8_SA_EEENS0_18inequality_wrapperIZN2at6native12_GLOBAL__N_124unique_dim_cuda_templateIfEESt5tupleIJNSF_6TensorESK_SK_EERKSK_lbbbEUlllE0_EEPmJS9_EEE10hipError_tPvRmT3_T4_T5_T6_T7_T9_mT8_P12ihipStream_tbDpT10_ENKUlT_T0_E_clISt17integral_constantIbLb0EES1A_EEDaS15_S16_EUlS15_E_NS1_11comp_targetILNS1_3genE8ELNS1_11target_archE1030ELNS1_3gpuE2ELNS1_3repE0EEENS1_30default_config_static_selectorELNS0_4arch9wavefront6targetE1EEEvT1_: ; @_ZN7rocprim17ROCPRIM_400000_NS6detail17trampoline_kernelINS0_14default_configENS1_25partition_config_selectorILNS1_17partition_subalgoE9EllbEEZZNS1_14partition_implILS5_9ELb0ES3_jPlS8_PNS0_10empty_typeENS0_5tupleIJS8_S9_EEENSB_IJS8_SA_EEENS0_18inequality_wrapperIZN2at6native12_GLOBAL__N_124unique_dim_cuda_templateIfEESt5tupleIJNSF_6TensorESK_SK_EERKSK_lbbbEUlllE0_EEPmJS9_EEE10hipError_tPvRmT3_T4_T5_T6_T7_T9_mT8_P12ihipStream_tbDpT10_ENKUlT_T0_E_clISt17integral_constantIbLb0EES1A_EEDaS15_S16_EUlS15_E_NS1_11comp_targetILNS1_3genE8ELNS1_11target_archE1030ELNS1_3gpuE2ELNS1_3repE0EEENS1_30default_config_static_selectorELNS0_4arch9wavefront6targetE1EEEvT1_
; %bb.0:
	.section	.rodata,"a",@progbits
	.p2align	6, 0x0
	.amdhsa_kernel _ZN7rocprim17ROCPRIM_400000_NS6detail17trampoline_kernelINS0_14default_configENS1_25partition_config_selectorILNS1_17partition_subalgoE9EllbEEZZNS1_14partition_implILS5_9ELb0ES3_jPlS8_PNS0_10empty_typeENS0_5tupleIJS8_S9_EEENSB_IJS8_SA_EEENS0_18inequality_wrapperIZN2at6native12_GLOBAL__N_124unique_dim_cuda_templateIfEESt5tupleIJNSF_6TensorESK_SK_EERKSK_lbbbEUlllE0_EEPmJS9_EEE10hipError_tPvRmT3_T4_T5_T6_T7_T9_mT8_P12ihipStream_tbDpT10_ENKUlT_T0_E_clISt17integral_constantIbLb0EES1A_EEDaS15_S16_EUlS15_E_NS1_11comp_targetILNS1_3genE8ELNS1_11target_archE1030ELNS1_3gpuE2ELNS1_3repE0EEENS1_30default_config_static_selectorELNS0_4arch9wavefront6targetE1EEEvT1_
		.amdhsa_group_segment_fixed_size 0
		.amdhsa_private_segment_fixed_size 0
		.amdhsa_kernarg_size 120
		.amdhsa_user_sgpr_count 2
		.amdhsa_user_sgpr_dispatch_ptr 0
		.amdhsa_user_sgpr_queue_ptr 0
		.amdhsa_user_sgpr_kernarg_segment_ptr 1
		.amdhsa_user_sgpr_dispatch_id 0
		.amdhsa_user_sgpr_kernarg_preload_length 0
		.amdhsa_user_sgpr_kernarg_preload_offset 0
		.amdhsa_user_sgpr_private_segment_size 0
		.amdhsa_uses_dynamic_stack 0
		.amdhsa_enable_private_segment 0
		.amdhsa_system_sgpr_workgroup_id_x 1
		.amdhsa_system_sgpr_workgroup_id_y 0
		.amdhsa_system_sgpr_workgroup_id_z 0
		.amdhsa_system_sgpr_workgroup_info 0
		.amdhsa_system_vgpr_workitem_id 0
		.amdhsa_next_free_vgpr 1
		.amdhsa_next_free_sgpr 0
		.amdhsa_accum_offset 4
		.amdhsa_reserve_vcc 0
		.amdhsa_float_round_mode_32 0
		.amdhsa_float_round_mode_16_64 0
		.amdhsa_float_denorm_mode_32 3
		.amdhsa_float_denorm_mode_16_64 3
		.amdhsa_dx10_clamp 1
		.amdhsa_ieee_mode 1
		.amdhsa_fp16_overflow 0
		.amdhsa_tg_split 0
		.amdhsa_exception_fp_ieee_invalid_op 0
		.amdhsa_exception_fp_denorm_src 0
		.amdhsa_exception_fp_ieee_div_zero 0
		.amdhsa_exception_fp_ieee_overflow 0
		.amdhsa_exception_fp_ieee_underflow 0
		.amdhsa_exception_fp_ieee_inexact 0
		.amdhsa_exception_int_div_zero 0
	.end_amdhsa_kernel
	.section	.text._ZN7rocprim17ROCPRIM_400000_NS6detail17trampoline_kernelINS0_14default_configENS1_25partition_config_selectorILNS1_17partition_subalgoE9EllbEEZZNS1_14partition_implILS5_9ELb0ES3_jPlS8_PNS0_10empty_typeENS0_5tupleIJS8_S9_EEENSB_IJS8_SA_EEENS0_18inequality_wrapperIZN2at6native12_GLOBAL__N_124unique_dim_cuda_templateIfEESt5tupleIJNSF_6TensorESK_SK_EERKSK_lbbbEUlllE0_EEPmJS9_EEE10hipError_tPvRmT3_T4_T5_T6_T7_T9_mT8_P12ihipStream_tbDpT10_ENKUlT_T0_E_clISt17integral_constantIbLb0EES1A_EEDaS15_S16_EUlS15_E_NS1_11comp_targetILNS1_3genE8ELNS1_11target_archE1030ELNS1_3gpuE2ELNS1_3repE0EEENS1_30default_config_static_selectorELNS0_4arch9wavefront6targetE1EEEvT1_,"axG",@progbits,_ZN7rocprim17ROCPRIM_400000_NS6detail17trampoline_kernelINS0_14default_configENS1_25partition_config_selectorILNS1_17partition_subalgoE9EllbEEZZNS1_14partition_implILS5_9ELb0ES3_jPlS8_PNS0_10empty_typeENS0_5tupleIJS8_S9_EEENSB_IJS8_SA_EEENS0_18inequality_wrapperIZN2at6native12_GLOBAL__N_124unique_dim_cuda_templateIfEESt5tupleIJNSF_6TensorESK_SK_EERKSK_lbbbEUlllE0_EEPmJS9_EEE10hipError_tPvRmT3_T4_T5_T6_T7_T9_mT8_P12ihipStream_tbDpT10_ENKUlT_T0_E_clISt17integral_constantIbLb0EES1A_EEDaS15_S16_EUlS15_E_NS1_11comp_targetILNS1_3genE8ELNS1_11target_archE1030ELNS1_3gpuE2ELNS1_3repE0EEENS1_30default_config_static_selectorELNS0_4arch9wavefront6targetE1EEEvT1_,comdat
.Lfunc_end975:
	.size	_ZN7rocprim17ROCPRIM_400000_NS6detail17trampoline_kernelINS0_14default_configENS1_25partition_config_selectorILNS1_17partition_subalgoE9EllbEEZZNS1_14partition_implILS5_9ELb0ES3_jPlS8_PNS0_10empty_typeENS0_5tupleIJS8_S9_EEENSB_IJS8_SA_EEENS0_18inequality_wrapperIZN2at6native12_GLOBAL__N_124unique_dim_cuda_templateIfEESt5tupleIJNSF_6TensorESK_SK_EERKSK_lbbbEUlllE0_EEPmJS9_EEE10hipError_tPvRmT3_T4_T5_T6_T7_T9_mT8_P12ihipStream_tbDpT10_ENKUlT_T0_E_clISt17integral_constantIbLb0EES1A_EEDaS15_S16_EUlS15_E_NS1_11comp_targetILNS1_3genE8ELNS1_11target_archE1030ELNS1_3gpuE2ELNS1_3repE0EEENS1_30default_config_static_selectorELNS0_4arch9wavefront6targetE1EEEvT1_, .Lfunc_end975-_ZN7rocprim17ROCPRIM_400000_NS6detail17trampoline_kernelINS0_14default_configENS1_25partition_config_selectorILNS1_17partition_subalgoE9EllbEEZZNS1_14partition_implILS5_9ELb0ES3_jPlS8_PNS0_10empty_typeENS0_5tupleIJS8_S9_EEENSB_IJS8_SA_EEENS0_18inequality_wrapperIZN2at6native12_GLOBAL__N_124unique_dim_cuda_templateIfEESt5tupleIJNSF_6TensorESK_SK_EERKSK_lbbbEUlllE0_EEPmJS9_EEE10hipError_tPvRmT3_T4_T5_T6_T7_T9_mT8_P12ihipStream_tbDpT10_ENKUlT_T0_E_clISt17integral_constantIbLb0EES1A_EEDaS15_S16_EUlS15_E_NS1_11comp_targetILNS1_3genE8ELNS1_11target_archE1030ELNS1_3gpuE2ELNS1_3repE0EEENS1_30default_config_static_selectorELNS0_4arch9wavefront6targetE1EEEvT1_
                                        ; -- End function
	.section	.AMDGPU.csdata,"",@progbits
; Kernel info:
; codeLenInByte = 0
; NumSgprs: 6
; NumVgprs: 0
; NumAgprs: 0
; TotalNumVgprs: 0
; ScratchSize: 0
; MemoryBound: 0
; FloatMode: 240
; IeeeMode: 1
; LDSByteSize: 0 bytes/workgroup (compile time only)
; SGPRBlocks: 0
; VGPRBlocks: 0
; NumSGPRsForWavesPerEU: 6
; NumVGPRsForWavesPerEU: 1
; AccumOffset: 4
; Occupancy: 8
; WaveLimiterHint : 0
; COMPUTE_PGM_RSRC2:SCRATCH_EN: 0
; COMPUTE_PGM_RSRC2:USER_SGPR: 2
; COMPUTE_PGM_RSRC2:TRAP_HANDLER: 0
; COMPUTE_PGM_RSRC2:TGID_X_EN: 1
; COMPUTE_PGM_RSRC2:TGID_Y_EN: 0
; COMPUTE_PGM_RSRC2:TGID_Z_EN: 0
; COMPUTE_PGM_RSRC2:TIDIG_COMP_CNT: 0
; COMPUTE_PGM_RSRC3_GFX90A:ACCUM_OFFSET: 0
; COMPUTE_PGM_RSRC3_GFX90A:TG_SPLIT: 0
	.section	.text._ZN7rocprim17ROCPRIM_400000_NS6detail17trampoline_kernelINS0_14default_configENS1_25partition_config_selectorILNS1_17partition_subalgoE9EllbEEZZNS1_14partition_implILS5_9ELb0ES3_jPlS8_PNS0_10empty_typeENS0_5tupleIJS8_S9_EEENSB_IJS8_SA_EEENS0_18inequality_wrapperIZN2at6native12_GLOBAL__N_124unique_dim_cuda_templateIfEESt5tupleIJNSF_6TensorESK_SK_EERKSK_lbbbEUlllE0_EEPmJS9_EEE10hipError_tPvRmT3_T4_T5_T6_T7_T9_mT8_P12ihipStream_tbDpT10_ENKUlT_T0_E_clISt17integral_constantIbLb1EES1A_EEDaS15_S16_EUlS15_E_NS1_11comp_targetILNS1_3genE0ELNS1_11target_archE4294967295ELNS1_3gpuE0ELNS1_3repE0EEENS1_30default_config_static_selectorELNS0_4arch9wavefront6targetE1EEEvT1_,"axG",@progbits,_ZN7rocprim17ROCPRIM_400000_NS6detail17trampoline_kernelINS0_14default_configENS1_25partition_config_selectorILNS1_17partition_subalgoE9EllbEEZZNS1_14partition_implILS5_9ELb0ES3_jPlS8_PNS0_10empty_typeENS0_5tupleIJS8_S9_EEENSB_IJS8_SA_EEENS0_18inequality_wrapperIZN2at6native12_GLOBAL__N_124unique_dim_cuda_templateIfEESt5tupleIJNSF_6TensorESK_SK_EERKSK_lbbbEUlllE0_EEPmJS9_EEE10hipError_tPvRmT3_T4_T5_T6_T7_T9_mT8_P12ihipStream_tbDpT10_ENKUlT_T0_E_clISt17integral_constantIbLb1EES1A_EEDaS15_S16_EUlS15_E_NS1_11comp_targetILNS1_3genE0ELNS1_11target_archE4294967295ELNS1_3gpuE0ELNS1_3repE0EEENS1_30default_config_static_selectorELNS0_4arch9wavefront6targetE1EEEvT1_,comdat
	.globl	_ZN7rocprim17ROCPRIM_400000_NS6detail17trampoline_kernelINS0_14default_configENS1_25partition_config_selectorILNS1_17partition_subalgoE9EllbEEZZNS1_14partition_implILS5_9ELb0ES3_jPlS8_PNS0_10empty_typeENS0_5tupleIJS8_S9_EEENSB_IJS8_SA_EEENS0_18inequality_wrapperIZN2at6native12_GLOBAL__N_124unique_dim_cuda_templateIfEESt5tupleIJNSF_6TensorESK_SK_EERKSK_lbbbEUlllE0_EEPmJS9_EEE10hipError_tPvRmT3_T4_T5_T6_T7_T9_mT8_P12ihipStream_tbDpT10_ENKUlT_T0_E_clISt17integral_constantIbLb1EES1A_EEDaS15_S16_EUlS15_E_NS1_11comp_targetILNS1_3genE0ELNS1_11target_archE4294967295ELNS1_3gpuE0ELNS1_3repE0EEENS1_30default_config_static_selectorELNS0_4arch9wavefront6targetE1EEEvT1_ ; -- Begin function _ZN7rocprim17ROCPRIM_400000_NS6detail17trampoline_kernelINS0_14default_configENS1_25partition_config_selectorILNS1_17partition_subalgoE9EllbEEZZNS1_14partition_implILS5_9ELb0ES3_jPlS8_PNS0_10empty_typeENS0_5tupleIJS8_S9_EEENSB_IJS8_SA_EEENS0_18inequality_wrapperIZN2at6native12_GLOBAL__N_124unique_dim_cuda_templateIfEESt5tupleIJNSF_6TensorESK_SK_EERKSK_lbbbEUlllE0_EEPmJS9_EEE10hipError_tPvRmT3_T4_T5_T6_T7_T9_mT8_P12ihipStream_tbDpT10_ENKUlT_T0_E_clISt17integral_constantIbLb1EES1A_EEDaS15_S16_EUlS15_E_NS1_11comp_targetILNS1_3genE0ELNS1_11target_archE4294967295ELNS1_3gpuE0ELNS1_3repE0EEENS1_30default_config_static_selectorELNS0_4arch9wavefront6targetE1EEEvT1_
	.p2align	8
	.type	_ZN7rocprim17ROCPRIM_400000_NS6detail17trampoline_kernelINS0_14default_configENS1_25partition_config_selectorILNS1_17partition_subalgoE9EllbEEZZNS1_14partition_implILS5_9ELb0ES3_jPlS8_PNS0_10empty_typeENS0_5tupleIJS8_S9_EEENSB_IJS8_SA_EEENS0_18inequality_wrapperIZN2at6native12_GLOBAL__N_124unique_dim_cuda_templateIfEESt5tupleIJNSF_6TensorESK_SK_EERKSK_lbbbEUlllE0_EEPmJS9_EEE10hipError_tPvRmT3_T4_T5_T6_T7_T9_mT8_P12ihipStream_tbDpT10_ENKUlT_T0_E_clISt17integral_constantIbLb1EES1A_EEDaS15_S16_EUlS15_E_NS1_11comp_targetILNS1_3genE0ELNS1_11target_archE4294967295ELNS1_3gpuE0ELNS1_3repE0EEENS1_30default_config_static_selectorELNS0_4arch9wavefront6targetE1EEEvT1_,@function
_ZN7rocprim17ROCPRIM_400000_NS6detail17trampoline_kernelINS0_14default_configENS1_25partition_config_selectorILNS1_17partition_subalgoE9EllbEEZZNS1_14partition_implILS5_9ELb0ES3_jPlS8_PNS0_10empty_typeENS0_5tupleIJS8_S9_EEENSB_IJS8_SA_EEENS0_18inequality_wrapperIZN2at6native12_GLOBAL__N_124unique_dim_cuda_templateIfEESt5tupleIJNSF_6TensorESK_SK_EERKSK_lbbbEUlllE0_EEPmJS9_EEE10hipError_tPvRmT3_T4_T5_T6_T7_T9_mT8_P12ihipStream_tbDpT10_ENKUlT_T0_E_clISt17integral_constantIbLb1EES1A_EEDaS15_S16_EUlS15_E_NS1_11comp_targetILNS1_3genE0ELNS1_11target_archE4294967295ELNS1_3gpuE0ELNS1_3repE0EEENS1_30default_config_static_selectorELNS0_4arch9wavefront6targetE1EEEvT1_: ; @_ZN7rocprim17ROCPRIM_400000_NS6detail17trampoline_kernelINS0_14default_configENS1_25partition_config_selectorILNS1_17partition_subalgoE9EllbEEZZNS1_14partition_implILS5_9ELb0ES3_jPlS8_PNS0_10empty_typeENS0_5tupleIJS8_S9_EEENSB_IJS8_SA_EEENS0_18inequality_wrapperIZN2at6native12_GLOBAL__N_124unique_dim_cuda_templateIfEESt5tupleIJNSF_6TensorESK_SK_EERKSK_lbbbEUlllE0_EEPmJS9_EEE10hipError_tPvRmT3_T4_T5_T6_T7_T9_mT8_P12ihipStream_tbDpT10_ENKUlT_T0_E_clISt17integral_constantIbLb1EES1A_EEDaS15_S16_EUlS15_E_NS1_11comp_targetILNS1_3genE0ELNS1_11target_archE4294967295ELNS1_3gpuE0ELNS1_3repE0EEENS1_30default_config_static_selectorELNS0_4arch9wavefront6targetE1EEEvT1_
; %bb.0:
	.section	.rodata,"a",@progbits
	.p2align	6, 0x0
	.amdhsa_kernel _ZN7rocprim17ROCPRIM_400000_NS6detail17trampoline_kernelINS0_14default_configENS1_25partition_config_selectorILNS1_17partition_subalgoE9EllbEEZZNS1_14partition_implILS5_9ELb0ES3_jPlS8_PNS0_10empty_typeENS0_5tupleIJS8_S9_EEENSB_IJS8_SA_EEENS0_18inequality_wrapperIZN2at6native12_GLOBAL__N_124unique_dim_cuda_templateIfEESt5tupleIJNSF_6TensorESK_SK_EERKSK_lbbbEUlllE0_EEPmJS9_EEE10hipError_tPvRmT3_T4_T5_T6_T7_T9_mT8_P12ihipStream_tbDpT10_ENKUlT_T0_E_clISt17integral_constantIbLb1EES1A_EEDaS15_S16_EUlS15_E_NS1_11comp_targetILNS1_3genE0ELNS1_11target_archE4294967295ELNS1_3gpuE0ELNS1_3repE0EEENS1_30default_config_static_selectorELNS0_4arch9wavefront6targetE1EEEvT1_
		.amdhsa_group_segment_fixed_size 0
		.amdhsa_private_segment_fixed_size 0
		.amdhsa_kernarg_size 136
		.amdhsa_user_sgpr_count 2
		.amdhsa_user_sgpr_dispatch_ptr 0
		.amdhsa_user_sgpr_queue_ptr 0
		.amdhsa_user_sgpr_kernarg_segment_ptr 1
		.amdhsa_user_sgpr_dispatch_id 0
		.amdhsa_user_sgpr_kernarg_preload_length 0
		.amdhsa_user_sgpr_kernarg_preload_offset 0
		.amdhsa_user_sgpr_private_segment_size 0
		.amdhsa_uses_dynamic_stack 0
		.amdhsa_enable_private_segment 0
		.amdhsa_system_sgpr_workgroup_id_x 1
		.amdhsa_system_sgpr_workgroup_id_y 0
		.amdhsa_system_sgpr_workgroup_id_z 0
		.amdhsa_system_sgpr_workgroup_info 0
		.amdhsa_system_vgpr_workitem_id 0
		.amdhsa_next_free_vgpr 1
		.amdhsa_next_free_sgpr 0
		.amdhsa_accum_offset 4
		.amdhsa_reserve_vcc 0
		.amdhsa_float_round_mode_32 0
		.amdhsa_float_round_mode_16_64 0
		.amdhsa_float_denorm_mode_32 3
		.amdhsa_float_denorm_mode_16_64 3
		.amdhsa_dx10_clamp 1
		.amdhsa_ieee_mode 1
		.amdhsa_fp16_overflow 0
		.amdhsa_tg_split 0
		.amdhsa_exception_fp_ieee_invalid_op 0
		.amdhsa_exception_fp_denorm_src 0
		.amdhsa_exception_fp_ieee_div_zero 0
		.amdhsa_exception_fp_ieee_overflow 0
		.amdhsa_exception_fp_ieee_underflow 0
		.amdhsa_exception_fp_ieee_inexact 0
		.amdhsa_exception_int_div_zero 0
	.end_amdhsa_kernel
	.section	.text._ZN7rocprim17ROCPRIM_400000_NS6detail17trampoline_kernelINS0_14default_configENS1_25partition_config_selectorILNS1_17partition_subalgoE9EllbEEZZNS1_14partition_implILS5_9ELb0ES3_jPlS8_PNS0_10empty_typeENS0_5tupleIJS8_S9_EEENSB_IJS8_SA_EEENS0_18inequality_wrapperIZN2at6native12_GLOBAL__N_124unique_dim_cuda_templateIfEESt5tupleIJNSF_6TensorESK_SK_EERKSK_lbbbEUlllE0_EEPmJS9_EEE10hipError_tPvRmT3_T4_T5_T6_T7_T9_mT8_P12ihipStream_tbDpT10_ENKUlT_T0_E_clISt17integral_constantIbLb1EES1A_EEDaS15_S16_EUlS15_E_NS1_11comp_targetILNS1_3genE0ELNS1_11target_archE4294967295ELNS1_3gpuE0ELNS1_3repE0EEENS1_30default_config_static_selectorELNS0_4arch9wavefront6targetE1EEEvT1_,"axG",@progbits,_ZN7rocprim17ROCPRIM_400000_NS6detail17trampoline_kernelINS0_14default_configENS1_25partition_config_selectorILNS1_17partition_subalgoE9EllbEEZZNS1_14partition_implILS5_9ELb0ES3_jPlS8_PNS0_10empty_typeENS0_5tupleIJS8_S9_EEENSB_IJS8_SA_EEENS0_18inequality_wrapperIZN2at6native12_GLOBAL__N_124unique_dim_cuda_templateIfEESt5tupleIJNSF_6TensorESK_SK_EERKSK_lbbbEUlllE0_EEPmJS9_EEE10hipError_tPvRmT3_T4_T5_T6_T7_T9_mT8_P12ihipStream_tbDpT10_ENKUlT_T0_E_clISt17integral_constantIbLb1EES1A_EEDaS15_S16_EUlS15_E_NS1_11comp_targetILNS1_3genE0ELNS1_11target_archE4294967295ELNS1_3gpuE0ELNS1_3repE0EEENS1_30default_config_static_selectorELNS0_4arch9wavefront6targetE1EEEvT1_,comdat
.Lfunc_end976:
	.size	_ZN7rocprim17ROCPRIM_400000_NS6detail17trampoline_kernelINS0_14default_configENS1_25partition_config_selectorILNS1_17partition_subalgoE9EllbEEZZNS1_14partition_implILS5_9ELb0ES3_jPlS8_PNS0_10empty_typeENS0_5tupleIJS8_S9_EEENSB_IJS8_SA_EEENS0_18inequality_wrapperIZN2at6native12_GLOBAL__N_124unique_dim_cuda_templateIfEESt5tupleIJNSF_6TensorESK_SK_EERKSK_lbbbEUlllE0_EEPmJS9_EEE10hipError_tPvRmT3_T4_T5_T6_T7_T9_mT8_P12ihipStream_tbDpT10_ENKUlT_T0_E_clISt17integral_constantIbLb1EES1A_EEDaS15_S16_EUlS15_E_NS1_11comp_targetILNS1_3genE0ELNS1_11target_archE4294967295ELNS1_3gpuE0ELNS1_3repE0EEENS1_30default_config_static_selectorELNS0_4arch9wavefront6targetE1EEEvT1_, .Lfunc_end976-_ZN7rocprim17ROCPRIM_400000_NS6detail17trampoline_kernelINS0_14default_configENS1_25partition_config_selectorILNS1_17partition_subalgoE9EllbEEZZNS1_14partition_implILS5_9ELb0ES3_jPlS8_PNS0_10empty_typeENS0_5tupleIJS8_S9_EEENSB_IJS8_SA_EEENS0_18inequality_wrapperIZN2at6native12_GLOBAL__N_124unique_dim_cuda_templateIfEESt5tupleIJNSF_6TensorESK_SK_EERKSK_lbbbEUlllE0_EEPmJS9_EEE10hipError_tPvRmT3_T4_T5_T6_T7_T9_mT8_P12ihipStream_tbDpT10_ENKUlT_T0_E_clISt17integral_constantIbLb1EES1A_EEDaS15_S16_EUlS15_E_NS1_11comp_targetILNS1_3genE0ELNS1_11target_archE4294967295ELNS1_3gpuE0ELNS1_3repE0EEENS1_30default_config_static_selectorELNS0_4arch9wavefront6targetE1EEEvT1_
                                        ; -- End function
	.section	.AMDGPU.csdata,"",@progbits
; Kernel info:
; codeLenInByte = 0
; NumSgprs: 6
; NumVgprs: 0
; NumAgprs: 0
; TotalNumVgprs: 0
; ScratchSize: 0
; MemoryBound: 0
; FloatMode: 240
; IeeeMode: 1
; LDSByteSize: 0 bytes/workgroup (compile time only)
; SGPRBlocks: 0
; VGPRBlocks: 0
; NumSGPRsForWavesPerEU: 6
; NumVGPRsForWavesPerEU: 1
; AccumOffset: 4
; Occupancy: 8
; WaveLimiterHint : 0
; COMPUTE_PGM_RSRC2:SCRATCH_EN: 0
; COMPUTE_PGM_RSRC2:USER_SGPR: 2
; COMPUTE_PGM_RSRC2:TRAP_HANDLER: 0
; COMPUTE_PGM_RSRC2:TGID_X_EN: 1
; COMPUTE_PGM_RSRC2:TGID_Y_EN: 0
; COMPUTE_PGM_RSRC2:TGID_Z_EN: 0
; COMPUTE_PGM_RSRC2:TIDIG_COMP_CNT: 0
; COMPUTE_PGM_RSRC3_GFX90A:ACCUM_OFFSET: 0
; COMPUTE_PGM_RSRC3_GFX90A:TG_SPLIT: 0
	.section	.text._ZN7rocprim17ROCPRIM_400000_NS6detail17trampoline_kernelINS0_14default_configENS1_25partition_config_selectorILNS1_17partition_subalgoE9EllbEEZZNS1_14partition_implILS5_9ELb0ES3_jPlS8_PNS0_10empty_typeENS0_5tupleIJS8_S9_EEENSB_IJS8_SA_EEENS0_18inequality_wrapperIZN2at6native12_GLOBAL__N_124unique_dim_cuda_templateIfEESt5tupleIJNSF_6TensorESK_SK_EERKSK_lbbbEUlllE0_EEPmJS9_EEE10hipError_tPvRmT3_T4_T5_T6_T7_T9_mT8_P12ihipStream_tbDpT10_ENKUlT_T0_E_clISt17integral_constantIbLb1EES1A_EEDaS15_S16_EUlS15_E_NS1_11comp_targetILNS1_3genE5ELNS1_11target_archE942ELNS1_3gpuE9ELNS1_3repE0EEENS1_30default_config_static_selectorELNS0_4arch9wavefront6targetE1EEEvT1_,"axG",@progbits,_ZN7rocprim17ROCPRIM_400000_NS6detail17trampoline_kernelINS0_14default_configENS1_25partition_config_selectorILNS1_17partition_subalgoE9EllbEEZZNS1_14partition_implILS5_9ELb0ES3_jPlS8_PNS0_10empty_typeENS0_5tupleIJS8_S9_EEENSB_IJS8_SA_EEENS0_18inequality_wrapperIZN2at6native12_GLOBAL__N_124unique_dim_cuda_templateIfEESt5tupleIJNSF_6TensorESK_SK_EERKSK_lbbbEUlllE0_EEPmJS9_EEE10hipError_tPvRmT3_T4_T5_T6_T7_T9_mT8_P12ihipStream_tbDpT10_ENKUlT_T0_E_clISt17integral_constantIbLb1EES1A_EEDaS15_S16_EUlS15_E_NS1_11comp_targetILNS1_3genE5ELNS1_11target_archE942ELNS1_3gpuE9ELNS1_3repE0EEENS1_30default_config_static_selectorELNS0_4arch9wavefront6targetE1EEEvT1_,comdat
	.globl	_ZN7rocprim17ROCPRIM_400000_NS6detail17trampoline_kernelINS0_14default_configENS1_25partition_config_selectorILNS1_17partition_subalgoE9EllbEEZZNS1_14partition_implILS5_9ELb0ES3_jPlS8_PNS0_10empty_typeENS0_5tupleIJS8_S9_EEENSB_IJS8_SA_EEENS0_18inequality_wrapperIZN2at6native12_GLOBAL__N_124unique_dim_cuda_templateIfEESt5tupleIJNSF_6TensorESK_SK_EERKSK_lbbbEUlllE0_EEPmJS9_EEE10hipError_tPvRmT3_T4_T5_T6_T7_T9_mT8_P12ihipStream_tbDpT10_ENKUlT_T0_E_clISt17integral_constantIbLb1EES1A_EEDaS15_S16_EUlS15_E_NS1_11comp_targetILNS1_3genE5ELNS1_11target_archE942ELNS1_3gpuE9ELNS1_3repE0EEENS1_30default_config_static_selectorELNS0_4arch9wavefront6targetE1EEEvT1_ ; -- Begin function _ZN7rocprim17ROCPRIM_400000_NS6detail17trampoline_kernelINS0_14default_configENS1_25partition_config_selectorILNS1_17partition_subalgoE9EllbEEZZNS1_14partition_implILS5_9ELb0ES3_jPlS8_PNS0_10empty_typeENS0_5tupleIJS8_S9_EEENSB_IJS8_SA_EEENS0_18inequality_wrapperIZN2at6native12_GLOBAL__N_124unique_dim_cuda_templateIfEESt5tupleIJNSF_6TensorESK_SK_EERKSK_lbbbEUlllE0_EEPmJS9_EEE10hipError_tPvRmT3_T4_T5_T6_T7_T9_mT8_P12ihipStream_tbDpT10_ENKUlT_T0_E_clISt17integral_constantIbLb1EES1A_EEDaS15_S16_EUlS15_E_NS1_11comp_targetILNS1_3genE5ELNS1_11target_archE942ELNS1_3gpuE9ELNS1_3repE0EEENS1_30default_config_static_selectorELNS0_4arch9wavefront6targetE1EEEvT1_
	.p2align	8
	.type	_ZN7rocprim17ROCPRIM_400000_NS6detail17trampoline_kernelINS0_14default_configENS1_25partition_config_selectorILNS1_17partition_subalgoE9EllbEEZZNS1_14partition_implILS5_9ELb0ES3_jPlS8_PNS0_10empty_typeENS0_5tupleIJS8_S9_EEENSB_IJS8_SA_EEENS0_18inequality_wrapperIZN2at6native12_GLOBAL__N_124unique_dim_cuda_templateIfEESt5tupleIJNSF_6TensorESK_SK_EERKSK_lbbbEUlllE0_EEPmJS9_EEE10hipError_tPvRmT3_T4_T5_T6_T7_T9_mT8_P12ihipStream_tbDpT10_ENKUlT_T0_E_clISt17integral_constantIbLb1EES1A_EEDaS15_S16_EUlS15_E_NS1_11comp_targetILNS1_3genE5ELNS1_11target_archE942ELNS1_3gpuE9ELNS1_3repE0EEENS1_30default_config_static_selectorELNS0_4arch9wavefront6targetE1EEEvT1_,@function
_ZN7rocprim17ROCPRIM_400000_NS6detail17trampoline_kernelINS0_14default_configENS1_25partition_config_selectorILNS1_17partition_subalgoE9EllbEEZZNS1_14partition_implILS5_9ELb0ES3_jPlS8_PNS0_10empty_typeENS0_5tupleIJS8_S9_EEENSB_IJS8_SA_EEENS0_18inequality_wrapperIZN2at6native12_GLOBAL__N_124unique_dim_cuda_templateIfEESt5tupleIJNSF_6TensorESK_SK_EERKSK_lbbbEUlllE0_EEPmJS9_EEE10hipError_tPvRmT3_T4_T5_T6_T7_T9_mT8_P12ihipStream_tbDpT10_ENKUlT_T0_E_clISt17integral_constantIbLb1EES1A_EEDaS15_S16_EUlS15_E_NS1_11comp_targetILNS1_3genE5ELNS1_11target_archE942ELNS1_3gpuE9ELNS1_3repE0EEENS1_30default_config_static_selectorELNS0_4arch9wavefront6targetE1EEEvT1_: ; @_ZN7rocprim17ROCPRIM_400000_NS6detail17trampoline_kernelINS0_14default_configENS1_25partition_config_selectorILNS1_17partition_subalgoE9EllbEEZZNS1_14partition_implILS5_9ELb0ES3_jPlS8_PNS0_10empty_typeENS0_5tupleIJS8_S9_EEENSB_IJS8_SA_EEENS0_18inequality_wrapperIZN2at6native12_GLOBAL__N_124unique_dim_cuda_templateIfEESt5tupleIJNSF_6TensorESK_SK_EERKSK_lbbbEUlllE0_EEPmJS9_EEE10hipError_tPvRmT3_T4_T5_T6_T7_T9_mT8_P12ihipStream_tbDpT10_ENKUlT_T0_E_clISt17integral_constantIbLb1EES1A_EEDaS15_S16_EUlS15_E_NS1_11comp_targetILNS1_3genE5ELNS1_11target_archE942ELNS1_3gpuE9ELNS1_3repE0EEENS1_30default_config_static_selectorELNS0_4arch9wavefront6targetE1EEEvT1_
; %bb.0:
	s_load_dwordx4 s[4:7], s[0:1], 0x8
	s_load_dwordx2 s[10:11], s[0:1], 0x18
	s_load_dwordx8 s[20:27], s[0:1], 0x40
	s_load_dwordx4 s[36:39], s[0:1], 0x60
	v_cmp_ne_u32_e64 s[2:3], 0, v0
	v_cmp_eq_u32_e64 s[18:19], 0, v0
	s_and_saveexec_b64 s[8:9], s[18:19]
	s_cbranch_execz .LBB977_4
; %bb.1:
	s_mov_b64 s[14:15], exec
	v_mbcnt_lo_u32_b32 v1, s14, 0
	v_mbcnt_hi_u32_b32 v1, s15, v1
	v_cmp_eq_u32_e32 vcc, 0, v1
                                        ; implicit-def: $vgpr2
	s_and_saveexec_b64 s[12:13], vcc
	s_cbranch_execz .LBB977_3
; %bb.2:
	s_load_dwordx2 s[16:17], s[0:1], 0x78
	s_bcnt1_i32_b64 s14, s[14:15]
	v_mov_b32_e32 v2, 0
	v_mov_b32_e32 v3, s14
	s_waitcnt lgkmcnt(0)
	global_atomic_add v2, v2, v3, s[16:17] sc0
.LBB977_3:
	s_or_b64 exec, exec, s[12:13]
	s_waitcnt vmcnt(0)
	v_readfirstlane_b32 s12, v2
	v_mov_b32_e32 v2, 0
	s_nop 0
	v_add_u32_e32 v1, s12, v1
	ds_write_b32 v2, v1
.LBB977_4:
	s_or_b64 exec, exec, s[8:9]
	v_mov_b32_e32 v3, 0
	s_load_dwordx4 s[28:31], s[0:1], 0x28
	s_load_dword s8, s[0:1], 0x70
	s_waitcnt lgkmcnt(0)
	s_barrier
	ds_read_b32 v1, v3
	s_waitcnt lgkmcnt(0)
	s_barrier
	global_load_dwordx2 v[4:5], v3, s[22:23]
	s_lshl_b64 s[12:13], s[6:7], 3
	s_mul_i32 s14, s8, 0xe00
	s_add_u32 s16, s4, s12
	s_addc_u32 s17, s5, s13
	s_add_i32 s4, s14, s6
	s_sub_i32 s54, s24, s4
	s_add_i32 s15, s8, -1
	s_addk_i32 s54, 0xe00
	s_add_u32 s4, s6, s14
	v_readfirstlane_b32 s33, v1
	s_addc_u32 s5, s7, 0
	v_mov_b32_e32 v6, s24
	v_mov_b32_e32 v7, s25
	s_cmp_eq_u32 s33, s15
	s_mov_b32 s9, 0
	s_mul_i32 s8, s33, 0xe00
	v_cmp_ge_u64_e32 vcc, s[4:5], v[6:7]
	s_cselect_b64 s[24:25], -1, 0
	s_lshl_b64 s[14:15], s[8:9], 3
	s_and_b64 s[8:9], vcc, s[24:25]
	s_xor_b64 s[34:35], s[8:9], -1
	s_add_u32 s4, s16, s14
	s_mov_b64 s[0:1], -1
	s_addc_u32 s5, s17, s15
	s_and_b64 vcc, exec, s[34:35]
	s_waitcnt vmcnt(0)
	v_readfirstlane_b32 s22, v4
	v_readfirstlane_b32 s23, v5
	s_cbranch_vccz .LBB977_6
; %bb.5:
	v_lshlrev_b32_e32 v2, 3, v0
	v_lshl_add_u64 v[4:5], s[4:5], 0, v[2:3]
	v_add_co_u32_e32 v8, vcc, 0x1000, v4
	global_load_dwordx2 v[6:7], v2, s[4:5]
	s_nop 0
	v_addc_co_u32_e32 v9, vcc, 0, v5, vcc
	v_add_co_u32_e32 v10, vcc, 0x2000, v4
	s_mov_b64 s[0:1], 0
	s_nop 0
	v_addc_co_u32_e32 v11, vcc, 0, v5, vcc
	v_add_co_u32_e32 v12, vcc, 0x3000, v4
	s_nop 1
	v_addc_co_u32_e32 v13, vcc, 0, v5, vcc
	v_add_co_u32_e32 v14, vcc, 0x4000, v4
	s_nop 1
	v_addc_co_u32_e32 v15, vcc, 0, v5, vcc
	global_load_dwordx2 v[16:17], v[8:9], off
	global_load_dwordx2 v[18:19], v[10:11], off
	;; [unrolled: 1-line block ×4, first 2 shown]
	v_add_co_u32_e32 v8, vcc, 0x5000, v4
	s_nop 1
	v_addc_co_u32_e32 v9, vcc, 0, v5, vcc
	v_add_co_u32_e32 v4, vcc, 0x6000, v4
	global_load_dwordx2 v[8:9], v[8:9], off
	s_nop 0
	v_addc_co_u32_e32 v5, vcc, 0, v5, vcc
	global_load_dwordx2 v[4:5], v[4:5], off
	s_waitcnt vmcnt(5)
	ds_write2st64_b64 v2, v[6:7], v[16:17] offset1:8
	s_waitcnt vmcnt(3)
	ds_write2st64_b64 v2, v[18:19], v[20:21] offset0:16 offset1:24
	s_waitcnt vmcnt(1)
	ds_write2st64_b64 v2, v[22:23], v[8:9] offset0:32 offset1:40
	s_waitcnt vmcnt(0)
	ds_write_b64 v2, v[4:5] offset:24576
	s_waitcnt lgkmcnt(0)
	s_barrier
.LBB977_6:
	s_andn2_b64 vcc, exec, s[0:1]
	v_cmp_gt_u32_e64 s[0:1], s54, v0
	s_cbranch_vccnz .LBB977_22
; %bb.7:
                                        ; implicit-def: $vgpr2_vgpr3_vgpr4_vgpr5_vgpr6_vgpr7_vgpr8_vgpr9_vgpr10_vgpr11_vgpr12_vgpr13_vgpr14_vgpr15_vgpr16_vgpr17
	s_and_saveexec_b64 s[16:17], s[0:1]
	s_cbranch_execz .LBB977_9
; %bb.8:
	v_lshlrev_b32_e32 v1, 3, v0
	global_load_dwordx2 v[2:3], v1, s[4:5]
.LBB977_9:
	s_or_b64 exec, exec, s[16:17]
	v_or_b32_e32 v1, 0x200, v0
	v_cmp_gt_u32_e32 vcc, s54, v1
	s_and_saveexec_b64 s[0:1], vcc
	s_cbranch_execz .LBB977_11
; %bb.10:
	v_lshlrev_b32_e32 v1, 3, v1
	global_load_dwordx2 v[4:5], v1, s[4:5]
.LBB977_11:
	s_or_b64 exec, exec, s[0:1]
	v_or_b32_e32 v1, 0x400, v0
	v_cmp_gt_u32_e32 vcc, s54, v1
	s_and_saveexec_b64 s[0:1], vcc
	;; [unrolled: 9-line block ×6, first 2 shown]
	s_cbranch_execz .LBB977_21
; %bb.20:
	v_lshlrev_b32_e32 v1, 3, v1
	global_load_dwordx2 v[14:15], v1, s[4:5]
.LBB977_21:
	s_or_b64 exec, exec, s[0:1]
	v_lshlrev_b32_e32 v1, 3, v0
	s_waitcnt vmcnt(0)
	ds_write2st64_b64 v1, v[2:3], v[4:5] offset1:8
	ds_write2st64_b64 v1, v[6:7], v[8:9] offset0:16 offset1:24
	ds_write2st64_b64 v1, v[10:11], v[12:13] offset0:32 offset1:40
	ds_write_b64 v1, v[14:15] offset:24576
	s_waitcnt lgkmcnt(0)
	s_barrier
.LBB977_22:
	v_mul_u32_u24_e32 v1, 7, v0
	v_lshlrev_b32_e32 v46, 3, v1
	ds_read2_b64 v[22:25], v46 offset1:1
	ds_read2_b64 v[18:21], v46 offset0:2 offset1:3
	ds_read2_b64 v[14:17], v46 offset0:4 offset1:5
	ds_read_b64 v[28:29], v46 offset:48
	s_add_u32 s0, s10, s12
	s_addc_u32 s1, s11, s13
	s_add_u32 s0, s0, s14
	s_addc_u32 s1, s1, s15
	s_mov_b64 s[10:11], -1
	s_and_b64 vcc, exec, s[34:35]
	s_waitcnt lgkmcnt(0)
	s_barrier
	s_cbranch_vccz .LBB977_24
; %bb.23:
	v_lshlrev_b32_e32 v2, 3, v0
	v_mov_b32_e32 v3, 0
	v_lshl_add_u64 v[4:5], s[0:1], 0, v[2:3]
	v_add_co_u32_e32 v8, vcc, 0x1000, v4
	global_load_dwordx2 v[6:7], v2, s[0:1]
	s_nop 0
	v_addc_co_u32_e32 v9, vcc, 0, v5, vcc
	v_add_co_u32_e32 v10, vcc, 0x2000, v4
	s_mov_b64 s[10:11], 0
	s_nop 0
	v_addc_co_u32_e32 v11, vcc, 0, v5, vcc
	v_add_co_u32_e32 v12, vcc, 0x3000, v4
	s_nop 1
	v_addc_co_u32_e32 v13, vcc, 0, v5, vcc
	v_add_co_u32_e32 v26, vcc, 0x4000, v4
	s_nop 1
	v_addc_co_u32_e32 v27, vcc, 0, v5, vcc
	global_load_dwordx2 v[30:31], v[8:9], off
	global_load_dwordx2 v[32:33], v[10:11], off
	global_load_dwordx2 v[34:35], v[12:13], off
	global_load_dwordx2 v[36:37], v[26:27], off
	v_add_co_u32_e32 v8, vcc, 0x5000, v4
	s_nop 1
	v_addc_co_u32_e32 v9, vcc, 0, v5, vcc
	v_add_co_u32_e32 v4, vcc, 0x6000, v4
	global_load_dwordx2 v[8:9], v[8:9], off
	s_nop 0
	v_addc_co_u32_e32 v5, vcc, 0, v5, vcc
	global_load_dwordx2 v[4:5], v[4:5], off
	s_waitcnt vmcnt(5)
	ds_write2st64_b64 v2, v[6:7], v[30:31] offset1:8
	s_waitcnt vmcnt(3)
	ds_write2st64_b64 v2, v[32:33], v[34:35] offset0:16 offset1:24
	s_waitcnt vmcnt(1)
	ds_write2st64_b64 v2, v[36:37], v[8:9] offset0:32 offset1:40
	s_waitcnt vmcnt(0)
	ds_write_b64 v2, v[4:5] offset:24576
	s_waitcnt lgkmcnt(0)
	s_barrier
.LBB977_24:
	s_andn2_b64 vcc, exec, s[10:11]
	s_cbranch_vccnz .LBB977_40
; %bb.25:
	v_cmp_gt_u32_e32 vcc, s54, v0
                                        ; implicit-def: $vgpr2_vgpr3
	s_and_saveexec_b64 s[10:11], vcc
	s_cbranch_execz .LBB977_27
; %bb.26:
	v_lshlrev_b32_e32 v2, 3, v0
	global_load_dwordx2 v[2:3], v2, s[0:1]
.LBB977_27:
	s_or_b64 exec, exec, s[10:11]
	v_or_b32_e32 v6, 0x200, v0
	v_cmp_gt_u32_e32 vcc, s54, v6
                                        ; implicit-def: $vgpr4_vgpr5
	s_and_saveexec_b64 s[10:11], vcc
	s_cbranch_execz .LBB977_29
; %bb.28:
	v_lshlrev_b32_e32 v4, 3, v6
	global_load_dwordx2 v[4:5], v4, s[0:1]
.LBB977_29:
	s_or_b64 exec, exec, s[10:11]
	v_or_b32_e32 v8, 0x400, v0
	v_cmp_gt_u32_e32 vcc, s54, v8
                                        ; implicit-def: $vgpr6_vgpr7
	s_and_saveexec_b64 s[10:11], vcc
	s_cbranch_execz .LBB977_31
; %bb.30:
	v_lshlrev_b32_e32 v6, 3, v8
	global_load_dwordx2 v[6:7], v6, s[0:1]
.LBB977_31:
	s_or_b64 exec, exec, s[10:11]
	v_or_b32_e32 v10, 0x600, v0
	v_cmp_gt_u32_e32 vcc, s54, v10
                                        ; implicit-def: $vgpr8_vgpr9
	s_and_saveexec_b64 s[10:11], vcc
	s_cbranch_execz .LBB977_33
; %bb.32:
	v_lshlrev_b32_e32 v8, 3, v10
	global_load_dwordx2 v[8:9], v8, s[0:1]
.LBB977_33:
	s_or_b64 exec, exec, s[10:11]
	v_or_b32_e32 v12, 0x800, v0
	v_cmp_gt_u32_e32 vcc, s54, v12
                                        ; implicit-def: $vgpr10_vgpr11
	s_and_saveexec_b64 s[10:11], vcc
	s_cbranch_execz .LBB977_35
; %bb.34:
	v_lshlrev_b32_e32 v10, 3, v12
	global_load_dwordx2 v[10:11], v10, s[0:1]
.LBB977_35:
	s_or_b64 exec, exec, s[10:11]
	v_or_b32_e32 v26, 0xa00, v0
	v_cmp_gt_u32_e32 vcc, s54, v26
                                        ; implicit-def: $vgpr12_vgpr13
	s_and_saveexec_b64 s[10:11], vcc
	s_cbranch_execz .LBB977_37
; %bb.36:
	v_lshlrev_b32_e32 v12, 3, v26
	global_load_dwordx2 v[12:13], v12, s[0:1]
.LBB977_37:
	s_or_b64 exec, exec, s[10:11]
	v_or_b32_e32 v30, 0xc00, v0
	v_cmp_gt_u32_e32 vcc, s54, v30
                                        ; implicit-def: $vgpr26_vgpr27
	s_and_saveexec_b64 s[10:11], vcc
	s_cbranch_execz .LBB977_39
; %bb.38:
	v_lshlrev_b32_e32 v26, 3, v30
	global_load_dwordx2 v[26:27], v26, s[0:1]
.LBB977_39:
	s_or_b64 exec, exec, s[10:11]
	s_movk_i32 s0, 0xffd0
	v_mad_i32_i24 v30, v0, s0, v46
	s_waitcnt vmcnt(0)
	ds_write2st64_b64 v30, v[2:3], v[4:5] offset1:8
	ds_write2st64_b64 v30, v[6:7], v[8:9] offset0:16 offset1:24
	ds_write2st64_b64 v30, v[10:11], v[12:13] offset0:32 offset1:40
	ds_write_b64 v30, v[26:27] offset:24576
	s_waitcnt lgkmcnt(0)
	s_barrier
.LBB977_40:
	ds_read2_b64 v[10:13], v46 offset1:1
	ds_read2_b64 v[6:9], v46 offset0:2 offset1:3
	ds_read2_b64 v[2:5], v46 offset0:4 offset1:5
	ds_read_b64 v[26:27], v46 offset:48
	s_cmp_lg_u32 s33, 0
	s_cselect_b64 s[0:1], -1, 0
	s_cmp_lg_u64 s[6:7], 0
	s_cselect_b64 s[6:7], -1, 0
	s_or_b64 s[6:7], s[6:7], s[0:1]
	v_add_u32_e32 v43, 1, v1
	v_add_u32_e32 v40, 2, v1
	;; [unrolled: 1-line block ×6, first 2 shown]
	s_mov_b64 s[10:11], 0
	s_and_b64 vcc, exec, s[6:7]
	v_cmp_gt_i64_e64 s[12:13], s[26:27], 0
	s_waitcnt lgkmcnt(0)
	s_barrier
	s_cbranch_vccz .LBB977_49
; %bb.41:
	v_mov_b32_e32 v30, 0
	global_load_dwordx2 v[30:31], v30, s[4:5] offset:-8
	v_cndmask_b32_e64 v32, 0, 1, s[12:13]
	v_lshlrev_b32_e32 v47, 3, v0
	s_mov_b64 s[6:7], 0
	s_and_b64 vcc, exec, s[34:35]
	v_cmp_ne_u32_e64 s[4:5], 1, v32
	ds_write_b64 v47, v[28:29]
	s_cbranch_vccz .LBB977_51
; %bb.42:
	v_mul_lo_u32 v34, v17, s26
	v_mul_lo_u32 v35, v16, s27
	v_mad_u64_u32 v[32:33], s[10:11], v16, s26, 0
	v_add3_u32 v33, v33, v35, v34
	s_and_b64 vcc, exec, s[4:5]
	v_lshl_add_u64 v[32:33], v[32:33], 2, s[36:37]
	s_cbranch_vccnz .LBB977_54
; %bb.43:
	v_mul_lo_u32 v36, v29, s26
	v_mul_lo_u32 v37, v28, s27
	v_mad_u64_u32 v[34:35], s[6:7], v28, s26, 0
	v_add3_u32 v35, v35, v37, v36
	v_lshl_add_u64 v[34:35], v[34:35], 2, s[36:37]
	global_load_dword v36, v[32:33], off
	global_load_dword v37, v[34:35], off
	s_mov_b64 s[6:7], -1
	s_waitcnt vmcnt(0)
	v_cmp_eq_f32_e32 vcc, v36, v37
	s_and_saveexec_b64 s[10:11], vcc
	s_cbranch_execz .LBB977_53
; %bb.44:
	s_add_u32 s6, s26, -1
	v_lshl_add_u64 v[34:35], v[34:35], 0, 4
	v_lshl_add_u64 v[36:37], v[32:33], 0, 4
	s_addc_u32 s7, s27, -1
	s_mov_b64 s[12:13], 0
	s_mov_b64 s[16:17], 0
                                        ; implicit-def: $sgpr14_sgpr15
	s_branch .LBB977_47
.LBB977_45:                             ;   in Loop: Header=BB977_47 Depth=1
	global_load_dword v38, v[36:37], off
	global_load_dword v39, v[34:35], off
	s_add_u32 s16, s16, 1
	s_addc_u32 s17, s17, 0
	s_andn2_b64 s[14:15], s[14:15], exec
	v_lshl_add_u64 v[34:35], v[34:35], 0, 4
	v_lshl_add_u64 v[36:37], v[36:37], 0, 4
	s_waitcnt vmcnt(0)
	v_cmp_neq_f32_e32 vcc, v38, v39
	s_and_b64 s[40:41], vcc, exec
	s_or_b64 s[14:15], s[14:15], s[40:41]
.LBB977_46:                             ;   in Loop: Header=BB977_47 Depth=1
	s_and_b64 s[40:41], exec, s[14:15]
	s_or_b64 s[12:13], s[40:41], s[12:13]
	v_mov_b64_e32 v[38:39], s[16:17]
	s_andn2_b64 exec, exec, s[12:13]
	s_cbranch_execz .LBB977_52
.LBB977_47:                             ; =>This Inner Loop Header: Depth=1
	s_or_b64 s[14:15], s[14:15], exec
	s_cmp_eq_u64 s[6:7], s[16:17]
	s_cbranch_scc0 .LBB977_45
; %bb.48:                               ;   in Loop: Header=BB977_47 Depth=1
                                        ; implicit-def: $vgpr34_vgpr35
                                        ; implicit-def: $vgpr36_vgpr37
	s_mov_b64 s[16:17], s[26:27]
	s_branch .LBB977_46
.LBB977_49:
                                        ; implicit-def: $sgpr14_sgpr15
                                        ; implicit-def: $vgpr49
                                        ; implicit-def: $vgpr48
                                        ; implicit-def: $vgpr39
                                        ; implicit-def: $vgpr34
	s_branch .LBB977_192
.LBB977_50:
                                        ; implicit-def: $vgpr30_vgpr31
	s_branch .LBB977_340
.LBB977_51:
                                        ; implicit-def: $sgpr14_sgpr15
                                        ; implicit-def: $vgpr49
                                        ; implicit-def: $vgpr48
                                        ; implicit-def: $vgpr39
                                        ; implicit-def: $vgpr34
	s_cbranch_execnz .LBB977_111
	s_branch .LBB977_191
.LBB977_52:
	s_or_b64 exec, exec, s[12:13]
	v_cmp_gt_i64_e32 vcc, s[26:27], v[38:39]
	s_orn2_b64 s[6:7], vcc, exec
.LBB977_53:
	s_or_b64 exec, exec, s[10:11]
.LBB977_54:
	v_mul_lo_u32 v36, v15, s26
	v_mul_lo_u32 v37, v14, s27
	v_mad_u64_u32 v[34:35], s[10:11], v14, s26, 0
	v_add3_u32 v35, v35, v37, v36
	s_mov_b64 s[10:11], 0
	s_and_b64 vcc, exec, s[4:5]
	v_lshl_add_u64 v[34:35], v[34:35], 2, s[36:37]
	s_mov_b64 s[12:13], 0
	s_cbranch_vccnz .LBB977_63
; %bb.55:
	global_load_dword v36, v[34:35], off
	global_load_dword v37, v[32:33], off
	s_mov_b64 s[12:13], -1
	s_waitcnt vmcnt(0)
	v_cmp_eq_f32_e32 vcc, v36, v37
	s_and_saveexec_b64 s[14:15], vcc
	s_cbranch_execz .LBB977_62
; %bb.56:
	s_add_u32 s12, s26, -1
	v_lshl_add_u64 v[32:33], v[32:33], 0, 4
	v_lshl_add_u64 v[36:37], v[34:35], 0, 4
	s_addc_u32 s13, s27, -1
	s_mov_b64 s[16:17], 0
	s_mov_b64 s[42:43], 0
                                        ; implicit-def: $sgpr40_sgpr41
	s_branch .LBB977_59
.LBB977_57:                             ;   in Loop: Header=BB977_59 Depth=1
	global_load_dword v38, v[36:37], off
	global_load_dword v39, v[32:33], off
	s_add_u32 s42, s42, 1
	s_addc_u32 s43, s43, 0
	s_andn2_b64 s[40:41], s[40:41], exec
	v_lshl_add_u64 v[32:33], v[32:33], 0, 4
	v_lshl_add_u64 v[36:37], v[36:37], 0, 4
	s_waitcnt vmcnt(0)
	v_cmp_neq_f32_e32 vcc, v38, v39
	s_and_b64 s[44:45], vcc, exec
	s_or_b64 s[40:41], s[40:41], s[44:45]
.LBB977_58:                             ;   in Loop: Header=BB977_59 Depth=1
	s_and_b64 s[44:45], exec, s[40:41]
	s_or_b64 s[16:17], s[44:45], s[16:17]
	v_mov_b64_e32 v[38:39], s[42:43]
	s_andn2_b64 exec, exec, s[16:17]
	s_cbranch_execz .LBB977_61
.LBB977_59:                             ; =>This Inner Loop Header: Depth=1
	s_or_b64 s[40:41], s[40:41], exec
	s_cmp_eq_u64 s[12:13], s[42:43]
	s_cbranch_scc0 .LBB977_57
; %bb.60:                               ;   in Loop: Header=BB977_59 Depth=1
                                        ; implicit-def: $vgpr32_vgpr33
                                        ; implicit-def: $vgpr36_vgpr37
	s_mov_b64 s[42:43], s[26:27]
	s_branch .LBB977_58
.LBB977_61:
	s_or_b64 exec, exec, s[16:17]
	v_cmp_gt_i64_e32 vcc, s[26:27], v[38:39]
	s_orn2_b64 s[12:13], vcc, exec
.LBB977_62:
	s_or_b64 exec, exec, s[14:15]
.LBB977_63:
	v_mul_lo_u32 v36, v21, s26
	v_mul_lo_u32 v37, v20, s27
	v_mad_u64_u32 v[32:33], s[14:15], v20, s26, 0
	v_add3_u32 v33, v33, v37, v36
	s_and_b64 vcc, exec, s[4:5]
	v_lshl_add_u64 v[32:33], v[32:33], 2, s[36:37]
	s_cbranch_vccnz .LBB977_72
; %bb.64:
	global_load_dword v36, v[32:33], off
	global_load_dword v37, v[34:35], off
	s_mov_b64 s[10:11], -1
	s_waitcnt vmcnt(0)
	v_cmp_eq_f32_e32 vcc, v36, v37
	s_and_saveexec_b64 s[14:15], vcc
	s_cbranch_execz .LBB977_71
; %bb.65:
	s_add_u32 s10, s26, -1
	v_lshl_add_u64 v[34:35], v[34:35], 0, 4
	v_lshl_add_u64 v[36:37], v[32:33], 0, 4
	s_addc_u32 s11, s27, -1
	s_mov_b64 s[16:17], 0
	s_mov_b64 s[42:43], 0
                                        ; implicit-def: $sgpr40_sgpr41
	s_branch .LBB977_68
.LBB977_66:                             ;   in Loop: Header=BB977_68 Depth=1
	global_load_dword v38, v[36:37], off
	global_load_dword v39, v[34:35], off
	s_add_u32 s42, s42, 1
	s_addc_u32 s43, s43, 0
	s_andn2_b64 s[40:41], s[40:41], exec
	v_lshl_add_u64 v[34:35], v[34:35], 0, 4
	v_lshl_add_u64 v[36:37], v[36:37], 0, 4
	s_waitcnt vmcnt(0)
	v_cmp_neq_f32_e32 vcc, v38, v39
	s_and_b64 s[44:45], vcc, exec
	s_or_b64 s[40:41], s[40:41], s[44:45]
.LBB977_67:                             ;   in Loop: Header=BB977_68 Depth=1
	s_and_b64 s[44:45], exec, s[40:41]
	s_or_b64 s[16:17], s[44:45], s[16:17]
	v_mov_b64_e32 v[38:39], s[42:43]
	s_andn2_b64 exec, exec, s[16:17]
	s_cbranch_execz .LBB977_70
.LBB977_68:                             ; =>This Inner Loop Header: Depth=1
	s_or_b64 s[40:41], s[40:41], exec
	s_cmp_eq_u64 s[10:11], s[42:43]
	s_cbranch_scc0 .LBB977_66
; %bb.69:                               ;   in Loop: Header=BB977_68 Depth=1
                                        ; implicit-def: $vgpr34_vgpr35
                                        ; implicit-def: $vgpr36_vgpr37
	s_mov_b64 s[42:43], s[26:27]
	s_branch .LBB977_67
.LBB977_70:
	s_or_b64 exec, exec, s[16:17]
	v_cmp_gt_i64_e32 vcc, s[26:27], v[38:39]
	s_orn2_b64 s[10:11], vcc, exec
.LBB977_71:
	s_or_b64 exec, exec, s[14:15]
.LBB977_72:
	v_mul_lo_u32 v36, v19, s26
	v_mul_lo_u32 v37, v18, s27
	v_mad_u64_u32 v[34:35], s[14:15], v18, s26, 0
	v_add3_u32 v35, v35, v37, v36
	s_mov_b64 s[14:15], 0
	s_and_b64 vcc, exec, s[4:5]
	v_lshl_add_u64 v[36:37], v[34:35], 2, s[36:37]
	s_mov_b64 s[16:17], 0
	s_cbranch_vccnz .LBB977_81
; %bb.73:
	global_load_dword v34, v[36:37], off
	global_load_dword v35, v[32:33], off
	s_mov_b64 s[16:17], -1
	s_waitcnt vmcnt(0)
	v_cmp_eq_f32_e32 vcc, v34, v35
	s_and_saveexec_b64 s[40:41], vcc
	s_cbranch_execz .LBB977_80
; %bb.74:
	s_add_u32 s16, s26, -1
	v_lshl_add_u64 v[32:33], v[32:33], 0, 4
	v_lshl_add_u64 v[34:35], v[36:37], 0, 4
	s_addc_u32 s17, s27, -1
	s_mov_b64 s[42:43], 0
	s_mov_b64 s[46:47], 0
                                        ; implicit-def: $sgpr44_sgpr45
	s_branch .LBB977_77
.LBB977_75:                             ;   in Loop: Header=BB977_77 Depth=1
	global_load_dword v38, v[34:35], off
	global_load_dword v39, v[32:33], off
	s_add_u32 s46, s46, 1
	s_addc_u32 s47, s47, 0
	s_andn2_b64 s[44:45], s[44:45], exec
	v_lshl_add_u64 v[32:33], v[32:33], 0, 4
	v_lshl_add_u64 v[34:35], v[34:35], 0, 4
	s_waitcnt vmcnt(0)
	v_cmp_neq_f32_e32 vcc, v38, v39
	s_and_b64 s[48:49], vcc, exec
	s_or_b64 s[44:45], s[44:45], s[48:49]
.LBB977_76:                             ;   in Loop: Header=BB977_77 Depth=1
	s_and_b64 s[48:49], exec, s[44:45]
	s_or_b64 s[42:43], s[48:49], s[42:43]
	v_mov_b64_e32 v[38:39], s[46:47]
	s_andn2_b64 exec, exec, s[42:43]
	s_cbranch_execz .LBB977_79
.LBB977_77:                             ; =>This Inner Loop Header: Depth=1
	s_or_b64 s[44:45], s[44:45], exec
	s_cmp_eq_u64 s[16:17], s[46:47]
	s_cbranch_scc0 .LBB977_75
; %bb.78:                               ;   in Loop: Header=BB977_77 Depth=1
                                        ; implicit-def: $vgpr32_vgpr33
                                        ; implicit-def: $vgpr34_vgpr35
	s_mov_b64 s[46:47], s[26:27]
	s_branch .LBB977_76
.LBB977_79:
	s_or_b64 exec, exec, s[42:43]
	v_cmp_gt_i64_e32 vcc, s[26:27], v[38:39]
	s_orn2_b64 s[16:17], vcc, exec
.LBB977_80:
	s_or_b64 exec, exec, s[40:41]
.LBB977_81:
	v_mul_lo_u32 v34, v25, s26
	v_mul_lo_u32 v35, v24, s27
	v_mad_u64_u32 v[32:33], s[40:41], v24, s26, 0
	v_add3_u32 v33, v33, v35, v34
	s_and_b64 vcc, exec, s[4:5]
	v_lshl_add_u64 v[34:35], v[32:33], 2, s[36:37]
	s_cbranch_vccnz .LBB977_90
; %bb.82:
	global_load_dword v32, v[34:35], off
	global_load_dword v33, v[36:37], off
	s_mov_b64 s[14:15], -1
	s_waitcnt vmcnt(0)
	v_cmp_eq_f32_e32 vcc, v32, v33
	s_and_saveexec_b64 s[40:41], vcc
	s_cbranch_execz .LBB977_89
; %bb.83:
	s_add_u32 s14, s26, -1
	v_lshl_add_u64 v[32:33], v[36:37], 0, 4
	v_lshl_add_u64 v[36:37], v[34:35], 0, 4
	s_addc_u32 s15, s27, -1
	s_mov_b64 s[42:43], 0
	s_mov_b64 s[46:47], 0
                                        ; implicit-def: $sgpr44_sgpr45
	s_branch .LBB977_86
.LBB977_84:                             ;   in Loop: Header=BB977_86 Depth=1
	global_load_dword v38, v[36:37], off
	global_load_dword v39, v[32:33], off
	s_add_u32 s46, s46, 1
	s_addc_u32 s47, s47, 0
	s_andn2_b64 s[44:45], s[44:45], exec
	v_lshl_add_u64 v[32:33], v[32:33], 0, 4
	v_lshl_add_u64 v[36:37], v[36:37], 0, 4
	s_waitcnt vmcnt(0)
	v_cmp_neq_f32_e32 vcc, v38, v39
	s_and_b64 s[48:49], vcc, exec
	s_or_b64 s[44:45], s[44:45], s[48:49]
.LBB977_85:                             ;   in Loop: Header=BB977_86 Depth=1
	s_and_b64 s[48:49], exec, s[44:45]
	s_or_b64 s[42:43], s[48:49], s[42:43]
	v_mov_b64_e32 v[38:39], s[46:47]
	s_andn2_b64 exec, exec, s[42:43]
	s_cbranch_execz .LBB977_88
.LBB977_86:                             ; =>This Inner Loop Header: Depth=1
	s_or_b64 s[44:45], s[44:45], exec
	s_cmp_eq_u64 s[14:15], s[46:47]
	s_cbranch_scc0 .LBB977_84
; %bb.87:                               ;   in Loop: Header=BB977_86 Depth=1
                                        ; implicit-def: $vgpr32_vgpr33
                                        ; implicit-def: $vgpr36_vgpr37
	s_mov_b64 s[46:47], s[26:27]
	s_branch .LBB977_85
.LBB977_88:
	s_or_b64 exec, exec, s[42:43]
	v_cmp_gt_i64_e32 vcc, s[26:27], v[38:39]
	s_orn2_b64 s[14:15], vcc, exec
.LBB977_89:
	s_or_b64 exec, exec, s[40:41]
.LBB977_90:
	v_mul_lo_u32 v36, v23, s26
	v_mul_lo_u32 v37, v22, s27
	v_mad_u64_u32 v[32:33], s[40:41], v22, s26, 0
	v_add3_u32 v33, v33, v37, v36
	s_mov_b64 s[42:43], 0
	s_and_b64 vcc, exec, s[4:5]
	v_lshl_add_u64 v[32:33], v[32:33], 2, s[36:37]
	s_cbranch_vccnz .LBB977_99
; %bb.91:
	global_load_dword v36, v[32:33], off
	global_load_dword v37, v[34:35], off
	s_mov_b64 s[42:43], -1
	s_waitcnt vmcnt(0)
	v_cmp_eq_f32_e32 vcc, v36, v37
	s_and_saveexec_b64 s[40:41], vcc
	s_cbranch_execz .LBB977_98
; %bb.92:
	s_add_u32 s42, s26, -1
	v_lshl_add_u64 v[34:35], v[34:35], 0, 4
	v_lshl_add_u64 v[36:37], v[32:33], 0, 4
	s_addc_u32 s43, s27, -1
	s_mov_b64 s[44:45], 0
	s_mov_b64 s[48:49], 0
                                        ; implicit-def: $sgpr46_sgpr47
	s_branch .LBB977_95
.LBB977_93:                             ;   in Loop: Header=BB977_95 Depth=1
	global_load_dword v38, v[36:37], off
	global_load_dword v39, v[34:35], off
	s_add_u32 s48, s48, 1
	s_addc_u32 s49, s49, 0
	s_andn2_b64 s[46:47], s[46:47], exec
	v_lshl_add_u64 v[34:35], v[34:35], 0, 4
	v_lshl_add_u64 v[36:37], v[36:37], 0, 4
	s_waitcnt vmcnt(0)
	v_cmp_neq_f32_e32 vcc, v38, v39
	s_and_b64 s[50:51], vcc, exec
	s_or_b64 s[46:47], s[46:47], s[50:51]
.LBB977_94:                             ;   in Loop: Header=BB977_95 Depth=1
	s_and_b64 s[50:51], exec, s[46:47]
	s_or_b64 s[44:45], s[50:51], s[44:45]
	v_mov_b64_e32 v[38:39], s[48:49]
	s_andn2_b64 exec, exec, s[44:45]
	s_cbranch_execz .LBB977_97
.LBB977_95:                             ; =>This Inner Loop Header: Depth=1
	s_or_b64 s[46:47], s[46:47], exec
	s_cmp_eq_u64 s[42:43], s[48:49]
	s_cbranch_scc0 .LBB977_93
; %bb.96:                               ;   in Loop: Header=BB977_95 Depth=1
                                        ; implicit-def: $vgpr34_vgpr35
                                        ; implicit-def: $vgpr36_vgpr37
	s_mov_b64 s[48:49], s[26:27]
	s_branch .LBB977_94
.LBB977_97:
	s_or_b64 exec, exec, s[44:45]
	v_cmp_gt_i64_e32 vcc, s[26:27], v[38:39]
	s_orn2_b64 s[42:43], vcc, exec
.LBB977_98:
	s_or_b64 exec, exec, s[40:41]
.LBB977_99:
	s_waitcnt vmcnt(0)
	v_mov_b64_e32 v[34:35], v[30:31]
	s_waitcnt lgkmcnt(0)
	s_barrier
	s_and_saveexec_b64 s[40:41], s[2:3]
	s_cbranch_execz .LBB977_101
; %bb.100:
	v_add_u32_e32 v34, -8, v47
	ds_read_b64 v[34:35], v34
.LBB977_101:
	s_or_b64 exec, exec, s[40:41]
	v_cndmask_b32_e64 v37, 0, 1, s[16:17]
	v_cndmask_b32_e64 v36, 0, 1, s[14:15]
	;; [unrolled: 1-line block ×3, first 2 shown]
	v_lshlrev_b16_e32 v37, 8, v37
	v_lshlrev_b16_e32 v38, 8, v38
	v_or_b32_sdwa v50, v36, v37 dst_sel:WORD_1 dst_unused:UNUSED_PAD src0_sel:DWORD src1_sel:DWORD
	s_mov_b64 s[16:17], 0
	s_and_b64 vcc, exec, s[4:5]
	s_mov_b64 s[14:15], 0
	s_cbranch_vccnz .LBB977_110
; %bb.102:
	s_waitcnt lgkmcnt(0)
	v_mul_lo_u32 v36, v35, s26
	v_mul_lo_u32 v37, v34, s27
	v_mad_u64_u32 v[34:35], s[14:15], v34, s26, 0
	v_add3_u32 v35, v35, v37, v36
	v_lshl_add_u64 v[34:35], v[34:35], 2, s[36:37]
	global_load_dword v36, v[34:35], off
	global_load_dword v37, v[32:33], off
	s_mov_b64 s[14:15], -1
	s_waitcnt vmcnt(0)
	v_cmp_eq_f32_e32 vcc, v36, v37
	s_and_saveexec_b64 s[40:41], vcc
	s_cbranch_execz .LBB977_109
; %bb.103:
	s_add_u32 s14, s26, -1
	v_lshl_add_u64 v[32:33], v[32:33], 0, 4
	v_lshl_add_u64 v[34:35], v[34:35], 0, 4
	s_addc_u32 s15, s27, -1
	s_mov_b64 s[42:43], 0
	s_mov_b64 s[46:47], 0
                                        ; implicit-def: $sgpr44_sgpr45
	s_branch .LBB977_106
.LBB977_104:                            ;   in Loop: Header=BB977_106 Depth=1
	global_load_dword v36, v[34:35], off
	global_load_dword v37, v[32:33], off
	s_add_u32 s46, s46, 1
	s_addc_u32 s47, s47, 0
	s_andn2_b64 s[44:45], s[44:45], exec
	v_lshl_add_u64 v[32:33], v[32:33], 0, 4
	v_lshl_add_u64 v[34:35], v[34:35], 0, 4
	s_waitcnt vmcnt(0)
	v_cmp_neq_f32_e32 vcc, v36, v37
	s_and_b64 s[48:49], vcc, exec
	s_or_b64 s[44:45], s[44:45], s[48:49]
.LBB977_105:                            ;   in Loop: Header=BB977_106 Depth=1
	s_and_b64 s[48:49], exec, s[44:45]
	s_or_b64 s[42:43], s[48:49], s[42:43]
	v_mov_b64_e32 v[36:37], s[46:47]
	s_andn2_b64 exec, exec, s[42:43]
	s_cbranch_execz .LBB977_108
.LBB977_106:                            ; =>This Inner Loop Header: Depth=1
	s_or_b64 s[44:45], s[44:45], exec
	s_cmp_eq_u64 s[14:15], s[46:47]
	s_cbranch_scc0 .LBB977_104
; %bb.107:                              ;   in Loop: Header=BB977_106 Depth=1
                                        ; implicit-def: $vgpr32_vgpr33
                                        ; implicit-def: $vgpr34_vgpr35
	s_mov_b64 s[46:47], s[26:27]
	s_branch .LBB977_105
.LBB977_108:
	s_or_b64 exec, exec, s[42:43]
	v_cmp_gt_i64_e32 vcc, s[26:27], v[36:37]
	s_orn2_b64 s[14:15], vcc, exec
.LBB977_109:
	s_or_b64 exec, exec, s[40:41]
.LBB977_110:
	v_cndmask_b32_e64 v39, 0, 1, s[10:11]
	v_cndmask_b32_e64 v48, 0, 1, s[12:13]
	;; [unrolled: 1-line block ×3, first 2 shown]
	s_waitcnt lgkmcnt(0)
	v_or_b32_e32 v34, v38, v50
	s_and_b64 vcc, exec, s[16:17]
	s_cbranch_vccz .LBB977_191
.LBB977_111:
	v_cmp_gt_u32_e32 vcc, s54, v42
	s_mov_b64 s[10:11], 0
	s_mov_b64 s[6:7], 0
	s_and_saveexec_b64 s[12:13], vcc
	s_cbranch_execz .LBB977_122
; %bb.112:
	s_and_b64 vcc, exec, s[4:5]
	s_mov_b64 s[14:15], 0
	s_cbranch_vccnz .LBB977_121
; %bb.113:
	v_mul_lo_u32 v34, v17, s26
	v_mul_lo_u32 v35, v16, s27
	v_mad_u64_u32 v[32:33], s[6:7], v16, s26, 0
	v_add3_u32 v33, v33, v35, v34
	v_mul_lo_u32 v34, v29, s26
	v_mul_lo_u32 v35, v28, s27
	v_mad_u64_u32 v[36:37], s[6:7], v28, s26, 0
	v_add3_u32 v37, v37, v35, v34
	v_lshl_add_u64 v[34:35], v[32:33], 2, s[36:37]
	v_lshl_add_u64 v[32:33], v[36:37], 2, s[36:37]
	global_load_dword v36, v[34:35], off
	global_load_dword v37, v[32:33], off
	s_mov_b64 s[14:15], -1
	s_waitcnt vmcnt(0)
	v_cmp_eq_f32_e32 vcc, v36, v37
	s_and_saveexec_b64 s[6:7], vcc
	s_cbranch_execz .LBB977_120
; %bb.114:
	s_add_u32 s14, s26, -1
	v_lshl_add_u64 v[32:33], v[32:33], 0, 4
	v_lshl_add_u64 v[34:35], v[34:35], 0, 4
	s_addc_u32 s15, s27, -1
	s_mov_b64 s[16:17], 0
	s_mov_b64 s[42:43], 0
                                        ; implicit-def: $sgpr40_sgpr41
	s_branch .LBB977_117
.LBB977_115:                            ;   in Loop: Header=BB977_117 Depth=1
	global_load_dword v36, v[34:35], off
	global_load_dword v37, v[32:33], off
	s_add_u32 s42, s42, 1
	s_addc_u32 s43, s43, 0
	s_andn2_b64 s[40:41], s[40:41], exec
	v_lshl_add_u64 v[32:33], v[32:33], 0, 4
	v_lshl_add_u64 v[34:35], v[34:35], 0, 4
	s_waitcnt vmcnt(0)
	v_cmp_neq_f32_e32 vcc, v36, v37
	s_and_b64 s[44:45], vcc, exec
	s_or_b64 s[40:41], s[40:41], s[44:45]
.LBB977_116:                            ;   in Loop: Header=BB977_117 Depth=1
	s_and_b64 s[44:45], exec, s[40:41]
	s_or_b64 s[16:17], s[44:45], s[16:17]
	v_mov_b64_e32 v[36:37], s[42:43]
	s_andn2_b64 exec, exec, s[16:17]
	s_cbranch_execz .LBB977_119
.LBB977_117:                            ; =>This Inner Loop Header: Depth=1
	s_or_b64 s[40:41], s[40:41], exec
	s_cmp_eq_u64 s[14:15], s[42:43]
	s_cbranch_scc0 .LBB977_115
; %bb.118:                              ;   in Loop: Header=BB977_117 Depth=1
                                        ; implicit-def: $vgpr32_vgpr33
                                        ; implicit-def: $vgpr34_vgpr35
	s_mov_b64 s[42:43], s[26:27]
	s_branch .LBB977_116
.LBB977_119:
	s_or_b64 exec, exec, s[16:17]
	v_cmp_gt_i64_e32 vcc, s[26:27], v[36:37]
	s_orn2_b64 s[14:15], vcc, exec
.LBB977_120:
	s_or_b64 exec, exec, s[6:7]
.LBB977_121:
	s_and_b64 s[6:7], s[14:15], exec
.LBB977_122:
	s_or_b64 exec, exec, s[12:13]
	v_cmp_gt_u32_e32 vcc, s54, v45
	s_and_saveexec_b64 s[12:13], vcc
	s_cbranch_execz .LBB977_133
; %bb.123:
	s_and_b64 vcc, exec, s[4:5]
	s_mov_b64 s[14:15], 0
	s_cbranch_vccnz .LBB977_132
; %bb.124:
	v_mul_lo_u32 v34, v15, s26
	v_mul_lo_u32 v35, v14, s27
	v_mad_u64_u32 v[32:33], s[10:11], v14, s26, 0
	v_add3_u32 v33, v33, v35, v34
	v_mul_lo_u32 v34, v17, s26
	v_mul_lo_u32 v35, v16, s27
	v_mad_u64_u32 v[36:37], s[10:11], v16, s26, 0
	v_add3_u32 v37, v37, v35, v34
	v_lshl_add_u64 v[34:35], v[32:33], 2, s[36:37]
	v_lshl_add_u64 v[32:33], v[36:37], 2, s[36:37]
	global_load_dword v36, v[34:35], off
	global_load_dword v37, v[32:33], off
	s_mov_b64 s[14:15], -1
	s_waitcnt vmcnt(0)
	v_cmp_eq_f32_e32 vcc, v36, v37
	s_and_saveexec_b64 s[10:11], vcc
	s_cbranch_execz .LBB977_131
; %bb.125:
	s_add_u32 s14, s26, -1
	v_lshl_add_u64 v[32:33], v[32:33], 0, 4
	v_lshl_add_u64 v[34:35], v[34:35], 0, 4
	s_addc_u32 s15, s27, -1
	s_mov_b64 s[16:17], 0
	s_mov_b64 s[42:43], 0
                                        ; implicit-def: $sgpr40_sgpr41
	s_branch .LBB977_128
.LBB977_126:                            ;   in Loop: Header=BB977_128 Depth=1
	global_load_dword v36, v[34:35], off
	global_load_dword v37, v[32:33], off
	s_add_u32 s42, s42, 1
	s_addc_u32 s43, s43, 0
	s_andn2_b64 s[40:41], s[40:41], exec
	v_lshl_add_u64 v[32:33], v[32:33], 0, 4
	v_lshl_add_u64 v[34:35], v[34:35], 0, 4
	s_waitcnt vmcnt(0)
	v_cmp_neq_f32_e32 vcc, v36, v37
	s_and_b64 s[44:45], vcc, exec
	s_or_b64 s[40:41], s[40:41], s[44:45]
.LBB977_127:                            ;   in Loop: Header=BB977_128 Depth=1
	s_and_b64 s[44:45], exec, s[40:41]
	s_or_b64 s[16:17], s[44:45], s[16:17]
	v_mov_b64_e32 v[36:37], s[42:43]
	s_andn2_b64 exec, exec, s[16:17]
	s_cbranch_execz .LBB977_130
.LBB977_128:                            ; =>This Inner Loop Header: Depth=1
	s_or_b64 s[40:41], s[40:41], exec
	s_cmp_eq_u64 s[14:15], s[42:43]
	s_cbranch_scc0 .LBB977_126
; %bb.129:                              ;   in Loop: Header=BB977_128 Depth=1
                                        ; implicit-def: $vgpr32_vgpr33
                                        ; implicit-def: $vgpr34_vgpr35
	s_mov_b64 s[42:43], s[26:27]
	s_branch .LBB977_127
.LBB977_130:
	s_or_b64 exec, exec, s[16:17]
	v_cmp_gt_i64_e32 vcc, s[26:27], v[36:37]
	s_orn2_b64 s[14:15], vcc, exec
.LBB977_131:
	s_or_b64 exec, exec, s[10:11]
.LBB977_132:
	s_and_b64 s[10:11], s[14:15], exec
.LBB977_133:
	s_or_b64 exec, exec, s[12:13]
	v_cmp_gt_u32_e32 vcc, s54, v41
	s_mov_b64 s[14:15], 0
	s_mov_b64 s[12:13], 0
	s_and_saveexec_b64 s[16:17], vcc
	s_cbranch_execz .LBB977_144
; %bb.134:
	s_and_b64 vcc, exec, s[4:5]
	s_mov_b64 s[40:41], 0
	s_cbranch_vccnz .LBB977_143
; %bb.135:
	v_mul_lo_u32 v34, v21, s26
	v_mul_lo_u32 v35, v20, s27
	v_mad_u64_u32 v[32:33], s[12:13], v20, s26, 0
	v_add3_u32 v33, v33, v35, v34
	v_mul_lo_u32 v34, v15, s26
	v_mul_lo_u32 v35, v14, s27
	v_mad_u64_u32 v[36:37], s[12:13], v14, s26, 0
	v_add3_u32 v37, v37, v35, v34
	v_lshl_add_u64 v[34:35], v[32:33], 2, s[36:37]
	v_lshl_add_u64 v[32:33], v[36:37], 2, s[36:37]
	global_load_dword v36, v[34:35], off
	global_load_dword v37, v[32:33], off
	s_mov_b64 s[40:41], -1
	s_waitcnt vmcnt(0)
	v_cmp_eq_f32_e32 vcc, v36, v37
	s_and_saveexec_b64 s[12:13], vcc
	s_cbranch_execz .LBB977_142
; %bb.136:
	s_add_u32 s40, s26, -1
	v_lshl_add_u64 v[32:33], v[32:33], 0, 4
	v_lshl_add_u64 v[34:35], v[34:35], 0, 4
	s_addc_u32 s41, s27, -1
	s_mov_b64 s[42:43], 0
	s_mov_b64 s[46:47], 0
                                        ; implicit-def: $sgpr44_sgpr45
	s_branch .LBB977_139
.LBB977_137:                            ;   in Loop: Header=BB977_139 Depth=1
	global_load_dword v36, v[34:35], off
	global_load_dword v37, v[32:33], off
	s_add_u32 s46, s46, 1
	s_addc_u32 s47, s47, 0
	s_andn2_b64 s[44:45], s[44:45], exec
	v_lshl_add_u64 v[32:33], v[32:33], 0, 4
	v_lshl_add_u64 v[34:35], v[34:35], 0, 4
	s_waitcnt vmcnt(0)
	v_cmp_neq_f32_e32 vcc, v36, v37
	s_and_b64 s[48:49], vcc, exec
	s_or_b64 s[44:45], s[44:45], s[48:49]
.LBB977_138:                            ;   in Loop: Header=BB977_139 Depth=1
	s_and_b64 s[48:49], exec, s[44:45]
	s_or_b64 s[42:43], s[48:49], s[42:43]
	v_mov_b64_e32 v[36:37], s[46:47]
	s_andn2_b64 exec, exec, s[42:43]
	s_cbranch_execz .LBB977_141
.LBB977_139:                            ; =>This Inner Loop Header: Depth=1
	s_or_b64 s[44:45], s[44:45], exec
	s_cmp_eq_u64 s[40:41], s[46:47]
	s_cbranch_scc0 .LBB977_137
; %bb.140:                              ;   in Loop: Header=BB977_139 Depth=1
                                        ; implicit-def: $vgpr32_vgpr33
                                        ; implicit-def: $vgpr34_vgpr35
	s_mov_b64 s[46:47], s[26:27]
	s_branch .LBB977_138
.LBB977_141:
	s_or_b64 exec, exec, s[42:43]
	v_cmp_gt_i64_e32 vcc, s[26:27], v[36:37]
	s_orn2_b64 s[40:41], vcc, exec
.LBB977_142:
	s_or_b64 exec, exec, s[12:13]
.LBB977_143:
	s_and_b64 s[12:13], s[40:41], exec
.LBB977_144:
	s_or_b64 exec, exec, s[16:17]
	v_cmp_gt_u32_e32 vcc, s54, v44
	s_and_saveexec_b64 s[16:17], vcc
	s_cbranch_execz .LBB977_155
; %bb.145:
	s_and_b64 vcc, exec, s[4:5]
	s_mov_b64 s[40:41], 0
	s_cbranch_vccnz .LBB977_154
; %bb.146:
	v_mul_lo_u32 v34, v19, s26
	v_mul_lo_u32 v35, v18, s27
	v_mad_u64_u32 v[32:33], s[14:15], v18, s26, 0
	v_add3_u32 v33, v33, v35, v34
	v_mul_lo_u32 v34, v21, s26
	v_mul_lo_u32 v35, v20, s27
	v_mad_u64_u32 v[36:37], s[14:15], v20, s26, 0
	v_add3_u32 v37, v37, v35, v34
	v_lshl_add_u64 v[34:35], v[32:33], 2, s[36:37]
	v_lshl_add_u64 v[32:33], v[36:37], 2, s[36:37]
	global_load_dword v36, v[34:35], off
	global_load_dword v37, v[32:33], off
	s_mov_b64 s[40:41], -1
	s_waitcnt vmcnt(0)
	v_cmp_eq_f32_e32 vcc, v36, v37
	s_and_saveexec_b64 s[14:15], vcc
	s_cbranch_execz .LBB977_153
; %bb.147:
	s_add_u32 s40, s26, -1
	v_lshl_add_u64 v[32:33], v[32:33], 0, 4
	v_lshl_add_u64 v[34:35], v[34:35], 0, 4
	s_addc_u32 s41, s27, -1
	s_mov_b64 s[42:43], 0
	s_mov_b64 s[46:47], 0
                                        ; implicit-def: $sgpr44_sgpr45
	s_branch .LBB977_150
.LBB977_148:                            ;   in Loop: Header=BB977_150 Depth=1
	global_load_dword v36, v[34:35], off
	global_load_dword v37, v[32:33], off
	s_add_u32 s46, s46, 1
	s_addc_u32 s47, s47, 0
	s_andn2_b64 s[44:45], s[44:45], exec
	v_lshl_add_u64 v[32:33], v[32:33], 0, 4
	v_lshl_add_u64 v[34:35], v[34:35], 0, 4
	s_waitcnt vmcnt(0)
	v_cmp_neq_f32_e32 vcc, v36, v37
	s_and_b64 s[48:49], vcc, exec
	s_or_b64 s[44:45], s[44:45], s[48:49]
.LBB977_149:                            ;   in Loop: Header=BB977_150 Depth=1
	s_and_b64 s[48:49], exec, s[44:45]
	s_or_b64 s[42:43], s[48:49], s[42:43]
	v_mov_b64_e32 v[36:37], s[46:47]
	s_andn2_b64 exec, exec, s[42:43]
	s_cbranch_execz .LBB977_152
.LBB977_150:                            ; =>This Inner Loop Header: Depth=1
	s_or_b64 s[44:45], s[44:45], exec
	s_cmp_eq_u64 s[40:41], s[46:47]
	s_cbranch_scc0 .LBB977_148
; %bb.151:                              ;   in Loop: Header=BB977_150 Depth=1
                                        ; implicit-def: $vgpr32_vgpr33
                                        ; implicit-def: $vgpr34_vgpr35
	s_mov_b64 s[46:47], s[26:27]
	s_branch .LBB977_149
.LBB977_152:
	s_or_b64 exec, exec, s[42:43]
	v_cmp_gt_i64_e32 vcc, s[26:27], v[36:37]
	s_orn2_b64 s[40:41], vcc, exec
.LBB977_153:
	s_or_b64 exec, exec, s[14:15]
.LBB977_154:
	s_and_b64 s[14:15], s[40:41], exec
.LBB977_155:
	s_or_b64 exec, exec, s[16:17]
	v_cmp_gt_u32_e32 vcc, s54, v40
	s_mov_b64 s[16:17], 0
	s_mov_b64 s[40:41], 0
	s_and_saveexec_b64 s[42:43], vcc
	s_cbranch_execz .LBB977_166
; %bb.156:
	s_and_b64 vcc, exec, s[4:5]
	s_mov_b64 s[44:45], 0
	s_cbranch_vccnz .LBB977_165
; %bb.157:
	v_mul_lo_u32 v34, v25, s26
	v_mul_lo_u32 v35, v24, s27
	v_mad_u64_u32 v[32:33], s[40:41], v24, s26, 0
	v_add3_u32 v33, v33, v35, v34
	v_mul_lo_u32 v34, v19, s26
	v_mul_lo_u32 v35, v18, s27
	v_mad_u64_u32 v[36:37], s[40:41], v18, s26, 0
	v_add3_u32 v37, v37, v35, v34
	v_lshl_add_u64 v[34:35], v[32:33], 2, s[36:37]
	v_lshl_add_u64 v[32:33], v[36:37], 2, s[36:37]
	global_load_dword v36, v[34:35], off
	global_load_dword v37, v[32:33], off
	s_mov_b64 s[44:45], -1
	s_waitcnt vmcnt(0)
	v_cmp_eq_f32_e32 vcc, v36, v37
	s_and_saveexec_b64 s[40:41], vcc
	s_cbranch_execz .LBB977_164
; %bb.158:
	s_add_u32 s44, s26, -1
	v_lshl_add_u64 v[32:33], v[32:33], 0, 4
	v_lshl_add_u64 v[34:35], v[34:35], 0, 4
	s_addc_u32 s45, s27, -1
	s_mov_b64 s[46:47], 0
	s_mov_b64 s[50:51], 0
                                        ; implicit-def: $sgpr48_sgpr49
	s_branch .LBB977_161
.LBB977_159:                            ;   in Loop: Header=BB977_161 Depth=1
	global_load_dword v36, v[34:35], off
	global_load_dword v37, v[32:33], off
	s_add_u32 s50, s50, 1
	s_addc_u32 s51, s51, 0
	s_andn2_b64 s[48:49], s[48:49], exec
	v_lshl_add_u64 v[32:33], v[32:33], 0, 4
	v_lshl_add_u64 v[34:35], v[34:35], 0, 4
	s_waitcnt vmcnt(0)
	v_cmp_neq_f32_e32 vcc, v36, v37
	s_and_b64 s[52:53], vcc, exec
	s_or_b64 s[48:49], s[48:49], s[52:53]
.LBB977_160:                            ;   in Loop: Header=BB977_161 Depth=1
	s_and_b64 s[52:53], exec, s[48:49]
	s_or_b64 s[46:47], s[52:53], s[46:47]
	v_mov_b64_e32 v[36:37], s[50:51]
	s_andn2_b64 exec, exec, s[46:47]
	s_cbranch_execz .LBB977_163
.LBB977_161:                            ; =>This Inner Loop Header: Depth=1
	s_or_b64 s[48:49], s[48:49], exec
	s_cmp_eq_u64 s[44:45], s[50:51]
	s_cbranch_scc0 .LBB977_159
; %bb.162:                              ;   in Loop: Header=BB977_161 Depth=1
                                        ; implicit-def: $vgpr32_vgpr33
                                        ; implicit-def: $vgpr34_vgpr35
	s_mov_b64 s[50:51], s[26:27]
	s_branch .LBB977_160
.LBB977_163:
	s_or_b64 exec, exec, s[46:47]
	v_cmp_gt_i64_e32 vcc, s[26:27], v[36:37]
	s_orn2_b64 s[44:45], vcc, exec
.LBB977_164:
	s_or_b64 exec, exec, s[40:41]
.LBB977_165:
	s_and_b64 s[40:41], s[44:45], exec
.LBB977_166:
	s_or_b64 exec, exec, s[42:43]
	v_cmp_gt_u32_e32 vcc, s54, v43
	s_and_saveexec_b64 s[42:43], vcc
	s_cbranch_execz .LBB977_177
; %bb.167:
	s_and_b64 vcc, exec, s[4:5]
	s_mov_b64 s[44:45], 0
	s_cbranch_vccnz .LBB977_176
; %bb.168:
	v_mul_lo_u32 v34, v23, s26
	v_mul_lo_u32 v35, v22, s27
	v_mad_u64_u32 v[32:33], s[16:17], v22, s26, 0
	v_add3_u32 v33, v33, v35, v34
	v_mul_lo_u32 v34, v25, s26
	v_mul_lo_u32 v35, v24, s27
	v_mad_u64_u32 v[36:37], s[16:17], v24, s26, 0
	v_add3_u32 v37, v37, v35, v34
	v_lshl_add_u64 v[34:35], v[32:33], 2, s[36:37]
	v_lshl_add_u64 v[32:33], v[36:37], 2, s[36:37]
	global_load_dword v36, v[34:35], off
	global_load_dword v37, v[32:33], off
	s_mov_b64 s[44:45], -1
	s_waitcnt vmcnt(0)
	v_cmp_eq_f32_e32 vcc, v36, v37
	s_and_saveexec_b64 s[16:17], vcc
	s_cbranch_execz .LBB977_175
; %bb.169:
	s_add_u32 s44, s26, -1
	v_lshl_add_u64 v[32:33], v[32:33], 0, 4
	v_lshl_add_u64 v[34:35], v[34:35], 0, 4
	s_addc_u32 s45, s27, -1
	s_mov_b64 s[46:47], 0
	s_mov_b64 s[50:51], 0
                                        ; implicit-def: $sgpr48_sgpr49
	s_branch .LBB977_172
.LBB977_170:                            ;   in Loop: Header=BB977_172 Depth=1
	global_load_dword v36, v[34:35], off
	global_load_dword v37, v[32:33], off
	s_add_u32 s50, s50, 1
	s_addc_u32 s51, s51, 0
	s_andn2_b64 s[48:49], s[48:49], exec
	v_lshl_add_u64 v[32:33], v[32:33], 0, 4
	v_lshl_add_u64 v[34:35], v[34:35], 0, 4
	s_waitcnt vmcnt(0)
	v_cmp_neq_f32_e32 vcc, v36, v37
	s_and_b64 s[52:53], vcc, exec
	s_or_b64 s[48:49], s[48:49], s[52:53]
.LBB977_171:                            ;   in Loop: Header=BB977_172 Depth=1
	s_and_b64 s[52:53], exec, s[48:49]
	s_or_b64 s[46:47], s[52:53], s[46:47]
	v_mov_b64_e32 v[36:37], s[50:51]
	s_andn2_b64 exec, exec, s[46:47]
	s_cbranch_execz .LBB977_174
.LBB977_172:                            ; =>This Inner Loop Header: Depth=1
	s_or_b64 s[48:49], s[48:49], exec
	s_cmp_eq_u64 s[44:45], s[50:51]
	s_cbranch_scc0 .LBB977_170
; %bb.173:                              ;   in Loop: Header=BB977_172 Depth=1
                                        ; implicit-def: $vgpr32_vgpr33
                                        ; implicit-def: $vgpr34_vgpr35
	s_mov_b64 s[50:51], s[26:27]
	s_branch .LBB977_171
.LBB977_174:
	s_or_b64 exec, exec, s[46:47]
	v_cmp_gt_i64_e32 vcc, s[26:27], v[36:37]
	s_orn2_b64 s[44:45], vcc, exec
.LBB977_175:
	s_or_b64 exec, exec, s[16:17]
.LBB977_176:
	s_and_b64 s[16:17], s[44:45], exec
.LBB977_177:
	s_or_b64 exec, exec, s[42:43]
	s_waitcnt lgkmcnt(0)
	s_barrier
	s_and_saveexec_b64 s[42:43], s[2:3]
	s_cbranch_execz .LBB977_179
; %bb.178:
	s_waitcnt vmcnt(0)
	v_add_u32_e32 v30, -8, v47
	ds_read_b64 v[30:31], v30
.LBB977_179:
	s_or_b64 exec, exec, s[42:43]
	v_cndmask_b32_e64 v33, 0, 1, s[14:15]
	v_cndmask_b32_e64 v32, 0, 1, s[40:41]
	v_cndmask_b32_e64 v34, 0, 1, s[16:17]
	v_lshlrev_b16_e32 v33, 8, v33
	v_cmp_gt_u32_e32 vcc, s54, v1
	v_lshlrev_b16_e32 v36, 8, v34
	v_or_b32_sdwa v37, v32, v33 dst_sel:WORD_1 dst_unused:UNUSED_PAD src0_sel:DWORD src1_sel:DWORD
	s_mov_b64 s[14:15], 0
	s_and_saveexec_b64 s[16:17], vcc
	s_cbranch_execz .LBB977_190
; %bb.180:
	s_and_b64 vcc, exec, s[4:5]
	s_cbranch_vccnz .LBB977_189
; %bb.181:
	s_waitcnt vmcnt(0) lgkmcnt(0)
	v_mul_lo_u32 v32, v31, s26
	v_mul_lo_u32 v33, v30, s27
	v_mad_u64_u32 v[30:31], s[4:5], v30, s26, 0
	v_add3_u32 v31, v31, v33, v32
	v_mul_lo_u32 v32, v23, s26
	v_mul_lo_u32 v33, v22, s27
	v_mad_u64_u32 v[34:35], s[4:5], v22, s26, 0
	v_add3_u32 v35, v35, v33, v32
	v_lshl_add_u64 v[32:33], v[30:31], 2, s[36:37]
	v_lshl_add_u64 v[30:31], v[34:35], 2, s[36:37]
	global_load_dword v34, v[32:33], off
	global_load_dword v35, v[30:31], off
	s_mov_b64 s[14:15], -1
	s_waitcnt vmcnt(0)
	v_cmp_eq_f32_e32 vcc, v34, v35
	s_and_saveexec_b64 s[4:5], vcc
	s_cbranch_execz .LBB977_188
; %bb.182:
	s_add_u32 s14, s26, -1
	v_lshl_add_u64 v[30:31], v[30:31], 0, 4
	v_lshl_add_u64 v[32:33], v[32:33], 0, 4
	s_addc_u32 s15, s27, -1
	s_mov_b64 s[40:41], 0
	s_mov_b64 s[44:45], 0
                                        ; implicit-def: $sgpr42_sgpr43
	s_branch .LBB977_185
.LBB977_183:                            ;   in Loop: Header=BB977_185 Depth=1
	global_load_dword v34, v[32:33], off
	global_load_dword v35, v[30:31], off
	s_add_u32 s44, s44, 1
	s_addc_u32 s45, s45, 0
	s_andn2_b64 s[42:43], s[42:43], exec
	v_lshl_add_u64 v[30:31], v[30:31], 0, 4
	v_lshl_add_u64 v[32:33], v[32:33], 0, 4
	s_waitcnt vmcnt(0)
	v_cmp_neq_f32_e32 vcc, v34, v35
	s_and_b64 s[46:47], vcc, exec
	s_or_b64 s[42:43], s[42:43], s[46:47]
.LBB977_184:                            ;   in Loop: Header=BB977_185 Depth=1
	s_and_b64 s[46:47], exec, s[42:43]
	s_or_b64 s[40:41], s[46:47], s[40:41]
	v_mov_b64_e32 v[34:35], s[44:45]
	s_andn2_b64 exec, exec, s[40:41]
	s_cbranch_execz .LBB977_187
.LBB977_185:                            ; =>This Inner Loop Header: Depth=1
	s_or_b64 s[42:43], s[42:43], exec
	s_cmp_eq_u64 s[14:15], s[44:45]
	s_cbranch_scc0 .LBB977_183
; %bb.186:                              ;   in Loop: Header=BB977_185 Depth=1
                                        ; implicit-def: $vgpr30_vgpr31
                                        ; implicit-def: $vgpr32_vgpr33
	s_mov_b64 s[44:45], s[26:27]
	s_branch .LBB977_184
.LBB977_187:
	s_or_b64 exec, exec, s[40:41]
	v_cmp_gt_i64_e32 vcc, s[26:27], v[34:35]
	s_orn2_b64 s[14:15], vcc, exec
.LBB977_188:
	s_or_b64 exec, exec, s[4:5]
.LBB977_189:
	s_and_b64 s[14:15], s[14:15], exec
.LBB977_190:
	s_or_b64 exec, exec, s[16:17]
	v_cndmask_b32_e64 v39, 0, 1, s[12:13]
	v_cndmask_b32_e64 v48, 0, 1, s[10:11]
	v_cndmask_b32_e64 v49, 0, 1, s[6:7]
	v_or_b32_e32 v34, v36, v37
.LBB977_191:
	s_mov_b64 s[10:11], -1
	s_cbranch_execnz .LBB977_50
.LBB977_192:
	s_movk_i32 s4, 0xffd0
	v_mad_i32_i24 v38, v0, s4, v46
	s_mov_b64 s[12:13], 0
	v_cmp_gt_i64_e64 s[6:7], s[26:27], 0
	s_and_b64 vcc, exec, s[34:35]
	ds_write_b64 v38, v[28:29]
	s_cbranch_vccz .LBB977_200
; %bb.193:
	v_mul_lo_u32 v32, v17, s26
	v_mul_lo_u32 v33, v16, s27
	s_waitcnt vmcnt(0) lgkmcnt(1)
	v_mad_u64_u32 v[30:31], s[4:5], v16, s26, 0
	v_add3_u32 v31, v31, v33, v32
	v_cndmask_b32_e64 v32, 0, 1, s[6:7]
	v_cmp_ne_u32_e64 s[4:5], 1, v32
	s_andn2_b64 vcc, exec, s[6:7]
	v_lshl_add_u64 v[30:31], v[30:31], 2, s[36:37]
	s_cbranch_vccnz .LBB977_203
; %bb.194:
	v_mul_lo_u32 v34, v29, s26
	v_mul_lo_u32 v35, v28, s27
	v_mad_u64_u32 v[32:33], s[12:13], v28, s26, 0
	v_add3_u32 v33, v33, v35, v34
	v_lshl_add_u64 v[32:33], v[32:33], 2, s[36:37]
	global_load_dword v34, v[30:31], off
	global_load_dword v35, v[32:33], off
	s_mov_b64 s[12:13], -1
	s_waitcnt vmcnt(0)
	v_cmp_eq_f32_e32 vcc, v34, v35
	s_and_saveexec_b64 s[14:15], vcc
	s_cbranch_execz .LBB977_202
; %bb.195:
	s_add_u32 s12, s26, -1
	v_lshl_add_u64 v[32:33], v[32:33], 0, 4
	v_lshl_add_u64 v[34:35], v[30:31], 0, 4
	s_addc_u32 s13, s27, -1
	s_mov_b64 s[16:17], 0
	s_mov_b64 s[42:43], 0
                                        ; implicit-def: $sgpr40_sgpr41
	s_branch .LBB977_198
.LBB977_196:                            ;   in Loop: Header=BB977_198 Depth=1
	global_load_dword v36, v[34:35], off
	global_load_dword v37, v[32:33], off
	s_add_u32 s42, s42, 1
	s_addc_u32 s43, s43, 0
	s_andn2_b64 s[40:41], s[40:41], exec
	v_lshl_add_u64 v[32:33], v[32:33], 0, 4
	v_lshl_add_u64 v[34:35], v[34:35], 0, 4
	s_waitcnt vmcnt(0)
	v_cmp_neq_f32_e32 vcc, v36, v37
	s_and_b64 s[44:45], vcc, exec
	s_or_b64 s[40:41], s[40:41], s[44:45]
.LBB977_197:                            ;   in Loop: Header=BB977_198 Depth=1
	s_and_b64 s[44:45], exec, s[40:41]
	s_or_b64 s[16:17], s[44:45], s[16:17]
	v_mov_b64_e32 v[36:37], s[42:43]
	s_andn2_b64 exec, exec, s[16:17]
	s_cbranch_execz .LBB977_201
.LBB977_198:                            ; =>This Inner Loop Header: Depth=1
	s_or_b64 s[40:41], s[40:41], exec
	s_cmp_eq_u64 s[12:13], s[42:43]
	s_cbranch_scc0 .LBB977_196
; %bb.199:                              ;   in Loop: Header=BB977_198 Depth=1
                                        ; implicit-def: $vgpr32_vgpr33
                                        ; implicit-def: $vgpr34_vgpr35
	s_mov_b64 s[42:43], s[26:27]
	s_branch .LBB977_197
.LBB977_200:
                                        ; implicit-def: $sgpr14_sgpr15
                                        ; implicit-def: $vgpr49
                                        ; implicit-def: $vgpr48
                                        ; implicit-def: $vgpr39
                                        ; implicit-def: $vgpr34
                                        ; implicit-def: $vgpr30_vgpr31
	s_cbranch_execnz .LBB977_260
	s_branch .LBB977_340
.LBB977_201:
	s_or_b64 exec, exec, s[16:17]
	v_cmp_gt_i64_e32 vcc, s[26:27], v[36:37]
	s_orn2_b64 s[12:13], vcc, exec
.LBB977_202:
	s_or_b64 exec, exec, s[14:15]
.LBB977_203:
	v_mul_lo_u32 v34, v15, s26
	v_mul_lo_u32 v35, v14, s27
	v_mad_u64_u32 v[32:33], s[14:15], v14, s26, 0
	v_add3_u32 v33, v33, v35, v34
	s_mov_b64 s[14:15], 0
	s_and_b64 vcc, exec, s[4:5]
	v_lshl_add_u64 v[32:33], v[32:33], 2, s[36:37]
	s_mov_b64 s[16:17], 0
	s_cbranch_vccnz .LBB977_212
; %bb.204:
	global_load_dword v34, v[32:33], off
	global_load_dword v35, v[30:31], off
	s_mov_b64 s[16:17], -1
	s_waitcnt vmcnt(0)
	v_cmp_eq_f32_e32 vcc, v34, v35
	s_and_saveexec_b64 s[40:41], vcc
	s_cbranch_execz .LBB977_211
; %bb.205:
	s_add_u32 s16, s26, -1
	v_lshl_add_u64 v[30:31], v[30:31], 0, 4
	v_lshl_add_u64 v[34:35], v[32:33], 0, 4
	s_addc_u32 s17, s27, -1
	s_mov_b64 s[42:43], 0
	s_mov_b64 s[46:47], 0
                                        ; implicit-def: $sgpr44_sgpr45
	s_branch .LBB977_208
.LBB977_206:                            ;   in Loop: Header=BB977_208 Depth=1
	global_load_dword v36, v[34:35], off
	global_load_dword v37, v[30:31], off
	s_add_u32 s46, s46, 1
	s_addc_u32 s47, s47, 0
	s_andn2_b64 s[44:45], s[44:45], exec
	v_lshl_add_u64 v[30:31], v[30:31], 0, 4
	v_lshl_add_u64 v[34:35], v[34:35], 0, 4
	s_waitcnt vmcnt(0)
	v_cmp_neq_f32_e32 vcc, v36, v37
	s_and_b64 s[48:49], vcc, exec
	s_or_b64 s[44:45], s[44:45], s[48:49]
.LBB977_207:                            ;   in Loop: Header=BB977_208 Depth=1
	s_and_b64 s[48:49], exec, s[44:45]
	s_or_b64 s[42:43], s[48:49], s[42:43]
	v_mov_b64_e32 v[36:37], s[46:47]
	s_andn2_b64 exec, exec, s[42:43]
	s_cbranch_execz .LBB977_210
.LBB977_208:                            ; =>This Inner Loop Header: Depth=1
	s_or_b64 s[44:45], s[44:45], exec
	s_cmp_eq_u64 s[16:17], s[46:47]
	s_cbranch_scc0 .LBB977_206
; %bb.209:                              ;   in Loop: Header=BB977_208 Depth=1
                                        ; implicit-def: $vgpr30_vgpr31
                                        ; implicit-def: $vgpr34_vgpr35
	s_mov_b64 s[46:47], s[26:27]
	s_branch .LBB977_207
.LBB977_210:
	s_or_b64 exec, exec, s[42:43]
	v_cmp_gt_i64_e32 vcc, s[26:27], v[36:37]
	s_orn2_b64 s[16:17], vcc, exec
.LBB977_211:
	s_or_b64 exec, exec, s[40:41]
.LBB977_212:
	v_mul_lo_u32 v34, v21, s26
	v_mul_lo_u32 v35, v20, s27
	v_mad_u64_u32 v[30:31], s[40:41], v20, s26, 0
	v_add3_u32 v31, v31, v35, v34
	s_and_b64 vcc, exec, s[4:5]
	v_lshl_add_u64 v[30:31], v[30:31], 2, s[36:37]
	s_cbranch_vccnz .LBB977_221
; %bb.213:
	global_load_dword v34, v[30:31], off
	global_load_dword v35, v[32:33], off
	s_mov_b64 s[14:15], -1
	s_waitcnt vmcnt(0)
	v_cmp_eq_f32_e32 vcc, v34, v35
	s_and_saveexec_b64 s[40:41], vcc
	s_cbranch_execz .LBB977_220
; %bb.214:
	s_add_u32 s14, s26, -1
	v_lshl_add_u64 v[32:33], v[32:33], 0, 4
	v_lshl_add_u64 v[34:35], v[30:31], 0, 4
	s_addc_u32 s15, s27, -1
	s_mov_b64 s[42:43], 0
	s_mov_b64 s[46:47], 0
                                        ; implicit-def: $sgpr44_sgpr45
	s_branch .LBB977_217
.LBB977_215:                            ;   in Loop: Header=BB977_217 Depth=1
	global_load_dword v36, v[34:35], off
	global_load_dword v37, v[32:33], off
	s_add_u32 s46, s46, 1
	s_addc_u32 s47, s47, 0
	s_andn2_b64 s[44:45], s[44:45], exec
	v_lshl_add_u64 v[32:33], v[32:33], 0, 4
	v_lshl_add_u64 v[34:35], v[34:35], 0, 4
	s_waitcnt vmcnt(0)
	v_cmp_neq_f32_e32 vcc, v36, v37
	s_and_b64 s[48:49], vcc, exec
	s_or_b64 s[44:45], s[44:45], s[48:49]
.LBB977_216:                            ;   in Loop: Header=BB977_217 Depth=1
	s_and_b64 s[48:49], exec, s[44:45]
	s_or_b64 s[42:43], s[48:49], s[42:43]
	v_mov_b64_e32 v[36:37], s[46:47]
	s_andn2_b64 exec, exec, s[42:43]
	s_cbranch_execz .LBB977_219
.LBB977_217:                            ; =>This Inner Loop Header: Depth=1
	s_or_b64 s[44:45], s[44:45], exec
	s_cmp_eq_u64 s[14:15], s[46:47]
	s_cbranch_scc0 .LBB977_215
; %bb.218:                              ;   in Loop: Header=BB977_217 Depth=1
                                        ; implicit-def: $vgpr32_vgpr33
                                        ; implicit-def: $vgpr34_vgpr35
	s_mov_b64 s[46:47], s[26:27]
	s_branch .LBB977_216
.LBB977_219:
	s_or_b64 exec, exec, s[42:43]
	v_cmp_gt_i64_e32 vcc, s[26:27], v[36:37]
	s_orn2_b64 s[14:15], vcc, exec
.LBB977_220:
	s_or_b64 exec, exec, s[40:41]
.LBB977_221:
	v_mul_lo_u32 v34, v19, s26
	v_mul_lo_u32 v35, v18, s27
	v_mad_u64_u32 v[32:33], s[40:41], v18, s26, 0
	v_add3_u32 v33, v33, v35, v34
	s_mov_b64 s[40:41], 0
	s_and_b64 vcc, exec, s[4:5]
	v_lshl_add_u64 v[32:33], v[32:33], 2, s[36:37]
	s_mov_b64 s[42:43], 0
	s_cbranch_vccnz .LBB977_230
; %bb.222:
	global_load_dword v34, v[32:33], off
	global_load_dword v35, v[30:31], off
	s_mov_b64 s[42:43], -1
	s_waitcnt vmcnt(0)
	v_cmp_eq_f32_e32 vcc, v34, v35
	s_and_saveexec_b64 s[44:45], vcc
	s_cbranch_execz .LBB977_229
; %bb.223:
	s_add_u32 s42, s26, -1
	v_lshl_add_u64 v[30:31], v[30:31], 0, 4
	v_lshl_add_u64 v[34:35], v[32:33], 0, 4
	s_addc_u32 s43, s27, -1
	s_mov_b64 s[46:47], 0
	s_mov_b64 s[50:51], 0
                                        ; implicit-def: $sgpr48_sgpr49
	s_branch .LBB977_226
.LBB977_224:                            ;   in Loop: Header=BB977_226 Depth=1
	global_load_dword v36, v[34:35], off
	global_load_dword v37, v[30:31], off
	s_add_u32 s50, s50, 1
	s_addc_u32 s51, s51, 0
	s_andn2_b64 s[48:49], s[48:49], exec
	v_lshl_add_u64 v[30:31], v[30:31], 0, 4
	v_lshl_add_u64 v[34:35], v[34:35], 0, 4
	s_waitcnt vmcnt(0)
	v_cmp_neq_f32_e32 vcc, v36, v37
	s_and_b64 s[52:53], vcc, exec
	s_or_b64 s[48:49], s[48:49], s[52:53]
.LBB977_225:                            ;   in Loop: Header=BB977_226 Depth=1
	s_and_b64 s[52:53], exec, s[48:49]
	s_or_b64 s[46:47], s[52:53], s[46:47]
	v_mov_b64_e32 v[36:37], s[50:51]
	s_andn2_b64 exec, exec, s[46:47]
	s_cbranch_execz .LBB977_228
.LBB977_226:                            ; =>This Inner Loop Header: Depth=1
	s_or_b64 s[48:49], s[48:49], exec
	s_cmp_eq_u64 s[42:43], s[50:51]
	s_cbranch_scc0 .LBB977_224
; %bb.227:                              ;   in Loop: Header=BB977_226 Depth=1
                                        ; implicit-def: $vgpr30_vgpr31
                                        ; implicit-def: $vgpr34_vgpr35
	s_mov_b64 s[50:51], s[26:27]
	s_branch .LBB977_225
.LBB977_228:
	s_or_b64 exec, exec, s[46:47]
	v_cmp_gt_i64_e32 vcc, s[26:27], v[36:37]
	s_orn2_b64 s[42:43], vcc, exec
.LBB977_229:
	s_or_b64 exec, exec, s[44:45]
.LBB977_230:
	v_mul_lo_u32 v34, v25, s26
	v_mul_lo_u32 v35, v24, s27
	v_mad_u64_u32 v[30:31], s[44:45], v24, s26, 0
	v_add3_u32 v31, v31, v35, v34
	s_and_b64 vcc, exec, s[4:5]
	v_lshl_add_u64 v[30:31], v[30:31], 2, s[36:37]
	s_cbranch_vccnz .LBB977_239
; %bb.231:
	global_load_dword v34, v[30:31], off
	global_load_dword v35, v[32:33], off
	s_mov_b64 s[40:41], -1
	s_waitcnt vmcnt(0)
	v_cmp_eq_f32_e32 vcc, v34, v35
	s_and_saveexec_b64 s[44:45], vcc
	s_cbranch_execz .LBB977_238
; %bb.232:
	s_add_u32 s40, s26, -1
	v_lshl_add_u64 v[32:33], v[32:33], 0, 4
	v_lshl_add_u64 v[34:35], v[30:31], 0, 4
	s_addc_u32 s41, s27, -1
	s_mov_b64 s[46:47], 0
	s_mov_b64 s[50:51], 0
                                        ; implicit-def: $sgpr48_sgpr49
	s_branch .LBB977_235
.LBB977_233:                            ;   in Loop: Header=BB977_235 Depth=1
	global_load_dword v36, v[34:35], off
	global_load_dword v37, v[32:33], off
	s_add_u32 s50, s50, 1
	s_addc_u32 s51, s51, 0
	s_andn2_b64 s[48:49], s[48:49], exec
	v_lshl_add_u64 v[32:33], v[32:33], 0, 4
	v_lshl_add_u64 v[34:35], v[34:35], 0, 4
	s_waitcnt vmcnt(0)
	v_cmp_neq_f32_e32 vcc, v36, v37
	s_and_b64 s[52:53], vcc, exec
	s_or_b64 s[48:49], s[48:49], s[52:53]
.LBB977_234:                            ;   in Loop: Header=BB977_235 Depth=1
	s_and_b64 s[52:53], exec, s[48:49]
	s_or_b64 s[46:47], s[52:53], s[46:47]
	v_mov_b64_e32 v[36:37], s[50:51]
	s_andn2_b64 exec, exec, s[46:47]
	s_cbranch_execz .LBB977_237
.LBB977_235:                            ; =>This Inner Loop Header: Depth=1
	s_or_b64 s[48:49], s[48:49], exec
	s_cmp_eq_u64 s[40:41], s[50:51]
	s_cbranch_scc0 .LBB977_233
; %bb.236:                              ;   in Loop: Header=BB977_235 Depth=1
                                        ; implicit-def: $vgpr32_vgpr33
                                        ; implicit-def: $vgpr34_vgpr35
	s_mov_b64 s[50:51], s[26:27]
	s_branch .LBB977_234
.LBB977_237:
	s_or_b64 exec, exec, s[46:47]
	v_cmp_gt_i64_e32 vcc, s[26:27], v[36:37]
	s_orn2_b64 s[40:41], vcc, exec
.LBB977_238:
	s_or_b64 exec, exec, s[44:45]
.LBB977_239:
	v_mul_lo_u32 v34, v23, s26
	v_mul_lo_u32 v35, v22, s27
	v_mad_u64_u32 v[32:33], s[44:45], v22, s26, 0
	v_add3_u32 v33, v33, v35, v34
	s_and_b64 vcc, exec, s[4:5]
	s_mov_b64 s[46:47], 0
	s_cbranch_vccnz .LBB977_248
; %bb.240:
	v_lshl_add_u64 v[34:35], v[32:33], 2, s[36:37]
	global_load_dword v36, v[34:35], off
	global_load_dword v37, v[30:31], off
	s_mov_b64 s[46:47], -1
	s_waitcnt vmcnt(0)
	v_cmp_eq_f32_e32 vcc, v36, v37
	s_and_saveexec_b64 s[44:45], vcc
	s_cbranch_execz .LBB977_247
; %bb.241:
	s_add_u32 s46, s26, -1
	v_lshl_add_u64 v[30:31], v[30:31], 0, 4
	v_lshl_add_u64 v[34:35], v[34:35], 0, 4
	s_addc_u32 s47, s27, -1
	s_mov_b64 s[48:49], 0
	s_mov_b64 s[52:53], 0
                                        ; implicit-def: $sgpr50_sgpr51
	s_branch .LBB977_244
.LBB977_242:                            ;   in Loop: Header=BB977_244 Depth=1
	global_load_dword v36, v[34:35], off
	global_load_dword v37, v[30:31], off
	s_add_u32 s52, s52, 1
	s_addc_u32 s53, s53, 0
	s_andn2_b64 s[50:51], s[50:51], exec
	v_lshl_add_u64 v[30:31], v[30:31], 0, 4
	v_lshl_add_u64 v[34:35], v[34:35], 0, 4
	s_waitcnt vmcnt(0)
	v_cmp_neq_f32_e32 vcc, v36, v37
	s_and_b64 s[56:57], vcc, exec
	s_or_b64 s[50:51], s[50:51], s[56:57]
.LBB977_243:                            ;   in Loop: Header=BB977_244 Depth=1
	s_and_b64 s[56:57], exec, s[50:51]
	s_or_b64 s[48:49], s[56:57], s[48:49]
	v_mov_b64_e32 v[36:37], s[52:53]
	s_andn2_b64 exec, exec, s[48:49]
	s_cbranch_execz .LBB977_246
.LBB977_244:                            ; =>This Inner Loop Header: Depth=1
	s_or_b64 s[50:51], s[50:51], exec
	s_cmp_eq_u64 s[46:47], s[52:53]
	s_cbranch_scc0 .LBB977_242
; %bb.245:                              ;   in Loop: Header=BB977_244 Depth=1
                                        ; implicit-def: $vgpr30_vgpr31
                                        ; implicit-def: $vgpr34_vgpr35
	s_mov_b64 s[52:53], s[26:27]
	s_branch .LBB977_243
.LBB977_246:
	s_or_b64 exec, exec, s[48:49]
	v_cmp_gt_i64_e32 vcc, s[26:27], v[36:37]
	s_orn2_b64 s[46:47], vcc, exec
.LBB977_247:
	s_or_b64 exec, exec, s[44:45]
.LBB977_248:
	v_cndmask_b32_e64 v31, 0, 1, s[42:43]
	v_cndmask_b32_e64 v30, 0, 1, s[40:41]
	;; [unrolled: 1-line block ×3, first 2 shown]
	v_lshlrev_b16_e32 v31, 8, v31
	v_cndmask_b32_e64 v39, 0, 1, s[14:15]
	v_cndmask_b32_e64 v34, 0, 1, s[46:47]
	v_or_b32_sdwa v30, v30, v31 dst_sel:WORD_1 dst_unused:UNUSED_PAD src0_sel:DWORD src1_sel:DWORD
	v_lshlrev_b16_e32 v31, 8, v48
	v_lshlrev_b16_e32 v34, 8, v34
	v_or_b32_e32 v31, v39, v31
	v_or_b32_e32 v34, 1, v34
	v_and_b32_e32 v31, 0xffff, v31
	v_cndmask_b32_e64 v49, 0, 1, s[12:13]
	v_or_b32_sdwa v30, v34, v30 dst_sel:DWORD dst_unused:UNUSED_PAD src0_sel:WORD_0 src1_sel:DWORD
	v_lshl_or_b32 v31, v49, 16, v31
	s_waitcnt lgkmcnt(0)
	s_barrier
	s_waitcnt lgkmcnt(0)
                                        ; implicit-def: $sgpr14_sgpr15
                                        ; implicit-def: $vgpr34
	s_and_saveexec_b64 s[12:13], s[2:3]
	s_xor_b64 s[12:13], exec, s[12:13]
	s_cbranch_execz .LBB977_259
; %bb.249:
	s_mov_b32 s44, 0x3020104
	s_and_b64 vcc, exec, s[4:5]
	s_mov_b64 s[14:15], 0
	s_cbranch_vccnz .LBB977_258
; %bb.250:
	v_add_u32_e32 v31, -8, v38
	ds_read_b64 v[34:35], v31
	v_lshl_add_u64 v[32:33], v[32:33], 2, s[36:37]
	s_mov_b64 s[14:15], -1
	s_waitcnt lgkmcnt(0)
	v_mul_lo_u32 v31, v35, s26
	v_mul_lo_u32 v36, v34, s27
	v_mad_u64_u32 v[34:35], s[4:5], v34, s26, 0
	v_add3_u32 v35, v35, v36, v31
	v_lshl_add_u64 v[34:35], v[34:35], 2, s[36:37]
	global_load_dword v31, v[34:35], off
	global_load_dword v36, v[32:33], off
	s_waitcnt vmcnt(0)
	v_cmp_eq_f32_e32 vcc, v31, v36
	s_and_saveexec_b64 s[4:5], vcc
	s_cbranch_execz .LBB977_257
; %bb.251:
	s_add_u32 s14, s26, -1
	v_lshl_add_u64 v[32:33], v[32:33], 0, 4
	v_lshl_add_u64 v[34:35], v[34:35], 0, 4
	s_addc_u32 s15, s27, -1
	s_mov_b64 s[16:17], 0
	s_mov_b64 s[42:43], 0
                                        ; implicit-def: $sgpr40_sgpr41
	s_branch .LBB977_254
.LBB977_252:                            ;   in Loop: Header=BB977_254 Depth=1
	global_load_dword v31, v[34:35], off
	global_load_dword v36, v[32:33], off
	s_add_u32 s42, s42, 1
	s_addc_u32 s43, s43, 0
	s_andn2_b64 s[40:41], s[40:41], exec
	v_lshl_add_u64 v[32:33], v[32:33], 0, 4
	v_lshl_add_u64 v[34:35], v[34:35], 0, 4
	s_waitcnt vmcnt(0)
	v_cmp_neq_f32_e32 vcc, v31, v36
	s_and_b64 s[46:47], vcc, exec
	s_or_b64 s[40:41], s[40:41], s[46:47]
.LBB977_253:                            ;   in Loop: Header=BB977_254 Depth=1
	s_and_b64 s[46:47], exec, s[40:41]
	s_or_b64 s[16:17], s[46:47], s[16:17]
	v_mov_b64_e32 v[36:37], s[42:43]
	s_andn2_b64 exec, exec, s[16:17]
	s_cbranch_execz .LBB977_256
.LBB977_254:                            ; =>This Inner Loop Header: Depth=1
	s_or_b64 s[40:41], s[40:41], exec
	s_cmp_eq_u64 s[14:15], s[42:43]
	s_cbranch_scc0 .LBB977_252
; %bb.255:                              ;   in Loop: Header=BB977_254 Depth=1
                                        ; implicit-def: $vgpr32_vgpr33
                                        ; implicit-def: $vgpr34_vgpr35
	s_mov_b64 s[42:43], s[26:27]
	s_branch .LBB977_253
.LBB977_256:
	s_or_b64 exec, exec, s[16:17]
	v_cmp_gt_i64_e32 vcc, s[26:27], v[36:37]
	s_orn2_b64 s[14:15], vcc, exec
.LBB977_257:
	s_or_b64 exec, exec, s[4:5]
.LBB977_258:
	v_perm_b32 v34, v30, v30, s44
	s_and_b64 s[14:15], s[14:15], exec
	s_or_b64 s[10:11], s[10:11], exec
                                        ; implicit-def: $vgpr30_vgpr31
.LBB977_259:
	s_or_b64 exec, exec, s[12:13]
	s_branch .LBB977_340
.LBB977_260:
	v_cmp_gt_u32_e32 vcc, s54, v42
	s_mov_b64 s[12:13], 0
	s_mov_b64 s[4:5], 0
	s_and_saveexec_b64 s[14:15], vcc
	s_cbranch_execz .LBB977_271
; %bb.261:
	s_andn2_b64 vcc, exec, s[6:7]
	s_mov_b64 s[16:17], 0
	s_cbranch_vccnz .LBB977_270
; %bb.262:
	v_mul_lo_u32 v32, v17, s26
	v_mul_lo_u32 v33, v16, s27
	s_waitcnt vmcnt(0) lgkmcnt(1)
	v_mad_u64_u32 v[30:31], s[4:5], v16, s26, 0
	v_add3_u32 v31, v31, v33, v32
	v_mul_lo_u32 v32, v29, s26
	v_mul_lo_u32 v33, v28, s27
	v_mad_u64_u32 v[34:35], s[4:5], v28, s26, 0
	v_add3_u32 v35, v35, v33, v32
	v_lshl_add_u64 v[32:33], v[30:31], 2, s[36:37]
	v_lshl_add_u64 v[30:31], v[34:35], 2, s[36:37]
	global_load_dword v34, v[32:33], off
	global_load_dword v35, v[30:31], off
	s_mov_b64 s[16:17], -1
	s_waitcnt vmcnt(0)
	v_cmp_eq_f32_e32 vcc, v34, v35
	s_and_saveexec_b64 s[4:5], vcc
	s_cbranch_execz .LBB977_269
; %bb.263:
	s_add_u32 s16, s26, -1
	v_lshl_add_u64 v[30:31], v[30:31], 0, 4
	v_lshl_add_u64 v[32:33], v[32:33], 0, 4
	s_addc_u32 s17, s27, -1
	s_mov_b64 s[40:41], 0
	s_mov_b64 s[44:45], 0
                                        ; implicit-def: $sgpr42_sgpr43
	s_branch .LBB977_266
.LBB977_264:                            ;   in Loop: Header=BB977_266 Depth=1
	global_load_dword v34, v[32:33], off
	global_load_dword v35, v[30:31], off
	s_add_u32 s44, s44, 1
	s_addc_u32 s45, s45, 0
	s_andn2_b64 s[42:43], s[42:43], exec
	v_lshl_add_u64 v[30:31], v[30:31], 0, 4
	v_lshl_add_u64 v[32:33], v[32:33], 0, 4
	s_waitcnt vmcnt(0)
	v_cmp_neq_f32_e32 vcc, v34, v35
	s_and_b64 s[46:47], vcc, exec
	s_or_b64 s[42:43], s[42:43], s[46:47]
.LBB977_265:                            ;   in Loop: Header=BB977_266 Depth=1
	s_and_b64 s[46:47], exec, s[42:43]
	s_or_b64 s[40:41], s[46:47], s[40:41]
	v_mov_b64_e32 v[34:35], s[44:45]
	s_andn2_b64 exec, exec, s[40:41]
	s_cbranch_execz .LBB977_268
.LBB977_266:                            ; =>This Inner Loop Header: Depth=1
	s_or_b64 s[42:43], s[42:43], exec
	s_cmp_eq_u64 s[16:17], s[44:45]
	s_cbranch_scc0 .LBB977_264
; %bb.267:                              ;   in Loop: Header=BB977_266 Depth=1
                                        ; implicit-def: $vgpr30_vgpr31
                                        ; implicit-def: $vgpr32_vgpr33
	s_mov_b64 s[44:45], s[26:27]
	s_branch .LBB977_265
.LBB977_268:
	s_or_b64 exec, exec, s[40:41]
	v_cmp_gt_i64_e32 vcc, s[26:27], v[34:35]
	s_orn2_b64 s[16:17], vcc, exec
.LBB977_269:
	s_or_b64 exec, exec, s[4:5]
.LBB977_270:
	s_and_b64 s[4:5], s[16:17], exec
.LBB977_271:
	s_or_b64 exec, exec, s[14:15]
	v_cmp_gt_u32_e32 vcc, s54, v45
	s_and_saveexec_b64 s[14:15], vcc
	s_cbranch_execz .LBB977_282
; %bb.272:
	s_andn2_b64 vcc, exec, s[6:7]
	s_mov_b64 s[16:17], 0
	s_cbranch_vccnz .LBB977_281
; %bb.273:
	v_mul_lo_u32 v32, v15, s26
	v_mul_lo_u32 v33, v14, s27
	s_waitcnt vmcnt(0) lgkmcnt(1)
	v_mad_u64_u32 v[30:31], s[12:13], v14, s26, 0
	v_add3_u32 v31, v31, v33, v32
	v_mul_lo_u32 v32, v17, s26
	v_mul_lo_u32 v33, v16, s27
	v_mad_u64_u32 v[34:35], s[12:13], v16, s26, 0
	v_add3_u32 v35, v35, v33, v32
	v_lshl_add_u64 v[32:33], v[30:31], 2, s[36:37]
	v_lshl_add_u64 v[30:31], v[34:35], 2, s[36:37]
	global_load_dword v34, v[32:33], off
	global_load_dword v35, v[30:31], off
	s_mov_b64 s[16:17], -1
	s_waitcnt vmcnt(0)
	v_cmp_eq_f32_e32 vcc, v34, v35
	s_and_saveexec_b64 s[12:13], vcc
	s_cbranch_execz .LBB977_280
; %bb.274:
	s_add_u32 s16, s26, -1
	v_lshl_add_u64 v[30:31], v[30:31], 0, 4
	v_lshl_add_u64 v[32:33], v[32:33], 0, 4
	s_addc_u32 s17, s27, -1
	s_mov_b64 s[40:41], 0
	s_mov_b64 s[44:45], 0
                                        ; implicit-def: $sgpr42_sgpr43
	s_branch .LBB977_277
.LBB977_275:                            ;   in Loop: Header=BB977_277 Depth=1
	global_load_dword v34, v[32:33], off
	global_load_dword v35, v[30:31], off
	s_add_u32 s44, s44, 1
	s_addc_u32 s45, s45, 0
	s_andn2_b64 s[42:43], s[42:43], exec
	v_lshl_add_u64 v[30:31], v[30:31], 0, 4
	v_lshl_add_u64 v[32:33], v[32:33], 0, 4
	s_waitcnt vmcnt(0)
	v_cmp_neq_f32_e32 vcc, v34, v35
	s_and_b64 s[46:47], vcc, exec
	s_or_b64 s[42:43], s[42:43], s[46:47]
.LBB977_276:                            ;   in Loop: Header=BB977_277 Depth=1
	s_and_b64 s[46:47], exec, s[42:43]
	s_or_b64 s[40:41], s[46:47], s[40:41]
	v_mov_b64_e32 v[34:35], s[44:45]
	s_andn2_b64 exec, exec, s[40:41]
	s_cbranch_execz .LBB977_279
.LBB977_277:                            ; =>This Inner Loop Header: Depth=1
	s_or_b64 s[42:43], s[42:43], exec
	s_cmp_eq_u64 s[16:17], s[44:45]
	s_cbranch_scc0 .LBB977_275
; %bb.278:                              ;   in Loop: Header=BB977_277 Depth=1
                                        ; implicit-def: $vgpr30_vgpr31
                                        ; implicit-def: $vgpr32_vgpr33
	s_mov_b64 s[44:45], s[26:27]
	s_branch .LBB977_276
.LBB977_279:
	s_or_b64 exec, exec, s[40:41]
	v_cmp_gt_i64_e32 vcc, s[26:27], v[34:35]
	s_orn2_b64 s[16:17], vcc, exec
.LBB977_280:
	s_or_b64 exec, exec, s[12:13]
.LBB977_281:
	s_and_b64 s[12:13], s[16:17], exec
.LBB977_282:
	s_or_b64 exec, exec, s[14:15]
	v_cmp_gt_u32_e32 vcc, s54, v41
	s_mov_b64 s[16:17], 0
	s_mov_b64 s[14:15], 0
	s_and_saveexec_b64 s[40:41], vcc
	s_cbranch_execz .LBB977_293
; %bb.283:
	s_andn2_b64 vcc, exec, s[6:7]
	s_mov_b64 s[42:43], 0
	s_cbranch_vccnz .LBB977_292
; %bb.284:
	v_mul_lo_u32 v32, v21, s26
	v_mul_lo_u32 v33, v20, s27
	s_waitcnt vmcnt(0) lgkmcnt(1)
	v_mad_u64_u32 v[30:31], s[14:15], v20, s26, 0
	v_add3_u32 v31, v31, v33, v32
	v_mul_lo_u32 v32, v15, s26
	v_mul_lo_u32 v33, v14, s27
	v_mad_u64_u32 v[34:35], s[14:15], v14, s26, 0
	v_add3_u32 v35, v35, v33, v32
	v_lshl_add_u64 v[32:33], v[30:31], 2, s[36:37]
	v_lshl_add_u64 v[30:31], v[34:35], 2, s[36:37]
	global_load_dword v34, v[32:33], off
	global_load_dword v35, v[30:31], off
	s_mov_b64 s[42:43], -1
	s_waitcnt vmcnt(0)
	v_cmp_eq_f32_e32 vcc, v34, v35
	s_and_saveexec_b64 s[14:15], vcc
	s_cbranch_execz .LBB977_291
; %bb.285:
	s_add_u32 s42, s26, -1
	v_lshl_add_u64 v[30:31], v[30:31], 0, 4
	v_lshl_add_u64 v[32:33], v[32:33], 0, 4
	s_addc_u32 s43, s27, -1
	s_mov_b64 s[44:45], 0
	s_mov_b64 s[48:49], 0
                                        ; implicit-def: $sgpr46_sgpr47
	s_branch .LBB977_288
.LBB977_286:                            ;   in Loop: Header=BB977_288 Depth=1
	global_load_dword v34, v[32:33], off
	global_load_dword v35, v[30:31], off
	s_add_u32 s48, s48, 1
	s_addc_u32 s49, s49, 0
	s_andn2_b64 s[46:47], s[46:47], exec
	v_lshl_add_u64 v[30:31], v[30:31], 0, 4
	v_lshl_add_u64 v[32:33], v[32:33], 0, 4
	s_waitcnt vmcnt(0)
	v_cmp_neq_f32_e32 vcc, v34, v35
	s_and_b64 s[50:51], vcc, exec
	s_or_b64 s[46:47], s[46:47], s[50:51]
.LBB977_287:                            ;   in Loop: Header=BB977_288 Depth=1
	s_and_b64 s[50:51], exec, s[46:47]
	s_or_b64 s[44:45], s[50:51], s[44:45]
	v_mov_b64_e32 v[34:35], s[48:49]
	s_andn2_b64 exec, exec, s[44:45]
	s_cbranch_execz .LBB977_290
.LBB977_288:                            ; =>This Inner Loop Header: Depth=1
	s_or_b64 s[46:47], s[46:47], exec
	s_cmp_eq_u64 s[42:43], s[48:49]
	s_cbranch_scc0 .LBB977_286
; %bb.289:                              ;   in Loop: Header=BB977_288 Depth=1
                                        ; implicit-def: $vgpr30_vgpr31
                                        ; implicit-def: $vgpr32_vgpr33
	s_mov_b64 s[48:49], s[26:27]
	s_branch .LBB977_287
.LBB977_290:
	s_or_b64 exec, exec, s[44:45]
	v_cmp_gt_i64_e32 vcc, s[26:27], v[34:35]
	s_orn2_b64 s[42:43], vcc, exec
.LBB977_291:
	s_or_b64 exec, exec, s[14:15]
.LBB977_292:
	s_and_b64 s[14:15], s[42:43], exec
.LBB977_293:
	s_or_b64 exec, exec, s[40:41]
	v_cmp_gt_u32_e32 vcc, s54, v44
	s_and_saveexec_b64 s[40:41], vcc
	s_cbranch_execz .LBB977_304
; %bb.294:
	s_andn2_b64 vcc, exec, s[6:7]
	s_mov_b64 s[42:43], 0
	s_cbranch_vccnz .LBB977_303
; %bb.295:
	v_mul_lo_u32 v32, v19, s26
	v_mul_lo_u32 v33, v18, s27
	s_waitcnt vmcnt(0) lgkmcnt(1)
	v_mad_u64_u32 v[30:31], s[16:17], v18, s26, 0
	v_add3_u32 v31, v31, v33, v32
	v_mul_lo_u32 v32, v21, s26
	v_mul_lo_u32 v33, v20, s27
	v_mad_u64_u32 v[34:35], s[16:17], v20, s26, 0
	v_add3_u32 v35, v35, v33, v32
	v_lshl_add_u64 v[32:33], v[30:31], 2, s[36:37]
	v_lshl_add_u64 v[30:31], v[34:35], 2, s[36:37]
	global_load_dword v34, v[32:33], off
	global_load_dword v35, v[30:31], off
	s_mov_b64 s[42:43], -1
	s_waitcnt vmcnt(0)
	v_cmp_eq_f32_e32 vcc, v34, v35
	s_and_saveexec_b64 s[16:17], vcc
	s_cbranch_execz .LBB977_302
; %bb.296:
	s_add_u32 s42, s26, -1
	v_lshl_add_u64 v[30:31], v[30:31], 0, 4
	v_lshl_add_u64 v[32:33], v[32:33], 0, 4
	s_addc_u32 s43, s27, -1
	s_mov_b64 s[44:45], 0
	s_mov_b64 s[48:49], 0
                                        ; implicit-def: $sgpr46_sgpr47
	s_branch .LBB977_299
.LBB977_297:                            ;   in Loop: Header=BB977_299 Depth=1
	global_load_dword v34, v[32:33], off
	global_load_dword v35, v[30:31], off
	s_add_u32 s48, s48, 1
	s_addc_u32 s49, s49, 0
	s_andn2_b64 s[46:47], s[46:47], exec
	v_lshl_add_u64 v[30:31], v[30:31], 0, 4
	v_lshl_add_u64 v[32:33], v[32:33], 0, 4
	s_waitcnt vmcnt(0)
	v_cmp_neq_f32_e32 vcc, v34, v35
	s_and_b64 s[50:51], vcc, exec
	s_or_b64 s[46:47], s[46:47], s[50:51]
.LBB977_298:                            ;   in Loop: Header=BB977_299 Depth=1
	s_and_b64 s[50:51], exec, s[46:47]
	s_or_b64 s[44:45], s[50:51], s[44:45]
	v_mov_b64_e32 v[34:35], s[48:49]
	s_andn2_b64 exec, exec, s[44:45]
	s_cbranch_execz .LBB977_301
.LBB977_299:                            ; =>This Inner Loop Header: Depth=1
	s_or_b64 s[46:47], s[46:47], exec
	s_cmp_eq_u64 s[42:43], s[48:49]
	s_cbranch_scc0 .LBB977_297
; %bb.300:                              ;   in Loop: Header=BB977_299 Depth=1
                                        ; implicit-def: $vgpr30_vgpr31
                                        ; implicit-def: $vgpr32_vgpr33
	s_mov_b64 s[48:49], s[26:27]
	s_branch .LBB977_298
.LBB977_301:
	s_or_b64 exec, exec, s[44:45]
	v_cmp_gt_i64_e32 vcc, s[26:27], v[34:35]
	s_orn2_b64 s[42:43], vcc, exec
.LBB977_302:
	s_or_b64 exec, exec, s[16:17]
.LBB977_303:
	s_and_b64 s[16:17], s[42:43], exec
.LBB977_304:
	s_or_b64 exec, exec, s[40:41]
	v_cmp_gt_u32_e32 vcc, s54, v40
	s_mov_b64 s[40:41], 0
	s_mov_b64 s[42:43], 0
	s_and_saveexec_b64 s[44:45], vcc
	s_cbranch_execz .LBB977_315
; %bb.305:
	s_andn2_b64 vcc, exec, s[6:7]
	s_mov_b64 s[46:47], 0
	s_cbranch_vccnz .LBB977_314
; %bb.306:
	v_mul_lo_u32 v32, v25, s26
	v_mul_lo_u32 v33, v24, s27
	s_waitcnt vmcnt(0) lgkmcnt(1)
	v_mad_u64_u32 v[30:31], s[42:43], v24, s26, 0
	v_add3_u32 v31, v31, v33, v32
	v_mul_lo_u32 v32, v19, s26
	v_mul_lo_u32 v33, v18, s27
	v_mad_u64_u32 v[34:35], s[42:43], v18, s26, 0
	v_add3_u32 v35, v35, v33, v32
	v_lshl_add_u64 v[32:33], v[30:31], 2, s[36:37]
	v_lshl_add_u64 v[30:31], v[34:35], 2, s[36:37]
	global_load_dword v34, v[32:33], off
	global_load_dword v35, v[30:31], off
	s_mov_b64 s[46:47], -1
	s_waitcnt vmcnt(0)
	v_cmp_eq_f32_e32 vcc, v34, v35
	s_and_saveexec_b64 s[42:43], vcc
	s_cbranch_execz .LBB977_313
; %bb.307:
	s_add_u32 s46, s26, -1
	v_lshl_add_u64 v[30:31], v[30:31], 0, 4
	v_lshl_add_u64 v[32:33], v[32:33], 0, 4
	s_addc_u32 s47, s27, -1
	s_mov_b64 s[48:49], 0
	s_mov_b64 s[52:53], 0
                                        ; implicit-def: $sgpr50_sgpr51
	s_branch .LBB977_310
.LBB977_308:                            ;   in Loop: Header=BB977_310 Depth=1
	global_load_dword v34, v[32:33], off
	global_load_dword v35, v[30:31], off
	s_add_u32 s52, s52, 1
	s_addc_u32 s53, s53, 0
	s_andn2_b64 s[50:51], s[50:51], exec
	v_lshl_add_u64 v[30:31], v[30:31], 0, 4
	v_lshl_add_u64 v[32:33], v[32:33], 0, 4
	s_waitcnt vmcnt(0)
	v_cmp_neq_f32_e32 vcc, v34, v35
	s_and_b64 s[56:57], vcc, exec
	s_or_b64 s[50:51], s[50:51], s[56:57]
.LBB977_309:                            ;   in Loop: Header=BB977_310 Depth=1
	s_and_b64 s[56:57], exec, s[50:51]
	s_or_b64 s[48:49], s[56:57], s[48:49]
	v_mov_b64_e32 v[34:35], s[52:53]
	s_andn2_b64 exec, exec, s[48:49]
	s_cbranch_execz .LBB977_312
.LBB977_310:                            ; =>This Inner Loop Header: Depth=1
	s_or_b64 s[50:51], s[50:51], exec
	s_cmp_eq_u64 s[46:47], s[52:53]
	s_cbranch_scc0 .LBB977_308
; %bb.311:                              ;   in Loop: Header=BB977_310 Depth=1
                                        ; implicit-def: $vgpr30_vgpr31
                                        ; implicit-def: $vgpr32_vgpr33
	s_mov_b64 s[52:53], s[26:27]
	s_branch .LBB977_309
.LBB977_312:
	s_or_b64 exec, exec, s[48:49]
	v_cmp_gt_i64_e32 vcc, s[26:27], v[34:35]
	s_orn2_b64 s[46:47], vcc, exec
.LBB977_313:
	s_or_b64 exec, exec, s[42:43]
.LBB977_314:
	s_and_b64 s[42:43], s[46:47], exec
.LBB977_315:
	s_or_b64 exec, exec, s[44:45]
	v_cmp_gt_u32_e32 vcc, s54, v43
	s_and_saveexec_b64 s[44:45], vcc
	s_cbranch_execz .LBB977_326
; %bb.316:
	s_andn2_b64 vcc, exec, s[6:7]
	s_mov_b64 s[46:47], 0
	s_cbranch_vccnz .LBB977_325
; %bb.317:
	v_mul_lo_u32 v32, v23, s26
	v_mul_lo_u32 v33, v22, s27
	s_waitcnt vmcnt(0) lgkmcnt(1)
	v_mad_u64_u32 v[30:31], s[40:41], v22, s26, 0
	v_add3_u32 v31, v31, v33, v32
	v_mul_lo_u32 v32, v25, s26
	v_mul_lo_u32 v33, v24, s27
	v_mad_u64_u32 v[34:35], s[40:41], v24, s26, 0
	v_add3_u32 v35, v35, v33, v32
	v_lshl_add_u64 v[32:33], v[30:31], 2, s[36:37]
	v_lshl_add_u64 v[30:31], v[34:35], 2, s[36:37]
	global_load_dword v34, v[32:33], off
	global_load_dword v35, v[30:31], off
	s_mov_b64 s[46:47], -1
	s_waitcnt vmcnt(0)
	v_cmp_eq_f32_e32 vcc, v34, v35
	s_and_saveexec_b64 s[40:41], vcc
	s_cbranch_execz .LBB977_324
; %bb.318:
	s_add_u32 s46, s26, -1
	v_lshl_add_u64 v[30:31], v[30:31], 0, 4
	v_lshl_add_u64 v[32:33], v[32:33], 0, 4
	s_addc_u32 s47, s27, -1
	s_mov_b64 s[48:49], 0
	s_mov_b64 s[52:53], 0
                                        ; implicit-def: $sgpr50_sgpr51
	s_branch .LBB977_321
.LBB977_319:                            ;   in Loop: Header=BB977_321 Depth=1
	global_load_dword v34, v[32:33], off
	global_load_dword v35, v[30:31], off
	s_add_u32 s52, s52, 1
	s_addc_u32 s53, s53, 0
	s_andn2_b64 s[50:51], s[50:51], exec
	v_lshl_add_u64 v[30:31], v[30:31], 0, 4
	v_lshl_add_u64 v[32:33], v[32:33], 0, 4
	s_waitcnt vmcnt(0)
	v_cmp_neq_f32_e32 vcc, v34, v35
	s_and_b64 s[56:57], vcc, exec
	s_or_b64 s[50:51], s[50:51], s[56:57]
.LBB977_320:                            ;   in Loop: Header=BB977_321 Depth=1
	s_and_b64 s[56:57], exec, s[50:51]
	s_or_b64 s[48:49], s[56:57], s[48:49]
	v_mov_b64_e32 v[34:35], s[52:53]
	s_andn2_b64 exec, exec, s[48:49]
	s_cbranch_execz .LBB977_323
.LBB977_321:                            ; =>This Inner Loop Header: Depth=1
	s_or_b64 s[50:51], s[50:51], exec
	s_cmp_eq_u64 s[46:47], s[52:53]
	s_cbranch_scc0 .LBB977_319
; %bb.322:                              ;   in Loop: Header=BB977_321 Depth=1
                                        ; implicit-def: $vgpr30_vgpr31
                                        ; implicit-def: $vgpr32_vgpr33
	s_mov_b64 s[52:53], s[26:27]
	s_branch .LBB977_320
.LBB977_323:
	s_or_b64 exec, exec, s[48:49]
	v_cmp_gt_i64_e32 vcc, s[26:27], v[34:35]
	s_orn2_b64 s[46:47], vcc, exec
.LBB977_324:
	s_or_b64 exec, exec, s[40:41]
.LBB977_325:
	s_and_b64 s[40:41], s[46:47], exec
.LBB977_326:
	s_or_b64 exec, exec, s[44:45]
	s_waitcnt vmcnt(0) lgkmcnt(1)
	v_cndmask_b32_e64 v31, 0, 1, s[16:17]
	v_cndmask_b32_e64 v30, 0, 1, s[42:43]
	;; [unrolled: 1-line block ×3, first 2 shown]
	v_lshlrev_b16_e32 v31, 8, v31
	v_cndmask_b32_e64 v39, 0, 1, s[14:15]
	v_cndmask_b32_e64 v32, 0, 1, s[40:41]
	v_or_b32_sdwa v30, v30, v31 dst_sel:WORD_1 dst_unused:UNUSED_PAD src0_sel:DWORD src1_sel:DWORD
	v_lshlrev_b16_e32 v31, 8, v48
	v_lshlrev_b16_e32 v32, 8, v32
	v_or_b32_e32 v31, v39, v31
	v_or_b32_e32 v32, 1, v32
	v_and_b32_e32 v31, 0xffff, v31
	v_cndmask_b32_e64 v49, 0, 1, s[4:5]
	v_or_b32_sdwa v30, v32, v30 dst_sel:DWORD dst_unused:UNUSED_PAD src0_sel:WORD_0 src1_sel:DWORD
	v_lshl_or_b32 v31, v49, 16, v31
	s_waitcnt lgkmcnt(0)
	s_barrier
	s_waitcnt lgkmcnt(0)
                                        ; implicit-def: $sgpr14_sgpr15
                                        ; implicit-def: $vgpr34
	s_and_saveexec_b64 s[4:5], s[2:3]
	s_cbranch_execz .LBB977_339
; %bb.327:
	v_cmp_gt_u32_e32 vcc, s54, v1
	s_mov_b32 s40, 0x3020104
	s_mov_b64 s[12:13], 0
	s_and_saveexec_b64 s[2:3], vcc
	s_cbranch_execz .LBB977_338
; %bb.328:
	s_andn2_b64 vcc, exec, s[6:7]
	s_cbranch_vccnz .LBB977_337
; %bb.329:
	v_add_u32_e32 v31, -8, v38
	ds_read_b64 v[32:33], v31
	v_mul_lo_u32 v31, v23, s26
	v_mad_u64_u32 v[36:37], s[6:7], v22, s26, 0
	s_mov_b64 s[12:13], -1
	s_waitcnt lgkmcnt(0)
	v_mul_lo_u32 v34, v33, s26
	v_mul_lo_u32 v35, v32, s27
	v_mad_u64_u32 v[32:33], s[6:7], v32, s26, 0
	v_add3_u32 v33, v33, v35, v34
	v_mul_lo_u32 v34, v22, s27
	v_add3_u32 v37, v37, v34, v31
	v_lshl_add_u64 v[34:35], v[32:33], 2, s[36:37]
	v_lshl_add_u64 v[32:33], v[36:37], 2, s[36:37]
	global_load_dword v31, v[34:35], off
	global_load_dword v36, v[32:33], off
	s_waitcnt vmcnt(0)
	v_cmp_eq_f32_e32 vcc, v31, v36
	s_and_saveexec_b64 s[6:7], vcc
	s_cbranch_execz .LBB977_336
; %bb.330:
	s_add_u32 s12, s26, -1
	v_lshl_add_u64 v[32:33], v[32:33], 0, 4
	v_lshl_add_u64 v[34:35], v[34:35], 0, 4
	s_addc_u32 s13, s27, -1
	s_mov_b64 s[14:15], 0
	s_mov_b64 s[36:37], 0
                                        ; implicit-def: $sgpr16_sgpr17
	s_branch .LBB977_333
.LBB977_331:                            ;   in Loop: Header=BB977_333 Depth=1
	global_load_dword v31, v[34:35], off
	global_load_dword v36, v[32:33], off
	s_add_u32 s36, s36, 1
	s_addc_u32 s37, s37, 0
	s_andn2_b64 s[16:17], s[16:17], exec
	v_lshl_add_u64 v[32:33], v[32:33], 0, 4
	v_lshl_add_u64 v[34:35], v[34:35], 0, 4
	s_waitcnt vmcnt(0)
	v_cmp_neq_f32_e32 vcc, v31, v36
	s_and_b64 s[42:43], vcc, exec
	s_or_b64 s[16:17], s[16:17], s[42:43]
.LBB977_332:                            ;   in Loop: Header=BB977_333 Depth=1
	s_and_b64 s[42:43], exec, s[16:17]
	s_or_b64 s[14:15], s[42:43], s[14:15]
	v_mov_b64_e32 v[36:37], s[36:37]
	s_andn2_b64 exec, exec, s[14:15]
	s_cbranch_execz .LBB977_335
.LBB977_333:                            ; =>This Inner Loop Header: Depth=1
	s_or_b64 s[16:17], s[16:17], exec
	s_cmp_eq_u64 s[12:13], s[36:37]
	s_cbranch_scc0 .LBB977_331
; %bb.334:                              ;   in Loop: Header=BB977_333 Depth=1
                                        ; implicit-def: $vgpr32_vgpr33
                                        ; implicit-def: $vgpr34_vgpr35
	s_mov_b64 s[36:37], s[26:27]
	s_branch .LBB977_332
.LBB977_335:
	s_or_b64 exec, exec, s[14:15]
	v_cmp_gt_i64_e32 vcc, s[26:27], v[36:37]
	s_orn2_b64 s[12:13], vcc, exec
.LBB977_336:
	s_or_b64 exec, exec, s[6:7]
.LBB977_337:
	s_and_b64 s[12:13], s[12:13], exec
.LBB977_338:
	s_or_b64 exec, exec, s[2:3]
	v_perm_b32 v34, v30, v30, s40
	s_and_b64 s[14:15], s[12:13], exec
	s_or_b64 s[10:11], s[10:11], exec
                                        ; implicit-def: $vgpr30_vgpr31
.LBB977_339:
	s_or_b64 exec, exec, s[4:5]
.LBB977_340:
	s_and_saveexec_b64 s[2:3], s[10:11]
	s_cbranch_execz .LBB977_342
; %bb.341:
	s_waitcnt vmcnt(0) lgkmcnt(0)
	v_lshlrev_b16_e32 v31, 8, v48
	v_and_b32_e32 v32, 0xff, v49
	v_or_b32_sdwa v31, v39, v31 dst_sel:DWORD dst_unused:UNUSED_PAD src0_sel:BYTE_0 src1_sel:DWORD
	v_lshlrev_b32_e32 v32, 16, v32
	s_movk_i32 s4, 0xff
	v_or_b32_sdwa v31, v31, v32 dst_sel:DWORD dst_unused:UNUSED_PAD src0_sel:WORD_0 src1_sel:DWORD
	v_lshrrev_b32_e32 v32, 24, v34
	v_lshlrev_b16_e32 v32, 8, v32
	v_and_b32_sdwa v33, v34, s4 dst_sel:DWORD dst_unused:UNUSED_PAD src0_sel:WORD_1 src1_sel:DWORD
	v_or_b32_sdwa v32, v33, v32 dst_sel:WORD_1 dst_unused:UNUSED_PAD src0_sel:DWORD src1_sel:DWORD
	v_mov_b32_e32 v33, 8
	v_cndmask_b32_e64 v30, 0, 1, s[14:15]
	v_lshrrev_b32_sdwa v33, v33, v34 dst_sel:BYTE_1 dst_unused:UNUSED_PAD src0_sel:DWORD src1_sel:DWORD
	s_nop 0
	v_or_b32_e32 v30, v30, v33
	v_or_b32_sdwa v30, v30, v32 dst_sel:DWORD dst_unused:UNUSED_PAD src0_sel:WORD_0 src1_sel:DWORD
.LBB977_342:
	s_or_b64 exec, exec, s[2:3]
	s_andn2_b64 vcc, exec, s[8:9]
	s_cbranch_vccnz .LBB977_344
; %bb.343:
	s_waitcnt vmcnt(0) lgkmcnt(0)
	v_and_b32_e32 v32, 0xffff0000, v30
	v_cmp_gt_u32_e32 vcc, s54, v1
	s_mov_b32 s2, 0x40c0100
	s_nop 0
	v_cndmask_b32_e32 v1, v32, v30, vcc
	v_and_b32_e32 v1, 0xffff00ff, v1
	v_cmp_gt_u32_e32 vcc, s54, v43
	s_nop 1
	v_cndmask_b32_e32 v1, v1, v30, vcc
	v_lshrrev_b32_e32 v32, 24, v1
	v_perm_b32 v1, v32, v1, s2
	v_cmp_gt_u32_e32 vcc, s54, v40
	v_and_b32_e32 v32, 0xffffff00, v31
	s_nop 0
	v_cndmask_b32_e32 v1, v1, v30, vcc
	v_and_b32_e32 v1, 0xffffff, v1
	v_cmp_gt_u32_e32 vcc, s54, v44
	s_nop 1
	v_cndmask_b32_e32 v1, v1, v30, vcc
	v_cmp_gt_u32_e32 vcc, s54, v41
	s_nop 1
	v_cndmask_b32_e32 v32, v32, v31, vcc
	v_and_b32_e32 v32, 0xffff00ff, v32
	v_cndmask_b32_e32 v1, v1, v30, vcc
	v_cmp_gt_u32_e32 vcc, s54, v45
	s_nop 1
	v_cndmask_b32_e32 v32, v32, v31, vcc
	v_lshrrev_b32_e32 v33, 24, v32
	v_cndmask_b32_e32 v1, v1, v30, vcc
	v_perm_b32 v32, v33, v32, s2
	v_cmp_gt_u32_e32 vcc, s54, v42
	s_mov_b32 s2, 0x3020104
	s_nop 0
	v_cndmask_b32_e32 v1, v1, v30, vcc
	v_cndmask_b32_e32 v30, v32, v31, vcc
	v_mov_b32_e32 v31, 8
	v_lshrrev_b32_sdwa v31, v31, v30 dst_sel:BYTE_1 dst_unused:UNUSED_PAD src0_sel:DWORD src1_sel:DWORD
	s_nop 0
	v_or_b32_sdwa v31, v30, v31 dst_sel:DWORD dst_unused:UNUSED_PAD src0_sel:BYTE_0 src1_sel:DWORD
	v_and_b32_e32 v31, 0xffff, v31
	v_bfe_u32 v30, v30, 16, 8
	v_lshl_or_b32 v31, v30, 16, v31
	v_perm_b32 v30, v1, v1, s2
.LBB977_344:
	s_waitcnt vmcnt(0) lgkmcnt(0)
	v_and_b32_e32 v1, 0xff, v30
	v_bfe_u32 v43, v30, 8, 8
	v_bfe_u32 v45, v30, 16, 8
	v_alignbit_b32 v32, v31, v30, 24
	v_and_b32_e32 v47, 0xff, v32
	v_and_b32_e32 v48, 0xff, v31
	v_add3_u32 v33, v43, v1, v45
	v_bfe_u32 v49, v31, 8, 8
	v_bfe_u32 v32, v31, 16, 8
	v_add3_u32 v33, v33, v47, v48
	v_add3_u32 v52, v33, v49, v32
	v_mbcnt_lo_u32_b32 v32, -1, 0
	v_mbcnt_hi_u32_b32 v50, -1, v32
	v_and_b32_e32 v32, 15, v50
	v_cmp_eq_u32_e64 s[14:15], 0, v32
	v_cmp_lt_u32_e64 s[12:13], 1, v32
	v_cmp_lt_u32_e64 s[10:11], 3, v32
	;; [unrolled: 1-line block ×3, first 2 shown]
	v_and_b32_e32 v32, 16, v50
	v_cmp_eq_u32_e64 s[6:7], 0, v32
	v_or_b32_e32 v32, 63, v0
	v_cmp_lt_u32_e64 s[2:3], 31, v50
	v_lshrrev_b32_e32 v51, 6, v0
	v_cmp_eq_u32_e64 s[4:5], v32, v0
	s_and_b64 vcc, exec, s[0:1]
	s_barrier
	s_cbranch_vccz .LBB977_375
; %bb.345:
	v_mov_b32_dpp v32, v52 row_shr:1 row_mask:0xf bank_mask:0xf
	v_cndmask_b32_e64 v32, v32, 0, s[14:15]
	v_add_u32_e32 v32, v32, v52
	s_nop 1
	v_mov_b32_dpp v33, v32 row_shr:2 row_mask:0xf bank_mask:0xf
	v_cndmask_b32_e64 v33, 0, v33, s[12:13]
	v_add_u32_e32 v32, v32, v33
	s_nop 1
	;; [unrolled: 4-line block ×4, first 2 shown]
	v_mov_b32_dpp v33, v32 row_bcast:15 row_mask:0xf bank_mask:0xf
	v_cndmask_b32_e64 v33, v33, 0, s[6:7]
	v_add_u32_e32 v32, v32, v33
	s_nop 1
	v_mov_b32_dpp v33, v32 row_bcast:31 row_mask:0xf bank_mask:0xf
	v_cndmask_b32_e64 v33, 0, v33, s[2:3]
	v_add_u32_e32 v32, v32, v33
	s_and_saveexec_b64 s[0:1], s[4:5]
	s_cbranch_execz .LBB977_347
; %bb.346:
	v_lshlrev_b32_e32 v33, 2, v51
	ds_write_b32 v33, v32
.LBB977_347:
	s_or_b64 exec, exec, s[0:1]
	v_cmp_gt_u32_e32 vcc, 8, v0
	s_waitcnt lgkmcnt(0)
	s_barrier
	s_and_saveexec_b64 s[0:1], vcc
	s_cbranch_execz .LBB977_349
; %bb.348:
	v_lshlrev_b32_e32 v33, 2, v0
	ds_read_b32 v34, v33
	v_and_b32_e32 v35, 7, v50
	v_cmp_ne_u32_e32 vcc, 0, v35
	s_waitcnt lgkmcnt(0)
	v_mov_b32_dpp v36, v34 row_shr:1 row_mask:0xf bank_mask:0xf
	v_cndmask_b32_e32 v36, 0, v36, vcc
	v_add_u32_e32 v34, v36, v34
	v_cmp_lt_u32_e32 vcc, 1, v35
	s_nop 0
	v_mov_b32_dpp v36, v34 row_shr:2 row_mask:0xf bank_mask:0xf
	v_cndmask_b32_e32 v36, 0, v36, vcc
	v_add_u32_e32 v34, v34, v36
	v_cmp_lt_u32_e32 vcc, 3, v35
	s_nop 0
	v_mov_b32_dpp v36, v34 row_shr:4 row_mask:0xf bank_mask:0xf
	v_cndmask_b32_e32 v35, 0, v36, vcc
	v_add_u32_e32 v34, v34, v35
	ds_write_b32 v33, v34
.LBB977_349:
	s_or_b64 exec, exec, s[0:1]
	v_cmp_gt_u32_e32 vcc, 64, v0
	v_cmp_lt_u32_e64 s[0:1], 63, v0
	s_waitcnt lgkmcnt(0)
	s_barrier
	s_waitcnt lgkmcnt(0)
                                        ; implicit-def: $vgpr42
	s_and_saveexec_b64 s[16:17], s[0:1]
	s_cbranch_execz .LBB977_351
; %bb.350:
	v_lshl_add_u32 v33, v51, 2, -4
	ds_read_b32 v42, v33
	s_waitcnt lgkmcnt(0)
	v_add_u32_e32 v32, v42, v32
.LBB977_351:
	s_or_b64 exec, exec, s[16:17]
	v_add_u32_e32 v33, -1, v50
	v_and_b32_e32 v34, 64, v50
	v_cmp_lt_i32_e64 s[0:1], v33, v34
	v_cmp_eq_u32_e64 s[16:17], 0, v50
	s_nop 0
	v_cndmask_b32_e64 v33, v33, v50, s[0:1]
	v_lshlrev_b32_e32 v33, 2, v33
	ds_bpermute_b32 v44, v33, v32
	s_and_saveexec_b64 s[0:1], vcc
	s_cbranch_execz .LBB977_374
; %bb.352:
	v_mov_b32_e32 v41, 0
	ds_read_b32 v32, v41 offset:28
	s_and_saveexec_b64 s[26:27], s[16:17]
	s_cbranch_execz .LBB977_354
; %bb.353:
	s_add_i32 s36, s33, 64
	s_mov_b32 s37, 0
	s_lshl_b64 s[36:37], s[36:37], 3
	s_add_u32 s36, s38, s36
	v_mov_b32_e32 v33, 1
	s_addc_u32 s37, s39, s37
	s_waitcnt lgkmcnt(0)
	global_store_dwordx2 v41, v[32:33], s[36:37] sc1
.LBB977_354:
	s_or_b64 exec, exec, s[26:27]
	v_xad_u32 v34, v50, -1, s33
	v_add_u32_e32 v40, 64, v34
	v_lshl_add_u64 v[36:37], v[40:41], 3, s[38:39]
	global_load_dwordx2 v[38:39], v[36:37], off sc1
	s_waitcnt vmcnt(0)
	v_cmp_eq_u16_sdwa s[36:37], v39, v41 src0_sel:BYTE_0 src1_sel:DWORD
	s_and_saveexec_b64 s[26:27], s[36:37]
	s_cbranch_execz .LBB977_360
; %bb.355:
	s_mov_b32 s40, 1
	s_mov_b64 s[36:37], 0
	v_mov_b32_e32 v33, 0
.LBB977_356:                            ; =>This Loop Header: Depth=1
                                        ;     Child Loop BB977_357 Depth 2
	s_max_u32 s41, s40, 1
.LBB977_357:                            ;   Parent Loop BB977_356 Depth=1
                                        ; =>  This Inner Loop Header: Depth=2
	s_add_i32 s41, s41, -1
	s_cmp_eq_u32 s41, 0
	s_sleep 1
	s_cbranch_scc0 .LBB977_357
; %bb.358:                              ;   in Loop: Header=BB977_356 Depth=1
	global_load_dwordx2 v[38:39], v[36:37], off sc1
	s_cmp_lt_u32 s40, 32
	s_cselect_b64 s[42:43], -1, 0
	s_cmp_lg_u64 s[42:43], 0
	s_addc_u32 s40, s40, 0
	s_waitcnt vmcnt(0)
	v_cmp_ne_u16_sdwa s[42:43], v39, v33 src0_sel:BYTE_0 src1_sel:DWORD
	s_or_b64 s[36:37], s[42:43], s[36:37]
	s_andn2_b64 exec, exec, s[36:37]
	s_cbranch_execnz .LBB977_356
; %bb.359:
	s_or_b64 exec, exec, s[36:37]
.LBB977_360:
	s_or_b64 exec, exec, s[26:27]
	v_and_b32_e32 v46, 63, v50
	v_mov_b32_e32 v33, 2
	v_cmp_ne_u32_e32 vcc, 63, v46
	v_cmp_eq_u16_sdwa s[26:27], v39, v33 src0_sel:BYTE_0 src1_sel:DWORD
	v_lshlrev_b64 v[36:37], v50, -1
	v_addc_co_u32_e32 v41, vcc, 0, v50, vcc
	v_and_b32_e32 v35, s27, v37
	v_lshlrev_b32_e32 v53, 2, v41
	v_or_b32_e32 v35, 0x80000000, v35
	ds_bpermute_b32 v41, v53, v38
	v_and_b32_e32 v40, s26, v36
	v_ffbl_b32_e32 v35, v35
	v_add_u32_e32 v35, 32, v35
	v_ffbl_b32_e32 v40, v40
	v_min_u32_e32 v35, v40, v35
	v_cmp_lt_u32_e32 vcc, v46, v35
	v_add_u32_e32 v55, 2, v46
	v_add_u32_e32 v57, 4, v46
	s_waitcnt lgkmcnt(0)
	v_cndmask_b32_e32 v40, 0, v41, vcc
	v_cmp_gt_u32_e32 vcc, 62, v46
	v_add_u32_e32 v38, v40, v38
	v_add_u32_e32 v59, 8, v46
	v_cndmask_b32_e64 v40, 0, 1, vcc
	v_lshlrev_b32_e32 v40, 1, v40
	v_add_lshl_u32 v54, v40, v50, 2
	ds_bpermute_b32 v40, v54, v38
	v_cmp_le_u32_e32 vcc, v55, v35
	v_add_u32_e32 v62, 16, v46
	v_add_u32_e32 v64, 32, v46
	s_waitcnt lgkmcnt(0)
	v_cndmask_b32_e32 v40, 0, v40, vcc
	v_cmp_gt_u32_e32 vcc, 60, v46
	v_add_u32_e32 v38, v38, v40
	s_nop 0
	v_cndmask_b32_e64 v40, 0, 1, vcc
	v_lshlrev_b32_e32 v40, 2, v40
	v_add_lshl_u32 v56, v40, v50, 2
	ds_bpermute_b32 v40, v56, v38
	v_cmp_le_u32_e32 vcc, v57, v35
	s_waitcnt lgkmcnt(0)
	s_nop 0
	v_cndmask_b32_e32 v40, 0, v40, vcc
	v_cmp_gt_u32_e32 vcc, 56, v46
	v_add_u32_e32 v38, v38, v40
	s_nop 0
	v_cndmask_b32_e64 v40, 0, 1, vcc
	v_lshlrev_b32_e32 v40, 3, v40
	v_add_lshl_u32 v58, v40, v50, 2
	ds_bpermute_b32 v40, v58, v38
	v_cmp_le_u32_e32 vcc, v59, v35
	s_waitcnt lgkmcnt(0)
	s_nop 0
	;; [unrolled: 11-line block ×4, first 2 shown]
	v_cndmask_b32_e32 v35, 0, v40, vcc
	v_add_u32_e32 v38, v38, v35
	v_mov_b32_e32 v35, 0
	s_branch .LBB977_362
.LBB977_361:                            ;   in Loop: Header=BB977_362 Depth=1
	s_or_b64 exec, exec, s[26:27]
	v_cmp_eq_u16_sdwa s[26:27], v39, v33 src0_sel:BYTE_0 src1_sel:DWORD
	ds_bpermute_b32 v65, v53, v38
	v_subrev_u32_e32 v34, 64, v34
	v_and_b32_e32 v40, s27, v37
	v_or_b32_e32 v40, 0x80000000, v40
	v_and_b32_e32 v41, s26, v36
	v_ffbl_b32_e32 v40, v40
	v_add_u32_e32 v40, 32, v40
	v_ffbl_b32_e32 v41, v41
	v_min_u32_e32 v40, v41, v40
	v_cmp_lt_u32_e32 vcc, v46, v40
	s_waitcnt lgkmcnt(0)
	s_nop 0
	v_cndmask_b32_e32 v41, 0, v65, vcc
	v_add_u32_e32 v38, v41, v38
	ds_bpermute_b32 v41, v54, v38
	v_cmp_le_u32_e32 vcc, v55, v40
	s_waitcnt lgkmcnt(0)
	s_nop 0
	v_cndmask_b32_e32 v41, 0, v41, vcc
	v_add_u32_e32 v38, v38, v41
	ds_bpermute_b32 v41, v56, v38
	v_cmp_le_u32_e32 vcc, v57, v40
	;; [unrolled: 6-line block ×5, first 2 shown]
	s_waitcnt lgkmcnt(0)
	s_nop 0
	v_cndmask_b32_e32 v40, 0, v41, vcc
	v_add3_u32 v38, v40, v60, v38
.LBB977_362:                            ; =>This Loop Header: Depth=1
                                        ;     Child Loop BB977_365 Depth 2
                                        ;       Child Loop BB977_366 Depth 3
	v_cmp_ne_u16_sdwa s[26:27], v39, v33 src0_sel:BYTE_0 src1_sel:DWORD
	v_mov_b32_e32 v60, v38
	s_nop 0
	v_cndmask_b32_e64 v39, 0, 1, s[26:27]
	;;#ASMSTART
	;;#ASMEND
	s_nop 0
	v_cmp_ne_u32_e32 vcc, 0, v39
	s_cmp_lg_u64 vcc, exec
	s_cbranch_scc1 .LBB977_369
; %bb.363:                              ;   in Loop: Header=BB977_362 Depth=1
	v_lshl_add_u64 v[40:41], v[34:35], 3, s[38:39]
	global_load_dwordx2 v[38:39], v[40:41], off sc1
	s_waitcnt vmcnt(0)
	v_cmp_eq_u16_sdwa s[36:37], v39, v35 src0_sel:BYTE_0 src1_sel:DWORD
	s_and_saveexec_b64 s[26:27], s[36:37]
	s_cbranch_execz .LBB977_361
; %bb.364:                              ;   in Loop: Header=BB977_362 Depth=1
	s_mov_b32 s40, 1
	s_mov_b64 s[36:37], 0
.LBB977_365:                            ;   Parent Loop BB977_362 Depth=1
                                        ; =>  This Loop Header: Depth=2
                                        ;       Child Loop BB977_366 Depth 3
	s_max_u32 s41, s40, 1
.LBB977_366:                            ;   Parent Loop BB977_362 Depth=1
                                        ;     Parent Loop BB977_365 Depth=2
                                        ; =>    This Inner Loop Header: Depth=3
	s_add_i32 s41, s41, -1
	s_cmp_eq_u32 s41, 0
	s_sleep 1
	s_cbranch_scc0 .LBB977_366
; %bb.367:                              ;   in Loop: Header=BB977_365 Depth=2
	global_load_dwordx2 v[38:39], v[40:41], off sc1
	s_cmp_lt_u32 s40, 32
	s_cselect_b64 s[42:43], -1, 0
	s_cmp_lg_u64 s[42:43], 0
	s_addc_u32 s40, s40, 0
	s_waitcnt vmcnt(0)
	v_cmp_ne_u16_sdwa s[42:43], v39, v35 src0_sel:BYTE_0 src1_sel:DWORD
	s_or_b64 s[36:37], s[42:43], s[36:37]
	s_andn2_b64 exec, exec, s[36:37]
	s_cbranch_execnz .LBB977_365
; %bb.368:                              ;   in Loop: Header=BB977_362 Depth=1
	s_or_b64 exec, exec, s[36:37]
	s_branch .LBB977_361
.LBB977_369:                            ;   in Loop: Header=BB977_362 Depth=1
                                        ; implicit-def: $vgpr38
                                        ; implicit-def: $vgpr39
	s_cbranch_execz .LBB977_362
; %bb.370:
	s_and_saveexec_b64 s[26:27], s[16:17]
	s_cbranch_execz .LBB977_372
; %bb.371:
	s_add_i32 s36, s33, 64
	s_mov_b32 s37, 0
	s_lshl_b64 s[36:37], s[36:37], 3
	s_add_u32 s36, s38, s36
	v_add_u32_e32 v34, v60, v32
	v_mov_b32_e32 v35, 2
	s_addc_u32 s37, s39, s37
	v_mov_b32_e32 v33, 0
	s_movk_i32 s33, 0x7000
	global_store_dwordx2 v33, v[34:35], s[36:37] sc1
	v_add_u32_e64 v33, s33, 0
	ds_write2_b32 v33, v32, v60 offset1:2
.LBB977_372:
	s_or_b64 exec, exec, s[26:27]
	s_and_b64 exec, exec, s[18:19]
	s_cbranch_execz .LBB977_374
; %bb.373:
	v_mov_b32_e32 v32, 0
	ds_write_b32 v32, v60 offset:28
.LBB977_374:
	s_or_b64 exec, exec, s[0:1]
	v_mov_b32_e32 v32, 0
	s_waitcnt lgkmcnt(0)
	s_barrier
	ds_read_b32 v32, v32 offset:28
	v_cndmask_b32_e64 v33, v44, v42, s[16:17]
	v_cndmask_b32_e64 v33, v33, 0, s[18:19]
	s_movk_i32 s0, 0x7000
	s_waitcnt lgkmcnt(0)
	v_add_u32_e32 v46, v32, v33
	v_add_u32_e64 v32, s0, 0
	v_add_u32_e32 v44, v46, v1
	s_barrier
	ds_read2_b32 v[32:33], v32 offset1:2
	v_add_u32_e32 v42, v44, v43
	v_add_u32_e32 v40, v42, v45
	;; [unrolled: 1-line block ×5, first 2 shown]
	s_waitcnt lgkmcnt(0)
	v_readfirstlane_b32 s26, v32
	v_readfirstlane_b32 s16, v33
	v_lshrrev_b64 v[32:33], 24, v[30:31]
	s_branch .LBB977_385
.LBB977_375:
                                        ; implicit-def: $vgpr34
                                        ; implicit-def: $vgpr36
                                        ; implicit-def: $vgpr38
                                        ; implicit-def: $vgpr40
                                        ; implicit-def: $vgpr42
                                        ; implicit-def: $vgpr44
                                        ; implicit-def: $vgpr46
                                        ; implicit-def: $sgpr16
                                        ; implicit-def: $sgpr26
	v_lshrrev_b64 v[32:33], 24, v[30:31]
	s_cbranch_execz .LBB977_385
; %bb.376:
	s_nop 0
	v_mov_b32_dpp v33, v52 row_shr:1 row_mask:0xf bank_mask:0xf
	v_cndmask_b32_e64 v33, v33, 0, s[14:15]
	v_add_u32_e32 v33, v33, v52
	s_nop 1
	v_mov_b32_dpp v34, v33 row_shr:2 row_mask:0xf bank_mask:0xf
	v_cndmask_b32_e64 v34, 0, v34, s[12:13]
	v_add_u32_e32 v33, v33, v34
	;; [unrolled: 4-line block ×4, first 2 shown]
	s_nop 1
	v_mov_b32_dpp v34, v33 row_bcast:15 row_mask:0xf bank_mask:0xf
	v_cndmask_b32_e64 v34, v34, 0, s[6:7]
	v_add_u32_e32 v33, v33, v34
	s_nop 1
	v_mov_b32_dpp v34, v33 row_bcast:31 row_mask:0xf bank_mask:0xf
	v_cndmask_b32_e64 v34, 0, v34, s[2:3]
	v_add_u32_e32 v33, v33, v34
	s_and_saveexec_b64 s[0:1], s[4:5]
	s_cbranch_execz .LBB977_378
; %bb.377:
	v_lshlrev_b32_e32 v34, 2, v51
	ds_write_b32 v34, v33
.LBB977_378:
	s_or_b64 exec, exec, s[0:1]
	v_cmp_gt_u32_e32 vcc, 8, v0
	s_waitcnt lgkmcnt(0)
	s_barrier
	s_and_saveexec_b64 s[0:1], vcc
	s_cbranch_execz .LBB977_380
; %bb.379:
	v_lshlrev_b32_e32 v34, 2, v0
	ds_read_b32 v35, v34
	v_and_b32_e32 v36, 7, v50
	v_cmp_ne_u32_e32 vcc, 0, v36
	s_waitcnt lgkmcnt(0)
	v_mov_b32_dpp v37, v35 row_shr:1 row_mask:0xf bank_mask:0xf
	v_cndmask_b32_e32 v37, 0, v37, vcc
	v_add_u32_e32 v35, v37, v35
	v_cmp_lt_u32_e32 vcc, 1, v36
	s_nop 0
	v_mov_b32_dpp v37, v35 row_shr:2 row_mask:0xf bank_mask:0xf
	v_cndmask_b32_e32 v37, 0, v37, vcc
	v_add_u32_e32 v35, v35, v37
	v_cmp_lt_u32_e32 vcc, 3, v36
	s_nop 0
	v_mov_b32_dpp v37, v35 row_shr:4 row_mask:0xf bank_mask:0xf
	v_cndmask_b32_e32 v36, 0, v37, vcc
	v_add_u32_e32 v35, v35, v36
	ds_write_b32 v34, v35
.LBB977_380:
	s_or_b64 exec, exec, s[0:1]
	v_cmp_lt_u32_e32 vcc, 63, v0
	v_mov_b32_e32 v35, 0
	v_mov_b32_e32 v34, 0
	s_waitcnt lgkmcnt(0)
	s_barrier
	s_and_saveexec_b64 s[0:1], vcc
	s_cbranch_execz .LBB977_382
; %bb.381:
	v_lshl_add_u32 v34, v51, 2, -4
	ds_read_b32 v34, v34
.LBB977_382:
	s_or_b64 exec, exec, s[0:1]
	v_add_u32_e32 v36, -1, v50
	v_and_b32_e32 v37, 64, v50
	v_cmp_lt_i32_e32 vcc, v36, v37
	s_waitcnt lgkmcnt(0)
	v_add_u32_e32 v33, v34, v33
	ds_read_b32 v35, v35 offset:28
	v_cndmask_b32_e32 v36, v36, v50, vcc
	v_lshlrev_b32_e32 v36, 2, v36
	ds_bpermute_b32 v33, v36, v33
	s_waitcnt lgkmcnt(1)
	v_readfirstlane_b32 s26, v35
	s_and_saveexec_b64 s[0:1], s[18:19]
	s_cbranch_execz .LBB977_384
; %bb.383:
	v_mov_b32_e32 v35, 0
	v_mov_b32_e32 v36, s26
	;; [unrolled: 1-line block ×3, first 2 shown]
	global_store_dwordx2 v35, v[36:37], s[38:39] offset:512 sc1
.LBB977_384:
	s_or_b64 exec, exec, s[0:1]
	v_cmp_eq_u32_e32 vcc, 0, v50
	s_mov_b32 s16, 0
	s_waitcnt lgkmcnt(0)
	v_cndmask_b32_e32 v33, v33, v34, vcc
	v_cndmask_b32_e64 v46, v33, 0, s[18:19]
	v_add_u32_e32 v44, v46, v1
	v_add_u32_e32 v42, v44, v43
	;; [unrolled: 1-line block ×6, first 2 shown]
	s_barrier
.LBB977_385:
	s_cmpk_lt_u32 s26, 0x201
	s_cselect_b64 s[2:3], -1, 0
	v_lshrrev_b32_e32 v33, 8, v30
	v_lshrrev_b32_e32 v1, 8, v31
	s_mov_b64 s[0:1], -1
	s_and_b64 vcc, exec, s[2:3]
	s_cbranch_vccz .LBB977_408
; %bb.386:
	s_add_i32 s4, s16, s26
	v_cmp_gt_u32_e32 vcc, s4, v46
	s_or_b64 s[6:7], s[34:35], vcc
	s_and_saveexec_b64 s[0:1], s[6:7]
	s_cbranch_execz .LBB977_389
; %bb.387:
	v_and_b32_e32 v35, 1, v30
	v_cmp_eq_u32_e32 vcc, 1, v35
	s_and_b64 exec, exec, vcc
	s_cbranch_execz .LBB977_389
; %bb.388:
	s_lshl_b64 s[6:7], s[22:23], 3
	s_add_u32 s6, s28, s6
	s_addc_u32 s7, s29, s7
	v_mov_b32_e32 v47, 0
	v_lshl_add_u64 v[48:49], v[46:47], 3, s[6:7]
	global_store_dwordx2 v[48:49], v[22:23], off
.LBB977_389:
	s_or_b64 exec, exec, s[0:1]
	v_cmp_gt_u32_e32 vcc, s4, v44
	s_or_b64 s[6:7], s[34:35], vcc
	s_and_saveexec_b64 s[0:1], s[6:7]
	s_cbranch_execz .LBB977_392
; %bb.390:
	v_and_b32_e32 v35, 1, v33
	v_cmp_eq_u32_e32 vcc, 1, v35
	s_and_b64 exec, exec, vcc
	s_cbranch_execz .LBB977_392
; %bb.391:
	s_lshl_b64 s[6:7], s[22:23], 3
	s_add_u32 s6, s28, s6
	s_addc_u32 s7, s29, s7
	v_mov_b32_e32 v45, 0
	v_lshl_add_u64 v[48:49], v[44:45], 3, s[6:7]
	global_store_dwordx2 v[48:49], v[24:25], off
.LBB977_392:
	s_or_b64 exec, exec, s[0:1]
	v_cmp_gt_u32_e32 vcc, s4, v42
	s_or_b64 s[6:7], s[34:35], vcc
	s_and_saveexec_b64 s[0:1], s[6:7]
	s_cbranch_execz .LBB977_395
; %bb.393:
	v_mov_b32_e32 v35, 1
	v_and_b32_sdwa v35, v35, v30 dst_sel:DWORD dst_unused:UNUSED_PAD src0_sel:DWORD src1_sel:WORD_1
	v_cmp_eq_u32_e32 vcc, 1, v35
	s_and_b64 exec, exec, vcc
	s_cbranch_execz .LBB977_395
; %bb.394:
	s_lshl_b64 s[6:7], s[22:23], 3
	s_add_u32 s6, s28, s6
	s_addc_u32 s7, s29, s7
	v_mov_b32_e32 v43, 0
	v_lshl_add_u64 v[48:49], v[42:43], 3, s[6:7]
	global_store_dwordx2 v[48:49], v[18:19], off
.LBB977_395:
	s_or_b64 exec, exec, s[0:1]
	v_cmp_gt_u32_e32 vcc, s4, v40
	s_or_b64 s[6:7], s[34:35], vcc
	s_and_saveexec_b64 s[0:1], s[6:7]
	s_cbranch_execz .LBB977_398
; %bb.396:
	v_and_b32_e32 v35, 1, v32
	v_cmp_eq_u32_e32 vcc, 1, v35
	s_and_b64 exec, exec, vcc
	s_cbranch_execz .LBB977_398
; %bb.397:
	s_lshl_b64 s[6:7], s[22:23], 3
	s_add_u32 s6, s28, s6
	s_addc_u32 s7, s29, s7
	v_mov_b32_e32 v41, 0
	v_lshl_add_u64 v[48:49], v[40:41], 3, s[6:7]
	global_store_dwordx2 v[48:49], v[20:21], off
.LBB977_398:
	s_or_b64 exec, exec, s[0:1]
	v_cmp_gt_u32_e32 vcc, s4, v38
	s_or_b64 s[6:7], s[34:35], vcc
	s_and_saveexec_b64 s[0:1], s[6:7]
	s_cbranch_execz .LBB977_401
; %bb.399:
	v_and_b32_e32 v35, 1, v31
	v_cmp_eq_u32_e32 vcc, 1, v35
	s_and_b64 exec, exec, vcc
	s_cbranch_execz .LBB977_401
; %bb.400:
	s_lshl_b64 s[6:7], s[22:23], 3
	s_add_u32 s6, s28, s6
	s_addc_u32 s7, s29, s7
	v_mov_b32_e32 v39, 0
	v_lshl_add_u64 v[48:49], v[38:39], 3, s[6:7]
	global_store_dwordx2 v[48:49], v[14:15], off
.LBB977_401:
	;; [unrolled: 18-line block ×3, first 2 shown]
	s_or_b64 exec, exec, s[0:1]
	v_cmp_gt_u32_e32 vcc, s4, v34
	s_or_b64 s[4:5], s[34:35], vcc
	s_and_saveexec_b64 s[0:1], s[4:5]
	s_cbranch_execz .LBB977_407
; %bb.405:
	v_mov_b32_e32 v35, 1
	v_and_b32_sdwa v35, v35, v31 dst_sel:DWORD dst_unused:UNUSED_PAD src0_sel:DWORD src1_sel:WORD_1
	v_cmp_eq_u32_e32 vcc, 1, v35
	s_and_b64 exec, exec, vcc
	s_cbranch_execz .LBB977_407
; %bb.406:
	s_lshl_b64 s[4:5], s[22:23], 3
	s_add_u32 s4, s28, s4
	s_addc_u32 s5, s29, s5
	v_mov_b32_e32 v35, 0
	v_lshl_add_u64 v[48:49], v[34:35], 3, s[4:5]
	global_store_dwordx2 v[48:49], v[28:29], off
.LBB977_407:
	s_or_b64 exec, exec, s[0:1]
	s_mov_b64 s[0:1], 0
.LBB977_408:
	v_and_b32_e32 v48, 1, v30
	s_and_b64 vcc, exec, s[0:1]
	v_cmp_eq_u32_e64 s[0:1], 1, v48
	s_cbranch_vccz .LBB977_427
; %bb.409:
	s_and_saveexec_b64 s[4:5], s[0:1]
	s_cbranch_execz .LBB977_411
; %bb.410:
	v_subrev_u32_e32 v35, s16, v46
	v_lshlrev_b32_e32 v35, 3, v35
	ds_write_b64 v35, v[22:23]
.LBB977_411:
	s_or_b64 exec, exec, s[4:5]
	v_and_b32_e32 v22, 1, v33
	v_cmp_eq_u32_e32 vcc, 1, v22
	s_and_saveexec_b64 s[0:1], vcc
	s_cbranch_execz .LBB977_413
; %bb.412:
	v_subrev_u32_e32 v22, s16, v44
	v_lshlrev_b32_e32 v22, 3, v22
	ds_write_b64 v22, v[24:25]
.LBB977_413:
	s_or_b64 exec, exec, s[0:1]
	v_mov_b32_e32 v22, 1
	v_and_b32_sdwa v22, v22, v30 dst_sel:DWORD dst_unused:UNUSED_PAD src0_sel:DWORD src1_sel:WORD_1
	v_cmp_eq_u32_e32 vcc, 1, v22
	s_and_saveexec_b64 s[0:1], vcc
	s_cbranch_execz .LBB977_415
; %bb.414:
	v_subrev_u32_e32 v22, s16, v42
	v_lshlrev_b32_e32 v22, 3, v22
	ds_write_b64 v22, v[18:19]
.LBB977_415:
	s_or_b64 exec, exec, s[0:1]
	v_and_b32_e32 v18, 1, v32
	v_cmp_eq_u32_e32 vcc, 1, v18
	s_and_saveexec_b64 s[0:1], vcc
	s_cbranch_execz .LBB977_417
; %bb.416:
	v_subrev_u32_e32 v18, s16, v40
	v_lshlrev_b32_e32 v18, 3, v18
	ds_write_b64 v18, v[20:21]
.LBB977_417:
	s_or_b64 exec, exec, s[0:1]
	v_and_b32_e32 v18, 1, v31
	;; [unrolled: 10-line block ×3, first 2 shown]
	v_cmp_eq_u32_e32 vcc, 1, v14
	s_and_saveexec_b64 s[0:1], vcc
	s_cbranch_execz .LBB977_421
; %bb.420:
	v_subrev_u32_e32 v14, s16, v36
	v_lshlrev_b32_e32 v14, 3, v14
	ds_write_b64 v14, v[16:17]
.LBB977_421:
	s_or_b64 exec, exec, s[0:1]
	v_mov_b32_e32 v14, 1
	v_and_b32_sdwa v14, v14, v31 dst_sel:DWORD dst_unused:UNUSED_PAD src0_sel:DWORD src1_sel:WORD_1
	v_cmp_eq_u32_e32 vcc, 1, v14
	s_and_saveexec_b64 s[0:1], vcc
	s_cbranch_execz .LBB977_423
; %bb.422:
	v_subrev_u32_e32 v14, s16, v34
	v_lshlrev_b32_e32 v14, 3, v14
	ds_write_b64 v14, v[28:29]
.LBB977_423:
	s_or_b64 exec, exec, s[0:1]
	v_cmp_gt_u32_e32 vcc, s26, v0
	s_waitcnt lgkmcnt(0)
	s_barrier
	s_and_saveexec_b64 s[0:1], vcc
	s_cbranch_execz .LBB977_426
; %bb.424:
	s_mov_b32 s17, 0
	s_lshl_b64 s[4:5], s[22:23], 3
	s_lshl_b64 s[6:7], s[16:17], 3
	s_add_u32 s4, s4, s6
	s_addc_u32 s5, s5, s7
	s_add_u32 s4, s28, s4
	v_lshlrev_b32_e32 v14, 3, v0
	v_mov_b32_e32 v15, 0
	s_addc_u32 s5, s29, s5
	v_lshl_add_u64 v[16:17], s[4:5], 0, v[14:15]
	s_mov_b64 s[4:5], 0
	s_mov_b64 s[6:7], 0x1000
	v_mov_b32_e32 v15, v0
.LBB977_425:                            ; =>This Inner Loop Header: Depth=1
	ds_read_b64 v[18:19], v14
	v_add_u32_e32 v15, 0x200, v15
	v_cmp_le_u32_e32 vcc, s26, v15
	v_add_u32_e32 v14, 0x1000, v14
	s_or_b64 s[4:5], vcc, s[4:5]
	s_waitcnt lgkmcnt(0)
	global_store_dwordx2 v[16:17], v[18:19], off
	v_lshl_add_u64 v[16:17], v[16:17], 0, s[6:7]
	s_andn2_b64 exec, exec, s[4:5]
	s_cbranch_execnz .LBB977_425
.LBB977_426:
	s_or_b64 exec, exec, s[0:1]
.LBB977_427:
	s_mov_b64 s[0:1], -1
	s_and_b64 vcc, exec, s[2:3]
	s_barrier
	s_cbranch_vccnz .LBB977_431
; %bb.428:
	s_and_b64 vcc, exec, s[0:1]
	s_cbranch_vccnz .LBB977_453
.LBB977_429:
	s_and_b64 s[0:1], s[18:19], s[24:25]
	s_and_saveexec_b64 s[2:3], s[0:1]
	s_cbranch_execnz .LBB977_471
.LBB977_430:
	s_endpgm
.LBB977_431:
	s_add_i32 s2, s16, s26
	v_cmp_gt_u32_e32 vcc, s2, v46
	s_or_b64 s[4:5], s[34:35], vcc
	s_and_saveexec_b64 s[0:1], s[4:5]
	s_cbranch_execz .LBB977_434
; %bb.432:
	v_cmp_eq_u32_e32 vcc, 1, v48
	s_and_b64 exec, exec, vcc
	s_cbranch_execz .LBB977_434
; %bb.433:
	s_lshl_b64 s[4:5], s[22:23], 3
	s_add_u32 s4, s30, s4
	s_addc_u32 s5, s31, s5
	v_mov_b32_e32 v47, 0
	v_lshl_add_u64 v[14:15], v[46:47], 3, s[4:5]
	global_store_dwordx2 v[14:15], v[10:11], off
.LBB977_434:
	s_or_b64 exec, exec, s[0:1]
	v_cmp_gt_u32_e32 vcc, s2, v44
	s_or_b64 s[4:5], s[34:35], vcc
	s_and_saveexec_b64 s[0:1], s[4:5]
	s_cbranch_execz .LBB977_437
; %bb.435:
	v_and_b32_e32 v14, 1, v33
	v_cmp_eq_u32_e32 vcc, 1, v14
	s_and_b64 exec, exec, vcc
	s_cbranch_execz .LBB977_437
; %bb.436:
	s_lshl_b64 s[4:5], s[22:23], 3
	s_add_u32 s4, s30, s4
	s_addc_u32 s5, s31, s5
	v_mov_b32_e32 v45, 0
	v_lshl_add_u64 v[14:15], v[44:45], 3, s[4:5]
	global_store_dwordx2 v[14:15], v[12:13], off
.LBB977_437:
	s_or_b64 exec, exec, s[0:1]
	v_cmp_gt_u32_e32 vcc, s2, v42
	s_or_b64 s[4:5], s[34:35], vcc
	s_and_saveexec_b64 s[0:1], s[4:5]
	s_cbranch_execz .LBB977_440
; %bb.438:
	v_mov_b32_e32 v14, 1
	v_and_b32_sdwa v14, v14, v30 dst_sel:DWORD dst_unused:UNUSED_PAD src0_sel:DWORD src1_sel:WORD_1
	v_cmp_eq_u32_e32 vcc, 1, v14
	s_and_b64 exec, exec, vcc
	s_cbranch_execz .LBB977_440
; %bb.439:
	s_lshl_b64 s[4:5], s[22:23], 3
	s_add_u32 s4, s30, s4
	s_addc_u32 s5, s31, s5
	v_mov_b32_e32 v43, 0
	v_lshl_add_u64 v[14:15], v[42:43], 3, s[4:5]
	global_store_dwordx2 v[14:15], v[6:7], off
.LBB977_440:
	s_or_b64 exec, exec, s[0:1]
	v_cmp_gt_u32_e32 vcc, s2, v40
	s_or_b64 s[4:5], s[34:35], vcc
	s_and_saveexec_b64 s[0:1], s[4:5]
	s_cbranch_execz .LBB977_443
; %bb.441:
	v_and_b32_e32 v14, 1, v32
	v_cmp_eq_u32_e32 vcc, 1, v14
	s_and_b64 exec, exec, vcc
	s_cbranch_execz .LBB977_443
; %bb.442:
	s_lshl_b64 s[4:5], s[22:23], 3
	s_add_u32 s4, s30, s4
	s_addc_u32 s5, s31, s5
	v_mov_b32_e32 v41, 0
	v_lshl_add_u64 v[14:15], v[40:41], 3, s[4:5]
	global_store_dwordx2 v[14:15], v[8:9], off
.LBB977_443:
	s_or_b64 exec, exec, s[0:1]
	v_cmp_gt_u32_e32 vcc, s2, v38
	s_or_b64 s[4:5], s[34:35], vcc
	s_and_saveexec_b64 s[0:1], s[4:5]
	s_cbranch_execz .LBB977_446
; %bb.444:
	v_and_b32_e32 v14, 1, v31
	v_cmp_eq_u32_e32 vcc, 1, v14
	s_and_b64 exec, exec, vcc
	s_cbranch_execz .LBB977_446
; %bb.445:
	s_lshl_b64 s[4:5], s[22:23], 3
	s_add_u32 s4, s30, s4
	s_addc_u32 s5, s31, s5
	v_mov_b32_e32 v39, 0
	v_lshl_add_u64 v[14:15], v[38:39], 3, s[4:5]
	global_store_dwordx2 v[14:15], v[2:3], off
.LBB977_446:
	;; [unrolled: 18-line block ×3, first 2 shown]
	s_or_b64 exec, exec, s[0:1]
	v_cmp_gt_u32_e32 vcc, s2, v34
	s_or_b64 s[2:3], s[34:35], vcc
	s_and_saveexec_b64 s[0:1], s[2:3]
	s_cbranch_execz .LBB977_452
; %bb.450:
	v_mov_b32_e32 v14, 1
	v_and_b32_sdwa v14, v14, v31 dst_sel:DWORD dst_unused:UNUSED_PAD src0_sel:DWORD src1_sel:WORD_1
	v_cmp_eq_u32_e32 vcc, 1, v14
	s_and_b64 exec, exec, vcc
	s_cbranch_execz .LBB977_452
; %bb.451:
	s_lshl_b64 s[2:3], s[22:23], 3
	s_add_u32 s2, s30, s2
	s_addc_u32 s3, s31, s3
	v_mov_b32_e32 v35, 0
	v_lshl_add_u64 v[14:15], v[34:35], 3, s[2:3]
	global_store_dwordx2 v[14:15], v[26:27], off
.LBB977_452:
	s_or_b64 exec, exec, s[0:1]
	s_branch .LBB977_429
.LBB977_453:
	v_cmp_eq_u32_e32 vcc, 1, v48
	s_and_saveexec_b64 s[0:1], vcc
	s_cbranch_execz .LBB977_455
; %bb.454:
	v_subrev_u32_e32 v14, s16, v46
	v_lshlrev_b32_e32 v14, 3, v14
	ds_write_b64 v14, v[10:11]
.LBB977_455:
	s_or_b64 exec, exec, s[0:1]
	v_and_b32_e32 v10, 1, v33
	v_cmp_eq_u32_e32 vcc, 1, v10
	s_and_saveexec_b64 s[0:1], vcc
	s_cbranch_execz .LBB977_457
; %bb.456:
	v_subrev_u32_e32 v10, s16, v44
	v_lshlrev_b32_e32 v10, 3, v10
	ds_write_b64 v10, v[12:13]
.LBB977_457:
	s_or_b64 exec, exec, s[0:1]
	v_mov_b32_e32 v10, 1
	v_and_b32_sdwa v10, v10, v30 dst_sel:DWORD dst_unused:UNUSED_PAD src0_sel:DWORD src1_sel:WORD_1
	v_cmp_eq_u32_e32 vcc, 1, v10
	s_and_saveexec_b64 s[0:1], vcc
	s_cbranch_execz .LBB977_459
; %bb.458:
	v_subrev_u32_e32 v10, s16, v42
	v_lshlrev_b32_e32 v10, 3, v10
	ds_write_b64 v10, v[6:7]
.LBB977_459:
	s_or_b64 exec, exec, s[0:1]
	v_and_b32_e32 v6, 1, v32
	v_cmp_eq_u32_e32 vcc, 1, v6
	s_and_saveexec_b64 s[0:1], vcc
	s_cbranch_execz .LBB977_461
; %bb.460:
	v_subrev_u32_e32 v6, s16, v40
	v_lshlrev_b32_e32 v6, 3, v6
	ds_write_b64 v6, v[8:9]
.LBB977_461:
	s_or_b64 exec, exec, s[0:1]
	v_and_b32_e32 v6, 1, v31
	;; [unrolled: 10-line block ×3, first 2 shown]
	v_cmp_eq_u32_e32 vcc, 1, v1
	s_and_saveexec_b64 s[0:1], vcc
	s_cbranch_execz .LBB977_465
; %bb.464:
	v_subrev_u32_e32 v1, s16, v36
	v_lshlrev_b32_e32 v1, 3, v1
	ds_write_b64 v1, v[4:5]
.LBB977_465:
	s_or_b64 exec, exec, s[0:1]
	v_mov_b32_e32 v1, 1
	v_and_b32_sdwa v1, v1, v31 dst_sel:DWORD dst_unused:UNUSED_PAD src0_sel:DWORD src1_sel:WORD_1
	v_cmp_eq_u32_e32 vcc, 1, v1
	s_and_saveexec_b64 s[0:1], vcc
	s_cbranch_execz .LBB977_467
; %bb.466:
	v_subrev_u32_e32 v1, s16, v34
	v_lshlrev_b32_e32 v1, 3, v1
	ds_write_b64 v1, v[26:27]
.LBB977_467:
	s_or_b64 exec, exec, s[0:1]
	v_cmp_gt_u32_e32 vcc, s26, v0
	s_waitcnt lgkmcnt(0)
	s_barrier
	s_and_saveexec_b64 s[0:1], vcc
	s_cbranch_execz .LBB977_470
; %bb.468:
	s_mov_b32 s17, 0
	s_lshl_b64 s[2:3], s[22:23], 3
	s_lshl_b64 s[4:5], s[16:17], 3
	s_add_u32 s2, s2, s4
	s_addc_u32 s3, s3, s5
	s_add_u32 s2, s30, s2
	v_lshlrev_b32_e32 v2, 3, v0
	v_mov_b32_e32 v3, 0
	s_addc_u32 s3, s31, s3
	v_lshl_add_u64 v[4:5], s[2:3], 0, v[2:3]
	s_mov_b64 s[2:3], 0
	s_mov_b64 s[4:5], 0x1000
.LBB977_469:                            ; =>This Inner Loop Header: Depth=1
	ds_read_b64 v[6:7], v2
	v_add_u32_e32 v0, 0x200, v0
	v_cmp_le_u32_e32 vcc, s26, v0
	v_add_u32_e32 v2, 0x1000, v2
	s_or_b64 s[2:3], vcc, s[2:3]
	s_waitcnt lgkmcnt(0)
	global_store_dwordx2 v[4:5], v[6:7], off
	v_lshl_add_u64 v[4:5], v[4:5], 0, s[4:5]
	s_andn2_b64 exec, exec, s[2:3]
	s_cbranch_execnz .LBB977_469
.LBB977_470:
	s_or_b64 exec, exec, s[0:1]
	s_and_b64 s[0:1], s[18:19], s[24:25]
	s_and_saveexec_b64 s[2:3], s[0:1]
	s_cbranch_execz .LBB977_430
.LBB977_471:
	s_add_u32 s0, s22, s26
	s_addc_u32 s1, s23, 0
	s_add_u32 s0, s0, s16
	s_addc_u32 s1, s1, 0
	v_mov_b32_e32 v2, 0
	v_mov_b64_e32 v[0:1], s[0:1]
	global_store_dwordx2 v2, v[0:1], s[20:21]
	s_endpgm
	.section	.rodata,"a",@progbits
	.p2align	6, 0x0
	.amdhsa_kernel _ZN7rocprim17ROCPRIM_400000_NS6detail17trampoline_kernelINS0_14default_configENS1_25partition_config_selectorILNS1_17partition_subalgoE9EllbEEZZNS1_14partition_implILS5_9ELb0ES3_jPlS8_PNS0_10empty_typeENS0_5tupleIJS8_S9_EEENSB_IJS8_SA_EEENS0_18inequality_wrapperIZN2at6native12_GLOBAL__N_124unique_dim_cuda_templateIfEESt5tupleIJNSF_6TensorESK_SK_EERKSK_lbbbEUlllE0_EEPmJS9_EEE10hipError_tPvRmT3_T4_T5_T6_T7_T9_mT8_P12ihipStream_tbDpT10_ENKUlT_T0_E_clISt17integral_constantIbLb1EES1A_EEDaS15_S16_EUlS15_E_NS1_11comp_targetILNS1_3genE5ELNS1_11target_archE942ELNS1_3gpuE9ELNS1_3repE0EEENS1_30default_config_static_selectorELNS0_4arch9wavefront6targetE1EEEvT1_
		.amdhsa_group_segment_fixed_size 28684
		.amdhsa_private_segment_fixed_size 0
		.amdhsa_kernarg_size 136
		.amdhsa_user_sgpr_count 2
		.amdhsa_user_sgpr_dispatch_ptr 0
		.amdhsa_user_sgpr_queue_ptr 0
		.amdhsa_user_sgpr_kernarg_segment_ptr 1
		.amdhsa_user_sgpr_dispatch_id 0
		.amdhsa_user_sgpr_kernarg_preload_length 0
		.amdhsa_user_sgpr_kernarg_preload_offset 0
		.amdhsa_user_sgpr_private_segment_size 0
		.amdhsa_uses_dynamic_stack 0
		.amdhsa_enable_private_segment 0
		.amdhsa_system_sgpr_workgroup_id_x 1
		.amdhsa_system_sgpr_workgroup_id_y 0
		.amdhsa_system_sgpr_workgroup_id_z 0
		.amdhsa_system_sgpr_workgroup_info 0
		.amdhsa_system_vgpr_workitem_id 0
		.amdhsa_next_free_vgpr 66
		.amdhsa_next_free_sgpr 58
		.amdhsa_accum_offset 68
		.amdhsa_reserve_vcc 1
		.amdhsa_float_round_mode_32 0
		.amdhsa_float_round_mode_16_64 0
		.amdhsa_float_denorm_mode_32 3
		.amdhsa_float_denorm_mode_16_64 3
		.amdhsa_dx10_clamp 1
		.amdhsa_ieee_mode 1
		.amdhsa_fp16_overflow 0
		.amdhsa_tg_split 0
		.amdhsa_exception_fp_ieee_invalid_op 0
		.amdhsa_exception_fp_denorm_src 0
		.amdhsa_exception_fp_ieee_div_zero 0
		.amdhsa_exception_fp_ieee_overflow 0
		.amdhsa_exception_fp_ieee_underflow 0
		.amdhsa_exception_fp_ieee_inexact 0
		.amdhsa_exception_int_div_zero 0
	.end_amdhsa_kernel
	.section	.text._ZN7rocprim17ROCPRIM_400000_NS6detail17trampoline_kernelINS0_14default_configENS1_25partition_config_selectorILNS1_17partition_subalgoE9EllbEEZZNS1_14partition_implILS5_9ELb0ES3_jPlS8_PNS0_10empty_typeENS0_5tupleIJS8_S9_EEENSB_IJS8_SA_EEENS0_18inequality_wrapperIZN2at6native12_GLOBAL__N_124unique_dim_cuda_templateIfEESt5tupleIJNSF_6TensorESK_SK_EERKSK_lbbbEUlllE0_EEPmJS9_EEE10hipError_tPvRmT3_T4_T5_T6_T7_T9_mT8_P12ihipStream_tbDpT10_ENKUlT_T0_E_clISt17integral_constantIbLb1EES1A_EEDaS15_S16_EUlS15_E_NS1_11comp_targetILNS1_3genE5ELNS1_11target_archE942ELNS1_3gpuE9ELNS1_3repE0EEENS1_30default_config_static_selectorELNS0_4arch9wavefront6targetE1EEEvT1_,"axG",@progbits,_ZN7rocprim17ROCPRIM_400000_NS6detail17trampoline_kernelINS0_14default_configENS1_25partition_config_selectorILNS1_17partition_subalgoE9EllbEEZZNS1_14partition_implILS5_9ELb0ES3_jPlS8_PNS0_10empty_typeENS0_5tupleIJS8_S9_EEENSB_IJS8_SA_EEENS0_18inequality_wrapperIZN2at6native12_GLOBAL__N_124unique_dim_cuda_templateIfEESt5tupleIJNSF_6TensorESK_SK_EERKSK_lbbbEUlllE0_EEPmJS9_EEE10hipError_tPvRmT3_T4_T5_T6_T7_T9_mT8_P12ihipStream_tbDpT10_ENKUlT_T0_E_clISt17integral_constantIbLb1EES1A_EEDaS15_S16_EUlS15_E_NS1_11comp_targetILNS1_3genE5ELNS1_11target_archE942ELNS1_3gpuE9ELNS1_3repE0EEENS1_30default_config_static_selectorELNS0_4arch9wavefront6targetE1EEEvT1_,comdat
.Lfunc_end977:
	.size	_ZN7rocprim17ROCPRIM_400000_NS6detail17trampoline_kernelINS0_14default_configENS1_25partition_config_selectorILNS1_17partition_subalgoE9EllbEEZZNS1_14partition_implILS5_9ELb0ES3_jPlS8_PNS0_10empty_typeENS0_5tupleIJS8_S9_EEENSB_IJS8_SA_EEENS0_18inequality_wrapperIZN2at6native12_GLOBAL__N_124unique_dim_cuda_templateIfEESt5tupleIJNSF_6TensorESK_SK_EERKSK_lbbbEUlllE0_EEPmJS9_EEE10hipError_tPvRmT3_T4_T5_T6_T7_T9_mT8_P12ihipStream_tbDpT10_ENKUlT_T0_E_clISt17integral_constantIbLb1EES1A_EEDaS15_S16_EUlS15_E_NS1_11comp_targetILNS1_3genE5ELNS1_11target_archE942ELNS1_3gpuE9ELNS1_3repE0EEENS1_30default_config_static_selectorELNS0_4arch9wavefront6targetE1EEEvT1_, .Lfunc_end977-_ZN7rocprim17ROCPRIM_400000_NS6detail17trampoline_kernelINS0_14default_configENS1_25partition_config_selectorILNS1_17partition_subalgoE9EllbEEZZNS1_14partition_implILS5_9ELb0ES3_jPlS8_PNS0_10empty_typeENS0_5tupleIJS8_S9_EEENSB_IJS8_SA_EEENS0_18inequality_wrapperIZN2at6native12_GLOBAL__N_124unique_dim_cuda_templateIfEESt5tupleIJNSF_6TensorESK_SK_EERKSK_lbbbEUlllE0_EEPmJS9_EEE10hipError_tPvRmT3_T4_T5_T6_T7_T9_mT8_P12ihipStream_tbDpT10_ENKUlT_T0_E_clISt17integral_constantIbLb1EES1A_EEDaS15_S16_EUlS15_E_NS1_11comp_targetILNS1_3genE5ELNS1_11target_archE942ELNS1_3gpuE9ELNS1_3repE0EEENS1_30default_config_static_selectorELNS0_4arch9wavefront6targetE1EEEvT1_
                                        ; -- End function
	.section	.AMDGPU.csdata,"",@progbits
; Kernel info:
; codeLenInByte = 14564
; NumSgprs: 64
; NumVgprs: 66
; NumAgprs: 0
; TotalNumVgprs: 66
; ScratchSize: 0
; MemoryBound: 0
; FloatMode: 240
; IeeeMode: 1
; LDSByteSize: 28684 bytes/workgroup (compile time only)
; SGPRBlocks: 7
; VGPRBlocks: 8
; NumSGPRsForWavesPerEU: 64
; NumVGPRsForWavesPerEU: 66
; AccumOffset: 68
; Occupancy: 4
; WaveLimiterHint : 1
; COMPUTE_PGM_RSRC2:SCRATCH_EN: 0
; COMPUTE_PGM_RSRC2:USER_SGPR: 2
; COMPUTE_PGM_RSRC2:TRAP_HANDLER: 0
; COMPUTE_PGM_RSRC2:TGID_X_EN: 1
; COMPUTE_PGM_RSRC2:TGID_Y_EN: 0
; COMPUTE_PGM_RSRC2:TGID_Z_EN: 0
; COMPUTE_PGM_RSRC2:TIDIG_COMP_CNT: 0
; COMPUTE_PGM_RSRC3_GFX90A:ACCUM_OFFSET: 16
; COMPUTE_PGM_RSRC3_GFX90A:TG_SPLIT: 0
	.section	.text._ZN7rocprim17ROCPRIM_400000_NS6detail17trampoline_kernelINS0_14default_configENS1_25partition_config_selectorILNS1_17partition_subalgoE9EllbEEZZNS1_14partition_implILS5_9ELb0ES3_jPlS8_PNS0_10empty_typeENS0_5tupleIJS8_S9_EEENSB_IJS8_SA_EEENS0_18inequality_wrapperIZN2at6native12_GLOBAL__N_124unique_dim_cuda_templateIfEESt5tupleIJNSF_6TensorESK_SK_EERKSK_lbbbEUlllE0_EEPmJS9_EEE10hipError_tPvRmT3_T4_T5_T6_T7_T9_mT8_P12ihipStream_tbDpT10_ENKUlT_T0_E_clISt17integral_constantIbLb1EES1A_EEDaS15_S16_EUlS15_E_NS1_11comp_targetILNS1_3genE4ELNS1_11target_archE910ELNS1_3gpuE8ELNS1_3repE0EEENS1_30default_config_static_selectorELNS0_4arch9wavefront6targetE1EEEvT1_,"axG",@progbits,_ZN7rocprim17ROCPRIM_400000_NS6detail17trampoline_kernelINS0_14default_configENS1_25partition_config_selectorILNS1_17partition_subalgoE9EllbEEZZNS1_14partition_implILS5_9ELb0ES3_jPlS8_PNS0_10empty_typeENS0_5tupleIJS8_S9_EEENSB_IJS8_SA_EEENS0_18inequality_wrapperIZN2at6native12_GLOBAL__N_124unique_dim_cuda_templateIfEESt5tupleIJNSF_6TensorESK_SK_EERKSK_lbbbEUlllE0_EEPmJS9_EEE10hipError_tPvRmT3_T4_T5_T6_T7_T9_mT8_P12ihipStream_tbDpT10_ENKUlT_T0_E_clISt17integral_constantIbLb1EES1A_EEDaS15_S16_EUlS15_E_NS1_11comp_targetILNS1_3genE4ELNS1_11target_archE910ELNS1_3gpuE8ELNS1_3repE0EEENS1_30default_config_static_selectorELNS0_4arch9wavefront6targetE1EEEvT1_,comdat
	.globl	_ZN7rocprim17ROCPRIM_400000_NS6detail17trampoline_kernelINS0_14default_configENS1_25partition_config_selectorILNS1_17partition_subalgoE9EllbEEZZNS1_14partition_implILS5_9ELb0ES3_jPlS8_PNS0_10empty_typeENS0_5tupleIJS8_S9_EEENSB_IJS8_SA_EEENS0_18inequality_wrapperIZN2at6native12_GLOBAL__N_124unique_dim_cuda_templateIfEESt5tupleIJNSF_6TensorESK_SK_EERKSK_lbbbEUlllE0_EEPmJS9_EEE10hipError_tPvRmT3_T4_T5_T6_T7_T9_mT8_P12ihipStream_tbDpT10_ENKUlT_T0_E_clISt17integral_constantIbLb1EES1A_EEDaS15_S16_EUlS15_E_NS1_11comp_targetILNS1_3genE4ELNS1_11target_archE910ELNS1_3gpuE8ELNS1_3repE0EEENS1_30default_config_static_selectorELNS0_4arch9wavefront6targetE1EEEvT1_ ; -- Begin function _ZN7rocprim17ROCPRIM_400000_NS6detail17trampoline_kernelINS0_14default_configENS1_25partition_config_selectorILNS1_17partition_subalgoE9EllbEEZZNS1_14partition_implILS5_9ELb0ES3_jPlS8_PNS0_10empty_typeENS0_5tupleIJS8_S9_EEENSB_IJS8_SA_EEENS0_18inequality_wrapperIZN2at6native12_GLOBAL__N_124unique_dim_cuda_templateIfEESt5tupleIJNSF_6TensorESK_SK_EERKSK_lbbbEUlllE0_EEPmJS9_EEE10hipError_tPvRmT3_T4_T5_T6_T7_T9_mT8_P12ihipStream_tbDpT10_ENKUlT_T0_E_clISt17integral_constantIbLb1EES1A_EEDaS15_S16_EUlS15_E_NS1_11comp_targetILNS1_3genE4ELNS1_11target_archE910ELNS1_3gpuE8ELNS1_3repE0EEENS1_30default_config_static_selectorELNS0_4arch9wavefront6targetE1EEEvT1_
	.p2align	8
	.type	_ZN7rocprim17ROCPRIM_400000_NS6detail17trampoline_kernelINS0_14default_configENS1_25partition_config_selectorILNS1_17partition_subalgoE9EllbEEZZNS1_14partition_implILS5_9ELb0ES3_jPlS8_PNS0_10empty_typeENS0_5tupleIJS8_S9_EEENSB_IJS8_SA_EEENS0_18inequality_wrapperIZN2at6native12_GLOBAL__N_124unique_dim_cuda_templateIfEESt5tupleIJNSF_6TensorESK_SK_EERKSK_lbbbEUlllE0_EEPmJS9_EEE10hipError_tPvRmT3_T4_T5_T6_T7_T9_mT8_P12ihipStream_tbDpT10_ENKUlT_T0_E_clISt17integral_constantIbLb1EES1A_EEDaS15_S16_EUlS15_E_NS1_11comp_targetILNS1_3genE4ELNS1_11target_archE910ELNS1_3gpuE8ELNS1_3repE0EEENS1_30default_config_static_selectorELNS0_4arch9wavefront6targetE1EEEvT1_,@function
_ZN7rocprim17ROCPRIM_400000_NS6detail17trampoline_kernelINS0_14default_configENS1_25partition_config_selectorILNS1_17partition_subalgoE9EllbEEZZNS1_14partition_implILS5_9ELb0ES3_jPlS8_PNS0_10empty_typeENS0_5tupleIJS8_S9_EEENSB_IJS8_SA_EEENS0_18inequality_wrapperIZN2at6native12_GLOBAL__N_124unique_dim_cuda_templateIfEESt5tupleIJNSF_6TensorESK_SK_EERKSK_lbbbEUlllE0_EEPmJS9_EEE10hipError_tPvRmT3_T4_T5_T6_T7_T9_mT8_P12ihipStream_tbDpT10_ENKUlT_T0_E_clISt17integral_constantIbLb1EES1A_EEDaS15_S16_EUlS15_E_NS1_11comp_targetILNS1_3genE4ELNS1_11target_archE910ELNS1_3gpuE8ELNS1_3repE0EEENS1_30default_config_static_selectorELNS0_4arch9wavefront6targetE1EEEvT1_: ; @_ZN7rocprim17ROCPRIM_400000_NS6detail17trampoline_kernelINS0_14default_configENS1_25partition_config_selectorILNS1_17partition_subalgoE9EllbEEZZNS1_14partition_implILS5_9ELb0ES3_jPlS8_PNS0_10empty_typeENS0_5tupleIJS8_S9_EEENSB_IJS8_SA_EEENS0_18inequality_wrapperIZN2at6native12_GLOBAL__N_124unique_dim_cuda_templateIfEESt5tupleIJNSF_6TensorESK_SK_EERKSK_lbbbEUlllE0_EEPmJS9_EEE10hipError_tPvRmT3_T4_T5_T6_T7_T9_mT8_P12ihipStream_tbDpT10_ENKUlT_T0_E_clISt17integral_constantIbLb1EES1A_EEDaS15_S16_EUlS15_E_NS1_11comp_targetILNS1_3genE4ELNS1_11target_archE910ELNS1_3gpuE8ELNS1_3repE0EEENS1_30default_config_static_selectorELNS0_4arch9wavefront6targetE1EEEvT1_
; %bb.0:
	.section	.rodata,"a",@progbits
	.p2align	6, 0x0
	.amdhsa_kernel _ZN7rocprim17ROCPRIM_400000_NS6detail17trampoline_kernelINS0_14default_configENS1_25partition_config_selectorILNS1_17partition_subalgoE9EllbEEZZNS1_14partition_implILS5_9ELb0ES3_jPlS8_PNS0_10empty_typeENS0_5tupleIJS8_S9_EEENSB_IJS8_SA_EEENS0_18inequality_wrapperIZN2at6native12_GLOBAL__N_124unique_dim_cuda_templateIfEESt5tupleIJNSF_6TensorESK_SK_EERKSK_lbbbEUlllE0_EEPmJS9_EEE10hipError_tPvRmT3_T4_T5_T6_T7_T9_mT8_P12ihipStream_tbDpT10_ENKUlT_T0_E_clISt17integral_constantIbLb1EES1A_EEDaS15_S16_EUlS15_E_NS1_11comp_targetILNS1_3genE4ELNS1_11target_archE910ELNS1_3gpuE8ELNS1_3repE0EEENS1_30default_config_static_selectorELNS0_4arch9wavefront6targetE1EEEvT1_
		.amdhsa_group_segment_fixed_size 0
		.amdhsa_private_segment_fixed_size 0
		.amdhsa_kernarg_size 136
		.amdhsa_user_sgpr_count 2
		.amdhsa_user_sgpr_dispatch_ptr 0
		.amdhsa_user_sgpr_queue_ptr 0
		.amdhsa_user_sgpr_kernarg_segment_ptr 1
		.amdhsa_user_sgpr_dispatch_id 0
		.amdhsa_user_sgpr_kernarg_preload_length 0
		.amdhsa_user_sgpr_kernarg_preload_offset 0
		.amdhsa_user_sgpr_private_segment_size 0
		.amdhsa_uses_dynamic_stack 0
		.amdhsa_enable_private_segment 0
		.amdhsa_system_sgpr_workgroup_id_x 1
		.amdhsa_system_sgpr_workgroup_id_y 0
		.amdhsa_system_sgpr_workgroup_id_z 0
		.amdhsa_system_sgpr_workgroup_info 0
		.amdhsa_system_vgpr_workitem_id 0
		.amdhsa_next_free_vgpr 1
		.amdhsa_next_free_sgpr 0
		.amdhsa_accum_offset 4
		.amdhsa_reserve_vcc 0
		.amdhsa_float_round_mode_32 0
		.amdhsa_float_round_mode_16_64 0
		.amdhsa_float_denorm_mode_32 3
		.amdhsa_float_denorm_mode_16_64 3
		.amdhsa_dx10_clamp 1
		.amdhsa_ieee_mode 1
		.amdhsa_fp16_overflow 0
		.amdhsa_tg_split 0
		.amdhsa_exception_fp_ieee_invalid_op 0
		.amdhsa_exception_fp_denorm_src 0
		.amdhsa_exception_fp_ieee_div_zero 0
		.amdhsa_exception_fp_ieee_overflow 0
		.amdhsa_exception_fp_ieee_underflow 0
		.amdhsa_exception_fp_ieee_inexact 0
		.amdhsa_exception_int_div_zero 0
	.end_amdhsa_kernel
	.section	.text._ZN7rocprim17ROCPRIM_400000_NS6detail17trampoline_kernelINS0_14default_configENS1_25partition_config_selectorILNS1_17partition_subalgoE9EllbEEZZNS1_14partition_implILS5_9ELb0ES3_jPlS8_PNS0_10empty_typeENS0_5tupleIJS8_S9_EEENSB_IJS8_SA_EEENS0_18inequality_wrapperIZN2at6native12_GLOBAL__N_124unique_dim_cuda_templateIfEESt5tupleIJNSF_6TensorESK_SK_EERKSK_lbbbEUlllE0_EEPmJS9_EEE10hipError_tPvRmT3_T4_T5_T6_T7_T9_mT8_P12ihipStream_tbDpT10_ENKUlT_T0_E_clISt17integral_constantIbLb1EES1A_EEDaS15_S16_EUlS15_E_NS1_11comp_targetILNS1_3genE4ELNS1_11target_archE910ELNS1_3gpuE8ELNS1_3repE0EEENS1_30default_config_static_selectorELNS0_4arch9wavefront6targetE1EEEvT1_,"axG",@progbits,_ZN7rocprim17ROCPRIM_400000_NS6detail17trampoline_kernelINS0_14default_configENS1_25partition_config_selectorILNS1_17partition_subalgoE9EllbEEZZNS1_14partition_implILS5_9ELb0ES3_jPlS8_PNS0_10empty_typeENS0_5tupleIJS8_S9_EEENSB_IJS8_SA_EEENS0_18inequality_wrapperIZN2at6native12_GLOBAL__N_124unique_dim_cuda_templateIfEESt5tupleIJNSF_6TensorESK_SK_EERKSK_lbbbEUlllE0_EEPmJS9_EEE10hipError_tPvRmT3_T4_T5_T6_T7_T9_mT8_P12ihipStream_tbDpT10_ENKUlT_T0_E_clISt17integral_constantIbLb1EES1A_EEDaS15_S16_EUlS15_E_NS1_11comp_targetILNS1_3genE4ELNS1_11target_archE910ELNS1_3gpuE8ELNS1_3repE0EEENS1_30default_config_static_selectorELNS0_4arch9wavefront6targetE1EEEvT1_,comdat
.Lfunc_end978:
	.size	_ZN7rocprim17ROCPRIM_400000_NS6detail17trampoline_kernelINS0_14default_configENS1_25partition_config_selectorILNS1_17partition_subalgoE9EllbEEZZNS1_14partition_implILS5_9ELb0ES3_jPlS8_PNS0_10empty_typeENS0_5tupleIJS8_S9_EEENSB_IJS8_SA_EEENS0_18inequality_wrapperIZN2at6native12_GLOBAL__N_124unique_dim_cuda_templateIfEESt5tupleIJNSF_6TensorESK_SK_EERKSK_lbbbEUlllE0_EEPmJS9_EEE10hipError_tPvRmT3_T4_T5_T6_T7_T9_mT8_P12ihipStream_tbDpT10_ENKUlT_T0_E_clISt17integral_constantIbLb1EES1A_EEDaS15_S16_EUlS15_E_NS1_11comp_targetILNS1_3genE4ELNS1_11target_archE910ELNS1_3gpuE8ELNS1_3repE0EEENS1_30default_config_static_selectorELNS0_4arch9wavefront6targetE1EEEvT1_, .Lfunc_end978-_ZN7rocprim17ROCPRIM_400000_NS6detail17trampoline_kernelINS0_14default_configENS1_25partition_config_selectorILNS1_17partition_subalgoE9EllbEEZZNS1_14partition_implILS5_9ELb0ES3_jPlS8_PNS0_10empty_typeENS0_5tupleIJS8_S9_EEENSB_IJS8_SA_EEENS0_18inequality_wrapperIZN2at6native12_GLOBAL__N_124unique_dim_cuda_templateIfEESt5tupleIJNSF_6TensorESK_SK_EERKSK_lbbbEUlllE0_EEPmJS9_EEE10hipError_tPvRmT3_T4_T5_T6_T7_T9_mT8_P12ihipStream_tbDpT10_ENKUlT_T0_E_clISt17integral_constantIbLb1EES1A_EEDaS15_S16_EUlS15_E_NS1_11comp_targetILNS1_3genE4ELNS1_11target_archE910ELNS1_3gpuE8ELNS1_3repE0EEENS1_30default_config_static_selectorELNS0_4arch9wavefront6targetE1EEEvT1_
                                        ; -- End function
	.section	.AMDGPU.csdata,"",@progbits
; Kernel info:
; codeLenInByte = 0
; NumSgprs: 6
; NumVgprs: 0
; NumAgprs: 0
; TotalNumVgprs: 0
; ScratchSize: 0
; MemoryBound: 0
; FloatMode: 240
; IeeeMode: 1
; LDSByteSize: 0 bytes/workgroup (compile time only)
; SGPRBlocks: 0
; VGPRBlocks: 0
; NumSGPRsForWavesPerEU: 6
; NumVGPRsForWavesPerEU: 1
; AccumOffset: 4
; Occupancy: 8
; WaveLimiterHint : 0
; COMPUTE_PGM_RSRC2:SCRATCH_EN: 0
; COMPUTE_PGM_RSRC2:USER_SGPR: 2
; COMPUTE_PGM_RSRC2:TRAP_HANDLER: 0
; COMPUTE_PGM_RSRC2:TGID_X_EN: 1
; COMPUTE_PGM_RSRC2:TGID_Y_EN: 0
; COMPUTE_PGM_RSRC2:TGID_Z_EN: 0
; COMPUTE_PGM_RSRC2:TIDIG_COMP_CNT: 0
; COMPUTE_PGM_RSRC3_GFX90A:ACCUM_OFFSET: 0
; COMPUTE_PGM_RSRC3_GFX90A:TG_SPLIT: 0
	.section	.text._ZN7rocprim17ROCPRIM_400000_NS6detail17trampoline_kernelINS0_14default_configENS1_25partition_config_selectorILNS1_17partition_subalgoE9EllbEEZZNS1_14partition_implILS5_9ELb0ES3_jPlS8_PNS0_10empty_typeENS0_5tupleIJS8_S9_EEENSB_IJS8_SA_EEENS0_18inequality_wrapperIZN2at6native12_GLOBAL__N_124unique_dim_cuda_templateIfEESt5tupleIJNSF_6TensorESK_SK_EERKSK_lbbbEUlllE0_EEPmJS9_EEE10hipError_tPvRmT3_T4_T5_T6_T7_T9_mT8_P12ihipStream_tbDpT10_ENKUlT_T0_E_clISt17integral_constantIbLb1EES1A_EEDaS15_S16_EUlS15_E_NS1_11comp_targetILNS1_3genE3ELNS1_11target_archE908ELNS1_3gpuE7ELNS1_3repE0EEENS1_30default_config_static_selectorELNS0_4arch9wavefront6targetE1EEEvT1_,"axG",@progbits,_ZN7rocprim17ROCPRIM_400000_NS6detail17trampoline_kernelINS0_14default_configENS1_25partition_config_selectorILNS1_17partition_subalgoE9EllbEEZZNS1_14partition_implILS5_9ELb0ES3_jPlS8_PNS0_10empty_typeENS0_5tupleIJS8_S9_EEENSB_IJS8_SA_EEENS0_18inequality_wrapperIZN2at6native12_GLOBAL__N_124unique_dim_cuda_templateIfEESt5tupleIJNSF_6TensorESK_SK_EERKSK_lbbbEUlllE0_EEPmJS9_EEE10hipError_tPvRmT3_T4_T5_T6_T7_T9_mT8_P12ihipStream_tbDpT10_ENKUlT_T0_E_clISt17integral_constantIbLb1EES1A_EEDaS15_S16_EUlS15_E_NS1_11comp_targetILNS1_3genE3ELNS1_11target_archE908ELNS1_3gpuE7ELNS1_3repE0EEENS1_30default_config_static_selectorELNS0_4arch9wavefront6targetE1EEEvT1_,comdat
	.globl	_ZN7rocprim17ROCPRIM_400000_NS6detail17trampoline_kernelINS0_14default_configENS1_25partition_config_selectorILNS1_17partition_subalgoE9EllbEEZZNS1_14partition_implILS5_9ELb0ES3_jPlS8_PNS0_10empty_typeENS0_5tupleIJS8_S9_EEENSB_IJS8_SA_EEENS0_18inequality_wrapperIZN2at6native12_GLOBAL__N_124unique_dim_cuda_templateIfEESt5tupleIJNSF_6TensorESK_SK_EERKSK_lbbbEUlllE0_EEPmJS9_EEE10hipError_tPvRmT3_T4_T5_T6_T7_T9_mT8_P12ihipStream_tbDpT10_ENKUlT_T0_E_clISt17integral_constantIbLb1EES1A_EEDaS15_S16_EUlS15_E_NS1_11comp_targetILNS1_3genE3ELNS1_11target_archE908ELNS1_3gpuE7ELNS1_3repE0EEENS1_30default_config_static_selectorELNS0_4arch9wavefront6targetE1EEEvT1_ ; -- Begin function _ZN7rocprim17ROCPRIM_400000_NS6detail17trampoline_kernelINS0_14default_configENS1_25partition_config_selectorILNS1_17partition_subalgoE9EllbEEZZNS1_14partition_implILS5_9ELb0ES3_jPlS8_PNS0_10empty_typeENS0_5tupleIJS8_S9_EEENSB_IJS8_SA_EEENS0_18inequality_wrapperIZN2at6native12_GLOBAL__N_124unique_dim_cuda_templateIfEESt5tupleIJNSF_6TensorESK_SK_EERKSK_lbbbEUlllE0_EEPmJS9_EEE10hipError_tPvRmT3_T4_T5_T6_T7_T9_mT8_P12ihipStream_tbDpT10_ENKUlT_T0_E_clISt17integral_constantIbLb1EES1A_EEDaS15_S16_EUlS15_E_NS1_11comp_targetILNS1_3genE3ELNS1_11target_archE908ELNS1_3gpuE7ELNS1_3repE0EEENS1_30default_config_static_selectorELNS0_4arch9wavefront6targetE1EEEvT1_
	.p2align	8
	.type	_ZN7rocprim17ROCPRIM_400000_NS6detail17trampoline_kernelINS0_14default_configENS1_25partition_config_selectorILNS1_17partition_subalgoE9EllbEEZZNS1_14partition_implILS5_9ELb0ES3_jPlS8_PNS0_10empty_typeENS0_5tupleIJS8_S9_EEENSB_IJS8_SA_EEENS0_18inequality_wrapperIZN2at6native12_GLOBAL__N_124unique_dim_cuda_templateIfEESt5tupleIJNSF_6TensorESK_SK_EERKSK_lbbbEUlllE0_EEPmJS9_EEE10hipError_tPvRmT3_T4_T5_T6_T7_T9_mT8_P12ihipStream_tbDpT10_ENKUlT_T0_E_clISt17integral_constantIbLb1EES1A_EEDaS15_S16_EUlS15_E_NS1_11comp_targetILNS1_3genE3ELNS1_11target_archE908ELNS1_3gpuE7ELNS1_3repE0EEENS1_30default_config_static_selectorELNS0_4arch9wavefront6targetE1EEEvT1_,@function
_ZN7rocprim17ROCPRIM_400000_NS6detail17trampoline_kernelINS0_14default_configENS1_25partition_config_selectorILNS1_17partition_subalgoE9EllbEEZZNS1_14partition_implILS5_9ELb0ES3_jPlS8_PNS0_10empty_typeENS0_5tupleIJS8_S9_EEENSB_IJS8_SA_EEENS0_18inequality_wrapperIZN2at6native12_GLOBAL__N_124unique_dim_cuda_templateIfEESt5tupleIJNSF_6TensorESK_SK_EERKSK_lbbbEUlllE0_EEPmJS9_EEE10hipError_tPvRmT3_T4_T5_T6_T7_T9_mT8_P12ihipStream_tbDpT10_ENKUlT_T0_E_clISt17integral_constantIbLb1EES1A_EEDaS15_S16_EUlS15_E_NS1_11comp_targetILNS1_3genE3ELNS1_11target_archE908ELNS1_3gpuE7ELNS1_3repE0EEENS1_30default_config_static_selectorELNS0_4arch9wavefront6targetE1EEEvT1_: ; @_ZN7rocprim17ROCPRIM_400000_NS6detail17trampoline_kernelINS0_14default_configENS1_25partition_config_selectorILNS1_17partition_subalgoE9EllbEEZZNS1_14partition_implILS5_9ELb0ES3_jPlS8_PNS0_10empty_typeENS0_5tupleIJS8_S9_EEENSB_IJS8_SA_EEENS0_18inequality_wrapperIZN2at6native12_GLOBAL__N_124unique_dim_cuda_templateIfEESt5tupleIJNSF_6TensorESK_SK_EERKSK_lbbbEUlllE0_EEPmJS9_EEE10hipError_tPvRmT3_T4_T5_T6_T7_T9_mT8_P12ihipStream_tbDpT10_ENKUlT_T0_E_clISt17integral_constantIbLb1EES1A_EEDaS15_S16_EUlS15_E_NS1_11comp_targetILNS1_3genE3ELNS1_11target_archE908ELNS1_3gpuE7ELNS1_3repE0EEENS1_30default_config_static_selectorELNS0_4arch9wavefront6targetE1EEEvT1_
; %bb.0:
	.section	.rodata,"a",@progbits
	.p2align	6, 0x0
	.amdhsa_kernel _ZN7rocprim17ROCPRIM_400000_NS6detail17trampoline_kernelINS0_14default_configENS1_25partition_config_selectorILNS1_17partition_subalgoE9EllbEEZZNS1_14partition_implILS5_9ELb0ES3_jPlS8_PNS0_10empty_typeENS0_5tupleIJS8_S9_EEENSB_IJS8_SA_EEENS0_18inequality_wrapperIZN2at6native12_GLOBAL__N_124unique_dim_cuda_templateIfEESt5tupleIJNSF_6TensorESK_SK_EERKSK_lbbbEUlllE0_EEPmJS9_EEE10hipError_tPvRmT3_T4_T5_T6_T7_T9_mT8_P12ihipStream_tbDpT10_ENKUlT_T0_E_clISt17integral_constantIbLb1EES1A_EEDaS15_S16_EUlS15_E_NS1_11comp_targetILNS1_3genE3ELNS1_11target_archE908ELNS1_3gpuE7ELNS1_3repE0EEENS1_30default_config_static_selectorELNS0_4arch9wavefront6targetE1EEEvT1_
		.amdhsa_group_segment_fixed_size 0
		.amdhsa_private_segment_fixed_size 0
		.amdhsa_kernarg_size 136
		.amdhsa_user_sgpr_count 2
		.amdhsa_user_sgpr_dispatch_ptr 0
		.amdhsa_user_sgpr_queue_ptr 0
		.amdhsa_user_sgpr_kernarg_segment_ptr 1
		.amdhsa_user_sgpr_dispatch_id 0
		.amdhsa_user_sgpr_kernarg_preload_length 0
		.amdhsa_user_sgpr_kernarg_preload_offset 0
		.amdhsa_user_sgpr_private_segment_size 0
		.amdhsa_uses_dynamic_stack 0
		.amdhsa_enable_private_segment 0
		.amdhsa_system_sgpr_workgroup_id_x 1
		.amdhsa_system_sgpr_workgroup_id_y 0
		.amdhsa_system_sgpr_workgroup_id_z 0
		.amdhsa_system_sgpr_workgroup_info 0
		.amdhsa_system_vgpr_workitem_id 0
		.amdhsa_next_free_vgpr 1
		.amdhsa_next_free_sgpr 0
		.amdhsa_accum_offset 4
		.amdhsa_reserve_vcc 0
		.amdhsa_float_round_mode_32 0
		.amdhsa_float_round_mode_16_64 0
		.amdhsa_float_denorm_mode_32 3
		.amdhsa_float_denorm_mode_16_64 3
		.amdhsa_dx10_clamp 1
		.amdhsa_ieee_mode 1
		.amdhsa_fp16_overflow 0
		.amdhsa_tg_split 0
		.amdhsa_exception_fp_ieee_invalid_op 0
		.amdhsa_exception_fp_denorm_src 0
		.amdhsa_exception_fp_ieee_div_zero 0
		.amdhsa_exception_fp_ieee_overflow 0
		.amdhsa_exception_fp_ieee_underflow 0
		.amdhsa_exception_fp_ieee_inexact 0
		.amdhsa_exception_int_div_zero 0
	.end_amdhsa_kernel
	.section	.text._ZN7rocprim17ROCPRIM_400000_NS6detail17trampoline_kernelINS0_14default_configENS1_25partition_config_selectorILNS1_17partition_subalgoE9EllbEEZZNS1_14partition_implILS5_9ELb0ES3_jPlS8_PNS0_10empty_typeENS0_5tupleIJS8_S9_EEENSB_IJS8_SA_EEENS0_18inequality_wrapperIZN2at6native12_GLOBAL__N_124unique_dim_cuda_templateIfEESt5tupleIJNSF_6TensorESK_SK_EERKSK_lbbbEUlllE0_EEPmJS9_EEE10hipError_tPvRmT3_T4_T5_T6_T7_T9_mT8_P12ihipStream_tbDpT10_ENKUlT_T0_E_clISt17integral_constantIbLb1EES1A_EEDaS15_S16_EUlS15_E_NS1_11comp_targetILNS1_3genE3ELNS1_11target_archE908ELNS1_3gpuE7ELNS1_3repE0EEENS1_30default_config_static_selectorELNS0_4arch9wavefront6targetE1EEEvT1_,"axG",@progbits,_ZN7rocprim17ROCPRIM_400000_NS6detail17trampoline_kernelINS0_14default_configENS1_25partition_config_selectorILNS1_17partition_subalgoE9EllbEEZZNS1_14partition_implILS5_9ELb0ES3_jPlS8_PNS0_10empty_typeENS0_5tupleIJS8_S9_EEENSB_IJS8_SA_EEENS0_18inequality_wrapperIZN2at6native12_GLOBAL__N_124unique_dim_cuda_templateIfEESt5tupleIJNSF_6TensorESK_SK_EERKSK_lbbbEUlllE0_EEPmJS9_EEE10hipError_tPvRmT3_T4_T5_T6_T7_T9_mT8_P12ihipStream_tbDpT10_ENKUlT_T0_E_clISt17integral_constantIbLb1EES1A_EEDaS15_S16_EUlS15_E_NS1_11comp_targetILNS1_3genE3ELNS1_11target_archE908ELNS1_3gpuE7ELNS1_3repE0EEENS1_30default_config_static_selectorELNS0_4arch9wavefront6targetE1EEEvT1_,comdat
.Lfunc_end979:
	.size	_ZN7rocprim17ROCPRIM_400000_NS6detail17trampoline_kernelINS0_14default_configENS1_25partition_config_selectorILNS1_17partition_subalgoE9EllbEEZZNS1_14partition_implILS5_9ELb0ES3_jPlS8_PNS0_10empty_typeENS0_5tupleIJS8_S9_EEENSB_IJS8_SA_EEENS0_18inequality_wrapperIZN2at6native12_GLOBAL__N_124unique_dim_cuda_templateIfEESt5tupleIJNSF_6TensorESK_SK_EERKSK_lbbbEUlllE0_EEPmJS9_EEE10hipError_tPvRmT3_T4_T5_T6_T7_T9_mT8_P12ihipStream_tbDpT10_ENKUlT_T0_E_clISt17integral_constantIbLb1EES1A_EEDaS15_S16_EUlS15_E_NS1_11comp_targetILNS1_3genE3ELNS1_11target_archE908ELNS1_3gpuE7ELNS1_3repE0EEENS1_30default_config_static_selectorELNS0_4arch9wavefront6targetE1EEEvT1_, .Lfunc_end979-_ZN7rocprim17ROCPRIM_400000_NS6detail17trampoline_kernelINS0_14default_configENS1_25partition_config_selectorILNS1_17partition_subalgoE9EllbEEZZNS1_14partition_implILS5_9ELb0ES3_jPlS8_PNS0_10empty_typeENS0_5tupleIJS8_S9_EEENSB_IJS8_SA_EEENS0_18inequality_wrapperIZN2at6native12_GLOBAL__N_124unique_dim_cuda_templateIfEESt5tupleIJNSF_6TensorESK_SK_EERKSK_lbbbEUlllE0_EEPmJS9_EEE10hipError_tPvRmT3_T4_T5_T6_T7_T9_mT8_P12ihipStream_tbDpT10_ENKUlT_T0_E_clISt17integral_constantIbLb1EES1A_EEDaS15_S16_EUlS15_E_NS1_11comp_targetILNS1_3genE3ELNS1_11target_archE908ELNS1_3gpuE7ELNS1_3repE0EEENS1_30default_config_static_selectorELNS0_4arch9wavefront6targetE1EEEvT1_
                                        ; -- End function
	.section	.AMDGPU.csdata,"",@progbits
; Kernel info:
; codeLenInByte = 0
; NumSgprs: 6
; NumVgprs: 0
; NumAgprs: 0
; TotalNumVgprs: 0
; ScratchSize: 0
; MemoryBound: 0
; FloatMode: 240
; IeeeMode: 1
; LDSByteSize: 0 bytes/workgroup (compile time only)
; SGPRBlocks: 0
; VGPRBlocks: 0
; NumSGPRsForWavesPerEU: 6
; NumVGPRsForWavesPerEU: 1
; AccumOffset: 4
; Occupancy: 8
; WaveLimiterHint : 0
; COMPUTE_PGM_RSRC2:SCRATCH_EN: 0
; COMPUTE_PGM_RSRC2:USER_SGPR: 2
; COMPUTE_PGM_RSRC2:TRAP_HANDLER: 0
; COMPUTE_PGM_RSRC2:TGID_X_EN: 1
; COMPUTE_PGM_RSRC2:TGID_Y_EN: 0
; COMPUTE_PGM_RSRC2:TGID_Z_EN: 0
; COMPUTE_PGM_RSRC2:TIDIG_COMP_CNT: 0
; COMPUTE_PGM_RSRC3_GFX90A:ACCUM_OFFSET: 0
; COMPUTE_PGM_RSRC3_GFX90A:TG_SPLIT: 0
	.section	.text._ZN7rocprim17ROCPRIM_400000_NS6detail17trampoline_kernelINS0_14default_configENS1_25partition_config_selectorILNS1_17partition_subalgoE9EllbEEZZNS1_14partition_implILS5_9ELb0ES3_jPlS8_PNS0_10empty_typeENS0_5tupleIJS8_S9_EEENSB_IJS8_SA_EEENS0_18inequality_wrapperIZN2at6native12_GLOBAL__N_124unique_dim_cuda_templateIfEESt5tupleIJNSF_6TensorESK_SK_EERKSK_lbbbEUlllE0_EEPmJS9_EEE10hipError_tPvRmT3_T4_T5_T6_T7_T9_mT8_P12ihipStream_tbDpT10_ENKUlT_T0_E_clISt17integral_constantIbLb1EES1A_EEDaS15_S16_EUlS15_E_NS1_11comp_targetILNS1_3genE2ELNS1_11target_archE906ELNS1_3gpuE6ELNS1_3repE0EEENS1_30default_config_static_selectorELNS0_4arch9wavefront6targetE1EEEvT1_,"axG",@progbits,_ZN7rocprim17ROCPRIM_400000_NS6detail17trampoline_kernelINS0_14default_configENS1_25partition_config_selectorILNS1_17partition_subalgoE9EllbEEZZNS1_14partition_implILS5_9ELb0ES3_jPlS8_PNS0_10empty_typeENS0_5tupleIJS8_S9_EEENSB_IJS8_SA_EEENS0_18inequality_wrapperIZN2at6native12_GLOBAL__N_124unique_dim_cuda_templateIfEESt5tupleIJNSF_6TensorESK_SK_EERKSK_lbbbEUlllE0_EEPmJS9_EEE10hipError_tPvRmT3_T4_T5_T6_T7_T9_mT8_P12ihipStream_tbDpT10_ENKUlT_T0_E_clISt17integral_constantIbLb1EES1A_EEDaS15_S16_EUlS15_E_NS1_11comp_targetILNS1_3genE2ELNS1_11target_archE906ELNS1_3gpuE6ELNS1_3repE0EEENS1_30default_config_static_selectorELNS0_4arch9wavefront6targetE1EEEvT1_,comdat
	.globl	_ZN7rocprim17ROCPRIM_400000_NS6detail17trampoline_kernelINS0_14default_configENS1_25partition_config_selectorILNS1_17partition_subalgoE9EllbEEZZNS1_14partition_implILS5_9ELb0ES3_jPlS8_PNS0_10empty_typeENS0_5tupleIJS8_S9_EEENSB_IJS8_SA_EEENS0_18inequality_wrapperIZN2at6native12_GLOBAL__N_124unique_dim_cuda_templateIfEESt5tupleIJNSF_6TensorESK_SK_EERKSK_lbbbEUlllE0_EEPmJS9_EEE10hipError_tPvRmT3_T4_T5_T6_T7_T9_mT8_P12ihipStream_tbDpT10_ENKUlT_T0_E_clISt17integral_constantIbLb1EES1A_EEDaS15_S16_EUlS15_E_NS1_11comp_targetILNS1_3genE2ELNS1_11target_archE906ELNS1_3gpuE6ELNS1_3repE0EEENS1_30default_config_static_selectorELNS0_4arch9wavefront6targetE1EEEvT1_ ; -- Begin function _ZN7rocprim17ROCPRIM_400000_NS6detail17trampoline_kernelINS0_14default_configENS1_25partition_config_selectorILNS1_17partition_subalgoE9EllbEEZZNS1_14partition_implILS5_9ELb0ES3_jPlS8_PNS0_10empty_typeENS0_5tupleIJS8_S9_EEENSB_IJS8_SA_EEENS0_18inequality_wrapperIZN2at6native12_GLOBAL__N_124unique_dim_cuda_templateIfEESt5tupleIJNSF_6TensorESK_SK_EERKSK_lbbbEUlllE0_EEPmJS9_EEE10hipError_tPvRmT3_T4_T5_T6_T7_T9_mT8_P12ihipStream_tbDpT10_ENKUlT_T0_E_clISt17integral_constantIbLb1EES1A_EEDaS15_S16_EUlS15_E_NS1_11comp_targetILNS1_3genE2ELNS1_11target_archE906ELNS1_3gpuE6ELNS1_3repE0EEENS1_30default_config_static_selectorELNS0_4arch9wavefront6targetE1EEEvT1_
	.p2align	8
	.type	_ZN7rocprim17ROCPRIM_400000_NS6detail17trampoline_kernelINS0_14default_configENS1_25partition_config_selectorILNS1_17partition_subalgoE9EllbEEZZNS1_14partition_implILS5_9ELb0ES3_jPlS8_PNS0_10empty_typeENS0_5tupleIJS8_S9_EEENSB_IJS8_SA_EEENS0_18inequality_wrapperIZN2at6native12_GLOBAL__N_124unique_dim_cuda_templateIfEESt5tupleIJNSF_6TensorESK_SK_EERKSK_lbbbEUlllE0_EEPmJS9_EEE10hipError_tPvRmT3_T4_T5_T6_T7_T9_mT8_P12ihipStream_tbDpT10_ENKUlT_T0_E_clISt17integral_constantIbLb1EES1A_EEDaS15_S16_EUlS15_E_NS1_11comp_targetILNS1_3genE2ELNS1_11target_archE906ELNS1_3gpuE6ELNS1_3repE0EEENS1_30default_config_static_selectorELNS0_4arch9wavefront6targetE1EEEvT1_,@function
_ZN7rocprim17ROCPRIM_400000_NS6detail17trampoline_kernelINS0_14default_configENS1_25partition_config_selectorILNS1_17partition_subalgoE9EllbEEZZNS1_14partition_implILS5_9ELb0ES3_jPlS8_PNS0_10empty_typeENS0_5tupleIJS8_S9_EEENSB_IJS8_SA_EEENS0_18inequality_wrapperIZN2at6native12_GLOBAL__N_124unique_dim_cuda_templateIfEESt5tupleIJNSF_6TensorESK_SK_EERKSK_lbbbEUlllE0_EEPmJS9_EEE10hipError_tPvRmT3_T4_T5_T6_T7_T9_mT8_P12ihipStream_tbDpT10_ENKUlT_T0_E_clISt17integral_constantIbLb1EES1A_EEDaS15_S16_EUlS15_E_NS1_11comp_targetILNS1_3genE2ELNS1_11target_archE906ELNS1_3gpuE6ELNS1_3repE0EEENS1_30default_config_static_selectorELNS0_4arch9wavefront6targetE1EEEvT1_: ; @_ZN7rocprim17ROCPRIM_400000_NS6detail17trampoline_kernelINS0_14default_configENS1_25partition_config_selectorILNS1_17partition_subalgoE9EllbEEZZNS1_14partition_implILS5_9ELb0ES3_jPlS8_PNS0_10empty_typeENS0_5tupleIJS8_S9_EEENSB_IJS8_SA_EEENS0_18inequality_wrapperIZN2at6native12_GLOBAL__N_124unique_dim_cuda_templateIfEESt5tupleIJNSF_6TensorESK_SK_EERKSK_lbbbEUlllE0_EEPmJS9_EEE10hipError_tPvRmT3_T4_T5_T6_T7_T9_mT8_P12ihipStream_tbDpT10_ENKUlT_T0_E_clISt17integral_constantIbLb1EES1A_EEDaS15_S16_EUlS15_E_NS1_11comp_targetILNS1_3genE2ELNS1_11target_archE906ELNS1_3gpuE6ELNS1_3repE0EEENS1_30default_config_static_selectorELNS0_4arch9wavefront6targetE1EEEvT1_
; %bb.0:
	.section	.rodata,"a",@progbits
	.p2align	6, 0x0
	.amdhsa_kernel _ZN7rocprim17ROCPRIM_400000_NS6detail17trampoline_kernelINS0_14default_configENS1_25partition_config_selectorILNS1_17partition_subalgoE9EllbEEZZNS1_14partition_implILS5_9ELb0ES3_jPlS8_PNS0_10empty_typeENS0_5tupleIJS8_S9_EEENSB_IJS8_SA_EEENS0_18inequality_wrapperIZN2at6native12_GLOBAL__N_124unique_dim_cuda_templateIfEESt5tupleIJNSF_6TensorESK_SK_EERKSK_lbbbEUlllE0_EEPmJS9_EEE10hipError_tPvRmT3_T4_T5_T6_T7_T9_mT8_P12ihipStream_tbDpT10_ENKUlT_T0_E_clISt17integral_constantIbLb1EES1A_EEDaS15_S16_EUlS15_E_NS1_11comp_targetILNS1_3genE2ELNS1_11target_archE906ELNS1_3gpuE6ELNS1_3repE0EEENS1_30default_config_static_selectorELNS0_4arch9wavefront6targetE1EEEvT1_
		.amdhsa_group_segment_fixed_size 0
		.amdhsa_private_segment_fixed_size 0
		.amdhsa_kernarg_size 136
		.amdhsa_user_sgpr_count 2
		.amdhsa_user_sgpr_dispatch_ptr 0
		.amdhsa_user_sgpr_queue_ptr 0
		.amdhsa_user_sgpr_kernarg_segment_ptr 1
		.amdhsa_user_sgpr_dispatch_id 0
		.amdhsa_user_sgpr_kernarg_preload_length 0
		.amdhsa_user_sgpr_kernarg_preload_offset 0
		.amdhsa_user_sgpr_private_segment_size 0
		.amdhsa_uses_dynamic_stack 0
		.amdhsa_enable_private_segment 0
		.amdhsa_system_sgpr_workgroup_id_x 1
		.amdhsa_system_sgpr_workgroup_id_y 0
		.amdhsa_system_sgpr_workgroup_id_z 0
		.amdhsa_system_sgpr_workgroup_info 0
		.amdhsa_system_vgpr_workitem_id 0
		.amdhsa_next_free_vgpr 1
		.amdhsa_next_free_sgpr 0
		.amdhsa_accum_offset 4
		.amdhsa_reserve_vcc 0
		.amdhsa_float_round_mode_32 0
		.amdhsa_float_round_mode_16_64 0
		.amdhsa_float_denorm_mode_32 3
		.amdhsa_float_denorm_mode_16_64 3
		.amdhsa_dx10_clamp 1
		.amdhsa_ieee_mode 1
		.amdhsa_fp16_overflow 0
		.amdhsa_tg_split 0
		.amdhsa_exception_fp_ieee_invalid_op 0
		.amdhsa_exception_fp_denorm_src 0
		.amdhsa_exception_fp_ieee_div_zero 0
		.amdhsa_exception_fp_ieee_overflow 0
		.amdhsa_exception_fp_ieee_underflow 0
		.amdhsa_exception_fp_ieee_inexact 0
		.amdhsa_exception_int_div_zero 0
	.end_amdhsa_kernel
	.section	.text._ZN7rocprim17ROCPRIM_400000_NS6detail17trampoline_kernelINS0_14default_configENS1_25partition_config_selectorILNS1_17partition_subalgoE9EllbEEZZNS1_14partition_implILS5_9ELb0ES3_jPlS8_PNS0_10empty_typeENS0_5tupleIJS8_S9_EEENSB_IJS8_SA_EEENS0_18inequality_wrapperIZN2at6native12_GLOBAL__N_124unique_dim_cuda_templateIfEESt5tupleIJNSF_6TensorESK_SK_EERKSK_lbbbEUlllE0_EEPmJS9_EEE10hipError_tPvRmT3_T4_T5_T6_T7_T9_mT8_P12ihipStream_tbDpT10_ENKUlT_T0_E_clISt17integral_constantIbLb1EES1A_EEDaS15_S16_EUlS15_E_NS1_11comp_targetILNS1_3genE2ELNS1_11target_archE906ELNS1_3gpuE6ELNS1_3repE0EEENS1_30default_config_static_selectorELNS0_4arch9wavefront6targetE1EEEvT1_,"axG",@progbits,_ZN7rocprim17ROCPRIM_400000_NS6detail17trampoline_kernelINS0_14default_configENS1_25partition_config_selectorILNS1_17partition_subalgoE9EllbEEZZNS1_14partition_implILS5_9ELb0ES3_jPlS8_PNS0_10empty_typeENS0_5tupleIJS8_S9_EEENSB_IJS8_SA_EEENS0_18inequality_wrapperIZN2at6native12_GLOBAL__N_124unique_dim_cuda_templateIfEESt5tupleIJNSF_6TensorESK_SK_EERKSK_lbbbEUlllE0_EEPmJS9_EEE10hipError_tPvRmT3_T4_T5_T6_T7_T9_mT8_P12ihipStream_tbDpT10_ENKUlT_T0_E_clISt17integral_constantIbLb1EES1A_EEDaS15_S16_EUlS15_E_NS1_11comp_targetILNS1_3genE2ELNS1_11target_archE906ELNS1_3gpuE6ELNS1_3repE0EEENS1_30default_config_static_selectorELNS0_4arch9wavefront6targetE1EEEvT1_,comdat
.Lfunc_end980:
	.size	_ZN7rocprim17ROCPRIM_400000_NS6detail17trampoline_kernelINS0_14default_configENS1_25partition_config_selectorILNS1_17partition_subalgoE9EllbEEZZNS1_14partition_implILS5_9ELb0ES3_jPlS8_PNS0_10empty_typeENS0_5tupleIJS8_S9_EEENSB_IJS8_SA_EEENS0_18inequality_wrapperIZN2at6native12_GLOBAL__N_124unique_dim_cuda_templateIfEESt5tupleIJNSF_6TensorESK_SK_EERKSK_lbbbEUlllE0_EEPmJS9_EEE10hipError_tPvRmT3_T4_T5_T6_T7_T9_mT8_P12ihipStream_tbDpT10_ENKUlT_T0_E_clISt17integral_constantIbLb1EES1A_EEDaS15_S16_EUlS15_E_NS1_11comp_targetILNS1_3genE2ELNS1_11target_archE906ELNS1_3gpuE6ELNS1_3repE0EEENS1_30default_config_static_selectorELNS0_4arch9wavefront6targetE1EEEvT1_, .Lfunc_end980-_ZN7rocprim17ROCPRIM_400000_NS6detail17trampoline_kernelINS0_14default_configENS1_25partition_config_selectorILNS1_17partition_subalgoE9EllbEEZZNS1_14partition_implILS5_9ELb0ES3_jPlS8_PNS0_10empty_typeENS0_5tupleIJS8_S9_EEENSB_IJS8_SA_EEENS0_18inequality_wrapperIZN2at6native12_GLOBAL__N_124unique_dim_cuda_templateIfEESt5tupleIJNSF_6TensorESK_SK_EERKSK_lbbbEUlllE0_EEPmJS9_EEE10hipError_tPvRmT3_T4_T5_T6_T7_T9_mT8_P12ihipStream_tbDpT10_ENKUlT_T0_E_clISt17integral_constantIbLb1EES1A_EEDaS15_S16_EUlS15_E_NS1_11comp_targetILNS1_3genE2ELNS1_11target_archE906ELNS1_3gpuE6ELNS1_3repE0EEENS1_30default_config_static_selectorELNS0_4arch9wavefront6targetE1EEEvT1_
                                        ; -- End function
	.section	.AMDGPU.csdata,"",@progbits
; Kernel info:
; codeLenInByte = 0
; NumSgprs: 6
; NumVgprs: 0
; NumAgprs: 0
; TotalNumVgprs: 0
; ScratchSize: 0
; MemoryBound: 0
; FloatMode: 240
; IeeeMode: 1
; LDSByteSize: 0 bytes/workgroup (compile time only)
; SGPRBlocks: 0
; VGPRBlocks: 0
; NumSGPRsForWavesPerEU: 6
; NumVGPRsForWavesPerEU: 1
; AccumOffset: 4
; Occupancy: 8
; WaveLimiterHint : 0
; COMPUTE_PGM_RSRC2:SCRATCH_EN: 0
; COMPUTE_PGM_RSRC2:USER_SGPR: 2
; COMPUTE_PGM_RSRC2:TRAP_HANDLER: 0
; COMPUTE_PGM_RSRC2:TGID_X_EN: 1
; COMPUTE_PGM_RSRC2:TGID_Y_EN: 0
; COMPUTE_PGM_RSRC2:TGID_Z_EN: 0
; COMPUTE_PGM_RSRC2:TIDIG_COMP_CNT: 0
; COMPUTE_PGM_RSRC3_GFX90A:ACCUM_OFFSET: 0
; COMPUTE_PGM_RSRC3_GFX90A:TG_SPLIT: 0
	.section	.text._ZN7rocprim17ROCPRIM_400000_NS6detail17trampoline_kernelINS0_14default_configENS1_25partition_config_selectorILNS1_17partition_subalgoE9EllbEEZZNS1_14partition_implILS5_9ELb0ES3_jPlS8_PNS0_10empty_typeENS0_5tupleIJS8_S9_EEENSB_IJS8_SA_EEENS0_18inequality_wrapperIZN2at6native12_GLOBAL__N_124unique_dim_cuda_templateIfEESt5tupleIJNSF_6TensorESK_SK_EERKSK_lbbbEUlllE0_EEPmJS9_EEE10hipError_tPvRmT3_T4_T5_T6_T7_T9_mT8_P12ihipStream_tbDpT10_ENKUlT_T0_E_clISt17integral_constantIbLb1EES1A_EEDaS15_S16_EUlS15_E_NS1_11comp_targetILNS1_3genE10ELNS1_11target_archE1200ELNS1_3gpuE4ELNS1_3repE0EEENS1_30default_config_static_selectorELNS0_4arch9wavefront6targetE1EEEvT1_,"axG",@progbits,_ZN7rocprim17ROCPRIM_400000_NS6detail17trampoline_kernelINS0_14default_configENS1_25partition_config_selectorILNS1_17partition_subalgoE9EllbEEZZNS1_14partition_implILS5_9ELb0ES3_jPlS8_PNS0_10empty_typeENS0_5tupleIJS8_S9_EEENSB_IJS8_SA_EEENS0_18inequality_wrapperIZN2at6native12_GLOBAL__N_124unique_dim_cuda_templateIfEESt5tupleIJNSF_6TensorESK_SK_EERKSK_lbbbEUlllE0_EEPmJS9_EEE10hipError_tPvRmT3_T4_T5_T6_T7_T9_mT8_P12ihipStream_tbDpT10_ENKUlT_T0_E_clISt17integral_constantIbLb1EES1A_EEDaS15_S16_EUlS15_E_NS1_11comp_targetILNS1_3genE10ELNS1_11target_archE1200ELNS1_3gpuE4ELNS1_3repE0EEENS1_30default_config_static_selectorELNS0_4arch9wavefront6targetE1EEEvT1_,comdat
	.globl	_ZN7rocprim17ROCPRIM_400000_NS6detail17trampoline_kernelINS0_14default_configENS1_25partition_config_selectorILNS1_17partition_subalgoE9EllbEEZZNS1_14partition_implILS5_9ELb0ES3_jPlS8_PNS0_10empty_typeENS0_5tupleIJS8_S9_EEENSB_IJS8_SA_EEENS0_18inequality_wrapperIZN2at6native12_GLOBAL__N_124unique_dim_cuda_templateIfEESt5tupleIJNSF_6TensorESK_SK_EERKSK_lbbbEUlllE0_EEPmJS9_EEE10hipError_tPvRmT3_T4_T5_T6_T7_T9_mT8_P12ihipStream_tbDpT10_ENKUlT_T0_E_clISt17integral_constantIbLb1EES1A_EEDaS15_S16_EUlS15_E_NS1_11comp_targetILNS1_3genE10ELNS1_11target_archE1200ELNS1_3gpuE4ELNS1_3repE0EEENS1_30default_config_static_selectorELNS0_4arch9wavefront6targetE1EEEvT1_ ; -- Begin function _ZN7rocprim17ROCPRIM_400000_NS6detail17trampoline_kernelINS0_14default_configENS1_25partition_config_selectorILNS1_17partition_subalgoE9EllbEEZZNS1_14partition_implILS5_9ELb0ES3_jPlS8_PNS0_10empty_typeENS0_5tupleIJS8_S9_EEENSB_IJS8_SA_EEENS0_18inequality_wrapperIZN2at6native12_GLOBAL__N_124unique_dim_cuda_templateIfEESt5tupleIJNSF_6TensorESK_SK_EERKSK_lbbbEUlllE0_EEPmJS9_EEE10hipError_tPvRmT3_T4_T5_T6_T7_T9_mT8_P12ihipStream_tbDpT10_ENKUlT_T0_E_clISt17integral_constantIbLb1EES1A_EEDaS15_S16_EUlS15_E_NS1_11comp_targetILNS1_3genE10ELNS1_11target_archE1200ELNS1_3gpuE4ELNS1_3repE0EEENS1_30default_config_static_selectorELNS0_4arch9wavefront6targetE1EEEvT1_
	.p2align	8
	.type	_ZN7rocprim17ROCPRIM_400000_NS6detail17trampoline_kernelINS0_14default_configENS1_25partition_config_selectorILNS1_17partition_subalgoE9EllbEEZZNS1_14partition_implILS5_9ELb0ES3_jPlS8_PNS0_10empty_typeENS0_5tupleIJS8_S9_EEENSB_IJS8_SA_EEENS0_18inequality_wrapperIZN2at6native12_GLOBAL__N_124unique_dim_cuda_templateIfEESt5tupleIJNSF_6TensorESK_SK_EERKSK_lbbbEUlllE0_EEPmJS9_EEE10hipError_tPvRmT3_T4_T5_T6_T7_T9_mT8_P12ihipStream_tbDpT10_ENKUlT_T0_E_clISt17integral_constantIbLb1EES1A_EEDaS15_S16_EUlS15_E_NS1_11comp_targetILNS1_3genE10ELNS1_11target_archE1200ELNS1_3gpuE4ELNS1_3repE0EEENS1_30default_config_static_selectorELNS0_4arch9wavefront6targetE1EEEvT1_,@function
_ZN7rocprim17ROCPRIM_400000_NS6detail17trampoline_kernelINS0_14default_configENS1_25partition_config_selectorILNS1_17partition_subalgoE9EllbEEZZNS1_14partition_implILS5_9ELb0ES3_jPlS8_PNS0_10empty_typeENS0_5tupleIJS8_S9_EEENSB_IJS8_SA_EEENS0_18inequality_wrapperIZN2at6native12_GLOBAL__N_124unique_dim_cuda_templateIfEESt5tupleIJNSF_6TensorESK_SK_EERKSK_lbbbEUlllE0_EEPmJS9_EEE10hipError_tPvRmT3_T4_T5_T6_T7_T9_mT8_P12ihipStream_tbDpT10_ENKUlT_T0_E_clISt17integral_constantIbLb1EES1A_EEDaS15_S16_EUlS15_E_NS1_11comp_targetILNS1_3genE10ELNS1_11target_archE1200ELNS1_3gpuE4ELNS1_3repE0EEENS1_30default_config_static_selectorELNS0_4arch9wavefront6targetE1EEEvT1_: ; @_ZN7rocprim17ROCPRIM_400000_NS6detail17trampoline_kernelINS0_14default_configENS1_25partition_config_selectorILNS1_17partition_subalgoE9EllbEEZZNS1_14partition_implILS5_9ELb0ES3_jPlS8_PNS0_10empty_typeENS0_5tupleIJS8_S9_EEENSB_IJS8_SA_EEENS0_18inequality_wrapperIZN2at6native12_GLOBAL__N_124unique_dim_cuda_templateIfEESt5tupleIJNSF_6TensorESK_SK_EERKSK_lbbbEUlllE0_EEPmJS9_EEE10hipError_tPvRmT3_T4_T5_T6_T7_T9_mT8_P12ihipStream_tbDpT10_ENKUlT_T0_E_clISt17integral_constantIbLb1EES1A_EEDaS15_S16_EUlS15_E_NS1_11comp_targetILNS1_3genE10ELNS1_11target_archE1200ELNS1_3gpuE4ELNS1_3repE0EEENS1_30default_config_static_selectorELNS0_4arch9wavefront6targetE1EEEvT1_
; %bb.0:
	.section	.rodata,"a",@progbits
	.p2align	6, 0x0
	.amdhsa_kernel _ZN7rocprim17ROCPRIM_400000_NS6detail17trampoline_kernelINS0_14default_configENS1_25partition_config_selectorILNS1_17partition_subalgoE9EllbEEZZNS1_14partition_implILS5_9ELb0ES3_jPlS8_PNS0_10empty_typeENS0_5tupleIJS8_S9_EEENSB_IJS8_SA_EEENS0_18inequality_wrapperIZN2at6native12_GLOBAL__N_124unique_dim_cuda_templateIfEESt5tupleIJNSF_6TensorESK_SK_EERKSK_lbbbEUlllE0_EEPmJS9_EEE10hipError_tPvRmT3_T4_T5_T6_T7_T9_mT8_P12ihipStream_tbDpT10_ENKUlT_T0_E_clISt17integral_constantIbLb1EES1A_EEDaS15_S16_EUlS15_E_NS1_11comp_targetILNS1_3genE10ELNS1_11target_archE1200ELNS1_3gpuE4ELNS1_3repE0EEENS1_30default_config_static_selectorELNS0_4arch9wavefront6targetE1EEEvT1_
		.amdhsa_group_segment_fixed_size 0
		.amdhsa_private_segment_fixed_size 0
		.amdhsa_kernarg_size 136
		.amdhsa_user_sgpr_count 2
		.amdhsa_user_sgpr_dispatch_ptr 0
		.amdhsa_user_sgpr_queue_ptr 0
		.amdhsa_user_sgpr_kernarg_segment_ptr 1
		.amdhsa_user_sgpr_dispatch_id 0
		.amdhsa_user_sgpr_kernarg_preload_length 0
		.amdhsa_user_sgpr_kernarg_preload_offset 0
		.amdhsa_user_sgpr_private_segment_size 0
		.amdhsa_uses_dynamic_stack 0
		.amdhsa_enable_private_segment 0
		.amdhsa_system_sgpr_workgroup_id_x 1
		.amdhsa_system_sgpr_workgroup_id_y 0
		.amdhsa_system_sgpr_workgroup_id_z 0
		.amdhsa_system_sgpr_workgroup_info 0
		.amdhsa_system_vgpr_workitem_id 0
		.amdhsa_next_free_vgpr 1
		.amdhsa_next_free_sgpr 0
		.amdhsa_accum_offset 4
		.amdhsa_reserve_vcc 0
		.amdhsa_float_round_mode_32 0
		.amdhsa_float_round_mode_16_64 0
		.amdhsa_float_denorm_mode_32 3
		.amdhsa_float_denorm_mode_16_64 3
		.amdhsa_dx10_clamp 1
		.amdhsa_ieee_mode 1
		.amdhsa_fp16_overflow 0
		.amdhsa_tg_split 0
		.amdhsa_exception_fp_ieee_invalid_op 0
		.amdhsa_exception_fp_denorm_src 0
		.amdhsa_exception_fp_ieee_div_zero 0
		.amdhsa_exception_fp_ieee_overflow 0
		.amdhsa_exception_fp_ieee_underflow 0
		.amdhsa_exception_fp_ieee_inexact 0
		.amdhsa_exception_int_div_zero 0
	.end_amdhsa_kernel
	.section	.text._ZN7rocprim17ROCPRIM_400000_NS6detail17trampoline_kernelINS0_14default_configENS1_25partition_config_selectorILNS1_17partition_subalgoE9EllbEEZZNS1_14partition_implILS5_9ELb0ES3_jPlS8_PNS0_10empty_typeENS0_5tupleIJS8_S9_EEENSB_IJS8_SA_EEENS0_18inequality_wrapperIZN2at6native12_GLOBAL__N_124unique_dim_cuda_templateIfEESt5tupleIJNSF_6TensorESK_SK_EERKSK_lbbbEUlllE0_EEPmJS9_EEE10hipError_tPvRmT3_T4_T5_T6_T7_T9_mT8_P12ihipStream_tbDpT10_ENKUlT_T0_E_clISt17integral_constantIbLb1EES1A_EEDaS15_S16_EUlS15_E_NS1_11comp_targetILNS1_3genE10ELNS1_11target_archE1200ELNS1_3gpuE4ELNS1_3repE0EEENS1_30default_config_static_selectorELNS0_4arch9wavefront6targetE1EEEvT1_,"axG",@progbits,_ZN7rocprim17ROCPRIM_400000_NS6detail17trampoline_kernelINS0_14default_configENS1_25partition_config_selectorILNS1_17partition_subalgoE9EllbEEZZNS1_14partition_implILS5_9ELb0ES3_jPlS8_PNS0_10empty_typeENS0_5tupleIJS8_S9_EEENSB_IJS8_SA_EEENS0_18inequality_wrapperIZN2at6native12_GLOBAL__N_124unique_dim_cuda_templateIfEESt5tupleIJNSF_6TensorESK_SK_EERKSK_lbbbEUlllE0_EEPmJS9_EEE10hipError_tPvRmT3_T4_T5_T6_T7_T9_mT8_P12ihipStream_tbDpT10_ENKUlT_T0_E_clISt17integral_constantIbLb1EES1A_EEDaS15_S16_EUlS15_E_NS1_11comp_targetILNS1_3genE10ELNS1_11target_archE1200ELNS1_3gpuE4ELNS1_3repE0EEENS1_30default_config_static_selectorELNS0_4arch9wavefront6targetE1EEEvT1_,comdat
.Lfunc_end981:
	.size	_ZN7rocprim17ROCPRIM_400000_NS6detail17trampoline_kernelINS0_14default_configENS1_25partition_config_selectorILNS1_17partition_subalgoE9EllbEEZZNS1_14partition_implILS5_9ELb0ES3_jPlS8_PNS0_10empty_typeENS0_5tupleIJS8_S9_EEENSB_IJS8_SA_EEENS0_18inequality_wrapperIZN2at6native12_GLOBAL__N_124unique_dim_cuda_templateIfEESt5tupleIJNSF_6TensorESK_SK_EERKSK_lbbbEUlllE0_EEPmJS9_EEE10hipError_tPvRmT3_T4_T5_T6_T7_T9_mT8_P12ihipStream_tbDpT10_ENKUlT_T0_E_clISt17integral_constantIbLb1EES1A_EEDaS15_S16_EUlS15_E_NS1_11comp_targetILNS1_3genE10ELNS1_11target_archE1200ELNS1_3gpuE4ELNS1_3repE0EEENS1_30default_config_static_selectorELNS0_4arch9wavefront6targetE1EEEvT1_, .Lfunc_end981-_ZN7rocprim17ROCPRIM_400000_NS6detail17trampoline_kernelINS0_14default_configENS1_25partition_config_selectorILNS1_17partition_subalgoE9EllbEEZZNS1_14partition_implILS5_9ELb0ES3_jPlS8_PNS0_10empty_typeENS0_5tupleIJS8_S9_EEENSB_IJS8_SA_EEENS0_18inequality_wrapperIZN2at6native12_GLOBAL__N_124unique_dim_cuda_templateIfEESt5tupleIJNSF_6TensorESK_SK_EERKSK_lbbbEUlllE0_EEPmJS9_EEE10hipError_tPvRmT3_T4_T5_T6_T7_T9_mT8_P12ihipStream_tbDpT10_ENKUlT_T0_E_clISt17integral_constantIbLb1EES1A_EEDaS15_S16_EUlS15_E_NS1_11comp_targetILNS1_3genE10ELNS1_11target_archE1200ELNS1_3gpuE4ELNS1_3repE0EEENS1_30default_config_static_selectorELNS0_4arch9wavefront6targetE1EEEvT1_
                                        ; -- End function
	.section	.AMDGPU.csdata,"",@progbits
; Kernel info:
; codeLenInByte = 0
; NumSgprs: 6
; NumVgprs: 0
; NumAgprs: 0
; TotalNumVgprs: 0
; ScratchSize: 0
; MemoryBound: 0
; FloatMode: 240
; IeeeMode: 1
; LDSByteSize: 0 bytes/workgroup (compile time only)
; SGPRBlocks: 0
; VGPRBlocks: 0
; NumSGPRsForWavesPerEU: 6
; NumVGPRsForWavesPerEU: 1
; AccumOffset: 4
; Occupancy: 8
; WaveLimiterHint : 0
; COMPUTE_PGM_RSRC2:SCRATCH_EN: 0
; COMPUTE_PGM_RSRC2:USER_SGPR: 2
; COMPUTE_PGM_RSRC2:TRAP_HANDLER: 0
; COMPUTE_PGM_RSRC2:TGID_X_EN: 1
; COMPUTE_PGM_RSRC2:TGID_Y_EN: 0
; COMPUTE_PGM_RSRC2:TGID_Z_EN: 0
; COMPUTE_PGM_RSRC2:TIDIG_COMP_CNT: 0
; COMPUTE_PGM_RSRC3_GFX90A:ACCUM_OFFSET: 0
; COMPUTE_PGM_RSRC3_GFX90A:TG_SPLIT: 0
	.section	.text._ZN7rocprim17ROCPRIM_400000_NS6detail17trampoline_kernelINS0_14default_configENS1_25partition_config_selectorILNS1_17partition_subalgoE9EllbEEZZNS1_14partition_implILS5_9ELb0ES3_jPlS8_PNS0_10empty_typeENS0_5tupleIJS8_S9_EEENSB_IJS8_SA_EEENS0_18inequality_wrapperIZN2at6native12_GLOBAL__N_124unique_dim_cuda_templateIfEESt5tupleIJNSF_6TensorESK_SK_EERKSK_lbbbEUlllE0_EEPmJS9_EEE10hipError_tPvRmT3_T4_T5_T6_T7_T9_mT8_P12ihipStream_tbDpT10_ENKUlT_T0_E_clISt17integral_constantIbLb1EES1A_EEDaS15_S16_EUlS15_E_NS1_11comp_targetILNS1_3genE9ELNS1_11target_archE1100ELNS1_3gpuE3ELNS1_3repE0EEENS1_30default_config_static_selectorELNS0_4arch9wavefront6targetE1EEEvT1_,"axG",@progbits,_ZN7rocprim17ROCPRIM_400000_NS6detail17trampoline_kernelINS0_14default_configENS1_25partition_config_selectorILNS1_17partition_subalgoE9EllbEEZZNS1_14partition_implILS5_9ELb0ES3_jPlS8_PNS0_10empty_typeENS0_5tupleIJS8_S9_EEENSB_IJS8_SA_EEENS0_18inequality_wrapperIZN2at6native12_GLOBAL__N_124unique_dim_cuda_templateIfEESt5tupleIJNSF_6TensorESK_SK_EERKSK_lbbbEUlllE0_EEPmJS9_EEE10hipError_tPvRmT3_T4_T5_T6_T7_T9_mT8_P12ihipStream_tbDpT10_ENKUlT_T0_E_clISt17integral_constantIbLb1EES1A_EEDaS15_S16_EUlS15_E_NS1_11comp_targetILNS1_3genE9ELNS1_11target_archE1100ELNS1_3gpuE3ELNS1_3repE0EEENS1_30default_config_static_selectorELNS0_4arch9wavefront6targetE1EEEvT1_,comdat
	.globl	_ZN7rocprim17ROCPRIM_400000_NS6detail17trampoline_kernelINS0_14default_configENS1_25partition_config_selectorILNS1_17partition_subalgoE9EllbEEZZNS1_14partition_implILS5_9ELb0ES3_jPlS8_PNS0_10empty_typeENS0_5tupleIJS8_S9_EEENSB_IJS8_SA_EEENS0_18inequality_wrapperIZN2at6native12_GLOBAL__N_124unique_dim_cuda_templateIfEESt5tupleIJNSF_6TensorESK_SK_EERKSK_lbbbEUlllE0_EEPmJS9_EEE10hipError_tPvRmT3_T4_T5_T6_T7_T9_mT8_P12ihipStream_tbDpT10_ENKUlT_T0_E_clISt17integral_constantIbLb1EES1A_EEDaS15_S16_EUlS15_E_NS1_11comp_targetILNS1_3genE9ELNS1_11target_archE1100ELNS1_3gpuE3ELNS1_3repE0EEENS1_30default_config_static_selectorELNS0_4arch9wavefront6targetE1EEEvT1_ ; -- Begin function _ZN7rocprim17ROCPRIM_400000_NS6detail17trampoline_kernelINS0_14default_configENS1_25partition_config_selectorILNS1_17partition_subalgoE9EllbEEZZNS1_14partition_implILS5_9ELb0ES3_jPlS8_PNS0_10empty_typeENS0_5tupleIJS8_S9_EEENSB_IJS8_SA_EEENS0_18inequality_wrapperIZN2at6native12_GLOBAL__N_124unique_dim_cuda_templateIfEESt5tupleIJNSF_6TensorESK_SK_EERKSK_lbbbEUlllE0_EEPmJS9_EEE10hipError_tPvRmT3_T4_T5_T6_T7_T9_mT8_P12ihipStream_tbDpT10_ENKUlT_T0_E_clISt17integral_constantIbLb1EES1A_EEDaS15_S16_EUlS15_E_NS1_11comp_targetILNS1_3genE9ELNS1_11target_archE1100ELNS1_3gpuE3ELNS1_3repE0EEENS1_30default_config_static_selectorELNS0_4arch9wavefront6targetE1EEEvT1_
	.p2align	8
	.type	_ZN7rocprim17ROCPRIM_400000_NS6detail17trampoline_kernelINS0_14default_configENS1_25partition_config_selectorILNS1_17partition_subalgoE9EllbEEZZNS1_14partition_implILS5_9ELb0ES3_jPlS8_PNS0_10empty_typeENS0_5tupleIJS8_S9_EEENSB_IJS8_SA_EEENS0_18inequality_wrapperIZN2at6native12_GLOBAL__N_124unique_dim_cuda_templateIfEESt5tupleIJNSF_6TensorESK_SK_EERKSK_lbbbEUlllE0_EEPmJS9_EEE10hipError_tPvRmT3_T4_T5_T6_T7_T9_mT8_P12ihipStream_tbDpT10_ENKUlT_T0_E_clISt17integral_constantIbLb1EES1A_EEDaS15_S16_EUlS15_E_NS1_11comp_targetILNS1_3genE9ELNS1_11target_archE1100ELNS1_3gpuE3ELNS1_3repE0EEENS1_30default_config_static_selectorELNS0_4arch9wavefront6targetE1EEEvT1_,@function
_ZN7rocprim17ROCPRIM_400000_NS6detail17trampoline_kernelINS0_14default_configENS1_25partition_config_selectorILNS1_17partition_subalgoE9EllbEEZZNS1_14partition_implILS5_9ELb0ES3_jPlS8_PNS0_10empty_typeENS0_5tupleIJS8_S9_EEENSB_IJS8_SA_EEENS0_18inequality_wrapperIZN2at6native12_GLOBAL__N_124unique_dim_cuda_templateIfEESt5tupleIJNSF_6TensorESK_SK_EERKSK_lbbbEUlllE0_EEPmJS9_EEE10hipError_tPvRmT3_T4_T5_T6_T7_T9_mT8_P12ihipStream_tbDpT10_ENKUlT_T0_E_clISt17integral_constantIbLb1EES1A_EEDaS15_S16_EUlS15_E_NS1_11comp_targetILNS1_3genE9ELNS1_11target_archE1100ELNS1_3gpuE3ELNS1_3repE0EEENS1_30default_config_static_selectorELNS0_4arch9wavefront6targetE1EEEvT1_: ; @_ZN7rocprim17ROCPRIM_400000_NS6detail17trampoline_kernelINS0_14default_configENS1_25partition_config_selectorILNS1_17partition_subalgoE9EllbEEZZNS1_14partition_implILS5_9ELb0ES3_jPlS8_PNS0_10empty_typeENS0_5tupleIJS8_S9_EEENSB_IJS8_SA_EEENS0_18inequality_wrapperIZN2at6native12_GLOBAL__N_124unique_dim_cuda_templateIfEESt5tupleIJNSF_6TensorESK_SK_EERKSK_lbbbEUlllE0_EEPmJS9_EEE10hipError_tPvRmT3_T4_T5_T6_T7_T9_mT8_P12ihipStream_tbDpT10_ENKUlT_T0_E_clISt17integral_constantIbLb1EES1A_EEDaS15_S16_EUlS15_E_NS1_11comp_targetILNS1_3genE9ELNS1_11target_archE1100ELNS1_3gpuE3ELNS1_3repE0EEENS1_30default_config_static_selectorELNS0_4arch9wavefront6targetE1EEEvT1_
; %bb.0:
	.section	.rodata,"a",@progbits
	.p2align	6, 0x0
	.amdhsa_kernel _ZN7rocprim17ROCPRIM_400000_NS6detail17trampoline_kernelINS0_14default_configENS1_25partition_config_selectorILNS1_17partition_subalgoE9EllbEEZZNS1_14partition_implILS5_9ELb0ES3_jPlS8_PNS0_10empty_typeENS0_5tupleIJS8_S9_EEENSB_IJS8_SA_EEENS0_18inequality_wrapperIZN2at6native12_GLOBAL__N_124unique_dim_cuda_templateIfEESt5tupleIJNSF_6TensorESK_SK_EERKSK_lbbbEUlllE0_EEPmJS9_EEE10hipError_tPvRmT3_T4_T5_T6_T7_T9_mT8_P12ihipStream_tbDpT10_ENKUlT_T0_E_clISt17integral_constantIbLb1EES1A_EEDaS15_S16_EUlS15_E_NS1_11comp_targetILNS1_3genE9ELNS1_11target_archE1100ELNS1_3gpuE3ELNS1_3repE0EEENS1_30default_config_static_selectorELNS0_4arch9wavefront6targetE1EEEvT1_
		.amdhsa_group_segment_fixed_size 0
		.amdhsa_private_segment_fixed_size 0
		.amdhsa_kernarg_size 136
		.amdhsa_user_sgpr_count 2
		.amdhsa_user_sgpr_dispatch_ptr 0
		.amdhsa_user_sgpr_queue_ptr 0
		.amdhsa_user_sgpr_kernarg_segment_ptr 1
		.amdhsa_user_sgpr_dispatch_id 0
		.amdhsa_user_sgpr_kernarg_preload_length 0
		.amdhsa_user_sgpr_kernarg_preload_offset 0
		.amdhsa_user_sgpr_private_segment_size 0
		.amdhsa_uses_dynamic_stack 0
		.amdhsa_enable_private_segment 0
		.amdhsa_system_sgpr_workgroup_id_x 1
		.amdhsa_system_sgpr_workgroup_id_y 0
		.amdhsa_system_sgpr_workgroup_id_z 0
		.amdhsa_system_sgpr_workgroup_info 0
		.amdhsa_system_vgpr_workitem_id 0
		.amdhsa_next_free_vgpr 1
		.amdhsa_next_free_sgpr 0
		.amdhsa_accum_offset 4
		.amdhsa_reserve_vcc 0
		.amdhsa_float_round_mode_32 0
		.amdhsa_float_round_mode_16_64 0
		.amdhsa_float_denorm_mode_32 3
		.amdhsa_float_denorm_mode_16_64 3
		.amdhsa_dx10_clamp 1
		.amdhsa_ieee_mode 1
		.amdhsa_fp16_overflow 0
		.amdhsa_tg_split 0
		.amdhsa_exception_fp_ieee_invalid_op 0
		.amdhsa_exception_fp_denorm_src 0
		.amdhsa_exception_fp_ieee_div_zero 0
		.amdhsa_exception_fp_ieee_overflow 0
		.amdhsa_exception_fp_ieee_underflow 0
		.amdhsa_exception_fp_ieee_inexact 0
		.amdhsa_exception_int_div_zero 0
	.end_amdhsa_kernel
	.section	.text._ZN7rocprim17ROCPRIM_400000_NS6detail17trampoline_kernelINS0_14default_configENS1_25partition_config_selectorILNS1_17partition_subalgoE9EllbEEZZNS1_14partition_implILS5_9ELb0ES3_jPlS8_PNS0_10empty_typeENS0_5tupleIJS8_S9_EEENSB_IJS8_SA_EEENS0_18inequality_wrapperIZN2at6native12_GLOBAL__N_124unique_dim_cuda_templateIfEESt5tupleIJNSF_6TensorESK_SK_EERKSK_lbbbEUlllE0_EEPmJS9_EEE10hipError_tPvRmT3_T4_T5_T6_T7_T9_mT8_P12ihipStream_tbDpT10_ENKUlT_T0_E_clISt17integral_constantIbLb1EES1A_EEDaS15_S16_EUlS15_E_NS1_11comp_targetILNS1_3genE9ELNS1_11target_archE1100ELNS1_3gpuE3ELNS1_3repE0EEENS1_30default_config_static_selectorELNS0_4arch9wavefront6targetE1EEEvT1_,"axG",@progbits,_ZN7rocprim17ROCPRIM_400000_NS6detail17trampoline_kernelINS0_14default_configENS1_25partition_config_selectorILNS1_17partition_subalgoE9EllbEEZZNS1_14partition_implILS5_9ELb0ES3_jPlS8_PNS0_10empty_typeENS0_5tupleIJS8_S9_EEENSB_IJS8_SA_EEENS0_18inequality_wrapperIZN2at6native12_GLOBAL__N_124unique_dim_cuda_templateIfEESt5tupleIJNSF_6TensorESK_SK_EERKSK_lbbbEUlllE0_EEPmJS9_EEE10hipError_tPvRmT3_T4_T5_T6_T7_T9_mT8_P12ihipStream_tbDpT10_ENKUlT_T0_E_clISt17integral_constantIbLb1EES1A_EEDaS15_S16_EUlS15_E_NS1_11comp_targetILNS1_3genE9ELNS1_11target_archE1100ELNS1_3gpuE3ELNS1_3repE0EEENS1_30default_config_static_selectorELNS0_4arch9wavefront6targetE1EEEvT1_,comdat
.Lfunc_end982:
	.size	_ZN7rocprim17ROCPRIM_400000_NS6detail17trampoline_kernelINS0_14default_configENS1_25partition_config_selectorILNS1_17partition_subalgoE9EllbEEZZNS1_14partition_implILS5_9ELb0ES3_jPlS8_PNS0_10empty_typeENS0_5tupleIJS8_S9_EEENSB_IJS8_SA_EEENS0_18inequality_wrapperIZN2at6native12_GLOBAL__N_124unique_dim_cuda_templateIfEESt5tupleIJNSF_6TensorESK_SK_EERKSK_lbbbEUlllE0_EEPmJS9_EEE10hipError_tPvRmT3_T4_T5_T6_T7_T9_mT8_P12ihipStream_tbDpT10_ENKUlT_T0_E_clISt17integral_constantIbLb1EES1A_EEDaS15_S16_EUlS15_E_NS1_11comp_targetILNS1_3genE9ELNS1_11target_archE1100ELNS1_3gpuE3ELNS1_3repE0EEENS1_30default_config_static_selectorELNS0_4arch9wavefront6targetE1EEEvT1_, .Lfunc_end982-_ZN7rocprim17ROCPRIM_400000_NS6detail17trampoline_kernelINS0_14default_configENS1_25partition_config_selectorILNS1_17partition_subalgoE9EllbEEZZNS1_14partition_implILS5_9ELb0ES3_jPlS8_PNS0_10empty_typeENS0_5tupleIJS8_S9_EEENSB_IJS8_SA_EEENS0_18inequality_wrapperIZN2at6native12_GLOBAL__N_124unique_dim_cuda_templateIfEESt5tupleIJNSF_6TensorESK_SK_EERKSK_lbbbEUlllE0_EEPmJS9_EEE10hipError_tPvRmT3_T4_T5_T6_T7_T9_mT8_P12ihipStream_tbDpT10_ENKUlT_T0_E_clISt17integral_constantIbLb1EES1A_EEDaS15_S16_EUlS15_E_NS1_11comp_targetILNS1_3genE9ELNS1_11target_archE1100ELNS1_3gpuE3ELNS1_3repE0EEENS1_30default_config_static_selectorELNS0_4arch9wavefront6targetE1EEEvT1_
                                        ; -- End function
	.section	.AMDGPU.csdata,"",@progbits
; Kernel info:
; codeLenInByte = 0
; NumSgprs: 6
; NumVgprs: 0
; NumAgprs: 0
; TotalNumVgprs: 0
; ScratchSize: 0
; MemoryBound: 0
; FloatMode: 240
; IeeeMode: 1
; LDSByteSize: 0 bytes/workgroup (compile time only)
; SGPRBlocks: 0
; VGPRBlocks: 0
; NumSGPRsForWavesPerEU: 6
; NumVGPRsForWavesPerEU: 1
; AccumOffset: 4
; Occupancy: 8
; WaveLimiterHint : 0
; COMPUTE_PGM_RSRC2:SCRATCH_EN: 0
; COMPUTE_PGM_RSRC2:USER_SGPR: 2
; COMPUTE_PGM_RSRC2:TRAP_HANDLER: 0
; COMPUTE_PGM_RSRC2:TGID_X_EN: 1
; COMPUTE_PGM_RSRC2:TGID_Y_EN: 0
; COMPUTE_PGM_RSRC2:TGID_Z_EN: 0
; COMPUTE_PGM_RSRC2:TIDIG_COMP_CNT: 0
; COMPUTE_PGM_RSRC3_GFX90A:ACCUM_OFFSET: 0
; COMPUTE_PGM_RSRC3_GFX90A:TG_SPLIT: 0
	.section	.text._ZN7rocprim17ROCPRIM_400000_NS6detail17trampoline_kernelINS0_14default_configENS1_25partition_config_selectorILNS1_17partition_subalgoE9EllbEEZZNS1_14partition_implILS5_9ELb0ES3_jPlS8_PNS0_10empty_typeENS0_5tupleIJS8_S9_EEENSB_IJS8_SA_EEENS0_18inequality_wrapperIZN2at6native12_GLOBAL__N_124unique_dim_cuda_templateIfEESt5tupleIJNSF_6TensorESK_SK_EERKSK_lbbbEUlllE0_EEPmJS9_EEE10hipError_tPvRmT3_T4_T5_T6_T7_T9_mT8_P12ihipStream_tbDpT10_ENKUlT_T0_E_clISt17integral_constantIbLb1EES1A_EEDaS15_S16_EUlS15_E_NS1_11comp_targetILNS1_3genE8ELNS1_11target_archE1030ELNS1_3gpuE2ELNS1_3repE0EEENS1_30default_config_static_selectorELNS0_4arch9wavefront6targetE1EEEvT1_,"axG",@progbits,_ZN7rocprim17ROCPRIM_400000_NS6detail17trampoline_kernelINS0_14default_configENS1_25partition_config_selectorILNS1_17partition_subalgoE9EllbEEZZNS1_14partition_implILS5_9ELb0ES3_jPlS8_PNS0_10empty_typeENS0_5tupleIJS8_S9_EEENSB_IJS8_SA_EEENS0_18inequality_wrapperIZN2at6native12_GLOBAL__N_124unique_dim_cuda_templateIfEESt5tupleIJNSF_6TensorESK_SK_EERKSK_lbbbEUlllE0_EEPmJS9_EEE10hipError_tPvRmT3_T4_T5_T6_T7_T9_mT8_P12ihipStream_tbDpT10_ENKUlT_T0_E_clISt17integral_constantIbLb1EES1A_EEDaS15_S16_EUlS15_E_NS1_11comp_targetILNS1_3genE8ELNS1_11target_archE1030ELNS1_3gpuE2ELNS1_3repE0EEENS1_30default_config_static_selectorELNS0_4arch9wavefront6targetE1EEEvT1_,comdat
	.globl	_ZN7rocprim17ROCPRIM_400000_NS6detail17trampoline_kernelINS0_14default_configENS1_25partition_config_selectorILNS1_17partition_subalgoE9EllbEEZZNS1_14partition_implILS5_9ELb0ES3_jPlS8_PNS0_10empty_typeENS0_5tupleIJS8_S9_EEENSB_IJS8_SA_EEENS0_18inequality_wrapperIZN2at6native12_GLOBAL__N_124unique_dim_cuda_templateIfEESt5tupleIJNSF_6TensorESK_SK_EERKSK_lbbbEUlllE0_EEPmJS9_EEE10hipError_tPvRmT3_T4_T5_T6_T7_T9_mT8_P12ihipStream_tbDpT10_ENKUlT_T0_E_clISt17integral_constantIbLb1EES1A_EEDaS15_S16_EUlS15_E_NS1_11comp_targetILNS1_3genE8ELNS1_11target_archE1030ELNS1_3gpuE2ELNS1_3repE0EEENS1_30default_config_static_selectorELNS0_4arch9wavefront6targetE1EEEvT1_ ; -- Begin function _ZN7rocprim17ROCPRIM_400000_NS6detail17trampoline_kernelINS0_14default_configENS1_25partition_config_selectorILNS1_17partition_subalgoE9EllbEEZZNS1_14partition_implILS5_9ELb0ES3_jPlS8_PNS0_10empty_typeENS0_5tupleIJS8_S9_EEENSB_IJS8_SA_EEENS0_18inequality_wrapperIZN2at6native12_GLOBAL__N_124unique_dim_cuda_templateIfEESt5tupleIJNSF_6TensorESK_SK_EERKSK_lbbbEUlllE0_EEPmJS9_EEE10hipError_tPvRmT3_T4_T5_T6_T7_T9_mT8_P12ihipStream_tbDpT10_ENKUlT_T0_E_clISt17integral_constantIbLb1EES1A_EEDaS15_S16_EUlS15_E_NS1_11comp_targetILNS1_3genE8ELNS1_11target_archE1030ELNS1_3gpuE2ELNS1_3repE0EEENS1_30default_config_static_selectorELNS0_4arch9wavefront6targetE1EEEvT1_
	.p2align	8
	.type	_ZN7rocprim17ROCPRIM_400000_NS6detail17trampoline_kernelINS0_14default_configENS1_25partition_config_selectorILNS1_17partition_subalgoE9EllbEEZZNS1_14partition_implILS5_9ELb0ES3_jPlS8_PNS0_10empty_typeENS0_5tupleIJS8_S9_EEENSB_IJS8_SA_EEENS0_18inequality_wrapperIZN2at6native12_GLOBAL__N_124unique_dim_cuda_templateIfEESt5tupleIJNSF_6TensorESK_SK_EERKSK_lbbbEUlllE0_EEPmJS9_EEE10hipError_tPvRmT3_T4_T5_T6_T7_T9_mT8_P12ihipStream_tbDpT10_ENKUlT_T0_E_clISt17integral_constantIbLb1EES1A_EEDaS15_S16_EUlS15_E_NS1_11comp_targetILNS1_3genE8ELNS1_11target_archE1030ELNS1_3gpuE2ELNS1_3repE0EEENS1_30default_config_static_selectorELNS0_4arch9wavefront6targetE1EEEvT1_,@function
_ZN7rocprim17ROCPRIM_400000_NS6detail17trampoline_kernelINS0_14default_configENS1_25partition_config_selectorILNS1_17partition_subalgoE9EllbEEZZNS1_14partition_implILS5_9ELb0ES3_jPlS8_PNS0_10empty_typeENS0_5tupleIJS8_S9_EEENSB_IJS8_SA_EEENS0_18inequality_wrapperIZN2at6native12_GLOBAL__N_124unique_dim_cuda_templateIfEESt5tupleIJNSF_6TensorESK_SK_EERKSK_lbbbEUlllE0_EEPmJS9_EEE10hipError_tPvRmT3_T4_T5_T6_T7_T9_mT8_P12ihipStream_tbDpT10_ENKUlT_T0_E_clISt17integral_constantIbLb1EES1A_EEDaS15_S16_EUlS15_E_NS1_11comp_targetILNS1_3genE8ELNS1_11target_archE1030ELNS1_3gpuE2ELNS1_3repE0EEENS1_30default_config_static_selectorELNS0_4arch9wavefront6targetE1EEEvT1_: ; @_ZN7rocprim17ROCPRIM_400000_NS6detail17trampoline_kernelINS0_14default_configENS1_25partition_config_selectorILNS1_17partition_subalgoE9EllbEEZZNS1_14partition_implILS5_9ELb0ES3_jPlS8_PNS0_10empty_typeENS0_5tupleIJS8_S9_EEENSB_IJS8_SA_EEENS0_18inequality_wrapperIZN2at6native12_GLOBAL__N_124unique_dim_cuda_templateIfEESt5tupleIJNSF_6TensorESK_SK_EERKSK_lbbbEUlllE0_EEPmJS9_EEE10hipError_tPvRmT3_T4_T5_T6_T7_T9_mT8_P12ihipStream_tbDpT10_ENKUlT_T0_E_clISt17integral_constantIbLb1EES1A_EEDaS15_S16_EUlS15_E_NS1_11comp_targetILNS1_3genE8ELNS1_11target_archE1030ELNS1_3gpuE2ELNS1_3repE0EEENS1_30default_config_static_selectorELNS0_4arch9wavefront6targetE1EEEvT1_
; %bb.0:
	.section	.rodata,"a",@progbits
	.p2align	6, 0x0
	.amdhsa_kernel _ZN7rocprim17ROCPRIM_400000_NS6detail17trampoline_kernelINS0_14default_configENS1_25partition_config_selectorILNS1_17partition_subalgoE9EllbEEZZNS1_14partition_implILS5_9ELb0ES3_jPlS8_PNS0_10empty_typeENS0_5tupleIJS8_S9_EEENSB_IJS8_SA_EEENS0_18inequality_wrapperIZN2at6native12_GLOBAL__N_124unique_dim_cuda_templateIfEESt5tupleIJNSF_6TensorESK_SK_EERKSK_lbbbEUlllE0_EEPmJS9_EEE10hipError_tPvRmT3_T4_T5_T6_T7_T9_mT8_P12ihipStream_tbDpT10_ENKUlT_T0_E_clISt17integral_constantIbLb1EES1A_EEDaS15_S16_EUlS15_E_NS1_11comp_targetILNS1_3genE8ELNS1_11target_archE1030ELNS1_3gpuE2ELNS1_3repE0EEENS1_30default_config_static_selectorELNS0_4arch9wavefront6targetE1EEEvT1_
		.amdhsa_group_segment_fixed_size 0
		.amdhsa_private_segment_fixed_size 0
		.amdhsa_kernarg_size 136
		.amdhsa_user_sgpr_count 2
		.amdhsa_user_sgpr_dispatch_ptr 0
		.amdhsa_user_sgpr_queue_ptr 0
		.amdhsa_user_sgpr_kernarg_segment_ptr 1
		.amdhsa_user_sgpr_dispatch_id 0
		.amdhsa_user_sgpr_kernarg_preload_length 0
		.amdhsa_user_sgpr_kernarg_preload_offset 0
		.amdhsa_user_sgpr_private_segment_size 0
		.amdhsa_uses_dynamic_stack 0
		.amdhsa_enable_private_segment 0
		.amdhsa_system_sgpr_workgroup_id_x 1
		.amdhsa_system_sgpr_workgroup_id_y 0
		.amdhsa_system_sgpr_workgroup_id_z 0
		.amdhsa_system_sgpr_workgroup_info 0
		.amdhsa_system_vgpr_workitem_id 0
		.amdhsa_next_free_vgpr 1
		.amdhsa_next_free_sgpr 0
		.amdhsa_accum_offset 4
		.amdhsa_reserve_vcc 0
		.amdhsa_float_round_mode_32 0
		.amdhsa_float_round_mode_16_64 0
		.amdhsa_float_denorm_mode_32 3
		.amdhsa_float_denorm_mode_16_64 3
		.amdhsa_dx10_clamp 1
		.amdhsa_ieee_mode 1
		.amdhsa_fp16_overflow 0
		.amdhsa_tg_split 0
		.amdhsa_exception_fp_ieee_invalid_op 0
		.amdhsa_exception_fp_denorm_src 0
		.amdhsa_exception_fp_ieee_div_zero 0
		.amdhsa_exception_fp_ieee_overflow 0
		.amdhsa_exception_fp_ieee_underflow 0
		.amdhsa_exception_fp_ieee_inexact 0
		.amdhsa_exception_int_div_zero 0
	.end_amdhsa_kernel
	.section	.text._ZN7rocprim17ROCPRIM_400000_NS6detail17trampoline_kernelINS0_14default_configENS1_25partition_config_selectorILNS1_17partition_subalgoE9EllbEEZZNS1_14partition_implILS5_9ELb0ES3_jPlS8_PNS0_10empty_typeENS0_5tupleIJS8_S9_EEENSB_IJS8_SA_EEENS0_18inequality_wrapperIZN2at6native12_GLOBAL__N_124unique_dim_cuda_templateIfEESt5tupleIJNSF_6TensorESK_SK_EERKSK_lbbbEUlllE0_EEPmJS9_EEE10hipError_tPvRmT3_T4_T5_T6_T7_T9_mT8_P12ihipStream_tbDpT10_ENKUlT_T0_E_clISt17integral_constantIbLb1EES1A_EEDaS15_S16_EUlS15_E_NS1_11comp_targetILNS1_3genE8ELNS1_11target_archE1030ELNS1_3gpuE2ELNS1_3repE0EEENS1_30default_config_static_selectorELNS0_4arch9wavefront6targetE1EEEvT1_,"axG",@progbits,_ZN7rocprim17ROCPRIM_400000_NS6detail17trampoline_kernelINS0_14default_configENS1_25partition_config_selectorILNS1_17partition_subalgoE9EllbEEZZNS1_14partition_implILS5_9ELb0ES3_jPlS8_PNS0_10empty_typeENS0_5tupleIJS8_S9_EEENSB_IJS8_SA_EEENS0_18inequality_wrapperIZN2at6native12_GLOBAL__N_124unique_dim_cuda_templateIfEESt5tupleIJNSF_6TensorESK_SK_EERKSK_lbbbEUlllE0_EEPmJS9_EEE10hipError_tPvRmT3_T4_T5_T6_T7_T9_mT8_P12ihipStream_tbDpT10_ENKUlT_T0_E_clISt17integral_constantIbLb1EES1A_EEDaS15_S16_EUlS15_E_NS1_11comp_targetILNS1_3genE8ELNS1_11target_archE1030ELNS1_3gpuE2ELNS1_3repE0EEENS1_30default_config_static_selectorELNS0_4arch9wavefront6targetE1EEEvT1_,comdat
.Lfunc_end983:
	.size	_ZN7rocprim17ROCPRIM_400000_NS6detail17trampoline_kernelINS0_14default_configENS1_25partition_config_selectorILNS1_17partition_subalgoE9EllbEEZZNS1_14partition_implILS5_9ELb0ES3_jPlS8_PNS0_10empty_typeENS0_5tupleIJS8_S9_EEENSB_IJS8_SA_EEENS0_18inequality_wrapperIZN2at6native12_GLOBAL__N_124unique_dim_cuda_templateIfEESt5tupleIJNSF_6TensorESK_SK_EERKSK_lbbbEUlllE0_EEPmJS9_EEE10hipError_tPvRmT3_T4_T5_T6_T7_T9_mT8_P12ihipStream_tbDpT10_ENKUlT_T0_E_clISt17integral_constantIbLb1EES1A_EEDaS15_S16_EUlS15_E_NS1_11comp_targetILNS1_3genE8ELNS1_11target_archE1030ELNS1_3gpuE2ELNS1_3repE0EEENS1_30default_config_static_selectorELNS0_4arch9wavefront6targetE1EEEvT1_, .Lfunc_end983-_ZN7rocprim17ROCPRIM_400000_NS6detail17trampoline_kernelINS0_14default_configENS1_25partition_config_selectorILNS1_17partition_subalgoE9EllbEEZZNS1_14partition_implILS5_9ELb0ES3_jPlS8_PNS0_10empty_typeENS0_5tupleIJS8_S9_EEENSB_IJS8_SA_EEENS0_18inequality_wrapperIZN2at6native12_GLOBAL__N_124unique_dim_cuda_templateIfEESt5tupleIJNSF_6TensorESK_SK_EERKSK_lbbbEUlllE0_EEPmJS9_EEE10hipError_tPvRmT3_T4_T5_T6_T7_T9_mT8_P12ihipStream_tbDpT10_ENKUlT_T0_E_clISt17integral_constantIbLb1EES1A_EEDaS15_S16_EUlS15_E_NS1_11comp_targetILNS1_3genE8ELNS1_11target_archE1030ELNS1_3gpuE2ELNS1_3repE0EEENS1_30default_config_static_selectorELNS0_4arch9wavefront6targetE1EEEvT1_
                                        ; -- End function
	.section	.AMDGPU.csdata,"",@progbits
; Kernel info:
; codeLenInByte = 0
; NumSgprs: 6
; NumVgprs: 0
; NumAgprs: 0
; TotalNumVgprs: 0
; ScratchSize: 0
; MemoryBound: 0
; FloatMode: 240
; IeeeMode: 1
; LDSByteSize: 0 bytes/workgroup (compile time only)
; SGPRBlocks: 0
; VGPRBlocks: 0
; NumSGPRsForWavesPerEU: 6
; NumVGPRsForWavesPerEU: 1
; AccumOffset: 4
; Occupancy: 8
; WaveLimiterHint : 0
; COMPUTE_PGM_RSRC2:SCRATCH_EN: 0
; COMPUTE_PGM_RSRC2:USER_SGPR: 2
; COMPUTE_PGM_RSRC2:TRAP_HANDLER: 0
; COMPUTE_PGM_RSRC2:TGID_X_EN: 1
; COMPUTE_PGM_RSRC2:TGID_Y_EN: 0
; COMPUTE_PGM_RSRC2:TGID_Z_EN: 0
; COMPUTE_PGM_RSRC2:TIDIG_COMP_CNT: 0
; COMPUTE_PGM_RSRC3_GFX90A:ACCUM_OFFSET: 0
; COMPUTE_PGM_RSRC3_GFX90A:TG_SPLIT: 0
	.section	.text._ZN7rocprim17ROCPRIM_400000_NS6detail17trampoline_kernelINS0_14default_configENS1_25partition_config_selectorILNS1_17partition_subalgoE9EllbEEZZNS1_14partition_implILS5_9ELb0ES3_jPlS8_PNS0_10empty_typeENS0_5tupleIJS8_S9_EEENSB_IJS8_SA_EEENS0_18inequality_wrapperIZN2at6native12_GLOBAL__N_124unique_dim_cuda_templateIfEESt5tupleIJNSF_6TensorESK_SK_EERKSK_lbbbEUlllE0_EEPmJS9_EEE10hipError_tPvRmT3_T4_T5_T6_T7_T9_mT8_P12ihipStream_tbDpT10_ENKUlT_T0_E_clISt17integral_constantIbLb1EES19_IbLb0EEEEDaS15_S16_EUlS15_E_NS1_11comp_targetILNS1_3genE0ELNS1_11target_archE4294967295ELNS1_3gpuE0ELNS1_3repE0EEENS1_30default_config_static_selectorELNS0_4arch9wavefront6targetE1EEEvT1_,"axG",@progbits,_ZN7rocprim17ROCPRIM_400000_NS6detail17trampoline_kernelINS0_14default_configENS1_25partition_config_selectorILNS1_17partition_subalgoE9EllbEEZZNS1_14partition_implILS5_9ELb0ES3_jPlS8_PNS0_10empty_typeENS0_5tupleIJS8_S9_EEENSB_IJS8_SA_EEENS0_18inequality_wrapperIZN2at6native12_GLOBAL__N_124unique_dim_cuda_templateIfEESt5tupleIJNSF_6TensorESK_SK_EERKSK_lbbbEUlllE0_EEPmJS9_EEE10hipError_tPvRmT3_T4_T5_T6_T7_T9_mT8_P12ihipStream_tbDpT10_ENKUlT_T0_E_clISt17integral_constantIbLb1EES19_IbLb0EEEEDaS15_S16_EUlS15_E_NS1_11comp_targetILNS1_3genE0ELNS1_11target_archE4294967295ELNS1_3gpuE0ELNS1_3repE0EEENS1_30default_config_static_selectorELNS0_4arch9wavefront6targetE1EEEvT1_,comdat
	.globl	_ZN7rocprim17ROCPRIM_400000_NS6detail17trampoline_kernelINS0_14default_configENS1_25partition_config_selectorILNS1_17partition_subalgoE9EllbEEZZNS1_14partition_implILS5_9ELb0ES3_jPlS8_PNS0_10empty_typeENS0_5tupleIJS8_S9_EEENSB_IJS8_SA_EEENS0_18inequality_wrapperIZN2at6native12_GLOBAL__N_124unique_dim_cuda_templateIfEESt5tupleIJNSF_6TensorESK_SK_EERKSK_lbbbEUlllE0_EEPmJS9_EEE10hipError_tPvRmT3_T4_T5_T6_T7_T9_mT8_P12ihipStream_tbDpT10_ENKUlT_T0_E_clISt17integral_constantIbLb1EES19_IbLb0EEEEDaS15_S16_EUlS15_E_NS1_11comp_targetILNS1_3genE0ELNS1_11target_archE4294967295ELNS1_3gpuE0ELNS1_3repE0EEENS1_30default_config_static_selectorELNS0_4arch9wavefront6targetE1EEEvT1_ ; -- Begin function _ZN7rocprim17ROCPRIM_400000_NS6detail17trampoline_kernelINS0_14default_configENS1_25partition_config_selectorILNS1_17partition_subalgoE9EllbEEZZNS1_14partition_implILS5_9ELb0ES3_jPlS8_PNS0_10empty_typeENS0_5tupleIJS8_S9_EEENSB_IJS8_SA_EEENS0_18inequality_wrapperIZN2at6native12_GLOBAL__N_124unique_dim_cuda_templateIfEESt5tupleIJNSF_6TensorESK_SK_EERKSK_lbbbEUlllE0_EEPmJS9_EEE10hipError_tPvRmT3_T4_T5_T6_T7_T9_mT8_P12ihipStream_tbDpT10_ENKUlT_T0_E_clISt17integral_constantIbLb1EES19_IbLb0EEEEDaS15_S16_EUlS15_E_NS1_11comp_targetILNS1_3genE0ELNS1_11target_archE4294967295ELNS1_3gpuE0ELNS1_3repE0EEENS1_30default_config_static_selectorELNS0_4arch9wavefront6targetE1EEEvT1_
	.p2align	8
	.type	_ZN7rocprim17ROCPRIM_400000_NS6detail17trampoline_kernelINS0_14default_configENS1_25partition_config_selectorILNS1_17partition_subalgoE9EllbEEZZNS1_14partition_implILS5_9ELb0ES3_jPlS8_PNS0_10empty_typeENS0_5tupleIJS8_S9_EEENSB_IJS8_SA_EEENS0_18inequality_wrapperIZN2at6native12_GLOBAL__N_124unique_dim_cuda_templateIfEESt5tupleIJNSF_6TensorESK_SK_EERKSK_lbbbEUlllE0_EEPmJS9_EEE10hipError_tPvRmT3_T4_T5_T6_T7_T9_mT8_P12ihipStream_tbDpT10_ENKUlT_T0_E_clISt17integral_constantIbLb1EES19_IbLb0EEEEDaS15_S16_EUlS15_E_NS1_11comp_targetILNS1_3genE0ELNS1_11target_archE4294967295ELNS1_3gpuE0ELNS1_3repE0EEENS1_30default_config_static_selectorELNS0_4arch9wavefront6targetE1EEEvT1_,@function
_ZN7rocprim17ROCPRIM_400000_NS6detail17trampoline_kernelINS0_14default_configENS1_25partition_config_selectorILNS1_17partition_subalgoE9EllbEEZZNS1_14partition_implILS5_9ELb0ES3_jPlS8_PNS0_10empty_typeENS0_5tupleIJS8_S9_EEENSB_IJS8_SA_EEENS0_18inequality_wrapperIZN2at6native12_GLOBAL__N_124unique_dim_cuda_templateIfEESt5tupleIJNSF_6TensorESK_SK_EERKSK_lbbbEUlllE0_EEPmJS9_EEE10hipError_tPvRmT3_T4_T5_T6_T7_T9_mT8_P12ihipStream_tbDpT10_ENKUlT_T0_E_clISt17integral_constantIbLb1EES19_IbLb0EEEEDaS15_S16_EUlS15_E_NS1_11comp_targetILNS1_3genE0ELNS1_11target_archE4294967295ELNS1_3gpuE0ELNS1_3repE0EEENS1_30default_config_static_selectorELNS0_4arch9wavefront6targetE1EEEvT1_: ; @_ZN7rocprim17ROCPRIM_400000_NS6detail17trampoline_kernelINS0_14default_configENS1_25partition_config_selectorILNS1_17partition_subalgoE9EllbEEZZNS1_14partition_implILS5_9ELb0ES3_jPlS8_PNS0_10empty_typeENS0_5tupleIJS8_S9_EEENSB_IJS8_SA_EEENS0_18inequality_wrapperIZN2at6native12_GLOBAL__N_124unique_dim_cuda_templateIfEESt5tupleIJNSF_6TensorESK_SK_EERKSK_lbbbEUlllE0_EEPmJS9_EEE10hipError_tPvRmT3_T4_T5_T6_T7_T9_mT8_P12ihipStream_tbDpT10_ENKUlT_T0_E_clISt17integral_constantIbLb1EES19_IbLb0EEEEDaS15_S16_EUlS15_E_NS1_11comp_targetILNS1_3genE0ELNS1_11target_archE4294967295ELNS1_3gpuE0ELNS1_3repE0EEENS1_30default_config_static_selectorELNS0_4arch9wavefront6targetE1EEEvT1_
; %bb.0:
	.section	.rodata,"a",@progbits
	.p2align	6, 0x0
	.amdhsa_kernel _ZN7rocprim17ROCPRIM_400000_NS6detail17trampoline_kernelINS0_14default_configENS1_25partition_config_selectorILNS1_17partition_subalgoE9EllbEEZZNS1_14partition_implILS5_9ELb0ES3_jPlS8_PNS0_10empty_typeENS0_5tupleIJS8_S9_EEENSB_IJS8_SA_EEENS0_18inequality_wrapperIZN2at6native12_GLOBAL__N_124unique_dim_cuda_templateIfEESt5tupleIJNSF_6TensorESK_SK_EERKSK_lbbbEUlllE0_EEPmJS9_EEE10hipError_tPvRmT3_T4_T5_T6_T7_T9_mT8_P12ihipStream_tbDpT10_ENKUlT_T0_E_clISt17integral_constantIbLb1EES19_IbLb0EEEEDaS15_S16_EUlS15_E_NS1_11comp_targetILNS1_3genE0ELNS1_11target_archE4294967295ELNS1_3gpuE0ELNS1_3repE0EEENS1_30default_config_static_selectorELNS0_4arch9wavefront6targetE1EEEvT1_
		.amdhsa_group_segment_fixed_size 0
		.amdhsa_private_segment_fixed_size 0
		.amdhsa_kernarg_size 120
		.amdhsa_user_sgpr_count 2
		.amdhsa_user_sgpr_dispatch_ptr 0
		.amdhsa_user_sgpr_queue_ptr 0
		.amdhsa_user_sgpr_kernarg_segment_ptr 1
		.amdhsa_user_sgpr_dispatch_id 0
		.amdhsa_user_sgpr_kernarg_preload_length 0
		.amdhsa_user_sgpr_kernarg_preload_offset 0
		.amdhsa_user_sgpr_private_segment_size 0
		.amdhsa_uses_dynamic_stack 0
		.amdhsa_enable_private_segment 0
		.amdhsa_system_sgpr_workgroup_id_x 1
		.amdhsa_system_sgpr_workgroup_id_y 0
		.amdhsa_system_sgpr_workgroup_id_z 0
		.amdhsa_system_sgpr_workgroup_info 0
		.amdhsa_system_vgpr_workitem_id 0
		.amdhsa_next_free_vgpr 1
		.amdhsa_next_free_sgpr 0
		.amdhsa_accum_offset 4
		.amdhsa_reserve_vcc 0
		.amdhsa_float_round_mode_32 0
		.amdhsa_float_round_mode_16_64 0
		.amdhsa_float_denorm_mode_32 3
		.amdhsa_float_denorm_mode_16_64 3
		.amdhsa_dx10_clamp 1
		.amdhsa_ieee_mode 1
		.amdhsa_fp16_overflow 0
		.amdhsa_tg_split 0
		.amdhsa_exception_fp_ieee_invalid_op 0
		.amdhsa_exception_fp_denorm_src 0
		.amdhsa_exception_fp_ieee_div_zero 0
		.amdhsa_exception_fp_ieee_overflow 0
		.amdhsa_exception_fp_ieee_underflow 0
		.amdhsa_exception_fp_ieee_inexact 0
		.amdhsa_exception_int_div_zero 0
	.end_amdhsa_kernel
	.section	.text._ZN7rocprim17ROCPRIM_400000_NS6detail17trampoline_kernelINS0_14default_configENS1_25partition_config_selectorILNS1_17partition_subalgoE9EllbEEZZNS1_14partition_implILS5_9ELb0ES3_jPlS8_PNS0_10empty_typeENS0_5tupleIJS8_S9_EEENSB_IJS8_SA_EEENS0_18inequality_wrapperIZN2at6native12_GLOBAL__N_124unique_dim_cuda_templateIfEESt5tupleIJNSF_6TensorESK_SK_EERKSK_lbbbEUlllE0_EEPmJS9_EEE10hipError_tPvRmT3_T4_T5_T6_T7_T9_mT8_P12ihipStream_tbDpT10_ENKUlT_T0_E_clISt17integral_constantIbLb1EES19_IbLb0EEEEDaS15_S16_EUlS15_E_NS1_11comp_targetILNS1_3genE0ELNS1_11target_archE4294967295ELNS1_3gpuE0ELNS1_3repE0EEENS1_30default_config_static_selectorELNS0_4arch9wavefront6targetE1EEEvT1_,"axG",@progbits,_ZN7rocprim17ROCPRIM_400000_NS6detail17trampoline_kernelINS0_14default_configENS1_25partition_config_selectorILNS1_17partition_subalgoE9EllbEEZZNS1_14partition_implILS5_9ELb0ES3_jPlS8_PNS0_10empty_typeENS0_5tupleIJS8_S9_EEENSB_IJS8_SA_EEENS0_18inequality_wrapperIZN2at6native12_GLOBAL__N_124unique_dim_cuda_templateIfEESt5tupleIJNSF_6TensorESK_SK_EERKSK_lbbbEUlllE0_EEPmJS9_EEE10hipError_tPvRmT3_T4_T5_T6_T7_T9_mT8_P12ihipStream_tbDpT10_ENKUlT_T0_E_clISt17integral_constantIbLb1EES19_IbLb0EEEEDaS15_S16_EUlS15_E_NS1_11comp_targetILNS1_3genE0ELNS1_11target_archE4294967295ELNS1_3gpuE0ELNS1_3repE0EEENS1_30default_config_static_selectorELNS0_4arch9wavefront6targetE1EEEvT1_,comdat
.Lfunc_end984:
	.size	_ZN7rocprim17ROCPRIM_400000_NS6detail17trampoline_kernelINS0_14default_configENS1_25partition_config_selectorILNS1_17partition_subalgoE9EllbEEZZNS1_14partition_implILS5_9ELb0ES3_jPlS8_PNS0_10empty_typeENS0_5tupleIJS8_S9_EEENSB_IJS8_SA_EEENS0_18inequality_wrapperIZN2at6native12_GLOBAL__N_124unique_dim_cuda_templateIfEESt5tupleIJNSF_6TensorESK_SK_EERKSK_lbbbEUlllE0_EEPmJS9_EEE10hipError_tPvRmT3_T4_T5_T6_T7_T9_mT8_P12ihipStream_tbDpT10_ENKUlT_T0_E_clISt17integral_constantIbLb1EES19_IbLb0EEEEDaS15_S16_EUlS15_E_NS1_11comp_targetILNS1_3genE0ELNS1_11target_archE4294967295ELNS1_3gpuE0ELNS1_3repE0EEENS1_30default_config_static_selectorELNS0_4arch9wavefront6targetE1EEEvT1_, .Lfunc_end984-_ZN7rocprim17ROCPRIM_400000_NS6detail17trampoline_kernelINS0_14default_configENS1_25partition_config_selectorILNS1_17partition_subalgoE9EllbEEZZNS1_14partition_implILS5_9ELb0ES3_jPlS8_PNS0_10empty_typeENS0_5tupleIJS8_S9_EEENSB_IJS8_SA_EEENS0_18inequality_wrapperIZN2at6native12_GLOBAL__N_124unique_dim_cuda_templateIfEESt5tupleIJNSF_6TensorESK_SK_EERKSK_lbbbEUlllE0_EEPmJS9_EEE10hipError_tPvRmT3_T4_T5_T6_T7_T9_mT8_P12ihipStream_tbDpT10_ENKUlT_T0_E_clISt17integral_constantIbLb1EES19_IbLb0EEEEDaS15_S16_EUlS15_E_NS1_11comp_targetILNS1_3genE0ELNS1_11target_archE4294967295ELNS1_3gpuE0ELNS1_3repE0EEENS1_30default_config_static_selectorELNS0_4arch9wavefront6targetE1EEEvT1_
                                        ; -- End function
	.section	.AMDGPU.csdata,"",@progbits
; Kernel info:
; codeLenInByte = 0
; NumSgprs: 6
; NumVgprs: 0
; NumAgprs: 0
; TotalNumVgprs: 0
; ScratchSize: 0
; MemoryBound: 0
; FloatMode: 240
; IeeeMode: 1
; LDSByteSize: 0 bytes/workgroup (compile time only)
; SGPRBlocks: 0
; VGPRBlocks: 0
; NumSGPRsForWavesPerEU: 6
; NumVGPRsForWavesPerEU: 1
; AccumOffset: 4
; Occupancy: 8
; WaveLimiterHint : 0
; COMPUTE_PGM_RSRC2:SCRATCH_EN: 0
; COMPUTE_PGM_RSRC2:USER_SGPR: 2
; COMPUTE_PGM_RSRC2:TRAP_HANDLER: 0
; COMPUTE_PGM_RSRC2:TGID_X_EN: 1
; COMPUTE_PGM_RSRC2:TGID_Y_EN: 0
; COMPUTE_PGM_RSRC2:TGID_Z_EN: 0
; COMPUTE_PGM_RSRC2:TIDIG_COMP_CNT: 0
; COMPUTE_PGM_RSRC3_GFX90A:ACCUM_OFFSET: 0
; COMPUTE_PGM_RSRC3_GFX90A:TG_SPLIT: 0
	.section	.text._ZN7rocprim17ROCPRIM_400000_NS6detail17trampoline_kernelINS0_14default_configENS1_25partition_config_selectorILNS1_17partition_subalgoE9EllbEEZZNS1_14partition_implILS5_9ELb0ES3_jPlS8_PNS0_10empty_typeENS0_5tupleIJS8_S9_EEENSB_IJS8_SA_EEENS0_18inequality_wrapperIZN2at6native12_GLOBAL__N_124unique_dim_cuda_templateIfEESt5tupleIJNSF_6TensorESK_SK_EERKSK_lbbbEUlllE0_EEPmJS9_EEE10hipError_tPvRmT3_T4_T5_T6_T7_T9_mT8_P12ihipStream_tbDpT10_ENKUlT_T0_E_clISt17integral_constantIbLb1EES19_IbLb0EEEEDaS15_S16_EUlS15_E_NS1_11comp_targetILNS1_3genE5ELNS1_11target_archE942ELNS1_3gpuE9ELNS1_3repE0EEENS1_30default_config_static_selectorELNS0_4arch9wavefront6targetE1EEEvT1_,"axG",@progbits,_ZN7rocprim17ROCPRIM_400000_NS6detail17trampoline_kernelINS0_14default_configENS1_25partition_config_selectorILNS1_17partition_subalgoE9EllbEEZZNS1_14partition_implILS5_9ELb0ES3_jPlS8_PNS0_10empty_typeENS0_5tupleIJS8_S9_EEENSB_IJS8_SA_EEENS0_18inequality_wrapperIZN2at6native12_GLOBAL__N_124unique_dim_cuda_templateIfEESt5tupleIJNSF_6TensorESK_SK_EERKSK_lbbbEUlllE0_EEPmJS9_EEE10hipError_tPvRmT3_T4_T5_T6_T7_T9_mT8_P12ihipStream_tbDpT10_ENKUlT_T0_E_clISt17integral_constantIbLb1EES19_IbLb0EEEEDaS15_S16_EUlS15_E_NS1_11comp_targetILNS1_3genE5ELNS1_11target_archE942ELNS1_3gpuE9ELNS1_3repE0EEENS1_30default_config_static_selectorELNS0_4arch9wavefront6targetE1EEEvT1_,comdat
	.globl	_ZN7rocprim17ROCPRIM_400000_NS6detail17trampoline_kernelINS0_14default_configENS1_25partition_config_selectorILNS1_17partition_subalgoE9EllbEEZZNS1_14partition_implILS5_9ELb0ES3_jPlS8_PNS0_10empty_typeENS0_5tupleIJS8_S9_EEENSB_IJS8_SA_EEENS0_18inequality_wrapperIZN2at6native12_GLOBAL__N_124unique_dim_cuda_templateIfEESt5tupleIJNSF_6TensorESK_SK_EERKSK_lbbbEUlllE0_EEPmJS9_EEE10hipError_tPvRmT3_T4_T5_T6_T7_T9_mT8_P12ihipStream_tbDpT10_ENKUlT_T0_E_clISt17integral_constantIbLb1EES19_IbLb0EEEEDaS15_S16_EUlS15_E_NS1_11comp_targetILNS1_3genE5ELNS1_11target_archE942ELNS1_3gpuE9ELNS1_3repE0EEENS1_30default_config_static_selectorELNS0_4arch9wavefront6targetE1EEEvT1_ ; -- Begin function _ZN7rocprim17ROCPRIM_400000_NS6detail17trampoline_kernelINS0_14default_configENS1_25partition_config_selectorILNS1_17partition_subalgoE9EllbEEZZNS1_14partition_implILS5_9ELb0ES3_jPlS8_PNS0_10empty_typeENS0_5tupleIJS8_S9_EEENSB_IJS8_SA_EEENS0_18inequality_wrapperIZN2at6native12_GLOBAL__N_124unique_dim_cuda_templateIfEESt5tupleIJNSF_6TensorESK_SK_EERKSK_lbbbEUlllE0_EEPmJS9_EEE10hipError_tPvRmT3_T4_T5_T6_T7_T9_mT8_P12ihipStream_tbDpT10_ENKUlT_T0_E_clISt17integral_constantIbLb1EES19_IbLb0EEEEDaS15_S16_EUlS15_E_NS1_11comp_targetILNS1_3genE5ELNS1_11target_archE942ELNS1_3gpuE9ELNS1_3repE0EEENS1_30default_config_static_selectorELNS0_4arch9wavefront6targetE1EEEvT1_
	.p2align	8
	.type	_ZN7rocprim17ROCPRIM_400000_NS6detail17trampoline_kernelINS0_14default_configENS1_25partition_config_selectorILNS1_17partition_subalgoE9EllbEEZZNS1_14partition_implILS5_9ELb0ES3_jPlS8_PNS0_10empty_typeENS0_5tupleIJS8_S9_EEENSB_IJS8_SA_EEENS0_18inequality_wrapperIZN2at6native12_GLOBAL__N_124unique_dim_cuda_templateIfEESt5tupleIJNSF_6TensorESK_SK_EERKSK_lbbbEUlllE0_EEPmJS9_EEE10hipError_tPvRmT3_T4_T5_T6_T7_T9_mT8_P12ihipStream_tbDpT10_ENKUlT_T0_E_clISt17integral_constantIbLb1EES19_IbLb0EEEEDaS15_S16_EUlS15_E_NS1_11comp_targetILNS1_3genE5ELNS1_11target_archE942ELNS1_3gpuE9ELNS1_3repE0EEENS1_30default_config_static_selectorELNS0_4arch9wavefront6targetE1EEEvT1_,@function
_ZN7rocprim17ROCPRIM_400000_NS6detail17trampoline_kernelINS0_14default_configENS1_25partition_config_selectorILNS1_17partition_subalgoE9EllbEEZZNS1_14partition_implILS5_9ELb0ES3_jPlS8_PNS0_10empty_typeENS0_5tupleIJS8_S9_EEENSB_IJS8_SA_EEENS0_18inequality_wrapperIZN2at6native12_GLOBAL__N_124unique_dim_cuda_templateIfEESt5tupleIJNSF_6TensorESK_SK_EERKSK_lbbbEUlllE0_EEPmJS9_EEE10hipError_tPvRmT3_T4_T5_T6_T7_T9_mT8_P12ihipStream_tbDpT10_ENKUlT_T0_E_clISt17integral_constantIbLb1EES19_IbLb0EEEEDaS15_S16_EUlS15_E_NS1_11comp_targetILNS1_3genE5ELNS1_11target_archE942ELNS1_3gpuE9ELNS1_3repE0EEENS1_30default_config_static_selectorELNS0_4arch9wavefront6targetE1EEEvT1_: ; @_ZN7rocprim17ROCPRIM_400000_NS6detail17trampoline_kernelINS0_14default_configENS1_25partition_config_selectorILNS1_17partition_subalgoE9EllbEEZZNS1_14partition_implILS5_9ELb0ES3_jPlS8_PNS0_10empty_typeENS0_5tupleIJS8_S9_EEENSB_IJS8_SA_EEENS0_18inequality_wrapperIZN2at6native12_GLOBAL__N_124unique_dim_cuda_templateIfEESt5tupleIJNSF_6TensorESK_SK_EERKSK_lbbbEUlllE0_EEPmJS9_EEE10hipError_tPvRmT3_T4_T5_T6_T7_T9_mT8_P12ihipStream_tbDpT10_ENKUlT_T0_E_clISt17integral_constantIbLb1EES19_IbLb0EEEEDaS15_S16_EUlS15_E_NS1_11comp_targetILNS1_3genE5ELNS1_11target_archE942ELNS1_3gpuE9ELNS1_3repE0EEENS1_30default_config_static_selectorELNS0_4arch9wavefront6targetE1EEEvT1_
; %bb.0:
	s_load_dwordx8 s[20:27], s[0:1], 0x40
	s_load_dwordx4 s[4:7], s[0:1], 0x8
	s_load_dwordx2 s[10:11], s[0:1], 0x18
	s_load_dword s3, s[0:1], 0x70
	s_mul_i32 s12, s2, 0xe00
	s_waitcnt lgkmcnt(0)
	v_mov_b32_e32 v2, s24
	s_lshl_b64 s[14:15], s[6:7], 3
	s_add_u32 s18, s4, s14
	s_mul_i32 s4, s3, 0xe00
	s_addc_u32 s19, s5, s15
	s_add_i32 s8, s3, -1
	s_add_i32 s3, s4, s6
	s_sub_i32 s3, s24, s3
	s_addk_i32 s3, 0xe00
	s_add_u32 s4, s6, s4
	s_addc_u32 s5, s7, 0
	v_mov_b32_e32 v3, s25
	s_cmp_eq_u32 s2, s8
	s_load_dwordx2 s[22:23], s[22:23], 0x0
	v_cmp_ge_u64_e32 vcc, s[4:5], v[2:3]
	s_cselect_b64 s[24:25], -1, 0
	s_mov_b32 s13, 0
	s_and_b64 s[8:9], s[24:25], vcc
	s_xor_b64 s[34:35], s[8:9], -1
	s_lshl_b64 s[16:17], s[12:13], 3
	s_add_u32 s12, s18, s16
	s_mov_b64 s[4:5], -1
	s_addc_u32 s13, s19, s17
	s_and_b64 vcc, exec, s[34:35]
	s_cbranch_vccz .LBB985_2
; %bb.1:
	v_lshlrev_b32_e32 v2, 3, v0
	v_mov_b32_e32 v3, 0
	v_lshl_add_u64 v[4:5], s[12:13], 0, v[2:3]
	v_add_co_u32_e32 v8, vcc, 0x1000, v4
	global_load_dwordx2 v[6:7], v2, s[12:13]
	s_nop 0
	v_addc_co_u32_e32 v9, vcc, 0, v5, vcc
	v_add_co_u32_e32 v10, vcc, 0x2000, v4
	s_mov_b64 s[4:5], 0
	s_nop 0
	v_addc_co_u32_e32 v11, vcc, 0, v5, vcc
	v_add_co_u32_e32 v12, vcc, 0x3000, v4
	s_nop 1
	v_addc_co_u32_e32 v13, vcc, 0, v5, vcc
	v_add_co_u32_e32 v14, vcc, 0x4000, v4
	s_nop 1
	v_addc_co_u32_e32 v15, vcc, 0, v5, vcc
	global_load_dwordx2 v[16:17], v[8:9], off
	global_load_dwordx2 v[18:19], v[10:11], off
	;; [unrolled: 1-line block ×4, first 2 shown]
	v_add_co_u32_e32 v8, vcc, 0x5000, v4
	s_nop 1
	v_addc_co_u32_e32 v9, vcc, 0, v5, vcc
	v_add_co_u32_e32 v4, vcc, 0x6000, v4
	global_load_dwordx2 v[8:9], v[8:9], off
	s_nop 0
	v_addc_co_u32_e32 v5, vcc, 0, v5, vcc
	global_load_dwordx2 v[4:5], v[4:5], off
	s_waitcnt vmcnt(5)
	ds_write2st64_b64 v2, v[6:7], v[16:17] offset1:8
	s_waitcnt vmcnt(3)
	ds_write2st64_b64 v2, v[18:19], v[20:21] offset0:16 offset1:24
	s_waitcnt vmcnt(1)
	ds_write2st64_b64 v2, v[22:23], v[8:9] offset0:32 offset1:40
	s_waitcnt vmcnt(0)
	ds_write_b64 v2, v[4:5] offset:24576
	s_waitcnt lgkmcnt(0)
	s_barrier
.LBB985_2:
	s_load_dwordx4 s[28:31], s[0:1], 0x60
	s_andn2_b64 vcc, exec, s[4:5]
	v_cmp_gt_u32_e64 s[4:5], s3, v0
	s_cbranch_vccnz .LBB985_18
; %bb.3:
                                        ; implicit-def: $vgpr2_vgpr3_vgpr4_vgpr5_vgpr6_vgpr7_vgpr8_vgpr9_vgpr10_vgpr11_vgpr12_vgpr13_vgpr14_vgpr15_vgpr16_vgpr17
	s_and_saveexec_b64 s[18:19], s[4:5]
	s_cbranch_execz .LBB985_5
; %bb.4:
	v_lshlrev_b32_e32 v1, 3, v0
	global_load_dwordx2 v[2:3], v1, s[12:13]
.LBB985_5:
	s_or_b64 exec, exec, s[18:19]
	v_or_b32_e32 v1, 0x200, v0
	v_cmp_gt_u32_e32 vcc, s3, v1
	s_and_saveexec_b64 s[4:5], vcc
	s_cbranch_execz .LBB985_7
; %bb.6:
	v_lshlrev_b32_e32 v1, 3, v1
	global_load_dwordx2 v[4:5], v1, s[12:13]
.LBB985_7:
	s_or_b64 exec, exec, s[4:5]
	v_or_b32_e32 v1, 0x400, v0
	v_cmp_gt_u32_e32 vcc, s3, v1
	s_and_saveexec_b64 s[4:5], vcc
	;; [unrolled: 9-line block ×6, first 2 shown]
	s_cbranch_execz .LBB985_17
; %bb.16:
	v_lshlrev_b32_e32 v1, 3, v1
	global_load_dwordx2 v[14:15], v1, s[12:13]
.LBB985_17:
	s_or_b64 exec, exec, s[4:5]
	v_lshlrev_b32_e32 v1, 3, v0
	s_waitcnt vmcnt(0)
	ds_write2st64_b64 v1, v[2:3], v[4:5] offset1:8
	ds_write2st64_b64 v1, v[6:7], v[8:9] offset0:16 offset1:24
	ds_write2st64_b64 v1, v[10:11], v[12:13] offset0:32 offset1:40
	ds_write_b64 v1, v[14:15] offset:24576
	s_waitcnt lgkmcnt(0)
	s_barrier
.LBB985_18:
	v_mul_u32_u24_e32 v1, 7, v0
	v_lshlrev_b32_e32 v44, 3, v1
	s_waitcnt lgkmcnt(0)
	ds_read2_b64 v[22:25], v44 offset1:1
	ds_read2_b64 v[18:21], v44 offset0:2 offset1:3
	ds_read2_b64 v[14:17], v44 offset0:4 offset1:5
	ds_read_b64 v[28:29], v44 offset:48
	s_add_u32 s4, s10, s14
	s_addc_u32 s5, s11, s15
	s_add_u32 s4, s4, s16
	s_addc_u32 s5, s5, s17
	s_mov_b64 s[10:11], -1
	s_and_b64 vcc, exec, s[34:35]
	s_waitcnt lgkmcnt(0)
	s_barrier
	s_cbranch_vccz .LBB985_20
; %bb.19:
	v_lshlrev_b32_e32 v2, 3, v0
	v_mov_b32_e32 v3, 0
	v_lshl_add_u64 v[4:5], s[4:5], 0, v[2:3]
	v_add_co_u32_e32 v8, vcc, 0x1000, v4
	global_load_dwordx2 v[6:7], v2, s[4:5]
	s_nop 0
	v_addc_co_u32_e32 v9, vcc, 0, v5, vcc
	v_add_co_u32_e32 v10, vcc, 0x2000, v4
	s_mov_b64 s[10:11], 0
	s_nop 0
	v_addc_co_u32_e32 v11, vcc, 0, v5, vcc
	v_add_co_u32_e32 v12, vcc, 0x3000, v4
	s_nop 1
	v_addc_co_u32_e32 v13, vcc, 0, v5, vcc
	v_add_co_u32_e32 v26, vcc, 0x4000, v4
	s_nop 1
	v_addc_co_u32_e32 v27, vcc, 0, v5, vcc
	global_load_dwordx2 v[30:31], v[8:9], off
	global_load_dwordx2 v[32:33], v[10:11], off
	;; [unrolled: 1-line block ×4, first 2 shown]
	v_add_co_u32_e32 v8, vcc, 0x5000, v4
	s_nop 1
	v_addc_co_u32_e32 v9, vcc, 0, v5, vcc
	v_add_co_u32_e32 v4, vcc, 0x6000, v4
	global_load_dwordx2 v[8:9], v[8:9], off
	s_nop 0
	v_addc_co_u32_e32 v5, vcc, 0, v5, vcc
	global_load_dwordx2 v[4:5], v[4:5], off
	s_waitcnt vmcnt(5)
	ds_write2st64_b64 v2, v[6:7], v[30:31] offset1:8
	s_waitcnt vmcnt(3)
	ds_write2st64_b64 v2, v[32:33], v[34:35] offset0:16 offset1:24
	s_waitcnt vmcnt(1)
	ds_write2st64_b64 v2, v[36:37], v[8:9] offset0:32 offset1:40
	s_waitcnt vmcnt(0)
	ds_write_b64 v2, v[4:5] offset:24576
	s_waitcnt lgkmcnt(0)
	s_barrier
.LBB985_20:
	s_andn2_b64 vcc, exec, s[10:11]
	s_cbranch_vccnz .LBB985_36
; %bb.21:
	v_cmp_gt_u32_e32 vcc, s3, v0
                                        ; implicit-def: $vgpr2_vgpr3
	s_and_saveexec_b64 s[10:11], vcc
	s_cbranch_execz .LBB985_23
; %bb.22:
	v_lshlrev_b32_e32 v2, 3, v0
	global_load_dwordx2 v[2:3], v2, s[4:5]
.LBB985_23:
	s_or_b64 exec, exec, s[10:11]
	v_or_b32_e32 v6, 0x200, v0
	v_cmp_gt_u32_e32 vcc, s3, v6
                                        ; implicit-def: $vgpr4_vgpr5
	s_and_saveexec_b64 s[10:11], vcc
	s_cbranch_execz .LBB985_25
; %bb.24:
	v_lshlrev_b32_e32 v4, 3, v6
	global_load_dwordx2 v[4:5], v4, s[4:5]
.LBB985_25:
	s_or_b64 exec, exec, s[10:11]
	v_or_b32_e32 v8, 0x400, v0
	v_cmp_gt_u32_e32 vcc, s3, v8
                                        ; implicit-def: $vgpr6_vgpr7
	s_and_saveexec_b64 s[10:11], vcc
	s_cbranch_execz .LBB985_27
; %bb.26:
	v_lshlrev_b32_e32 v6, 3, v8
	global_load_dwordx2 v[6:7], v6, s[4:5]
.LBB985_27:
	s_or_b64 exec, exec, s[10:11]
	v_or_b32_e32 v10, 0x600, v0
	v_cmp_gt_u32_e32 vcc, s3, v10
                                        ; implicit-def: $vgpr8_vgpr9
	s_and_saveexec_b64 s[10:11], vcc
	s_cbranch_execz .LBB985_29
; %bb.28:
	v_lshlrev_b32_e32 v8, 3, v10
	global_load_dwordx2 v[8:9], v8, s[4:5]
.LBB985_29:
	s_or_b64 exec, exec, s[10:11]
	v_or_b32_e32 v12, 0x800, v0
	v_cmp_gt_u32_e32 vcc, s3, v12
                                        ; implicit-def: $vgpr10_vgpr11
	s_and_saveexec_b64 s[10:11], vcc
	s_cbranch_execz .LBB985_31
; %bb.30:
	v_lshlrev_b32_e32 v10, 3, v12
	global_load_dwordx2 v[10:11], v10, s[4:5]
.LBB985_31:
	s_or_b64 exec, exec, s[10:11]
	v_or_b32_e32 v26, 0xa00, v0
	v_cmp_gt_u32_e32 vcc, s3, v26
                                        ; implicit-def: $vgpr12_vgpr13
	s_and_saveexec_b64 s[10:11], vcc
	s_cbranch_execz .LBB985_33
; %bb.32:
	v_lshlrev_b32_e32 v12, 3, v26
	global_load_dwordx2 v[12:13], v12, s[4:5]
.LBB985_33:
	s_or_b64 exec, exec, s[10:11]
	v_or_b32_e32 v30, 0xc00, v0
	v_cmp_gt_u32_e32 vcc, s3, v30
                                        ; implicit-def: $vgpr26_vgpr27
	s_and_saveexec_b64 s[10:11], vcc
	s_cbranch_execz .LBB985_35
; %bb.34:
	v_lshlrev_b32_e32 v26, 3, v30
	global_load_dwordx2 v[26:27], v26, s[4:5]
.LBB985_35:
	s_or_b64 exec, exec, s[10:11]
	s_movk_i32 s4, 0xffd0
	v_mad_i32_i24 v30, v0, s4, v44
	s_waitcnt vmcnt(0)
	ds_write2st64_b64 v30, v[2:3], v[4:5] offset1:8
	ds_write2st64_b64 v30, v[6:7], v[8:9] offset0:16 offset1:24
	ds_write2st64_b64 v30, v[10:11], v[12:13] offset0:32 offset1:40
	ds_write_b64 v30, v[26:27] offset:24576
	s_waitcnt lgkmcnt(0)
	s_barrier
.LBB985_36:
	ds_read2_b64 v[10:13], v44 offset1:1
	ds_read2_b64 v[6:9], v44 offset0:2 offset1:3
	ds_read2_b64 v[2:5], v44 offset0:4 offset1:5
	ds_read_b64 v[26:27], v44 offset:48
	s_cmp_lg_u32 s2, 0
	s_cselect_b64 s[16:17], -1, 0
	s_cmp_lg_u64 s[6:7], 0
	s_cselect_b64 s[4:5], -1, 0
	s_or_b64 s[4:5], s[16:17], s[4:5]
	v_add_u32_e32 v41, 1, v1
	v_add_u32_e32 v38, 2, v1
	v_add_u32_e32 v42, 3, v1
	v_add_u32_e32 v39, 4, v1
	v_add_u32_e32 v43, 5, v1
	v_add_u32_e32 v40, 6, v1
	s_mov_b64 s[10:11], 0
	s_and_b64 vcc, exec, s[4:5]
	v_cmp_gt_i64_e64 s[4:5], s[26:27], 0
	s_waitcnt lgkmcnt(0)
	s_barrier
	s_cbranch_vccz .LBB985_45
; %bb.37:
	s_add_u32 s6, s12, -8
	s_addc_u32 s7, s13, -1
	s_load_dwordx2 s[6:7], s[6:7], 0x0
	v_cndmask_b32_e64 v30, 0, 1, s[4:5]
	v_lshlrev_b32_e32 v45, 3, v0
	s_and_b64 vcc, exec, s[34:35]
	v_cmp_ne_u32_e64 s[4:5], 1, v30
	ds_write_b64 v45, v[28:29]
	s_cbranch_vccz .LBB985_47
; %bb.38:
	v_mul_lo_u32 v32, v17, s26
	v_mul_lo_u32 v33, v16, s27
	v_mad_u64_u32 v[30:31], s[12:13], v16, s26, 0
	v_add3_u32 v31, v31, v33, v32
	s_and_b64 vcc, exec, s[4:5]
	v_lshl_add_u64 v[30:31], v[30:31], 2, s[28:29]
	s_cbranch_vccnz .LBB985_50
; %bb.39:
	v_mul_lo_u32 v34, v29, s26
	v_mul_lo_u32 v35, v28, s27
	v_mad_u64_u32 v[32:33], s[10:11], v28, s26, 0
	v_add3_u32 v33, v33, v35, v34
	v_lshl_add_u64 v[32:33], v[32:33], 2, s[28:29]
	global_load_dword v34, v[30:31], off
	global_load_dword v35, v[32:33], off
	s_mov_b64 s[10:11], -1
	s_waitcnt vmcnt(0)
	v_cmp_eq_f32_e32 vcc, v34, v35
	s_and_saveexec_b64 s[12:13], vcc
	s_cbranch_execz .LBB985_49
; %bb.40:
	s_add_u32 s10, s26, -1
	v_lshl_add_u64 v[32:33], v[32:33], 0, 4
	v_lshl_add_u64 v[34:35], v[30:31], 0, 4
	s_addc_u32 s11, s27, -1
	s_mov_b64 s[14:15], 0
	s_mov_b64 s[36:37], 0
                                        ; implicit-def: $sgpr18_sgpr19
	s_branch .LBB985_43
.LBB985_41:                             ;   in Loop: Header=BB985_43 Depth=1
	global_load_dword v36, v[34:35], off
	global_load_dword v37, v[32:33], off
	s_add_u32 s36, s36, 1
	s_addc_u32 s37, s37, 0
	s_andn2_b64 s[18:19], s[18:19], exec
	v_lshl_add_u64 v[32:33], v[32:33], 0, 4
	v_lshl_add_u64 v[34:35], v[34:35], 0, 4
	s_waitcnt vmcnt(0)
	v_cmp_neq_f32_e32 vcc, v36, v37
	s_and_b64 s[38:39], vcc, exec
	s_or_b64 s[18:19], s[18:19], s[38:39]
.LBB985_42:                             ;   in Loop: Header=BB985_43 Depth=1
	s_and_b64 s[38:39], exec, s[18:19]
	s_or_b64 s[14:15], s[38:39], s[14:15]
	v_mov_b64_e32 v[36:37], s[36:37]
	s_andn2_b64 exec, exec, s[14:15]
	s_cbranch_execz .LBB985_48
.LBB985_43:                             ; =>This Inner Loop Header: Depth=1
	s_or_b64 s[18:19], s[18:19], exec
	s_cmp_eq_u64 s[10:11], s[36:37]
	s_cbranch_scc0 .LBB985_41
; %bb.44:                               ;   in Loop: Header=BB985_43 Depth=1
                                        ; implicit-def: $vgpr32_vgpr33
                                        ; implicit-def: $vgpr34_vgpr35
	s_mov_b64 s[36:37], s[26:27]
	s_branch .LBB985_42
.LBB985_45:
                                        ; implicit-def: $sgpr18_sgpr19
                                        ; implicit-def: $vgpr48
                                        ; implicit-def: $vgpr47
                                        ; implicit-def: $vgpr46
                                        ; implicit-def: $vgpr34
	s_branch .LBB985_188
.LBB985_46:
                                        ; implicit-def: $vgpr30_vgpr31
	s_branch .LBB985_336
.LBB985_47:
                                        ; implicit-def: $sgpr18_sgpr19
                                        ; implicit-def: $vgpr48
                                        ; implicit-def: $vgpr47
                                        ; implicit-def: $vgpr46
                                        ; implicit-def: $vgpr34
	s_cbranch_execnz .LBB985_107
	s_branch .LBB985_187
.LBB985_48:
	s_or_b64 exec, exec, s[14:15]
	v_cmp_gt_i64_e32 vcc, s[26:27], v[36:37]
	s_orn2_b64 s[10:11], vcc, exec
.LBB985_49:
	s_or_b64 exec, exec, s[12:13]
.LBB985_50:
	v_mul_lo_u32 v34, v15, s26
	v_mul_lo_u32 v35, v14, s27
	v_mad_u64_u32 v[32:33], s[12:13], v14, s26, 0
	v_add3_u32 v33, v33, v35, v34
	s_mov_b64 s[12:13], 0
	s_and_b64 vcc, exec, s[4:5]
	v_lshl_add_u64 v[32:33], v[32:33], 2, s[28:29]
	s_mov_b64 s[14:15], 0
	s_cbranch_vccnz .LBB985_59
; %bb.51:
	global_load_dword v34, v[32:33], off
	global_load_dword v35, v[30:31], off
	s_mov_b64 s[14:15], -1
	s_waitcnt vmcnt(0)
	v_cmp_eq_f32_e32 vcc, v34, v35
	s_and_saveexec_b64 s[18:19], vcc
	s_cbranch_execz .LBB985_58
; %bb.52:
	s_add_u32 s14, s26, -1
	v_lshl_add_u64 v[30:31], v[30:31], 0, 4
	v_lshl_add_u64 v[34:35], v[32:33], 0, 4
	s_addc_u32 s15, s27, -1
	s_mov_b64 s[36:37], 0
	s_mov_b64 s[40:41], 0
                                        ; implicit-def: $sgpr38_sgpr39
	s_branch .LBB985_55
.LBB985_53:                             ;   in Loop: Header=BB985_55 Depth=1
	global_load_dword v36, v[34:35], off
	global_load_dword v37, v[30:31], off
	s_add_u32 s40, s40, 1
	s_addc_u32 s41, s41, 0
	s_andn2_b64 s[38:39], s[38:39], exec
	v_lshl_add_u64 v[30:31], v[30:31], 0, 4
	v_lshl_add_u64 v[34:35], v[34:35], 0, 4
	s_waitcnt vmcnt(0)
	v_cmp_neq_f32_e32 vcc, v36, v37
	s_and_b64 s[42:43], vcc, exec
	s_or_b64 s[38:39], s[38:39], s[42:43]
.LBB985_54:                             ;   in Loop: Header=BB985_55 Depth=1
	s_and_b64 s[42:43], exec, s[38:39]
	s_or_b64 s[36:37], s[42:43], s[36:37]
	v_mov_b64_e32 v[36:37], s[40:41]
	s_andn2_b64 exec, exec, s[36:37]
	s_cbranch_execz .LBB985_57
.LBB985_55:                             ; =>This Inner Loop Header: Depth=1
	s_or_b64 s[38:39], s[38:39], exec
	s_cmp_eq_u64 s[14:15], s[40:41]
	s_cbranch_scc0 .LBB985_53
; %bb.56:                               ;   in Loop: Header=BB985_55 Depth=1
                                        ; implicit-def: $vgpr30_vgpr31
                                        ; implicit-def: $vgpr34_vgpr35
	s_mov_b64 s[40:41], s[26:27]
	s_branch .LBB985_54
.LBB985_57:
	s_or_b64 exec, exec, s[36:37]
	v_cmp_gt_i64_e32 vcc, s[26:27], v[36:37]
	s_orn2_b64 s[14:15], vcc, exec
.LBB985_58:
	s_or_b64 exec, exec, s[18:19]
.LBB985_59:
	v_mul_lo_u32 v34, v21, s26
	v_mul_lo_u32 v35, v20, s27
	v_mad_u64_u32 v[30:31], s[18:19], v20, s26, 0
	v_add3_u32 v31, v31, v35, v34
	s_and_b64 vcc, exec, s[4:5]
	v_lshl_add_u64 v[30:31], v[30:31], 2, s[28:29]
	s_cbranch_vccnz .LBB985_68
; %bb.60:
	global_load_dword v34, v[30:31], off
	global_load_dword v35, v[32:33], off
	s_mov_b64 s[12:13], -1
	s_waitcnt vmcnt(0)
	v_cmp_eq_f32_e32 vcc, v34, v35
	s_and_saveexec_b64 s[18:19], vcc
	s_cbranch_execz .LBB985_67
; %bb.61:
	s_add_u32 s12, s26, -1
	v_lshl_add_u64 v[32:33], v[32:33], 0, 4
	v_lshl_add_u64 v[34:35], v[30:31], 0, 4
	s_addc_u32 s13, s27, -1
	s_mov_b64 s[36:37], 0
	s_mov_b64 s[40:41], 0
                                        ; implicit-def: $sgpr38_sgpr39
	s_branch .LBB985_64
.LBB985_62:                             ;   in Loop: Header=BB985_64 Depth=1
	global_load_dword v36, v[34:35], off
	global_load_dword v37, v[32:33], off
	s_add_u32 s40, s40, 1
	s_addc_u32 s41, s41, 0
	s_andn2_b64 s[38:39], s[38:39], exec
	v_lshl_add_u64 v[32:33], v[32:33], 0, 4
	v_lshl_add_u64 v[34:35], v[34:35], 0, 4
	s_waitcnt vmcnt(0)
	v_cmp_neq_f32_e32 vcc, v36, v37
	s_and_b64 s[42:43], vcc, exec
	s_or_b64 s[38:39], s[38:39], s[42:43]
.LBB985_63:                             ;   in Loop: Header=BB985_64 Depth=1
	s_and_b64 s[42:43], exec, s[38:39]
	s_or_b64 s[36:37], s[42:43], s[36:37]
	v_mov_b64_e32 v[36:37], s[40:41]
	s_andn2_b64 exec, exec, s[36:37]
	s_cbranch_execz .LBB985_66
.LBB985_64:                             ; =>This Inner Loop Header: Depth=1
	s_or_b64 s[38:39], s[38:39], exec
	s_cmp_eq_u64 s[12:13], s[40:41]
	s_cbranch_scc0 .LBB985_62
; %bb.65:                               ;   in Loop: Header=BB985_64 Depth=1
                                        ; implicit-def: $vgpr32_vgpr33
                                        ; implicit-def: $vgpr34_vgpr35
	s_mov_b64 s[40:41], s[26:27]
	s_branch .LBB985_63
.LBB985_66:
	s_or_b64 exec, exec, s[36:37]
	v_cmp_gt_i64_e32 vcc, s[26:27], v[36:37]
	s_orn2_b64 s[12:13], vcc, exec
.LBB985_67:
	s_or_b64 exec, exec, s[18:19]
.LBB985_68:
	v_mul_lo_u32 v34, v19, s26
	v_mul_lo_u32 v35, v18, s27
	v_mad_u64_u32 v[32:33], s[18:19], v18, s26, 0
	v_add3_u32 v33, v33, v35, v34
	s_mov_b64 s[18:19], 0
	s_and_b64 vcc, exec, s[4:5]
	v_lshl_add_u64 v[34:35], v[32:33], 2, s[28:29]
	s_mov_b64 s[36:37], 0
	s_cbranch_vccnz .LBB985_77
; %bb.69:
	global_load_dword v32, v[34:35], off
	global_load_dword v33, v[30:31], off
	s_mov_b64 s[36:37], -1
	s_waitcnt vmcnt(0)
	v_cmp_eq_f32_e32 vcc, v32, v33
	s_and_saveexec_b64 s[38:39], vcc
	s_cbranch_execz .LBB985_76
; %bb.70:
	s_add_u32 s36, s26, -1
	v_lshl_add_u64 v[30:31], v[30:31], 0, 4
	v_lshl_add_u64 v[32:33], v[34:35], 0, 4
	s_addc_u32 s37, s27, -1
	s_mov_b64 s[40:41], 0
	s_mov_b64 s[44:45], 0
                                        ; implicit-def: $sgpr42_sgpr43
	s_branch .LBB985_73
.LBB985_71:                             ;   in Loop: Header=BB985_73 Depth=1
	global_load_dword v36, v[32:33], off
	global_load_dword v37, v[30:31], off
	s_add_u32 s44, s44, 1
	s_addc_u32 s45, s45, 0
	s_andn2_b64 s[42:43], s[42:43], exec
	v_lshl_add_u64 v[30:31], v[30:31], 0, 4
	v_lshl_add_u64 v[32:33], v[32:33], 0, 4
	s_waitcnt vmcnt(0)
	v_cmp_neq_f32_e32 vcc, v36, v37
	s_and_b64 s[46:47], vcc, exec
	s_or_b64 s[42:43], s[42:43], s[46:47]
.LBB985_72:                             ;   in Loop: Header=BB985_73 Depth=1
	s_and_b64 s[46:47], exec, s[42:43]
	s_or_b64 s[40:41], s[46:47], s[40:41]
	v_mov_b64_e32 v[36:37], s[44:45]
	s_andn2_b64 exec, exec, s[40:41]
	s_cbranch_execz .LBB985_75
.LBB985_73:                             ; =>This Inner Loop Header: Depth=1
	s_or_b64 s[42:43], s[42:43], exec
	s_cmp_eq_u64 s[36:37], s[44:45]
	s_cbranch_scc0 .LBB985_71
; %bb.74:                               ;   in Loop: Header=BB985_73 Depth=1
                                        ; implicit-def: $vgpr30_vgpr31
                                        ; implicit-def: $vgpr32_vgpr33
	s_mov_b64 s[44:45], s[26:27]
	s_branch .LBB985_72
.LBB985_75:
	s_or_b64 exec, exec, s[40:41]
	v_cmp_gt_i64_e32 vcc, s[26:27], v[36:37]
	s_orn2_b64 s[36:37], vcc, exec
.LBB985_76:
	s_or_b64 exec, exec, s[38:39]
.LBB985_77:
	v_mul_lo_u32 v32, v25, s26
	v_mul_lo_u32 v33, v24, s27
	v_mad_u64_u32 v[30:31], s[38:39], v24, s26, 0
	v_add3_u32 v31, v31, v33, v32
	s_and_b64 vcc, exec, s[4:5]
	v_lshl_add_u64 v[32:33], v[30:31], 2, s[28:29]
	s_cbranch_vccnz .LBB985_86
; %bb.78:
	global_load_dword v30, v[32:33], off
	global_load_dword v31, v[34:35], off
	s_mov_b64 s[18:19], -1
	s_waitcnt vmcnt(0)
	v_cmp_eq_f32_e32 vcc, v30, v31
	s_and_saveexec_b64 s[38:39], vcc
	s_cbranch_execz .LBB985_85
; %bb.79:
	s_add_u32 s18, s26, -1
	v_lshl_add_u64 v[30:31], v[34:35], 0, 4
	v_lshl_add_u64 v[34:35], v[32:33], 0, 4
	s_addc_u32 s19, s27, -1
	s_mov_b64 s[40:41], 0
	s_mov_b64 s[44:45], 0
                                        ; implicit-def: $sgpr42_sgpr43
	s_branch .LBB985_82
.LBB985_80:                             ;   in Loop: Header=BB985_82 Depth=1
	global_load_dword v36, v[34:35], off
	global_load_dword v37, v[30:31], off
	s_add_u32 s44, s44, 1
	s_addc_u32 s45, s45, 0
	s_andn2_b64 s[42:43], s[42:43], exec
	v_lshl_add_u64 v[30:31], v[30:31], 0, 4
	v_lshl_add_u64 v[34:35], v[34:35], 0, 4
	s_waitcnt vmcnt(0)
	v_cmp_neq_f32_e32 vcc, v36, v37
	s_and_b64 s[46:47], vcc, exec
	s_or_b64 s[42:43], s[42:43], s[46:47]
.LBB985_81:                             ;   in Loop: Header=BB985_82 Depth=1
	s_and_b64 s[46:47], exec, s[42:43]
	s_or_b64 s[40:41], s[46:47], s[40:41]
	v_mov_b64_e32 v[36:37], s[44:45]
	s_andn2_b64 exec, exec, s[40:41]
	s_cbranch_execz .LBB985_84
.LBB985_82:                             ; =>This Inner Loop Header: Depth=1
	s_or_b64 s[42:43], s[42:43], exec
	s_cmp_eq_u64 s[18:19], s[44:45]
	s_cbranch_scc0 .LBB985_80
; %bb.83:                               ;   in Loop: Header=BB985_82 Depth=1
                                        ; implicit-def: $vgpr30_vgpr31
                                        ; implicit-def: $vgpr34_vgpr35
	s_mov_b64 s[44:45], s[26:27]
	s_branch .LBB985_81
.LBB985_84:
	s_or_b64 exec, exec, s[40:41]
	v_cmp_gt_i64_e32 vcc, s[26:27], v[36:37]
	s_orn2_b64 s[18:19], vcc, exec
.LBB985_85:
	s_or_b64 exec, exec, s[38:39]
.LBB985_86:
	v_mul_lo_u32 v34, v23, s26
	v_mul_lo_u32 v35, v22, s27
	v_mad_u64_u32 v[30:31], s[38:39], v22, s26, 0
	v_add3_u32 v31, v31, v35, v34
	s_mov_b64 s[40:41], 0
	s_and_b64 vcc, exec, s[4:5]
	v_lshl_add_u64 v[30:31], v[30:31], 2, s[28:29]
	s_cbranch_vccnz .LBB985_95
; %bb.87:
	global_load_dword v34, v[30:31], off
	global_load_dword v35, v[32:33], off
	s_mov_b64 s[40:41], -1
	s_waitcnt vmcnt(0)
	v_cmp_eq_f32_e32 vcc, v34, v35
	s_and_saveexec_b64 s[38:39], vcc
	s_cbranch_execz .LBB985_94
; %bb.88:
	s_add_u32 s40, s26, -1
	v_lshl_add_u64 v[32:33], v[32:33], 0, 4
	v_lshl_add_u64 v[34:35], v[30:31], 0, 4
	s_addc_u32 s41, s27, -1
	s_mov_b64 s[42:43], 0
	s_mov_b64 s[46:47], 0
                                        ; implicit-def: $sgpr44_sgpr45
	s_branch .LBB985_91
.LBB985_89:                             ;   in Loop: Header=BB985_91 Depth=1
	global_load_dword v36, v[34:35], off
	global_load_dword v37, v[32:33], off
	s_add_u32 s46, s46, 1
	s_addc_u32 s47, s47, 0
	s_andn2_b64 s[44:45], s[44:45], exec
	v_lshl_add_u64 v[32:33], v[32:33], 0, 4
	v_lshl_add_u64 v[34:35], v[34:35], 0, 4
	s_waitcnt vmcnt(0)
	v_cmp_neq_f32_e32 vcc, v36, v37
	s_and_b64 s[48:49], vcc, exec
	s_or_b64 s[44:45], s[44:45], s[48:49]
.LBB985_90:                             ;   in Loop: Header=BB985_91 Depth=1
	s_and_b64 s[48:49], exec, s[44:45]
	s_or_b64 s[42:43], s[48:49], s[42:43]
	v_mov_b64_e32 v[36:37], s[46:47]
	s_andn2_b64 exec, exec, s[42:43]
	s_cbranch_execz .LBB985_93
.LBB985_91:                             ; =>This Inner Loop Header: Depth=1
	s_or_b64 s[44:45], s[44:45], exec
	s_cmp_eq_u64 s[40:41], s[46:47]
	s_cbranch_scc0 .LBB985_89
; %bb.92:                               ;   in Loop: Header=BB985_91 Depth=1
                                        ; implicit-def: $vgpr32_vgpr33
                                        ; implicit-def: $vgpr34_vgpr35
	s_mov_b64 s[46:47], s[26:27]
	s_branch .LBB985_90
.LBB985_93:
	s_or_b64 exec, exec, s[42:43]
	v_cmp_gt_i64_e32 vcc, s[26:27], v[36:37]
	s_orn2_b64 s[40:41], vcc, exec
.LBB985_94:
	s_or_b64 exec, exec, s[38:39]
.LBB985_95:
	v_cmp_ne_u32_e32 vcc, 0, v0
	s_waitcnt lgkmcnt(0)
	v_mov_b64_e32 v[32:33], s[6:7]
	s_barrier
	s_and_saveexec_b64 s[38:39], vcc
	s_cbranch_execz .LBB985_97
; %bb.96:
	v_add_u32_e32 v32, -8, v45
	ds_read_b64 v[32:33], v32
.LBB985_97:
	s_or_b64 exec, exec, s[38:39]
	v_cndmask_b32_e64 v35, 0, 1, s[36:37]
	v_cndmask_b32_e64 v34, 0, 1, s[18:19]
	;; [unrolled: 1-line block ×3, first 2 shown]
	v_lshlrev_b16_e32 v35, 8, v35
	v_lshlrev_b16_e32 v36, 8, v36
	v_or_b32_sdwa v37, v34, v35 dst_sel:WORD_1 dst_unused:UNUSED_PAD src0_sel:DWORD src1_sel:DWORD
	s_mov_b64 s[36:37], 0
	s_and_b64 vcc, exec, s[4:5]
	s_mov_b64 s[18:19], 0
	s_cbranch_vccnz .LBB985_106
; %bb.98:
	s_waitcnt lgkmcnt(0)
	v_mul_lo_u32 v34, v33, s26
	v_mul_lo_u32 v35, v32, s27
	v_mad_u64_u32 v[32:33], s[18:19], v32, s26, 0
	v_add3_u32 v33, v33, v35, v34
	v_lshl_add_u64 v[32:33], v[32:33], 2, s[28:29]
	global_load_dword v34, v[32:33], off
	global_load_dword v35, v[30:31], off
	s_mov_b64 s[18:19], -1
	s_waitcnt vmcnt(0)
	v_cmp_eq_f32_e32 vcc, v34, v35
	s_and_saveexec_b64 s[38:39], vcc
	s_cbranch_execz .LBB985_105
; %bb.99:
	s_add_u32 s18, s26, -1
	v_lshl_add_u64 v[30:31], v[30:31], 0, 4
	v_lshl_add_u64 v[32:33], v[32:33], 0, 4
	s_addc_u32 s19, s27, -1
	s_mov_b64 s[40:41], 0
	s_mov_b64 s[44:45], 0
                                        ; implicit-def: $sgpr42_sgpr43
	s_branch .LBB985_102
.LBB985_100:                            ;   in Loop: Header=BB985_102 Depth=1
	global_load_dword v34, v[32:33], off
	global_load_dword v35, v[30:31], off
	s_add_u32 s44, s44, 1
	s_addc_u32 s45, s45, 0
	s_andn2_b64 s[42:43], s[42:43], exec
	v_lshl_add_u64 v[30:31], v[30:31], 0, 4
	v_lshl_add_u64 v[32:33], v[32:33], 0, 4
	s_waitcnt vmcnt(0)
	v_cmp_neq_f32_e32 vcc, v34, v35
	s_and_b64 s[46:47], vcc, exec
	s_or_b64 s[42:43], s[42:43], s[46:47]
.LBB985_101:                            ;   in Loop: Header=BB985_102 Depth=1
	s_and_b64 s[46:47], exec, s[42:43]
	s_or_b64 s[40:41], s[46:47], s[40:41]
	v_mov_b64_e32 v[34:35], s[44:45]
	s_andn2_b64 exec, exec, s[40:41]
	s_cbranch_execz .LBB985_104
.LBB985_102:                            ; =>This Inner Loop Header: Depth=1
	s_or_b64 s[42:43], s[42:43], exec
	s_cmp_eq_u64 s[18:19], s[44:45]
	s_cbranch_scc0 .LBB985_100
; %bb.103:                              ;   in Loop: Header=BB985_102 Depth=1
                                        ; implicit-def: $vgpr30_vgpr31
                                        ; implicit-def: $vgpr32_vgpr33
	s_mov_b64 s[44:45], s[26:27]
	s_branch .LBB985_101
.LBB985_104:
	s_or_b64 exec, exec, s[40:41]
	v_cmp_gt_i64_e32 vcc, s[26:27], v[34:35]
	s_orn2_b64 s[18:19], vcc, exec
.LBB985_105:
	s_or_b64 exec, exec, s[38:39]
.LBB985_106:
	v_cndmask_b32_e64 v46, 0, 1, s[12:13]
	v_cndmask_b32_e64 v47, 0, 1, s[14:15]
	;; [unrolled: 1-line block ×3, first 2 shown]
	v_or_b32_e32 v34, v36, v37
	s_and_b64 vcc, exec, s[36:37]
	s_cbranch_vccz .LBB985_187
.LBB985_107:
	v_cmp_gt_u32_e32 vcc, s3, v40
	s_mov_b64 s[12:13], 0
	s_mov_b64 s[10:11], 0
	s_and_saveexec_b64 s[14:15], vcc
	s_cbranch_execz .LBB985_118
; %bb.108:
	s_and_b64 vcc, exec, s[4:5]
	s_mov_b64 s[18:19], 0
	s_cbranch_vccnz .LBB985_117
; %bb.109:
	s_waitcnt lgkmcnt(0)
	v_mul_lo_u32 v32, v17, s26
	v_mul_lo_u32 v33, v16, s27
	v_mad_u64_u32 v[30:31], s[10:11], v16, s26, 0
	v_add3_u32 v31, v31, v33, v32
	v_mul_lo_u32 v32, v29, s26
	v_mul_lo_u32 v33, v28, s27
	v_mad_u64_u32 v[34:35], s[10:11], v28, s26, 0
	v_add3_u32 v35, v35, v33, v32
	v_lshl_add_u64 v[32:33], v[30:31], 2, s[28:29]
	v_lshl_add_u64 v[30:31], v[34:35], 2, s[28:29]
	global_load_dword v34, v[32:33], off
	global_load_dword v35, v[30:31], off
	s_mov_b64 s[18:19], -1
	s_waitcnt vmcnt(0)
	v_cmp_eq_f32_e32 vcc, v34, v35
	s_and_saveexec_b64 s[10:11], vcc
	s_cbranch_execz .LBB985_116
; %bb.110:
	s_add_u32 s18, s26, -1
	v_lshl_add_u64 v[30:31], v[30:31], 0, 4
	v_lshl_add_u64 v[32:33], v[32:33], 0, 4
	s_addc_u32 s19, s27, -1
	s_mov_b64 s[36:37], 0
	s_mov_b64 s[40:41], 0
                                        ; implicit-def: $sgpr38_sgpr39
	s_branch .LBB985_113
.LBB985_111:                            ;   in Loop: Header=BB985_113 Depth=1
	global_load_dword v34, v[32:33], off
	global_load_dword v35, v[30:31], off
	s_add_u32 s40, s40, 1
	s_addc_u32 s41, s41, 0
	s_andn2_b64 s[38:39], s[38:39], exec
	v_lshl_add_u64 v[30:31], v[30:31], 0, 4
	v_lshl_add_u64 v[32:33], v[32:33], 0, 4
	s_waitcnt vmcnt(0)
	v_cmp_neq_f32_e32 vcc, v34, v35
	s_and_b64 s[42:43], vcc, exec
	s_or_b64 s[38:39], s[38:39], s[42:43]
.LBB985_112:                            ;   in Loop: Header=BB985_113 Depth=1
	s_and_b64 s[42:43], exec, s[38:39]
	s_or_b64 s[36:37], s[42:43], s[36:37]
	v_mov_b64_e32 v[34:35], s[40:41]
	s_andn2_b64 exec, exec, s[36:37]
	s_cbranch_execz .LBB985_115
.LBB985_113:                            ; =>This Inner Loop Header: Depth=1
	s_or_b64 s[38:39], s[38:39], exec
	s_cmp_eq_u64 s[18:19], s[40:41]
	s_cbranch_scc0 .LBB985_111
; %bb.114:                              ;   in Loop: Header=BB985_113 Depth=1
                                        ; implicit-def: $vgpr30_vgpr31
                                        ; implicit-def: $vgpr32_vgpr33
	s_mov_b64 s[40:41], s[26:27]
	s_branch .LBB985_112
.LBB985_115:
	s_or_b64 exec, exec, s[36:37]
	v_cmp_gt_i64_e32 vcc, s[26:27], v[34:35]
	s_orn2_b64 s[18:19], vcc, exec
.LBB985_116:
	s_or_b64 exec, exec, s[10:11]
.LBB985_117:
	s_and_b64 s[10:11], s[18:19], exec
.LBB985_118:
	s_or_b64 exec, exec, s[14:15]
	v_cmp_gt_u32_e32 vcc, s3, v43
	s_and_saveexec_b64 s[14:15], vcc
	s_cbranch_execz .LBB985_129
; %bb.119:
	s_and_b64 vcc, exec, s[4:5]
	s_mov_b64 s[18:19], 0
	s_cbranch_vccnz .LBB985_128
; %bb.120:
	s_waitcnt lgkmcnt(0)
	v_mul_lo_u32 v32, v15, s26
	v_mul_lo_u32 v33, v14, s27
	v_mad_u64_u32 v[30:31], s[12:13], v14, s26, 0
	v_add3_u32 v31, v31, v33, v32
	v_mul_lo_u32 v32, v17, s26
	v_mul_lo_u32 v33, v16, s27
	v_mad_u64_u32 v[34:35], s[12:13], v16, s26, 0
	v_add3_u32 v35, v35, v33, v32
	v_lshl_add_u64 v[32:33], v[30:31], 2, s[28:29]
	v_lshl_add_u64 v[30:31], v[34:35], 2, s[28:29]
	global_load_dword v34, v[32:33], off
	global_load_dword v35, v[30:31], off
	s_mov_b64 s[18:19], -1
	s_waitcnt vmcnt(0)
	v_cmp_eq_f32_e32 vcc, v34, v35
	s_and_saveexec_b64 s[12:13], vcc
	s_cbranch_execz .LBB985_127
; %bb.121:
	s_add_u32 s18, s26, -1
	v_lshl_add_u64 v[30:31], v[30:31], 0, 4
	v_lshl_add_u64 v[32:33], v[32:33], 0, 4
	s_addc_u32 s19, s27, -1
	s_mov_b64 s[36:37], 0
	s_mov_b64 s[40:41], 0
                                        ; implicit-def: $sgpr38_sgpr39
	s_branch .LBB985_124
.LBB985_122:                            ;   in Loop: Header=BB985_124 Depth=1
	global_load_dword v34, v[32:33], off
	global_load_dword v35, v[30:31], off
	s_add_u32 s40, s40, 1
	s_addc_u32 s41, s41, 0
	s_andn2_b64 s[38:39], s[38:39], exec
	v_lshl_add_u64 v[30:31], v[30:31], 0, 4
	v_lshl_add_u64 v[32:33], v[32:33], 0, 4
	s_waitcnt vmcnt(0)
	v_cmp_neq_f32_e32 vcc, v34, v35
	s_and_b64 s[42:43], vcc, exec
	s_or_b64 s[38:39], s[38:39], s[42:43]
.LBB985_123:                            ;   in Loop: Header=BB985_124 Depth=1
	s_and_b64 s[42:43], exec, s[38:39]
	s_or_b64 s[36:37], s[42:43], s[36:37]
	v_mov_b64_e32 v[34:35], s[40:41]
	s_andn2_b64 exec, exec, s[36:37]
	s_cbranch_execz .LBB985_126
.LBB985_124:                            ; =>This Inner Loop Header: Depth=1
	s_or_b64 s[38:39], s[38:39], exec
	s_cmp_eq_u64 s[18:19], s[40:41]
	s_cbranch_scc0 .LBB985_122
; %bb.125:                              ;   in Loop: Header=BB985_124 Depth=1
                                        ; implicit-def: $vgpr30_vgpr31
                                        ; implicit-def: $vgpr32_vgpr33
	s_mov_b64 s[40:41], s[26:27]
	s_branch .LBB985_123
.LBB985_126:
	s_or_b64 exec, exec, s[36:37]
	v_cmp_gt_i64_e32 vcc, s[26:27], v[34:35]
	s_orn2_b64 s[18:19], vcc, exec
.LBB985_127:
	s_or_b64 exec, exec, s[12:13]
.LBB985_128:
	s_and_b64 s[12:13], s[18:19], exec
.LBB985_129:
	s_or_b64 exec, exec, s[14:15]
	v_cmp_gt_u32_e32 vcc, s3, v39
	s_mov_b64 s[18:19], 0
	s_mov_b64 s[14:15], 0
	s_and_saveexec_b64 s[36:37], vcc
	s_cbranch_execz .LBB985_140
; %bb.130:
	s_and_b64 vcc, exec, s[4:5]
	s_mov_b64 s[38:39], 0
	s_cbranch_vccnz .LBB985_139
; %bb.131:
	s_waitcnt lgkmcnt(0)
	v_mul_lo_u32 v32, v21, s26
	v_mul_lo_u32 v33, v20, s27
	v_mad_u64_u32 v[30:31], s[14:15], v20, s26, 0
	v_add3_u32 v31, v31, v33, v32
	v_mul_lo_u32 v32, v15, s26
	v_mul_lo_u32 v33, v14, s27
	v_mad_u64_u32 v[34:35], s[14:15], v14, s26, 0
	v_add3_u32 v35, v35, v33, v32
	v_lshl_add_u64 v[32:33], v[30:31], 2, s[28:29]
	v_lshl_add_u64 v[30:31], v[34:35], 2, s[28:29]
	global_load_dword v34, v[32:33], off
	global_load_dword v35, v[30:31], off
	s_mov_b64 s[38:39], -1
	s_waitcnt vmcnt(0)
	v_cmp_eq_f32_e32 vcc, v34, v35
	s_and_saveexec_b64 s[14:15], vcc
	s_cbranch_execz .LBB985_138
; %bb.132:
	s_add_u32 s38, s26, -1
	v_lshl_add_u64 v[30:31], v[30:31], 0, 4
	v_lshl_add_u64 v[32:33], v[32:33], 0, 4
	s_addc_u32 s39, s27, -1
	s_mov_b64 s[40:41], 0
	s_mov_b64 s[44:45], 0
                                        ; implicit-def: $sgpr42_sgpr43
	s_branch .LBB985_135
.LBB985_133:                            ;   in Loop: Header=BB985_135 Depth=1
	global_load_dword v34, v[32:33], off
	global_load_dword v35, v[30:31], off
	s_add_u32 s44, s44, 1
	s_addc_u32 s45, s45, 0
	s_andn2_b64 s[42:43], s[42:43], exec
	v_lshl_add_u64 v[30:31], v[30:31], 0, 4
	v_lshl_add_u64 v[32:33], v[32:33], 0, 4
	s_waitcnt vmcnt(0)
	v_cmp_neq_f32_e32 vcc, v34, v35
	s_and_b64 s[46:47], vcc, exec
	s_or_b64 s[42:43], s[42:43], s[46:47]
.LBB985_134:                            ;   in Loop: Header=BB985_135 Depth=1
	s_and_b64 s[46:47], exec, s[42:43]
	s_or_b64 s[40:41], s[46:47], s[40:41]
	v_mov_b64_e32 v[34:35], s[44:45]
	s_andn2_b64 exec, exec, s[40:41]
	s_cbranch_execz .LBB985_137
.LBB985_135:                            ; =>This Inner Loop Header: Depth=1
	s_or_b64 s[42:43], s[42:43], exec
	s_cmp_eq_u64 s[38:39], s[44:45]
	s_cbranch_scc0 .LBB985_133
; %bb.136:                              ;   in Loop: Header=BB985_135 Depth=1
                                        ; implicit-def: $vgpr30_vgpr31
                                        ; implicit-def: $vgpr32_vgpr33
	s_mov_b64 s[44:45], s[26:27]
	s_branch .LBB985_134
.LBB985_137:
	s_or_b64 exec, exec, s[40:41]
	v_cmp_gt_i64_e32 vcc, s[26:27], v[34:35]
	s_orn2_b64 s[38:39], vcc, exec
.LBB985_138:
	s_or_b64 exec, exec, s[14:15]
.LBB985_139:
	s_and_b64 s[14:15], s[38:39], exec
.LBB985_140:
	s_or_b64 exec, exec, s[36:37]
	v_cmp_gt_u32_e32 vcc, s3, v42
	s_and_saveexec_b64 s[36:37], vcc
	s_cbranch_execz .LBB985_151
; %bb.141:
	s_and_b64 vcc, exec, s[4:5]
	s_mov_b64 s[38:39], 0
	s_cbranch_vccnz .LBB985_150
; %bb.142:
	s_waitcnt lgkmcnt(0)
	v_mul_lo_u32 v32, v19, s26
	v_mul_lo_u32 v33, v18, s27
	v_mad_u64_u32 v[30:31], s[18:19], v18, s26, 0
	v_add3_u32 v31, v31, v33, v32
	v_mul_lo_u32 v32, v21, s26
	v_mul_lo_u32 v33, v20, s27
	v_mad_u64_u32 v[34:35], s[18:19], v20, s26, 0
	v_add3_u32 v35, v35, v33, v32
	v_lshl_add_u64 v[32:33], v[30:31], 2, s[28:29]
	v_lshl_add_u64 v[30:31], v[34:35], 2, s[28:29]
	global_load_dword v34, v[32:33], off
	global_load_dword v35, v[30:31], off
	s_mov_b64 s[38:39], -1
	s_waitcnt vmcnt(0)
	v_cmp_eq_f32_e32 vcc, v34, v35
	s_and_saveexec_b64 s[18:19], vcc
	s_cbranch_execz .LBB985_149
; %bb.143:
	s_add_u32 s38, s26, -1
	v_lshl_add_u64 v[30:31], v[30:31], 0, 4
	v_lshl_add_u64 v[32:33], v[32:33], 0, 4
	s_addc_u32 s39, s27, -1
	s_mov_b64 s[40:41], 0
	s_mov_b64 s[44:45], 0
                                        ; implicit-def: $sgpr42_sgpr43
	s_branch .LBB985_146
.LBB985_144:                            ;   in Loop: Header=BB985_146 Depth=1
	global_load_dword v34, v[32:33], off
	global_load_dword v35, v[30:31], off
	s_add_u32 s44, s44, 1
	s_addc_u32 s45, s45, 0
	s_andn2_b64 s[42:43], s[42:43], exec
	v_lshl_add_u64 v[30:31], v[30:31], 0, 4
	v_lshl_add_u64 v[32:33], v[32:33], 0, 4
	s_waitcnt vmcnt(0)
	v_cmp_neq_f32_e32 vcc, v34, v35
	s_and_b64 s[46:47], vcc, exec
	s_or_b64 s[42:43], s[42:43], s[46:47]
.LBB985_145:                            ;   in Loop: Header=BB985_146 Depth=1
	s_and_b64 s[46:47], exec, s[42:43]
	s_or_b64 s[40:41], s[46:47], s[40:41]
	v_mov_b64_e32 v[34:35], s[44:45]
	s_andn2_b64 exec, exec, s[40:41]
	s_cbranch_execz .LBB985_148
.LBB985_146:                            ; =>This Inner Loop Header: Depth=1
	s_or_b64 s[42:43], s[42:43], exec
	s_cmp_eq_u64 s[38:39], s[44:45]
	s_cbranch_scc0 .LBB985_144
; %bb.147:                              ;   in Loop: Header=BB985_146 Depth=1
                                        ; implicit-def: $vgpr30_vgpr31
                                        ; implicit-def: $vgpr32_vgpr33
	s_mov_b64 s[44:45], s[26:27]
	s_branch .LBB985_145
.LBB985_148:
	s_or_b64 exec, exec, s[40:41]
	v_cmp_gt_i64_e32 vcc, s[26:27], v[34:35]
	s_orn2_b64 s[38:39], vcc, exec
.LBB985_149:
	s_or_b64 exec, exec, s[18:19]
.LBB985_150:
	s_and_b64 s[18:19], s[38:39], exec
.LBB985_151:
	s_or_b64 exec, exec, s[36:37]
	v_cmp_gt_u32_e32 vcc, s3, v38
	s_mov_b64 s[36:37], 0
	s_mov_b64 s[38:39], 0
	s_and_saveexec_b64 s[40:41], vcc
	s_cbranch_execz .LBB985_162
; %bb.152:
	s_and_b64 vcc, exec, s[4:5]
	s_mov_b64 s[42:43], 0
	s_cbranch_vccnz .LBB985_161
; %bb.153:
	s_waitcnt lgkmcnt(0)
	v_mul_lo_u32 v32, v25, s26
	v_mul_lo_u32 v33, v24, s27
	v_mad_u64_u32 v[30:31], s[38:39], v24, s26, 0
	v_add3_u32 v31, v31, v33, v32
	v_mul_lo_u32 v32, v19, s26
	v_mul_lo_u32 v33, v18, s27
	v_mad_u64_u32 v[34:35], s[38:39], v18, s26, 0
	v_add3_u32 v35, v35, v33, v32
	v_lshl_add_u64 v[32:33], v[30:31], 2, s[28:29]
	v_lshl_add_u64 v[30:31], v[34:35], 2, s[28:29]
	global_load_dword v34, v[32:33], off
	global_load_dword v35, v[30:31], off
	s_mov_b64 s[42:43], -1
	s_waitcnt vmcnt(0)
	v_cmp_eq_f32_e32 vcc, v34, v35
	s_and_saveexec_b64 s[38:39], vcc
	s_cbranch_execz .LBB985_160
; %bb.154:
	s_add_u32 s42, s26, -1
	v_lshl_add_u64 v[30:31], v[30:31], 0, 4
	v_lshl_add_u64 v[32:33], v[32:33], 0, 4
	s_addc_u32 s43, s27, -1
	s_mov_b64 s[44:45], 0
	s_mov_b64 s[48:49], 0
                                        ; implicit-def: $sgpr46_sgpr47
	s_branch .LBB985_157
.LBB985_155:                            ;   in Loop: Header=BB985_157 Depth=1
	global_load_dword v34, v[32:33], off
	global_load_dword v35, v[30:31], off
	s_add_u32 s48, s48, 1
	s_addc_u32 s49, s49, 0
	s_andn2_b64 s[46:47], s[46:47], exec
	v_lshl_add_u64 v[30:31], v[30:31], 0, 4
	v_lshl_add_u64 v[32:33], v[32:33], 0, 4
	s_waitcnt vmcnt(0)
	v_cmp_neq_f32_e32 vcc, v34, v35
	s_and_b64 s[50:51], vcc, exec
	s_or_b64 s[46:47], s[46:47], s[50:51]
.LBB985_156:                            ;   in Loop: Header=BB985_157 Depth=1
	s_and_b64 s[50:51], exec, s[46:47]
	s_or_b64 s[44:45], s[50:51], s[44:45]
	v_mov_b64_e32 v[34:35], s[48:49]
	s_andn2_b64 exec, exec, s[44:45]
	s_cbranch_execz .LBB985_159
.LBB985_157:                            ; =>This Inner Loop Header: Depth=1
	s_or_b64 s[46:47], s[46:47], exec
	s_cmp_eq_u64 s[42:43], s[48:49]
	s_cbranch_scc0 .LBB985_155
; %bb.158:                              ;   in Loop: Header=BB985_157 Depth=1
                                        ; implicit-def: $vgpr30_vgpr31
                                        ; implicit-def: $vgpr32_vgpr33
	s_mov_b64 s[48:49], s[26:27]
	s_branch .LBB985_156
.LBB985_159:
	s_or_b64 exec, exec, s[44:45]
	v_cmp_gt_i64_e32 vcc, s[26:27], v[34:35]
	s_orn2_b64 s[42:43], vcc, exec
.LBB985_160:
	s_or_b64 exec, exec, s[38:39]
.LBB985_161:
	s_and_b64 s[38:39], s[42:43], exec
.LBB985_162:
	s_or_b64 exec, exec, s[40:41]
	v_cmp_gt_u32_e32 vcc, s3, v41
	s_and_saveexec_b64 s[40:41], vcc
	s_cbranch_execz .LBB985_173
; %bb.163:
	s_and_b64 vcc, exec, s[4:5]
	s_mov_b64 s[42:43], 0
	s_cbranch_vccnz .LBB985_172
; %bb.164:
	s_waitcnt lgkmcnt(0)
	v_mul_lo_u32 v32, v23, s26
	v_mul_lo_u32 v33, v22, s27
	v_mad_u64_u32 v[30:31], s[36:37], v22, s26, 0
	v_add3_u32 v31, v31, v33, v32
	v_mul_lo_u32 v32, v25, s26
	v_mul_lo_u32 v33, v24, s27
	v_mad_u64_u32 v[34:35], s[36:37], v24, s26, 0
	v_add3_u32 v35, v35, v33, v32
	v_lshl_add_u64 v[32:33], v[30:31], 2, s[28:29]
	v_lshl_add_u64 v[30:31], v[34:35], 2, s[28:29]
	global_load_dword v34, v[32:33], off
	global_load_dword v35, v[30:31], off
	s_mov_b64 s[42:43], -1
	s_waitcnt vmcnt(0)
	v_cmp_eq_f32_e32 vcc, v34, v35
	s_and_saveexec_b64 s[36:37], vcc
	s_cbranch_execz .LBB985_171
; %bb.165:
	s_add_u32 s42, s26, -1
	v_lshl_add_u64 v[30:31], v[30:31], 0, 4
	v_lshl_add_u64 v[32:33], v[32:33], 0, 4
	s_addc_u32 s43, s27, -1
	s_mov_b64 s[44:45], 0
	s_mov_b64 s[48:49], 0
                                        ; implicit-def: $sgpr46_sgpr47
	s_branch .LBB985_168
.LBB985_166:                            ;   in Loop: Header=BB985_168 Depth=1
	global_load_dword v34, v[32:33], off
	global_load_dword v35, v[30:31], off
	s_add_u32 s48, s48, 1
	s_addc_u32 s49, s49, 0
	s_andn2_b64 s[46:47], s[46:47], exec
	v_lshl_add_u64 v[30:31], v[30:31], 0, 4
	v_lshl_add_u64 v[32:33], v[32:33], 0, 4
	s_waitcnt vmcnt(0)
	v_cmp_neq_f32_e32 vcc, v34, v35
	s_and_b64 s[50:51], vcc, exec
	s_or_b64 s[46:47], s[46:47], s[50:51]
.LBB985_167:                            ;   in Loop: Header=BB985_168 Depth=1
	s_and_b64 s[50:51], exec, s[46:47]
	s_or_b64 s[44:45], s[50:51], s[44:45]
	v_mov_b64_e32 v[34:35], s[48:49]
	s_andn2_b64 exec, exec, s[44:45]
	s_cbranch_execz .LBB985_170
.LBB985_168:                            ; =>This Inner Loop Header: Depth=1
	s_or_b64 s[46:47], s[46:47], exec
	s_cmp_eq_u64 s[42:43], s[48:49]
	s_cbranch_scc0 .LBB985_166
; %bb.169:                              ;   in Loop: Header=BB985_168 Depth=1
                                        ; implicit-def: $vgpr30_vgpr31
                                        ; implicit-def: $vgpr32_vgpr33
	s_mov_b64 s[48:49], s[26:27]
	s_branch .LBB985_167
.LBB985_170:
	s_or_b64 exec, exec, s[44:45]
	v_cmp_gt_i64_e32 vcc, s[26:27], v[34:35]
	s_orn2_b64 s[42:43], vcc, exec
.LBB985_171:
	s_or_b64 exec, exec, s[36:37]
.LBB985_172:
	s_and_b64 s[36:37], s[42:43], exec
.LBB985_173:
	s_or_b64 exec, exec, s[40:41]
	v_cmp_ne_u32_e32 vcc, 0, v0
	s_waitcnt lgkmcnt(0)
	v_mov_b64_e32 v[30:31], s[6:7]
	s_barrier
	s_and_saveexec_b64 s[6:7], vcc
	s_cbranch_execz .LBB985_175
; %bb.174:
	v_add_u32_e32 v30, -8, v45
	ds_read_b64 v[30:31], v30
.LBB985_175:
	s_or_b64 exec, exec, s[6:7]
	v_cndmask_b32_e64 v33, 0, 1, s[18:19]
	v_cndmask_b32_e64 v32, 0, 1, s[38:39]
	;; [unrolled: 1-line block ×3, first 2 shown]
	v_lshlrev_b16_e32 v33, 8, v33
	v_cmp_gt_u32_e32 vcc, s3, v1
	v_lshlrev_b16_e32 v36, 8, v34
	v_or_b32_sdwa v37, v32, v33 dst_sel:WORD_1 dst_unused:UNUSED_PAD src0_sel:DWORD src1_sel:DWORD
	s_mov_b64 s[18:19], 0
	s_and_saveexec_b64 s[6:7], vcc
	s_cbranch_execz .LBB985_186
; %bb.176:
	s_and_b64 vcc, exec, s[4:5]
	s_cbranch_vccnz .LBB985_185
; %bb.177:
	s_waitcnt lgkmcnt(0)
	v_mul_lo_u32 v32, v31, s26
	v_mul_lo_u32 v33, v30, s27
	v_mad_u64_u32 v[30:31], s[4:5], v30, s26, 0
	v_add3_u32 v31, v31, v33, v32
	v_mul_lo_u32 v32, v23, s26
	v_mul_lo_u32 v33, v22, s27
	v_mad_u64_u32 v[34:35], s[4:5], v22, s26, 0
	v_add3_u32 v35, v35, v33, v32
	v_lshl_add_u64 v[32:33], v[30:31], 2, s[28:29]
	v_lshl_add_u64 v[30:31], v[34:35], 2, s[28:29]
	global_load_dword v34, v[32:33], off
	global_load_dword v35, v[30:31], off
	s_mov_b64 s[18:19], -1
	s_waitcnt vmcnt(0)
	v_cmp_eq_f32_e32 vcc, v34, v35
	s_and_saveexec_b64 s[4:5], vcc
	s_cbranch_execz .LBB985_184
; %bb.178:
	s_add_u32 s18, s26, -1
	v_lshl_add_u64 v[30:31], v[30:31], 0, 4
	v_lshl_add_u64 v[32:33], v[32:33], 0, 4
	s_addc_u32 s19, s27, -1
	s_mov_b64 s[36:37], 0
	s_mov_b64 s[40:41], 0
                                        ; implicit-def: $sgpr38_sgpr39
	s_branch .LBB985_181
.LBB985_179:                            ;   in Loop: Header=BB985_181 Depth=1
	global_load_dword v34, v[32:33], off
	global_load_dword v35, v[30:31], off
	s_add_u32 s40, s40, 1
	s_addc_u32 s41, s41, 0
	s_andn2_b64 s[38:39], s[38:39], exec
	v_lshl_add_u64 v[30:31], v[30:31], 0, 4
	v_lshl_add_u64 v[32:33], v[32:33], 0, 4
	s_waitcnt vmcnt(0)
	v_cmp_neq_f32_e32 vcc, v34, v35
	s_and_b64 s[42:43], vcc, exec
	s_or_b64 s[38:39], s[38:39], s[42:43]
.LBB985_180:                            ;   in Loop: Header=BB985_181 Depth=1
	s_and_b64 s[42:43], exec, s[38:39]
	s_or_b64 s[36:37], s[42:43], s[36:37]
	v_mov_b64_e32 v[34:35], s[40:41]
	s_andn2_b64 exec, exec, s[36:37]
	s_cbranch_execz .LBB985_183
.LBB985_181:                            ; =>This Inner Loop Header: Depth=1
	s_or_b64 s[38:39], s[38:39], exec
	s_cmp_eq_u64 s[18:19], s[40:41]
	s_cbranch_scc0 .LBB985_179
; %bb.182:                              ;   in Loop: Header=BB985_181 Depth=1
                                        ; implicit-def: $vgpr30_vgpr31
                                        ; implicit-def: $vgpr32_vgpr33
	s_mov_b64 s[40:41], s[26:27]
	s_branch .LBB985_180
.LBB985_183:
	s_or_b64 exec, exec, s[36:37]
	v_cmp_gt_i64_e32 vcc, s[26:27], v[34:35]
	s_orn2_b64 s[18:19], vcc, exec
.LBB985_184:
	s_or_b64 exec, exec, s[4:5]
.LBB985_185:
	s_and_b64 s[18:19], s[18:19], exec
.LBB985_186:
	s_or_b64 exec, exec, s[6:7]
	v_cndmask_b32_e64 v46, 0, 1, s[14:15]
	v_cndmask_b32_e64 v47, 0, 1, s[12:13]
	;; [unrolled: 1-line block ×3, first 2 shown]
	v_or_b32_e32 v34, v36, v37
.LBB985_187:
	s_mov_b64 s[10:11], -1
	s_cbranch_execnz .LBB985_46
.LBB985_188:
	s_movk_i32 s4, 0xffd0
	v_mad_i32_i24 v44, v0, s4, v44
	s_mov_b64 s[12:13], 0
	s_waitcnt lgkmcnt(0)
	v_cmp_gt_i64_e64 s[6:7], s[26:27], 0
	s_and_b64 vcc, exec, s[34:35]
	ds_write_b64 v44, v[28:29]
	s_cbranch_vccz .LBB985_196
; %bb.189:
	v_mul_lo_u32 v32, v17, s26
	v_mul_lo_u32 v33, v16, s27
	v_mad_u64_u32 v[30:31], s[4:5], v16, s26, 0
	v_add3_u32 v31, v31, v33, v32
	v_cndmask_b32_e64 v32, 0, 1, s[6:7]
	v_cmp_ne_u32_e64 s[4:5], 1, v32
	s_andn2_b64 vcc, exec, s[6:7]
	v_lshl_add_u64 v[30:31], v[30:31], 2, s[28:29]
	s_cbranch_vccnz .LBB985_199
; %bb.190:
	v_mul_lo_u32 v34, v29, s26
	v_mul_lo_u32 v35, v28, s27
	v_mad_u64_u32 v[32:33], s[12:13], v28, s26, 0
	v_add3_u32 v33, v33, v35, v34
	v_lshl_add_u64 v[32:33], v[32:33], 2, s[28:29]
	global_load_dword v34, v[30:31], off
	global_load_dword v35, v[32:33], off
	s_mov_b64 s[12:13], -1
	s_waitcnt vmcnt(0)
	v_cmp_eq_f32_e32 vcc, v34, v35
	s_and_saveexec_b64 s[14:15], vcc
	s_cbranch_execz .LBB985_198
; %bb.191:
	s_add_u32 s12, s26, -1
	v_lshl_add_u64 v[32:33], v[32:33], 0, 4
	v_lshl_add_u64 v[34:35], v[30:31], 0, 4
	s_addc_u32 s13, s27, -1
	s_mov_b64 s[18:19], 0
	s_mov_b64 s[38:39], 0
                                        ; implicit-def: $sgpr36_sgpr37
	s_branch .LBB985_194
.LBB985_192:                            ;   in Loop: Header=BB985_194 Depth=1
	global_load_dword v36, v[34:35], off
	global_load_dword v37, v[32:33], off
	s_add_u32 s38, s38, 1
	s_addc_u32 s39, s39, 0
	s_andn2_b64 s[36:37], s[36:37], exec
	v_lshl_add_u64 v[32:33], v[32:33], 0, 4
	v_lshl_add_u64 v[34:35], v[34:35], 0, 4
	s_waitcnt vmcnt(0)
	v_cmp_neq_f32_e32 vcc, v36, v37
	s_and_b64 s[40:41], vcc, exec
	s_or_b64 s[36:37], s[36:37], s[40:41]
.LBB985_193:                            ;   in Loop: Header=BB985_194 Depth=1
	s_and_b64 s[40:41], exec, s[36:37]
	s_or_b64 s[18:19], s[40:41], s[18:19]
	v_mov_b64_e32 v[36:37], s[38:39]
	s_andn2_b64 exec, exec, s[18:19]
	s_cbranch_execz .LBB985_197
.LBB985_194:                            ; =>This Inner Loop Header: Depth=1
	s_or_b64 s[36:37], s[36:37], exec
	s_cmp_eq_u64 s[12:13], s[38:39]
	s_cbranch_scc0 .LBB985_192
; %bb.195:                              ;   in Loop: Header=BB985_194 Depth=1
                                        ; implicit-def: $vgpr32_vgpr33
                                        ; implicit-def: $vgpr34_vgpr35
	s_mov_b64 s[38:39], s[26:27]
	s_branch .LBB985_193
.LBB985_196:
                                        ; implicit-def: $sgpr18_sgpr19
                                        ; implicit-def: $vgpr48
                                        ; implicit-def: $vgpr47
                                        ; implicit-def: $vgpr46
                                        ; implicit-def: $vgpr34
                                        ; implicit-def: $vgpr30_vgpr31
	s_cbranch_execnz .LBB985_256
	s_branch .LBB985_336
.LBB985_197:
	s_or_b64 exec, exec, s[18:19]
	v_cmp_gt_i64_e32 vcc, s[26:27], v[36:37]
	s_orn2_b64 s[12:13], vcc, exec
.LBB985_198:
	s_or_b64 exec, exec, s[14:15]
.LBB985_199:
	v_mul_lo_u32 v34, v15, s26
	v_mul_lo_u32 v35, v14, s27
	v_mad_u64_u32 v[32:33], s[14:15], v14, s26, 0
	v_add3_u32 v33, v33, v35, v34
	s_mov_b64 s[14:15], 0
	s_and_b64 vcc, exec, s[4:5]
	v_lshl_add_u64 v[32:33], v[32:33], 2, s[28:29]
	s_mov_b64 s[18:19], 0
	s_cbranch_vccnz .LBB985_208
; %bb.200:
	global_load_dword v34, v[32:33], off
	global_load_dword v35, v[30:31], off
	s_mov_b64 s[18:19], -1
	s_waitcnt vmcnt(0)
	v_cmp_eq_f32_e32 vcc, v34, v35
	s_and_saveexec_b64 s[36:37], vcc
	s_cbranch_execz .LBB985_207
; %bb.201:
	s_add_u32 s18, s26, -1
	v_lshl_add_u64 v[30:31], v[30:31], 0, 4
	v_lshl_add_u64 v[34:35], v[32:33], 0, 4
	s_addc_u32 s19, s27, -1
	s_mov_b64 s[38:39], 0
	s_mov_b64 s[42:43], 0
                                        ; implicit-def: $sgpr40_sgpr41
	s_branch .LBB985_204
.LBB985_202:                            ;   in Loop: Header=BB985_204 Depth=1
	global_load_dword v36, v[34:35], off
	global_load_dword v37, v[30:31], off
	s_add_u32 s42, s42, 1
	s_addc_u32 s43, s43, 0
	s_andn2_b64 s[40:41], s[40:41], exec
	v_lshl_add_u64 v[30:31], v[30:31], 0, 4
	v_lshl_add_u64 v[34:35], v[34:35], 0, 4
	s_waitcnt vmcnt(0)
	v_cmp_neq_f32_e32 vcc, v36, v37
	s_and_b64 s[44:45], vcc, exec
	s_or_b64 s[40:41], s[40:41], s[44:45]
.LBB985_203:                            ;   in Loop: Header=BB985_204 Depth=1
	s_and_b64 s[44:45], exec, s[40:41]
	s_or_b64 s[38:39], s[44:45], s[38:39]
	v_mov_b64_e32 v[36:37], s[42:43]
	s_andn2_b64 exec, exec, s[38:39]
	s_cbranch_execz .LBB985_206
.LBB985_204:                            ; =>This Inner Loop Header: Depth=1
	s_or_b64 s[40:41], s[40:41], exec
	s_cmp_eq_u64 s[18:19], s[42:43]
	s_cbranch_scc0 .LBB985_202
; %bb.205:                              ;   in Loop: Header=BB985_204 Depth=1
                                        ; implicit-def: $vgpr30_vgpr31
                                        ; implicit-def: $vgpr34_vgpr35
	s_mov_b64 s[42:43], s[26:27]
	s_branch .LBB985_203
.LBB985_206:
	s_or_b64 exec, exec, s[38:39]
	v_cmp_gt_i64_e32 vcc, s[26:27], v[36:37]
	s_orn2_b64 s[18:19], vcc, exec
.LBB985_207:
	s_or_b64 exec, exec, s[36:37]
.LBB985_208:
	v_mul_lo_u32 v34, v21, s26
	v_mul_lo_u32 v35, v20, s27
	v_mad_u64_u32 v[30:31], s[36:37], v20, s26, 0
	v_add3_u32 v31, v31, v35, v34
	s_and_b64 vcc, exec, s[4:5]
	v_lshl_add_u64 v[30:31], v[30:31], 2, s[28:29]
	s_cbranch_vccnz .LBB985_217
; %bb.209:
	global_load_dword v34, v[30:31], off
	global_load_dword v35, v[32:33], off
	s_mov_b64 s[14:15], -1
	s_waitcnt vmcnt(0)
	v_cmp_eq_f32_e32 vcc, v34, v35
	s_and_saveexec_b64 s[36:37], vcc
	s_cbranch_execz .LBB985_216
; %bb.210:
	s_add_u32 s14, s26, -1
	v_lshl_add_u64 v[32:33], v[32:33], 0, 4
	v_lshl_add_u64 v[34:35], v[30:31], 0, 4
	s_addc_u32 s15, s27, -1
	s_mov_b64 s[38:39], 0
	s_mov_b64 s[42:43], 0
                                        ; implicit-def: $sgpr40_sgpr41
	s_branch .LBB985_213
.LBB985_211:                            ;   in Loop: Header=BB985_213 Depth=1
	global_load_dword v36, v[34:35], off
	global_load_dword v37, v[32:33], off
	s_add_u32 s42, s42, 1
	s_addc_u32 s43, s43, 0
	s_andn2_b64 s[40:41], s[40:41], exec
	v_lshl_add_u64 v[32:33], v[32:33], 0, 4
	v_lshl_add_u64 v[34:35], v[34:35], 0, 4
	s_waitcnt vmcnt(0)
	v_cmp_neq_f32_e32 vcc, v36, v37
	s_and_b64 s[44:45], vcc, exec
	s_or_b64 s[40:41], s[40:41], s[44:45]
.LBB985_212:                            ;   in Loop: Header=BB985_213 Depth=1
	s_and_b64 s[44:45], exec, s[40:41]
	s_or_b64 s[38:39], s[44:45], s[38:39]
	v_mov_b64_e32 v[36:37], s[42:43]
	s_andn2_b64 exec, exec, s[38:39]
	s_cbranch_execz .LBB985_215
.LBB985_213:                            ; =>This Inner Loop Header: Depth=1
	s_or_b64 s[40:41], s[40:41], exec
	s_cmp_eq_u64 s[14:15], s[42:43]
	s_cbranch_scc0 .LBB985_211
; %bb.214:                              ;   in Loop: Header=BB985_213 Depth=1
                                        ; implicit-def: $vgpr32_vgpr33
                                        ; implicit-def: $vgpr34_vgpr35
	s_mov_b64 s[42:43], s[26:27]
	s_branch .LBB985_212
.LBB985_215:
	s_or_b64 exec, exec, s[38:39]
	v_cmp_gt_i64_e32 vcc, s[26:27], v[36:37]
	s_orn2_b64 s[14:15], vcc, exec
.LBB985_216:
	s_or_b64 exec, exec, s[36:37]
.LBB985_217:
	v_mul_lo_u32 v34, v19, s26
	v_mul_lo_u32 v35, v18, s27
	v_mad_u64_u32 v[32:33], s[36:37], v18, s26, 0
	v_add3_u32 v33, v33, v35, v34
	s_mov_b64 s[36:37], 0
	s_and_b64 vcc, exec, s[4:5]
	v_lshl_add_u64 v[32:33], v[32:33], 2, s[28:29]
	s_mov_b64 s[38:39], 0
	s_cbranch_vccnz .LBB985_226
; %bb.218:
	global_load_dword v34, v[32:33], off
	global_load_dword v35, v[30:31], off
	s_mov_b64 s[38:39], -1
	s_waitcnt vmcnt(0)
	v_cmp_eq_f32_e32 vcc, v34, v35
	s_and_saveexec_b64 s[40:41], vcc
	s_cbranch_execz .LBB985_225
; %bb.219:
	s_add_u32 s38, s26, -1
	v_lshl_add_u64 v[30:31], v[30:31], 0, 4
	v_lshl_add_u64 v[34:35], v[32:33], 0, 4
	s_addc_u32 s39, s27, -1
	s_mov_b64 s[42:43], 0
	s_mov_b64 s[46:47], 0
                                        ; implicit-def: $sgpr44_sgpr45
	s_branch .LBB985_222
.LBB985_220:                            ;   in Loop: Header=BB985_222 Depth=1
	global_load_dword v36, v[34:35], off
	global_load_dword v37, v[30:31], off
	s_add_u32 s46, s46, 1
	s_addc_u32 s47, s47, 0
	s_andn2_b64 s[44:45], s[44:45], exec
	v_lshl_add_u64 v[30:31], v[30:31], 0, 4
	v_lshl_add_u64 v[34:35], v[34:35], 0, 4
	s_waitcnt vmcnt(0)
	v_cmp_neq_f32_e32 vcc, v36, v37
	s_and_b64 s[48:49], vcc, exec
	s_or_b64 s[44:45], s[44:45], s[48:49]
.LBB985_221:                            ;   in Loop: Header=BB985_222 Depth=1
	s_and_b64 s[48:49], exec, s[44:45]
	s_or_b64 s[42:43], s[48:49], s[42:43]
	v_mov_b64_e32 v[36:37], s[46:47]
	s_andn2_b64 exec, exec, s[42:43]
	s_cbranch_execz .LBB985_224
.LBB985_222:                            ; =>This Inner Loop Header: Depth=1
	s_or_b64 s[44:45], s[44:45], exec
	s_cmp_eq_u64 s[38:39], s[46:47]
	s_cbranch_scc0 .LBB985_220
; %bb.223:                              ;   in Loop: Header=BB985_222 Depth=1
                                        ; implicit-def: $vgpr30_vgpr31
                                        ; implicit-def: $vgpr34_vgpr35
	s_mov_b64 s[46:47], s[26:27]
	s_branch .LBB985_221
.LBB985_224:
	s_or_b64 exec, exec, s[42:43]
	v_cmp_gt_i64_e32 vcc, s[26:27], v[36:37]
	s_orn2_b64 s[38:39], vcc, exec
.LBB985_225:
	s_or_b64 exec, exec, s[40:41]
.LBB985_226:
	v_mul_lo_u32 v34, v25, s26
	v_mul_lo_u32 v35, v24, s27
	v_mad_u64_u32 v[30:31], s[40:41], v24, s26, 0
	v_add3_u32 v31, v31, v35, v34
	s_and_b64 vcc, exec, s[4:5]
	v_lshl_add_u64 v[30:31], v[30:31], 2, s[28:29]
	s_cbranch_vccnz .LBB985_235
; %bb.227:
	global_load_dword v34, v[30:31], off
	global_load_dword v35, v[32:33], off
	s_mov_b64 s[36:37], -1
	s_waitcnt vmcnt(0)
	v_cmp_eq_f32_e32 vcc, v34, v35
	s_and_saveexec_b64 s[40:41], vcc
	s_cbranch_execz .LBB985_234
; %bb.228:
	s_add_u32 s36, s26, -1
	v_lshl_add_u64 v[32:33], v[32:33], 0, 4
	v_lshl_add_u64 v[34:35], v[30:31], 0, 4
	s_addc_u32 s37, s27, -1
	s_mov_b64 s[42:43], 0
	s_mov_b64 s[46:47], 0
                                        ; implicit-def: $sgpr44_sgpr45
	s_branch .LBB985_231
.LBB985_229:                            ;   in Loop: Header=BB985_231 Depth=1
	global_load_dword v36, v[34:35], off
	global_load_dword v37, v[32:33], off
	s_add_u32 s46, s46, 1
	s_addc_u32 s47, s47, 0
	s_andn2_b64 s[44:45], s[44:45], exec
	v_lshl_add_u64 v[32:33], v[32:33], 0, 4
	v_lshl_add_u64 v[34:35], v[34:35], 0, 4
	s_waitcnt vmcnt(0)
	v_cmp_neq_f32_e32 vcc, v36, v37
	s_and_b64 s[48:49], vcc, exec
	s_or_b64 s[44:45], s[44:45], s[48:49]
.LBB985_230:                            ;   in Loop: Header=BB985_231 Depth=1
	s_and_b64 s[48:49], exec, s[44:45]
	s_or_b64 s[42:43], s[48:49], s[42:43]
	v_mov_b64_e32 v[36:37], s[46:47]
	s_andn2_b64 exec, exec, s[42:43]
	s_cbranch_execz .LBB985_233
.LBB985_231:                            ; =>This Inner Loop Header: Depth=1
	s_or_b64 s[44:45], s[44:45], exec
	s_cmp_eq_u64 s[36:37], s[46:47]
	s_cbranch_scc0 .LBB985_229
; %bb.232:                              ;   in Loop: Header=BB985_231 Depth=1
                                        ; implicit-def: $vgpr32_vgpr33
                                        ; implicit-def: $vgpr34_vgpr35
	s_mov_b64 s[46:47], s[26:27]
	s_branch .LBB985_230
.LBB985_233:
	s_or_b64 exec, exec, s[42:43]
	v_cmp_gt_i64_e32 vcc, s[26:27], v[36:37]
	s_orn2_b64 s[36:37], vcc, exec
.LBB985_234:
	s_or_b64 exec, exec, s[40:41]
.LBB985_235:
	v_mul_lo_u32 v34, v23, s26
	v_mul_lo_u32 v35, v22, s27
	v_mad_u64_u32 v[32:33], s[40:41], v22, s26, 0
	v_add3_u32 v33, v33, v35, v34
	s_and_b64 vcc, exec, s[4:5]
	s_mov_b64 s[42:43], 0
	s_cbranch_vccnz .LBB985_244
; %bb.236:
	v_lshl_add_u64 v[34:35], v[32:33], 2, s[28:29]
	global_load_dword v36, v[34:35], off
	global_load_dword v37, v[30:31], off
	s_mov_b64 s[42:43], -1
	s_waitcnt vmcnt(0)
	v_cmp_eq_f32_e32 vcc, v36, v37
	s_and_saveexec_b64 s[40:41], vcc
	s_cbranch_execz .LBB985_243
; %bb.237:
	s_add_u32 s42, s26, -1
	v_lshl_add_u64 v[30:31], v[30:31], 0, 4
	v_lshl_add_u64 v[34:35], v[34:35], 0, 4
	s_addc_u32 s43, s27, -1
	s_mov_b64 s[44:45], 0
	s_mov_b64 s[48:49], 0
                                        ; implicit-def: $sgpr46_sgpr47
	s_branch .LBB985_240
.LBB985_238:                            ;   in Loop: Header=BB985_240 Depth=1
	global_load_dword v36, v[34:35], off
	global_load_dword v37, v[30:31], off
	s_add_u32 s48, s48, 1
	s_addc_u32 s49, s49, 0
	s_andn2_b64 s[46:47], s[46:47], exec
	v_lshl_add_u64 v[30:31], v[30:31], 0, 4
	v_lshl_add_u64 v[34:35], v[34:35], 0, 4
	s_waitcnt vmcnt(0)
	v_cmp_neq_f32_e32 vcc, v36, v37
	s_and_b64 s[50:51], vcc, exec
	s_or_b64 s[46:47], s[46:47], s[50:51]
.LBB985_239:                            ;   in Loop: Header=BB985_240 Depth=1
	s_and_b64 s[50:51], exec, s[46:47]
	s_or_b64 s[44:45], s[50:51], s[44:45]
	v_mov_b64_e32 v[36:37], s[48:49]
	s_andn2_b64 exec, exec, s[44:45]
	s_cbranch_execz .LBB985_242
.LBB985_240:                            ; =>This Inner Loop Header: Depth=1
	s_or_b64 s[46:47], s[46:47], exec
	s_cmp_eq_u64 s[42:43], s[48:49]
	s_cbranch_scc0 .LBB985_238
; %bb.241:                              ;   in Loop: Header=BB985_240 Depth=1
                                        ; implicit-def: $vgpr30_vgpr31
                                        ; implicit-def: $vgpr34_vgpr35
	s_mov_b64 s[48:49], s[26:27]
	s_branch .LBB985_239
.LBB985_242:
	s_or_b64 exec, exec, s[44:45]
	v_cmp_gt_i64_e32 vcc, s[26:27], v[36:37]
	s_orn2_b64 s[42:43], vcc, exec
.LBB985_243:
	s_or_b64 exec, exec, s[40:41]
.LBB985_244:
	v_cndmask_b32_e64 v31, 0, 1, s[38:39]
	v_cndmask_b32_e64 v30, 0, 1, s[36:37]
	;; [unrolled: 1-line block ×3, first 2 shown]
	v_lshlrev_b16_e32 v31, 8, v31
	v_cndmask_b32_e64 v46, 0, 1, s[14:15]
	v_cndmask_b32_e64 v34, 0, 1, s[42:43]
	v_or_b32_sdwa v30, v30, v31 dst_sel:WORD_1 dst_unused:UNUSED_PAD src0_sel:DWORD src1_sel:DWORD
	v_lshlrev_b16_e32 v31, 8, v47
	v_lshlrev_b16_e32 v34, 8, v34
	v_or_b32_e32 v31, v46, v31
	v_or_b32_e32 v34, 1, v34
	v_and_b32_e32 v31, 0xffff, v31
	v_cndmask_b32_e64 v48, 0, 1, s[12:13]
	v_or_b32_sdwa v30, v34, v30 dst_sel:DWORD dst_unused:UNUSED_PAD src0_sel:WORD_0 src1_sel:DWORD
	v_lshl_or_b32 v31, v48, 16, v31
	v_cmp_ne_u32_e32 vcc, 0, v0
	s_waitcnt lgkmcnt(0)
	s_barrier
	s_waitcnt lgkmcnt(0)
                                        ; implicit-def: $sgpr18_sgpr19
                                        ; implicit-def: $vgpr34
	s_and_saveexec_b64 s[12:13], vcc
	s_xor_b64 s[12:13], exec, s[12:13]
	s_cbranch_execz .LBB985_255
; %bb.245:
	s_mov_b32 s33, 0x3020104
	s_and_b64 vcc, exec, s[4:5]
	s_mov_b64 s[14:15], 0
	s_cbranch_vccnz .LBB985_254
; %bb.246:
	v_add_u32_e32 v31, -8, v44
	ds_read_b64 v[34:35], v31
	v_lshl_add_u64 v[32:33], v[32:33], 2, s[28:29]
	s_mov_b64 s[14:15], -1
	s_waitcnt lgkmcnt(0)
	v_mul_lo_u32 v31, v35, s26
	v_mul_lo_u32 v36, v34, s27
	v_mad_u64_u32 v[34:35], s[4:5], v34, s26, 0
	v_add3_u32 v35, v35, v36, v31
	v_lshl_add_u64 v[34:35], v[34:35], 2, s[28:29]
	global_load_dword v31, v[34:35], off
	global_load_dword v36, v[32:33], off
	s_waitcnt vmcnt(0)
	v_cmp_eq_f32_e32 vcc, v31, v36
	s_and_saveexec_b64 s[4:5], vcc
	s_cbranch_execz .LBB985_253
; %bb.247:
	s_add_u32 s14, s26, -1
	v_lshl_add_u64 v[32:33], v[32:33], 0, 4
	v_lshl_add_u64 v[34:35], v[34:35], 0, 4
	s_addc_u32 s15, s27, -1
	s_mov_b64 s[18:19], 0
	s_mov_b64 s[38:39], 0
                                        ; implicit-def: $sgpr36_sgpr37
	s_branch .LBB985_250
.LBB985_248:                            ;   in Loop: Header=BB985_250 Depth=1
	global_load_dword v31, v[34:35], off
	global_load_dword v36, v[32:33], off
	s_add_u32 s38, s38, 1
	s_addc_u32 s39, s39, 0
	s_andn2_b64 s[36:37], s[36:37], exec
	v_lshl_add_u64 v[32:33], v[32:33], 0, 4
	v_lshl_add_u64 v[34:35], v[34:35], 0, 4
	s_waitcnt vmcnt(0)
	v_cmp_neq_f32_e32 vcc, v31, v36
	s_and_b64 s[40:41], vcc, exec
	s_or_b64 s[36:37], s[36:37], s[40:41]
.LBB985_249:                            ;   in Loop: Header=BB985_250 Depth=1
	s_and_b64 s[40:41], exec, s[36:37]
	s_or_b64 s[18:19], s[40:41], s[18:19]
	v_mov_b64_e32 v[36:37], s[38:39]
	s_andn2_b64 exec, exec, s[18:19]
	s_cbranch_execz .LBB985_252
.LBB985_250:                            ; =>This Inner Loop Header: Depth=1
	s_or_b64 s[36:37], s[36:37], exec
	s_cmp_eq_u64 s[14:15], s[38:39]
	s_cbranch_scc0 .LBB985_248
; %bb.251:                              ;   in Loop: Header=BB985_250 Depth=1
                                        ; implicit-def: $vgpr32_vgpr33
                                        ; implicit-def: $vgpr34_vgpr35
	s_mov_b64 s[38:39], s[26:27]
	s_branch .LBB985_249
.LBB985_252:
	s_or_b64 exec, exec, s[18:19]
	v_cmp_gt_i64_e32 vcc, s[26:27], v[36:37]
	s_orn2_b64 s[14:15], vcc, exec
.LBB985_253:
	s_or_b64 exec, exec, s[4:5]
.LBB985_254:
	v_perm_b32 v34, v30, v30, s33
	s_and_b64 s[18:19], s[14:15], exec
	s_or_b64 s[10:11], s[10:11], exec
                                        ; implicit-def: $vgpr30_vgpr31
.LBB985_255:
	s_or_b64 exec, exec, s[12:13]
	s_branch .LBB985_336
.LBB985_256:
	v_cmp_gt_u32_e32 vcc, s3, v40
	s_mov_b64 s[12:13], 0
	s_mov_b64 s[4:5], 0
	s_and_saveexec_b64 s[14:15], vcc
	s_cbranch_execz .LBB985_267
; %bb.257:
	s_andn2_b64 vcc, exec, s[6:7]
	s_mov_b64 s[18:19], 0
	s_cbranch_vccnz .LBB985_266
; %bb.258:
	v_mul_lo_u32 v32, v17, s26
	v_mul_lo_u32 v33, v16, s27
	v_mad_u64_u32 v[30:31], s[4:5], v16, s26, 0
	v_add3_u32 v31, v31, v33, v32
	v_mul_lo_u32 v32, v29, s26
	v_mul_lo_u32 v33, v28, s27
	v_mad_u64_u32 v[34:35], s[4:5], v28, s26, 0
	v_add3_u32 v35, v35, v33, v32
	v_lshl_add_u64 v[32:33], v[30:31], 2, s[28:29]
	v_lshl_add_u64 v[30:31], v[34:35], 2, s[28:29]
	global_load_dword v34, v[32:33], off
	global_load_dword v35, v[30:31], off
	s_mov_b64 s[18:19], -1
	s_waitcnt vmcnt(0)
	v_cmp_eq_f32_e32 vcc, v34, v35
	s_and_saveexec_b64 s[4:5], vcc
	s_cbranch_execz .LBB985_265
; %bb.259:
	s_add_u32 s18, s26, -1
	v_lshl_add_u64 v[30:31], v[30:31], 0, 4
	v_lshl_add_u64 v[32:33], v[32:33], 0, 4
	s_addc_u32 s19, s27, -1
	s_mov_b64 s[36:37], 0
	s_mov_b64 s[40:41], 0
                                        ; implicit-def: $sgpr38_sgpr39
	s_branch .LBB985_262
.LBB985_260:                            ;   in Loop: Header=BB985_262 Depth=1
	global_load_dword v34, v[32:33], off
	global_load_dword v35, v[30:31], off
	s_add_u32 s40, s40, 1
	s_addc_u32 s41, s41, 0
	s_andn2_b64 s[38:39], s[38:39], exec
	v_lshl_add_u64 v[30:31], v[30:31], 0, 4
	v_lshl_add_u64 v[32:33], v[32:33], 0, 4
	s_waitcnt vmcnt(0)
	v_cmp_neq_f32_e32 vcc, v34, v35
	s_and_b64 s[42:43], vcc, exec
	s_or_b64 s[38:39], s[38:39], s[42:43]
.LBB985_261:                            ;   in Loop: Header=BB985_262 Depth=1
	s_and_b64 s[42:43], exec, s[38:39]
	s_or_b64 s[36:37], s[42:43], s[36:37]
	v_mov_b64_e32 v[34:35], s[40:41]
	s_andn2_b64 exec, exec, s[36:37]
	s_cbranch_execz .LBB985_264
.LBB985_262:                            ; =>This Inner Loop Header: Depth=1
	s_or_b64 s[38:39], s[38:39], exec
	s_cmp_eq_u64 s[18:19], s[40:41]
	s_cbranch_scc0 .LBB985_260
; %bb.263:                              ;   in Loop: Header=BB985_262 Depth=1
                                        ; implicit-def: $vgpr30_vgpr31
                                        ; implicit-def: $vgpr32_vgpr33
	s_mov_b64 s[40:41], s[26:27]
	s_branch .LBB985_261
.LBB985_264:
	s_or_b64 exec, exec, s[36:37]
	v_cmp_gt_i64_e32 vcc, s[26:27], v[34:35]
	s_orn2_b64 s[18:19], vcc, exec
.LBB985_265:
	s_or_b64 exec, exec, s[4:5]
.LBB985_266:
	s_and_b64 s[4:5], s[18:19], exec
.LBB985_267:
	s_or_b64 exec, exec, s[14:15]
	v_cmp_gt_u32_e32 vcc, s3, v43
	s_and_saveexec_b64 s[14:15], vcc
	s_cbranch_execz .LBB985_278
; %bb.268:
	s_andn2_b64 vcc, exec, s[6:7]
	s_mov_b64 s[18:19], 0
	s_cbranch_vccnz .LBB985_277
; %bb.269:
	v_mul_lo_u32 v32, v15, s26
	v_mul_lo_u32 v33, v14, s27
	v_mad_u64_u32 v[30:31], s[12:13], v14, s26, 0
	v_add3_u32 v31, v31, v33, v32
	v_mul_lo_u32 v32, v17, s26
	v_mul_lo_u32 v33, v16, s27
	v_mad_u64_u32 v[34:35], s[12:13], v16, s26, 0
	v_add3_u32 v35, v35, v33, v32
	v_lshl_add_u64 v[32:33], v[30:31], 2, s[28:29]
	v_lshl_add_u64 v[30:31], v[34:35], 2, s[28:29]
	global_load_dword v34, v[32:33], off
	global_load_dword v35, v[30:31], off
	s_mov_b64 s[18:19], -1
	s_waitcnt vmcnt(0)
	v_cmp_eq_f32_e32 vcc, v34, v35
	s_and_saveexec_b64 s[12:13], vcc
	s_cbranch_execz .LBB985_276
; %bb.270:
	s_add_u32 s18, s26, -1
	v_lshl_add_u64 v[30:31], v[30:31], 0, 4
	v_lshl_add_u64 v[32:33], v[32:33], 0, 4
	s_addc_u32 s19, s27, -1
	s_mov_b64 s[36:37], 0
	s_mov_b64 s[40:41], 0
                                        ; implicit-def: $sgpr38_sgpr39
	s_branch .LBB985_273
.LBB985_271:                            ;   in Loop: Header=BB985_273 Depth=1
	global_load_dword v34, v[32:33], off
	global_load_dword v35, v[30:31], off
	s_add_u32 s40, s40, 1
	s_addc_u32 s41, s41, 0
	s_andn2_b64 s[38:39], s[38:39], exec
	v_lshl_add_u64 v[30:31], v[30:31], 0, 4
	v_lshl_add_u64 v[32:33], v[32:33], 0, 4
	s_waitcnt vmcnt(0)
	v_cmp_neq_f32_e32 vcc, v34, v35
	s_and_b64 s[42:43], vcc, exec
	s_or_b64 s[38:39], s[38:39], s[42:43]
.LBB985_272:                            ;   in Loop: Header=BB985_273 Depth=1
	s_and_b64 s[42:43], exec, s[38:39]
	s_or_b64 s[36:37], s[42:43], s[36:37]
	v_mov_b64_e32 v[34:35], s[40:41]
	s_andn2_b64 exec, exec, s[36:37]
	s_cbranch_execz .LBB985_275
.LBB985_273:                            ; =>This Inner Loop Header: Depth=1
	s_or_b64 s[38:39], s[38:39], exec
	s_cmp_eq_u64 s[18:19], s[40:41]
	s_cbranch_scc0 .LBB985_271
; %bb.274:                              ;   in Loop: Header=BB985_273 Depth=1
                                        ; implicit-def: $vgpr30_vgpr31
                                        ; implicit-def: $vgpr32_vgpr33
	s_mov_b64 s[40:41], s[26:27]
	s_branch .LBB985_272
.LBB985_275:
	s_or_b64 exec, exec, s[36:37]
	v_cmp_gt_i64_e32 vcc, s[26:27], v[34:35]
	s_orn2_b64 s[18:19], vcc, exec
.LBB985_276:
	s_or_b64 exec, exec, s[12:13]
.LBB985_277:
	s_and_b64 s[12:13], s[18:19], exec
.LBB985_278:
	s_or_b64 exec, exec, s[14:15]
	v_cmp_gt_u32_e32 vcc, s3, v39
	s_mov_b64 s[18:19], 0
	s_mov_b64 s[14:15], 0
	s_and_saveexec_b64 s[36:37], vcc
	s_cbranch_execz .LBB985_289
; %bb.279:
	s_andn2_b64 vcc, exec, s[6:7]
	s_mov_b64 s[38:39], 0
	s_cbranch_vccnz .LBB985_288
; %bb.280:
	v_mul_lo_u32 v32, v21, s26
	v_mul_lo_u32 v33, v20, s27
	v_mad_u64_u32 v[30:31], s[14:15], v20, s26, 0
	v_add3_u32 v31, v31, v33, v32
	v_mul_lo_u32 v32, v15, s26
	v_mul_lo_u32 v33, v14, s27
	v_mad_u64_u32 v[34:35], s[14:15], v14, s26, 0
	v_add3_u32 v35, v35, v33, v32
	v_lshl_add_u64 v[32:33], v[30:31], 2, s[28:29]
	v_lshl_add_u64 v[30:31], v[34:35], 2, s[28:29]
	global_load_dword v34, v[32:33], off
	global_load_dword v35, v[30:31], off
	s_mov_b64 s[38:39], -1
	s_waitcnt vmcnt(0)
	v_cmp_eq_f32_e32 vcc, v34, v35
	s_and_saveexec_b64 s[14:15], vcc
	s_cbranch_execz .LBB985_287
; %bb.281:
	s_add_u32 s38, s26, -1
	v_lshl_add_u64 v[30:31], v[30:31], 0, 4
	v_lshl_add_u64 v[32:33], v[32:33], 0, 4
	s_addc_u32 s39, s27, -1
	s_mov_b64 s[40:41], 0
	s_mov_b64 s[44:45], 0
                                        ; implicit-def: $sgpr42_sgpr43
	s_branch .LBB985_284
.LBB985_282:                            ;   in Loop: Header=BB985_284 Depth=1
	global_load_dword v34, v[32:33], off
	global_load_dword v35, v[30:31], off
	s_add_u32 s44, s44, 1
	s_addc_u32 s45, s45, 0
	s_andn2_b64 s[42:43], s[42:43], exec
	v_lshl_add_u64 v[30:31], v[30:31], 0, 4
	v_lshl_add_u64 v[32:33], v[32:33], 0, 4
	s_waitcnt vmcnt(0)
	v_cmp_neq_f32_e32 vcc, v34, v35
	s_and_b64 s[46:47], vcc, exec
	s_or_b64 s[42:43], s[42:43], s[46:47]
.LBB985_283:                            ;   in Loop: Header=BB985_284 Depth=1
	s_and_b64 s[46:47], exec, s[42:43]
	s_or_b64 s[40:41], s[46:47], s[40:41]
	v_mov_b64_e32 v[34:35], s[44:45]
	s_andn2_b64 exec, exec, s[40:41]
	s_cbranch_execz .LBB985_286
.LBB985_284:                            ; =>This Inner Loop Header: Depth=1
	s_or_b64 s[42:43], s[42:43], exec
	s_cmp_eq_u64 s[38:39], s[44:45]
	s_cbranch_scc0 .LBB985_282
; %bb.285:                              ;   in Loop: Header=BB985_284 Depth=1
                                        ; implicit-def: $vgpr30_vgpr31
                                        ; implicit-def: $vgpr32_vgpr33
	s_mov_b64 s[44:45], s[26:27]
	s_branch .LBB985_283
.LBB985_286:
	s_or_b64 exec, exec, s[40:41]
	v_cmp_gt_i64_e32 vcc, s[26:27], v[34:35]
	s_orn2_b64 s[38:39], vcc, exec
.LBB985_287:
	s_or_b64 exec, exec, s[14:15]
.LBB985_288:
	s_and_b64 s[14:15], s[38:39], exec
.LBB985_289:
	s_or_b64 exec, exec, s[36:37]
	v_cmp_gt_u32_e32 vcc, s3, v42
	s_and_saveexec_b64 s[36:37], vcc
	s_cbranch_execz .LBB985_300
; %bb.290:
	s_andn2_b64 vcc, exec, s[6:7]
	s_mov_b64 s[38:39], 0
	s_cbranch_vccnz .LBB985_299
; %bb.291:
	v_mul_lo_u32 v32, v19, s26
	v_mul_lo_u32 v33, v18, s27
	v_mad_u64_u32 v[30:31], s[18:19], v18, s26, 0
	v_add3_u32 v31, v31, v33, v32
	v_mul_lo_u32 v32, v21, s26
	v_mul_lo_u32 v33, v20, s27
	v_mad_u64_u32 v[34:35], s[18:19], v20, s26, 0
	v_add3_u32 v35, v35, v33, v32
	v_lshl_add_u64 v[32:33], v[30:31], 2, s[28:29]
	v_lshl_add_u64 v[30:31], v[34:35], 2, s[28:29]
	global_load_dword v34, v[32:33], off
	global_load_dword v35, v[30:31], off
	s_mov_b64 s[38:39], -1
	s_waitcnt vmcnt(0)
	v_cmp_eq_f32_e32 vcc, v34, v35
	s_and_saveexec_b64 s[18:19], vcc
	s_cbranch_execz .LBB985_298
; %bb.292:
	s_add_u32 s38, s26, -1
	v_lshl_add_u64 v[30:31], v[30:31], 0, 4
	v_lshl_add_u64 v[32:33], v[32:33], 0, 4
	s_addc_u32 s39, s27, -1
	s_mov_b64 s[40:41], 0
	s_mov_b64 s[44:45], 0
                                        ; implicit-def: $sgpr42_sgpr43
	s_branch .LBB985_295
.LBB985_293:                            ;   in Loop: Header=BB985_295 Depth=1
	global_load_dword v34, v[32:33], off
	global_load_dword v35, v[30:31], off
	s_add_u32 s44, s44, 1
	s_addc_u32 s45, s45, 0
	s_andn2_b64 s[42:43], s[42:43], exec
	v_lshl_add_u64 v[30:31], v[30:31], 0, 4
	v_lshl_add_u64 v[32:33], v[32:33], 0, 4
	s_waitcnt vmcnt(0)
	v_cmp_neq_f32_e32 vcc, v34, v35
	s_and_b64 s[46:47], vcc, exec
	s_or_b64 s[42:43], s[42:43], s[46:47]
.LBB985_294:                            ;   in Loop: Header=BB985_295 Depth=1
	s_and_b64 s[46:47], exec, s[42:43]
	s_or_b64 s[40:41], s[46:47], s[40:41]
	v_mov_b64_e32 v[34:35], s[44:45]
	s_andn2_b64 exec, exec, s[40:41]
	s_cbranch_execz .LBB985_297
.LBB985_295:                            ; =>This Inner Loop Header: Depth=1
	s_or_b64 s[42:43], s[42:43], exec
	s_cmp_eq_u64 s[38:39], s[44:45]
	s_cbranch_scc0 .LBB985_293
; %bb.296:                              ;   in Loop: Header=BB985_295 Depth=1
                                        ; implicit-def: $vgpr30_vgpr31
                                        ; implicit-def: $vgpr32_vgpr33
	s_mov_b64 s[44:45], s[26:27]
	s_branch .LBB985_294
.LBB985_297:
	s_or_b64 exec, exec, s[40:41]
	v_cmp_gt_i64_e32 vcc, s[26:27], v[34:35]
	s_orn2_b64 s[38:39], vcc, exec
.LBB985_298:
	s_or_b64 exec, exec, s[18:19]
.LBB985_299:
	s_and_b64 s[18:19], s[38:39], exec
.LBB985_300:
	s_or_b64 exec, exec, s[36:37]
	v_cmp_gt_u32_e32 vcc, s3, v38
	s_mov_b64 s[36:37], 0
	s_mov_b64 s[38:39], 0
	s_and_saveexec_b64 s[40:41], vcc
	s_cbranch_execz .LBB985_311
; %bb.301:
	s_andn2_b64 vcc, exec, s[6:7]
	s_mov_b64 s[42:43], 0
	s_cbranch_vccnz .LBB985_310
; %bb.302:
	v_mul_lo_u32 v32, v25, s26
	v_mul_lo_u32 v33, v24, s27
	v_mad_u64_u32 v[30:31], s[38:39], v24, s26, 0
	v_add3_u32 v31, v31, v33, v32
	v_mul_lo_u32 v32, v19, s26
	v_mul_lo_u32 v33, v18, s27
	v_mad_u64_u32 v[34:35], s[38:39], v18, s26, 0
	v_add3_u32 v35, v35, v33, v32
	v_lshl_add_u64 v[32:33], v[30:31], 2, s[28:29]
	v_lshl_add_u64 v[30:31], v[34:35], 2, s[28:29]
	global_load_dword v34, v[32:33], off
	global_load_dword v35, v[30:31], off
	s_mov_b64 s[42:43], -1
	s_waitcnt vmcnt(0)
	v_cmp_eq_f32_e32 vcc, v34, v35
	s_and_saveexec_b64 s[38:39], vcc
	s_cbranch_execz .LBB985_309
; %bb.303:
	s_add_u32 s42, s26, -1
	v_lshl_add_u64 v[30:31], v[30:31], 0, 4
	v_lshl_add_u64 v[32:33], v[32:33], 0, 4
	s_addc_u32 s43, s27, -1
	s_mov_b64 s[44:45], 0
	s_mov_b64 s[48:49], 0
                                        ; implicit-def: $sgpr46_sgpr47
	s_branch .LBB985_306
.LBB985_304:                            ;   in Loop: Header=BB985_306 Depth=1
	global_load_dword v34, v[32:33], off
	global_load_dword v35, v[30:31], off
	s_add_u32 s48, s48, 1
	s_addc_u32 s49, s49, 0
	s_andn2_b64 s[46:47], s[46:47], exec
	v_lshl_add_u64 v[30:31], v[30:31], 0, 4
	v_lshl_add_u64 v[32:33], v[32:33], 0, 4
	s_waitcnt vmcnt(0)
	v_cmp_neq_f32_e32 vcc, v34, v35
	s_and_b64 s[50:51], vcc, exec
	s_or_b64 s[46:47], s[46:47], s[50:51]
.LBB985_305:                            ;   in Loop: Header=BB985_306 Depth=1
	s_and_b64 s[50:51], exec, s[46:47]
	s_or_b64 s[44:45], s[50:51], s[44:45]
	v_mov_b64_e32 v[34:35], s[48:49]
	s_andn2_b64 exec, exec, s[44:45]
	s_cbranch_execz .LBB985_308
.LBB985_306:                            ; =>This Inner Loop Header: Depth=1
	s_or_b64 s[46:47], s[46:47], exec
	s_cmp_eq_u64 s[42:43], s[48:49]
	s_cbranch_scc0 .LBB985_304
; %bb.307:                              ;   in Loop: Header=BB985_306 Depth=1
                                        ; implicit-def: $vgpr30_vgpr31
                                        ; implicit-def: $vgpr32_vgpr33
	s_mov_b64 s[48:49], s[26:27]
	s_branch .LBB985_305
.LBB985_308:
	s_or_b64 exec, exec, s[44:45]
	v_cmp_gt_i64_e32 vcc, s[26:27], v[34:35]
	s_orn2_b64 s[42:43], vcc, exec
.LBB985_309:
	s_or_b64 exec, exec, s[38:39]
.LBB985_310:
	s_and_b64 s[38:39], s[42:43], exec
.LBB985_311:
	s_or_b64 exec, exec, s[40:41]
	v_cmp_gt_u32_e32 vcc, s3, v41
	s_and_saveexec_b64 s[40:41], vcc
	s_cbranch_execz .LBB985_322
; %bb.312:
	s_andn2_b64 vcc, exec, s[6:7]
	s_mov_b64 s[42:43], 0
	s_cbranch_vccnz .LBB985_321
; %bb.313:
	v_mul_lo_u32 v32, v23, s26
	v_mul_lo_u32 v33, v22, s27
	v_mad_u64_u32 v[30:31], s[36:37], v22, s26, 0
	v_add3_u32 v31, v31, v33, v32
	v_mul_lo_u32 v32, v25, s26
	v_mul_lo_u32 v33, v24, s27
	v_mad_u64_u32 v[34:35], s[36:37], v24, s26, 0
	v_add3_u32 v35, v35, v33, v32
	v_lshl_add_u64 v[32:33], v[30:31], 2, s[28:29]
	v_lshl_add_u64 v[30:31], v[34:35], 2, s[28:29]
	global_load_dword v34, v[32:33], off
	global_load_dword v35, v[30:31], off
	s_mov_b64 s[42:43], -1
	s_waitcnt vmcnt(0)
	v_cmp_eq_f32_e32 vcc, v34, v35
	s_and_saveexec_b64 s[36:37], vcc
	s_cbranch_execz .LBB985_320
; %bb.314:
	s_add_u32 s42, s26, -1
	v_lshl_add_u64 v[30:31], v[30:31], 0, 4
	v_lshl_add_u64 v[32:33], v[32:33], 0, 4
	s_addc_u32 s43, s27, -1
	s_mov_b64 s[44:45], 0
	s_mov_b64 s[48:49], 0
                                        ; implicit-def: $sgpr46_sgpr47
	s_branch .LBB985_317
.LBB985_315:                            ;   in Loop: Header=BB985_317 Depth=1
	global_load_dword v34, v[32:33], off
	global_load_dword v35, v[30:31], off
	s_add_u32 s48, s48, 1
	s_addc_u32 s49, s49, 0
	s_andn2_b64 s[46:47], s[46:47], exec
	v_lshl_add_u64 v[30:31], v[30:31], 0, 4
	v_lshl_add_u64 v[32:33], v[32:33], 0, 4
	s_waitcnt vmcnt(0)
	v_cmp_neq_f32_e32 vcc, v34, v35
	s_and_b64 s[50:51], vcc, exec
	s_or_b64 s[46:47], s[46:47], s[50:51]
.LBB985_316:                            ;   in Loop: Header=BB985_317 Depth=1
	s_and_b64 s[50:51], exec, s[46:47]
	s_or_b64 s[44:45], s[50:51], s[44:45]
	v_mov_b64_e32 v[34:35], s[48:49]
	s_andn2_b64 exec, exec, s[44:45]
	s_cbranch_execz .LBB985_319
.LBB985_317:                            ; =>This Inner Loop Header: Depth=1
	s_or_b64 s[46:47], s[46:47], exec
	s_cmp_eq_u64 s[42:43], s[48:49]
	s_cbranch_scc0 .LBB985_315
; %bb.318:                              ;   in Loop: Header=BB985_317 Depth=1
                                        ; implicit-def: $vgpr30_vgpr31
                                        ; implicit-def: $vgpr32_vgpr33
	s_mov_b64 s[48:49], s[26:27]
	s_branch .LBB985_316
.LBB985_319:
	s_or_b64 exec, exec, s[44:45]
	v_cmp_gt_i64_e32 vcc, s[26:27], v[34:35]
	s_orn2_b64 s[42:43], vcc, exec
.LBB985_320:
	s_or_b64 exec, exec, s[36:37]
.LBB985_321:
	s_and_b64 s[36:37], s[42:43], exec
.LBB985_322:
	s_or_b64 exec, exec, s[40:41]
	v_cndmask_b32_e64 v31, 0, 1, s[18:19]
	v_cndmask_b32_e64 v30, 0, 1, s[38:39]
	;; [unrolled: 1-line block ×3, first 2 shown]
	v_lshlrev_b16_e32 v31, 8, v31
	v_cndmask_b32_e64 v46, 0, 1, s[14:15]
	v_cndmask_b32_e64 v32, 0, 1, s[36:37]
	v_or_b32_sdwa v30, v30, v31 dst_sel:WORD_1 dst_unused:UNUSED_PAD src0_sel:DWORD src1_sel:DWORD
	v_lshlrev_b16_e32 v31, 8, v47
	v_lshlrev_b16_e32 v32, 8, v32
	v_or_b32_e32 v31, v46, v31
	v_or_b32_e32 v32, 1, v32
	v_and_b32_e32 v31, 0xffff, v31
	v_cndmask_b32_e64 v48, 0, 1, s[4:5]
	v_or_b32_sdwa v30, v32, v30 dst_sel:DWORD dst_unused:UNUSED_PAD src0_sel:WORD_0 src1_sel:DWORD
	v_lshl_or_b32 v31, v48, 16, v31
	v_cmp_ne_u32_e32 vcc, 0, v0
	s_waitcnt lgkmcnt(0)
	s_barrier
	s_waitcnt lgkmcnt(0)
                                        ; implicit-def: $sgpr18_sgpr19
                                        ; implicit-def: $vgpr34
	s_and_saveexec_b64 s[4:5], vcc
	s_cbranch_execz .LBB985_335
; %bb.323:
	v_cmp_gt_u32_e32 vcc, s3, v1
	s_mov_b32 s33, 0x3020104
	s_mov_b64 s[14:15], 0
	s_and_saveexec_b64 s[12:13], vcc
	s_cbranch_execz .LBB985_334
; %bb.324:
	s_andn2_b64 vcc, exec, s[6:7]
	s_cbranch_vccnz .LBB985_333
; %bb.325:
	v_add_u32_e32 v31, -8, v44
	ds_read_b64 v[32:33], v31
	v_mul_lo_u32 v31, v23, s26
	v_mad_u64_u32 v[36:37], s[6:7], v22, s26, 0
	s_mov_b64 s[14:15], -1
	s_waitcnt lgkmcnt(0)
	v_mul_lo_u32 v34, v33, s26
	v_mul_lo_u32 v35, v32, s27
	v_mad_u64_u32 v[32:33], s[6:7], v32, s26, 0
	v_add3_u32 v33, v33, v35, v34
	v_mul_lo_u32 v34, v22, s27
	v_add3_u32 v37, v37, v34, v31
	v_lshl_add_u64 v[34:35], v[32:33], 2, s[28:29]
	v_lshl_add_u64 v[32:33], v[36:37], 2, s[28:29]
	global_load_dword v31, v[34:35], off
	global_load_dword v36, v[32:33], off
	s_waitcnt vmcnt(0)
	v_cmp_eq_f32_e32 vcc, v31, v36
	s_and_saveexec_b64 s[6:7], vcc
	s_cbranch_execz .LBB985_332
; %bb.326:
	s_add_u32 s14, s26, -1
	v_lshl_add_u64 v[32:33], v[32:33], 0, 4
	v_lshl_add_u64 v[34:35], v[34:35], 0, 4
	s_addc_u32 s15, s27, -1
	s_mov_b64 s[18:19], 0
	s_mov_b64 s[36:37], 0
                                        ; implicit-def: $sgpr28_sgpr29
	s_branch .LBB985_329
.LBB985_327:                            ;   in Loop: Header=BB985_329 Depth=1
	global_load_dword v31, v[34:35], off
	global_load_dword v36, v[32:33], off
	s_add_u32 s36, s36, 1
	s_addc_u32 s37, s37, 0
	s_andn2_b64 s[28:29], s[28:29], exec
	v_lshl_add_u64 v[32:33], v[32:33], 0, 4
	v_lshl_add_u64 v[34:35], v[34:35], 0, 4
	s_waitcnt vmcnt(0)
	v_cmp_neq_f32_e32 vcc, v31, v36
	s_and_b64 s[38:39], vcc, exec
	s_or_b64 s[28:29], s[28:29], s[38:39]
.LBB985_328:                            ;   in Loop: Header=BB985_329 Depth=1
	s_and_b64 s[38:39], exec, s[28:29]
	s_or_b64 s[18:19], s[38:39], s[18:19]
	v_mov_b64_e32 v[36:37], s[36:37]
	s_andn2_b64 exec, exec, s[18:19]
	s_cbranch_execz .LBB985_331
.LBB985_329:                            ; =>This Inner Loop Header: Depth=1
	s_or_b64 s[28:29], s[28:29], exec
	s_cmp_eq_u64 s[14:15], s[36:37]
	s_cbranch_scc0 .LBB985_327
; %bb.330:                              ;   in Loop: Header=BB985_329 Depth=1
                                        ; implicit-def: $vgpr32_vgpr33
                                        ; implicit-def: $vgpr34_vgpr35
	s_mov_b64 s[36:37], s[26:27]
	s_branch .LBB985_328
.LBB985_331:
	s_or_b64 exec, exec, s[18:19]
	v_cmp_gt_i64_e32 vcc, s[26:27], v[36:37]
	s_orn2_b64 s[14:15], vcc, exec
.LBB985_332:
	s_or_b64 exec, exec, s[6:7]
.LBB985_333:
	s_and_b64 s[14:15], s[14:15], exec
.LBB985_334:
	s_or_b64 exec, exec, s[12:13]
	v_perm_b32 v34, v30, v30, s33
	s_and_b64 s[18:19], s[14:15], exec
	s_or_b64 s[10:11], s[10:11], exec
                                        ; implicit-def: $vgpr30_vgpr31
.LBB985_335:
	s_or_b64 exec, exec, s[4:5]
.LBB985_336:
	s_and_saveexec_b64 s[4:5], s[10:11]
	s_cbranch_execz .LBB985_338
; %bb.337:
	s_waitcnt lgkmcnt(0)
	v_lshlrev_b16_e32 v31, 8, v47
	v_and_b32_e32 v32, 0xff, v48
	v_or_b32_sdwa v31, v46, v31 dst_sel:DWORD dst_unused:UNUSED_PAD src0_sel:BYTE_0 src1_sel:DWORD
	v_lshlrev_b32_e32 v32, 16, v32
	s_movk_i32 s6, 0xff
	v_or_b32_sdwa v31, v31, v32 dst_sel:DWORD dst_unused:UNUSED_PAD src0_sel:WORD_0 src1_sel:DWORD
	v_lshrrev_b32_e32 v32, 24, v34
	v_lshlrev_b16_e32 v32, 8, v32
	v_and_b32_sdwa v33, v34, s6 dst_sel:DWORD dst_unused:UNUSED_PAD src0_sel:WORD_1 src1_sel:DWORD
	v_or_b32_sdwa v32, v33, v32 dst_sel:WORD_1 dst_unused:UNUSED_PAD src0_sel:DWORD src1_sel:DWORD
	v_mov_b32_e32 v33, 8
	v_cndmask_b32_e64 v30, 0, 1, s[18:19]
	v_lshrrev_b32_sdwa v33, v33, v34 dst_sel:BYTE_1 dst_unused:UNUSED_PAD src0_sel:DWORD src1_sel:DWORD
	s_nop 0
	v_or_b32_e32 v30, v30, v33
	v_or_b32_sdwa v30, v30, v32 dst_sel:DWORD dst_unused:UNUSED_PAD src0_sel:WORD_0 src1_sel:DWORD
.LBB985_338:
	s_or_b64 exec, exec, s[4:5]
	s_andn2_b64 vcc, exec, s[8:9]
	s_cbranch_vccnz .LBB985_340
; %bb.339:
	s_waitcnt lgkmcnt(0)
	v_and_b32_e32 v32, 0xffff0000, v30
	v_cmp_gt_u32_e32 vcc, s3, v1
	s_mov_b32 s4, 0x40c0100
	s_nop 0
	v_cndmask_b32_e32 v1, v32, v30, vcc
	v_and_b32_e32 v1, 0xffff00ff, v1
	v_cmp_gt_u32_e32 vcc, s3, v41
	s_nop 1
	v_cndmask_b32_e32 v1, v1, v30, vcc
	v_lshrrev_b32_e32 v32, 24, v1
	v_perm_b32 v1, v32, v1, s4
	v_cmp_gt_u32_e32 vcc, s3, v38
	v_and_b32_e32 v32, 0xffffff00, v31
	s_nop 0
	v_cndmask_b32_e32 v1, v1, v30, vcc
	v_and_b32_e32 v1, 0xffffff, v1
	v_cmp_gt_u32_e32 vcc, s3, v42
	s_nop 1
	v_cndmask_b32_e32 v1, v1, v30, vcc
	v_cmp_gt_u32_e32 vcc, s3, v39
	s_nop 1
	v_cndmask_b32_e32 v32, v32, v31, vcc
	v_and_b32_e32 v32, 0xffff00ff, v32
	v_cndmask_b32_e32 v1, v1, v30, vcc
	v_cmp_gt_u32_e32 vcc, s3, v43
	s_nop 1
	v_cndmask_b32_e32 v32, v32, v31, vcc
	v_lshrrev_b32_e32 v33, 24, v32
	v_cndmask_b32_e32 v1, v1, v30, vcc
	v_perm_b32 v32, v33, v32, s4
	v_cmp_gt_u32_e32 vcc, s3, v40
	s_mov_b32 s3, 0x3020104
	s_nop 0
	v_cndmask_b32_e32 v1, v1, v30, vcc
	v_cndmask_b32_e32 v30, v32, v31, vcc
	v_mov_b32_e32 v31, 8
	v_lshrrev_b32_sdwa v31, v31, v30 dst_sel:BYTE_1 dst_unused:UNUSED_PAD src0_sel:DWORD src1_sel:DWORD
	s_nop 0
	v_or_b32_sdwa v31, v30, v31 dst_sel:DWORD dst_unused:UNUSED_PAD src0_sel:BYTE_0 src1_sel:DWORD
	v_and_b32_e32 v31, 0xffff, v31
	v_bfe_u32 v30, v30, 16, 8
	v_lshl_or_b32 v31, v30, 16, v31
	v_perm_b32 v30, v1, v1, s3
.LBB985_340:
	s_waitcnt lgkmcnt(0)
	v_and_b32_e32 v1, 0xff, v30
	v_bfe_u32 v43, v30, 8, 8
	v_bfe_u32 v45, v30, 16, 8
	v_alignbit_b32 v32, v31, v30, 24
	v_and_b32_e32 v47, 0xff, v32
	v_and_b32_e32 v48, 0xff, v31
	v_add3_u32 v33, v43, v1, v45
	v_bfe_u32 v49, v31, 8, 8
	v_bfe_u32 v32, v31, 16, 8
	v_add3_u32 v33, v33, v47, v48
	v_add3_u32 v52, v33, v49, v32
	v_mbcnt_lo_u32_b32 v32, -1, 0
	v_mbcnt_hi_u32_b32 v50, -1, v32
	v_and_b32_e32 v32, 15, v50
	v_cmp_eq_u32_e64 s[14:15], 0, v32
	v_cmp_lt_u32_e64 s[12:13], 1, v32
	v_cmp_lt_u32_e64 s[10:11], 3, v32
	v_cmp_lt_u32_e64 s[8:9], 7, v32
	v_and_b32_e32 v32, 16, v50
	v_cmp_eq_u32_e64 s[6:7], 0, v32
	v_or_b32_e32 v32, 63, v0
	v_cmp_lt_u32_e64 s[18:19], 31, v50
	v_lshrrev_b32_e32 v51, 6, v0
	v_cmp_eq_u32_e64 s[4:5], v32, v0
	s_and_b64 vcc, exec, s[16:17]
	s_barrier
	s_cbranch_vccz .LBB985_371
; %bb.341:
	v_mov_b32_dpp v32, v52 row_shr:1 row_mask:0xf bank_mask:0xf
	v_cndmask_b32_e64 v32, v32, 0, s[14:15]
	v_add_u32_e32 v32, v32, v52
	s_nop 1
	v_mov_b32_dpp v33, v32 row_shr:2 row_mask:0xf bank_mask:0xf
	v_cndmask_b32_e64 v33, 0, v33, s[12:13]
	v_add_u32_e32 v32, v32, v33
	s_nop 1
	;; [unrolled: 4-line block ×4, first 2 shown]
	v_mov_b32_dpp v33, v32 row_bcast:15 row_mask:0xf bank_mask:0xf
	v_cndmask_b32_e64 v33, v33, 0, s[6:7]
	v_add_u32_e32 v32, v32, v33
	s_nop 1
	v_mov_b32_dpp v33, v32 row_bcast:31 row_mask:0xf bank_mask:0xf
	v_cndmask_b32_e64 v33, 0, v33, s[18:19]
	v_add_u32_e32 v32, v32, v33
	s_and_saveexec_b64 s[16:17], s[4:5]
	s_cbranch_execz .LBB985_343
; %bb.342:
	v_lshlrev_b32_e32 v33, 2, v51
	ds_write_b32 v33, v32
.LBB985_343:
	s_or_b64 exec, exec, s[16:17]
	v_cmp_gt_u32_e32 vcc, 8, v0
	s_waitcnt lgkmcnt(0)
	s_barrier
	s_and_saveexec_b64 s[16:17], vcc
	s_cbranch_execz .LBB985_345
; %bb.344:
	v_lshlrev_b32_e32 v33, 2, v0
	ds_read_b32 v34, v33
	v_and_b32_e32 v35, 7, v50
	v_cmp_ne_u32_e32 vcc, 0, v35
	s_waitcnt lgkmcnt(0)
	v_mov_b32_dpp v36, v34 row_shr:1 row_mask:0xf bank_mask:0xf
	v_cndmask_b32_e32 v36, 0, v36, vcc
	v_add_u32_e32 v34, v36, v34
	v_cmp_lt_u32_e32 vcc, 1, v35
	s_nop 0
	v_mov_b32_dpp v36, v34 row_shr:2 row_mask:0xf bank_mask:0xf
	v_cndmask_b32_e32 v36, 0, v36, vcc
	v_add_u32_e32 v34, v34, v36
	v_cmp_lt_u32_e32 vcc, 3, v35
	s_nop 0
	v_mov_b32_dpp v36, v34 row_shr:4 row_mask:0xf bank_mask:0xf
	v_cndmask_b32_e32 v35, 0, v36, vcc
	v_add_u32_e32 v34, v34, v35
	ds_write_b32 v33, v34
.LBB985_345:
	s_or_b64 exec, exec, s[16:17]
	v_cmp_gt_u32_e32 vcc, 64, v0
	v_cmp_lt_u32_e64 s[16:17], 63, v0
	s_waitcnt lgkmcnt(0)
	s_barrier
	s_waitcnt lgkmcnt(0)
                                        ; implicit-def: $vgpr42
	s_and_saveexec_b64 s[26:27], s[16:17]
	s_cbranch_execz .LBB985_347
; %bb.346:
	v_lshl_add_u32 v33, v51, 2, -4
	ds_read_b32 v42, v33
	s_waitcnt lgkmcnt(0)
	v_add_u32_e32 v32, v42, v32
.LBB985_347:
	s_or_b64 exec, exec, s[26:27]
	v_add_u32_e32 v33, -1, v50
	v_and_b32_e32 v34, 64, v50
	v_cmp_lt_i32_e64 s[16:17], v33, v34
	s_nop 1
	v_cndmask_b32_e64 v33, v33, v50, s[16:17]
	v_lshlrev_b32_e32 v33, 2, v33
	ds_bpermute_b32 v44, v33, v32
	v_cmp_eq_u32_e64 s[16:17], 0, v50
	s_and_saveexec_b64 s[26:27], vcc
	s_cbranch_execz .LBB985_370
; %bb.348:
	v_mov_b32_e32 v41, 0
	ds_read_b32 v32, v41 offset:28
	s_and_saveexec_b64 s[28:29], s[16:17]
	s_cbranch_execz .LBB985_350
; %bb.349:
	s_add_i32 s36, s2, 64
	s_mov_b32 s37, 0
	s_lshl_b64 s[36:37], s[36:37], 3
	s_add_u32 s36, s30, s36
	v_mov_b32_e32 v33, 1
	s_addc_u32 s37, s31, s37
	s_waitcnt lgkmcnt(0)
	global_store_dwordx2 v41, v[32:33], s[36:37] sc1
.LBB985_350:
	s_or_b64 exec, exec, s[28:29]
	v_xad_u32 v34, v50, -1, s2
	v_add_u32_e32 v40, 64, v34
	v_lshl_add_u64 v[36:37], v[40:41], 3, s[30:31]
	global_load_dwordx2 v[38:39], v[36:37], off sc1
	s_waitcnt vmcnt(0)
	v_cmp_eq_u16_sdwa s[36:37], v39, v41 src0_sel:BYTE_0 src1_sel:DWORD
	s_and_saveexec_b64 s[28:29], s[36:37]
	s_cbranch_execz .LBB985_356
; %bb.351:
	s_mov_b32 s3, 1
	s_mov_b64 s[36:37], 0
	v_mov_b32_e32 v33, 0
.LBB985_352:                            ; =>This Loop Header: Depth=1
                                        ;     Child Loop BB985_353 Depth 2
	s_max_u32 s33, s3, 1
.LBB985_353:                            ;   Parent Loop BB985_352 Depth=1
                                        ; =>  This Inner Loop Header: Depth=2
	s_add_i32 s33, s33, -1
	s_cmp_eq_u32 s33, 0
	s_sleep 1
	s_cbranch_scc0 .LBB985_353
; %bb.354:                              ;   in Loop: Header=BB985_352 Depth=1
	global_load_dwordx2 v[38:39], v[36:37], off sc1
	s_cmp_lt_u32 s3, 32
	s_cselect_b64 s[38:39], -1, 0
	s_cmp_lg_u64 s[38:39], 0
	s_addc_u32 s3, s3, 0
	s_waitcnt vmcnt(0)
	v_cmp_ne_u16_sdwa s[38:39], v39, v33 src0_sel:BYTE_0 src1_sel:DWORD
	s_or_b64 s[36:37], s[38:39], s[36:37]
	s_andn2_b64 exec, exec, s[36:37]
	s_cbranch_execnz .LBB985_352
; %bb.355:
	s_or_b64 exec, exec, s[36:37]
.LBB985_356:
	s_or_b64 exec, exec, s[28:29]
	v_and_b32_e32 v46, 63, v50
	v_mov_b32_e32 v33, 2
	v_cmp_ne_u32_e32 vcc, 63, v46
	v_cmp_eq_u16_sdwa s[28:29], v39, v33 src0_sel:BYTE_0 src1_sel:DWORD
	v_lshlrev_b64 v[36:37], v50, -1
	v_addc_co_u32_e32 v41, vcc, 0, v50, vcc
	v_and_b32_e32 v35, s29, v37
	v_lshlrev_b32_e32 v53, 2, v41
	v_or_b32_e32 v35, 0x80000000, v35
	ds_bpermute_b32 v41, v53, v38
	v_and_b32_e32 v40, s28, v36
	v_ffbl_b32_e32 v35, v35
	v_add_u32_e32 v35, 32, v35
	v_ffbl_b32_e32 v40, v40
	v_min_u32_e32 v35, v40, v35
	v_cmp_lt_u32_e32 vcc, v46, v35
	v_add_u32_e32 v55, 2, v46
	v_add_u32_e32 v57, 4, v46
	s_waitcnt lgkmcnt(0)
	v_cndmask_b32_e32 v40, 0, v41, vcc
	v_cmp_gt_u32_e32 vcc, 62, v46
	v_add_u32_e32 v38, v40, v38
	v_add_u32_e32 v59, 8, v46
	v_cndmask_b32_e64 v40, 0, 1, vcc
	v_lshlrev_b32_e32 v40, 1, v40
	v_add_lshl_u32 v54, v40, v50, 2
	ds_bpermute_b32 v40, v54, v38
	v_cmp_le_u32_e32 vcc, v55, v35
	v_add_u32_e32 v62, 16, v46
	v_add_u32_e32 v64, 32, v46
	s_waitcnt lgkmcnt(0)
	v_cndmask_b32_e32 v40, 0, v40, vcc
	v_cmp_gt_u32_e32 vcc, 60, v46
	v_add_u32_e32 v38, v38, v40
	s_nop 0
	v_cndmask_b32_e64 v40, 0, 1, vcc
	v_lshlrev_b32_e32 v40, 2, v40
	v_add_lshl_u32 v56, v40, v50, 2
	ds_bpermute_b32 v40, v56, v38
	v_cmp_le_u32_e32 vcc, v57, v35
	s_waitcnt lgkmcnt(0)
	s_nop 0
	v_cndmask_b32_e32 v40, 0, v40, vcc
	v_cmp_gt_u32_e32 vcc, 56, v46
	v_add_u32_e32 v38, v38, v40
	s_nop 0
	v_cndmask_b32_e64 v40, 0, 1, vcc
	v_lshlrev_b32_e32 v40, 3, v40
	v_add_lshl_u32 v58, v40, v50, 2
	ds_bpermute_b32 v40, v58, v38
	v_cmp_le_u32_e32 vcc, v59, v35
	s_waitcnt lgkmcnt(0)
	s_nop 0
	;; [unrolled: 11-line block ×4, first 2 shown]
	v_cndmask_b32_e32 v35, 0, v40, vcc
	v_add_u32_e32 v38, v38, v35
	v_mov_b32_e32 v35, 0
	s_branch .LBB985_358
.LBB985_357:                            ;   in Loop: Header=BB985_358 Depth=1
	s_or_b64 exec, exec, s[28:29]
	v_cmp_eq_u16_sdwa s[28:29], v39, v33 src0_sel:BYTE_0 src1_sel:DWORD
	ds_bpermute_b32 v65, v53, v38
	v_subrev_u32_e32 v34, 64, v34
	v_and_b32_e32 v40, s29, v37
	v_or_b32_e32 v40, 0x80000000, v40
	v_and_b32_e32 v41, s28, v36
	v_ffbl_b32_e32 v40, v40
	v_add_u32_e32 v40, 32, v40
	v_ffbl_b32_e32 v41, v41
	v_min_u32_e32 v40, v41, v40
	v_cmp_lt_u32_e32 vcc, v46, v40
	s_waitcnt lgkmcnt(0)
	s_nop 0
	v_cndmask_b32_e32 v41, 0, v65, vcc
	v_add_u32_e32 v38, v41, v38
	ds_bpermute_b32 v41, v54, v38
	v_cmp_le_u32_e32 vcc, v55, v40
	s_waitcnt lgkmcnt(0)
	s_nop 0
	v_cndmask_b32_e32 v41, 0, v41, vcc
	v_add_u32_e32 v38, v38, v41
	ds_bpermute_b32 v41, v56, v38
	v_cmp_le_u32_e32 vcc, v57, v40
	;; [unrolled: 6-line block ×5, first 2 shown]
	s_waitcnt lgkmcnt(0)
	s_nop 0
	v_cndmask_b32_e32 v40, 0, v41, vcc
	v_add3_u32 v38, v40, v60, v38
.LBB985_358:                            ; =>This Loop Header: Depth=1
                                        ;     Child Loop BB985_361 Depth 2
                                        ;       Child Loop BB985_362 Depth 3
	v_cmp_ne_u16_sdwa s[28:29], v39, v33 src0_sel:BYTE_0 src1_sel:DWORD
	v_mov_b32_e32 v60, v38
	s_nop 0
	v_cndmask_b32_e64 v39, 0, 1, s[28:29]
	;;#ASMSTART
	;;#ASMEND
	s_nop 0
	v_cmp_ne_u32_e32 vcc, 0, v39
	s_cmp_lg_u64 vcc, exec
	s_cbranch_scc1 .LBB985_365
; %bb.359:                              ;   in Loop: Header=BB985_358 Depth=1
	v_lshl_add_u64 v[40:41], v[34:35], 3, s[30:31]
	global_load_dwordx2 v[38:39], v[40:41], off sc1
	s_waitcnt vmcnt(0)
	v_cmp_eq_u16_sdwa s[36:37], v39, v35 src0_sel:BYTE_0 src1_sel:DWORD
	s_and_saveexec_b64 s[28:29], s[36:37]
	s_cbranch_execz .LBB985_357
; %bb.360:                              ;   in Loop: Header=BB985_358 Depth=1
	s_mov_b32 s3, 1
	s_mov_b64 s[36:37], 0
.LBB985_361:                            ;   Parent Loop BB985_358 Depth=1
                                        ; =>  This Loop Header: Depth=2
                                        ;       Child Loop BB985_362 Depth 3
	s_max_u32 s33, s3, 1
.LBB985_362:                            ;   Parent Loop BB985_358 Depth=1
                                        ;     Parent Loop BB985_361 Depth=2
                                        ; =>    This Inner Loop Header: Depth=3
	s_add_i32 s33, s33, -1
	s_cmp_eq_u32 s33, 0
	s_sleep 1
	s_cbranch_scc0 .LBB985_362
; %bb.363:                              ;   in Loop: Header=BB985_361 Depth=2
	global_load_dwordx2 v[38:39], v[40:41], off sc1
	s_cmp_lt_u32 s3, 32
	s_cselect_b64 s[38:39], -1, 0
	s_cmp_lg_u64 s[38:39], 0
	s_addc_u32 s3, s3, 0
	s_waitcnt vmcnt(0)
	v_cmp_ne_u16_sdwa s[38:39], v39, v35 src0_sel:BYTE_0 src1_sel:DWORD
	s_or_b64 s[36:37], s[38:39], s[36:37]
	s_andn2_b64 exec, exec, s[36:37]
	s_cbranch_execnz .LBB985_361
; %bb.364:                              ;   in Loop: Header=BB985_358 Depth=1
	s_or_b64 exec, exec, s[36:37]
	s_branch .LBB985_357
.LBB985_365:                            ;   in Loop: Header=BB985_358 Depth=1
                                        ; implicit-def: $vgpr38
                                        ; implicit-def: $vgpr39
	s_cbranch_execz .LBB985_358
; %bb.366:
	s_and_saveexec_b64 s[28:29], s[16:17]
	s_cbranch_execz .LBB985_368
; %bb.367:
	s_add_i32 s2, s2, 64
	s_mov_b32 s3, 0
	s_lshl_b64 s[2:3], s[2:3], 3
	s_add_u32 s2, s30, s2
	v_add_u32_e32 v34, v60, v32
	v_mov_b32_e32 v35, 2
	s_addc_u32 s3, s31, s3
	v_mov_b32_e32 v33, 0
	global_store_dwordx2 v33, v[34:35], s[2:3] sc1
	s_movk_i32 s2, 0x7000
	v_add_u32_e64 v33, s2, 0
	ds_write2_b32 v33, v32, v60 offset1:2
.LBB985_368:
	s_or_b64 exec, exec, s[28:29]
	v_cmp_eq_u32_e32 vcc, 0, v0
	s_and_b64 exec, exec, vcc
	s_cbranch_execz .LBB985_370
; %bb.369:
	v_mov_b32_e32 v32, 0
	ds_write_b32 v32, v60 offset:28
.LBB985_370:
	s_or_b64 exec, exec, s[26:27]
	v_mov_b32_e32 v32, 0
	s_waitcnt lgkmcnt(0)
	s_barrier
	ds_read_b32 v32, v32 offset:28
	v_cndmask_b32_e64 v33, v44, v42, s[16:17]
	v_cmp_ne_u32_e32 vcc, 0, v0
	s_movk_i32 s2, 0x7000
	s_waitcnt lgkmcnt(0)
	v_cndmask_b32_e32 v33, 0, v33, vcc
	v_add_u32_e32 v46, v32, v33
	v_add_u32_e64 v32, s2, 0
	v_add_u32_e32 v44, v46, v1
	s_barrier
	ds_read2_b32 v[32:33], v32 offset1:2
	v_add_u32_e32 v42, v44, v43
	v_add_u32_e32 v40, v42, v45
	;; [unrolled: 1-line block ×5, first 2 shown]
	s_waitcnt lgkmcnt(0)
	v_readfirstlane_b32 s26, v32
	v_readfirstlane_b32 s16, v33
	v_lshrrev_b64 v[32:33], 24, v[30:31]
	s_branch .LBB985_381
.LBB985_371:
                                        ; implicit-def: $vgpr34
                                        ; implicit-def: $vgpr36
                                        ; implicit-def: $vgpr38
                                        ; implicit-def: $vgpr40
                                        ; implicit-def: $vgpr42
                                        ; implicit-def: $vgpr44
                                        ; implicit-def: $vgpr46
                                        ; implicit-def: $sgpr16
                                        ; implicit-def: $sgpr26
	v_lshrrev_b64 v[32:33], 24, v[30:31]
	s_cbranch_execz .LBB985_381
; %bb.372:
	s_nop 0
	v_mov_b32_dpp v33, v52 row_shr:1 row_mask:0xf bank_mask:0xf
	v_cndmask_b32_e64 v33, v33, 0, s[14:15]
	v_add_u32_e32 v33, v33, v52
	s_nop 1
	v_mov_b32_dpp v34, v33 row_shr:2 row_mask:0xf bank_mask:0xf
	v_cndmask_b32_e64 v34, 0, v34, s[12:13]
	v_add_u32_e32 v33, v33, v34
	;; [unrolled: 4-line block ×4, first 2 shown]
	s_nop 1
	v_mov_b32_dpp v34, v33 row_bcast:15 row_mask:0xf bank_mask:0xf
	v_cndmask_b32_e64 v34, v34, 0, s[6:7]
	v_add_u32_e32 v33, v33, v34
	s_nop 1
	v_mov_b32_dpp v34, v33 row_bcast:31 row_mask:0xf bank_mask:0xf
	v_cndmask_b32_e64 v34, 0, v34, s[18:19]
	v_add_u32_e32 v33, v33, v34
	s_and_saveexec_b64 s[2:3], s[4:5]
	s_cbranch_execz .LBB985_374
; %bb.373:
	v_lshlrev_b32_e32 v34, 2, v51
	ds_write_b32 v34, v33
.LBB985_374:
	s_or_b64 exec, exec, s[2:3]
	v_cmp_gt_u32_e32 vcc, 8, v0
	s_waitcnt lgkmcnt(0)
	s_barrier
	s_and_saveexec_b64 s[2:3], vcc
	s_cbranch_execz .LBB985_376
; %bb.375:
	v_lshlrev_b32_e32 v34, 2, v0
	ds_read_b32 v35, v34
	v_and_b32_e32 v36, 7, v50
	v_cmp_ne_u32_e32 vcc, 0, v36
	s_waitcnt lgkmcnt(0)
	v_mov_b32_dpp v37, v35 row_shr:1 row_mask:0xf bank_mask:0xf
	v_cndmask_b32_e32 v37, 0, v37, vcc
	v_add_u32_e32 v35, v37, v35
	v_cmp_lt_u32_e32 vcc, 1, v36
	s_nop 0
	v_mov_b32_dpp v37, v35 row_shr:2 row_mask:0xf bank_mask:0xf
	v_cndmask_b32_e32 v37, 0, v37, vcc
	v_add_u32_e32 v35, v35, v37
	v_cmp_lt_u32_e32 vcc, 3, v36
	s_nop 0
	v_mov_b32_dpp v37, v35 row_shr:4 row_mask:0xf bank_mask:0xf
	v_cndmask_b32_e32 v36, 0, v37, vcc
	v_add_u32_e32 v35, v35, v36
	ds_write_b32 v34, v35
.LBB985_376:
	s_or_b64 exec, exec, s[2:3]
	v_cmp_lt_u32_e32 vcc, 63, v0
	v_mov_b32_e32 v35, 0
	v_mov_b32_e32 v34, 0
	s_waitcnt lgkmcnt(0)
	s_barrier
	s_and_saveexec_b64 s[2:3], vcc
	s_cbranch_execz .LBB985_378
; %bb.377:
	v_lshl_add_u32 v34, v51, 2, -4
	ds_read_b32 v34, v34
.LBB985_378:
	s_or_b64 exec, exec, s[2:3]
	v_add_u32_e32 v36, -1, v50
	v_and_b32_e32 v37, 64, v50
	v_cmp_lt_i32_e32 vcc, v36, v37
	s_waitcnt lgkmcnt(0)
	v_add_u32_e32 v33, v34, v33
	ds_read_b32 v35, v35 offset:28
	v_cndmask_b32_e32 v36, v36, v50, vcc
	v_lshlrev_b32_e32 v36, 2, v36
	ds_bpermute_b32 v33, v36, v33
	s_mov_b32 s16, 0
	v_cmp_eq_u32_e32 vcc, 0, v0
	s_waitcnt lgkmcnt(1)
	v_readfirstlane_b32 s26, v35
	s_and_saveexec_b64 s[2:3], vcc
	s_cbranch_execz .LBB985_380
; %bb.379:
	v_mov_b32_e32 v35, 0
	v_mov_b32_e32 v36, s26
	;; [unrolled: 1-line block ×3, first 2 shown]
	global_store_dwordx2 v35, v[36:37], s[30:31] offset:512 sc1
.LBB985_380:
	s_or_b64 exec, exec, s[2:3]
	v_cmp_eq_u32_e64 s[2:3], 0, v50
	s_waitcnt lgkmcnt(0)
	s_barrier
	v_cndmask_b32_e64 v33, v33, v34, s[2:3]
	v_cndmask_b32_e64 v46, v33, 0, vcc
	v_add_u32_e32 v44, v46, v1
	v_add_u32_e32 v42, v44, v43
	v_add_u32_e32 v40, v42, v45
	v_add_u32_e32 v38, v40, v47
	v_add_u32_e32 v36, v38, v48
	v_add_u32_e32 v34, v36, v49
.LBB985_381:
	s_load_dwordx4 s[4:7], s[0:1], 0x28
	s_cmpk_lt_u32 s26, 0x201
	s_cselect_b64 s[2:3], -1, 0
	v_lshrrev_b32_e32 v33, 8, v30
	v_lshrrev_b32_e32 v1, 8, v31
	s_mov_b64 s[0:1], -1
	s_and_b64 vcc, exec, s[2:3]
	s_cbranch_vccz .LBB985_404
; %bb.382:
	s_add_i32 s8, s16, s26
	v_cmp_gt_u32_e32 vcc, s8, v46
	s_or_b64 s[10:11], s[34:35], vcc
	s_and_saveexec_b64 s[0:1], s[10:11]
	s_cbranch_execz .LBB985_385
; %bb.383:
	v_and_b32_e32 v35, 1, v30
	v_cmp_eq_u32_e32 vcc, 1, v35
	s_and_b64 exec, exec, vcc
	s_cbranch_execz .LBB985_385
; %bb.384:
	s_lshl_b64 s[10:11], s[22:23], 3
	s_waitcnt lgkmcnt(0)
	s_add_u32 s10, s4, s10
	s_addc_u32 s11, s5, s11
	v_mov_b32_e32 v47, 0
	v_lshl_add_u64 v[48:49], v[46:47], 3, s[10:11]
	global_store_dwordx2 v[48:49], v[22:23], off
.LBB985_385:
	s_or_b64 exec, exec, s[0:1]
	v_cmp_gt_u32_e32 vcc, s8, v44
	s_or_b64 s[10:11], s[34:35], vcc
	s_and_saveexec_b64 s[0:1], s[10:11]
	s_cbranch_execz .LBB985_388
; %bb.386:
	v_and_b32_e32 v35, 1, v33
	v_cmp_eq_u32_e32 vcc, 1, v35
	s_and_b64 exec, exec, vcc
	s_cbranch_execz .LBB985_388
; %bb.387:
	s_lshl_b64 s[10:11], s[22:23], 3
	s_waitcnt lgkmcnt(0)
	s_add_u32 s10, s4, s10
	s_addc_u32 s11, s5, s11
	v_mov_b32_e32 v45, 0
	v_lshl_add_u64 v[48:49], v[44:45], 3, s[10:11]
	global_store_dwordx2 v[48:49], v[24:25], off
.LBB985_388:
	s_or_b64 exec, exec, s[0:1]
	v_cmp_gt_u32_e32 vcc, s8, v42
	s_or_b64 s[10:11], s[34:35], vcc
	s_and_saveexec_b64 s[0:1], s[10:11]
	s_cbranch_execz .LBB985_391
; %bb.389:
	v_mov_b32_e32 v35, 1
	v_and_b32_sdwa v35, v35, v30 dst_sel:DWORD dst_unused:UNUSED_PAD src0_sel:DWORD src1_sel:WORD_1
	v_cmp_eq_u32_e32 vcc, 1, v35
	s_and_b64 exec, exec, vcc
	s_cbranch_execz .LBB985_391
; %bb.390:
	s_lshl_b64 s[10:11], s[22:23], 3
	s_waitcnt lgkmcnt(0)
	s_add_u32 s10, s4, s10
	s_addc_u32 s11, s5, s11
	v_mov_b32_e32 v43, 0
	v_lshl_add_u64 v[48:49], v[42:43], 3, s[10:11]
	global_store_dwordx2 v[48:49], v[18:19], off
.LBB985_391:
	s_or_b64 exec, exec, s[0:1]
	v_cmp_gt_u32_e32 vcc, s8, v40
	s_or_b64 s[10:11], s[34:35], vcc
	s_and_saveexec_b64 s[0:1], s[10:11]
	s_cbranch_execz .LBB985_394
; %bb.392:
	v_and_b32_e32 v35, 1, v32
	v_cmp_eq_u32_e32 vcc, 1, v35
	s_and_b64 exec, exec, vcc
	s_cbranch_execz .LBB985_394
; %bb.393:
	s_lshl_b64 s[10:11], s[22:23], 3
	s_waitcnt lgkmcnt(0)
	s_add_u32 s10, s4, s10
	s_addc_u32 s11, s5, s11
	v_mov_b32_e32 v41, 0
	v_lshl_add_u64 v[48:49], v[40:41], 3, s[10:11]
	global_store_dwordx2 v[48:49], v[20:21], off
.LBB985_394:
	s_or_b64 exec, exec, s[0:1]
	v_cmp_gt_u32_e32 vcc, s8, v38
	s_or_b64 s[10:11], s[34:35], vcc
	s_and_saveexec_b64 s[0:1], s[10:11]
	s_cbranch_execz .LBB985_397
; %bb.395:
	v_and_b32_e32 v35, 1, v31
	v_cmp_eq_u32_e32 vcc, 1, v35
	s_and_b64 exec, exec, vcc
	s_cbranch_execz .LBB985_397
; %bb.396:
	s_lshl_b64 s[10:11], s[22:23], 3
	s_waitcnt lgkmcnt(0)
	s_add_u32 s10, s4, s10
	s_addc_u32 s11, s5, s11
	v_mov_b32_e32 v39, 0
	v_lshl_add_u64 v[48:49], v[38:39], 3, s[10:11]
	global_store_dwordx2 v[48:49], v[14:15], off
.LBB985_397:
	;; [unrolled: 19-line block ×3, first 2 shown]
	s_or_b64 exec, exec, s[0:1]
	v_cmp_gt_u32_e32 vcc, s8, v34
	s_or_b64 s[8:9], s[34:35], vcc
	s_and_saveexec_b64 s[0:1], s[8:9]
	s_cbranch_execz .LBB985_403
; %bb.401:
	v_mov_b32_e32 v35, 1
	v_and_b32_sdwa v35, v35, v31 dst_sel:DWORD dst_unused:UNUSED_PAD src0_sel:DWORD src1_sel:WORD_1
	v_cmp_eq_u32_e32 vcc, 1, v35
	s_and_b64 exec, exec, vcc
	s_cbranch_execz .LBB985_403
; %bb.402:
	s_lshl_b64 s[8:9], s[22:23], 3
	s_waitcnt lgkmcnt(0)
	s_add_u32 s8, s4, s8
	s_addc_u32 s9, s5, s9
	v_mov_b32_e32 v35, 0
	v_lshl_add_u64 v[48:49], v[34:35], 3, s[8:9]
	global_store_dwordx2 v[48:49], v[28:29], off
.LBB985_403:
	s_or_b64 exec, exec, s[0:1]
	s_mov_b64 s[0:1], 0
.LBB985_404:
	v_and_b32_e32 v48, 1, v30
	s_and_b64 vcc, exec, s[0:1]
	v_cmp_eq_u32_e64 s[0:1], 1, v48
	s_cbranch_vccz .LBB985_423
; %bb.405:
	s_and_saveexec_b64 s[8:9], s[0:1]
	s_cbranch_execz .LBB985_407
; %bb.406:
	v_subrev_u32_e32 v35, s16, v46
	v_lshlrev_b32_e32 v35, 3, v35
	ds_write_b64 v35, v[22:23]
.LBB985_407:
	s_or_b64 exec, exec, s[8:9]
	v_and_b32_e32 v22, 1, v33
	v_cmp_eq_u32_e32 vcc, 1, v22
	s_and_saveexec_b64 s[0:1], vcc
	s_cbranch_execz .LBB985_409
; %bb.408:
	v_subrev_u32_e32 v22, s16, v44
	v_lshlrev_b32_e32 v22, 3, v22
	ds_write_b64 v22, v[24:25]
.LBB985_409:
	s_or_b64 exec, exec, s[0:1]
	v_mov_b32_e32 v22, 1
	v_and_b32_sdwa v22, v22, v30 dst_sel:DWORD dst_unused:UNUSED_PAD src0_sel:DWORD src1_sel:WORD_1
	v_cmp_eq_u32_e32 vcc, 1, v22
	s_and_saveexec_b64 s[0:1], vcc
	s_cbranch_execz .LBB985_411
; %bb.410:
	v_subrev_u32_e32 v22, s16, v42
	v_lshlrev_b32_e32 v22, 3, v22
	ds_write_b64 v22, v[18:19]
.LBB985_411:
	s_or_b64 exec, exec, s[0:1]
	v_and_b32_e32 v18, 1, v32
	v_cmp_eq_u32_e32 vcc, 1, v18
	s_and_saveexec_b64 s[0:1], vcc
	s_cbranch_execz .LBB985_413
; %bb.412:
	v_subrev_u32_e32 v18, s16, v40
	v_lshlrev_b32_e32 v18, 3, v18
	ds_write_b64 v18, v[20:21]
.LBB985_413:
	s_or_b64 exec, exec, s[0:1]
	v_and_b32_e32 v18, 1, v31
	;; [unrolled: 10-line block ×3, first 2 shown]
	v_cmp_eq_u32_e32 vcc, 1, v14
	s_and_saveexec_b64 s[0:1], vcc
	s_cbranch_execz .LBB985_417
; %bb.416:
	v_subrev_u32_e32 v14, s16, v36
	v_lshlrev_b32_e32 v14, 3, v14
	ds_write_b64 v14, v[16:17]
.LBB985_417:
	s_or_b64 exec, exec, s[0:1]
	v_mov_b32_e32 v14, 1
	v_and_b32_sdwa v14, v14, v31 dst_sel:DWORD dst_unused:UNUSED_PAD src0_sel:DWORD src1_sel:WORD_1
	v_cmp_eq_u32_e32 vcc, 1, v14
	s_and_saveexec_b64 s[0:1], vcc
	s_cbranch_execz .LBB985_419
; %bb.418:
	v_subrev_u32_e32 v14, s16, v34
	v_lshlrev_b32_e32 v14, 3, v14
	ds_write_b64 v14, v[28:29]
.LBB985_419:
	s_or_b64 exec, exec, s[0:1]
	v_cmp_gt_u32_e32 vcc, s26, v0
	s_waitcnt lgkmcnt(0)
	s_barrier
	s_and_saveexec_b64 s[0:1], vcc
	s_cbranch_execz .LBB985_422
; %bb.420:
	s_mov_b32 s17, 0
	s_lshl_b64 s[8:9], s[22:23], 3
	s_lshl_b64 s[10:11], s[16:17], 3
	s_add_u32 s8, s8, s10
	s_addc_u32 s9, s9, s11
	s_add_u32 s4, s4, s8
	v_lshlrev_b32_e32 v14, 3, v0
	v_mov_b32_e32 v15, 0
	s_addc_u32 s5, s5, s9
	v_lshl_add_u64 v[16:17], s[4:5], 0, v[14:15]
	s_mov_b64 s[4:5], 0
	s_mov_b64 s[8:9], 0x1000
	v_mov_b32_e32 v15, v0
.LBB985_421:                            ; =>This Inner Loop Header: Depth=1
	ds_read_b64 v[18:19], v14
	v_add_u32_e32 v15, 0x200, v15
	v_cmp_le_u32_e32 vcc, s26, v15
	v_add_u32_e32 v14, 0x1000, v14
	s_or_b64 s[4:5], vcc, s[4:5]
	s_waitcnt lgkmcnt(0)
	global_store_dwordx2 v[16:17], v[18:19], off
	v_lshl_add_u64 v[16:17], v[16:17], 0, s[8:9]
	s_andn2_b64 exec, exec, s[4:5]
	s_cbranch_execnz .LBB985_421
.LBB985_422:
	s_or_b64 exec, exec, s[0:1]
.LBB985_423:
	s_mov_b64 s[0:1], -1
	s_and_b64 vcc, exec, s[2:3]
	s_waitcnt lgkmcnt(0)
	s_barrier
	s_cbranch_vccnz .LBB985_427
; %bb.424:
	s_and_b64 vcc, exec, s[0:1]
	s_cbranch_vccnz .LBB985_449
.LBB985_425:
	v_cmp_eq_u32_e32 vcc, 0, v0
	s_and_b64 s[0:1], vcc, s[24:25]
	s_and_saveexec_b64 s[2:3], s[0:1]
	s_cbranch_execnz .LBB985_467
.LBB985_426:
	s_endpgm
.LBB985_427:
	s_add_i32 s2, s16, s26
	v_cmp_gt_u32_e32 vcc, s2, v46
	s_or_b64 s[4:5], s[34:35], vcc
	s_and_saveexec_b64 s[0:1], s[4:5]
	s_cbranch_execz .LBB985_430
; %bb.428:
	v_cmp_eq_u32_e32 vcc, 1, v48
	s_and_b64 exec, exec, vcc
	s_cbranch_execz .LBB985_430
; %bb.429:
	s_lshl_b64 s[4:5], s[22:23], 3
	s_add_u32 s4, s6, s4
	s_addc_u32 s5, s7, s5
	v_mov_b32_e32 v47, 0
	v_lshl_add_u64 v[14:15], v[46:47], 3, s[4:5]
	global_store_dwordx2 v[14:15], v[10:11], off
.LBB985_430:
	s_or_b64 exec, exec, s[0:1]
	v_cmp_gt_u32_e32 vcc, s2, v44
	s_or_b64 s[4:5], s[34:35], vcc
	s_and_saveexec_b64 s[0:1], s[4:5]
	s_cbranch_execz .LBB985_433
; %bb.431:
	v_and_b32_e32 v14, 1, v33
	v_cmp_eq_u32_e32 vcc, 1, v14
	s_and_b64 exec, exec, vcc
	s_cbranch_execz .LBB985_433
; %bb.432:
	s_lshl_b64 s[4:5], s[22:23], 3
	s_add_u32 s4, s6, s4
	s_addc_u32 s5, s7, s5
	v_mov_b32_e32 v45, 0
	v_lshl_add_u64 v[14:15], v[44:45], 3, s[4:5]
	global_store_dwordx2 v[14:15], v[12:13], off
.LBB985_433:
	s_or_b64 exec, exec, s[0:1]
	v_cmp_gt_u32_e32 vcc, s2, v42
	s_or_b64 s[4:5], s[34:35], vcc
	s_and_saveexec_b64 s[0:1], s[4:5]
	s_cbranch_execz .LBB985_436
; %bb.434:
	v_mov_b32_e32 v14, 1
	v_and_b32_sdwa v14, v14, v30 dst_sel:DWORD dst_unused:UNUSED_PAD src0_sel:DWORD src1_sel:WORD_1
	v_cmp_eq_u32_e32 vcc, 1, v14
	s_and_b64 exec, exec, vcc
	s_cbranch_execz .LBB985_436
; %bb.435:
	s_lshl_b64 s[4:5], s[22:23], 3
	s_add_u32 s4, s6, s4
	s_addc_u32 s5, s7, s5
	v_mov_b32_e32 v43, 0
	v_lshl_add_u64 v[14:15], v[42:43], 3, s[4:5]
	global_store_dwordx2 v[14:15], v[6:7], off
.LBB985_436:
	s_or_b64 exec, exec, s[0:1]
	v_cmp_gt_u32_e32 vcc, s2, v40
	s_or_b64 s[4:5], s[34:35], vcc
	s_and_saveexec_b64 s[0:1], s[4:5]
	s_cbranch_execz .LBB985_439
; %bb.437:
	v_and_b32_e32 v14, 1, v32
	v_cmp_eq_u32_e32 vcc, 1, v14
	s_and_b64 exec, exec, vcc
	s_cbranch_execz .LBB985_439
; %bb.438:
	s_lshl_b64 s[4:5], s[22:23], 3
	s_add_u32 s4, s6, s4
	s_addc_u32 s5, s7, s5
	v_mov_b32_e32 v41, 0
	v_lshl_add_u64 v[14:15], v[40:41], 3, s[4:5]
	global_store_dwordx2 v[14:15], v[8:9], off
.LBB985_439:
	s_or_b64 exec, exec, s[0:1]
	v_cmp_gt_u32_e32 vcc, s2, v38
	s_or_b64 s[4:5], s[34:35], vcc
	s_and_saveexec_b64 s[0:1], s[4:5]
	s_cbranch_execz .LBB985_442
; %bb.440:
	v_and_b32_e32 v14, 1, v31
	v_cmp_eq_u32_e32 vcc, 1, v14
	s_and_b64 exec, exec, vcc
	s_cbranch_execz .LBB985_442
; %bb.441:
	s_lshl_b64 s[4:5], s[22:23], 3
	s_add_u32 s4, s6, s4
	s_addc_u32 s5, s7, s5
	v_mov_b32_e32 v39, 0
	v_lshl_add_u64 v[14:15], v[38:39], 3, s[4:5]
	global_store_dwordx2 v[14:15], v[2:3], off
.LBB985_442:
	;; [unrolled: 18-line block ×3, first 2 shown]
	s_or_b64 exec, exec, s[0:1]
	v_cmp_gt_u32_e32 vcc, s2, v34
	s_or_b64 s[2:3], s[34:35], vcc
	s_and_saveexec_b64 s[0:1], s[2:3]
	s_cbranch_execz .LBB985_448
; %bb.446:
	v_mov_b32_e32 v14, 1
	v_and_b32_sdwa v14, v14, v31 dst_sel:DWORD dst_unused:UNUSED_PAD src0_sel:DWORD src1_sel:WORD_1
	v_cmp_eq_u32_e32 vcc, 1, v14
	s_and_b64 exec, exec, vcc
	s_cbranch_execz .LBB985_448
; %bb.447:
	s_lshl_b64 s[2:3], s[22:23], 3
	s_add_u32 s2, s6, s2
	s_addc_u32 s3, s7, s3
	v_mov_b32_e32 v35, 0
	v_lshl_add_u64 v[14:15], v[34:35], 3, s[2:3]
	global_store_dwordx2 v[14:15], v[26:27], off
.LBB985_448:
	s_or_b64 exec, exec, s[0:1]
	s_branch .LBB985_425
.LBB985_449:
	v_cmp_eq_u32_e32 vcc, 1, v48
	s_and_saveexec_b64 s[0:1], vcc
	s_cbranch_execz .LBB985_451
; %bb.450:
	v_subrev_u32_e32 v14, s16, v46
	v_lshlrev_b32_e32 v14, 3, v14
	ds_write_b64 v14, v[10:11]
.LBB985_451:
	s_or_b64 exec, exec, s[0:1]
	v_and_b32_e32 v10, 1, v33
	v_cmp_eq_u32_e32 vcc, 1, v10
	s_and_saveexec_b64 s[0:1], vcc
	s_cbranch_execz .LBB985_453
; %bb.452:
	v_subrev_u32_e32 v10, s16, v44
	v_lshlrev_b32_e32 v10, 3, v10
	ds_write_b64 v10, v[12:13]
.LBB985_453:
	s_or_b64 exec, exec, s[0:1]
	v_mov_b32_e32 v10, 1
	v_and_b32_sdwa v10, v10, v30 dst_sel:DWORD dst_unused:UNUSED_PAD src0_sel:DWORD src1_sel:WORD_1
	v_cmp_eq_u32_e32 vcc, 1, v10
	s_and_saveexec_b64 s[0:1], vcc
	s_cbranch_execz .LBB985_455
; %bb.454:
	v_subrev_u32_e32 v10, s16, v42
	v_lshlrev_b32_e32 v10, 3, v10
	ds_write_b64 v10, v[6:7]
.LBB985_455:
	s_or_b64 exec, exec, s[0:1]
	v_and_b32_e32 v6, 1, v32
	v_cmp_eq_u32_e32 vcc, 1, v6
	s_and_saveexec_b64 s[0:1], vcc
	s_cbranch_execz .LBB985_457
; %bb.456:
	v_subrev_u32_e32 v6, s16, v40
	v_lshlrev_b32_e32 v6, 3, v6
	ds_write_b64 v6, v[8:9]
.LBB985_457:
	s_or_b64 exec, exec, s[0:1]
	v_and_b32_e32 v6, 1, v31
	;; [unrolled: 10-line block ×3, first 2 shown]
	v_cmp_eq_u32_e32 vcc, 1, v1
	s_and_saveexec_b64 s[0:1], vcc
	s_cbranch_execz .LBB985_461
; %bb.460:
	v_subrev_u32_e32 v1, s16, v36
	v_lshlrev_b32_e32 v1, 3, v1
	ds_write_b64 v1, v[4:5]
.LBB985_461:
	s_or_b64 exec, exec, s[0:1]
	v_mov_b32_e32 v1, 1
	v_and_b32_sdwa v1, v1, v31 dst_sel:DWORD dst_unused:UNUSED_PAD src0_sel:DWORD src1_sel:WORD_1
	v_cmp_eq_u32_e32 vcc, 1, v1
	s_and_saveexec_b64 s[0:1], vcc
	s_cbranch_execz .LBB985_463
; %bb.462:
	v_subrev_u32_e32 v1, s16, v34
	v_lshlrev_b32_e32 v1, 3, v1
	ds_write_b64 v1, v[26:27]
.LBB985_463:
	s_or_b64 exec, exec, s[0:1]
	v_cmp_gt_u32_e32 vcc, s26, v0
	s_waitcnt lgkmcnt(0)
	s_barrier
	s_and_saveexec_b64 s[0:1], vcc
	s_cbranch_execz .LBB985_466
; %bb.464:
	s_mov_b32 s17, 0
	s_lshl_b64 s[2:3], s[22:23], 3
	s_lshl_b64 s[4:5], s[16:17], 3
	s_add_u32 s2, s2, s4
	s_addc_u32 s3, s3, s5
	s_add_u32 s2, s6, s2
	v_lshlrev_b32_e32 v2, 3, v0
	v_mov_b32_e32 v3, 0
	s_addc_u32 s3, s7, s3
	v_lshl_add_u64 v[4:5], s[2:3], 0, v[2:3]
	s_mov_b64 s[2:3], 0
	s_mov_b64 s[4:5], 0x1000
	v_mov_b32_e32 v1, v0
.LBB985_465:                            ; =>This Inner Loop Header: Depth=1
	ds_read_b64 v[6:7], v2
	v_add_u32_e32 v1, 0x200, v1
	v_cmp_le_u32_e32 vcc, s26, v1
	v_add_u32_e32 v2, 0x1000, v2
	s_or_b64 s[2:3], vcc, s[2:3]
	s_waitcnt lgkmcnt(0)
	global_store_dwordx2 v[4:5], v[6:7], off
	v_lshl_add_u64 v[4:5], v[4:5], 0, s[4:5]
	s_andn2_b64 exec, exec, s[2:3]
	s_cbranch_execnz .LBB985_465
.LBB985_466:
	s_or_b64 exec, exec, s[0:1]
	v_cmp_eq_u32_e32 vcc, 0, v0
	s_and_b64 s[0:1], vcc, s[24:25]
	s_and_saveexec_b64 s[2:3], s[0:1]
	s_cbranch_execz .LBB985_426
.LBB985_467:
	s_add_u32 s0, s22, s26
	s_addc_u32 s1, s23, 0
	s_add_u32 s0, s0, s16
	s_addc_u32 s1, s1, 0
	v_mov_b32_e32 v2, 0
	v_mov_b64_e32 v[0:1], s[0:1]
	global_store_dwordx2 v2, v[0:1], s[20:21]
	s_endpgm
	.section	.rodata,"a",@progbits
	.p2align	6, 0x0
	.amdhsa_kernel _ZN7rocprim17ROCPRIM_400000_NS6detail17trampoline_kernelINS0_14default_configENS1_25partition_config_selectorILNS1_17partition_subalgoE9EllbEEZZNS1_14partition_implILS5_9ELb0ES3_jPlS8_PNS0_10empty_typeENS0_5tupleIJS8_S9_EEENSB_IJS8_SA_EEENS0_18inequality_wrapperIZN2at6native12_GLOBAL__N_124unique_dim_cuda_templateIfEESt5tupleIJNSF_6TensorESK_SK_EERKSK_lbbbEUlllE0_EEPmJS9_EEE10hipError_tPvRmT3_T4_T5_T6_T7_T9_mT8_P12ihipStream_tbDpT10_ENKUlT_T0_E_clISt17integral_constantIbLb1EES19_IbLb0EEEEDaS15_S16_EUlS15_E_NS1_11comp_targetILNS1_3genE5ELNS1_11target_archE942ELNS1_3gpuE9ELNS1_3repE0EEENS1_30default_config_static_selectorELNS0_4arch9wavefront6targetE1EEEvT1_
		.amdhsa_group_segment_fixed_size 28684
		.amdhsa_private_segment_fixed_size 0
		.amdhsa_kernarg_size 120
		.amdhsa_user_sgpr_count 2
		.amdhsa_user_sgpr_dispatch_ptr 0
		.amdhsa_user_sgpr_queue_ptr 0
		.amdhsa_user_sgpr_kernarg_segment_ptr 1
		.amdhsa_user_sgpr_dispatch_id 0
		.amdhsa_user_sgpr_kernarg_preload_length 0
		.amdhsa_user_sgpr_kernarg_preload_offset 0
		.amdhsa_user_sgpr_private_segment_size 0
		.amdhsa_uses_dynamic_stack 0
		.amdhsa_enable_private_segment 0
		.amdhsa_system_sgpr_workgroup_id_x 1
		.amdhsa_system_sgpr_workgroup_id_y 0
		.amdhsa_system_sgpr_workgroup_id_z 0
		.amdhsa_system_sgpr_workgroup_info 0
		.amdhsa_system_vgpr_workitem_id 0
		.amdhsa_next_free_vgpr 66
		.amdhsa_next_free_sgpr 52
		.amdhsa_accum_offset 68
		.amdhsa_reserve_vcc 1
		.amdhsa_float_round_mode_32 0
		.amdhsa_float_round_mode_16_64 0
		.amdhsa_float_denorm_mode_32 3
		.amdhsa_float_denorm_mode_16_64 3
		.amdhsa_dx10_clamp 1
		.amdhsa_ieee_mode 1
		.amdhsa_fp16_overflow 0
		.amdhsa_tg_split 0
		.amdhsa_exception_fp_ieee_invalid_op 0
		.amdhsa_exception_fp_denorm_src 0
		.amdhsa_exception_fp_ieee_div_zero 0
		.amdhsa_exception_fp_ieee_overflow 0
		.amdhsa_exception_fp_ieee_underflow 0
		.amdhsa_exception_fp_ieee_inexact 0
		.amdhsa_exception_int_div_zero 0
	.end_amdhsa_kernel
	.section	.text._ZN7rocprim17ROCPRIM_400000_NS6detail17trampoline_kernelINS0_14default_configENS1_25partition_config_selectorILNS1_17partition_subalgoE9EllbEEZZNS1_14partition_implILS5_9ELb0ES3_jPlS8_PNS0_10empty_typeENS0_5tupleIJS8_S9_EEENSB_IJS8_SA_EEENS0_18inequality_wrapperIZN2at6native12_GLOBAL__N_124unique_dim_cuda_templateIfEESt5tupleIJNSF_6TensorESK_SK_EERKSK_lbbbEUlllE0_EEPmJS9_EEE10hipError_tPvRmT3_T4_T5_T6_T7_T9_mT8_P12ihipStream_tbDpT10_ENKUlT_T0_E_clISt17integral_constantIbLb1EES19_IbLb0EEEEDaS15_S16_EUlS15_E_NS1_11comp_targetILNS1_3genE5ELNS1_11target_archE942ELNS1_3gpuE9ELNS1_3repE0EEENS1_30default_config_static_selectorELNS0_4arch9wavefront6targetE1EEEvT1_,"axG",@progbits,_ZN7rocprim17ROCPRIM_400000_NS6detail17trampoline_kernelINS0_14default_configENS1_25partition_config_selectorILNS1_17partition_subalgoE9EllbEEZZNS1_14partition_implILS5_9ELb0ES3_jPlS8_PNS0_10empty_typeENS0_5tupleIJS8_S9_EEENSB_IJS8_SA_EEENS0_18inequality_wrapperIZN2at6native12_GLOBAL__N_124unique_dim_cuda_templateIfEESt5tupleIJNSF_6TensorESK_SK_EERKSK_lbbbEUlllE0_EEPmJS9_EEE10hipError_tPvRmT3_T4_T5_T6_T7_T9_mT8_P12ihipStream_tbDpT10_ENKUlT_T0_E_clISt17integral_constantIbLb1EES19_IbLb0EEEEDaS15_S16_EUlS15_E_NS1_11comp_targetILNS1_3genE5ELNS1_11target_archE942ELNS1_3gpuE9ELNS1_3repE0EEENS1_30default_config_static_selectorELNS0_4arch9wavefront6targetE1EEEvT1_,comdat
.Lfunc_end985:
	.size	_ZN7rocprim17ROCPRIM_400000_NS6detail17trampoline_kernelINS0_14default_configENS1_25partition_config_selectorILNS1_17partition_subalgoE9EllbEEZZNS1_14partition_implILS5_9ELb0ES3_jPlS8_PNS0_10empty_typeENS0_5tupleIJS8_S9_EEENSB_IJS8_SA_EEENS0_18inequality_wrapperIZN2at6native12_GLOBAL__N_124unique_dim_cuda_templateIfEESt5tupleIJNSF_6TensorESK_SK_EERKSK_lbbbEUlllE0_EEPmJS9_EEE10hipError_tPvRmT3_T4_T5_T6_T7_T9_mT8_P12ihipStream_tbDpT10_ENKUlT_T0_E_clISt17integral_constantIbLb1EES19_IbLb0EEEEDaS15_S16_EUlS15_E_NS1_11comp_targetILNS1_3genE5ELNS1_11target_archE942ELNS1_3gpuE9ELNS1_3repE0EEENS1_30default_config_static_selectorELNS0_4arch9wavefront6targetE1EEEvT1_, .Lfunc_end985-_ZN7rocprim17ROCPRIM_400000_NS6detail17trampoline_kernelINS0_14default_configENS1_25partition_config_selectorILNS1_17partition_subalgoE9EllbEEZZNS1_14partition_implILS5_9ELb0ES3_jPlS8_PNS0_10empty_typeENS0_5tupleIJS8_S9_EEENSB_IJS8_SA_EEENS0_18inequality_wrapperIZN2at6native12_GLOBAL__N_124unique_dim_cuda_templateIfEESt5tupleIJNSF_6TensorESK_SK_EERKSK_lbbbEUlllE0_EEPmJS9_EEE10hipError_tPvRmT3_T4_T5_T6_T7_T9_mT8_P12ihipStream_tbDpT10_ENKUlT_T0_E_clISt17integral_constantIbLb1EES19_IbLb0EEEEDaS15_S16_EUlS15_E_NS1_11comp_targetILNS1_3genE5ELNS1_11target_archE942ELNS1_3gpuE9ELNS1_3repE0EEENS1_30default_config_static_selectorELNS0_4arch9wavefront6targetE1EEEvT1_
                                        ; -- End function
	.section	.AMDGPU.csdata,"",@progbits
; Kernel info:
; codeLenInByte = 14472
; NumSgprs: 58
; NumVgprs: 66
; NumAgprs: 0
; TotalNumVgprs: 66
; ScratchSize: 0
; MemoryBound: 0
; FloatMode: 240
; IeeeMode: 1
; LDSByteSize: 28684 bytes/workgroup (compile time only)
; SGPRBlocks: 7
; VGPRBlocks: 8
; NumSGPRsForWavesPerEU: 58
; NumVGPRsForWavesPerEU: 66
; AccumOffset: 68
; Occupancy: 4
; WaveLimiterHint : 1
; COMPUTE_PGM_RSRC2:SCRATCH_EN: 0
; COMPUTE_PGM_RSRC2:USER_SGPR: 2
; COMPUTE_PGM_RSRC2:TRAP_HANDLER: 0
; COMPUTE_PGM_RSRC2:TGID_X_EN: 1
; COMPUTE_PGM_RSRC2:TGID_Y_EN: 0
; COMPUTE_PGM_RSRC2:TGID_Z_EN: 0
; COMPUTE_PGM_RSRC2:TIDIG_COMP_CNT: 0
; COMPUTE_PGM_RSRC3_GFX90A:ACCUM_OFFSET: 16
; COMPUTE_PGM_RSRC3_GFX90A:TG_SPLIT: 0
	.section	.text._ZN7rocprim17ROCPRIM_400000_NS6detail17trampoline_kernelINS0_14default_configENS1_25partition_config_selectorILNS1_17partition_subalgoE9EllbEEZZNS1_14partition_implILS5_9ELb0ES3_jPlS8_PNS0_10empty_typeENS0_5tupleIJS8_S9_EEENSB_IJS8_SA_EEENS0_18inequality_wrapperIZN2at6native12_GLOBAL__N_124unique_dim_cuda_templateIfEESt5tupleIJNSF_6TensorESK_SK_EERKSK_lbbbEUlllE0_EEPmJS9_EEE10hipError_tPvRmT3_T4_T5_T6_T7_T9_mT8_P12ihipStream_tbDpT10_ENKUlT_T0_E_clISt17integral_constantIbLb1EES19_IbLb0EEEEDaS15_S16_EUlS15_E_NS1_11comp_targetILNS1_3genE4ELNS1_11target_archE910ELNS1_3gpuE8ELNS1_3repE0EEENS1_30default_config_static_selectorELNS0_4arch9wavefront6targetE1EEEvT1_,"axG",@progbits,_ZN7rocprim17ROCPRIM_400000_NS6detail17trampoline_kernelINS0_14default_configENS1_25partition_config_selectorILNS1_17partition_subalgoE9EllbEEZZNS1_14partition_implILS5_9ELb0ES3_jPlS8_PNS0_10empty_typeENS0_5tupleIJS8_S9_EEENSB_IJS8_SA_EEENS0_18inequality_wrapperIZN2at6native12_GLOBAL__N_124unique_dim_cuda_templateIfEESt5tupleIJNSF_6TensorESK_SK_EERKSK_lbbbEUlllE0_EEPmJS9_EEE10hipError_tPvRmT3_T4_T5_T6_T7_T9_mT8_P12ihipStream_tbDpT10_ENKUlT_T0_E_clISt17integral_constantIbLb1EES19_IbLb0EEEEDaS15_S16_EUlS15_E_NS1_11comp_targetILNS1_3genE4ELNS1_11target_archE910ELNS1_3gpuE8ELNS1_3repE0EEENS1_30default_config_static_selectorELNS0_4arch9wavefront6targetE1EEEvT1_,comdat
	.globl	_ZN7rocprim17ROCPRIM_400000_NS6detail17trampoline_kernelINS0_14default_configENS1_25partition_config_selectorILNS1_17partition_subalgoE9EllbEEZZNS1_14partition_implILS5_9ELb0ES3_jPlS8_PNS0_10empty_typeENS0_5tupleIJS8_S9_EEENSB_IJS8_SA_EEENS0_18inequality_wrapperIZN2at6native12_GLOBAL__N_124unique_dim_cuda_templateIfEESt5tupleIJNSF_6TensorESK_SK_EERKSK_lbbbEUlllE0_EEPmJS9_EEE10hipError_tPvRmT3_T4_T5_T6_T7_T9_mT8_P12ihipStream_tbDpT10_ENKUlT_T0_E_clISt17integral_constantIbLb1EES19_IbLb0EEEEDaS15_S16_EUlS15_E_NS1_11comp_targetILNS1_3genE4ELNS1_11target_archE910ELNS1_3gpuE8ELNS1_3repE0EEENS1_30default_config_static_selectorELNS0_4arch9wavefront6targetE1EEEvT1_ ; -- Begin function _ZN7rocprim17ROCPRIM_400000_NS6detail17trampoline_kernelINS0_14default_configENS1_25partition_config_selectorILNS1_17partition_subalgoE9EllbEEZZNS1_14partition_implILS5_9ELb0ES3_jPlS8_PNS0_10empty_typeENS0_5tupleIJS8_S9_EEENSB_IJS8_SA_EEENS0_18inequality_wrapperIZN2at6native12_GLOBAL__N_124unique_dim_cuda_templateIfEESt5tupleIJNSF_6TensorESK_SK_EERKSK_lbbbEUlllE0_EEPmJS9_EEE10hipError_tPvRmT3_T4_T5_T6_T7_T9_mT8_P12ihipStream_tbDpT10_ENKUlT_T0_E_clISt17integral_constantIbLb1EES19_IbLb0EEEEDaS15_S16_EUlS15_E_NS1_11comp_targetILNS1_3genE4ELNS1_11target_archE910ELNS1_3gpuE8ELNS1_3repE0EEENS1_30default_config_static_selectorELNS0_4arch9wavefront6targetE1EEEvT1_
	.p2align	8
	.type	_ZN7rocprim17ROCPRIM_400000_NS6detail17trampoline_kernelINS0_14default_configENS1_25partition_config_selectorILNS1_17partition_subalgoE9EllbEEZZNS1_14partition_implILS5_9ELb0ES3_jPlS8_PNS0_10empty_typeENS0_5tupleIJS8_S9_EEENSB_IJS8_SA_EEENS0_18inequality_wrapperIZN2at6native12_GLOBAL__N_124unique_dim_cuda_templateIfEESt5tupleIJNSF_6TensorESK_SK_EERKSK_lbbbEUlllE0_EEPmJS9_EEE10hipError_tPvRmT3_T4_T5_T6_T7_T9_mT8_P12ihipStream_tbDpT10_ENKUlT_T0_E_clISt17integral_constantIbLb1EES19_IbLb0EEEEDaS15_S16_EUlS15_E_NS1_11comp_targetILNS1_3genE4ELNS1_11target_archE910ELNS1_3gpuE8ELNS1_3repE0EEENS1_30default_config_static_selectorELNS0_4arch9wavefront6targetE1EEEvT1_,@function
_ZN7rocprim17ROCPRIM_400000_NS6detail17trampoline_kernelINS0_14default_configENS1_25partition_config_selectorILNS1_17partition_subalgoE9EllbEEZZNS1_14partition_implILS5_9ELb0ES3_jPlS8_PNS0_10empty_typeENS0_5tupleIJS8_S9_EEENSB_IJS8_SA_EEENS0_18inequality_wrapperIZN2at6native12_GLOBAL__N_124unique_dim_cuda_templateIfEESt5tupleIJNSF_6TensorESK_SK_EERKSK_lbbbEUlllE0_EEPmJS9_EEE10hipError_tPvRmT3_T4_T5_T6_T7_T9_mT8_P12ihipStream_tbDpT10_ENKUlT_T0_E_clISt17integral_constantIbLb1EES19_IbLb0EEEEDaS15_S16_EUlS15_E_NS1_11comp_targetILNS1_3genE4ELNS1_11target_archE910ELNS1_3gpuE8ELNS1_3repE0EEENS1_30default_config_static_selectorELNS0_4arch9wavefront6targetE1EEEvT1_: ; @_ZN7rocprim17ROCPRIM_400000_NS6detail17trampoline_kernelINS0_14default_configENS1_25partition_config_selectorILNS1_17partition_subalgoE9EllbEEZZNS1_14partition_implILS5_9ELb0ES3_jPlS8_PNS0_10empty_typeENS0_5tupleIJS8_S9_EEENSB_IJS8_SA_EEENS0_18inequality_wrapperIZN2at6native12_GLOBAL__N_124unique_dim_cuda_templateIfEESt5tupleIJNSF_6TensorESK_SK_EERKSK_lbbbEUlllE0_EEPmJS9_EEE10hipError_tPvRmT3_T4_T5_T6_T7_T9_mT8_P12ihipStream_tbDpT10_ENKUlT_T0_E_clISt17integral_constantIbLb1EES19_IbLb0EEEEDaS15_S16_EUlS15_E_NS1_11comp_targetILNS1_3genE4ELNS1_11target_archE910ELNS1_3gpuE8ELNS1_3repE0EEENS1_30default_config_static_selectorELNS0_4arch9wavefront6targetE1EEEvT1_
; %bb.0:
	.section	.rodata,"a",@progbits
	.p2align	6, 0x0
	.amdhsa_kernel _ZN7rocprim17ROCPRIM_400000_NS6detail17trampoline_kernelINS0_14default_configENS1_25partition_config_selectorILNS1_17partition_subalgoE9EllbEEZZNS1_14partition_implILS5_9ELb0ES3_jPlS8_PNS0_10empty_typeENS0_5tupleIJS8_S9_EEENSB_IJS8_SA_EEENS0_18inequality_wrapperIZN2at6native12_GLOBAL__N_124unique_dim_cuda_templateIfEESt5tupleIJNSF_6TensorESK_SK_EERKSK_lbbbEUlllE0_EEPmJS9_EEE10hipError_tPvRmT3_T4_T5_T6_T7_T9_mT8_P12ihipStream_tbDpT10_ENKUlT_T0_E_clISt17integral_constantIbLb1EES19_IbLb0EEEEDaS15_S16_EUlS15_E_NS1_11comp_targetILNS1_3genE4ELNS1_11target_archE910ELNS1_3gpuE8ELNS1_3repE0EEENS1_30default_config_static_selectorELNS0_4arch9wavefront6targetE1EEEvT1_
		.amdhsa_group_segment_fixed_size 0
		.amdhsa_private_segment_fixed_size 0
		.amdhsa_kernarg_size 120
		.amdhsa_user_sgpr_count 2
		.amdhsa_user_sgpr_dispatch_ptr 0
		.amdhsa_user_sgpr_queue_ptr 0
		.amdhsa_user_sgpr_kernarg_segment_ptr 1
		.amdhsa_user_sgpr_dispatch_id 0
		.amdhsa_user_sgpr_kernarg_preload_length 0
		.amdhsa_user_sgpr_kernarg_preload_offset 0
		.amdhsa_user_sgpr_private_segment_size 0
		.amdhsa_uses_dynamic_stack 0
		.amdhsa_enable_private_segment 0
		.amdhsa_system_sgpr_workgroup_id_x 1
		.amdhsa_system_sgpr_workgroup_id_y 0
		.amdhsa_system_sgpr_workgroup_id_z 0
		.amdhsa_system_sgpr_workgroup_info 0
		.amdhsa_system_vgpr_workitem_id 0
		.amdhsa_next_free_vgpr 1
		.amdhsa_next_free_sgpr 0
		.amdhsa_accum_offset 4
		.amdhsa_reserve_vcc 0
		.amdhsa_float_round_mode_32 0
		.amdhsa_float_round_mode_16_64 0
		.amdhsa_float_denorm_mode_32 3
		.amdhsa_float_denorm_mode_16_64 3
		.amdhsa_dx10_clamp 1
		.amdhsa_ieee_mode 1
		.amdhsa_fp16_overflow 0
		.amdhsa_tg_split 0
		.amdhsa_exception_fp_ieee_invalid_op 0
		.amdhsa_exception_fp_denorm_src 0
		.amdhsa_exception_fp_ieee_div_zero 0
		.amdhsa_exception_fp_ieee_overflow 0
		.amdhsa_exception_fp_ieee_underflow 0
		.amdhsa_exception_fp_ieee_inexact 0
		.amdhsa_exception_int_div_zero 0
	.end_amdhsa_kernel
	.section	.text._ZN7rocprim17ROCPRIM_400000_NS6detail17trampoline_kernelINS0_14default_configENS1_25partition_config_selectorILNS1_17partition_subalgoE9EllbEEZZNS1_14partition_implILS5_9ELb0ES3_jPlS8_PNS0_10empty_typeENS0_5tupleIJS8_S9_EEENSB_IJS8_SA_EEENS0_18inequality_wrapperIZN2at6native12_GLOBAL__N_124unique_dim_cuda_templateIfEESt5tupleIJNSF_6TensorESK_SK_EERKSK_lbbbEUlllE0_EEPmJS9_EEE10hipError_tPvRmT3_T4_T5_T6_T7_T9_mT8_P12ihipStream_tbDpT10_ENKUlT_T0_E_clISt17integral_constantIbLb1EES19_IbLb0EEEEDaS15_S16_EUlS15_E_NS1_11comp_targetILNS1_3genE4ELNS1_11target_archE910ELNS1_3gpuE8ELNS1_3repE0EEENS1_30default_config_static_selectorELNS0_4arch9wavefront6targetE1EEEvT1_,"axG",@progbits,_ZN7rocprim17ROCPRIM_400000_NS6detail17trampoline_kernelINS0_14default_configENS1_25partition_config_selectorILNS1_17partition_subalgoE9EllbEEZZNS1_14partition_implILS5_9ELb0ES3_jPlS8_PNS0_10empty_typeENS0_5tupleIJS8_S9_EEENSB_IJS8_SA_EEENS0_18inequality_wrapperIZN2at6native12_GLOBAL__N_124unique_dim_cuda_templateIfEESt5tupleIJNSF_6TensorESK_SK_EERKSK_lbbbEUlllE0_EEPmJS9_EEE10hipError_tPvRmT3_T4_T5_T6_T7_T9_mT8_P12ihipStream_tbDpT10_ENKUlT_T0_E_clISt17integral_constantIbLb1EES19_IbLb0EEEEDaS15_S16_EUlS15_E_NS1_11comp_targetILNS1_3genE4ELNS1_11target_archE910ELNS1_3gpuE8ELNS1_3repE0EEENS1_30default_config_static_selectorELNS0_4arch9wavefront6targetE1EEEvT1_,comdat
.Lfunc_end986:
	.size	_ZN7rocprim17ROCPRIM_400000_NS6detail17trampoline_kernelINS0_14default_configENS1_25partition_config_selectorILNS1_17partition_subalgoE9EllbEEZZNS1_14partition_implILS5_9ELb0ES3_jPlS8_PNS0_10empty_typeENS0_5tupleIJS8_S9_EEENSB_IJS8_SA_EEENS0_18inequality_wrapperIZN2at6native12_GLOBAL__N_124unique_dim_cuda_templateIfEESt5tupleIJNSF_6TensorESK_SK_EERKSK_lbbbEUlllE0_EEPmJS9_EEE10hipError_tPvRmT3_T4_T5_T6_T7_T9_mT8_P12ihipStream_tbDpT10_ENKUlT_T0_E_clISt17integral_constantIbLb1EES19_IbLb0EEEEDaS15_S16_EUlS15_E_NS1_11comp_targetILNS1_3genE4ELNS1_11target_archE910ELNS1_3gpuE8ELNS1_3repE0EEENS1_30default_config_static_selectorELNS0_4arch9wavefront6targetE1EEEvT1_, .Lfunc_end986-_ZN7rocprim17ROCPRIM_400000_NS6detail17trampoline_kernelINS0_14default_configENS1_25partition_config_selectorILNS1_17partition_subalgoE9EllbEEZZNS1_14partition_implILS5_9ELb0ES3_jPlS8_PNS0_10empty_typeENS0_5tupleIJS8_S9_EEENSB_IJS8_SA_EEENS0_18inequality_wrapperIZN2at6native12_GLOBAL__N_124unique_dim_cuda_templateIfEESt5tupleIJNSF_6TensorESK_SK_EERKSK_lbbbEUlllE0_EEPmJS9_EEE10hipError_tPvRmT3_T4_T5_T6_T7_T9_mT8_P12ihipStream_tbDpT10_ENKUlT_T0_E_clISt17integral_constantIbLb1EES19_IbLb0EEEEDaS15_S16_EUlS15_E_NS1_11comp_targetILNS1_3genE4ELNS1_11target_archE910ELNS1_3gpuE8ELNS1_3repE0EEENS1_30default_config_static_selectorELNS0_4arch9wavefront6targetE1EEEvT1_
                                        ; -- End function
	.section	.AMDGPU.csdata,"",@progbits
; Kernel info:
; codeLenInByte = 0
; NumSgprs: 6
; NumVgprs: 0
; NumAgprs: 0
; TotalNumVgprs: 0
; ScratchSize: 0
; MemoryBound: 0
; FloatMode: 240
; IeeeMode: 1
; LDSByteSize: 0 bytes/workgroup (compile time only)
; SGPRBlocks: 0
; VGPRBlocks: 0
; NumSGPRsForWavesPerEU: 6
; NumVGPRsForWavesPerEU: 1
; AccumOffset: 4
; Occupancy: 8
; WaveLimiterHint : 0
; COMPUTE_PGM_RSRC2:SCRATCH_EN: 0
; COMPUTE_PGM_RSRC2:USER_SGPR: 2
; COMPUTE_PGM_RSRC2:TRAP_HANDLER: 0
; COMPUTE_PGM_RSRC2:TGID_X_EN: 1
; COMPUTE_PGM_RSRC2:TGID_Y_EN: 0
; COMPUTE_PGM_RSRC2:TGID_Z_EN: 0
; COMPUTE_PGM_RSRC2:TIDIG_COMP_CNT: 0
; COMPUTE_PGM_RSRC3_GFX90A:ACCUM_OFFSET: 0
; COMPUTE_PGM_RSRC3_GFX90A:TG_SPLIT: 0
	.section	.text._ZN7rocprim17ROCPRIM_400000_NS6detail17trampoline_kernelINS0_14default_configENS1_25partition_config_selectorILNS1_17partition_subalgoE9EllbEEZZNS1_14partition_implILS5_9ELb0ES3_jPlS8_PNS0_10empty_typeENS0_5tupleIJS8_S9_EEENSB_IJS8_SA_EEENS0_18inequality_wrapperIZN2at6native12_GLOBAL__N_124unique_dim_cuda_templateIfEESt5tupleIJNSF_6TensorESK_SK_EERKSK_lbbbEUlllE0_EEPmJS9_EEE10hipError_tPvRmT3_T4_T5_T6_T7_T9_mT8_P12ihipStream_tbDpT10_ENKUlT_T0_E_clISt17integral_constantIbLb1EES19_IbLb0EEEEDaS15_S16_EUlS15_E_NS1_11comp_targetILNS1_3genE3ELNS1_11target_archE908ELNS1_3gpuE7ELNS1_3repE0EEENS1_30default_config_static_selectorELNS0_4arch9wavefront6targetE1EEEvT1_,"axG",@progbits,_ZN7rocprim17ROCPRIM_400000_NS6detail17trampoline_kernelINS0_14default_configENS1_25partition_config_selectorILNS1_17partition_subalgoE9EllbEEZZNS1_14partition_implILS5_9ELb0ES3_jPlS8_PNS0_10empty_typeENS0_5tupleIJS8_S9_EEENSB_IJS8_SA_EEENS0_18inequality_wrapperIZN2at6native12_GLOBAL__N_124unique_dim_cuda_templateIfEESt5tupleIJNSF_6TensorESK_SK_EERKSK_lbbbEUlllE0_EEPmJS9_EEE10hipError_tPvRmT3_T4_T5_T6_T7_T9_mT8_P12ihipStream_tbDpT10_ENKUlT_T0_E_clISt17integral_constantIbLb1EES19_IbLb0EEEEDaS15_S16_EUlS15_E_NS1_11comp_targetILNS1_3genE3ELNS1_11target_archE908ELNS1_3gpuE7ELNS1_3repE0EEENS1_30default_config_static_selectorELNS0_4arch9wavefront6targetE1EEEvT1_,comdat
	.globl	_ZN7rocprim17ROCPRIM_400000_NS6detail17trampoline_kernelINS0_14default_configENS1_25partition_config_selectorILNS1_17partition_subalgoE9EllbEEZZNS1_14partition_implILS5_9ELb0ES3_jPlS8_PNS0_10empty_typeENS0_5tupleIJS8_S9_EEENSB_IJS8_SA_EEENS0_18inequality_wrapperIZN2at6native12_GLOBAL__N_124unique_dim_cuda_templateIfEESt5tupleIJNSF_6TensorESK_SK_EERKSK_lbbbEUlllE0_EEPmJS9_EEE10hipError_tPvRmT3_T4_T5_T6_T7_T9_mT8_P12ihipStream_tbDpT10_ENKUlT_T0_E_clISt17integral_constantIbLb1EES19_IbLb0EEEEDaS15_S16_EUlS15_E_NS1_11comp_targetILNS1_3genE3ELNS1_11target_archE908ELNS1_3gpuE7ELNS1_3repE0EEENS1_30default_config_static_selectorELNS0_4arch9wavefront6targetE1EEEvT1_ ; -- Begin function _ZN7rocprim17ROCPRIM_400000_NS6detail17trampoline_kernelINS0_14default_configENS1_25partition_config_selectorILNS1_17partition_subalgoE9EllbEEZZNS1_14partition_implILS5_9ELb0ES3_jPlS8_PNS0_10empty_typeENS0_5tupleIJS8_S9_EEENSB_IJS8_SA_EEENS0_18inequality_wrapperIZN2at6native12_GLOBAL__N_124unique_dim_cuda_templateIfEESt5tupleIJNSF_6TensorESK_SK_EERKSK_lbbbEUlllE0_EEPmJS9_EEE10hipError_tPvRmT3_T4_T5_T6_T7_T9_mT8_P12ihipStream_tbDpT10_ENKUlT_T0_E_clISt17integral_constantIbLb1EES19_IbLb0EEEEDaS15_S16_EUlS15_E_NS1_11comp_targetILNS1_3genE3ELNS1_11target_archE908ELNS1_3gpuE7ELNS1_3repE0EEENS1_30default_config_static_selectorELNS0_4arch9wavefront6targetE1EEEvT1_
	.p2align	8
	.type	_ZN7rocprim17ROCPRIM_400000_NS6detail17trampoline_kernelINS0_14default_configENS1_25partition_config_selectorILNS1_17partition_subalgoE9EllbEEZZNS1_14partition_implILS5_9ELb0ES3_jPlS8_PNS0_10empty_typeENS0_5tupleIJS8_S9_EEENSB_IJS8_SA_EEENS0_18inequality_wrapperIZN2at6native12_GLOBAL__N_124unique_dim_cuda_templateIfEESt5tupleIJNSF_6TensorESK_SK_EERKSK_lbbbEUlllE0_EEPmJS9_EEE10hipError_tPvRmT3_T4_T5_T6_T7_T9_mT8_P12ihipStream_tbDpT10_ENKUlT_T0_E_clISt17integral_constantIbLb1EES19_IbLb0EEEEDaS15_S16_EUlS15_E_NS1_11comp_targetILNS1_3genE3ELNS1_11target_archE908ELNS1_3gpuE7ELNS1_3repE0EEENS1_30default_config_static_selectorELNS0_4arch9wavefront6targetE1EEEvT1_,@function
_ZN7rocprim17ROCPRIM_400000_NS6detail17trampoline_kernelINS0_14default_configENS1_25partition_config_selectorILNS1_17partition_subalgoE9EllbEEZZNS1_14partition_implILS5_9ELb0ES3_jPlS8_PNS0_10empty_typeENS0_5tupleIJS8_S9_EEENSB_IJS8_SA_EEENS0_18inequality_wrapperIZN2at6native12_GLOBAL__N_124unique_dim_cuda_templateIfEESt5tupleIJNSF_6TensorESK_SK_EERKSK_lbbbEUlllE0_EEPmJS9_EEE10hipError_tPvRmT3_T4_T5_T6_T7_T9_mT8_P12ihipStream_tbDpT10_ENKUlT_T0_E_clISt17integral_constantIbLb1EES19_IbLb0EEEEDaS15_S16_EUlS15_E_NS1_11comp_targetILNS1_3genE3ELNS1_11target_archE908ELNS1_3gpuE7ELNS1_3repE0EEENS1_30default_config_static_selectorELNS0_4arch9wavefront6targetE1EEEvT1_: ; @_ZN7rocprim17ROCPRIM_400000_NS6detail17trampoline_kernelINS0_14default_configENS1_25partition_config_selectorILNS1_17partition_subalgoE9EllbEEZZNS1_14partition_implILS5_9ELb0ES3_jPlS8_PNS0_10empty_typeENS0_5tupleIJS8_S9_EEENSB_IJS8_SA_EEENS0_18inequality_wrapperIZN2at6native12_GLOBAL__N_124unique_dim_cuda_templateIfEESt5tupleIJNSF_6TensorESK_SK_EERKSK_lbbbEUlllE0_EEPmJS9_EEE10hipError_tPvRmT3_T4_T5_T6_T7_T9_mT8_P12ihipStream_tbDpT10_ENKUlT_T0_E_clISt17integral_constantIbLb1EES19_IbLb0EEEEDaS15_S16_EUlS15_E_NS1_11comp_targetILNS1_3genE3ELNS1_11target_archE908ELNS1_3gpuE7ELNS1_3repE0EEENS1_30default_config_static_selectorELNS0_4arch9wavefront6targetE1EEEvT1_
; %bb.0:
	.section	.rodata,"a",@progbits
	.p2align	6, 0x0
	.amdhsa_kernel _ZN7rocprim17ROCPRIM_400000_NS6detail17trampoline_kernelINS0_14default_configENS1_25partition_config_selectorILNS1_17partition_subalgoE9EllbEEZZNS1_14partition_implILS5_9ELb0ES3_jPlS8_PNS0_10empty_typeENS0_5tupleIJS8_S9_EEENSB_IJS8_SA_EEENS0_18inequality_wrapperIZN2at6native12_GLOBAL__N_124unique_dim_cuda_templateIfEESt5tupleIJNSF_6TensorESK_SK_EERKSK_lbbbEUlllE0_EEPmJS9_EEE10hipError_tPvRmT3_T4_T5_T6_T7_T9_mT8_P12ihipStream_tbDpT10_ENKUlT_T0_E_clISt17integral_constantIbLb1EES19_IbLb0EEEEDaS15_S16_EUlS15_E_NS1_11comp_targetILNS1_3genE3ELNS1_11target_archE908ELNS1_3gpuE7ELNS1_3repE0EEENS1_30default_config_static_selectorELNS0_4arch9wavefront6targetE1EEEvT1_
		.amdhsa_group_segment_fixed_size 0
		.amdhsa_private_segment_fixed_size 0
		.amdhsa_kernarg_size 120
		.amdhsa_user_sgpr_count 2
		.amdhsa_user_sgpr_dispatch_ptr 0
		.amdhsa_user_sgpr_queue_ptr 0
		.amdhsa_user_sgpr_kernarg_segment_ptr 1
		.amdhsa_user_sgpr_dispatch_id 0
		.amdhsa_user_sgpr_kernarg_preload_length 0
		.amdhsa_user_sgpr_kernarg_preload_offset 0
		.amdhsa_user_sgpr_private_segment_size 0
		.amdhsa_uses_dynamic_stack 0
		.amdhsa_enable_private_segment 0
		.amdhsa_system_sgpr_workgroup_id_x 1
		.amdhsa_system_sgpr_workgroup_id_y 0
		.amdhsa_system_sgpr_workgroup_id_z 0
		.amdhsa_system_sgpr_workgroup_info 0
		.amdhsa_system_vgpr_workitem_id 0
		.amdhsa_next_free_vgpr 1
		.amdhsa_next_free_sgpr 0
		.amdhsa_accum_offset 4
		.amdhsa_reserve_vcc 0
		.amdhsa_float_round_mode_32 0
		.amdhsa_float_round_mode_16_64 0
		.amdhsa_float_denorm_mode_32 3
		.amdhsa_float_denorm_mode_16_64 3
		.amdhsa_dx10_clamp 1
		.amdhsa_ieee_mode 1
		.amdhsa_fp16_overflow 0
		.amdhsa_tg_split 0
		.amdhsa_exception_fp_ieee_invalid_op 0
		.amdhsa_exception_fp_denorm_src 0
		.amdhsa_exception_fp_ieee_div_zero 0
		.amdhsa_exception_fp_ieee_overflow 0
		.amdhsa_exception_fp_ieee_underflow 0
		.amdhsa_exception_fp_ieee_inexact 0
		.amdhsa_exception_int_div_zero 0
	.end_amdhsa_kernel
	.section	.text._ZN7rocprim17ROCPRIM_400000_NS6detail17trampoline_kernelINS0_14default_configENS1_25partition_config_selectorILNS1_17partition_subalgoE9EllbEEZZNS1_14partition_implILS5_9ELb0ES3_jPlS8_PNS0_10empty_typeENS0_5tupleIJS8_S9_EEENSB_IJS8_SA_EEENS0_18inequality_wrapperIZN2at6native12_GLOBAL__N_124unique_dim_cuda_templateIfEESt5tupleIJNSF_6TensorESK_SK_EERKSK_lbbbEUlllE0_EEPmJS9_EEE10hipError_tPvRmT3_T4_T5_T6_T7_T9_mT8_P12ihipStream_tbDpT10_ENKUlT_T0_E_clISt17integral_constantIbLb1EES19_IbLb0EEEEDaS15_S16_EUlS15_E_NS1_11comp_targetILNS1_3genE3ELNS1_11target_archE908ELNS1_3gpuE7ELNS1_3repE0EEENS1_30default_config_static_selectorELNS0_4arch9wavefront6targetE1EEEvT1_,"axG",@progbits,_ZN7rocprim17ROCPRIM_400000_NS6detail17trampoline_kernelINS0_14default_configENS1_25partition_config_selectorILNS1_17partition_subalgoE9EllbEEZZNS1_14partition_implILS5_9ELb0ES3_jPlS8_PNS0_10empty_typeENS0_5tupleIJS8_S9_EEENSB_IJS8_SA_EEENS0_18inequality_wrapperIZN2at6native12_GLOBAL__N_124unique_dim_cuda_templateIfEESt5tupleIJNSF_6TensorESK_SK_EERKSK_lbbbEUlllE0_EEPmJS9_EEE10hipError_tPvRmT3_T4_T5_T6_T7_T9_mT8_P12ihipStream_tbDpT10_ENKUlT_T0_E_clISt17integral_constantIbLb1EES19_IbLb0EEEEDaS15_S16_EUlS15_E_NS1_11comp_targetILNS1_3genE3ELNS1_11target_archE908ELNS1_3gpuE7ELNS1_3repE0EEENS1_30default_config_static_selectorELNS0_4arch9wavefront6targetE1EEEvT1_,comdat
.Lfunc_end987:
	.size	_ZN7rocprim17ROCPRIM_400000_NS6detail17trampoline_kernelINS0_14default_configENS1_25partition_config_selectorILNS1_17partition_subalgoE9EllbEEZZNS1_14partition_implILS5_9ELb0ES3_jPlS8_PNS0_10empty_typeENS0_5tupleIJS8_S9_EEENSB_IJS8_SA_EEENS0_18inequality_wrapperIZN2at6native12_GLOBAL__N_124unique_dim_cuda_templateIfEESt5tupleIJNSF_6TensorESK_SK_EERKSK_lbbbEUlllE0_EEPmJS9_EEE10hipError_tPvRmT3_T4_T5_T6_T7_T9_mT8_P12ihipStream_tbDpT10_ENKUlT_T0_E_clISt17integral_constantIbLb1EES19_IbLb0EEEEDaS15_S16_EUlS15_E_NS1_11comp_targetILNS1_3genE3ELNS1_11target_archE908ELNS1_3gpuE7ELNS1_3repE0EEENS1_30default_config_static_selectorELNS0_4arch9wavefront6targetE1EEEvT1_, .Lfunc_end987-_ZN7rocprim17ROCPRIM_400000_NS6detail17trampoline_kernelINS0_14default_configENS1_25partition_config_selectorILNS1_17partition_subalgoE9EllbEEZZNS1_14partition_implILS5_9ELb0ES3_jPlS8_PNS0_10empty_typeENS0_5tupleIJS8_S9_EEENSB_IJS8_SA_EEENS0_18inequality_wrapperIZN2at6native12_GLOBAL__N_124unique_dim_cuda_templateIfEESt5tupleIJNSF_6TensorESK_SK_EERKSK_lbbbEUlllE0_EEPmJS9_EEE10hipError_tPvRmT3_T4_T5_T6_T7_T9_mT8_P12ihipStream_tbDpT10_ENKUlT_T0_E_clISt17integral_constantIbLb1EES19_IbLb0EEEEDaS15_S16_EUlS15_E_NS1_11comp_targetILNS1_3genE3ELNS1_11target_archE908ELNS1_3gpuE7ELNS1_3repE0EEENS1_30default_config_static_selectorELNS0_4arch9wavefront6targetE1EEEvT1_
                                        ; -- End function
	.section	.AMDGPU.csdata,"",@progbits
; Kernel info:
; codeLenInByte = 0
; NumSgprs: 6
; NumVgprs: 0
; NumAgprs: 0
; TotalNumVgprs: 0
; ScratchSize: 0
; MemoryBound: 0
; FloatMode: 240
; IeeeMode: 1
; LDSByteSize: 0 bytes/workgroup (compile time only)
; SGPRBlocks: 0
; VGPRBlocks: 0
; NumSGPRsForWavesPerEU: 6
; NumVGPRsForWavesPerEU: 1
; AccumOffset: 4
; Occupancy: 8
; WaveLimiterHint : 0
; COMPUTE_PGM_RSRC2:SCRATCH_EN: 0
; COMPUTE_PGM_RSRC2:USER_SGPR: 2
; COMPUTE_PGM_RSRC2:TRAP_HANDLER: 0
; COMPUTE_PGM_RSRC2:TGID_X_EN: 1
; COMPUTE_PGM_RSRC2:TGID_Y_EN: 0
; COMPUTE_PGM_RSRC2:TGID_Z_EN: 0
; COMPUTE_PGM_RSRC2:TIDIG_COMP_CNT: 0
; COMPUTE_PGM_RSRC3_GFX90A:ACCUM_OFFSET: 0
; COMPUTE_PGM_RSRC3_GFX90A:TG_SPLIT: 0
	.section	.text._ZN7rocprim17ROCPRIM_400000_NS6detail17trampoline_kernelINS0_14default_configENS1_25partition_config_selectorILNS1_17partition_subalgoE9EllbEEZZNS1_14partition_implILS5_9ELb0ES3_jPlS8_PNS0_10empty_typeENS0_5tupleIJS8_S9_EEENSB_IJS8_SA_EEENS0_18inequality_wrapperIZN2at6native12_GLOBAL__N_124unique_dim_cuda_templateIfEESt5tupleIJNSF_6TensorESK_SK_EERKSK_lbbbEUlllE0_EEPmJS9_EEE10hipError_tPvRmT3_T4_T5_T6_T7_T9_mT8_P12ihipStream_tbDpT10_ENKUlT_T0_E_clISt17integral_constantIbLb1EES19_IbLb0EEEEDaS15_S16_EUlS15_E_NS1_11comp_targetILNS1_3genE2ELNS1_11target_archE906ELNS1_3gpuE6ELNS1_3repE0EEENS1_30default_config_static_selectorELNS0_4arch9wavefront6targetE1EEEvT1_,"axG",@progbits,_ZN7rocprim17ROCPRIM_400000_NS6detail17trampoline_kernelINS0_14default_configENS1_25partition_config_selectorILNS1_17partition_subalgoE9EllbEEZZNS1_14partition_implILS5_9ELb0ES3_jPlS8_PNS0_10empty_typeENS0_5tupleIJS8_S9_EEENSB_IJS8_SA_EEENS0_18inequality_wrapperIZN2at6native12_GLOBAL__N_124unique_dim_cuda_templateIfEESt5tupleIJNSF_6TensorESK_SK_EERKSK_lbbbEUlllE0_EEPmJS9_EEE10hipError_tPvRmT3_T4_T5_T6_T7_T9_mT8_P12ihipStream_tbDpT10_ENKUlT_T0_E_clISt17integral_constantIbLb1EES19_IbLb0EEEEDaS15_S16_EUlS15_E_NS1_11comp_targetILNS1_3genE2ELNS1_11target_archE906ELNS1_3gpuE6ELNS1_3repE0EEENS1_30default_config_static_selectorELNS0_4arch9wavefront6targetE1EEEvT1_,comdat
	.globl	_ZN7rocprim17ROCPRIM_400000_NS6detail17trampoline_kernelINS0_14default_configENS1_25partition_config_selectorILNS1_17partition_subalgoE9EllbEEZZNS1_14partition_implILS5_9ELb0ES3_jPlS8_PNS0_10empty_typeENS0_5tupleIJS8_S9_EEENSB_IJS8_SA_EEENS0_18inequality_wrapperIZN2at6native12_GLOBAL__N_124unique_dim_cuda_templateIfEESt5tupleIJNSF_6TensorESK_SK_EERKSK_lbbbEUlllE0_EEPmJS9_EEE10hipError_tPvRmT3_T4_T5_T6_T7_T9_mT8_P12ihipStream_tbDpT10_ENKUlT_T0_E_clISt17integral_constantIbLb1EES19_IbLb0EEEEDaS15_S16_EUlS15_E_NS1_11comp_targetILNS1_3genE2ELNS1_11target_archE906ELNS1_3gpuE6ELNS1_3repE0EEENS1_30default_config_static_selectorELNS0_4arch9wavefront6targetE1EEEvT1_ ; -- Begin function _ZN7rocprim17ROCPRIM_400000_NS6detail17trampoline_kernelINS0_14default_configENS1_25partition_config_selectorILNS1_17partition_subalgoE9EllbEEZZNS1_14partition_implILS5_9ELb0ES3_jPlS8_PNS0_10empty_typeENS0_5tupleIJS8_S9_EEENSB_IJS8_SA_EEENS0_18inequality_wrapperIZN2at6native12_GLOBAL__N_124unique_dim_cuda_templateIfEESt5tupleIJNSF_6TensorESK_SK_EERKSK_lbbbEUlllE0_EEPmJS9_EEE10hipError_tPvRmT3_T4_T5_T6_T7_T9_mT8_P12ihipStream_tbDpT10_ENKUlT_T0_E_clISt17integral_constantIbLb1EES19_IbLb0EEEEDaS15_S16_EUlS15_E_NS1_11comp_targetILNS1_3genE2ELNS1_11target_archE906ELNS1_3gpuE6ELNS1_3repE0EEENS1_30default_config_static_selectorELNS0_4arch9wavefront6targetE1EEEvT1_
	.p2align	8
	.type	_ZN7rocprim17ROCPRIM_400000_NS6detail17trampoline_kernelINS0_14default_configENS1_25partition_config_selectorILNS1_17partition_subalgoE9EllbEEZZNS1_14partition_implILS5_9ELb0ES3_jPlS8_PNS0_10empty_typeENS0_5tupleIJS8_S9_EEENSB_IJS8_SA_EEENS0_18inequality_wrapperIZN2at6native12_GLOBAL__N_124unique_dim_cuda_templateIfEESt5tupleIJNSF_6TensorESK_SK_EERKSK_lbbbEUlllE0_EEPmJS9_EEE10hipError_tPvRmT3_T4_T5_T6_T7_T9_mT8_P12ihipStream_tbDpT10_ENKUlT_T0_E_clISt17integral_constantIbLb1EES19_IbLb0EEEEDaS15_S16_EUlS15_E_NS1_11comp_targetILNS1_3genE2ELNS1_11target_archE906ELNS1_3gpuE6ELNS1_3repE0EEENS1_30default_config_static_selectorELNS0_4arch9wavefront6targetE1EEEvT1_,@function
_ZN7rocprim17ROCPRIM_400000_NS6detail17trampoline_kernelINS0_14default_configENS1_25partition_config_selectorILNS1_17partition_subalgoE9EllbEEZZNS1_14partition_implILS5_9ELb0ES3_jPlS8_PNS0_10empty_typeENS0_5tupleIJS8_S9_EEENSB_IJS8_SA_EEENS0_18inequality_wrapperIZN2at6native12_GLOBAL__N_124unique_dim_cuda_templateIfEESt5tupleIJNSF_6TensorESK_SK_EERKSK_lbbbEUlllE0_EEPmJS9_EEE10hipError_tPvRmT3_T4_T5_T6_T7_T9_mT8_P12ihipStream_tbDpT10_ENKUlT_T0_E_clISt17integral_constantIbLb1EES19_IbLb0EEEEDaS15_S16_EUlS15_E_NS1_11comp_targetILNS1_3genE2ELNS1_11target_archE906ELNS1_3gpuE6ELNS1_3repE0EEENS1_30default_config_static_selectorELNS0_4arch9wavefront6targetE1EEEvT1_: ; @_ZN7rocprim17ROCPRIM_400000_NS6detail17trampoline_kernelINS0_14default_configENS1_25partition_config_selectorILNS1_17partition_subalgoE9EllbEEZZNS1_14partition_implILS5_9ELb0ES3_jPlS8_PNS0_10empty_typeENS0_5tupleIJS8_S9_EEENSB_IJS8_SA_EEENS0_18inequality_wrapperIZN2at6native12_GLOBAL__N_124unique_dim_cuda_templateIfEESt5tupleIJNSF_6TensorESK_SK_EERKSK_lbbbEUlllE0_EEPmJS9_EEE10hipError_tPvRmT3_T4_T5_T6_T7_T9_mT8_P12ihipStream_tbDpT10_ENKUlT_T0_E_clISt17integral_constantIbLb1EES19_IbLb0EEEEDaS15_S16_EUlS15_E_NS1_11comp_targetILNS1_3genE2ELNS1_11target_archE906ELNS1_3gpuE6ELNS1_3repE0EEENS1_30default_config_static_selectorELNS0_4arch9wavefront6targetE1EEEvT1_
; %bb.0:
	.section	.rodata,"a",@progbits
	.p2align	6, 0x0
	.amdhsa_kernel _ZN7rocprim17ROCPRIM_400000_NS6detail17trampoline_kernelINS0_14default_configENS1_25partition_config_selectorILNS1_17partition_subalgoE9EllbEEZZNS1_14partition_implILS5_9ELb0ES3_jPlS8_PNS0_10empty_typeENS0_5tupleIJS8_S9_EEENSB_IJS8_SA_EEENS0_18inequality_wrapperIZN2at6native12_GLOBAL__N_124unique_dim_cuda_templateIfEESt5tupleIJNSF_6TensorESK_SK_EERKSK_lbbbEUlllE0_EEPmJS9_EEE10hipError_tPvRmT3_T4_T5_T6_T7_T9_mT8_P12ihipStream_tbDpT10_ENKUlT_T0_E_clISt17integral_constantIbLb1EES19_IbLb0EEEEDaS15_S16_EUlS15_E_NS1_11comp_targetILNS1_3genE2ELNS1_11target_archE906ELNS1_3gpuE6ELNS1_3repE0EEENS1_30default_config_static_selectorELNS0_4arch9wavefront6targetE1EEEvT1_
		.amdhsa_group_segment_fixed_size 0
		.amdhsa_private_segment_fixed_size 0
		.amdhsa_kernarg_size 120
		.amdhsa_user_sgpr_count 2
		.amdhsa_user_sgpr_dispatch_ptr 0
		.amdhsa_user_sgpr_queue_ptr 0
		.amdhsa_user_sgpr_kernarg_segment_ptr 1
		.amdhsa_user_sgpr_dispatch_id 0
		.amdhsa_user_sgpr_kernarg_preload_length 0
		.amdhsa_user_sgpr_kernarg_preload_offset 0
		.amdhsa_user_sgpr_private_segment_size 0
		.amdhsa_uses_dynamic_stack 0
		.amdhsa_enable_private_segment 0
		.amdhsa_system_sgpr_workgroup_id_x 1
		.amdhsa_system_sgpr_workgroup_id_y 0
		.amdhsa_system_sgpr_workgroup_id_z 0
		.amdhsa_system_sgpr_workgroup_info 0
		.amdhsa_system_vgpr_workitem_id 0
		.amdhsa_next_free_vgpr 1
		.amdhsa_next_free_sgpr 0
		.amdhsa_accum_offset 4
		.amdhsa_reserve_vcc 0
		.amdhsa_float_round_mode_32 0
		.amdhsa_float_round_mode_16_64 0
		.amdhsa_float_denorm_mode_32 3
		.amdhsa_float_denorm_mode_16_64 3
		.amdhsa_dx10_clamp 1
		.amdhsa_ieee_mode 1
		.amdhsa_fp16_overflow 0
		.amdhsa_tg_split 0
		.amdhsa_exception_fp_ieee_invalid_op 0
		.amdhsa_exception_fp_denorm_src 0
		.amdhsa_exception_fp_ieee_div_zero 0
		.amdhsa_exception_fp_ieee_overflow 0
		.amdhsa_exception_fp_ieee_underflow 0
		.amdhsa_exception_fp_ieee_inexact 0
		.amdhsa_exception_int_div_zero 0
	.end_amdhsa_kernel
	.section	.text._ZN7rocprim17ROCPRIM_400000_NS6detail17trampoline_kernelINS0_14default_configENS1_25partition_config_selectorILNS1_17partition_subalgoE9EllbEEZZNS1_14partition_implILS5_9ELb0ES3_jPlS8_PNS0_10empty_typeENS0_5tupleIJS8_S9_EEENSB_IJS8_SA_EEENS0_18inequality_wrapperIZN2at6native12_GLOBAL__N_124unique_dim_cuda_templateIfEESt5tupleIJNSF_6TensorESK_SK_EERKSK_lbbbEUlllE0_EEPmJS9_EEE10hipError_tPvRmT3_T4_T5_T6_T7_T9_mT8_P12ihipStream_tbDpT10_ENKUlT_T0_E_clISt17integral_constantIbLb1EES19_IbLb0EEEEDaS15_S16_EUlS15_E_NS1_11comp_targetILNS1_3genE2ELNS1_11target_archE906ELNS1_3gpuE6ELNS1_3repE0EEENS1_30default_config_static_selectorELNS0_4arch9wavefront6targetE1EEEvT1_,"axG",@progbits,_ZN7rocprim17ROCPRIM_400000_NS6detail17trampoline_kernelINS0_14default_configENS1_25partition_config_selectorILNS1_17partition_subalgoE9EllbEEZZNS1_14partition_implILS5_9ELb0ES3_jPlS8_PNS0_10empty_typeENS0_5tupleIJS8_S9_EEENSB_IJS8_SA_EEENS0_18inequality_wrapperIZN2at6native12_GLOBAL__N_124unique_dim_cuda_templateIfEESt5tupleIJNSF_6TensorESK_SK_EERKSK_lbbbEUlllE0_EEPmJS9_EEE10hipError_tPvRmT3_T4_T5_T6_T7_T9_mT8_P12ihipStream_tbDpT10_ENKUlT_T0_E_clISt17integral_constantIbLb1EES19_IbLb0EEEEDaS15_S16_EUlS15_E_NS1_11comp_targetILNS1_3genE2ELNS1_11target_archE906ELNS1_3gpuE6ELNS1_3repE0EEENS1_30default_config_static_selectorELNS0_4arch9wavefront6targetE1EEEvT1_,comdat
.Lfunc_end988:
	.size	_ZN7rocprim17ROCPRIM_400000_NS6detail17trampoline_kernelINS0_14default_configENS1_25partition_config_selectorILNS1_17partition_subalgoE9EllbEEZZNS1_14partition_implILS5_9ELb0ES3_jPlS8_PNS0_10empty_typeENS0_5tupleIJS8_S9_EEENSB_IJS8_SA_EEENS0_18inequality_wrapperIZN2at6native12_GLOBAL__N_124unique_dim_cuda_templateIfEESt5tupleIJNSF_6TensorESK_SK_EERKSK_lbbbEUlllE0_EEPmJS9_EEE10hipError_tPvRmT3_T4_T5_T6_T7_T9_mT8_P12ihipStream_tbDpT10_ENKUlT_T0_E_clISt17integral_constantIbLb1EES19_IbLb0EEEEDaS15_S16_EUlS15_E_NS1_11comp_targetILNS1_3genE2ELNS1_11target_archE906ELNS1_3gpuE6ELNS1_3repE0EEENS1_30default_config_static_selectorELNS0_4arch9wavefront6targetE1EEEvT1_, .Lfunc_end988-_ZN7rocprim17ROCPRIM_400000_NS6detail17trampoline_kernelINS0_14default_configENS1_25partition_config_selectorILNS1_17partition_subalgoE9EllbEEZZNS1_14partition_implILS5_9ELb0ES3_jPlS8_PNS0_10empty_typeENS0_5tupleIJS8_S9_EEENSB_IJS8_SA_EEENS0_18inequality_wrapperIZN2at6native12_GLOBAL__N_124unique_dim_cuda_templateIfEESt5tupleIJNSF_6TensorESK_SK_EERKSK_lbbbEUlllE0_EEPmJS9_EEE10hipError_tPvRmT3_T4_T5_T6_T7_T9_mT8_P12ihipStream_tbDpT10_ENKUlT_T0_E_clISt17integral_constantIbLb1EES19_IbLb0EEEEDaS15_S16_EUlS15_E_NS1_11comp_targetILNS1_3genE2ELNS1_11target_archE906ELNS1_3gpuE6ELNS1_3repE0EEENS1_30default_config_static_selectorELNS0_4arch9wavefront6targetE1EEEvT1_
                                        ; -- End function
	.section	.AMDGPU.csdata,"",@progbits
; Kernel info:
; codeLenInByte = 0
; NumSgprs: 6
; NumVgprs: 0
; NumAgprs: 0
; TotalNumVgprs: 0
; ScratchSize: 0
; MemoryBound: 0
; FloatMode: 240
; IeeeMode: 1
; LDSByteSize: 0 bytes/workgroup (compile time only)
; SGPRBlocks: 0
; VGPRBlocks: 0
; NumSGPRsForWavesPerEU: 6
; NumVGPRsForWavesPerEU: 1
; AccumOffset: 4
; Occupancy: 8
; WaveLimiterHint : 0
; COMPUTE_PGM_RSRC2:SCRATCH_EN: 0
; COMPUTE_PGM_RSRC2:USER_SGPR: 2
; COMPUTE_PGM_RSRC2:TRAP_HANDLER: 0
; COMPUTE_PGM_RSRC2:TGID_X_EN: 1
; COMPUTE_PGM_RSRC2:TGID_Y_EN: 0
; COMPUTE_PGM_RSRC2:TGID_Z_EN: 0
; COMPUTE_PGM_RSRC2:TIDIG_COMP_CNT: 0
; COMPUTE_PGM_RSRC3_GFX90A:ACCUM_OFFSET: 0
; COMPUTE_PGM_RSRC3_GFX90A:TG_SPLIT: 0
	.section	.text._ZN7rocprim17ROCPRIM_400000_NS6detail17trampoline_kernelINS0_14default_configENS1_25partition_config_selectorILNS1_17partition_subalgoE9EllbEEZZNS1_14partition_implILS5_9ELb0ES3_jPlS8_PNS0_10empty_typeENS0_5tupleIJS8_S9_EEENSB_IJS8_SA_EEENS0_18inequality_wrapperIZN2at6native12_GLOBAL__N_124unique_dim_cuda_templateIfEESt5tupleIJNSF_6TensorESK_SK_EERKSK_lbbbEUlllE0_EEPmJS9_EEE10hipError_tPvRmT3_T4_T5_T6_T7_T9_mT8_P12ihipStream_tbDpT10_ENKUlT_T0_E_clISt17integral_constantIbLb1EES19_IbLb0EEEEDaS15_S16_EUlS15_E_NS1_11comp_targetILNS1_3genE10ELNS1_11target_archE1200ELNS1_3gpuE4ELNS1_3repE0EEENS1_30default_config_static_selectorELNS0_4arch9wavefront6targetE1EEEvT1_,"axG",@progbits,_ZN7rocprim17ROCPRIM_400000_NS6detail17trampoline_kernelINS0_14default_configENS1_25partition_config_selectorILNS1_17partition_subalgoE9EllbEEZZNS1_14partition_implILS5_9ELb0ES3_jPlS8_PNS0_10empty_typeENS0_5tupleIJS8_S9_EEENSB_IJS8_SA_EEENS0_18inequality_wrapperIZN2at6native12_GLOBAL__N_124unique_dim_cuda_templateIfEESt5tupleIJNSF_6TensorESK_SK_EERKSK_lbbbEUlllE0_EEPmJS9_EEE10hipError_tPvRmT3_T4_T5_T6_T7_T9_mT8_P12ihipStream_tbDpT10_ENKUlT_T0_E_clISt17integral_constantIbLb1EES19_IbLb0EEEEDaS15_S16_EUlS15_E_NS1_11comp_targetILNS1_3genE10ELNS1_11target_archE1200ELNS1_3gpuE4ELNS1_3repE0EEENS1_30default_config_static_selectorELNS0_4arch9wavefront6targetE1EEEvT1_,comdat
	.globl	_ZN7rocprim17ROCPRIM_400000_NS6detail17trampoline_kernelINS0_14default_configENS1_25partition_config_selectorILNS1_17partition_subalgoE9EllbEEZZNS1_14partition_implILS5_9ELb0ES3_jPlS8_PNS0_10empty_typeENS0_5tupleIJS8_S9_EEENSB_IJS8_SA_EEENS0_18inequality_wrapperIZN2at6native12_GLOBAL__N_124unique_dim_cuda_templateIfEESt5tupleIJNSF_6TensorESK_SK_EERKSK_lbbbEUlllE0_EEPmJS9_EEE10hipError_tPvRmT3_T4_T5_T6_T7_T9_mT8_P12ihipStream_tbDpT10_ENKUlT_T0_E_clISt17integral_constantIbLb1EES19_IbLb0EEEEDaS15_S16_EUlS15_E_NS1_11comp_targetILNS1_3genE10ELNS1_11target_archE1200ELNS1_3gpuE4ELNS1_3repE0EEENS1_30default_config_static_selectorELNS0_4arch9wavefront6targetE1EEEvT1_ ; -- Begin function _ZN7rocprim17ROCPRIM_400000_NS6detail17trampoline_kernelINS0_14default_configENS1_25partition_config_selectorILNS1_17partition_subalgoE9EllbEEZZNS1_14partition_implILS5_9ELb0ES3_jPlS8_PNS0_10empty_typeENS0_5tupleIJS8_S9_EEENSB_IJS8_SA_EEENS0_18inequality_wrapperIZN2at6native12_GLOBAL__N_124unique_dim_cuda_templateIfEESt5tupleIJNSF_6TensorESK_SK_EERKSK_lbbbEUlllE0_EEPmJS9_EEE10hipError_tPvRmT3_T4_T5_T6_T7_T9_mT8_P12ihipStream_tbDpT10_ENKUlT_T0_E_clISt17integral_constantIbLb1EES19_IbLb0EEEEDaS15_S16_EUlS15_E_NS1_11comp_targetILNS1_3genE10ELNS1_11target_archE1200ELNS1_3gpuE4ELNS1_3repE0EEENS1_30default_config_static_selectorELNS0_4arch9wavefront6targetE1EEEvT1_
	.p2align	8
	.type	_ZN7rocprim17ROCPRIM_400000_NS6detail17trampoline_kernelINS0_14default_configENS1_25partition_config_selectorILNS1_17partition_subalgoE9EllbEEZZNS1_14partition_implILS5_9ELb0ES3_jPlS8_PNS0_10empty_typeENS0_5tupleIJS8_S9_EEENSB_IJS8_SA_EEENS0_18inequality_wrapperIZN2at6native12_GLOBAL__N_124unique_dim_cuda_templateIfEESt5tupleIJNSF_6TensorESK_SK_EERKSK_lbbbEUlllE0_EEPmJS9_EEE10hipError_tPvRmT3_T4_T5_T6_T7_T9_mT8_P12ihipStream_tbDpT10_ENKUlT_T0_E_clISt17integral_constantIbLb1EES19_IbLb0EEEEDaS15_S16_EUlS15_E_NS1_11comp_targetILNS1_3genE10ELNS1_11target_archE1200ELNS1_3gpuE4ELNS1_3repE0EEENS1_30default_config_static_selectorELNS0_4arch9wavefront6targetE1EEEvT1_,@function
_ZN7rocprim17ROCPRIM_400000_NS6detail17trampoline_kernelINS0_14default_configENS1_25partition_config_selectorILNS1_17partition_subalgoE9EllbEEZZNS1_14partition_implILS5_9ELb0ES3_jPlS8_PNS0_10empty_typeENS0_5tupleIJS8_S9_EEENSB_IJS8_SA_EEENS0_18inequality_wrapperIZN2at6native12_GLOBAL__N_124unique_dim_cuda_templateIfEESt5tupleIJNSF_6TensorESK_SK_EERKSK_lbbbEUlllE0_EEPmJS9_EEE10hipError_tPvRmT3_T4_T5_T6_T7_T9_mT8_P12ihipStream_tbDpT10_ENKUlT_T0_E_clISt17integral_constantIbLb1EES19_IbLb0EEEEDaS15_S16_EUlS15_E_NS1_11comp_targetILNS1_3genE10ELNS1_11target_archE1200ELNS1_3gpuE4ELNS1_3repE0EEENS1_30default_config_static_selectorELNS0_4arch9wavefront6targetE1EEEvT1_: ; @_ZN7rocprim17ROCPRIM_400000_NS6detail17trampoline_kernelINS0_14default_configENS1_25partition_config_selectorILNS1_17partition_subalgoE9EllbEEZZNS1_14partition_implILS5_9ELb0ES3_jPlS8_PNS0_10empty_typeENS0_5tupleIJS8_S9_EEENSB_IJS8_SA_EEENS0_18inequality_wrapperIZN2at6native12_GLOBAL__N_124unique_dim_cuda_templateIfEESt5tupleIJNSF_6TensorESK_SK_EERKSK_lbbbEUlllE0_EEPmJS9_EEE10hipError_tPvRmT3_T4_T5_T6_T7_T9_mT8_P12ihipStream_tbDpT10_ENKUlT_T0_E_clISt17integral_constantIbLb1EES19_IbLb0EEEEDaS15_S16_EUlS15_E_NS1_11comp_targetILNS1_3genE10ELNS1_11target_archE1200ELNS1_3gpuE4ELNS1_3repE0EEENS1_30default_config_static_selectorELNS0_4arch9wavefront6targetE1EEEvT1_
; %bb.0:
	.section	.rodata,"a",@progbits
	.p2align	6, 0x0
	.amdhsa_kernel _ZN7rocprim17ROCPRIM_400000_NS6detail17trampoline_kernelINS0_14default_configENS1_25partition_config_selectorILNS1_17partition_subalgoE9EllbEEZZNS1_14partition_implILS5_9ELb0ES3_jPlS8_PNS0_10empty_typeENS0_5tupleIJS8_S9_EEENSB_IJS8_SA_EEENS0_18inequality_wrapperIZN2at6native12_GLOBAL__N_124unique_dim_cuda_templateIfEESt5tupleIJNSF_6TensorESK_SK_EERKSK_lbbbEUlllE0_EEPmJS9_EEE10hipError_tPvRmT3_T4_T5_T6_T7_T9_mT8_P12ihipStream_tbDpT10_ENKUlT_T0_E_clISt17integral_constantIbLb1EES19_IbLb0EEEEDaS15_S16_EUlS15_E_NS1_11comp_targetILNS1_3genE10ELNS1_11target_archE1200ELNS1_3gpuE4ELNS1_3repE0EEENS1_30default_config_static_selectorELNS0_4arch9wavefront6targetE1EEEvT1_
		.amdhsa_group_segment_fixed_size 0
		.amdhsa_private_segment_fixed_size 0
		.amdhsa_kernarg_size 120
		.amdhsa_user_sgpr_count 2
		.amdhsa_user_sgpr_dispatch_ptr 0
		.amdhsa_user_sgpr_queue_ptr 0
		.amdhsa_user_sgpr_kernarg_segment_ptr 1
		.amdhsa_user_sgpr_dispatch_id 0
		.amdhsa_user_sgpr_kernarg_preload_length 0
		.amdhsa_user_sgpr_kernarg_preload_offset 0
		.amdhsa_user_sgpr_private_segment_size 0
		.amdhsa_uses_dynamic_stack 0
		.amdhsa_enable_private_segment 0
		.amdhsa_system_sgpr_workgroup_id_x 1
		.amdhsa_system_sgpr_workgroup_id_y 0
		.amdhsa_system_sgpr_workgroup_id_z 0
		.amdhsa_system_sgpr_workgroup_info 0
		.amdhsa_system_vgpr_workitem_id 0
		.amdhsa_next_free_vgpr 1
		.amdhsa_next_free_sgpr 0
		.amdhsa_accum_offset 4
		.amdhsa_reserve_vcc 0
		.amdhsa_float_round_mode_32 0
		.amdhsa_float_round_mode_16_64 0
		.amdhsa_float_denorm_mode_32 3
		.amdhsa_float_denorm_mode_16_64 3
		.amdhsa_dx10_clamp 1
		.amdhsa_ieee_mode 1
		.amdhsa_fp16_overflow 0
		.amdhsa_tg_split 0
		.amdhsa_exception_fp_ieee_invalid_op 0
		.amdhsa_exception_fp_denorm_src 0
		.amdhsa_exception_fp_ieee_div_zero 0
		.amdhsa_exception_fp_ieee_overflow 0
		.amdhsa_exception_fp_ieee_underflow 0
		.amdhsa_exception_fp_ieee_inexact 0
		.amdhsa_exception_int_div_zero 0
	.end_amdhsa_kernel
	.section	.text._ZN7rocprim17ROCPRIM_400000_NS6detail17trampoline_kernelINS0_14default_configENS1_25partition_config_selectorILNS1_17partition_subalgoE9EllbEEZZNS1_14partition_implILS5_9ELb0ES3_jPlS8_PNS0_10empty_typeENS0_5tupleIJS8_S9_EEENSB_IJS8_SA_EEENS0_18inequality_wrapperIZN2at6native12_GLOBAL__N_124unique_dim_cuda_templateIfEESt5tupleIJNSF_6TensorESK_SK_EERKSK_lbbbEUlllE0_EEPmJS9_EEE10hipError_tPvRmT3_T4_T5_T6_T7_T9_mT8_P12ihipStream_tbDpT10_ENKUlT_T0_E_clISt17integral_constantIbLb1EES19_IbLb0EEEEDaS15_S16_EUlS15_E_NS1_11comp_targetILNS1_3genE10ELNS1_11target_archE1200ELNS1_3gpuE4ELNS1_3repE0EEENS1_30default_config_static_selectorELNS0_4arch9wavefront6targetE1EEEvT1_,"axG",@progbits,_ZN7rocprim17ROCPRIM_400000_NS6detail17trampoline_kernelINS0_14default_configENS1_25partition_config_selectorILNS1_17partition_subalgoE9EllbEEZZNS1_14partition_implILS5_9ELb0ES3_jPlS8_PNS0_10empty_typeENS0_5tupleIJS8_S9_EEENSB_IJS8_SA_EEENS0_18inequality_wrapperIZN2at6native12_GLOBAL__N_124unique_dim_cuda_templateIfEESt5tupleIJNSF_6TensorESK_SK_EERKSK_lbbbEUlllE0_EEPmJS9_EEE10hipError_tPvRmT3_T4_T5_T6_T7_T9_mT8_P12ihipStream_tbDpT10_ENKUlT_T0_E_clISt17integral_constantIbLb1EES19_IbLb0EEEEDaS15_S16_EUlS15_E_NS1_11comp_targetILNS1_3genE10ELNS1_11target_archE1200ELNS1_3gpuE4ELNS1_3repE0EEENS1_30default_config_static_selectorELNS0_4arch9wavefront6targetE1EEEvT1_,comdat
.Lfunc_end989:
	.size	_ZN7rocprim17ROCPRIM_400000_NS6detail17trampoline_kernelINS0_14default_configENS1_25partition_config_selectorILNS1_17partition_subalgoE9EllbEEZZNS1_14partition_implILS5_9ELb0ES3_jPlS8_PNS0_10empty_typeENS0_5tupleIJS8_S9_EEENSB_IJS8_SA_EEENS0_18inequality_wrapperIZN2at6native12_GLOBAL__N_124unique_dim_cuda_templateIfEESt5tupleIJNSF_6TensorESK_SK_EERKSK_lbbbEUlllE0_EEPmJS9_EEE10hipError_tPvRmT3_T4_T5_T6_T7_T9_mT8_P12ihipStream_tbDpT10_ENKUlT_T0_E_clISt17integral_constantIbLb1EES19_IbLb0EEEEDaS15_S16_EUlS15_E_NS1_11comp_targetILNS1_3genE10ELNS1_11target_archE1200ELNS1_3gpuE4ELNS1_3repE0EEENS1_30default_config_static_selectorELNS0_4arch9wavefront6targetE1EEEvT1_, .Lfunc_end989-_ZN7rocprim17ROCPRIM_400000_NS6detail17trampoline_kernelINS0_14default_configENS1_25partition_config_selectorILNS1_17partition_subalgoE9EllbEEZZNS1_14partition_implILS5_9ELb0ES3_jPlS8_PNS0_10empty_typeENS0_5tupleIJS8_S9_EEENSB_IJS8_SA_EEENS0_18inequality_wrapperIZN2at6native12_GLOBAL__N_124unique_dim_cuda_templateIfEESt5tupleIJNSF_6TensorESK_SK_EERKSK_lbbbEUlllE0_EEPmJS9_EEE10hipError_tPvRmT3_T4_T5_T6_T7_T9_mT8_P12ihipStream_tbDpT10_ENKUlT_T0_E_clISt17integral_constantIbLb1EES19_IbLb0EEEEDaS15_S16_EUlS15_E_NS1_11comp_targetILNS1_3genE10ELNS1_11target_archE1200ELNS1_3gpuE4ELNS1_3repE0EEENS1_30default_config_static_selectorELNS0_4arch9wavefront6targetE1EEEvT1_
                                        ; -- End function
	.section	.AMDGPU.csdata,"",@progbits
; Kernel info:
; codeLenInByte = 0
; NumSgprs: 6
; NumVgprs: 0
; NumAgprs: 0
; TotalNumVgprs: 0
; ScratchSize: 0
; MemoryBound: 0
; FloatMode: 240
; IeeeMode: 1
; LDSByteSize: 0 bytes/workgroup (compile time only)
; SGPRBlocks: 0
; VGPRBlocks: 0
; NumSGPRsForWavesPerEU: 6
; NumVGPRsForWavesPerEU: 1
; AccumOffset: 4
; Occupancy: 8
; WaveLimiterHint : 0
; COMPUTE_PGM_RSRC2:SCRATCH_EN: 0
; COMPUTE_PGM_RSRC2:USER_SGPR: 2
; COMPUTE_PGM_RSRC2:TRAP_HANDLER: 0
; COMPUTE_PGM_RSRC2:TGID_X_EN: 1
; COMPUTE_PGM_RSRC2:TGID_Y_EN: 0
; COMPUTE_PGM_RSRC2:TGID_Z_EN: 0
; COMPUTE_PGM_RSRC2:TIDIG_COMP_CNT: 0
; COMPUTE_PGM_RSRC3_GFX90A:ACCUM_OFFSET: 0
; COMPUTE_PGM_RSRC3_GFX90A:TG_SPLIT: 0
	.section	.text._ZN7rocprim17ROCPRIM_400000_NS6detail17trampoline_kernelINS0_14default_configENS1_25partition_config_selectorILNS1_17partition_subalgoE9EllbEEZZNS1_14partition_implILS5_9ELb0ES3_jPlS8_PNS0_10empty_typeENS0_5tupleIJS8_S9_EEENSB_IJS8_SA_EEENS0_18inequality_wrapperIZN2at6native12_GLOBAL__N_124unique_dim_cuda_templateIfEESt5tupleIJNSF_6TensorESK_SK_EERKSK_lbbbEUlllE0_EEPmJS9_EEE10hipError_tPvRmT3_T4_T5_T6_T7_T9_mT8_P12ihipStream_tbDpT10_ENKUlT_T0_E_clISt17integral_constantIbLb1EES19_IbLb0EEEEDaS15_S16_EUlS15_E_NS1_11comp_targetILNS1_3genE9ELNS1_11target_archE1100ELNS1_3gpuE3ELNS1_3repE0EEENS1_30default_config_static_selectorELNS0_4arch9wavefront6targetE1EEEvT1_,"axG",@progbits,_ZN7rocprim17ROCPRIM_400000_NS6detail17trampoline_kernelINS0_14default_configENS1_25partition_config_selectorILNS1_17partition_subalgoE9EllbEEZZNS1_14partition_implILS5_9ELb0ES3_jPlS8_PNS0_10empty_typeENS0_5tupleIJS8_S9_EEENSB_IJS8_SA_EEENS0_18inequality_wrapperIZN2at6native12_GLOBAL__N_124unique_dim_cuda_templateIfEESt5tupleIJNSF_6TensorESK_SK_EERKSK_lbbbEUlllE0_EEPmJS9_EEE10hipError_tPvRmT3_T4_T5_T6_T7_T9_mT8_P12ihipStream_tbDpT10_ENKUlT_T0_E_clISt17integral_constantIbLb1EES19_IbLb0EEEEDaS15_S16_EUlS15_E_NS1_11comp_targetILNS1_3genE9ELNS1_11target_archE1100ELNS1_3gpuE3ELNS1_3repE0EEENS1_30default_config_static_selectorELNS0_4arch9wavefront6targetE1EEEvT1_,comdat
	.globl	_ZN7rocprim17ROCPRIM_400000_NS6detail17trampoline_kernelINS0_14default_configENS1_25partition_config_selectorILNS1_17partition_subalgoE9EllbEEZZNS1_14partition_implILS5_9ELb0ES3_jPlS8_PNS0_10empty_typeENS0_5tupleIJS8_S9_EEENSB_IJS8_SA_EEENS0_18inequality_wrapperIZN2at6native12_GLOBAL__N_124unique_dim_cuda_templateIfEESt5tupleIJNSF_6TensorESK_SK_EERKSK_lbbbEUlllE0_EEPmJS9_EEE10hipError_tPvRmT3_T4_T5_T6_T7_T9_mT8_P12ihipStream_tbDpT10_ENKUlT_T0_E_clISt17integral_constantIbLb1EES19_IbLb0EEEEDaS15_S16_EUlS15_E_NS1_11comp_targetILNS1_3genE9ELNS1_11target_archE1100ELNS1_3gpuE3ELNS1_3repE0EEENS1_30default_config_static_selectorELNS0_4arch9wavefront6targetE1EEEvT1_ ; -- Begin function _ZN7rocprim17ROCPRIM_400000_NS6detail17trampoline_kernelINS0_14default_configENS1_25partition_config_selectorILNS1_17partition_subalgoE9EllbEEZZNS1_14partition_implILS5_9ELb0ES3_jPlS8_PNS0_10empty_typeENS0_5tupleIJS8_S9_EEENSB_IJS8_SA_EEENS0_18inequality_wrapperIZN2at6native12_GLOBAL__N_124unique_dim_cuda_templateIfEESt5tupleIJNSF_6TensorESK_SK_EERKSK_lbbbEUlllE0_EEPmJS9_EEE10hipError_tPvRmT3_T4_T5_T6_T7_T9_mT8_P12ihipStream_tbDpT10_ENKUlT_T0_E_clISt17integral_constantIbLb1EES19_IbLb0EEEEDaS15_S16_EUlS15_E_NS1_11comp_targetILNS1_3genE9ELNS1_11target_archE1100ELNS1_3gpuE3ELNS1_3repE0EEENS1_30default_config_static_selectorELNS0_4arch9wavefront6targetE1EEEvT1_
	.p2align	8
	.type	_ZN7rocprim17ROCPRIM_400000_NS6detail17trampoline_kernelINS0_14default_configENS1_25partition_config_selectorILNS1_17partition_subalgoE9EllbEEZZNS1_14partition_implILS5_9ELb0ES3_jPlS8_PNS0_10empty_typeENS0_5tupleIJS8_S9_EEENSB_IJS8_SA_EEENS0_18inequality_wrapperIZN2at6native12_GLOBAL__N_124unique_dim_cuda_templateIfEESt5tupleIJNSF_6TensorESK_SK_EERKSK_lbbbEUlllE0_EEPmJS9_EEE10hipError_tPvRmT3_T4_T5_T6_T7_T9_mT8_P12ihipStream_tbDpT10_ENKUlT_T0_E_clISt17integral_constantIbLb1EES19_IbLb0EEEEDaS15_S16_EUlS15_E_NS1_11comp_targetILNS1_3genE9ELNS1_11target_archE1100ELNS1_3gpuE3ELNS1_3repE0EEENS1_30default_config_static_selectorELNS0_4arch9wavefront6targetE1EEEvT1_,@function
_ZN7rocprim17ROCPRIM_400000_NS6detail17trampoline_kernelINS0_14default_configENS1_25partition_config_selectorILNS1_17partition_subalgoE9EllbEEZZNS1_14partition_implILS5_9ELb0ES3_jPlS8_PNS0_10empty_typeENS0_5tupleIJS8_S9_EEENSB_IJS8_SA_EEENS0_18inequality_wrapperIZN2at6native12_GLOBAL__N_124unique_dim_cuda_templateIfEESt5tupleIJNSF_6TensorESK_SK_EERKSK_lbbbEUlllE0_EEPmJS9_EEE10hipError_tPvRmT3_T4_T5_T6_T7_T9_mT8_P12ihipStream_tbDpT10_ENKUlT_T0_E_clISt17integral_constantIbLb1EES19_IbLb0EEEEDaS15_S16_EUlS15_E_NS1_11comp_targetILNS1_3genE9ELNS1_11target_archE1100ELNS1_3gpuE3ELNS1_3repE0EEENS1_30default_config_static_selectorELNS0_4arch9wavefront6targetE1EEEvT1_: ; @_ZN7rocprim17ROCPRIM_400000_NS6detail17trampoline_kernelINS0_14default_configENS1_25partition_config_selectorILNS1_17partition_subalgoE9EllbEEZZNS1_14partition_implILS5_9ELb0ES3_jPlS8_PNS0_10empty_typeENS0_5tupleIJS8_S9_EEENSB_IJS8_SA_EEENS0_18inequality_wrapperIZN2at6native12_GLOBAL__N_124unique_dim_cuda_templateIfEESt5tupleIJNSF_6TensorESK_SK_EERKSK_lbbbEUlllE0_EEPmJS9_EEE10hipError_tPvRmT3_T4_T5_T6_T7_T9_mT8_P12ihipStream_tbDpT10_ENKUlT_T0_E_clISt17integral_constantIbLb1EES19_IbLb0EEEEDaS15_S16_EUlS15_E_NS1_11comp_targetILNS1_3genE9ELNS1_11target_archE1100ELNS1_3gpuE3ELNS1_3repE0EEENS1_30default_config_static_selectorELNS0_4arch9wavefront6targetE1EEEvT1_
; %bb.0:
	.section	.rodata,"a",@progbits
	.p2align	6, 0x0
	.amdhsa_kernel _ZN7rocprim17ROCPRIM_400000_NS6detail17trampoline_kernelINS0_14default_configENS1_25partition_config_selectorILNS1_17partition_subalgoE9EllbEEZZNS1_14partition_implILS5_9ELb0ES3_jPlS8_PNS0_10empty_typeENS0_5tupleIJS8_S9_EEENSB_IJS8_SA_EEENS0_18inequality_wrapperIZN2at6native12_GLOBAL__N_124unique_dim_cuda_templateIfEESt5tupleIJNSF_6TensorESK_SK_EERKSK_lbbbEUlllE0_EEPmJS9_EEE10hipError_tPvRmT3_T4_T5_T6_T7_T9_mT8_P12ihipStream_tbDpT10_ENKUlT_T0_E_clISt17integral_constantIbLb1EES19_IbLb0EEEEDaS15_S16_EUlS15_E_NS1_11comp_targetILNS1_3genE9ELNS1_11target_archE1100ELNS1_3gpuE3ELNS1_3repE0EEENS1_30default_config_static_selectorELNS0_4arch9wavefront6targetE1EEEvT1_
		.amdhsa_group_segment_fixed_size 0
		.amdhsa_private_segment_fixed_size 0
		.amdhsa_kernarg_size 120
		.amdhsa_user_sgpr_count 2
		.amdhsa_user_sgpr_dispatch_ptr 0
		.amdhsa_user_sgpr_queue_ptr 0
		.amdhsa_user_sgpr_kernarg_segment_ptr 1
		.amdhsa_user_sgpr_dispatch_id 0
		.amdhsa_user_sgpr_kernarg_preload_length 0
		.amdhsa_user_sgpr_kernarg_preload_offset 0
		.amdhsa_user_sgpr_private_segment_size 0
		.amdhsa_uses_dynamic_stack 0
		.amdhsa_enable_private_segment 0
		.amdhsa_system_sgpr_workgroup_id_x 1
		.amdhsa_system_sgpr_workgroup_id_y 0
		.amdhsa_system_sgpr_workgroup_id_z 0
		.amdhsa_system_sgpr_workgroup_info 0
		.amdhsa_system_vgpr_workitem_id 0
		.amdhsa_next_free_vgpr 1
		.amdhsa_next_free_sgpr 0
		.amdhsa_accum_offset 4
		.amdhsa_reserve_vcc 0
		.amdhsa_float_round_mode_32 0
		.amdhsa_float_round_mode_16_64 0
		.amdhsa_float_denorm_mode_32 3
		.amdhsa_float_denorm_mode_16_64 3
		.amdhsa_dx10_clamp 1
		.amdhsa_ieee_mode 1
		.amdhsa_fp16_overflow 0
		.amdhsa_tg_split 0
		.amdhsa_exception_fp_ieee_invalid_op 0
		.amdhsa_exception_fp_denorm_src 0
		.amdhsa_exception_fp_ieee_div_zero 0
		.amdhsa_exception_fp_ieee_overflow 0
		.amdhsa_exception_fp_ieee_underflow 0
		.amdhsa_exception_fp_ieee_inexact 0
		.amdhsa_exception_int_div_zero 0
	.end_amdhsa_kernel
	.section	.text._ZN7rocprim17ROCPRIM_400000_NS6detail17trampoline_kernelINS0_14default_configENS1_25partition_config_selectorILNS1_17partition_subalgoE9EllbEEZZNS1_14partition_implILS5_9ELb0ES3_jPlS8_PNS0_10empty_typeENS0_5tupleIJS8_S9_EEENSB_IJS8_SA_EEENS0_18inequality_wrapperIZN2at6native12_GLOBAL__N_124unique_dim_cuda_templateIfEESt5tupleIJNSF_6TensorESK_SK_EERKSK_lbbbEUlllE0_EEPmJS9_EEE10hipError_tPvRmT3_T4_T5_T6_T7_T9_mT8_P12ihipStream_tbDpT10_ENKUlT_T0_E_clISt17integral_constantIbLb1EES19_IbLb0EEEEDaS15_S16_EUlS15_E_NS1_11comp_targetILNS1_3genE9ELNS1_11target_archE1100ELNS1_3gpuE3ELNS1_3repE0EEENS1_30default_config_static_selectorELNS0_4arch9wavefront6targetE1EEEvT1_,"axG",@progbits,_ZN7rocprim17ROCPRIM_400000_NS6detail17trampoline_kernelINS0_14default_configENS1_25partition_config_selectorILNS1_17partition_subalgoE9EllbEEZZNS1_14partition_implILS5_9ELb0ES3_jPlS8_PNS0_10empty_typeENS0_5tupleIJS8_S9_EEENSB_IJS8_SA_EEENS0_18inequality_wrapperIZN2at6native12_GLOBAL__N_124unique_dim_cuda_templateIfEESt5tupleIJNSF_6TensorESK_SK_EERKSK_lbbbEUlllE0_EEPmJS9_EEE10hipError_tPvRmT3_T4_T5_T6_T7_T9_mT8_P12ihipStream_tbDpT10_ENKUlT_T0_E_clISt17integral_constantIbLb1EES19_IbLb0EEEEDaS15_S16_EUlS15_E_NS1_11comp_targetILNS1_3genE9ELNS1_11target_archE1100ELNS1_3gpuE3ELNS1_3repE0EEENS1_30default_config_static_selectorELNS0_4arch9wavefront6targetE1EEEvT1_,comdat
.Lfunc_end990:
	.size	_ZN7rocprim17ROCPRIM_400000_NS6detail17trampoline_kernelINS0_14default_configENS1_25partition_config_selectorILNS1_17partition_subalgoE9EllbEEZZNS1_14partition_implILS5_9ELb0ES3_jPlS8_PNS0_10empty_typeENS0_5tupleIJS8_S9_EEENSB_IJS8_SA_EEENS0_18inequality_wrapperIZN2at6native12_GLOBAL__N_124unique_dim_cuda_templateIfEESt5tupleIJNSF_6TensorESK_SK_EERKSK_lbbbEUlllE0_EEPmJS9_EEE10hipError_tPvRmT3_T4_T5_T6_T7_T9_mT8_P12ihipStream_tbDpT10_ENKUlT_T0_E_clISt17integral_constantIbLb1EES19_IbLb0EEEEDaS15_S16_EUlS15_E_NS1_11comp_targetILNS1_3genE9ELNS1_11target_archE1100ELNS1_3gpuE3ELNS1_3repE0EEENS1_30default_config_static_selectorELNS0_4arch9wavefront6targetE1EEEvT1_, .Lfunc_end990-_ZN7rocprim17ROCPRIM_400000_NS6detail17trampoline_kernelINS0_14default_configENS1_25partition_config_selectorILNS1_17partition_subalgoE9EllbEEZZNS1_14partition_implILS5_9ELb0ES3_jPlS8_PNS0_10empty_typeENS0_5tupleIJS8_S9_EEENSB_IJS8_SA_EEENS0_18inequality_wrapperIZN2at6native12_GLOBAL__N_124unique_dim_cuda_templateIfEESt5tupleIJNSF_6TensorESK_SK_EERKSK_lbbbEUlllE0_EEPmJS9_EEE10hipError_tPvRmT3_T4_T5_T6_T7_T9_mT8_P12ihipStream_tbDpT10_ENKUlT_T0_E_clISt17integral_constantIbLb1EES19_IbLb0EEEEDaS15_S16_EUlS15_E_NS1_11comp_targetILNS1_3genE9ELNS1_11target_archE1100ELNS1_3gpuE3ELNS1_3repE0EEENS1_30default_config_static_selectorELNS0_4arch9wavefront6targetE1EEEvT1_
                                        ; -- End function
	.section	.AMDGPU.csdata,"",@progbits
; Kernel info:
; codeLenInByte = 0
; NumSgprs: 6
; NumVgprs: 0
; NumAgprs: 0
; TotalNumVgprs: 0
; ScratchSize: 0
; MemoryBound: 0
; FloatMode: 240
; IeeeMode: 1
; LDSByteSize: 0 bytes/workgroup (compile time only)
; SGPRBlocks: 0
; VGPRBlocks: 0
; NumSGPRsForWavesPerEU: 6
; NumVGPRsForWavesPerEU: 1
; AccumOffset: 4
; Occupancy: 8
; WaveLimiterHint : 0
; COMPUTE_PGM_RSRC2:SCRATCH_EN: 0
; COMPUTE_PGM_RSRC2:USER_SGPR: 2
; COMPUTE_PGM_RSRC2:TRAP_HANDLER: 0
; COMPUTE_PGM_RSRC2:TGID_X_EN: 1
; COMPUTE_PGM_RSRC2:TGID_Y_EN: 0
; COMPUTE_PGM_RSRC2:TGID_Z_EN: 0
; COMPUTE_PGM_RSRC2:TIDIG_COMP_CNT: 0
; COMPUTE_PGM_RSRC3_GFX90A:ACCUM_OFFSET: 0
; COMPUTE_PGM_RSRC3_GFX90A:TG_SPLIT: 0
	.section	.text._ZN7rocprim17ROCPRIM_400000_NS6detail17trampoline_kernelINS0_14default_configENS1_25partition_config_selectorILNS1_17partition_subalgoE9EllbEEZZNS1_14partition_implILS5_9ELb0ES3_jPlS8_PNS0_10empty_typeENS0_5tupleIJS8_S9_EEENSB_IJS8_SA_EEENS0_18inequality_wrapperIZN2at6native12_GLOBAL__N_124unique_dim_cuda_templateIfEESt5tupleIJNSF_6TensorESK_SK_EERKSK_lbbbEUlllE0_EEPmJS9_EEE10hipError_tPvRmT3_T4_T5_T6_T7_T9_mT8_P12ihipStream_tbDpT10_ENKUlT_T0_E_clISt17integral_constantIbLb1EES19_IbLb0EEEEDaS15_S16_EUlS15_E_NS1_11comp_targetILNS1_3genE8ELNS1_11target_archE1030ELNS1_3gpuE2ELNS1_3repE0EEENS1_30default_config_static_selectorELNS0_4arch9wavefront6targetE1EEEvT1_,"axG",@progbits,_ZN7rocprim17ROCPRIM_400000_NS6detail17trampoline_kernelINS0_14default_configENS1_25partition_config_selectorILNS1_17partition_subalgoE9EllbEEZZNS1_14partition_implILS5_9ELb0ES3_jPlS8_PNS0_10empty_typeENS0_5tupleIJS8_S9_EEENSB_IJS8_SA_EEENS0_18inequality_wrapperIZN2at6native12_GLOBAL__N_124unique_dim_cuda_templateIfEESt5tupleIJNSF_6TensorESK_SK_EERKSK_lbbbEUlllE0_EEPmJS9_EEE10hipError_tPvRmT3_T4_T5_T6_T7_T9_mT8_P12ihipStream_tbDpT10_ENKUlT_T0_E_clISt17integral_constantIbLb1EES19_IbLb0EEEEDaS15_S16_EUlS15_E_NS1_11comp_targetILNS1_3genE8ELNS1_11target_archE1030ELNS1_3gpuE2ELNS1_3repE0EEENS1_30default_config_static_selectorELNS0_4arch9wavefront6targetE1EEEvT1_,comdat
	.globl	_ZN7rocprim17ROCPRIM_400000_NS6detail17trampoline_kernelINS0_14default_configENS1_25partition_config_selectorILNS1_17partition_subalgoE9EllbEEZZNS1_14partition_implILS5_9ELb0ES3_jPlS8_PNS0_10empty_typeENS0_5tupleIJS8_S9_EEENSB_IJS8_SA_EEENS0_18inequality_wrapperIZN2at6native12_GLOBAL__N_124unique_dim_cuda_templateIfEESt5tupleIJNSF_6TensorESK_SK_EERKSK_lbbbEUlllE0_EEPmJS9_EEE10hipError_tPvRmT3_T4_T5_T6_T7_T9_mT8_P12ihipStream_tbDpT10_ENKUlT_T0_E_clISt17integral_constantIbLb1EES19_IbLb0EEEEDaS15_S16_EUlS15_E_NS1_11comp_targetILNS1_3genE8ELNS1_11target_archE1030ELNS1_3gpuE2ELNS1_3repE0EEENS1_30default_config_static_selectorELNS0_4arch9wavefront6targetE1EEEvT1_ ; -- Begin function _ZN7rocprim17ROCPRIM_400000_NS6detail17trampoline_kernelINS0_14default_configENS1_25partition_config_selectorILNS1_17partition_subalgoE9EllbEEZZNS1_14partition_implILS5_9ELb0ES3_jPlS8_PNS0_10empty_typeENS0_5tupleIJS8_S9_EEENSB_IJS8_SA_EEENS0_18inequality_wrapperIZN2at6native12_GLOBAL__N_124unique_dim_cuda_templateIfEESt5tupleIJNSF_6TensorESK_SK_EERKSK_lbbbEUlllE0_EEPmJS9_EEE10hipError_tPvRmT3_T4_T5_T6_T7_T9_mT8_P12ihipStream_tbDpT10_ENKUlT_T0_E_clISt17integral_constantIbLb1EES19_IbLb0EEEEDaS15_S16_EUlS15_E_NS1_11comp_targetILNS1_3genE8ELNS1_11target_archE1030ELNS1_3gpuE2ELNS1_3repE0EEENS1_30default_config_static_selectorELNS0_4arch9wavefront6targetE1EEEvT1_
	.p2align	8
	.type	_ZN7rocprim17ROCPRIM_400000_NS6detail17trampoline_kernelINS0_14default_configENS1_25partition_config_selectorILNS1_17partition_subalgoE9EllbEEZZNS1_14partition_implILS5_9ELb0ES3_jPlS8_PNS0_10empty_typeENS0_5tupleIJS8_S9_EEENSB_IJS8_SA_EEENS0_18inequality_wrapperIZN2at6native12_GLOBAL__N_124unique_dim_cuda_templateIfEESt5tupleIJNSF_6TensorESK_SK_EERKSK_lbbbEUlllE0_EEPmJS9_EEE10hipError_tPvRmT3_T4_T5_T6_T7_T9_mT8_P12ihipStream_tbDpT10_ENKUlT_T0_E_clISt17integral_constantIbLb1EES19_IbLb0EEEEDaS15_S16_EUlS15_E_NS1_11comp_targetILNS1_3genE8ELNS1_11target_archE1030ELNS1_3gpuE2ELNS1_3repE0EEENS1_30default_config_static_selectorELNS0_4arch9wavefront6targetE1EEEvT1_,@function
_ZN7rocprim17ROCPRIM_400000_NS6detail17trampoline_kernelINS0_14default_configENS1_25partition_config_selectorILNS1_17partition_subalgoE9EllbEEZZNS1_14partition_implILS5_9ELb0ES3_jPlS8_PNS0_10empty_typeENS0_5tupleIJS8_S9_EEENSB_IJS8_SA_EEENS0_18inequality_wrapperIZN2at6native12_GLOBAL__N_124unique_dim_cuda_templateIfEESt5tupleIJNSF_6TensorESK_SK_EERKSK_lbbbEUlllE0_EEPmJS9_EEE10hipError_tPvRmT3_T4_T5_T6_T7_T9_mT8_P12ihipStream_tbDpT10_ENKUlT_T0_E_clISt17integral_constantIbLb1EES19_IbLb0EEEEDaS15_S16_EUlS15_E_NS1_11comp_targetILNS1_3genE8ELNS1_11target_archE1030ELNS1_3gpuE2ELNS1_3repE0EEENS1_30default_config_static_selectorELNS0_4arch9wavefront6targetE1EEEvT1_: ; @_ZN7rocprim17ROCPRIM_400000_NS6detail17trampoline_kernelINS0_14default_configENS1_25partition_config_selectorILNS1_17partition_subalgoE9EllbEEZZNS1_14partition_implILS5_9ELb0ES3_jPlS8_PNS0_10empty_typeENS0_5tupleIJS8_S9_EEENSB_IJS8_SA_EEENS0_18inequality_wrapperIZN2at6native12_GLOBAL__N_124unique_dim_cuda_templateIfEESt5tupleIJNSF_6TensorESK_SK_EERKSK_lbbbEUlllE0_EEPmJS9_EEE10hipError_tPvRmT3_T4_T5_T6_T7_T9_mT8_P12ihipStream_tbDpT10_ENKUlT_T0_E_clISt17integral_constantIbLb1EES19_IbLb0EEEEDaS15_S16_EUlS15_E_NS1_11comp_targetILNS1_3genE8ELNS1_11target_archE1030ELNS1_3gpuE2ELNS1_3repE0EEENS1_30default_config_static_selectorELNS0_4arch9wavefront6targetE1EEEvT1_
; %bb.0:
	.section	.rodata,"a",@progbits
	.p2align	6, 0x0
	.amdhsa_kernel _ZN7rocprim17ROCPRIM_400000_NS6detail17trampoline_kernelINS0_14default_configENS1_25partition_config_selectorILNS1_17partition_subalgoE9EllbEEZZNS1_14partition_implILS5_9ELb0ES3_jPlS8_PNS0_10empty_typeENS0_5tupleIJS8_S9_EEENSB_IJS8_SA_EEENS0_18inequality_wrapperIZN2at6native12_GLOBAL__N_124unique_dim_cuda_templateIfEESt5tupleIJNSF_6TensorESK_SK_EERKSK_lbbbEUlllE0_EEPmJS9_EEE10hipError_tPvRmT3_T4_T5_T6_T7_T9_mT8_P12ihipStream_tbDpT10_ENKUlT_T0_E_clISt17integral_constantIbLb1EES19_IbLb0EEEEDaS15_S16_EUlS15_E_NS1_11comp_targetILNS1_3genE8ELNS1_11target_archE1030ELNS1_3gpuE2ELNS1_3repE0EEENS1_30default_config_static_selectorELNS0_4arch9wavefront6targetE1EEEvT1_
		.amdhsa_group_segment_fixed_size 0
		.amdhsa_private_segment_fixed_size 0
		.amdhsa_kernarg_size 120
		.amdhsa_user_sgpr_count 2
		.amdhsa_user_sgpr_dispatch_ptr 0
		.amdhsa_user_sgpr_queue_ptr 0
		.amdhsa_user_sgpr_kernarg_segment_ptr 1
		.amdhsa_user_sgpr_dispatch_id 0
		.amdhsa_user_sgpr_kernarg_preload_length 0
		.amdhsa_user_sgpr_kernarg_preload_offset 0
		.amdhsa_user_sgpr_private_segment_size 0
		.amdhsa_uses_dynamic_stack 0
		.amdhsa_enable_private_segment 0
		.amdhsa_system_sgpr_workgroup_id_x 1
		.amdhsa_system_sgpr_workgroup_id_y 0
		.amdhsa_system_sgpr_workgroup_id_z 0
		.amdhsa_system_sgpr_workgroup_info 0
		.amdhsa_system_vgpr_workitem_id 0
		.amdhsa_next_free_vgpr 1
		.amdhsa_next_free_sgpr 0
		.amdhsa_accum_offset 4
		.amdhsa_reserve_vcc 0
		.amdhsa_float_round_mode_32 0
		.amdhsa_float_round_mode_16_64 0
		.amdhsa_float_denorm_mode_32 3
		.amdhsa_float_denorm_mode_16_64 3
		.amdhsa_dx10_clamp 1
		.amdhsa_ieee_mode 1
		.amdhsa_fp16_overflow 0
		.amdhsa_tg_split 0
		.amdhsa_exception_fp_ieee_invalid_op 0
		.amdhsa_exception_fp_denorm_src 0
		.amdhsa_exception_fp_ieee_div_zero 0
		.amdhsa_exception_fp_ieee_overflow 0
		.amdhsa_exception_fp_ieee_underflow 0
		.amdhsa_exception_fp_ieee_inexact 0
		.amdhsa_exception_int_div_zero 0
	.end_amdhsa_kernel
	.section	.text._ZN7rocprim17ROCPRIM_400000_NS6detail17trampoline_kernelINS0_14default_configENS1_25partition_config_selectorILNS1_17partition_subalgoE9EllbEEZZNS1_14partition_implILS5_9ELb0ES3_jPlS8_PNS0_10empty_typeENS0_5tupleIJS8_S9_EEENSB_IJS8_SA_EEENS0_18inequality_wrapperIZN2at6native12_GLOBAL__N_124unique_dim_cuda_templateIfEESt5tupleIJNSF_6TensorESK_SK_EERKSK_lbbbEUlllE0_EEPmJS9_EEE10hipError_tPvRmT3_T4_T5_T6_T7_T9_mT8_P12ihipStream_tbDpT10_ENKUlT_T0_E_clISt17integral_constantIbLb1EES19_IbLb0EEEEDaS15_S16_EUlS15_E_NS1_11comp_targetILNS1_3genE8ELNS1_11target_archE1030ELNS1_3gpuE2ELNS1_3repE0EEENS1_30default_config_static_selectorELNS0_4arch9wavefront6targetE1EEEvT1_,"axG",@progbits,_ZN7rocprim17ROCPRIM_400000_NS6detail17trampoline_kernelINS0_14default_configENS1_25partition_config_selectorILNS1_17partition_subalgoE9EllbEEZZNS1_14partition_implILS5_9ELb0ES3_jPlS8_PNS0_10empty_typeENS0_5tupleIJS8_S9_EEENSB_IJS8_SA_EEENS0_18inequality_wrapperIZN2at6native12_GLOBAL__N_124unique_dim_cuda_templateIfEESt5tupleIJNSF_6TensorESK_SK_EERKSK_lbbbEUlllE0_EEPmJS9_EEE10hipError_tPvRmT3_T4_T5_T6_T7_T9_mT8_P12ihipStream_tbDpT10_ENKUlT_T0_E_clISt17integral_constantIbLb1EES19_IbLb0EEEEDaS15_S16_EUlS15_E_NS1_11comp_targetILNS1_3genE8ELNS1_11target_archE1030ELNS1_3gpuE2ELNS1_3repE0EEENS1_30default_config_static_selectorELNS0_4arch9wavefront6targetE1EEEvT1_,comdat
.Lfunc_end991:
	.size	_ZN7rocprim17ROCPRIM_400000_NS6detail17trampoline_kernelINS0_14default_configENS1_25partition_config_selectorILNS1_17partition_subalgoE9EllbEEZZNS1_14partition_implILS5_9ELb0ES3_jPlS8_PNS0_10empty_typeENS0_5tupleIJS8_S9_EEENSB_IJS8_SA_EEENS0_18inequality_wrapperIZN2at6native12_GLOBAL__N_124unique_dim_cuda_templateIfEESt5tupleIJNSF_6TensorESK_SK_EERKSK_lbbbEUlllE0_EEPmJS9_EEE10hipError_tPvRmT3_T4_T5_T6_T7_T9_mT8_P12ihipStream_tbDpT10_ENKUlT_T0_E_clISt17integral_constantIbLb1EES19_IbLb0EEEEDaS15_S16_EUlS15_E_NS1_11comp_targetILNS1_3genE8ELNS1_11target_archE1030ELNS1_3gpuE2ELNS1_3repE0EEENS1_30default_config_static_selectorELNS0_4arch9wavefront6targetE1EEEvT1_, .Lfunc_end991-_ZN7rocprim17ROCPRIM_400000_NS6detail17trampoline_kernelINS0_14default_configENS1_25partition_config_selectorILNS1_17partition_subalgoE9EllbEEZZNS1_14partition_implILS5_9ELb0ES3_jPlS8_PNS0_10empty_typeENS0_5tupleIJS8_S9_EEENSB_IJS8_SA_EEENS0_18inequality_wrapperIZN2at6native12_GLOBAL__N_124unique_dim_cuda_templateIfEESt5tupleIJNSF_6TensorESK_SK_EERKSK_lbbbEUlllE0_EEPmJS9_EEE10hipError_tPvRmT3_T4_T5_T6_T7_T9_mT8_P12ihipStream_tbDpT10_ENKUlT_T0_E_clISt17integral_constantIbLb1EES19_IbLb0EEEEDaS15_S16_EUlS15_E_NS1_11comp_targetILNS1_3genE8ELNS1_11target_archE1030ELNS1_3gpuE2ELNS1_3repE0EEENS1_30default_config_static_selectorELNS0_4arch9wavefront6targetE1EEEvT1_
                                        ; -- End function
	.section	.AMDGPU.csdata,"",@progbits
; Kernel info:
; codeLenInByte = 0
; NumSgprs: 6
; NumVgprs: 0
; NumAgprs: 0
; TotalNumVgprs: 0
; ScratchSize: 0
; MemoryBound: 0
; FloatMode: 240
; IeeeMode: 1
; LDSByteSize: 0 bytes/workgroup (compile time only)
; SGPRBlocks: 0
; VGPRBlocks: 0
; NumSGPRsForWavesPerEU: 6
; NumVGPRsForWavesPerEU: 1
; AccumOffset: 4
; Occupancy: 8
; WaveLimiterHint : 0
; COMPUTE_PGM_RSRC2:SCRATCH_EN: 0
; COMPUTE_PGM_RSRC2:USER_SGPR: 2
; COMPUTE_PGM_RSRC2:TRAP_HANDLER: 0
; COMPUTE_PGM_RSRC2:TGID_X_EN: 1
; COMPUTE_PGM_RSRC2:TGID_Y_EN: 0
; COMPUTE_PGM_RSRC2:TGID_Z_EN: 0
; COMPUTE_PGM_RSRC2:TIDIG_COMP_CNT: 0
; COMPUTE_PGM_RSRC3_GFX90A:ACCUM_OFFSET: 0
; COMPUTE_PGM_RSRC3_GFX90A:TG_SPLIT: 0
	.section	.text._ZN7rocprim17ROCPRIM_400000_NS6detail17trampoline_kernelINS0_14default_configENS1_25partition_config_selectorILNS1_17partition_subalgoE9EllbEEZZNS1_14partition_implILS5_9ELb0ES3_jPlS8_PNS0_10empty_typeENS0_5tupleIJS8_S9_EEENSB_IJS8_SA_EEENS0_18inequality_wrapperIZN2at6native12_GLOBAL__N_124unique_dim_cuda_templateIfEESt5tupleIJNSF_6TensorESK_SK_EERKSK_lbbbEUlllE0_EEPmJS9_EEE10hipError_tPvRmT3_T4_T5_T6_T7_T9_mT8_P12ihipStream_tbDpT10_ENKUlT_T0_E_clISt17integral_constantIbLb0EES19_IbLb1EEEEDaS15_S16_EUlS15_E_NS1_11comp_targetILNS1_3genE0ELNS1_11target_archE4294967295ELNS1_3gpuE0ELNS1_3repE0EEENS1_30default_config_static_selectorELNS0_4arch9wavefront6targetE1EEEvT1_,"axG",@progbits,_ZN7rocprim17ROCPRIM_400000_NS6detail17trampoline_kernelINS0_14default_configENS1_25partition_config_selectorILNS1_17partition_subalgoE9EllbEEZZNS1_14partition_implILS5_9ELb0ES3_jPlS8_PNS0_10empty_typeENS0_5tupleIJS8_S9_EEENSB_IJS8_SA_EEENS0_18inequality_wrapperIZN2at6native12_GLOBAL__N_124unique_dim_cuda_templateIfEESt5tupleIJNSF_6TensorESK_SK_EERKSK_lbbbEUlllE0_EEPmJS9_EEE10hipError_tPvRmT3_T4_T5_T6_T7_T9_mT8_P12ihipStream_tbDpT10_ENKUlT_T0_E_clISt17integral_constantIbLb0EES19_IbLb1EEEEDaS15_S16_EUlS15_E_NS1_11comp_targetILNS1_3genE0ELNS1_11target_archE4294967295ELNS1_3gpuE0ELNS1_3repE0EEENS1_30default_config_static_selectorELNS0_4arch9wavefront6targetE1EEEvT1_,comdat
	.globl	_ZN7rocprim17ROCPRIM_400000_NS6detail17trampoline_kernelINS0_14default_configENS1_25partition_config_selectorILNS1_17partition_subalgoE9EllbEEZZNS1_14partition_implILS5_9ELb0ES3_jPlS8_PNS0_10empty_typeENS0_5tupleIJS8_S9_EEENSB_IJS8_SA_EEENS0_18inequality_wrapperIZN2at6native12_GLOBAL__N_124unique_dim_cuda_templateIfEESt5tupleIJNSF_6TensorESK_SK_EERKSK_lbbbEUlllE0_EEPmJS9_EEE10hipError_tPvRmT3_T4_T5_T6_T7_T9_mT8_P12ihipStream_tbDpT10_ENKUlT_T0_E_clISt17integral_constantIbLb0EES19_IbLb1EEEEDaS15_S16_EUlS15_E_NS1_11comp_targetILNS1_3genE0ELNS1_11target_archE4294967295ELNS1_3gpuE0ELNS1_3repE0EEENS1_30default_config_static_selectorELNS0_4arch9wavefront6targetE1EEEvT1_ ; -- Begin function _ZN7rocprim17ROCPRIM_400000_NS6detail17trampoline_kernelINS0_14default_configENS1_25partition_config_selectorILNS1_17partition_subalgoE9EllbEEZZNS1_14partition_implILS5_9ELb0ES3_jPlS8_PNS0_10empty_typeENS0_5tupleIJS8_S9_EEENSB_IJS8_SA_EEENS0_18inequality_wrapperIZN2at6native12_GLOBAL__N_124unique_dim_cuda_templateIfEESt5tupleIJNSF_6TensorESK_SK_EERKSK_lbbbEUlllE0_EEPmJS9_EEE10hipError_tPvRmT3_T4_T5_T6_T7_T9_mT8_P12ihipStream_tbDpT10_ENKUlT_T0_E_clISt17integral_constantIbLb0EES19_IbLb1EEEEDaS15_S16_EUlS15_E_NS1_11comp_targetILNS1_3genE0ELNS1_11target_archE4294967295ELNS1_3gpuE0ELNS1_3repE0EEENS1_30default_config_static_selectorELNS0_4arch9wavefront6targetE1EEEvT1_
	.p2align	8
	.type	_ZN7rocprim17ROCPRIM_400000_NS6detail17trampoline_kernelINS0_14default_configENS1_25partition_config_selectorILNS1_17partition_subalgoE9EllbEEZZNS1_14partition_implILS5_9ELb0ES3_jPlS8_PNS0_10empty_typeENS0_5tupleIJS8_S9_EEENSB_IJS8_SA_EEENS0_18inequality_wrapperIZN2at6native12_GLOBAL__N_124unique_dim_cuda_templateIfEESt5tupleIJNSF_6TensorESK_SK_EERKSK_lbbbEUlllE0_EEPmJS9_EEE10hipError_tPvRmT3_T4_T5_T6_T7_T9_mT8_P12ihipStream_tbDpT10_ENKUlT_T0_E_clISt17integral_constantIbLb0EES19_IbLb1EEEEDaS15_S16_EUlS15_E_NS1_11comp_targetILNS1_3genE0ELNS1_11target_archE4294967295ELNS1_3gpuE0ELNS1_3repE0EEENS1_30default_config_static_selectorELNS0_4arch9wavefront6targetE1EEEvT1_,@function
_ZN7rocprim17ROCPRIM_400000_NS6detail17trampoline_kernelINS0_14default_configENS1_25partition_config_selectorILNS1_17partition_subalgoE9EllbEEZZNS1_14partition_implILS5_9ELb0ES3_jPlS8_PNS0_10empty_typeENS0_5tupleIJS8_S9_EEENSB_IJS8_SA_EEENS0_18inequality_wrapperIZN2at6native12_GLOBAL__N_124unique_dim_cuda_templateIfEESt5tupleIJNSF_6TensorESK_SK_EERKSK_lbbbEUlllE0_EEPmJS9_EEE10hipError_tPvRmT3_T4_T5_T6_T7_T9_mT8_P12ihipStream_tbDpT10_ENKUlT_T0_E_clISt17integral_constantIbLb0EES19_IbLb1EEEEDaS15_S16_EUlS15_E_NS1_11comp_targetILNS1_3genE0ELNS1_11target_archE4294967295ELNS1_3gpuE0ELNS1_3repE0EEENS1_30default_config_static_selectorELNS0_4arch9wavefront6targetE1EEEvT1_: ; @_ZN7rocprim17ROCPRIM_400000_NS6detail17trampoline_kernelINS0_14default_configENS1_25partition_config_selectorILNS1_17partition_subalgoE9EllbEEZZNS1_14partition_implILS5_9ELb0ES3_jPlS8_PNS0_10empty_typeENS0_5tupleIJS8_S9_EEENSB_IJS8_SA_EEENS0_18inequality_wrapperIZN2at6native12_GLOBAL__N_124unique_dim_cuda_templateIfEESt5tupleIJNSF_6TensorESK_SK_EERKSK_lbbbEUlllE0_EEPmJS9_EEE10hipError_tPvRmT3_T4_T5_T6_T7_T9_mT8_P12ihipStream_tbDpT10_ENKUlT_T0_E_clISt17integral_constantIbLb0EES19_IbLb1EEEEDaS15_S16_EUlS15_E_NS1_11comp_targetILNS1_3genE0ELNS1_11target_archE4294967295ELNS1_3gpuE0ELNS1_3repE0EEENS1_30default_config_static_selectorELNS0_4arch9wavefront6targetE1EEEvT1_
; %bb.0:
	.section	.rodata,"a",@progbits
	.p2align	6, 0x0
	.amdhsa_kernel _ZN7rocprim17ROCPRIM_400000_NS6detail17trampoline_kernelINS0_14default_configENS1_25partition_config_selectorILNS1_17partition_subalgoE9EllbEEZZNS1_14partition_implILS5_9ELb0ES3_jPlS8_PNS0_10empty_typeENS0_5tupleIJS8_S9_EEENSB_IJS8_SA_EEENS0_18inequality_wrapperIZN2at6native12_GLOBAL__N_124unique_dim_cuda_templateIfEESt5tupleIJNSF_6TensorESK_SK_EERKSK_lbbbEUlllE0_EEPmJS9_EEE10hipError_tPvRmT3_T4_T5_T6_T7_T9_mT8_P12ihipStream_tbDpT10_ENKUlT_T0_E_clISt17integral_constantIbLb0EES19_IbLb1EEEEDaS15_S16_EUlS15_E_NS1_11comp_targetILNS1_3genE0ELNS1_11target_archE4294967295ELNS1_3gpuE0ELNS1_3repE0EEENS1_30default_config_static_selectorELNS0_4arch9wavefront6targetE1EEEvT1_
		.amdhsa_group_segment_fixed_size 0
		.amdhsa_private_segment_fixed_size 0
		.amdhsa_kernarg_size 136
		.amdhsa_user_sgpr_count 2
		.amdhsa_user_sgpr_dispatch_ptr 0
		.amdhsa_user_sgpr_queue_ptr 0
		.amdhsa_user_sgpr_kernarg_segment_ptr 1
		.amdhsa_user_sgpr_dispatch_id 0
		.amdhsa_user_sgpr_kernarg_preload_length 0
		.amdhsa_user_sgpr_kernarg_preload_offset 0
		.amdhsa_user_sgpr_private_segment_size 0
		.amdhsa_uses_dynamic_stack 0
		.amdhsa_enable_private_segment 0
		.amdhsa_system_sgpr_workgroup_id_x 1
		.amdhsa_system_sgpr_workgroup_id_y 0
		.amdhsa_system_sgpr_workgroup_id_z 0
		.amdhsa_system_sgpr_workgroup_info 0
		.amdhsa_system_vgpr_workitem_id 0
		.amdhsa_next_free_vgpr 1
		.amdhsa_next_free_sgpr 0
		.amdhsa_accum_offset 4
		.amdhsa_reserve_vcc 0
		.amdhsa_float_round_mode_32 0
		.amdhsa_float_round_mode_16_64 0
		.amdhsa_float_denorm_mode_32 3
		.amdhsa_float_denorm_mode_16_64 3
		.amdhsa_dx10_clamp 1
		.amdhsa_ieee_mode 1
		.amdhsa_fp16_overflow 0
		.amdhsa_tg_split 0
		.amdhsa_exception_fp_ieee_invalid_op 0
		.amdhsa_exception_fp_denorm_src 0
		.amdhsa_exception_fp_ieee_div_zero 0
		.amdhsa_exception_fp_ieee_overflow 0
		.amdhsa_exception_fp_ieee_underflow 0
		.amdhsa_exception_fp_ieee_inexact 0
		.amdhsa_exception_int_div_zero 0
	.end_amdhsa_kernel
	.section	.text._ZN7rocprim17ROCPRIM_400000_NS6detail17trampoline_kernelINS0_14default_configENS1_25partition_config_selectorILNS1_17partition_subalgoE9EllbEEZZNS1_14partition_implILS5_9ELb0ES3_jPlS8_PNS0_10empty_typeENS0_5tupleIJS8_S9_EEENSB_IJS8_SA_EEENS0_18inequality_wrapperIZN2at6native12_GLOBAL__N_124unique_dim_cuda_templateIfEESt5tupleIJNSF_6TensorESK_SK_EERKSK_lbbbEUlllE0_EEPmJS9_EEE10hipError_tPvRmT3_T4_T5_T6_T7_T9_mT8_P12ihipStream_tbDpT10_ENKUlT_T0_E_clISt17integral_constantIbLb0EES19_IbLb1EEEEDaS15_S16_EUlS15_E_NS1_11comp_targetILNS1_3genE0ELNS1_11target_archE4294967295ELNS1_3gpuE0ELNS1_3repE0EEENS1_30default_config_static_selectorELNS0_4arch9wavefront6targetE1EEEvT1_,"axG",@progbits,_ZN7rocprim17ROCPRIM_400000_NS6detail17trampoline_kernelINS0_14default_configENS1_25partition_config_selectorILNS1_17partition_subalgoE9EllbEEZZNS1_14partition_implILS5_9ELb0ES3_jPlS8_PNS0_10empty_typeENS0_5tupleIJS8_S9_EEENSB_IJS8_SA_EEENS0_18inequality_wrapperIZN2at6native12_GLOBAL__N_124unique_dim_cuda_templateIfEESt5tupleIJNSF_6TensorESK_SK_EERKSK_lbbbEUlllE0_EEPmJS9_EEE10hipError_tPvRmT3_T4_T5_T6_T7_T9_mT8_P12ihipStream_tbDpT10_ENKUlT_T0_E_clISt17integral_constantIbLb0EES19_IbLb1EEEEDaS15_S16_EUlS15_E_NS1_11comp_targetILNS1_3genE0ELNS1_11target_archE4294967295ELNS1_3gpuE0ELNS1_3repE0EEENS1_30default_config_static_selectorELNS0_4arch9wavefront6targetE1EEEvT1_,comdat
.Lfunc_end992:
	.size	_ZN7rocprim17ROCPRIM_400000_NS6detail17trampoline_kernelINS0_14default_configENS1_25partition_config_selectorILNS1_17partition_subalgoE9EllbEEZZNS1_14partition_implILS5_9ELb0ES3_jPlS8_PNS0_10empty_typeENS0_5tupleIJS8_S9_EEENSB_IJS8_SA_EEENS0_18inequality_wrapperIZN2at6native12_GLOBAL__N_124unique_dim_cuda_templateIfEESt5tupleIJNSF_6TensorESK_SK_EERKSK_lbbbEUlllE0_EEPmJS9_EEE10hipError_tPvRmT3_T4_T5_T6_T7_T9_mT8_P12ihipStream_tbDpT10_ENKUlT_T0_E_clISt17integral_constantIbLb0EES19_IbLb1EEEEDaS15_S16_EUlS15_E_NS1_11comp_targetILNS1_3genE0ELNS1_11target_archE4294967295ELNS1_3gpuE0ELNS1_3repE0EEENS1_30default_config_static_selectorELNS0_4arch9wavefront6targetE1EEEvT1_, .Lfunc_end992-_ZN7rocprim17ROCPRIM_400000_NS6detail17trampoline_kernelINS0_14default_configENS1_25partition_config_selectorILNS1_17partition_subalgoE9EllbEEZZNS1_14partition_implILS5_9ELb0ES3_jPlS8_PNS0_10empty_typeENS0_5tupleIJS8_S9_EEENSB_IJS8_SA_EEENS0_18inequality_wrapperIZN2at6native12_GLOBAL__N_124unique_dim_cuda_templateIfEESt5tupleIJNSF_6TensorESK_SK_EERKSK_lbbbEUlllE0_EEPmJS9_EEE10hipError_tPvRmT3_T4_T5_T6_T7_T9_mT8_P12ihipStream_tbDpT10_ENKUlT_T0_E_clISt17integral_constantIbLb0EES19_IbLb1EEEEDaS15_S16_EUlS15_E_NS1_11comp_targetILNS1_3genE0ELNS1_11target_archE4294967295ELNS1_3gpuE0ELNS1_3repE0EEENS1_30default_config_static_selectorELNS0_4arch9wavefront6targetE1EEEvT1_
                                        ; -- End function
	.section	.AMDGPU.csdata,"",@progbits
; Kernel info:
; codeLenInByte = 0
; NumSgprs: 6
; NumVgprs: 0
; NumAgprs: 0
; TotalNumVgprs: 0
; ScratchSize: 0
; MemoryBound: 0
; FloatMode: 240
; IeeeMode: 1
; LDSByteSize: 0 bytes/workgroup (compile time only)
; SGPRBlocks: 0
; VGPRBlocks: 0
; NumSGPRsForWavesPerEU: 6
; NumVGPRsForWavesPerEU: 1
; AccumOffset: 4
; Occupancy: 8
; WaveLimiterHint : 0
; COMPUTE_PGM_RSRC2:SCRATCH_EN: 0
; COMPUTE_PGM_RSRC2:USER_SGPR: 2
; COMPUTE_PGM_RSRC2:TRAP_HANDLER: 0
; COMPUTE_PGM_RSRC2:TGID_X_EN: 1
; COMPUTE_PGM_RSRC2:TGID_Y_EN: 0
; COMPUTE_PGM_RSRC2:TGID_Z_EN: 0
; COMPUTE_PGM_RSRC2:TIDIG_COMP_CNT: 0
; COMPUTE_PGM_RSRC3_GFX90A:ACCUM_OFFSET: 0
; COMPUTE_PGM_RSRC3_GFX90A:TG_SPLIT: 0
	.section	.text._ZN7rocprim17ROCPRIM_400000_NS6detail17trampoline_kernelINS0_14default_configENS1_25partition_config_selectorILNS1_17partition_subalgoE9EllbEEZZNS1_14partition_implILS5_9ELb0ES3_jPlS8_PNS0_10empty_typeENS0_5tupleIJS8_S9_EEENSB_IJS8_SA_EEENS0_18inequality_wrapperIZN2at6native12_GLOBAL__N_124unique_dim_cuda_templateIfEESt5tupleIJNSF_6TensorESK_SK_EERKSK_lbbbEUlllE0_EEPmJS9_EEE10hipError_tPvRmT3_T4_T5_T6_T7_T9_mT8_P12ihipStream_tbDpT10_ENKUlT_T0_E_clISt17integral_constantIbLb0EES19_IbLb1EEEEDaS15_S16_EUlS15_E_NS1_11comp_targetILNS1_3genE5ELNS1_11target_archE942ELNS1_3gpuE9ELNS1_3repE0EEENS1_30default_config_static_selectorELNS0_4arch9wavefront6targetE1EEEvT1_,"axG",@progbits,_ZN7rocprim17ROCPRIM_400000_NS6detail17trampoline_kernelINS0_14default_configENS1_25partition_config_selectorILNS1_17partition_subalgoE9EllbEEZZNS1_14partition_implILS5_9ELb0ES3_jPlS8_PNS0_10empty_typeENS0_5tupleIJS8_S9_EEENSB_IJS8_SA_EEENS0_18inequality_wrapperIZN2at6native12_GLOBAL__N_124unique_dim_cuda_templateIfEESt5tupleIJNSF_6TensorESK_SK_EERKSK_lbbbEUlllE0_EEPmJS9_EEE10hipError_tPvRmT3_T4_T5_T6_T7_T9_mT8_P12ihipStream_tbDpT10_ENKUlT_T0_E_clISt17integral_constantIbLb0EES19_IbLb1EEEEDaS15_S16_EUlS15_E_NS1_11comp_targetILNS1_3genE5ELNS1_11target_archE942ELNS1_3gpuE9ELNS1_3repE0EEENS1_30default_config_static_selectorELNS0_4arch9wavefront6targetE1EEEvT1_,comdat
	.globl	_ZN7rocprim17ROCPRIM_400000_NS6detail17trampoline_kernelINS0_14default_configENS1_25partition_config_selectorILNS1_17partition_subalgoE9EllbEEZZNS1_14partition_implILS5_9ELb0ES3_jPlS8_PNS0_10empty_typeENS0_5tupleIJS8_S9_EEENSB_IJS8_SA_EEENS0_18inequality_wrapperIZN2at6native12_GLOBAL__N_124unique_dim_cuda_templateIfEESt5tupleIJNSF_6TensorESK_SK_EERKSK_lbbbEUlllE0_EEPmJS9_EEE10hipError_tPvRmT3_T4_T5_T6_T7_T9_mT8_P12ihipStream_tbDpT10_ENKUlT_T0_E_clISt17integral_constantIbLb0EES19_IbLb1EEEEDaS15_S16_EUlS15_E_NS1_11comp_targetILNS1_3genE5ELNS1_11target_archE942ELNS1_3gpuE9ELNS1_3repE0EEENS1_30default_config_static_selectorELNS0_4arch9wavefront6targetE1EEEvT1_ ; -- Begin function _ZN7rocprim17ROCPRIM_400000_NS6detail17trampoline_kernelINS0_14default_configENS1_25partition_config_selectorILNS1_17partition_subalgoE9EllbEEZZNS1_14partition_implILS5_9ELb0ES3_jPlS8_PNS0_10empty_typeENS0_5tupleIJS8_S9_EEENSB_IJS8_SA_EEENS0_18inequality_wrapperIZN2at6native12_GLOBAL__N_124unique_dim_cuda_templateIfEESt5tupleIJNSF_6TensorESK_SK_EERKSK_lbbbEUlllE0_EEPmJS9_EEE10hipError_tPvRmT3_T4_T5_T6_T7_T9_mT8_P12ihipStream_tbDpT10_ENKUlT_T0_E_clISt17integral_constantIbLb0EES19_IbLb1EEEEDaS15_S16_EUlS15_E_NS1_11comp_targetILNS1_3genE5ELNS1_11target_archE942ELNS1_3gpuE9ELNS1_3repE0EEENS1_30default_config_static_selectorELNS0_4arch9wavefront6targetE1EEEvT1_
	.p2align	8
	.type	_ZN7rocprim17ROCPRIM_400000_NS6detail17trampoline_kernelINS0_14default_configENS1_25partition_config_selectorILNS1_17partition_subalgoE9EllbEEZZNS1_14partition_implILS5_9ELb0ES3_jPlS8_PNS0_10empty_typeENS0_5tupleIJS8_S9_EEENSB_IJS8_SA_EEENS0_18inequality_wrapperIZN2at6native12_GLOBAL__N_124unique_dim_cuda_templateIfEESt5tupleIJNSF_6TensorESK_SK_EERKSK_lbbbEUlllE0_EEPmJS9_EEE10hipError_tPvRmT3_T4_T5_T6_T7_T9_mT8_P12ihipStream_tbDpT10_ENKUlT_T0_E_clISt17integral_constantIbLb0EES19_IbLb1EEEEDaS15_S16_EUlS15_E_NS1_11comp_targetILNS1_3genE5ELNS1_11target_archE942ELNS1_3gpuE9ELNS1_3repE0EEENS1_30default_config_static_selectorELNS0_4arch9wavefront6targetE1EEEvT1_,@function
_ZN7rocprim17ROCPRIM_400000_NS6detail17trampoline_kernelINS0_14default_configENS1_25partition_config_selectorILNS1_17partition_subalgoE9EllbEEZZNS1_14partition_implILS5_9ELb0ES3_jPlS8_PNS0_10empty_typeENS0_5tupleIJS8_S9_EEENSB_IJS8_SA_EEENS0_18inequality_wrapperIZN2at6native12_GLOBAL__N_124unique_dim_cuda_templateIfEESt5tupleIJNSF_6TensorESK_SK_EERKSK_lbbbEUlllE0_EEPmJS9_EEE10hipError_tPvRmT3_T4_T5_T6_T7_T9_mT8_P12ihipStream_tbDpT10_ENKUlT_T0_E_clISt17integral_constantIbLb0EES19_IbLb1EEEEDaS15_S16_EUlS15_E_NS1_11comp_targetILNS1_3genE5ELNS1_11target_archE942ELNS1_3gpuE9ELNS1_3repE0EEENS1_30default_config_static_selectorELNS0_4arch9wavefront6targetE1EEEvT1_: ; @_ZN7rocprim17ROCPRIM_400000_NS6detail17trampoline_kernelINS0_14default_configENS1_25partition_config_selectorILNS1_17partition_subalgoE9EllbEEZZNS1_14partition_implILS5_9ELb0ES3_jPlS8_PNS0_10empty_typeENS0_5tupleIJS8_S9_EEENSB_IJS8_SA_EEENS0_18inequality_wrapperIZN2at6native12_GLOBAL__N_124unique_dim_cuda_templateIfEESt5tupleIJNSF_6TensorESK_SK_EERKSK_lbbbEUlllE0_EEPmJS9_EEE10hipError_tPvRmT3_T4_T5_T6_T7_T9_mT8_P12ihipStream_tbDpT10_ENKUlT_T0_E_clISt17integral_constantIbLb0EES19_IbLb1EEEEDaS15_S16_EUlS15_E_NS1_11comp_targetILNS1_3genE5ELNS1_11target_archE942ELNS1_3gpuE9ELNS1_3repE0EEENS1_30default_config_static_selectorELNS0_4arch9wavefront6targetE1EEEvT1_
; %bb.0:
	s_load_dwordx4 s[4:7], s[0:1], 0x8
	s_load_dwordx2 s[10:11], s[0:1], 0x18
	s_load_dwordx8 s[20:27], s[0:1], 0x40
	s_load_dwordx4 s[36:39], s[0:1], 0x60
	v_cmp_ne_u32_e64 s[2:3], 0, v0
	v_cmp_eq_u32_e64 s[18:19], 0, v0
	s_and_saveexec_b64 s[8:9], s[18:19]
	s_cbranch_execz .LBB993_4
; %bb.1:
	s_mov_b64 s[14:15], exec
	v_mbcnt_lo_u32_b32 v1, s14, 0
	v_mbcnt_hi_u32_b32 v1, s15, v1
	v_cmp_eq_u32_e32 vcc, 0, v1
                                        ; implicit-def: $vgpr2
	s_and_saveexec_b64 s[12:13], vcc
	s_cbranch_execz .LBB993_3
; %bb.2:
	s_load_dwordx2 s[16:17], s[0:1], 0x78
	s_bcnt1_i32_b64 s14, s[14:15]
	v_mov_b32_e32 v2, 0
	v_mov_b32_e32 v3, s14
	s_waitcnt lgkmcnt(0)
	global_atomic_add v2, v2, v3, s[16:17] sc0
.LBB993_3:
	s_or_b64 exec, exec, s[12:13]
	s_waitcnt vmcnt(0)
	v_readfirstlane_b32 s12, v2
	v_mov_b32_e32 v2, 0
	s_nop 0
	v_add_u32_e32 v1, s12, v1
	ds_write_b32 v2, v1
.LBB993_4:
	s_or_b64 exec, exec, s[8:9]
	v_mov_b32_e32 v3, 0
	s_load_dwordx4 s[28:31], s[0:1], 0x28
	s_load_dword s8, s[0:1], 0x70
	s_waitcnt lgkmcnt(0)
	s_barrier
	ds_read_b32 v1, v3
	s_waitcnt lgkmcnt(0)
	s_barrier
	global_load_dwordx2 v[4:5], v3, s[22:23]
	s_lshl_b64 s[12:13], s[6:7], 3
	s_mul_i32 s14, s8, 0xe00
	s_add_u32 s16, s4, s12
	s_addc_u32 s17, s5, s13
	s_add_i32 s4, s14, s6
	s_sub_i32 s54, s24, s4
	s_add_i32 s15, s8, -1
	s_addk_i32 s54, 0xe00
	s_add_u32 s4, s6, s14
	v_readfirstlane_b32 s33, v1
	s_addc_u32 s5, s7, 0
	v_mov_b32_e32 v6, s24
	v_mov_b32_e32 v7, s25
	s_cmp_eq_u32 s33, s15
	s_mov_b32 s9, 0
	s_mul_i32 s8, s33, 0xe00
	v_cmp_ge_u64_e32 vcc, s[4:5], v[6:7]
	s_cselect_b64 s[24:25], -1, 0
	s_lshl_b64 s[14:15], s[8:9], 3
	s_and_b64 s[8:9], vcc, s[24:25]
	s_xor_b64 s[34:35], s[8:9], -1
	s_add_u32 s4, s16, s14
	s_mov_b64 s[0:1], -1
	s_addc_u32 s5, s17, s15
	s_and_b64 vcc, exec, s[34:35]
	s_waitcnt vmcnt(0)
	v_readfirstlane_b32 s22, v4
	v_readfirstlane_b32 s23, v5
	s_cbranch_vccz .LBB993_6
; %bb.5:
	v_lshlrev_b32_e32 v2, 3, v0
	v_lshl_add_u64 v[4:5], s[4:5], 0, v[2:3]
	v_add_co_u32_e32 v8, vcc, 0x1000, v4
	global_load_dwordx2 v[6:7], v2, s[4:5]
	s_nop 0
	v_addc_co_u32_e32 v9, vcc, 0, v5, vcc
	v_add_co_u32_e32 v10, vcc, 0x2000, v4
	s_mov_b64 s[0:1], 0
	s_nop 0
	v_addc_co_u32_e32 v11, vcc, 0, v5, vcc
	v_add_co_u32_e32 v12, vcc, 0x3000, v4
	s_nop 1
	v_addc_co_u32_e32 v13, vcc, 0, v5, vcc
	v_add_co_u32_e32 v14, vcc, 0x4000, v4
	s_nop 1
	v_addc_co_u32_e32 v15, vcc, 0, v5, vcc
	global_load_dwordx2 v[16:17], v[8:9], off
	global_load_dwordx2 v[18:19], v[10:11], off
	;; [unrolled: 1-line block ×4, first 2 shown]
	v_add_co_u32_e32 v8, vcc, 0x5000, v4
	s_nop 1
	v_addc_co_u32_e32 v9, vcc, 0, v5, vcc
	v_add_co_u32_e32 v4, vcc, 0x6000, v4
	global_load_dwordx2 v[8:9], v[8:9], off
	s_nop 0
	v_addc_co_u32_e32 v5, vcc, 0, v5, vcc
	global_load_dwordx2 v[4:5], v[4:5], off
	s_waitcnt vmcnt(5)
	ds_write2st64_b64 v2, v[6:7], v[16:17] offset1:8
	s_waitcnt vmcnt(3)
	ds_write2st64_b64 v2, v[18:19], v[20:21] offset0:16 offset1:24
	s_waitcnt vmcnt(1)
	ds_write2st64_b64 v2, v[22:23], v[8:9] offset0:32 offset1:40
	s_waitcnt vmcnt(0)
	ds_write_b64 v2, v[4:5] offset:24576
	s_waitcnt lgkmcnt(0)
	s_barrier
.LBB993_6:
	s_andn2_b64 vcc, exec, s[0:1]
	v_cmp_gt_u32_e64 s[0:1], s54, v0
	s_cbranch_vccnz .LBB993_22
; %bb.7:
                                        ; implicit-def: $vgpr2_vgpr3_vgpr4_vgpr5_vgpr6_vgpr7_vgpr8_vgpr9_vgpr10_vgpr11_vgpr12_vgpr13_vgpr14_vgpr15_vgpr16_vgpr17
	s_and_saveexec_b64 s[16:17], s[0:1]
	s_cbranch_execz .LBB993_9
; %bb.8:
	v_lshlrev_b32_e32 v1, 3, v0
	global_load_dwordx2 v[2:3], v1, s[4:5]
.LBB993_9:
	s_or_b64 exec, exec, s[16:17]
	v_or_b32_e32 v1, 0x200, v0
	v_cmp_gt_u32_e32 vcc, s54, v1
	s_and_saveexec_b64 s[0:1], vcc
	s_cbranch_execz .LBB993_11
; %bb.10:
	v_lshlrev_b32_e32 v1, 3, v1
	global_load_dwordx2 v[4:5], v1, s[4:5]
.LBB993_11:
	s_or_b64 exec, exec, s[0:1]
	v_or_b32_e32 v1, 0x400, v0
	v_cmp_gt_u32_e32 vcc, s54, v1
	s_and_saveexec_b64 s[0:1], vcc
	;; [unrolled: 9-line block ×6, first 2 shown]
	s_cbranch_execz .LBB993_21
; %bb.20:
	v_lshlrev_b32_e32 v1, 3, v1
	global_load_dwordx2 v[14:15], v1, s[4:5]
.LBB993_21:
	s_or_b64 exec, exec, s[0:1]
	v_lshlrev_b32_e32 v1, 3, v0
	s_waitcnt vmcnt(0)
	ds_write2st64_b64 v1, v[2:3], v[4:5] offset1:8
	ds_write2st64_b64 v1, v[6:7], v[8:9] offset0:16 offset1:24
	ds_write2st64_b64 v1, v[10:11], v[12:13] offset0:32 offset1:40
	ds_write_b64 v1, v[14:15] offset:24576
	s_waitcnt lgkmcnt(0)
	s_barrier
.LBB993_22:
	v_mul_u32_u24_e32 v1, 7, v0
	v_lshlrev_b32_e32 v46, 3, v1
	ds_read2_b64 v[22:25], v46 offset1:1
	ds_read2_b64 v[18:21], v46 offset0:2 offset1:3
	ds_read2_b64 v[14:17], v46 offset0:4 offset1:5
	ds_read_b64 v[28:29], v46 offset:48
	s_add_u32 s0, s10, s12
	s_addc_u32 s1, s11, s13
	s_add_u32 s0, s0, s14
	s_addc_u32 s1, s1, s15
	s_mov_b64 s[10:11], -1
	s_and_b64 vcc, exec, s[34:35]
	s_waitcnt lgkmcnt(0)
	s_barrier
	s_cbranch_vccz .LBB993_24
; %bb.23:
	v_lshlrev_b32_e32 v2, 3, v0
	v_mov_b32_e32 v3, 0
	v_lshl_add_u64 v[4:5], s[0:1], 0, v[2:3]
	v_add_co_u32_e32 v8, vcc, 0x1000, v4
	global_load_dwordx2 v[6:7], v2, s[0:1]
	s_nop 0
	v_addc_co_u32_e32 v9, vcc, 0, v5, vcc
	v_add_co_u32_e32 v10, vcc, 0x2000, v4
	s_mov_b64 s[10:11], 0
	s_nop 0
	v_addc_co_u32_e32 v11, vcc, 0, v5, vcc
	v_add_co_u32_e32 v12, vcc, 0x3000, v4
	s_nop 1
	v_addc_co_u32_e32 v13, vcc, 0, v5, vcc
	v_add_co_u32_e32 v26, vcc, 0x4000, v4
	s_nop 1
	v_addc_co_u32_e32 v27, vcc, 0, v5, vcc
	global_load_dwordx2 v[30:31], v[8:9], off
	global_load_dwordx2 v[32:33], v[10:11], off
	;; [unrolled: 1-line block ×4, first 2 shown]
	v_add_co_u32_e32 v8, vcc, 0x5000, v4
	s_nop 1
	v_addc_co_u32_e32 v9, vcc, 0, v5, vcc
	v_add_co_u32_e32 v4, vcc, 0x6000, v4
	global_load_dwordx2 v[8:9], v[8:9], off
	s_nop 0
	v_addc_co_u32_e32 v5, vcc, 0, v5, vcc
	global_load_dwordx2 v[4:5], v[4:5], off
	s_waitcnt vmcnt(5)
	ds_write2st64_b64 v2, v[6:7], v[30:31] offset1:8
	s_waitcnt vmcnt(3)
	ds_write2st64_b64 v2, v[32:33], v[34:35] offset0:16 offset1:24
	s_waitcnt vmcnt(1)
	ds_write2st64_b64 v2, v[36:37], v[8:9] offset0:32 offset1:40
	s_waitcnt vmcnt(0)
	ds_write_b64 v2, v[4:5] offset:24576
	s_waitcnt lgkmcnt(0)
	s_barrier
.LBB993_24:
	s_andn2_b64 vcc, exec, s[10:11]
	s_cbranch_vccnz .LBB993_40
; %bb.25:
	v_cmp_gt_u32_e32 vcc, s54, v0
                                        ; implicit-def: $vgpr2_vgpr3
	s_and_saveexec_b64 s[10:11], vcc
	s_cbranch_execz .LBB993_27
; %bb.26:
	v_lshlrev_b32_e32 v2, 3, v0
	global_load_dwordx2 v[2:3], v2, s[0:1]
.LBB993_27:
	s_or_b64 exec, exec, s[10:11]
	v_or_b32_e32 v6, 0x200, v0
	v_cmp_gt_u32_e32 vcc, s54, v6
                                        ; implicit-def: $vgpr4_vgpr5
	s_and_saveexec_b64 s[10:11], vcc
	s_cbranch_execz .LBB993_29
; %bb.28:
	v_lshlrev_b32_e32 v4, 3, v6
	global_load_dwordx2 v[4:5], v4, s[0:1]
.LBB993_29:
	s_or_b64 exec, exec, s[10:11]
	v_or_b32_e32 v8, 0x400, v0
	v_cmp_gt_u32_e32 vcc, s54, v8
                                        ; implicit-def: $vgpr6_vgpr7
	s_and_saveexec_b64 s[10:11], vcc
	s_cbranch_execz .LBB993_31
; %bb.30:
	v_lshlrev_b32_e32 v6, 3, v8
	global_load_dwordx2 v[6:7], v6, s[0:1]
.LBB993_31:
	s_or_b64 exec, exec, s[10:11]
	v_or_b32_e32 v10, 0x600, v0
	v_cmp_gt_u32_e32 vcc, s54, v10
                                        ; implicit-def: $vgpr8_vgpr9
	s_and_saveexec_b64 s[10:11], vcc
	s_cbranch_execz .LBB993_33
; %bb.32:
	v_lshlrev_b32_e32 v8, 3, v10
	global_load_dwordx2 v[8:9], v8, s[0:1]
.LBB993_33:
	s_or_b64 exec, exec, s[10:11]
	v_or_b32_e32 v12, 0x800, v0
	v_cmp_gt_u32_e32 vcc, s54, v12
                                        ; implicit-def: $vgpr10_vgpr11
	s_and_saveexec_b64 s[10:11], vcc
	s_cbranch_execz .LBB993_35
; %bb.34:
	v_lshlrev_b32_e32 v10, 3, v12
	global_load_dwordx2 v[10:11], v10, s[0:1]
.LBB993_35:
	s_or_b64 exec, exec, s[10:11]
	v_or_b32_e32 v26, 0xa00, v0
	v_cmp_gt_u32_e32 vcc, s54, v26
                                        ; implicit-def: $vgpr12_vgpr13
	s_and_saveexec_b64 s[10:11], vcc
	s_cbranch_execz .LBB993_37
; %bb.36:
	v_lshlrev_b32_e32 v12, 3, v26
	global_load_dwordx2 v[12:13], v12, s[0:1]
.LBB993_37:
	s_or_b64 exec, exec, s[10:11]
	v_or_b32_e32 v30, 0xc00, v0
	v_cmp_gt_u32_e32 vcc, s54, v30
                                        ; implicit-def: $vgpr26_vgpr27
	s_and_saveexec_b64 s[10:11], vcc
	s_cbranch_execz .LBB993_39
; %bb.38:
	v_lshlrev_b32_e32 v26, 3, v30
	global_load_dwordx2 v[26:27], v26, s[0:1]
.LBB993_39:
	s_or_b64 exec, exec, s[10:11]
	s_movk_i32 s0, 0xffd0
	v_mad_i32_i24 v30, v0, s0, v46
	s_waitcnt vmcnt(0)
	ds_write2st64_b64 v30, v[2:3], v[4:5] offset1:8
	ds_write2st64_b64 v30, v[6:7], v[8:9] offset0:16 offset1:24
	ds_write2st64_b64 v30, v[10:11], v[12:13] offset0:32 offset1:40
	ds_write_b64 v30, v[26:27] offset:24576
	s_waitcnt lgkmcnt(0)
	s_barrier
.LBB993_40:
	ds_read2_b64 v[10:13], v46 offset1:1
	ds_read2_b64 v[6:9], v46 offset0:2 offset1:3
	ds_read2_b64 v[2:5], v46 offset0:4 offset1:5
	ds_read_b64 v[26:27], v46 offset:48
	s_cmp_lg_u32 s33, 0
	s_cselect_b64 s[0:1], -1, 0
	s_cmp_lg_u64 s[6:7], 0
	s_cselect_b64 s[6:7], -1, 0
	s_or_b64 s[6:7], s[6:7], s[0:1]
	v_add_u32_e32 v43, 1, v1
	v_add_u32_e32 v40, 2, v1
	;; [unrolled: 1-line block ×6, first 2 shown]
	s_mov_b64 s[10:11], 0
	s_and_b64 vcc, exec, s[6:7]
	v_cmp_gt_i64_e64 s[12:13], s[26:27], 0
	s_waitcnt lgkmcnt(0)
	s_barrier
	s_cbranch_vccz .LBB993_49
; %bb.41:
	v_mov_b32_e32 v30, 0
	global_load_dwordx2 v[30:31], v30, s[4:5] offset:-8
	v_cndmask_b32_e64 v32, 0, 1, s[12:13]
	v_lshlrev_b32_e32 v47, 3, v0
	s_mov_b64 s[6:7], 0
	s_and_b64 vcc, exec, s[34:35]
	v_cmp_ne_u32_e64 s[4:5], 1, v32
	ds_write_b64 v47, v[28:29]
	s_cbranch_vccz .LBB993_51
; %bb.42:
	v_mul_lo_u32 v34, v17, s26
	v_mul_lo_u32 v35, v16, s27
	v_mad_u64_u32 v[32:33], s[10:11], v16, s26, 0
	v_add3_u32 v33, v33, v35, v34
	s_and_b64 vcc, exec, s[4:5]
	v_lshl_add_u64 v[32:33], v[32:33], 2, s[36:37]
	s_cbranch_vccnz .LBB993_54
; %bb.43:
	v_mul_lo_u32 v36, v29, s26
	v_mul_lo_u32 v37, v28, s27
	v_mad_u64_u32 v[34:35], s[6:7], v28, s26, 0
	v_add3_u32 v35, v35, v37, v36
	v_lshl_add_u64 v[34:35], v[34:35], 2, s[36:37]
	global_load_dword v36, v[32:33], off
	global_load_dword v37, v[34:35], off
	s_mov_b64 s[6:7], -1
	s_waitcnt vmcnt(0)
	v_cmp_eq_f32_e32 vcc, v36, v37
	s_and_saveexec_b64 s[10:11], vcc
	s_cbranch_execz .LBB993_53
; %bb.44:
	s_add_u32 s6, s26, -1
	v_lshl_add_u64 v[34:35], v[34:35], 0, 4
	v_lshl_add_u64 v[36:37], v[32:33], 0, 4
	s_addc_u32 s7, s27, -1
	s_mov_b64 s[12:13], 0
	s_mov_b64 s[16:17], 0
                                        ; implicit-def: $sgpr14_sgpr15
	s_branch .LBB993_47
.LBB993_45:                             ;   in Loop: Header=BB993_47 Depth=1
	global_load_dword v38, v[36:37], off
	global_load_dword v39, v[34:35], off
	s_add_u32 s16, s16, 1
	s_addc_u32 s17, s17, 0
	s_andn2_b64 s[14:15], s[14:15], exec
	v_lshl_add_u64 v[34:35], v[34:35], 0, 4
	v_lshl_add_u64 v[36:37], v[36:37], 0, 4
	s_waitcnt vmcnt(0)
	v_cmp_neq_f32_e32 vcc, v38, v39
	s_and_b64 s[40:41], vcc, exec
	s_or_b64 s[14:15], s[14:15], s[40:41]
.LBB993_46:                             ;   in Loop: Header=BB993_47 Depth=1
	s_and_b64 s[40:41], exec, s[14:15]
	s_or_b64 s[12:13], s[40:41], s[12:13]
	v_mov_b64_e32 v[38:39], s[16:17]
	s_andn2_b64 exec, exec, s[12:13]
	s_cbranch_execz .LBB993_52
.LBB993_47:                             ; =>This Inner Loop Header: Depth=1
	s_or_b64 s[14:15], s[14:15], exec
	s_cmp_eq_u64 s[6:7], s[16:17]
	s_cbranch_scc0 .LBB993_45
; %bb.48:                               ;   in Loop: Header=BB993_47 Depth=1
                                        ; implicit-def: $vgpr34_vgpr35
                                        ; implicit-def: $vgpr36_vgpr37
	s_mov_b64 s[16:17], s[26:27]
	s_branch .LBB993_46
.LBB993_49:
                                        ; implicit-def: $sgpr14_sgpr15
                                        ; implicit-def: $vgpr49
                                        ; implicit-def: $vgpr48
                                        ; implicit-def: $vgpr39
                                        ; implicit-def: $vgpr34
	s_branch .LBB993_192
.LBB993_50:
                                        ; implicit-def: $vgpr30_vgpr31
	s_branch .LBB993_340
.LBB993_51:
                                        ; implicit-def: $sgpr14_sgpr15
                                        ; implicit-def: $vgpr49
                                        ; implicit-def: $vgpr48
                                        ; implicit-def: $vgpr39
                                        ; implicit-def: $vgpr34
	s_cbranch_execnz .LBB993_111
	s_branch .LBB993_191
.LBB993_52:
	s_or_b64 exec, exec, s[12:13]
	v_cmp_gt_i64_e32 vcc, s[26:27], v[38:39]
	s_orn2_b64 s[6:7], vcc, exec
.LBB993_53:
	s_or_b64 exec, exec, s[10:11]
.LBB993_54:
	v_mul_lo_u32 v36, v15, s26
	v_mul_lo_u32 v37, v14, s27
	v_mad_u64_u32 v[34:35], s[10:11], v14, s26, 0
	v_add3_u32 v35, v35, v37, v36
	s_mov_b64 s[10:11], 0
	s_and_b64 vcc, exec, s[4:5]
	v_lshl_add_u64 v[34:35], v[34:35], 2, s[36:37]
	s_mov_b64 s[12:13], 0
	s_cbranch_vccnz .LBB993_63
; %bb.55:
	global_load_dword v36, v[34:35], off
	global_load_dword v37, v[32:33], off
	s_mov_b64 s[12:13], -1
	s_waitcnt vmcnt(0)
	v_cmp_eq_f32_e32 vcc, v36, v37
	s_and_saveexec_b64 s[14:15], vcc
	s_cbranch_execz .LBB993_62
; %bb.56:
	s_add_u32 s12, s26, -1
	v_lshl_add_u64 v[32:33], v[32:33], 0, 4
	v_lshl_add_u64 v[36:37], v[34:35], 0, 4
	s_addc_u32 s13, s27, -1
	s_mov_b64 s[16:17], 0
	s_mov_b64 s[42:43], 0
                                        ; implicit-def: $sgpr40_sgpr41
	s_branch .LBB993_59
.LBB993_57:                             ;   in Loop: Header=BB993_59 Depth=1
	global_load_dword v38, v[36:37], off
	global_load_dword v39, v[32:33], off
	s_add_u32 s42, s42, 1
	s_addc_u32 s43, s43, 0
	s_andn2_b64 s[40:41], s[40:41], exec
	v_lshl_add_u64 v[32:33], v[32:33], 0, 4
	v_lshl_add_u64 v[36:37], v[36:37], 0, 4
	s_waitcnt vmcnt(0)
	v_cmp_neq_f32_e32 vcc, v38, v39
	s_and_b64 s[44:45], vcc, exec
	s_or_b64 s[40:41], s[40:41], s[44:45]
.LBB993_58:                             ;   in Loop: Header=BB993_59 Depth=1
	s_and_b64 s[44:45], exec, s[40:41]
	s_or_b64 s[16:17], s[44:45], s[16:17]
	v_mov_b64_e32 v[38:39], s[42:43]
	s_andn2_b64 exec, exec, s[16:17]
	s_cbranch_execz .LBB993_61
.LBB993_59:                             ; =>This Inner Loop Header: Depth=1
	s_or_b64 s[40:41], s[40:41], exec
	s_cmp_eq_u64 s[12:13], s[42:43]
	s_cbranch_scc0 .LBB993_57
; %bb.60:                               ;   in Loop: Header=BB993_59 Depth=1
                                        ; implicit-def: $vgpr32_vgpr33
                                        ; implicit-def: $vgpr36_vgpr37
	s_mov_b64 s[42:43], s[26:27]
	s_branch .LBB993_58
.LBB993_61:
	s_or_b64 exec, exec, s[16:17]
	v_cmp_gt_i64_e32 vcc, s[26:27], v[38:39]
	s_orn2_b64 s[12:13], vcc, exec
.LBB993_62:
	s_or_b64 exec, exec, s[14:15]
.LBB993_63:
	v_mul_lo_u32 v36, v21, s26
	v_mul_lo_u32 v37, v20, s27
	v_mad_u64_u32 v[32:33], s[14:15], v20, s26, 0
	v_add3_u32 v33, v33, v37, v36
	s_and_b64 vcc, exec, s[4:5]
	v_lshl_add_u64 v[32:33], v[32:33], 2, s[36:37]
	s_cbranch_vccnz .LBB993_72
; %bb.64:
	global_load_dword v36, v[32:33], off
	global_load_dword v37, v[34:35], off
	s_mov_b64 s[10:11], -1
	s_waitcnt vmcnt(0)
	v_cmp_eq_f32_e32 vcc, v36, v37
	s_and_saveexec_b64 s[14:15], vcc
	s_cbranch_execz .LBB993_71
; %bb.65:
	s_add_u32 s10, s26, -1
	v_lshl_add_u64 v[34:35], v[34:35], 0, 4
	v_lshl_add_u64 v[36:37], v[32:33], 0, 4
	s_addc_u32 s11, s27, -1
	s_mov_b64 s[16:17], 0
	s_mov_b64 s[42:43], 0
                                        ; implicit-def: $sgpr40_sgpr41
	s_branch .LBB993_68
.LBB993_66:                             ;   in Loop: Header=BB993_68 Depth=1
	global_load_dword v38, v[36:37], off
	global_load_dword v39, v[34:35], off
	s_add_u32 s42, s42, 1
	s_addc_u32 s43, s43, 0
	s_andn2_b64 s[40:41], s[40:41], exec
	v_lshl_add_u64 v[34:35], v[34:35], 0, 4
	v_lshl_add_u64 v[36:37], v[36:37], 0, 4
	s_waitcnt vmcnt(0)
	v_cmp_neq_f32_e32 vcc, v38, v39
	s_and_b64 s[44:45], vcc, exec
	s_or_b64 s[40:41], s[40:41], s[44:45]
.LBB993_67:                             ;   in Loop: Header=BB993_68 Depth=1
	s_and_b64 s[44:45], exec, s[40:41]
	s_or_b64 s[16:17], s[44:45], s[16:17]
	v_mov_b64_e32 v[38:39], s[42:43]
	s_andn2_b64 exec, exec, s[16:17]
	s_cbranch_execz .LBB993_70
.LBB993_68:                             ; =>This Inner Loop Header: Depth=1
	s_or_b64 s[40:41], s[40:41], exec
	s_cmp_eq_u64 s[10:11], s[42:43]
	s_cbranch_scc0 .LBB993_66
; %bb.69:                               ;   in Loop: Header=BB993_68 Depth=1
                                        ; implicit-def: $vgpr34_vgpr35
                                        ; implicit-def: $vgpr36_vgpr37
	s_mov_b64 s[42:43], s[26:27]
	s_branch .LBB993_67
.LBB993_70:
	s_or_b64 exec, exec, s[16:17]
	v_cmp_gt_i64_e32 vcc, s[26:27], v[38:39]
	s_orn2_b64 s[10:11], vcc, exec
.LBB993_71:
	s_or_b64 exec, exec, s[14:15]
.LBB993_72:
	v_mul_lo_u32 v36, v19, s26
	v_mul_lo_u32 v37, v18, s27
	v_mad_u64_u32 v[34:35], s[14:15], v18, s26, 0
	v_add3_u32 v35, v35, v37, v36
	s_mov_b64 s[14:15], 0
	s_and_b64 vcc, exec, s[4:5]
	v_lshl_add_u64 v[36:37], v[34:35], 2, s[36:37]
	s_mov_b64 s[16:17], 0
	s_cbranch_vccnz .LBB993_81
; %bb.73:
	global_load_dword v34, v[36:37], off
	global_load_dword v35, v[32:33], off
	s_mov_b64 s[16:17], -1
	s_waitcnt vmcnt(0)
	v_cmp_eq_f32_e32 vcc, v34, v35
	s_and_saveexec_b64 s[40:41], vcc
	s_cbranch_execz .LBB993_80
; %bb.74:
	s_add_u32 s16, s26, -1
	v_lshl_add_u64 v[32:33], v[32:33], 0, 4
	v_lshl_add_u64 v[34:35], v[36:37], 0, 4
	s_addc_u32 s17, s27, -1
	s_mov_b64 s[42:43], 0
	s_mov_b64 s[46:47], 0
                                        ; implicit-def: $sgpr44_sgpr45
	s_branch .LBB993_77
.LBB993_75:                             ;   in Loop: Header=BB993_77 Depth=1
	global_load_dword v38, v[34:35], off
	global_load_dword v39, v[32:33], off
	s_add_u32 s46, s46, 1
	s_addc_u32 s47, s47, 0
	s_andn2_b64 s[44:45], s[44:45], exec
	v_lshl_add_u64 v[32:33], v[32:33], 0, 4
	v_lshl_add_u64 v[34:35], v[34:35], 0, 4
	s_waitcnt vmcnt(0)
	v_cmp_neq_f32_e32 vcc, v38, v39
	s_and_b64 s[48:49], vcc, exec
	s_or_b64 s[44:45], s[44:45], s[48:49]
.LBB993_76:                             ;   in Loop: Header=BB993_77 Depth=1
	s_and_b64 s[48:49], exec, s[44:45]
	s_or_b64 s[42:43], s[48:49], s[42:43]
	v_mov_b64_e32 v[38:39], s[46:47]
	s_andn2_b64 exec, exec, s[42:43]
	s_cbranch_execz .LBB993_79
.LBB993_77:                             ; =>This Inner Loop Header: Depth=1
	s_or_b64 s[44:45], s[44:45], exec
	s_cmp_eq_u64 s[16:17], s[46:47]
	s_cbranch_scc0 .LBB993_75
; %bb.78:                               ;   in Loop: Header=BB993_77 Depth=1
                                        ; implicit-def: $vgpr32_vgpr33
                                        ; implicit-def: $vgpr34_vgpr35
	s_mov_b64 s[46:47], s[26:27]
	s_branch .LBB993_76
.LBB993_79:
	s_or_b64 exec, exec, s[42:43]
	v_cmp_gt_i64_e32 vcc, s[26:27], v[38:39]
	s_orn2_b64 s[16:17], vcc, exec
.LBB993_80:
	s_or_b64 exec, exec, s[40:41]
.LBB993_81:
	v_mul_lo_u32 v34, v25, s26
	v_mul_lo_u32 v35, v24, s27
	v_mad_u64_u32 v[32:33], s[40:41], v24, s26, 0
	v_add3_u32 v33, v33, v35, v34
	s_and_b64 vcc, exec, s[4:5]
	v_lshl_add_u64 v[34:35], v[32:33], 2, s[36:37]
	s_cbranch_vccnz .LBB993_90
; %bb.82:
	global_load_dword v32, v[34:35], off
	global_load_dword v33, v[36:37], off
	s_mov_b64 s[14:15], -1
	s_waitcnt vmcnt(0)
	v_cmp_eq_f32_e32 vcc, v32, v33
	s_and_saveexec_b64 s[40:41], vcc
	s_cbranch_execz .LBB993_89
; %bb.83:
	s_add_u32 s14, s26, -1
	v_lshl_add_u64 v[32:33], v[36:37], 0, 4
	v_lshl_add_u64 v[36:37], v[34:35], 0, 4
	s_addc_u32 s15, s27, -1
	s_mov_b64 s[42:43], 0
	s_mov_b64 s[46:47], 0
                                        ; implicit-def: $sgpr44_sgpr45
	s_branch .LBB993_86
.LBB993_84:                             ;   in Loop: Header=BB993_86 Depth=1
	global_load_dword v38, v[36:37], off
	global_load_dword v39, v[32:33], off
	s_add_u32 s46, s46, 1
	s_addc_u32 s47, s47, 0
	s_andn2_b64 s[44:45], s[44:45], exec
	v_lshl_add_u64 v[32:33], v[32:33], 0, 4
	v_lshl_add_u64 v[36:37], v[36:37], 0, 4
	s_waitcnt vmcnt(0)
	v_cmp_neq_f32_e32 vcc, v38, v39
	s_and_b64 s[48:49], vcc, exec
	s_or_b64 s[44:45], s[44:45], s[48:49]
.LBB993_85:                             ;   in Loop: Header=BB993_86 Depth=1
	s_and_b64 s[48:49], exec, s[44:45]
	s_or_b64 s[42:43], s[48:49], s[42:43]
	v_mov_b64_e32 v[38:39], s[46:47]
	s_andn2_b64 exec, exec, s[42:43]
	s_cbranch_execz .LBB993_88
.LBB993_86:                             ; =>This Inner Loop Header: Depth=1
	s_or_b64 s[44:45], s[44:45], exec
	s_cmp_eq_u64 s[14:15], s[46:47]
	s_cbranch_scc0 .LBB993_84
; %bb.87:                               ;   in Loop: Header=BB993_86 Depth=1
                                        ; implicit-def: $vgpr32_vgpr33
                                        ; implicit-def: $vgpr36_vgpr37
	s_mov_b64 s[46:47], s[26:27]
	s_branch .LBB993_85
.LBB993_88:
	s_or_b64 exec, exec, s[42:43]
	v_cmp_gt_i64_e32 vcc, s[26:27], v[38:39]
	s_orn2_b64 s[14:15], vcc, exec
.LBB993_89:
	s_or_b64 exec, exec, s[40:41]
.LBB993_90:
	v_mul_lo_u32 v36, v23, s26
	v_mul_lo_u32 v37, v22, s27
	v_mad_u64_u32 v[32:33], s[40:41], v22, s26, 0
	v_add3_u32 v33, v33, v37, v36
	s_mov_b64 s[42:43], 0
	s_and_b64 vcc, exec, s[4:5]
	v_lshl_add_u64 v[32:33], v[32:33], 2, s[36:37]
	s_cbranch_vccnz .LBB993_99
; %bb.91:
	global_load_dword v36, v[32:33], off
	global_load_dword v37, v[34:35], off
	s_mov_b64 s[42:43], -1
	s_waitcnt vmcnt(0)
	v_cmp_eq_f32_e32 vcc, v36, v37
	s_and_saveexec_b64 s[40:41], vcc
	s_cbranch_execz .LBB993_98
; %bb.92:
	s_add_u32 s42, s26, -1
	v_lshl_add_u64 v[34:35], v[34:35], 0, 4
	v_lshl_add_u64 v[36:37], v[32:33], 0, 4
	s_addc_u32 s43, s27, -1
	s_mov_b64 s[44:45], 0
	s_mov_b64 s[48:49], 0
                                        ; implicit-def: $sgpr46_sgpr47
	s_branch .LBB993_95
.LBB993_93:                             ;   in Loop: Header=BB993_95 Depth=1
	global_load_dword v38, v[36:37], off
	global_load_dword v39, v[34:35], off
	s_add_u32 s48, s48, 1
	s_addc_u32 s49, s49, 0
	s_andn2_b64 s[46:47], s[46:47], exec
	v_lshl_add_u64 v[34:35], v[34:35], 0, 4
	v_lshl_add_u64 v[36:37], v[36:37], 0, 4
	s_waitcnt vmcnt(0)
	v_cmp_neq_f32_e32 vcc, v38, v39
	s_and_b64 s[50:51], vcc, exec
	s_or_b64 s[46:47], s[46:47], s[50:51]
.LBB993_94:                             ;   in Loop: Header=BB993_95 Depth=1
	s_and_b64 s[50:51], exec, s[46:47]
	s_or_b64 s[44:45], s[50:51], s[44:45]
	v_mov_b64_e32 v[38:39], s[48:49]
	s_andn2_b64 exec, exec, s[44:45]
	s_cbranch_execz .LBB993_97
.LBB993_95:                             ; =>This Inner Loop Header: Depth=1
	s_or_b64 s[46:47], s[46:47], exec
	s_cmp_eq_u64 s[42:43], s[48:49]
	s_cbranch_scc0 .LBB993_93
; %bb.96:                               ;   in Loop: Header=BB993_95 Depth=1
                                        ; implicit-def: $vgpr34_vgpr35
                                        ; implicit-def: $vgpr36_vgpr37
	s_mov_b64 s[48:49], s[26:27]
	s_branch .LBB993_94
.LBB993_97:
	s_or_b64 exec, exec, s[44:45]
	v_cmp_gt_i64_e32 vcc, s[26:27], v[38:39]
	s_orn2_b64 s[42:43], vcc, exec
.LBB993_98:
	s_or_b64 exec, exec, s[40:41]
.LBB993_99:
	s_waitcnt vmcnt(0)
	v_mov_b64_e32 v[34:35], v[30:31]
	s_waitcnt lgkmcnt(0)
	s_barrier
	s_and_saveexec_b64 s[40:41], s[2:3]
	s_cbranch_execz .LBB993_101
; %bb.100:
	v_add_u32_e32 v34, -8, v47
	ds_read_b64 v[34:35], v34
.LBB993_101:
	s_or_b64 exec, exec, s[40:41]
	v_cndmask_b32_e64 v37, 0, 1, s[16:17]
	v_cndmask_b32_e64 v36, 0, 1, s[14:15]
	;; [unrolled: 1-line block ×3, first 2 shown]
	v_lshlrev_b16_e32 v37, 8, v37
	v_lshlrev_b16_e32 v38, 8, v38
	v_or_b32_sdwa v50, v36, v37 dst_sel:WORD_1 dst_unused:UNUSED_PAD src0_sel:DWORD src1_sel:DWORD
	s_mov_b64 s[16:17], 0
	s_and_b64 vcc, exec, s[4:5]
	s_mov_b64 s[14:15], 0
	s_cbranch_vccnz .LBB993_110
; %bb.102:
	s_waitcnt lgkmcnt(0)
	v_mul_lo_u32 v36, v35, s26
	v_mul_lo_u32 v37, v34, s27
	v_mad_u64_u32 v[34:35], s[14:15], v34, s26, 0
	v_add3_u32 v35, v35, v37, v36
	v_lshl_add_u64 v[34:35], v[34:35], 2, s[36:37]
	global_load_dword v36, v[34:35], off
	global_load_dword v37, v[32:33], off
	s_mov_b64 s[14:15], -1
	s_waitcnt vmcnt(0)
	v_cmp_eq_f32_e32 vcc, v36, v37
	s_and_saveexec_b64 s[40:41], vcc
	s_cbranch_execz .LBB993_109
; %bb.103:
	s_add_u32 s14, s26, -1
	v_lshl_add_u64 v[32:33], v[32:33], 0, 4
	v_lshl_add_u64 v[34:35], v[34:35], 0, 4
	s_addc_u32 s15, s27, -1
	s_mov_b64 s[42:43], 0
	s_mov_b64 s[46:47], 0
                                        ; implicit-def: $sgpr44_sgpr45
	s_branch .LBB993_106
.LBB993_104:                            ;   in Loop: Header=BB993_106 Depth=1
	global_load_dword v36, v[34:35], off
	global_load_dword v37, v[32:33], off
	s_add_u32 s46, s46, 1
	s_addc_u32 s47, s47, 0
	s_andn2_b64 s[44:45], s[44:45], exec
	v_lshl_add_u64 v[32:33], v[32:33], 0, 4
	v_lshl_add_u64 v[34:35], v[34:35], 0, 4
	s_waitcnt vmcnt(0)
	v_cmp_neq_f32_e32 vcc, v36, v37
	s_and_b64 s[48:49], vcc, exec
	s_or_b64 s[44:45], s[44:45], s[48:49]
.LBB993_105:                            ;   in Loop: Header=BB993_106 Depth=1
	s_and_b64 s[48:49], exec, s[44:45]
	s_or_b64 s[42:43], s[48:49], s[42:43]
	v_mov_b64_e32 v[36:37], s[46:47]
	s_andn2_b64 exec, exec, s[42:43]
	s_cbranch_execz .LBB993_108
.LBB993_106:                            ; =>This Inner Loop Header: Depth=1
	s_or_b64 s[44:45], s[44:45], exec
	s_cmp_eq_u64 s[14:15], s[46:47]
	s_cbranch_scc0 .LBB993_104
; %bb.107:                              ;   in Loop: Header=BB993_106 Depth=1
                                        ; implicit-def: $vgpr32_vgpr33
                                        ; implicit-def: $vgpr34_vgpr35
	s_mov_b64 s[46:47], s[26:27]
	s_branch .LBB993_105
.LBB993_108:
	s_or_b64 exec, exec, s[42:43]
	v_cmp_gt_i64_e32 vcc, s[26:27], v[36:37]
	s_orn2_b64 s[14:15], vcc, exec
.LBB993_109:
	s_or_b64 exec, exec, s[40:41]
.LBB993_110:
	v_cndmask_b32_e64 v39, 0, 1, s[10:11]
	v_cndmask_b32_e64 v48, 0, 1, s[12:13]
	;; [unrolled: 1-line block ×3, first 2 shown]
	s_waitcnt lgkmcnt(0)
	v_or_b32_e32 v34, v38, v50
	s_and_b64 vcc, exec, s[16:17]
	s_cbranch_vccz .LBB993_191
.LBB993_111:
	v_cmp_gt_u32_e32 vcc, s54, v42
	s_mov_b64 s[10:11], 0
	s_mov_b64 s[6:7], 0
	s_and_saveexec_b64 s[12:13], vcc
	s_cbranch_execz .LBB993_122
; %bb.112:
	s_and_b64 vcc, exec, s[4:5]
	s_mov_b64 s[14:15], 0
	s_cbranch_vccnz .LBB993_121
; %bb.113:
	v_mul_lo_u32 v34, v17, s26
	v_mul_lo_u32 v35, v16, s27
	v_mad_u64_u32 v[32:33], s[6:7], v16, s26, 0
	v_add3_u32 v33, v33, v35, v34
	v_mul_lo_u32 v34, v29, s26
	v_mul_lo_u32 v35, v28, s27
	v_mad_u64_u32 v[36:37], s[6:7], v28, s26, 0
	v_add3_u32 v37, v37, v35, v34
	v_lshl_add_u64 v[34:35], v[32:33], 2, s[36:37]
	v_lshl_add_u64 v[32:33], v[36:37], 2, s[36:37]
	global_load_dword v36, v[34:35], off
	global_load_dword v37, v[32:33], off
	s_mov_b64 s[14:15], -1
	s_waitcnt vmcnt(0)
	v_cmp_eq_f32_e32 vcc, v36, v37
	s_and_saveexec_b64 s[6:7], vcc
	s_cbranch_execz .LBB993_120
; %bb.114:
	s_add_u32 s14, s26, -1
	v_lshl_add_u64 v[32:33], v[32:33], 0, 4
	v_lshl_add_u64 v[34:35], v[34:35], 0, 4
	s_addc_u32 s15, s27, -1
	s_mov_b64 s[16:17], 0
	s_mov_b64 s[42:43], 0
                                        ; implicit-def: $sgpr40_sgpr41
	s_branch .LBB993_117
.LBB993_115:                            ;   in Loop: Header=BB993_117 Depth=1
	global_load_dword v36, v[34:35], off
	global_load_dword v37, v[32:33], off
	s_add_u32 s42, s42, 1
	s_addc_u32 s43, s43, 0
	s_andn2_b64 s[40:41], s[40:41], exec
	v_lshl_add_u64 v[32:33], v[32:33], 0, 4
	v_lshl_add_u64 v[34:35], v[34:35], 0, 4
	s_waitcnt vmcnt(0)
	v_cmp_neq_f32_e32 vcc, v36, v37
	s_and_b64 s[44:45], vcc, exec
	s_or_b64 s[40:41], s[40:41], s[44:45]
.LBB993_116:                            ;   in Loop: Header=BB993_117 Depth=1
	s_and_b64 s[44:45], exec, s[40:41]
	s_or_b64 s[16:17], s[44:45], s[16:17]
	v_mov_b64_e32 v[36:37], s[42:43]
	s_andn2_b64 exec, exec, s[16:17]
	s_cbranch_execz .LBB993_119
.LBB993_117:                            ; =>This Inner Loop Header: Depth=1
	s_or_b64 s[40:41], s[40:41], exec
	s_cmp_eq_u64 s[14:15], s[42:43]
	s_cbranch_scc0 .LBB993_115
; %bb.118:                              ;   in Loop: Header=BB993_117 Depth=1
                                        ; implicit-def: $vgpr32_vgpr33
                                        ; implicit-def: $vgpr34_vgpr35
	s_mov_b64 s[42:43], s[26:27]
	s_branch .LBB993_116
.LBB993_119:
	s_or_b64 exec, exec, s[16:17]
	v_cmp_gt_i64_e32 vcc, s[26:27], v[36:37]
	s_orn2_b64 s[14:15], vcc, exec
.LBB993_120:
	s_or_b64 exec, exec, s[6:7]
.LBB993_121:
	s_and_b64 s[6:7], s[14:15], exec
.LBB993_122:
	s_or_b64 exec, exec, s[12:13]
	v_cmp_gt_u32_e32 vcc, s54, v45
	s_and_saveexec_b64 s[12:13], vcc
	s_cbranch_execz .LBB993_133
; %bb.123:
	s_and_b64 vcc, exec, s[4:5]
	s_mov_b64 s[14:15], 0
	s_cbranch_vccnz .LBB993_132
; %bb.124:
	v_mul_lo_u32 v34, v15, s26
	v_mul_lo_u32 v35, v14, s27
	v_mad_u64_u32 v[32:33], s[10:11], v14, s26, 0
	v_add3_u32 v33, v33, v35, v34
	v_mul_lo_u32 v34, v17, s26
	v_mul_lo_u32 v35, v16, s27
	v_mad_u64_u32 v[36:37], s[10:11], v16, s26, 0
	v_add3_u32 v37, v37, v35, v34
	v_lshl_add_u64 v[34:35], v[32:33], 2, s[36:37]
	v_lshl_add_u64 v[32:33], v[36:37], 2, s[36:37]
	global_load_dword v36, v[34:35], off
	global_load_dword v37, v[32:33], off
	s_mov_b64 s[14:15], -1
	s_waitcnt vmcnt(0)
	v_cmp_eq_f32_e32 vcc, v36, v37
	s_and_saveexec_b64 s[10:11], vcc
	s_cbranch_execz .LBB993_131
; %bb.125:
	s_add_u32 s14, s26, -1
	v_lshl_add_u64 v[32:33], v[32:33], 0, 4
	v_lshl_add_u64 v[34:35], v[34:35], 0, 4
	s_addc_u32 s15, s27, -1
	s_mov_b64 s[16:17], 0
	s_mov_b64 s[42:43], 0
                                        ; implicit-def: $sgpr40_sgpr41
	s_branch .LBB993_128
.LBB993_126:                            ;   in Loop: Header=BB993_128 Depth=1
	global_load_dword v36, v[34:35], off
	global_load_dword v37, v[32:33], off
	s_add_u32 s42, s42, 1
	s_addc_u32 s43, s43, 0
	s_andn2_b64 s[40:41], s[40:41], exec
	v_lshl_add_u64 v[32:33], v[32:33], 0, 4
	v_lshl_add_u64 v[34:35], v[34:35], 0, 4
	s_waitcnt vmcnt(0)
	v_cmp_neq_f32_e32 vcc, v36, v37
	s_and_b64 s[44:45], vcc, exec
	s_or_b64 s[40:41], s[40:41], s[44:45]
.LBB993_127:                            ;   in Loop: Header=BB993_128 Depth=1
	s_and_b64 s[44:45], exec, s[40:41]
	s_or_b64 s[16:17], s[44:45], s[16:17]
	v_mov_b64_e32 v[36:37], s[42:43]
	s_andn2_b64 exec, exec, s[16:17]
	s_cbranch_execz .LBB993_130
.LBB993_128:                            ; =>This Inner Loop Header: Depth=1
	s_or_b64 s[40:41], s[40:41], exec
	s_cmp_eq_u64 s[14:15], s[42:43]
	s_cbranch_scc0 .LBB993_126
; %bb.129:                              ;   in Loop: Header=BB993_128 Depth=1
                                        ; implicit-def: $vgpr32_vgpr33
                                        ; implicit-def: $vgpr34_vgpr35
	s_mov_b64 s[42:43], s[26:27]
	s_branch .LBB993_127
.LBB993_130:
	s_or_b64 exec, exec, s[16:17]
	v_cmp_gt_i64_e32 vcc, s[26:27], v[36:37]
	s_orn2_b64 s[14:15], vcc, exec
.LBB993_131:
	s_or_b64 exec, exec, s[10:11]
.LBB993_132:
	s_and_b64 s[10:11], s[14:15], exec
.LBB993_133:
	s_or_b64 exec, exec, s[12:13]
	v_cmp_gt_u32_e32 vcc, s54, v41
	s_mov_b64 s[14:15], 0
	s_mov_b64 s[12:13], 0
	s_and_saveexec_b64 s[16:17], vcc
	s_cbranch_execz .LBB993_144
; %bb.134:
	s_and_b64 vcc, exec, s[4:5]
	s_mov_b64 s[40:41], 0
	s_cbranch_vccnz .LBB993_143
; %bb.135:
	v_mul_lo_u32 v34, v21, s26
	v_mul_lo_u32 v35, v20, s27
	v_mad_u64_u32 v[32:33], s[12:13], v20, s26, 0
	v_add3_u32 v33, v33, v35, v34
	v_mul_lo_u32 v34, v15, s26
	v_mul_lo_u32 v35, v14, s27
	v_mad_u64_u32 v[36:37], s[12:13], v14, s26, 0
	v_add3_u32 v37, v37, v35, v34
	v_lshl_add_u64 v[34:35], v[32:33], 2, s[36:37]
	v_lshl_add_u64 v[32:33], v[36:37], 2, s[36:37]
	global_load_dword v36, v[34:35], off
	global_load_dword v37, v[32:33], off
	s_mov_b64 s[40:41], -1
	s_waitcnt vmcnt(0)
	v_cmp_eq_f32_e32 vcc, v36, v37
	s_and_saveexec_b64 s[12:13], vcc
	s_cbranch_execz .LBB993_142
; %bb.136:
	s_add_u32 s40, s26, -1
	v_lshl_add_u64 v[32:33], v[32:33], 0, 4
	v_lshl_add_u64 v[34:35], v[34:35], 0, 4
	s_addc_u32 s41, s27, -1
	s_mov_b64 s[42:43], 0
	s_mov_b64 s[46:47], 0
                                        ; implicit-def: $sgpr44_sgpr45
	s_branch .LBB993_139
.LBB993_137:                            ;   in Loop: Header=BB993_139 Depth=1
	global_load_dword v36, v[34:35], off
	global_load_dword v37, v[32:33], off
	s_add_u32 s46, s46, 1
	s_addc_u32 s47, s47, 0
	s_andn2_b64 s[44:45], s[44:45], exec
	v_lshl_add_u64 v[32:33], v[32:33], 0, 4
	v_lshl_add_u64 v[34:35], v[34:35], 0, 4
	s_waitcnt vmcnt(0)
	v_cmp_neq_f32_e32 vcc, v36, v37
	s_and_b64 s[48:49], vcc, exec
	s_or_b64 s[44:45], s[44:45], s[48:49]
.LBB993_138:                            ;   in Loop: Header=BB993_139 Depth=1
	s_and_b64 s[48:49], exec, s[44:45]
	s_or_b64 s[42:43], s[48:49], s[42:43]
	v_mov_b64_e32 v[36:37], s[46:47]
	s_andn2_b64 exec, exec, s[42:43]
	s_cbranch_execz .LBB993_141
.LBB993_139:                            ; =>This Inner Loop Header: Depth=1
	s_or_b64 s[44:45], s[44:45], exec
	s_cmp_eq_u64 s[40:41], s[46:47]
	s_cbranch_scc0 .LBB993_137
; %bb.140:                              ;   in Loop: Header=BB993_139 Depth=1
                                        ; implicit-def: $vgpr32_vgpr33
                                        ; implicit-def: $vgpr34_vgpr35
	s_mov_b64 s[46:47], s[26:27]
	s_branch .LBB993_138
.LBB993_141:
	s_or_b64 exec, exec, s[42:43]
	v_cmp_gt_i64_e32 vcc, s[26:27], v[36:37]
	s_orn2_b64 s[40:41], vcc, exec
.LBB993_142:
	s_or_b64 exec, exec, s[12:13]
.LBB993_143:
	s_and_b64 s[12:13], s[40:41], exec
.LBB993_144:
	s_or_b64 exec, exec, s[16:17]
	v_cmp_gt_u32_e32 vcc, s54, v44
	s_and_saveexec_b64 s[16:17], vcc
	s_cbranch_execz .LBB993_155
; %bb.145:
	s_and_b64 vcc, exec, s[4:5]
	s_mov_b64 s[40:41], 0
	s_cbranch_vccnz .LBB993_154
; %bb.146:
	v_mul_lo_u32 v34, v19, s26
	v_mul_lo_u32 v35, v18, s27
	v_mad_u64_u32 v[32:33], s[14:15], v18, s26, 0
	v_add3_u32 v33, v33, v35, v34
	v_mul_lo_u32 v34, v21, s26
	v_mul_lo_u32 v35, v20, s27
	v_mad_u64_u32 v[36:37], s[14:15], v20, s26, 0
	v_add3_u32 v37, v37, v35, v34
	v_lshl_add_u64 v[34:35], v[32:33], 2, s[36:37]
	v_lshl_add_u64 v[32:33], v[36:37], 2, s[36:37]
	global_load_dword v36, v[34:35], off
	global_load_dword v37, v[32:33], off
	s_mov_b64 s[40:41], -1
	s_waitcnt vmcnt(0)
	v_cmp_eq_f32_e32 vcc, v36, v37
	s_and_saveexec_b64 s[14:15], vcc
	s_cbranch_execz .LBB993_153
; %bb.147:
	s_add_u32 s40, s26, -1
	v_lshl_add_u64 v[32:33], v[32:33], 0, 4
	v_lshl_add_u64 v[34:35], v[34:35], 0, 4
	s_addc_u32 s41, s27, -1
	s_mov_b64 s[42:43], 0
	s_mov_b64 s[46:47], 0
                                        ; implicit-def: $sgpr44_sgpr45
	s_branch .LBB993_150
.LBB993_148:                            ;   in Loop: Header=BB993_150 Depth=1
	global_load_dword v36, v[34:35], off
	global_load_dword v37, v[32:33], off
	s_add_u32 s46, s46, 1
	s_addc_u32 s47, s47, 0
	s_andn2_b64 s[44:45], s[44:45], exec
	v_lshl_add_u64 v[32:33], v[32:33], 0, 4
	v_lshl_add_u64 v[34:35], v[34:35], 0, 4
	s_waitcnt vmcnt(0)
	v_cmp_neq_f32_e32 vcc, v36, v37
	s_and_b64 s[48:49], vcc, exec
	s_or_b64 s[44:45], s[44:45], s[48:49]
.LBB993_149:                            ;   in Loop: Header=BB993_150 Depth=1
	s_and_b64 s[48:49], exec, s[44:45]
	s_or_b64 s[42:43], s[48:49], s[42:43]
	v_mov_b64_e32 v[36:37], s[46:47]
	s_andn2_b64 exec, exec, s[42:43]
	s_cbranch_execz .LBB993_152
.LBB993_150:                            ; =>This Inner Loop Header: Depth=1
	s_or_b64 s[44:45], s[44:45], exec
	s_cmp_eq_u64 s[40:41], s[46:47]
	s_cbranch_scc0 .LBB993_148
; %bb.151:                              ;   in Loop: Header=BB993_150 Depth=1
                                        ; implicit-def: $vgpr32_vgpr33
                                        ; implicit-def: $vgpr34_vgpr35
	s_mov_b64 s[46:47], s[26:27]
	s_branch .LBB993_149
.LBB993_152:
	s_or_b64 exec, exec, s[42:43]
	v_cmp_gt_i64_e32 vcc, s[26:27], v[36:37]
	s_orn2_b64 s[40:41], vcc, exec
.LBB993_153:
	s_or_b64 exec, exec, s[14:15]
.LBB993_154:
	s_and_b64 s[14:15], s[40:41], exec
.LBB993_155:
	s_or_b64 exec, exec, s[16:17]
	v_cmp_gt_u32_e32 vcc, s54, v40
	s_mov_b64 s[16:17], 0
	s_mov_b64 s[40:41], 0
	s_and_saveexec_b64 s[42:43], vcc
	s_cbranch_execz .LBB993_166
; %bb.156:
	s_and_b64 vcc, exec, s[4:5]
	s_mov_b64 s[44:45], 0
	s_cbranch_vccnz .LBB993_165
; %bb.157:
	v_mul_lo_u32 v34, v25, s26
	v_mul_lo_u32 v35, v24, s27
	v_mad_u64_u32 v[32:33], s[40:41], v24, s26, 0
	v_add3_u32 v33, v33, v35, v34
	v_mul_lo_u32 v34, v19, s26
	v_mul_lo_u32 v35, v18, s27
	v_mad_u64_u32 v[36:37], s[40:41], v18, s26, 0
	v_add3_u32 v37, v37, v35, v34
	v_lshl_add_u64 v[34:35], v[32:33], 2, s[36:37]
	v_lshl_add_u64 v[32:33], v[36:37], 2, s[36:37]
	global_load_dword v36, v[34:35], off
	global_load_dword v37, v[32:33], off
	s_mov_b64 s[44:45], -1
	s_waitcnt vmcnt(0)
	v_cmp_eq_f32_e32 vcc, v36, v37
	s_and_saveexec_b64 s[40:41], vcc
	s_cbranch_execz .LBB993_164
; %bb.158:
	s_add_u32 s44, s26, -1
	v_lshl_add_u64 v[32:33], v[32:33], 0, 4
	v_lshl_add_u64 v[34:35], v[34:35], 0, 4
	s_addc_u32 s45, s27, -1
	s_mov_b64 s[46:47], 0
	s_mov_b64 s[50:51], 0
                                        ; implicit-def: $sgpr48_sgpr49
	s_branch .LBB993_161
.LBB993_159:                            ;   in Loop: Header=BB993_161 Depth=1
	global_load_dword v36, v[34:35], off
	global_load_dword v37, v[32:33], off
	s_add_u32 s50, s50, 1
	s_addc_u32 s51, s51, 0
	s_andn2_b64 s[48:49], s[48:49], exec
	v_lshl_add_u64 v[32:33], v[32:33], 0, 4
	v_lshl_add_u64 v[34:35], v[34:35], 0, 4
	s_waitcnt vmcnt(0)
	v_cmp_neq_f32_e32 vcc, v36, v37
	s_and_b64 s[52:53], vcc, exec
	s_or_b64 s[48:49], s[48:49], s[52:53]
.LBB993_160:                            ;   in Loop: Header=BB993_161 Depth=1
	s_and_b64 s[52:53], exec, s[48:49]
	s_or_b64 s[46:47], s[52:53], s[46:47]
	v_mov_b64_e32 v[36:37], s[50:51]
	s_andn2_b64 exec, exec, s[46:47]
	s_cbranch_execz .LBB993_163
.LBB993_161:                            ; =>This Inner Loop Header: Depth=1
	s_or_b64 s[48:49], s[48:49], exec
	s_cmp_eq_u64 s[44:45], s[50:51]
	s_cbranch_scc0 .LBB993_159
; %bb.162:                              ;   in Loop: Header=BB993_161 Depth=1
                                        ; implicit-def: $vgpr32_vgpr33
                                        ; implicit-def: $vgpr34_vgpr35
	s_mov_b64 s[50:51], s[26:27]
	s_branch .LBB993_160
.LBB993_163:
	s_or_b64 exec, exec, s[46:47]
	v_cmp_gt_i64_e32 vcc, s[26:27], v[36:37]
	s_orn2_b64 s[44:45], vcc, exec
.LBB993_164:
	s_or_b64 exec, exec, s[40:41]
.LBB993_165:
	s_and_b64 s[40:41], s[44:45], exec
.LBB993_166:
	s_or_b64 exec, exec, s[42:43]
	v_cmp_gt_u32_e32 vcc, s54, v43
	s_and_saveexec_b64 s[42:43], vcc
	s_cbranch_execz .LBB993_177
; %bb.167:
	s_and_b64 vcc, exec, s[4:5]
	s_mov_b64 s[44:45], 0
	s_cbranch_vccnz .LBB993_176
; %bb.168:
	v_mul_lo_u32 v34, v23, s26
	v_mul_lo_u32 v35, v22, s27
	v_mad_u64_u32 v[32:33], s[16:17], v22, s26, 0
	v_add3_u32 v33, v33, v35, v34
	v_mul_lo_u32 v34, v25, s26
	v_mul_lo_u32 v35, v24, s27
	v_mad_u64_u32 v[36:37], s[16:17], v24, s26, 0
	v_add3_u32 v37, v37, v35, v34
	v_lshl_add_u64 v[34:35], v[32:33], 2, s[36:37]
	v_lshl_add_u64 v[32:33], v[36:37], 2, s[36:37]
	global_load_dword v36, v[34:35], off
	global_load_dword v37, v[32:33], off
	s_mov_b64 s[44:45], -1
	s_waitcnt vmcnt(0)
	v_cmp_eq_f32_e32 vcc, v36, v37
	s_and_saveexec_b64 s[16:17], vcc
	s_cbranch_execz .LBB993_175
; %bb.169:
	s_add_u32 s44, s26, -1
	v_lshl_add_u64 v[32:33], v[32:33], 0, 4
	v_lshl_add_u64 v[34:35], v[34:35], 0, 4
	s_addc_u32 s45, s27, -1
	s_mov_b64 s[46:47], 0
	s_mov_b64 s[50:51], 0
                                        ; implicit-def: $sgpr48_sgpr49
	s_branch .LBB993_172
.LBB993_170:                            ;   in Loop: Header=BB993_172 Depth=1
	global_load_dword v36, v[34:35], off
	global_load_dword v37, v[32:33], off
	s_add_u32 s50, s50, 1
	s_addc_u32 s51, s51, 0
	s_andn2_b64 s[48:49], s[48:49], exec
	v_lshl_add_u64 v[32:33], v[32:33], 0, 4
	v_lshl_add_u64 v[34:35], v[34:35], 0, 4
	s_waitcnt vmcnt(0)
	v_cmp_neq_f32_e32 vcc, v36, v37
	s_and_b64 s[52:53], vcc, exec
	s_or_b64 s[48:49], s[48:49], s[52:53]
.LBB993_171:                            ;   in Loop: Header=BB993_172 Depth=1
	s_and_b64 s[52:53], exec, s[48:49]
	s_or_b64 s[46:47], s[52:53], s[46:47]
	v_mov_b64_e32 v[36:37], s[50:51]
	s_andn2_b64 exec, exec, s[46:47]
	s_cbranch_execz .LBB993_174
.LBB993_172:                            ; =>This Inner Loop Header: Depth=1
	s_or_b64 s[48:49], s[48:49], exec
	s_cmp_eq_u64 s[44:45], s[50:51]
	s_cbranch_scc0 .LBB993_170
; %bb.173:                              ;   in Loop: Header=BB993_172 Depth=1
                                        ; implicit-def: $vgpr32_vgpr33
                                        ; implicit-def: $vgpr34_vgpr35
	s_mov_b64 s[50:51], s[26:27]
	s_branch .LBB993_171
.LBB993_174:
	s_or_b64 exec, exec, s[46:47]
	v_cmp_gt_i64_e32 vcc, s[26:27], v[36:37]
	s_orn2_b64 s[44:45], vcc, exec
.LBB993_175:
	s_or_b64 exec, exec, s[16:17]
.LBB993_176:
	s_and_b64 s[16:17], s[44:45], exec
.LBB993_177:
	s_or_b64 exec, exec, s[42:43]
	s_waitcnt lgkmcnt(0)
	s_barrier
	s_and_saveexec_b64 s[42:43], s[2:3]
	s_cbranch_execz .LBB993_179
; %bb.178:
	s_waitcnt vmcnt(0)
	v_add_u32_e32 v30, -8, v47
	ds_read_b64 v[30:31], v30
.LBB993_179:
	s_or_b64 exec, exec, s[42:43]
	v_cndmask_b32_e64 v33, 0, 1, s[14:15]
	v_cndmask_b32_e64 v32, 0, 1, s[40:41]
	;; [unrolled: 1-line block ×3, first 2 shown]
	v_lshlrev_b16_e32 v33, 8, v33
	v_cmp_gt_u32_e32 vcc, s54, v1
	v_lshlrev_b16_e32 v36, 8, v34
	v_or_b32_sdwa v37, v32, v33 dst_sel:WORD_1 dst_unused:UNUSED_PAD src0_sel:DWORD src1_sel:DWORD
	s_mov_b64 s[14:15], 0
	s_and_saveexec_b64 s[16:17], vcc
	s_cbranch_execz .LBB993_190
; %bb.180:
	s_and_b64 vcc, exec, s[4:5]
	s_cbranch_vccnz .LBB993_189
; %bb.181:
	s_waitcnt vmcnt(0) lgkmcnt(0)
	v_mul_lo_u32 v32, v31, s26
	v_mul_lo_u32 v33, v30, s27
	v_mad_u64_u32 v[30:31], s[4:5], v30, s26, 0
	v_add3_u32 v31, v31, v33, v32
	v_mul_lo_u32 v32, v23, s26
	v_mul_lo_u32 v33, v22, s27
	v_mad_u64_u32 v[34:35], s[4:5], v22, s26, 0
	v_add3_u32 v35, v35, v33, v32
	v_lshl_add_u64 v[32:33], v[30:31], 2, s[36:37]
	v_lshl_add_u64 v[30:31], v[34:35], 2, s[36:37]
	global_load_dword v34, v[32:33], off
	global_load_dword v35, v[30:31], off
	s_mov_b64 s[14:15], -1
	s_waitcnt vmcnt(0)
	v_cmp_eq_f32_e32 vcc, v34, v35
	s_and_saveexec_b64 s[4:5], vcc
	s_cbranch_execz .LBB993_188
; %bb.182:
	s_add_u32 s14, s26, -1
	v_lshl_add_u64 v[30:31], v[30:31], 0, 4
	v_lshl_add_u64 v[32:33], v[32:33], 0, 4
	s_addc_u32 s15, s27, -1
	s_mov_b64 s[40:41], 0
	s_mov_b64 s[44:45], 0
                                        ; implicit-def: $sgpr42_sgpr43
	s_branch .LBB993_185
.LBB993_183:                            ;   in Loop: Header=BB993_185 Depth=1
	global_load_dword v34, v[32:33], off
	global_load_dword v35, v[30:31], off
	s_add_u32 s44, s44, 1
	s_addc_u32 s45, s45, 0
	s_andn2_b64 s[42:43], s[42:43], exec
	v_lshl_add_u64 v[30:31], v[30:31], 0, 4
	v_lshl_add_u64 v[32:33], v[32:33], 0, 4
	s_waitcnt vmcnt(0)
	v_cmp_neq_f32_e32 vcc, v34, v35
	s_and_b64 s[46:47], vcc, exec
	s_or_b64 s[42:43], s[42:43], s[46:47]
.LBB993_184:                            ;   in Loop: Header=BB993_185 Depth=1
	s_and_b64 s[46:47], exec, s[42:43]
	s_or_b64 s[40:41], s[46:47], s[40:41]
	v_mov_b64_e32 v[34:35], s[44:45]
	s_andn2_b64 exec, exec, s[40:41]
	s_cbranch_execz .LBB993_187
.LBB993_185:                            ; =>This Inner Loop Header: Depth=1
	s_or_b64 s[42:43], s[42:43], exec
	s_cmp_eq_u64 s[14:15], s[44:45]
	s_cbranch_scc0 .LBB993_183
; %bb.186:                              ;   in Loop: Header=BB993_185 Depth=1
                                        ; implicit-def: $vgpr30_vgpr31
                                        ; implicit-def: $vgpr32_vgpr33
	s_mov_b64 s[44:45], s[26:27]
	s_branch .LBB993_184
.LBB993_187:
	s_or_b64 exec, exec, s[40:41]
	v_cmp_gt_i64_e32 vcc, s[26:27], v[34:35]
	s_orn2_b64 s[14:15], vcc, exec
.LBB993_188:
	s_or_b64 exec, exec, s[4:5]
.LBB993_189:
	s_and_b64 s[14:15], s[14:15], exec
.LBB993_190:
	s_or_b64 exec, exec, s[16:17]
	v_cndmask_b32_e64 v39, 0, 1, s[12:13]
	v_cndmask_b32_e64 v48, 0, 1, s[10:11]
	;; [unrolled: 1-line block ×3, first 2 shown]
	v_or_b32_e32 v34, v36, v37
.LBB993_191:
	s_mov_b64 s[10:11], -1
	s_cbranch_execnz .LBB993_50
.LBB993_192:
	s_movk_i32 s4, 0xffd0
	v_mad_i32_i24 v38, v0, s4, v46
	s_mov_b64 s[12:13], 0
	v_cmp_gt_i64_e64 s[6:7], s[26:27], 0
	s_and_b64 vcc, exec, s[34:35]
	ds_write_b64 v38, v[28:29]
	s_cbranch_vccz .LBB993_200
; %bb.193:
	v_mul_lo_u32 v32, v17, s26
	v_mul_lo_u32 v33, v16, s27
	s_waitcnt vmcnt(0) lgkmcnt(1)
	v_mad_u64_u32 v[30:31], s[4:5], v16, s26, 0
	v_add3_u32 v31, v31, v33, v32
	v_cndmask_b32_e64 v32, 0, 1, s[6:7]
	v_cmp_ne_u32_e64 s[4:5], 1, v32
	s_andn2_b64 vcc, exec, s[6:7]
	v_lshl_add_u64 v[30:31], v[30:31], 2, s[36:37]
	s_cbranch_vccnz .LBB993_203
; %bb.194:
	v_mul_lo_u32 v34, v29, s26
	v_mul_lo_u32 v35, v28, s27
	v_mad_u64_u32 v[32:33], s[12:13], v28, s26, 0
	v_add3_u32 v33, v33, v35, v34
	v_lshl_add_u64 v[32:33], v[32:33], 2, s[36:37]
	global_load_dword v34, v[30:31], off
	global_load_dword v35, v[32:33], off
	s_mov_b64 s[12:13], -1
	s_waitcnt vmcnt(0)
	v_cmp_eq_f32_e32 vcc, v34, v35
	s_and_saveexec_b64 s[14:15], vcc
	s_cbranch_execz .LBB993_202
; %bb.195:
	s_add_u32 s12, s26, -1
	v_lshl_add_u64 v[32:33], v[32:33], 0, 4
	v_lshl_add_u64 v[34:35], v[30:31], 0, 4
	s_addc_u32 s13, s27, -1
	s_mov_b64 s[16:17], 0
	s_mov_b64 s[42:43], 0
                                        ; implicit-def: $sgpr40_sgpr41
	s_branch .LBB993_198
.LBB993_196:                            ;   in Loop: Header=BB993_198 Depth=1
	global_load_dword v36, v[34:35], off
	global_load_dword v37, v[32:33], off
	s_add_u32 s42, s42, 1
	s_addc_u32 s43, s43, 0
	s_andn2_b64 s[40:41], s[40:41], exec
	v_lshl_add_u64 v[32:33], v[32:33], 0, 4
	v_lshl_add_u64 v[34:35], v[34:35], 0, 4
	s_waitcnt vmcnt(0)
	v_cmp_neq_f32_e32 vcc, v36, v37
	s_and_b64 s[44:45], vcc, exec
	s_or_b64 s[40:41], s[40:41], s[44:45]
.LBB993_197:                            ;   in Loop: Header=BB993_198 Depth=1
	s_and_b64 s[44:45], exec, s[40:41]
	s_or_b64 s[16:17], s[44:45], s[16:17]
	v_mov_b64_e32 v[36:37], s[42:43]
	s_andn2_b64 exec, exec, s[16:17]
	s_cbranch_execz .LBB993_201
.LBB993_198:                            ; =>This Inner Loop Header: Depth=1
	s_or_b64 s[40:41], s[40:41], exec
	s_cmp_eq_u64 s[12:13], s[42:43]
	s_cbranch_scc0 .LBB993_196
; %bb.199:                              ;   in Loop: Header=BB993_198 Depth=1
                                        ; implicit-def: $vgpr32_vgpr33
                                        ; implicit-def: $vgpr34_vgpr35
	s_mov_b64 s[42:43], s[26:27]
	s_branch .LBB993_197
.LBB993_200:
                                        ; implicit-def: $sgpr14_sgpr15
                                        ; implicit-def: $vgpr49
                                        ; implicit-def: $vgpr48
                                        ; implicit-def: $vgpr39
                                        ; implicit-def: $vgpr34
                                        ; implicit-def: $vgpr30_vgpr31
	s_cbranch_execnz .LBB993_260
	s_branch .LBB993_340
.LBB993_201:
	s_or_b64 exec, exec, s[16:17]
	v_cmp_gt_i64_e32 vcc, s[26:27], v[36:37]
	s_orn2_b64 s[12:13], vcc, exec
.LBB993_202:
	s_or_b64 exec, exec, s[14:15]
.LBB993_203:
	v_mul_lo_u32 v34, v15, s26
	v_mul_lo_u32 v35, v14, s27
	v_mad_u64_u32 v[32:33], s[14:15], v14, s26, 0
	v_add3_u32 v33, v33, v35, v34
	s_mov_b64 s[14:15], 0
	s_and_b64 vcc, exec, s[4:5]
	v_lshl_add_u64 v[32:33], v[32:33], 2, s[36:37]
	s_mov_b64 s[16:17], 0
	s_cbranch_vccnz .LBB993_212
; %bb.204:
	global_load_dword v34, v[32:33], off
	global_load_dword v35, v[30:31], off
	s_mov_b64 s[16:17], -1
	s_waitcnt vmcnt(0)
	v_cmp_eq_f32_e32 vcc, v34, v35
	s_and_saveexec_b64 s[40:41], vcc
	s_cbranch_execz .LBB993_211
; %bb.205:
	s_add_u32 s16, s26, -1
	v_lshl_add_u64 v[30:31], v[30:31], 0, 4
	v_lshl_add_u64 v[34:35], v[32:33], 0, 4
	s_addc_u32 s17, s27, -1
	s_mov_b64 s[42:43], 0
	s_mov_b64 s[46:47], 0
                                        ; implicit-def: $sgpr44_sgpr45
	s_branch .LBB993_208
.LBB993_206:                            ;   in Loop: Header=BB993_208 Depth=1
	global_load_dword v36, v[34:35], off
	global_load_dword v37, v[30:31], off
	s_add_u32 s46, s46, 1
	s_addc_u32 s47, s47, 0
	s_andn2_b64 s[44:45], s[44:45], exec
	v_lshl_add_u64 v[30:31], v[30:31], 0, 4
	v_lshl_add_u64 v[34:35], v[34:35], 0, 4
	s_waitcnt vmcnt(0)
	v_cmp_neq_f32_e32 vcc, v36, v37
	s_and_b64 s[48:49], vcc, exec
	s_or_b64 s[44:45], s[44:45], s[48:49]
.LBB993_207:                            ;   in Loop: Header=BB993_208 Depth=1
	s_and_b64 s[48:49], exec, s[44:45]
	s_or_b64 s[42:43], s[48:49], s[42:43]
	v_mov_b64_e32 v[36:37], s[46:47]
	s_andn2_b64 exec, exec, s[42:43]
	s_cbranch_execz .LBB993_210
.LBB993_208:                            ; =>This Inner Loop Header: Depth=1
	s_or_b64 s[44:45], s[44:45], exec
	s_cmp_eq_u64 s[16:17], s[46:47]
	s_cbranch_scc0 .LBB993_206
; %bb.209:                              ;   in Loop: Header=BB993_208 Depth=1
                                        ; implicit-def: $vgpr30_vgpr31
                                        ; implicit-def: $vgpr34_vgpr35
	s_mov_b64 s[46:47], s[26:27]
	s_branch .LBB993_207
.LBB993_210:
	s_or_b64 exec, exec, s[42:43]
	v_cmp_gt_i64_e32 vcc, s[26:27], v[36:37]
	s_orn2_b64 s[16:17], vcc, exec
.LBB993_211:
	s_or_b64 exec, exec, s[40:41]
.LBB993_212:
	v_mul_lo_u32 v34, v21, s26
	v_mul_lo_u32 v35, v20, s27
	v_mad_u64_u32 v[30:31], s[40:41], v20, s26, 0
	v_add3_u32 v31, v31, v35, v34
	s_and_b64 vcc, exec, s[4:5]
	v_lshl_add_u64 v[30:31], v[30:31], 2, s[36:37]
	s_cbranch_vccnz .LBB993_221
; %bb.213:
	global_load_dword v34, v[30:31], off
	global_load_dword v35, v[32:33], off
	s_mov_b64 s[14:15], -1
	s_waitcnt vmcnt(0)
	v_cmp_eq_f32_e32 vcc, v34, v35
	s_and_saveexec_b64 s[40:41], vcc
	s_cbranch_execz .LBB993_220
; %bb.214:
	s_add_u32 s14, s26, -1
	v_lshl_add_u64 v[32:33], v[32:33], 0, 4
	v_lshl_add_u64 v[34:35], v[30:31], 0, 4
	s_addc_u32 s15, s27, -1
	s_mov_b64 s[42:43], 0
	s_mov_b64 s[46:47], 0
                                        ; implicit-def: $sgpr44_sgpr45
	s_branch .LBB993_217
.LBB993_215:                            ;   in Loop: Header=BB993_217 Depth=1
	global_load_dword v36, v[34:35], off
	global_load_dword v37, v[32:33], off
	s_add_u32 s46, s46, 1
	s_addc_u32 s47, s47, 0
	s_andn2_b64 s[44:45], s[44:45], exec
	v_lshl_add_u64 v[32:33], v[32:33], 0, 4
	v_lshl_add_u64 v[34:35], v[34:35], 0, 4
	s_waitcnt vmcnt(0)
	v_cmp_neq_f32_e32 vcc, v36, v37
	s_and_b64 s[48:49], vcc, exec
	s_or_b64 s[44:45], s[44:45], s[48:49]
.LBB993_216:                            ;   in Loop: Header=BB993_217 Depth=1
	s_and_b64 s[48:49], exec, s[44:45]
	s_or_b64 s[42:43], s[48:49], s[42:43]
	v_mov_b64_e32 v[36:37], s[46:47]
	s_andn2_b64 exec, exec, s[42:43]
	s_cbranch_execz .LBB993_219
.LBB993_217:                            ; =>This Inner Loop Header: Depth=1
	s_or_b64 s[44:45], s[44:45], exec
	s_cmp_eq_u64 s[14:15], s[46:47]
	s_cbranch_scc0 .LBB993_215
; %bb.218:                              ;   in Loop: Header=BB993_217 Depth=1
                                        ; implicit-def: $vgpr32_vgpr33
                                        ; implicit-def: $vgpr34_vgpr35
	s_mov_b64 s[46:47], s[26:27]
	s_branch .LBB993_216
.LBB993_219:
	s_or_b64 exec, exec, s[42:43]
	v_cmp_gt_i64_e32 vcc, s[26:27], v[36:37]
	s_orn2_b64 s[14:15], vcc, exec
.LBB993_220:
	s_or_b64 exec, exec, s[40:41]
.LBB993_221:
	v_mul_lo_u32 v34, v19, s26
	v_mul_lo_u32 v35, v18, s27
	v_mad_u64_u32 v[32:33], s[40:41], v18, s26, 0
	v_add3_u32 v33, v33, v35, v34
	s_mov_b64 s[40:41], 0
	s_and_b64 vcc, exec, s[4:5]
	v_lshl_add_u64 v[32:33], v[32:33], 2, s[36:37]
	s_mov_b64 s[42:43], 0
	s_cbranch_vccnz .LBB993_230
; %bb.222:
	global_load_dword v34, v[32:33], off
	global_load_dword v35, v[30:31], off
	s_mov_b64 s[42:43], -1
	s_waitcnt vmcnt(0)
	v_cmp_eq_f32_e32 vcc, v34, v35
	s_and_saveexec_b64 s[44:45], vcc
	s_cbranch_execz .LBB993_229
; %bb.223:
	s_add_u32 s42, s26, -1
	v_lshl_add_u64 v[30:31], v[30:31], 0, 4
	v_lshl_add_u64 v[34:35], v[32:33], 0, 4
	s_addc_u32 s43, s27, -1
	s_mov_b64 s[46:47], 0
	s_mov_b64 s[50:51], 0
                                        ; implicit-def: $sgpr48_sgpr49
	s_branch .LBB993_226
.LBB993_224:                            ;   in Loop: Header=BB993_226 Depth=1
	global_load_dword v36, v[34:35], off
	global_load_dword v37, v[30:31], off
	s_add_u32 s50, s50, 1
	s_addc_u32 s51, s51, 0
	s_andn2_b64 s[48:49], s[48:49], exec
	v_lshl_add_u64 v[30:31], v[30:31], 0, 4
	v_lshl_add_u64 v[34:35], v[34:35], 0, 4
	s_waitcnt vmcnt(0)
	v_cmp_neq_f32_e32 vcc, v36, v37
	s_and_b64 s[52:53], vcc, exec
	s_or_b64 s[48:49], s[48:49], s[52:53]
.LBB993_225:                            ;   in Loop: Header=BB993_226 Depth=1
	s_and_b64 s[52:53], exec, s[48:49]
	s_or_b64 s[46:47], s[52:53], s[46:47]
	v_mov_b64_e32 v[36:37], s[50:51]
	s_andn2_b64 exec, exec, s[46:47]
	s_cbranch_execz .LBB993_228
.LBB993_226:                            ; =>This Inner Loop Header: Depth=1
	s_or_b64 s[48:49], s[48:49], exec
	s_cmp_eq_u64 s[42:43], s[50:51]
	s_cbranch_scc0 .LBB993_224
; %bb.227:                              ;   in Loop: Header=BB993_226 Depth=1
                                        ; implicit-def: $vgpr30_vgpr31
                                        ; implicit-def: $vgpr34_vgpr35
	s_mov_b64 s[50:51], s[26:27]
	s_branch .LBB993_225
.LBB993_228:
	s_or_b64 exec, exec, s[46:47]
	v_cmp_gt_i64_e32 vcc, s[26:27], v[36:37]
	s_orn2_b64 s[42:43], vcc, exec
.LBB993_229:
	s_or_b64 exec, exec, s[44:45]
.LBB993_230:
	v_mul_lo_u32 v34, v25, s26
	v_mul_lo_u32 v35, v24, s27
	v_mad_u64_u32 v[30:31], s[44:45], v24, s26, 0
	v_add3_u32 v31, v31, v35, v34
	s_and_b64 vcc, exec, s[4:5]
	v_lshl_add_u64 v[30:31], v[30:31], 2, s[36:37]
	s_cbranch_vccnz .LBB993_239
; %bb.231:
	global_load_dword v34, v[30:31], off
	global_load_dword v35, v[32:33], off
	s_mov_b64 s[40:41], -1
	s_waitcnt vmcnt(0)
	v_cmp_eq_f32_e32 vcc, v34, v35
	s_and_saveexec_b64 s[44:45], vcc
	s_cbranch_execz .LBB993_238
; %bb.232:
	s_add_u32 s40, s26, -1
	v_lshl_add_u64 v[32:33], v[32:33], 0, 4
	v_lshl_add_u64 v[34:35], v[30:31], 0, 4
	s_addc_u32 s41, s27, -1
	s_mov_b64 s[46:47], 0
	s_mov_b64 s[50:51], 0
                                        ; implicit-def: $sgpr48_sgpr49
	s_branch .LBB993_235
.LBB993_233:                            ;   in Loop: Header=BB993_235 Depth=1
	global_load_dword v36, v[34:35], off
	global_load_dword v37, v[32:33], off
	s_add_u32 s50, s50, 1
	s_addc_u32 s51, s51, 0
	s_andn2_b64 s[48:49], s[48:49], exec
	v_lshl_add_u64 v[32:33], v[32:33], 0, 4
	v_lshl_add_u64 v[34:35], v[34:35], 0, 4
	s_waitcnt vmcnt(0)
	v_cmp_neq_f32_e32 vcc, v36, v37
	s_and_b64 s[52:53], vcc, exec
	s_or_b64 s[48:49], s[48:49], s[52:53]
.LBB993_234:                            ;   in Loop: Header=BB993_235 Depth=1
	s_and_b64 s[52:53], exec, s[48:49]
	s_or_b64 s[46:47], s[52:53], s[46:47]
	v_mov_b64_e32 v[36:37], s[50:51]
	s_andn2_b64 exec, exec, s[46:47]
	s_cbranch_execz .LBB993_237
.LBB993_235:                            ; =>This Inner Loop Header: Depth=1
	s_or_b64 s[48:49], s[48:49], exec
	s_cmp_eq_u64 s[40:41], s[50:51]
	s_cbranch_scc0 .LBB993_233
; %bb.236:                              ;   in Loop: Header=BB993_235 Depth=1
                                        ; implicit-def: $vgpr32_vgpr33
                                        ; implicit-def: $vgpr34_vgpr35
	s_mov_b64 s[50:51], s[26:27]
	s_branch .LBB993_234
.LBB993_237:
	s_or_b64 exec, exec, s[46:47]
	v_cmp_gt_i64_e32 vcc, s[26:27], v[36:37]
	s_orn2_b64 s[40:41], vcc, exec
.LBB993_238:
	s_or_b64 exec, exec, s[44:45]
.LBB993_239:
	v_mul_lo_u32 v34, v23, s26
	v_mul_lo_u32 v35, v22, s27
	v_mad_u64_u32 v[32:33], s[44:45], v22, s26, 0
	v_add3_u32 v33, v33, v35, v34
	s_and_b64 vcc, exec, s[4:5]
	s_mov_b64 s[46:47], 0
	s_cbranch_vccnz .LBB993_248
; %bb.240:
	v_lshl_add_u64 v[34:35], v[32:33], 2, s[36:37]
	global_load_dword v36, v[34:35], off
	global_load_dword v37, v[30:31], off
	s_mov_b64 s[46:47], -1
	s_waitcnt vmcnt(0)
	v_cmp_eq_f32_e32 vcc, v36, v37
	s_and_saveexec_b64 s[44:45], vcc
	s_cbranch_execz .LBB993_247
; %bb.241:
	s_add_u32 s46, s26, -1
	v_lshl_add_u64 v[30:31], v[30:31], 0, 4
	v_lshl_add_u64 v[34:35], v[34:35], 0, 4
	s_addc_u32 s47, s27, -1
	s_mov_b64 s[48:49], 0
	s_mov_b64 s[52:53], 0
                                        ; implicit-def: $sgpr50_sgpr51
	s_branch .LBB993_244
.LBB993_242:                            ;   in Loop: Header=BB993_244 Depth=1
	global_load_dword v36, v[34:35], off
	global_load_dword v37, v[30:31], off
	s_add_u32 s52, s52, 1
	s_addc_u32 s53, s53, 0
	s_andn2_b64 s[50:51], s[50:51], exec
	v_lshl_add_u64 v[30:31], v[30:31], 0, 4
	v_lshl_add_u64 v[34:35], v[34:35], 0, 4
	s_waitcnt vmcnt(0)
	v_cmp_neq_f32_e32 vcc, v36, v37
	s_and_b64 s[56:57], vcc, exec
	s_or_b64 s[50:51], s[50:51], s[56:57]
.LBB993_243:                            ;   in Loop: Header=BB993_244 Depth=1
	s_and_b64 s[56:57], exec, s[50:51]
	s_or_b64 s[48:49], s[56:57], s[48:49]
	v_mov_b64_e32 v[36:37], s[52:53]
	s_andn2_b64 exec, exec, s[48:49]
	s_cbranch_execz .LBB993_246
.LBB993_244:                            ; =>This Inner Loop Header: Depth=1
	s_or_b64 s[50:51], s[50:51], exec
	s_cmp_eq_u64 s[46:47], s[52:53]
	s_cbranch_scc0 .LBB993_242
; %bb.245:                              ;   in Loop: Header=BB993_244 Depth=1
                                        ; implicit-def: $vgpr30_vgpr31
                                        ; implicit-def: $vgpr34_vgpr35
	s_mov_b64 s[52:53], s[26:27]
	s_branch .LBB993_243
.LBB993_246:
	s_or_b64 exec, exec, s[48:49]
	v_cmp_gt_i64_e32 vcc, s[26:27], v[36:37]
	s_orn2_b64 s[46:47], vcc, exec
.LBB993_247:
	s_or_b64 exec, exec, s[44:45]
.LBB993_248:
	v_cndmask_b32_e64 v31, 0, 1, s[42:43]
	v_cndmask_b32_e64 v30, 0, 1, s[40:41]
	v_cndmask_b32_e64 v48, 0, 1, s[16:17]
	v_lshlrev_b16_e32 v31, 8, v31
	v_cndmask_b32_e64 v39, 0, 1, s[14:15]
	v_cndmask_b32_e64 v34, 0, 1, s[46:47]
	v_or_b32_sdwa v30, v30, v31 dst_sel:WORD_1 dst_unused:UNUSED_PAD src0_sel:DWORD src1_sel:DWORD
	v_lshlrev_b16_e32 v31, 8, v48
	v_lshlrev_b16_e32 v34, 8, v34
	v_or_b32_e32 v31, v39, v31
	v_or_b32_e32 v34, 1, v34
	v_and_b32_e32 v31, 0xffff, v31
	v_cndmask_b32_e64 v49, 0, 1, s[12:13]
	v_or_b32_sdwa v30, v34, v30 dst_sel:DWORD dst_unused:UNUSED_PAD src0_sel:WORD_0 src1_sel:DWORD
	v_lshl_or_b32 v31, v49, 16, v31
	s_waitcnt lgkmcnt(0)
	s_barrier
	s_waitcnt lgkmcnt(0)
                                        ; implicit-def: $sgpr14_sgpr15
                                        ; implicit-def: $vgpr34
	s_and_saveexec_b64 s[12:13], s[2:3]
	s_xor_b64 s[12:13], exec, s[12:13]
	s_cbranch_execz .LBB993_259
; %bb.249:
	s_mov_b32 s44, 0x3020104
	s_and_b64 vcc, exec, s[4:5]
	s_mov_b64 s[14:15], 0
	s_cbranch_vccnz .LBB993_258
; %bb.250:
	v_add_u32_e32 v31, -8, v38
	ds_read_b64 v[34:35], v31
	v_lshl_add_u64 v[32:33], v[32:33], 2, s[36:37]
	s_mov_b64 s[14:15], -1
	s_waitcnt lgkmcnt(0)
	v_mul_lo_u32 v31, v35, s26
	v_mul_lo_u32 v36, v34, s27
	v_mad_u64_u32 v[34:35], s[4:5], v34, s26, 0
	v_add3_u32 v35, v35, v36, v31
	v_lshl_add_u64 v[34:35], v[34:35], 2, s[36:37]
	global_load_dword v31, v[34:35], off
	global_load_dword v36, v[32:33], off
	s_waitcnt vmcnt(0)
	v_cmp_eq_f32_e32 vcc, v31, v36
	s_and_saveexec_b64 s[4:5], vcc
	s_cbranch_execz .LBB993_257
; %bb.251:
	s_add_u32 s14, s26, -1
	v_lshl_add_u64 v[32:33], v[32:33], 0, 4
	v_lshl_add_u64 v[34:35], v[34:35], 0, 4
	s_addc_u32 s15, s27, -1
	s_mov_b64 s[16:17], 0
	s_mov_b64 s[42:43], 0
                                        ; implicit-def: $sgpr40_sgpr41
	s_branch .LBB993_254
.LBB993_252:                            ;   in Loop: Header=BB993_254 Depth=1
	global_load_dword v31, v[34:35], off
	global_load_dword v36, v[32:33], off
	s_add_u32 s42, s42, 1
	s_addc_u32 s43, s43, 0
	s_andn2_b64 s[40:41], s[40:41], exec
	v_lshl_add_u64 v[32:33], v[32:33], 0, 4
	v_lshl_add_u64 v[34:35], v[34:35], 0, 4
	s_waitcnt vmcnt(0)
	v_cmp_neq_f32_e32 vcc, v31, v36
	s_and_b64 s[46:47], vcc, exec
	s_or_b64 s[40:41], s[40:41], s[46:47]
.LBB993_253:                            ;   in Loop: Header=BB993_254 Depth=1
	s_and_b64 s[46:47], exec, s[40:41]
	s_or_b64 s[16:17], s[46:47], s[16:17]
	v_mov_b64_e32 v[36:37], s[42:43]
	s_andn2_b64 exec, exec, s[16:17]
	s_cbranch_execz .LBB993_256
.LBB993_254:                            ; =>This Inner Loop Header: Depth=1
	s_or_b64 s[40:41], s[40:41], exec
	s_cmp_eq_u64 s[14:15], s[42:43]
	s_cbranch_scc0 .LBB993_252
; %bb.255:                              ;   in Loop: Header=BB993_254 Depth=1
                                        ; implicit-def: $vgpr32_vgpr33
                                        ; implicit-def: $vgpr34_vgpr35
	s_mov_b64 s[42:43], s[26:27]
	s_branch .LBB993_253
.LBB993_256:
	s_or_b64 exec, exec, s[16:17]
	v_cmp_gt_i64_e32 vcc, s[26:27], v[36:37]
	s_orn2_b64 s[14:15], vcc, exec
.LBB993_257:
	s_or_b64 exec, exec, s[4:5]
.LBB993_258:
	v_perm_b32 v34, v30, v30, s44
	s_and_b64 s[14:15], s[14:15], exec
	s_or_b64 s[10:11], s[10:11], exec
                                        ; implicit-def: $vgpr30_vgpr31
.LBB993_259:
	s_or_b64 exec, exec, s[12:13]
	s_branch .LBB993_340
.LBB993_260:
	v_cmp_gt_u32_e32 vcc, s54, v42
	s_mov_b64 s[12:13], 0
	s_mov_b64 s[4:5], 0
	s_and_saveexec_b64 s[14:15], vcc
	s_cbranch_execz .LBB993_271
; %bb.261:
	s_andn2_b64 vcc, exec, s[6:7]
	s_mov_b64 s[16:17], 0
	s_cbranch_vccnz .LBB993_270
; %bb.262:
	v_mul_lo_u32 v32, v17, s26
	v_mul_lo_u32 v33, v16, s27
	s_waitcnt vmcnt(0) lgkmcnt(1)
	v_mad_u64_u32 v[30:31], s[4:5], v16, s26, 0
	v_add3_u32 v31, v31, v33, v32
	v_mul_lo_u32 v32, v29, s26
	v_mul_lo_u32 v33, v28, s27
	v_mad_u64_u32 v[34:35], s[4:5], v28, s26, 0
	v_add3_u32 v35, v35, v33, v32
	v_lshl_add_u64 v[32:33], v[30:31], 2, s[36:37]
	v_lshl_add_u64 v[30:31], v[34:35], 2, s[36:37]
	global_load_dword v34, v[32:33], off
	global_load_dword v35, v[30:31], off
	s_mov_b64 s[16:17], -1
	s_waitcnt vmcnt(0)
	v_cmp_eq_f32_e32 vcc, v34, v35
	s_and_saveexec_b64 s[4:5], vcc
	s_cbranch_execz .LBB993_269
; %bb.263:
	s_add_u32 s16, s26, -1
	v_lshl_add_u64 v[30:31], v[30:31], 0, 4
	v_lshl_add_u64 v[32:33], v[32:33], 0, 4
	s_addc_u32 s17, s27, -1
	s_mov_b64 s[40:41], 0
	s_mov_b64 s[44:45], 0
                                        ; implicit-def: $sgpr42_sgpr43
	s_branch .LBB993_266
.LBB993_264:                            ;   in Loop: Header=BB993_266 Depth=1
	global_load_dword v34, v[32:33], off
	global_load_dword v35, v[30:31], off
	s_add_u32 s44, s44, 1
	s_addc_u32 s45, s45, 0
	s_andn2_b64 s[42:43], s[42:43], exec
	v_lshl_add_u64 v[30:31], v[30:31], 0, 4
	v_lshl_add_u64 v[32:33], v[32:33], 0, 4
	s_waitcnt vmcnt(0)
	v_cmp_neq_f32_e32 vcc, v34, v35
	s_and_b64 s[46:47], vcc, exec
	s_or_b64 s[42:43], s[42:43], s[46:47]
.LBB993_265:                            ;   in Loop: Header=BB993_266 Depth=1
	s_and_b64 s[46:47], exec, s[42:43]
	s_or_b64 s[40:41], s[46:47], s[40:41]
	v_mov_b64_e32 v[34:35], s[44:45]
	s_andn2_b64 exec, exec, s[40:41]
	s_cbranch_execz .LBB993_268
.LBB993_266:                            ; =>This Inner Loop Header: Depth=1
	s_or_b64 s[42:43], s[42:43], exec
	s_cmp_eq_u64 s[16:17], s[44:45]
	s_cbranch_scc0 .LBB993_264
; %bb.267:                              ;   in Loop: Header=BB993_266 Depth=1
                                        ; implicit-def: $vgpr30_vgpr31
                                        ; implicit-def: $vgpr32_vgpr33
	s_mov_b64 s[44:45], s[26:27]
	s_branch .LBB993_265
.LBB993_268:
	s_or_b64 exec, exec, s[40:41]
	v_cmp_gt_i64_e32 vcc, s[26:27], v[34:35]
	s_orn2_b64 s[16:17], vcc, exec
.LBB993_269:
	s_or_b64 exec, exec, s[4:5]
.LBB993_270:
	s_and_b64 s[4:5], s[16:17], exec
.LBB993_271:
	s_or_b64 exec, exec, s[14:15]
	v_cmp_gt_u32_e32 vcc, s54, v45
	s_and_saveexec_b64 s[14:15], vcc
	s_cbranch_execz .LBB993_282
; %bb.272:
	s_andn2_b64 vcc, exec, s[6:7]
	s_mov_b64 s[16:17], 0
	s_cbranch_vccnz .LBB993_281
; %bb.273:
	v_mul_lo_u32 v32, v15, s26
	v_mul_lo_u32 v33, v14, s27
	s_waitcnt vmcnt(0) lgkmcnt(1)
	v_mad_u64_u32 v[30:31], s[12:13], v14, s26, 0
	v_add3_u32 v31, v31, v33, v32
	v_mul_lo_u32 v32, v17, s26
	v_mul_lo_u32 v33, v16, s27
	v_mad_u64_u32 v[34:35], s[12:13], v16, s26, 0
	v_add3_u32 v35, v35, v33, v32
	v_lshl_add_u64 v[32:33], v[30:31], 2, s[36:37]
	v_lshl_add_u64 v[30:31], v[34:35], 2, s[36:37]
	global_load_dword v34, v[32:33], off
	global_load_dword v35, v[30:31], off
	s_mov_b64 s[16:17], -1
	s_waitcnt vmcnt(0)
	v_cmp_eq_f32_e32 vcc, v34, v35
	s_and_saveexec_b64 s[12:13], vcc
	s_cbranch_execz .LBB993_280
; %bb.274:
	s_add_u32 s16, s26, -1
	v_lshl_add_u64 v[30:31], v[30:31], 0, 4
	v_lshl_add_u64 v[32:33], v[32:33], 0, 4
	s_addc_u32 s17, s27, -1
	s_mov_b64 s[40:41], 0
	s_mov_b64 s[44:45], 0
                                        ; implicit-def: $sgpr42_sgpr43
	s_branch .LBB993_277
.LBB993_275:                            ;   in Loop: Header=BB993_277 Depth=1
	global_load_dword v34, v[32:33], off
	global_load_dword v35, v[30:31], off
	s_add_u32 s44, s44, 1
	s_addc_u32 s45, s45, 0
	s_andn2_b64 s[42:43], s[42:43], exec
	v_lshl_add_u64 v[30:31], v[30:31], 0, 4
	v_lshl_add_u64 v[32:33], v[32:33], 0, 4
	s_waitcnt vmcnt(0)
	v_cmp_neq_f32_e32 vcc, v34, v35
	s_and_b64 s[46:47], vcc, exec
	s_or_b64 s[42:43], s[42:43], s[46:47]
.LBB993_276:                            ;   in Loop: Header=BB993_277 Depth=1
	s_and_b64 s[46:47], exec, s[42:43]
	s_or_b64 s[40:41], s[46:47], s[40:41]
	v_mov_b64_e32 v[34:35], s[44:45]
	s_andn2_b64 exec, exec, s[40:41]
	s_cbranch_execz .LBB993_279
.LBB993_277:                            ; =>This Inner Loop Header: Depth=1
	s_or_b64 s[42:43], s[42:43], exec
	s_cmp_eq_u64 s[16:17], s[44:45]
	s_cbranch_scc0 .LBB993_275
; %bb.278:                              ;   in Loop: Header=BB993_277 Depth=1
                                        ; implicit-def: $vgpr30_vgpr31
                                        ; implicit-def: $vgpr32_vgpr33
	s_mov_b64 s[44:45], s[26:27]
	s_branch .LBB993_276
.LBB993_279:
	s_or_b64 exec, exec, s[40:41]
	v_cmp_gt_i64_e32 vcc, s[26:27], v[34:35]
	s_orn2_b64 s[16:17], vcc, exec
.LBB993_280:
	s_or_b64 exec, exec, s[12:13]
.LBB993_281:
	s_and_b64 s[12:13], s[16:17], exec
.LBB993_282:
	s_or_b64 exec, exec, s[14:15]
	v_cmp_gt_u32_e32 vcc, s54, v41
	s_mov_b64 s[16:17], 0
	s_mov_b64 s[14:15], 0
	s_and_saveexec_b64 s[40:41], vcc
	s_cbranch_execz .LBB993_293
; %bb.283:
	s_andn2_b64 vcc, exec, s[6:7]
	s_mov_b64 s[42:43], 0
	s_cbranch_vccnz .LBB993_292
; %bb.284:
	v_mul_lo_u32 v32, v21, s26
	v_mul_lo_u32 v33, v20, s27
	s_waitcnt vmcnt(0) lgkmcnt(1)
	v_mad_u64_u32 v[30:31], s[14:15], v20, s26, 0
	v_add3_u32 v31, v31, v33, v32
	v_mul_lo_u32 v32, v15, s26
	v_mul_lo_u32 v33, v14, s27
	v_mad_u64_u32 v[34:35], s[14:15], v14, s26, 0
	v_add3_u32 v35, v35, v33, v32
	v_lshl_add_u64 v[32:33], v[30:31], 2, s[36:37]
	v_lshl_add_u64 v[30:31], v[34:35], 2, s[36:37]
	global_load_dword v34, v[32:33], off
	global_load_dword v35, v[30:31], off
	s_mov_b64 s[42:43], -1
	s_waitcnt vmcnt(0)
	v_cmp_eq_f32_e32 vcc, v34, v35
	s_and_saveexec_b64 s[14:15], vcc
	s_cbranch_execz .LBB993_291
; %bb.285:
	s_add_u32 s42, s26, -1
	v_lshl_add_u64 v[30:31], v[30:31], 0, 4
	v_lshl_add_u64 v[32:33], v[32:33], 0, 4
	s_addc_u32 s43, s27, -1
	s_mov_b64 s[44:45], 0
	s_mov_b64 s[48:49], 0
                                        ; implicit-def: $sgpr46_sgpr47
	s_branch .LBB993_288
.LBB993_286:                            ;   in Loop: Header=BB993_288 Depth=1
	global_load_dword v34, v[32:33], off
	global_load_dword v35, v[30:31], off
	s_add_u32 s48, s48, 1
	s_addc_u32 s49, s49, 0
	s_andn2_b64 s[46:47], s[46:47], exec
	v_lshl_add_u64 v[30:31], v[30:31], 0, 4
	v_lshl_add_u64 v[32:33], v[32:33], 0, 4
	s_waitcnt vmcnt(0)
	v_cmp_neq_f32_e32 vcc, v34, v35
	s_and_b64 s[50:51], vcc, exec
	s_or_b64 s[46:47], s[46:47], s[50:51]
.LBB993_287:                            ;   in Loop: Header=BB993_288 Depth=1
	s_and_b64 s[50:51], exec, s[46:47]
	s_or_b64 s[44:45], s[50:51], s[44:45]
	v_mov_b64_e32 v[34:35], s[48:49]
	s_andn2_b64 exec, exec, s[44:45]
	s_cbranch_execz .LBB993_290
.LBB993_288:                            ; =>This Inner Loop Header: Depth=1
	s_or_b64 s[46:47], s[46:47], exec
	s_cmp_eq_u64 s[42:43], s[48:49]
	s_cbranch_scc0 .LBB993_286
; %bb.289:                              ;   in Loop: Header=BB993_288 Depth=1
                                        ; implicit-def: $vgpr30_vgpr31
                                        ; implicit-def: $vgpr32_vgpr33
	s_mov_b64 s[48:49], s[26:27]
	s_branch .LBB993_287
.LBB993_290:
	s_or_b64 exec, exec, s[44:45]
	v_cmp_gt_i64_e32 vcc, s[26:27], v[34:35]
	s_orn2_b64 s[42:43], vcc, exec
.LBB993_291:
	s_or_b64 exec, exec, s[14:15]
.LBB993_292:
	s_and_b64 s[14:15], s[42:43], exec
.LBB993_293:
	s_or_b64 exec, exec, s[40:41]
	v_cmp_gt_u32_e32 vcc, s54, v44
	s_and_saveexec_b64 s[40:41], vcc
	s_cbranch_execz .LBB993_304
; %bb.294:
	s_andn2_b64 vcc, exec, s[6:7]
	s_mov_b64 s[42:43], 0
	s_cbranch_vccnz .LBB993_303
; %bb.295:
	v_mul_lo_u32 v32, v19, s26
	v_mul_lo_u32 v33, v18, s27
	s_waitcnt vmcnt(0) lgkmcnt(1)
	v_mad_u64_u32 v[30:31], s[16:17], v18, s26, 0
	v_add3_u32 v31, v31, v33, v32
	v_mul_lo_u32 v32, v21, s26
	v_mul_lo_u32 v33, v20, s27
	v_mad_u64_u32 v[34:35], s[16:17], v20, s26, 0
	v_add3_u32 v35, v35, v33, v32
	v_lshl_add_u64 v[32:33], v[30:31], 2, s[36:37]
	v_lshl_add_u64 v[30:31], v[34:35], 2, s[36:37]
	global_load_dword v34, v[32:33], off
	global_load_dword v35, v[30:31], off
	s_mov_b64 s[42:43], -1
	s_waitcnt vmcnt(0)
	v_cmp_eq_f32_e32 vcc, v34, v35
	s_and_saveexec_b64 s[16:17], vcc
	s_cbranch_execz .LBB993_302
; %bb.296:
	s_add_u32 s42, s26, -1
	v_lshl_add_u64 v[30:31], v[30:31], 0, 4
	v_lshl_add_u64 v[32:33], v[32:33], 0, 4
	s_addc_u32 s43, s27, -1
	s_mov_b64 s[44:45], 0
	s_mov_b64 s[48:49], 0
                                        ; implicit-def: $sgpr46_sgpr47
	s_branch .LBB993_299
.LBB993_297:                            ;   in Loop: Header=BB993_299 Depth=1
	global_load_dword v34, v[32:33], off
	global_load_dword v35, v[30:31], off
	s_add_u32 s48, s48, 1
	s_addc_u32 s49, s49, 0
	s_andn2_b64 s[46:47], s[46:47], exec
	v_lshl_add_u64 v[30:31], v[30:31], 0, 4
	v_lshl_add_u64 v[32:33], v[32:33], 0, 4
	s_waitcnt vmcnt(0)
	v_cmp_neq_f32_e32 vcc, v34, v35
	s_and_b64 s[50:51], vcc, exec
	s_or_b64 s[46:47], s[46:47], s[50:51]
.LBB993_298:                            ;   in Loop: Header=BB993_299 Depth=1
	s_and_b64 s[50:51], exec, s[46:47]
	s_or_b64 s[44:45], s[50:51], s[44:45]
	v_mov_b64_e32 v[34:35], s[48:49]
	s_andn2_b64 exec, exec, s[44:45]
	s_cbranch_execz .LBB993_301
.LBB993_299:                            ; =>This Inner Loop Header: Depth=1
	s_or_b64 s[46:47], s[46:47], exec
	s_cmp_eq_u64 s[42:43], s[48:49]
	s_cbranch_scc0 .LBB993_297
; %bb.300:                              ;   in Loop: Header=BB993_299 Depth=1
                                        ; implicit-def: $vgpr30_vgpr31
                                        ; implicit-def: $vgpr32_vgpr33
	s_mov_b64 s[48:49], s[26:27]
	s_branch .LBB993_298
.LBB993_301:
	s_or_b64 exec, exec, s[44:45]
	v_cmp_gt_i64_e32 vcc, s[26:27], v[34:35]
	s_orn2_b64 s[42:43], vcc, exec
.LBB993_302:
	s_or_b64 exec, exec, s[16:17]
.LBB993_303:
	s_and_b64 s[16:17], s[42:43], exec
.LBB993_304:
	s_or_b64 exec, exec, s[40:41]
	v_cmp_gt_u32_e32 vcc, s54, v40
	s_mov_b64 s[40:41], 0
	s_mov_b64 s[42:43], 0
	s_and_saveexec_b64 s[44:45], vcc
	s_cbranch_execz .LBB993_315
; %bb.305:
	s_andn2_b64 vcc, exec, s[6:7]
	s_mov_b64 s[46:47], 0
	s_cbranch_vccnz .LBB993_314
; %bb.306:
	v_mul_lo_u32 v32, v25, s26
	v_mul_lo_u32 v33, v24, s27
	s_waitcnt vmcnt(0) lgkmcnt(1)
	v_mad_u64_u32 v[30:31], s[42:43], v24, s26, 0
	v_add3_u32 v31, v31, v33, v32
	v_mul_lo_u32 v32, v19, s26
	v_mul_lo_u32 v33, v18, s27
	v_mad_u64_u32 v[34:35], s[42:43], v18, s26, 0
	v_add3_u32 v35, v35, v33, v32
	v_lshl_add_u64 v[32:33], v[30:31], 2, s[36:37]
	v_lshl_add_u64 v[30:31], v[34:35], 2, s[36:37]
	global_load_dword v34, v[32:33], off
	global_load_dword v35, v[30:31], off
	s_mov_b64 s[46:47], -1
	s_waitcnt vmcnt(0)
	v_cmp_eq_f32_e32 vcc, v34, v35
	s_and_saveexec_b64 s[42:43], vcc
	s_cbranch_execz .LBB993_313
; %bb.307:
	s_add_u32 s46, s26, -1
	v_lshl_add_u64 v[30:31], v[30:31], 0, 4
	v_lshl_add_u64 v[32:33], v[32:33], 0, 4
	s_addc_u32 s47, s27, -1
	s_mov_b64 s[48:49], 0
	s_mov_b64 s[52:53], 0
                                        ; implicit-def: $sgpr50_sgpr51
	s_branch .LBB993_310
.LBB993_308:                            ;   in Loop: Header=BB993_310 Depth=1
	global_load_dword v34, v[32:33], off
	global_load_dword v35, v[30:31], off
	s_add_u32 s52, s52, 1
	s_addc_u32 s53, s53, 0
	s_andn2_b64 s[50:51], s[50:51], exec
	v_lshl_add_u64 v[30:31], v[30:31], 0, 4
	v_lshl_add_u64 v[32:33], v[32:33], 0, 4
	s_waitcnt vmcnt(0)
	v_cmp_neq_f32_e32 vcc, v34, v35
	s_and_b64 s[56:57], vcc, exec
	s_or_b64 s[50:51], s[50:51], s[56:57]
.LBB993_309:                            ;   in Loop: Header=BB993_310 Depth=1
	s_and_b64 s[56:57], exec, s[50:51]
	s_or_b64 s[48:49], s[56:57], s[48:49]
	v_mov_b64_e32 v[34:35], s[52:53]
	s_andn2_b64 exec, exec, s[48:49]
	s_cbranch_execz .LBB993_312
.LBB993_310:                            ; =>This Inner Loop Header: Depth=1
	s_or_b64 s[50:51], s[50:51], exec
	s_cmp_eq_u64 s[46:47], s[52:53]
	s_cbranch_scc0 .LBB993_308
; %bb.311:                              ;   in Loop: Header=BB993_310 Depth=1
                                        ; implicit-def: $vgpr30_vgpr31
                                        ; implicit-def: $vgpr32_vgpr33
	s_mov_b64 s[52:53], s[26:27]
	s_branch .LBB993_309
.LBB993_312:
	s_or_b64 exec, exec, s[48:49]
	v_cmp_gt_i64_e32 vcc, s[26:27], v[34:35]
	s_orn2_b64 s[46:47], vcc, exec
.LBB993_313:
	s_or_b64 exec, exec, s[42:43]
.LBB993_314:
	s_and_b64 s[42:43], s[46:47], exec
.LBB993_315:
	s_or_b64 exec, exec, s[44:45]
	v_cmp_gt_u32_e32 vcc, s54, v43
	s_and_saveexec_b64 s[44:45], vcc
	s_cbranch_execz .LBB993_326
; %bb.316:
	s_andn2_b64 vcc, exec, s[6:7]
	s_mov_b64 s[46:47], 0
	s_cbranch_vccnz .LBB993_325
; %bb.317:
	v_mul_lo_u32 v32, v23, s26
	v_mul_lo_u32 v33, v22, s27
	s_waitcnt vmcnt(0) lgkmcnt(1)
	v_mad_u64_u32 v[30:31], s[40:41], v22, s26, 0
	v_add3_u32 v31, v31, v33, v32
	v_mul_lo_u32 v32, v25, s26
	v_mul_lo_u32 v33, v24, s27
	v_mad_u64_u32 v[34:35], s[40:41], v24, s26, 0
	v_add3_u32 v35, v35, v33, v32
	v_lshl_add_u64 v[32:33], v[30:31], 2, s[36:37]
	v_lshl_add_u64 v[30:31], v[34:35], 2, s[36:37]
	global_load_dword v34, v[32:33], off
	global_load_dword v35, v[30:31], off
	s_mov_b64 s[46:47], -1
	s_waitcnt vmcnt(0)
	v_cmp_eq_f32_e32 vcc, v34, v35
	s_and_saveexec_b64 s[40:41], vcc
	s_cbranch_execz .LBB993_324
; %bb.318:
	s_add_u32 s46, s26, -1
	v_lshl_add_u64 v[30:31], v[30:31], 0, 4
	v_lshl_add_u64 v[32:33], v[32:33], 0, 4
	s_addc_u32 s47, s27, -1
	s_mov_b64 s[48:49], 0
	s_mov_b64 s[52:53], 0
                                        ; implicit-def: $sgpr50_sgpr51
	s_branch .LBB993_321
.LBB993_319:                            ;   in Loop: Header=BB993_321 Depth=1
	global_load_dword v34, v[32:33], off
	global_load_dword v35, v[30:31], off
	s_add_u32 s52, s52, 1
	s_addc_u32 s53, s53, 0
	s_andn2_b64 s[50:51], s[50:51], exec
	v_lshl_add_u64 v[30:31], v[30:31], 0, 4
	v_lshl_add_u64 v[32:33], v[32:33], 0, 4
	s_waitcnt vmcnt(0)
	v_cmp_neq_f32_e32 vcc, v34, v35
	s_and_b64 s[56:57], vcc, exec
	s_or_b64 s[50:51], s[50:51], s[56:57]
.LBB993_320:                            ;   in Loop: Header=BB993_321 Depth=1
	s_and_b64 s[56:57], exec, s[50:51]
	s_or_b64 s[48:49], s[56:57], s[48:49]
	v_mov_b64_e32 v[34:35], s[52:53]
	s_andn2_b64 exec, exec, s[48:49]
	s_cbranch_execz .LBB993_323
.LBB993_321:                            ; =>This Inner Loop Header: Depth=1
	s_or_b64 s[50:51], s[50:51], exec
	s_cmp_eq_u64 s[46:47], s[52:53]
	s_cbranch_scc0 .LBB993_319
; %bb.322:                              ;   in Loop: Header=BB993_321 Depth=1
                                        ; implicit-def: $vgpr30_vgpr31
                                        ; implicit-def: $vgpr32_vgpr33
	s_mov_b64 s[52:53], s[26:27]
	s_branch .LBB993_320
.LBB993_323:
	s_or_b64 exec, exec, s[48:49]
	v_cmp_gt_i64_e32 vcc, s[26:27], v[34:35]
	s_orn2_b64 s[46:47], vcc, exec
.LBB993_324:
	s_or_b64 exec, exec, s[40:41]
.LBB993_325:
	s_and_b64 s[40:41], s[46:47], exec
.LBB993_326:
	s_or_b64 exec, exec, s[44:45]
	s_waitcnt vmcnt(0) lgkmcnt(1)
	v_cndmask_b32_e64 v31, 0, 1, s[16:17]
	v_cndmask_b32_e64 v30, 0, 1, s[42:43]
	;; [unrolled: 1-line block ×3, first 2 shown]
	v_lshlrev_b16_e32 v31, 8, v31
	v_cndmask_b32_e64 v39, 0, 1, s[14:15]
	v_cndmask_b32_e64 v32, 0, 1, s[40:41]
	v_or_b32_sdwa v30, v30, v31 dst_sel:WORD_1 dst_unused:UNUSED_PAD src0_sel:DWORD src1_sel:DWORD
	v_lshlrev_b16_e32 v31, 8, v48
	v_lshlrev_b16_e32 v32, 8, v32
	v_or_b32_e32 v31, v39, v31
	v_or_b32_e32 v32, 1, v32
	v_and_b32_e32 v31, 0xffff, v31
	v_cndmask_b32_e64 v49, 0, 1, s[4:5]
	v_or_b32_sdwa v30, v32, v30 dst_sel:DWORD dst_unused:UNUSED_PAD src0_sel:WORD_0 src1_sel:DWORD
	v_lshl_or_b32 v31, v49, 16, v31
	s_waitcnt lgkmcnt(0)
	s_barrier
	s_waitcnt lgkmcnt(0)
                                        ; implicit-def: $sgpr14_sgpr15
                                        ; implicit-def: $vgpr34
	s_and_saveexec_b64 s[4:5], s[2:3]
	s_cbranch_execz .LBB993_339
; %bb.327:
	v_cmp_gt_u32_e32 vcc, s54, v1
	s_mov_b32 s40, 0x3020104
	s_mov_b64 s[12:13], 0
	s_and_saveexec_b64 s[2:3], vcc
	s_cbranch_execz .LBB993_338
; %bb.328:
	s_andn2_b64 vcc, exec, s[6:7]
	s_cbranch_vccnz .LBB993_337
; %bb.329:
	v_add_u32_e32 v31, -8, v38
	ds_read_b64 v[32:33], v31
	v_mul_lo_u32 v31, v23, s26
	v_mad_u64_u32 v[36:37], s[6:7], v22, s26, 0
	s_mov_b64 s[12:13], -1
	s_waitcnt lgkmcnt(0)
	v_mul_lo_u32 v34, v33, s26
	v_mul_lo_u32 v35, v32, s27
	v_mad_u64_u32 v[32:33], s[6:7], v32, s26, 0
	v_add3_u32 v33, v33, v35, v34
	v_mul_lo_u32 v34, v22, s27
	v_add3_u32 v37, v37, v34, v31
	v_lshl_add_u64 v[34:35], v[32:33], 2, s[36:37]
	v_lshl_add_u64 v[32:33], v[36:37], 2, s[36:37]
	global_load_dword v31, v[34:35], off
	global_load_dword v36, v[32:33], off
	s_waitcnt vmcnt(0)
	v_cmp_eq_f32_e32 vcc, v31, v36
	s_and_saveexec_b64 s[6:7], vcc
	s_cbranch_execz .LBB993_336
; %bb.330:
	s_add_u32 s12, s26, -1
	v_lshl_add_u64 v[32:33], v[32:33], 0, 4
	v_lshl_add_u64 v[34:35], v[34:35], 0, 4
	s_addc_u32 s13, s27, -1
	s_mov_b64 s[14:15], 0
	s_mov_b64 s[36:37], 0
                                        ; implicit-def: $sgpr16_sgpr17
	s_branch .LBB993_333
.LBB993_331:                            ;   in Loop: Header=BB993_333 Depth=1
	global_load_dword v31, v[34:35], off
	global_load_dword v36, v[32:33], off
	s_add_u32 s36, s36, 1
	s_addc_u32 s37, s37, 0
	s_andn2_b64 s[16:17], s[16:17], exec
	v_lshl_add_u64 v[32:33], v[32:33], 0, 4
	v_lshl_add_u64 v[34:35], v[34:35], 0, 4
	s_waitcnt vmcnt(0)
	v_cmp_neq_f32_e32 vcc, v31, v36
	s_and_b64 s[42:43], vcc, exec
	s_or_b64 s[16:17], s[16:17], s[42:43]
.LBB993_332:                            ;   in Loop: Header=BB993_333 Depth=1
	s_and_b64 s[42:43], exec, s[16:17]
	s_or_b64 s[14:15], s[42:43], s[14:15]
	v_mov_b64_e32 v[36:37], s[36:37]
	s_andn2_b64 exec, exec, s[14:15]
	s_cbranch_execz .LBB993_335
.LBB993_333:                            ; =>This Inner Loop Header: Depth=1
	s_or_b64 s[16:17], s[16:17], exec
	s_cmp_eq_u64 s[12:13], s[36:37]
	s_cbranch_scc0 .LBB993_331
; %bb.334:                              ;   in Loop: Header=BB993_333 Depth=1
                                        ; implicit-def: $vgpr32_vgpr33
                                        ; implicit-def: $vgpr34_vgpr35
	s_mov_b64 s[36:37], s[26:27]
	s_branch .LBB993_332
.LBB993_335:
	s_or_b64 exec, exec, s[14:15]
	v_cmp_gt_i64_e32 vcc, s[26:27], v[36:37]
	s_orn2_b64 s[12:13], vcc, exec
.LBB993_336:
	s_or_b64 exec, exec, s[6:7]
.LBB993_337:
	s_and_b64 s[12:13], s[12:13], exec
.LBB993_338:
	s_or_b64 exec, exec, s[2:3]
	v_perm_b32 v34, v30, v30, s40
	s_and_b64 s[14:15], s[12:13], exec
	s_or_b64 s[10:11], s[10:11], exec
                                        ; implicit-def: $vgpr30_vgpr31
.LBB993_339:
	s_or_b64 exec, exec, s[4:5]
.LBB993_340:
	s_and_saveexec_b64 s[2:3], s[10:11]
	s_cbranch_execz .LBB993_342
; %bb.341:
	s_waitcnt vmcnt(0) lgkmcnt(0)
	v_lshlrev_b16_e32 v31, 8, v48
	v_and_b32_e32 v32, 0xff, v49
	v_or_b32_sdwa v31, v39, v31 dst_sel:DWORD dst_unused:UNUSED_PAD src0_sel:BYTE_0 src1_sel:DWORD
	v_lshlrev_b32_e32 v32, 16, v32
	s_movk_i32 s4, 0xff
	v_or_b32_sdwa v31, v31, v32 dst_sel:DWORD dst_unused:UNUSED_PAD src0_sel:WORD_0 src1_sel:DWORD
	v_lshrrev_b32_e32 v32, 24, v34
	v_lshlrev_b16_e32 v32, 8, v32
	v_and_b32_sdwa v33, v34, s4 dst_sel:DWORD dst_unused:UNUSED_PAD src0_sel:WORD_1 src1_sel:DWORD
	v_or_b32_sdwa v32, v33, v32 dst_sel:WORD_1 dst_unused:UNUSED_PAD src0_sel:DWORD src1_sel:DWORD
	v_mov_b32_e32 v33, 8
	v_cndmask_b32_e64 v30, 0, 1, s[14:15]
	v_lshrrev_b32_sdwa v33, v33, v34 dst_sel:BYTE_1 dst_unused:UNUSED_PAD src0_sel:DWORD src1_sel:DWORD
	s_nop 0
	v_or_b32_e32 v30, v30, v33
	v_or_b32_sdwa v30, v30, v32 dst_sel:DWORD dst_unused:UNUSED_PAD src0_sel:WORD_0 src1_sel:DWORD
.LBB993_342:
	s_or_b64 exec, exec, s[2:3]
	s_andn2_b64 vcc, exec, s[8:9]
	s_cbranch_vccnz .LBB993_344
; %bb.343:
	s_waitcnt vmcnt(0) lgkmcnt(0)
	v_and_b32_e32 v32, 0xffff0000, v30
	v_cmp_gt_u32_e32 vcc, s54, v1
	s_mov_b32 s2, 0x40c0100
	s_nop 0
	v_cndmask_b32_e32 v1, v32, v30, vcc
	v_and_b32_e32 v1, 0xffff00ff, v1
	v_cmp_gt_u32_e32 vcc, s54, v43
	s_nop 1
	v_cndmask_b32_e32 v1, v1, v30, vcc
	v_lshrrev_b32_e32 v32, 24, v1
	v_perm_b32 v1, v32, v1, s2
	v_cmp_gt_u32_e32 vcc, s54, v40
	v_and_b32_e32 v32, 0xffffff00, v31
	s_nop 0
	v_cndmask_b32_e32 v1, v1, v30, vcc
	v_and_b32_e32 v1, 0xffffff, v1
	v_cmp_gt_u32_e32 vcc, s54, v44
	s_nop 1
	v_cndmask_b32_e32 v1, v1, v30, vcc
	v_cmp_gt_u32_e32 vcc, s54, v41
	s_nop 1
	v_cndmask_b32_e32 v32, v32, v31, vcc
	v_and_b32_e32 v32, 0xffff00ff, v32
	v_cndmask_b32_e32 v1, v1, v30, vcc
	v_cmp_gt_u32_e32 vcc, s54, v45
	s_nop 1
	v_cndmask_b32_e32 v32, v32, v31, vcc
	v_lshrrev_b32_e32 v33, 24, v32
	v_cndmask_b32_e32 v1, v1, v30, vcc
	v_perm_b32 v32, v33, v32, s2
	v_cmp_gt_u32_e32 vcc, s54, v42
	s_mov_b32 s2, 0x3020104
	s_nop 0
	v_cndmask_b32_e32 v1, v1, v30, vcc
	v_cndmask_b32_e32 v30, v32, v31, vcc
	v_mov_b32_e32 v31, 8
	v_lshrrev_b32_sdwa v31, v31, v30 dst_sel:BYTE_1 dst_unused:UNUSED_PAD src0_sel:DWORD src1_sel:DWORD
	s_nop 0
	v_or_b32_sdwa v31, v30, v31 dst_sel:DWORD dst_unused:UNUSED_PAD src0_sel:BYTE_0 src1_sel:DWORD
	v_and_b32_e32 v31, 0xffff, v31
	v_bfe_u32 v30, v30, 16, 8
	v_lshl_or_b32 v31, v30, 16, v31
	v_perm_b32 v30, v1, v1, s2
.LBB993_344:
	s_waitcnt vmcnt(0) lgkmcnt(0)
	v_and_b32_e32 v1, 0xff, v30
	v_bfe_u32 v43, v30, 8, 8
	v_bfe_u32 v45, v30, 16, 8
	v_alignbit_b32 v32, v31, v30, 24
	v_and_b32_e32 v47, 0xff, v32
	v_and_b32_e32 v48, 0xff, v31
	v_add3_u32 v33, v43, v1, v45
	v_bfe_u32 v49, v31, 8, 8
	v_bfe_u32 v32, v31, 16, 8
	v_add3_u32 v33, v33, v47, v48
	v_add3_u32 v52, v33, v49, v32
	v_mbcnt_lo_u32_b32 v32, -1, 0
	v_mbcnt_hi_u32_b32 v50, -1, v32
	v_and_b32_e32 v32, 15, v50
	v_cmp_eq_u32_e64 s[14:15], 0, v32
	v_cmp_lt_u32_e64 s[12:13], 1, v32
	v_cmp_lt_u32_e64 s[10:11], 3, v32
	;; [unrolled: 1-line block ×3, first 2 shown]
	v_and_b32_e32 v32, 16, v50
	v_cmp_eq_u32_e64 s[6:7], 0, v32
	v_or_b32_e32 v32, 63, v0
	v_cmp_lt_u32_e64 s[2:3], 31, v50
	v_lshrrev_b32_e32 v51, 6, v0
	v_cmp_eq_u32_e64 s[4:5], v32, v0
	s_and_b64 vcc, exec, s[0:1]
	s_barrier
	s_cbranch_vccz .LBB993_371
; %bb.345:
	v_mov_b32_dpp v32, v52 row_shr:1 row_mask:0xf bank_mask:0xf
	v_cndmask_b32_e64 v32, v32, 0, s[14:15]
	v_add_u32_e32 v32, v32, v52
	s_nop 1
	v_mov_b32_dpp v33, v32 row_shr:2 row_mask:0xf bank_mask:0xf
	v_cndmask_b32_e64 v33, 0, v33, s[12:13]
	v_add_u32_e32 v32, v32, v33
	s_nop 1
	;; [unrolled: 4-line block ×4, first 2 shown]
	v_mov_b32_dpp v33, v32 row_bcast:15 row_mask:0xf bank_mask:0xf
	v_cndmask_b32_e64 v33, v33, 0, s[6:7]
	v_add_u32_e32 v32, v32, v33
	s_nop 1
	v_mov_b32_dpp v33, v32 row_bcast:31 row_mask:0xf bank_mask:0xf
	v_cndmask_b32_e64 v33, 0, v33, s[2:3]
	v_add_u32_e32 v32, v32, v33
	s_and_saveexec_b64 s[0:1], s[4:5]
	s_cbranch_execz .LBB993_347
; %bb.346:
	v_lshlrev_b32_e32 v33, 2, v51
	ds_write_b32 v33, v32
.LBB993_347:
	s_or_b64 exec, exec, s[0:1]
	v_cmp_gt_u32_e32 vcc, 8, v0
	s_waitcnt lgkmcnt(0)
	s_barrier
	s_and_saveexec_b64 s[0:1], vcc
	s_cbranch_execz .LBB993_349
; %bb.348:
	v_lshlrev_b32_e32 v33, 2, v0
	ds_read_b32 v34, v33
	v_and_b32_e32 v35, 7, v50
	v_cmp_ne_u32_e32 vcc, 0, v35
	s_waitcnt lgkmcnt(0)
	v_mov_b32_dpp v36, v34 row_shr:1 row_mask:0xf bank_mask:0xf
	v_cndmask_b32_e32 v36, 0, v36, vcc
	v_add_u32_e32 v34, v36, v34
	v_cmp_lt_u32_e32 vcc, 1, v35
	s_nop 0
	v_mov_b32_dpp v36, v34 row_shr:2 row_mask:0xf bank_mask:0xf
	v_cndmask_b32_e32 v36, 0, v36, vcc
	v_add_u32_e32 v34, v34, v36
	v_cmp_lt_u32_e32 vcc, 3, v35
	s_nop 0
	v_mov_b32_dpp v36, v34 row_shr:4 row_mask:0xf bank_mask:0xf
	v_cndmask_b32_e32 v35, 0, v36, vcc
	v_add_u32_e32 v34, v34, v35
	ds_write_b32 v33, v34
.LBB993_349:
	s_or_b64 exec, exec, s[0:1]
	v_cmp_gt_u32_e32 vcc, 64, v0
	v_cmp_lt_u32_e64 s[0:1], 63, v0
	s_waitcnt lgkmcnt(0)
	s_barrier
	s_waitcnt lgkmcnt(0)
                                        ; implicit-def: $vgpr42
	s_and_saveexec_b64 s[16:17], s[0:1]
	s_cbranch_execz .LBB993_351
; %bb.350:
	v_lshl_add_u32 v33, v51, 2, -4
	ds_read_b32 v42, v33
	s_waitcnt lgkmcnt(0)
	v_add_u32_e32 v32, v42, v32
.LBB993_351:
	s_or_b64 exec, exec, s[16:17]
	v_add_u32_e32 v33, -1, v50
	v_and_b32_e32 v34, 64, v50
	v_cmp_lt_i32_e64 s[0:1], v33, v34
	v_cmp_eq_u32_e64 s[16:17], 0, v50
	s_nop 0
	v_cndmask_b32_e64 v33, v33, v50, s[0:1]
	v_lshlrev_b32_e32 v33, 2, v33
	ds_bpermute_b32 v44, v33, v32
	s_and_saveexec_b64 s[0:1], vcc
	s_cbranch_execz .LBB993_370
; %bb.352:
	v_mov_b32_e32 v39, 0
	ds_read_b32 v32, v39 offset:28
	s_and_saveexec_b64 s[26:27], s[16:17]
	s_cbranch_execz .LBB993_354
; %bb.353:
	s_add_i32 s36, s33, 64
	s_mov_b32 s37, 0
	s_lshl_b64 s[36:37], s[36:37], 3
	s_add_u32 s36, s38, s36
	v_mov_b32_e32 v33, 1
	s_addc_u32 s37, s39, s37
	s_waitcnt lgkmcnt(0)
	global_store_dwordx2 v39, v[32:33], s[36:37] sc1
.LBB993_354:
	s_or_b64 exec, exec, s[26:27]
	v_xad_u32 v34, v50, -1, s33
	v_add_u32_e32 v38, 64, v34
	v_lshl_add_u64 v[40:41], v[38:39], 3, s[38:39]
	global_load_dwordx2 v[36:37], v[40:41], off sc1
	s_waitcnt vmcnt(0)
	v_cmp_eq_u16_sdwa s[36:37], v37, v39 src0_sel:BYTE_0 src1_sel:DWORD
	s_and_saveexec_b64 s[26:27], s[36:37]
	s_cbranch_execz .LBB993_358
; %bb.355:
	s_mov_b64 s[36:37], 0
	v_mov_b32_e32 v33, 0
.LBB993_356:                            ; =>This Inner Loop Header: Depth=1
	global_load_dwordx2 v[36:37], v[40:41], off sc1
	s_waitcnt vmcnt(0)
	v_cmp_ne_u16_sdwa s[40:41], v37, v33 src0_sel:BYTE_0 src1_sel:DWORD
	s_or_b64 s[36:37], s[40:41], s[36:37]
	s_andn2_b64 exec, exec, s[36:37]
	s_cbranch_execnz .LBB993_356
; %bb.357:
	s_or_b64 exec, exec, s[36:37]
.LBB993_358:
	s_or_b64 exec, exec, s[26:27]
	v_and_b32_e32 v46, 63, v50
	v_mov_b32_e32 v33, 2
	v_cmp_ne_u32_e32 vcc, 63, v46
	v_cmp_eq_u16_sdwa s[26:27], v37, v33 src0_sel:BYTE_0 src1_sel:DWORD
	v_lshlrev_b64 v[38:39], v50, -1
	v_addc_co_u32_e32 v41, vcc, 0, v50, vcc
	v_and_b32_e32 v35, s27, v39
	v_lshlrev_b32_e32 v53, 2, v41
	v_or_b32_e32 v35, 0x80000000, v35
	ds_bpermute_b32 v41, v53, v36
	v_and_b32_e32 v40, s26, v38
	v_ffbl_b32_e32 v35, v35
	v_add_u32_e32 v35, 32, v35
	v_ffbl_b32_e32 v40, v40
	v_min_u32_e32 v35, v40, v35
	v_cmp_lt_u32_e32 vcc, v46, v35
	v_add_u32_e32 v55, 2, v46
	v_add_u32_e32 v57, 4, v46
	s_waitcnt lgkmcnt(0)
	v_cndmask_b32_e32 v40, 0, v41, vcc
	v_cmp_gt_u32_e32 vcc, 62, v46
	v_add_u32_e32 v36, v40, v36
	v_add_u32_e32 v59, 8, v46
	v_cndmask_b32_e64 v40, 0, 1, vcc
	v_lshlrev_b32_e32 v40, 1, v40
	v_add_lshl_u32 v54, v40, v50, 2
	ds_bpermute_b32 v40, v54, v36
	v_cmp_le_u32_e32 vcc, v55, v35
	v_add_u32_e32 v62, 16, v46
	v_add_u32_e32 v64, 32, v46
	s_waitcnt lgkmcnt(0)
	v_cndmask_b32_e32 v40, 0, v40, vcc
	v_cmp_gt_u32_e32 vcc, 60, v46
	v_add_u32_e32 v36, v36, v40
	s_nop 0
	v_cndmask_b32_e64 v40, 0, 1, vcc
	v_lshlrev_b32_e32 v40, 2, v40
	v_add_lshl_u32 v56, v40, v50, 2
	ds_bpermute_b32 v40, v56, v36
	v_cmp_le_u32_e32 vcc, v57, v35
	s_waitcnt lgkmcnt(0)
	s_nop 0
	v_cndmask_b32_e32 v40, 0, v40, vcc
	v_cmp_gt_u32_e32 vcc, 56, v46
	v_add_u32_e32 v36, v36, v40
	s_nop 0
	v_cndmask_b32_e64 v40, 0, 1, vcc
	v_lshlrev_b32_e32 v40, 3, v40
	v_add_lshl_u32 v58, v40, v50, 2
	ds_bpermute_b32 v40, v58, v36
	v_cmp_le_u32_e32 vcc, v59, v35
	s_waitcnt lgkmcnt(0)
	s_nop 0
	;; [unrolled: 11-line block ×4, first 2 shown]
	v_cndmask_b32_e32 v35, 0, v40, vcc
	v_add_u32_e32 v36, v36, v35
	v_mov_b32_e32 v35, 0
	s_branch .LBB993_360
.LBB993_359:                            ;   in Loop: Header=BB993_360 Depth=1
	s_or_b64 exec, exec, s[26:27]
	v_cmp_eq_u16_sdwa s[26:27], v37, v33 src0_sel:BYTE_0 src1_sel:DWORD
	ds_bpermute_b32 v65, v53, v36
	v_subrev_u32_e32 v34, 64, v34
	v_and_b32_e32 v40, s27, v39
	v_or_b32_e32 v40, 0x80000000, v40
	v_and_b32_e32 v41, s26, v38
	v_ffbl_b32_e32 v40, v40
	v_add_u32_e32 v40, 32, v40
	v_ffbl_b32_e32 v41, v41
	v_min_u32_e32 v40, v41, v40
	v_cmp_lt_u32_e32 vcc, v46, v40
	s_waitcnt lgkmcnt(0)
	s_nop 0
	v_cndmask_b32_e32 v41, 0, v65, vcc
	v_add_u32_e32 v36, v41, v36
	ds_bpermute_b32 v41, v54, v36
	v_cmp_le_u32_e32 vcc, v55, v40
	s_waitcnt lgkmcnt(0)
	s_nop 0
	v_cndmask_b32_e32 v41, 0, v41, vcc
	v_add_u32_e32 v36, v36, v41
	ds_bpermute_b32 v41, v56, v36
	v_cmp_le_u32_e32 vcc, v57, v40
	;; [unrolled: 6-line block ×5, first 2 shown]
	s_waitcnt lgkmcnt(0)
	s_nop 0
	v_cndmask_b32_e32 v40, 0, v41, vcc
	v_add3_u32 v36, v40, v60, v36
.LBB993_360:                            ; =>This Loop Header: Depth=1
                                        ;     Child Loop BB993_363 Depth 2
	v_cmp_ne_u16_sdwa s[26:27], v37, v33 src0_sel:BYTE_0 src1_sel:DWORD
	v_mov_b32_e32 v60, v36
	s_nop 0
	v_cndmask_b32_e64 v37, 0, 1, s[26:27]
	;;#ASMSTART
	;;#ASMEND
	s_nop 0
	v_cmp_ne_u32_e32 vcc, 0, v37
	s_cmp_lg_u64 vcc, exec
	s_cbranch_scc1 .LBB993_365
; %bb.361:                              ;   in Loop: Header=BB993_360 Depth=1
	v_lshl_add_u64 v[40:41], v[34:35], 3, s[38:39]
	global_load_dwordx2 v[36:37], v[40:41], off sc1
	s_waitcnt vmcnt(0)
	v_cmp_eq_u16_sdwa s[36:37], v37, v35 src0_sel:BYTE_0 src1_sel:DWORD
	s_and_saveexec_b64 s[26:27], s[36:37]
	s_cbranch_execz .LBB993_359
; %bb.362:                              ;   in Loop: Header=BB993_360 Depth=1
	s_mov_b64 s[36:37], 0
.LBB993_363:                            ;   Parent Loop BB993_360 Depth=1
                                        ; =>  This Inner Loop Header: Depth=2
	global_load_dwordx2 v[36:37], v[40:41], off sc1
	s_waitcnt vmcnt(0)
	v_cmp_ne_u16_sdwa s[40:41], v37, v35 src0_sel:BYTE_0 src1_sel:DWORD
	s_or_b64 s[36:37], s[40:41], s[36:37]
	s_andn2_b64 exec, exec, s[36:37]
	s_cbranch_execnz .LBB993_363
; %bb.364:                              ;   in Loop: Header=BB993_360 Depth=1
	s_or_b64 exec, exec, s[36:37]
	s_branch .LBB993_359
.LBB993_365:                            ;   in Loop: Header=BB993_360 Depth=1
                                        ; implicit-def: $vgpr36
                                        ; implicit-def: $vgpr37
	s_cbranch_execz .LBB993_360
; %bb.366:
	s_and_saveexec_b64 s[26:27], s[16:17]
	s_cbranch_execz .LBB993_368
; %bb.367:
	s_add_i32 s36, s33, 64
	s_mov_b32 s37, 0
	s_lshl_b64 s[36:37], s[36:37], 3
	s_add_u32 s36, s38, s36
	v_add_u32_e32 v34, v60, v32
	v_mov_b32_e32 v35, 2
	s_addc_u32 s37, s39, s37
	v_mov_b32_e32 v33, 0
	s_movk_i32 s33, 0x7000
	global_store_dwordx2 v33, v[34:35], s[36:37] sc1
	v_add_u32_e64 v33, s33, 0
	ds_write2_b32 v33, v32, v60 offset1:2
.LBB993_368:
	s_or_b64 exec, exec, s[26:27]
	s_and_b64 exec, exec, s[18:19]
	s_cbranch_execz .LBB993_370
; %bb.369:
	v_mov_b32_e32 v32, 0
	ds_write_b32 v32, v60 offset:28
.LBB993_370:
	s_or_b64 exec, exec, s[0:1]
	v_mov_b32_e32 v32, 0
	s_waitcnt lgkmcnt(0)
	s_barrier
	ds_read_b32 v32, v32 offset:28
	v_cndmask_b32_e64 v33, v44, v42, s[16:17]
	v_cndmask_b32_e64 v33, v33, 0, s[18:19]
	s_movk_i32 s0, 0x7000
	s_waitcnt lgkmcnt(0)
	v_add_u32_e32 v46, v32, v33
	v_add_u32_e64 v32, s0, 0
	v_add_u32_e32 v44, v46, v1
	s_barrier
	ds_read2_b32 v[32:33], v32 offset1:2
	v_add_u32_e32 v42, v44, v43
	v_add_u32_e32 v40, v42, v45
	;; [unrolled: 1-line block ×5, first 2 shown]
	s_waitcnt lgkmcnt(0)
	v_readfirstlane_b32 s26, v32
	v_readfirstlane_b32 s16, v33
	v_lshrrev_b64 v[32:33], 24, v[30:31]
	s_branch .LBB993_381
.LBB993_371:
                                        ; implicit-def: $vgpr34
                                        ; implicit-def: $vgpr36
                                        ; implicit-def: $vgpr38
                                        ; implicit-def: $vgpr40
                                        ; implicit-def: $vgpr42
                                        ; implicit-def: $vgpr44
                                        ; implicit-def: $vgpr46
                                        ; implicit-def: $sgpr16
                                        ; implicit-def: $sgpr26
	v_lshrrev_b64 v[32:33], 24, v[30:31]
	s_cbranch_execz .LBB993_381
; %bb.372:
	s_nop 0
	v_mov_b32_dpp v33, v52 row_shr:1 row_mask:0xf bank_mask:0xf
	v_cndmask_b32_e64 v33, v33, 0, s[14:15]
	v_add_u32_e32 v33, v33, v52
	s_nop 1
	v_mov_b32_dpp v34, v33 row_shr:2 row_mask:0xf bank_mask:0xf
	v_cndmask_b32_e64 v34, 0, v34, s[12:13]
	v_add_u32_e32 v33, v33, v34
	;; [unrolled: 4-line block ×4, first 2 shown]
	s_nop 1
	v_mov_b32_dpp v34, v33 row_bcast:15 row_mask:0xf bank_mask:0xf
	v_cndmask_b32_e64 v34, v34, 0, s[6:7]
	v_add_u32_e32 v33, v33, v34
	s_nop 1
	v_mov_b32_dpp v34, v33 row_bcast:31 row_mask:0xf bank_mask:0xf
	v_cndmask_b32_e64 v34, 0, v34, s[2:3]
	v_add_u32_e32 v33, v33, v34
	s_and_saveexec_b64 s[0:1], s[4:5]
	s_cbranch_execz .LBB993_374
; %bb.373:
	v_lshlrev_b32_e32 v34, 2, v51
	ds_write_b32 v34, v33
.LBB993_374:
	s_or_b64 exec, exec, s[0:1]
	v_cmp_gt_u32_e32 vcc, 8, v0
	s_waitcnt lgkmcnt(0)
	s_barrier
	s_and_saveexec_b64 s[0:1], vcc
	s_cbranch_execz .LBB993_376
; %bb.375:
	v_lshlrev_b32_e32 v34, 2, v0
	ds_read_b32 v35, v34
	v_and_b32_e32 v36, 7, v50
	v_cmp_ne_u32_e32 vcc, 0, v36
	s_waitcnt lgkmcnt(0)
	v_mov_b32_dpp v37, v35 row_shr:1 row_mask:0xf bank_mask:0xf
	v_cndmask_b32_e32 v37, 0, v37, vcc
	v_add_u32_e32 v35, v37, v35
	v_cmp_lt_u32_e32 vcc, 1, v36
	s_nop 0
	v_mov_b32_dpp v37, v35 row_shr:2 row_mask:0xf bank_mask:0xf
	v_cndmask_b32_e32 v37, 0, v37, vcc
	v_add_u32_e32 v35, v35, v37
	v_cmp_lt_u32_e32 vcc, 3, v36
	s_nop 0
	v_mov_b32_dpp v37, v35 row_shr:4 row_mask:0xf bank_mask:0xf
	v_cndmask_b32_e32 v36, 0, v37, vcc
	v_add_u32_e32 v35, v35, v36
	ds_write_b32 v34, v35
.LBB993_376:
	s_or_b64 exec, exec, s[0:1]
	v_cmp_lt_u32_e32 vcc, 63, v0
	v_mov_b32_e32 v35, 0
	v_mov_b32_e32 v34, 0
	s_waitcnt lgkmcnt(0)
	s_barrier
	s_and_saveexec_b64 s[0:1], vcc
	s_cbranch_execz .LBB993_378
; %bb.377:
	v_lshl_add_u32 v34, v51, 2, -4
	ds_read_b32 v34, v34
.LBB993_378:
	s_or_b64 exec, exec, s[0:1]
	v_add_u32_e32 v36, -1, v50
	v_and_b32_e32 v37, 64, v50
	v_cmp_lt_i32_e32 vcc, v36, v37
	s_waitcnt lgkmcnt(0)
	v_add_u32_e32 v33, v34, v33
	ds_read_b32 v35, v35 offset:28
	v_cndmask_b32_e32 v36, v36, v50, vcc
	v_lshlrev_b32_e32 v36, 2, v36
	ds_bpermute_b32 v33, v36, v33
	s_waitcnt lgkmcnt(1)
	v_readfirstlane_b32 s26, v35
	s_and_saveexec_b64 s[0:1], s[18:19]
	s_cbranch_execz .LBB993_380
; %bb.379:
	v_mov_b32_e32 v35, 0
	v_mov_b32_e32 v36, s26
	;; [unrolled: 1-line block ×3, first 2 shown]
	global_store_dwordx2 v35, v[36:37], s[38:39] offset:512 sc1
.LBB993_380:
	s_or_b64 exec, exec, s[0:1]
	v_cmp_eq_u32_e32 vcc, 0, v50
	s_mov_b32 s16, 0
	s_waitcnt lgkmcnt(0)
	v_cndmask_b32_e32 v33, v33, v34, vcc
	v_cndmask_b32_e64 v46, v33, 0, s[18:19]
	v_add_u32_e32 v44, v46, v1
	v_add_u32_e32 v42, v44, v43
	v_add_u32_e32 v40, v42, v45
	v_add_u32_e32 v38, v40, v47
	v_add_u32_e32 v36, v38, v48
	v_add_u32_e32 v34, v36, v49
	s_barrier
.LBB993_381:
	s_cmpk_lt_u32 s26, 0x201
	s_cselect_b64 s[2:3], -1, 0
	v_lshrrev_b32_e32 v33, 8, v30
	v_lshrrev_b32_e32 v1, 8, v31
	s_mov_b64 s[0:1], -1
	s_and_b64 vcc, exec, s[2:3]
	s_cbranch_vccz .LBB993_404
; %bb.382:
	s_add_i32 s4, s16, s26
	v_cmp_gt_u32_e32 vcc, s4, v46
	s_or_b64 s[6:7], s[34:35], vcc
	s_and_saveexec_b64 s[0:1], s[6:7]
	s_cbranch_execz .LBB993_385
; %bb.383:
	v_and_b32_e32 v35, 1, v30
	v_cmp_eq_u32_e32 vcc, 1, v35
	s_and_b64 exec, exec, vcc
	s_cbranch_execz .LBB993_385
; %bb.384:
	s_lshl_b64 s[6:7], s[22:23], 3
	s_add_u32 s6, s28, s6
	s_addc_u32 s7, s29, s7
	v_mov_b32_e32 v47, 0
	v_lshl_add_u64 v[48:49], v[46:47], 3, s[6:7]
	global_store_dwordx2 v[48:49], v[22:23], off
.LBB993_385:
	s_or_b64 exec, exec, s[0:1]
	v_cmp_gt_u32_e32 vcc, s4, v44
	s_or_b64 s[6:7], s[34:35], vcc
	s_and_saveexec_b64 s[0:1], s[6:7]
	s_cbranch_execz .LBB993_388
; %bb.386:
	v_and_b32_e32 v35, 1, v33
	v_cmp_eq_u32_e32 vcc, 1, v35
	s_and_b64 exec, exec, vcc
	s_cbranch_execz .LBB993_388
; %bb.387:
	s_lshl_b64 s[6:7], s[22:23], 3
	s_add_u32 s6, s28, s6
	s_addc_u32 s7, s29, s7
	v_mov_b32_e32 v45, 0
	v_lshl_add_u64 v[48:49], v[44:45], 3, s[6:7]
	global_store_dwordx2 v[48:49], v[24:25], off
.LBB993_388:
	s_or_b64 exec, exec, s[0:1]
	v_cmp_gt_u32_e32 vcc, s4, v42
	s_or_b64 s[6:7], s[34:35], vcc
	s_and_saveexec_b64 s[0:1], s[6:7]
	s_cbranch_execz .LBB993_391
; %bb.389:
	v_mov_b32_e32 v35, 1
	v_and_b32_sdwa v35, v35, v30 dst_sel:DWORD dst_unused:UNUSED_PAD src0_sel:DWORD src1_sel:WORD_1
	v_cmp_eq_u32_e32 vcc, 1, v35
	s_and_b64 exec, exec, vcc
	s_cbranch_execz .LBB993_391
; %bb.390:
	s_lshl_b64 s[6:7], s[22:23], 3
	s_add_u32 s6, s28, s6
	s_addc_u32 s7, s29, s7
	v_mov_b32_e32 v43, 0
	v_lshl_add_u64 v[48:49], v[42:43], 3, s[6:7]
	global_store_dwordx2 v[48:49], v[18:19], off
.LBB993_391:
	s_or_b64 exec, exec, s[0:1]
	v_cmp_gt_u32_e32 vcc, s4, v40
	s_or_b64 s[6:7], s[34:35], vcc
	s_and_saveexec_b64 s[0:1], s[6:7]
	s_cbranch_execz .LBB993_394
; %bb.392:
	v_and_b32_e32 v35, 1, v32
	v_cmp_eq_u32_e32 vcc, 1, v35
	s_and_b64 exec, exec, vcc
	s_cbranch_execz .LBB993_394
; %bb.393:
	s_lshl_b64 s[6:7], s[22:23], 3
	s_add_u32 s6, s28, s6
	s_addc_u32 s7, s29, s7
	v_mov_b32_e32 v41, 0
	v_lshl_add_u64 v[48:49], v[40:41], 3, s[6:7]
	global_store_dwordx2 v[48:49], v[20:21], off
.LBB993_394:
	s_or_b64 exec, exec, s[0:1]
	v_cmp_gt_u32_e32 vcc, s4, v38
	s_or_b64 s[6:7], s[34:35], vcc
	s_and_saveexec_b64 s[0:1], s[6:7]
	s_cbranch_execz .LBB993_397
; %bb.395:
	v_and_b32_e32 v35, 1, v31
	v_cmp_eq_u32_e32 vcc, 1, v35
	s_and_b64 exec, exec, vcc
	s_cbranch_execz .LBB993_397
; %bb.396:
	s_lshl_b64 s[6:7], s[22:23], 3
	s_add_u32 s6, s28, s6
	s_addc_u32 s7, s29, s7
	v_mov_b32_e32 v39, 0
	v_lshl_add_u64 v[48:49], v[38:39], 3, s[6:7]
	global_store_dwordx2 v[48:49], v[14:15], off
.LBB993_397:
	;; [unrolled: 18-line block ×3, first 2 shown]
	s_or_b64 exec, exec, s[0:1]
	v_cmp_gt_u32_e32 vcc, s4, v34
	s_or_b64 s[4:5], s[34:35], vcc
	s_and_saveexec_b64 s[0:1], s[4:5]
	s_cbranch_execz .LBB993_403
; %bb.401:
	v_mov_b32_e32 v35, 1
	v_and_b32_sdwa v35, v35, v31 dst_sel:DWORD dst_unused:UNUSED_PAD src0_sel:DWORD src1_sel:WORD_1
	v_cmp_eq_u32_e32 vcc, 1, v35
	s_and_b64 exec, exec, vcc
	s_cbranch_execz .LBB993_403
; %bb.402:
	s_lshl_b64 s[4:5], s[22:23], 3
	s_add_u32 s4, s28, s4
	s_addc_u32 s5, s29, s5
	v_mov_b32_e32 v35, 0
	v_lshl_add_u64 v[48:49], v[34:35], 3, s[4:5]
	global_store_dwordx2 v[48:49], v[28:29], off
.LBB993_403:
	s_or_b64 exec, exec, s[0:1]
	s_mov_b64 s[0:1], 0
.LBB993_404:
	v_and_b32_e32 v48, 1, v30
	s_and_b64 vcc, exec, s[0:1]
	v_cmp_eq_u32_e64 s[0:1], 1, v48
	s_cbranch_vccz .LBB993_423
; %bb.405:
	s_and_saveexec_b64 s[4:5], s[0:1]
	s_cbranch_execz .LBB993_407
; %bb.406:
	v_subrev_u32_e32 v35, s16, v46
	v_lshlrev_b32_e32 v35, 3, v35
	ds_write_b64 v35, v[22:23]
.LBB993_407:
	s_or_b64 exec, exec, s[4:5]
	v_and_b32_e32 v22, 1, v33
	v_cmp_eq_u32_e32 vcc, 1, v22
	s_and_saveexec_b64 s[0:1], vcc
	s_cbranch_execz .LBB993_409
; %bb.408:
	v_subrev_u32_e32 v22, s16, v44
	v_lshlrev_b32_e32 v22, 3, v22
	ds_write_b64 v22, v[24:25]
.LBB993_409:
	s_or_b64 exec, exec, s[0:1]
	v_mov_b32_e32 v22, 1
	v_and_b32_sdwa v22, v22, v30 dst_sel:DWORD dst_unused:UNUSED_PAD src0_sel:DWORD src1_sel:WORD_1
	v_cmp_eq_u32_e32 vcc, 1, v22
	s_and_saveexec_b64 s[0:1], vcc
	s_cbranch_execz .LBB993_411
; %bb.410:
	v_subrev_u32_e32 v22, s16, v42
	v_lshlrev_b32_e32 v22, 3, v22
	ds_write_b64 v22, v[18:19]
.LBB993_411:
	s_or_b64 exec, exec, s[0:1]
	v_and_b32_e32 v18, 1, v32
	v_cmp_eq_u32_e32 vcc, 1, v18
	s_and_saveexec_b64 s[0:1], vcc
	s_cbranch_execz .LBB993_413
; %bb.412:
	v_subrev_u32_e32 v18, s16, v40
	v_lshlrev_b32_e32 v18, 3, v18
	ds_write_b64 v18, v[20:21]
.LBB993_413:
	s_or_b64 exec, exec, s[0:1]
	v_and_b32_e32 v18, 1, v31
	;; [unrolled: 10-line block ×3, first 2 shown]
	v_cmp_eq_u32_e32 vcc, 1, v14
	s_and_saveexec_b64 s[0:1], vcc
	s_cbranch_execz .LBB993_417
; %bb.416:
	v_subrev_u32_e32 v14, s16, v36
	v_lshlrev_b32_e32 v14, 3, v14
	ds_write_b64 v14, v[16:17]
.LBB993_417:
	s_or_b64 exec, exec, s[0:1]
	v_mov_b32_e32 v14, 1
	v_and_b32_sdwa v14, v14, v31 dst_sel:DWORD dst_unused:UNUSED_PAD src0_sel:DWORD src1_sel:WORD_1
	v_cmp_eq_u32_e32 vcc, 1, v14
	s_and_saveexec_b64 s[0:1], vcc
	s_cbranch_execz .LBB993_419
; %bb.418:
	v_subrev_u32_e32 v14, s16, v34
	v_lshlrev_b32_e32 v14, 3, v14
	ds_write_b64 v14, v[28:29]
.LBB993_419:
	s_or_b64 exec, exec, s[0:1]
	v_cmp_gt_u32_e32 vcc, s26, v0
	s_waitcnt lgkmcnt(0)
	s_barrier
	s_and_saveexec_b64 s[0:1], vcc
	s_cbranch_execz .LBB993_422
; %bb.420:
	s_mov_b32 s17, 0
	s_lshl_b64 s[4:5], s[22:23], 3
	s_lshl_b64 s[6:7], s[16:17], 3
	s_add_u32 s4, s4, s6
	s_addc_u32 s5, s5, s7
	s_add_u32 s4, s28, s4
	v_lshlrev_b32_e32 v14, 3, v0
	v_mov_b32_e32 v15, 0
	s_addc_u32 s5, s29, s5
	v_lshl_add_u64 v[16:17], s[4:5], 0, v[14:15]
	s_mov_b64 s[4:5], 0
	s_mov_b64 s[6:7], 0x1000
	v_mov_b32_e32 v15, v0
.LBB993_421:                            ; =>This Inner Loop Header: Depth=1
	ds_read_b64 v[18:19], v14
	v_add_u32_e32 v15, 0x200, v15
	v_cmp_le_u32_e32 vcc, s26, v15
	v_add_u32_e32 v14, 0x1000, v14
	s_or_b64 s[4:5], vcc, s[4:5]
	s_waitcnt lgkmcnt(0)
	global_store_dwordx2 v[16:17], v[18:19], off
	v_lshl_add_u64 v[16:17], v[16:17], 0, s[6:7]
	s_andn2_b64 exec, exec, s[4:5]
	s_cbranch_execnz .LBB993_421
.LBB993_422:
	s_or_b64 exec, exec, s[0:1]
.LBB993_423:
	s_mov_b64 s[0:1], -1
	s_and_b64 vcc, exec, s[2:3]
	s_barrier
	s_cbranch_vccnz .LBB993_427
; %bb.424:
	s_and_b64 vcc, exec, s[0:1]
	s_cbranch_vccnz .LBB993_449
.LBB993_425:
	s_and_b64 s[0:1], s[18:19], s[24:25]
	s_and_saveexec_b64 s[2:3], s[0:1]
	s_cbranch_execnz .LBB993_467
.LBB993_426:
	s_endpgm
.LBB993_427:
	s_add_i32 s2, s16, s26
	v_cmp_gt_u32_e32 vcc, s2, v46
	s_or_b64 s[4:5], s[34:35], vcc
	s_and_saveexec_b64 s[0:1], s[4:5]
	s_cbranch_execz .LBB993_430
; %bb.428:
	v_cmp_eq_u32_e32 vcc, 1, v48
	s_and_b64 exec, exec, vcc
	s_cbranch_execz .LBB993_430
; %bb.429:
	s_lshl_b64 s[4:5], s[22:23], 3
	s_add_u32 s4, s30, s4
	s_addc_u32 s5, s31, s5
	v_mov_b32_e32 v47, 0
	v_lshl_add_u64 v[14:15], v[46:47], 3, s[4:5]
	global_store_dwordx2 v[14:15], v[10:11], off
.LBB993_430:
	s_or_b64 exec, exec, s[0:1]
	v_cmp_gt_u32_e32 vcc, s2, v44
	s_or_b64 s[4:5], s[34:35], vcc
	s_and_saveexec_b64 s[0:1], s[4:5]
	s_cbranch_execz .LBB993_433
; %bb.431:
	v_and_b32_e32 v14, 1, v33
	v_cmp_eq_u32_e32 vcc, 1, v14
	s_and_b64 exec, exec, vcc
	s_cbranch_execz .LBB993_433
; %bb.432:
	s_lshl_b64 s[4:5], s[22:23], 3
	s_add_u32 s4, s30, s4
	s_addc_u32 s5, s31, s5
	v_mov_b32_e32 v45, 0
	v_lshl_add_u64 v[14:15], v[44:45], 3, s[4:5]
	global_store_dwordx2 v[14:15], v[12:13], off
.LBB993_433:
	s_or_b64 exec, exec, s[0:1]
	v_cmp_gt_u32_e32 vcc, s2, v42
	s_or_b64 s[4:5], s[34:35], vcc
	s_and_saveexec_b64 s[0:1], s[4:5]
	s_cbranch_execz .LBB993_436
; %bb.434:
	v_mov_b32_e32 v14, 1
	v_and_b32_sdwa v14, v14, v30 dst_sel:DWORD dst_unused:UNUSED_PAD src0_sel:DWORD src1_sel:WORD_1
	v_cmp_eq_u32_e32 vcc, 1, v14
	s_and_b64 exec, exec, vcc
	s_cbranch_execz .LBB993_436
; %bb.435:
	s_lshl_b64 s[4:5], s[22:23], 3
	s_add_u32 s4, s30, s4
	s_addc_u32 s5, s31, s5
	v_mov_b32_e32 v43, 0
	v_lshl_add_u64 v[14:15], v[42:43], 3, s[4:5]
	global_store_dwordx2 v[14:15], v[6:7], off
.LBB993_436:
	s_or_b64 exec, exec, s[0:1]
	v_cmp_gt_u32_e32 vcc, s2, v40
	s_or_b64 s[4:5], s[34:35], vcc
	s_and_saveexec_b64 s[0:1], s[4:5]
	s_cbranch_execz .LBB993_439
; %bb.437:
	v_and_b32_e32 v14, 1, v32
	v_cmp_eq_u32_e32 vcc, 1, v14
	s_and_b64 exec, exec, vcc
	s_cbranch_execz .LBB993_439
; %bb.438:
	s_lshl_b64 s[4:5], s[22:23], 3
	s_add_u32 s4, s30, s4
	s_addc_u32 s5, s31, s5
	v_mov_b32_e32 v41, 0
	v_lshl_add_u64 v[14:15], v[40:41], 3, s[4:5]
	global_store_dwordx2 v[14:15], v[8:9], off
.LBB993_439:
	s_or_b64 exec, exec, s[0:1]
	v_cmp_gt_u32_e32 vcc, s2, v38
	s_or_b64 s[4:5], s[34:35], vcc
	s_and_saveexec_b64 s[0:1], s[4:5]
	s_cbranch_execz .LBB993_442
; %bb.440:
	v_and_b32_e32 v14, 1, v31
	v_cmp_eq_u32_e32 vcc, 1, v14
	s_and_b64 exec, exec, vcc
	s_cbranch_execz .LBB993_442
; %bb.441:
	s_lshl_b64 s[4:5], s[22:23], 3
	s_add_u32 s4, s30, s4
	s_addc_u32 s5, s31, s5
	v_mov_b32_e32 v39, 0
	v_lshl_add_u64 v[14:15], v[38:39], 3, s[4:5]
	global_store_dwordx2 v[14:15], v[2:3], off
.LBB993_442:
	s_or_b64 exec, exec, s[0:1]
	v_cmp_gt_u32_e32 vcc, s2, v36
	s_or_b64 s[4:5], s[34:35], vcc
	s_and_saveexec_b64 s[0:1], s[4:5]
	s_cbranch_execz .LBB993_445
; %bb.443:
	v_and_b32_e32 v14, 1, v1
	v_cmp_eq_u32_e32 vcc, 1, v14
	s_and_b64 exec, exec, vcc
	s_cbranch_execz .LBB993_445
; %bb.444:
	s_lshl_b64 s[4:5], s[22:23], 3
	s_add_u32 s4, s30, s4
	s_addc_u32 s5, s31, s5
	v_mov_b32_e32 v37, 0
	v_lshl_add_u64 v[14:15], v[36:37], 3, s[4:5]
	global_store_dwordx2 v[14:15], v[4:5], off
.LBB993_445:
	s_or_b64 exec, exec, s[0:1]
	v_cmp_gt_u32_e32 vcc, s2, v34
	s_or_b64 s[2:3], s[34:35], vcc
	s_and_saveexec_b64 s[0:1], s[2:3]
	s_cbranch_execz .LBB993_448
; %bb.446:
	v_mov_b32_e32 v14, 1
	v_and_b32_sdwa v14, v14, v31 dst_sel:DWORD dst_unused:UNUSED_PAD src0_sel:DWORD src1_sel:WORD_1
	v_cmp_eq_u32_e32 vcc, 1, v14
	s_and_b64 exec, exec, vcc
	s_cbranch_execz .LBB993_448
; %bb.447:
	s_lshl_b64 s[2:3], s[22:23], 3
	s_add_u32 s2, s30, s2
	s_addc_u32 s3, s31, s3
	v_mov_b32_e32 v35, 0
	v_lshl_add_u64 v[14:15], v[34:35], 3, s[2:3]
	global_store_dwordx2 v[14:15], v[26:27], off
.LBB993_448:
	s_or_b64 exec, exec, s[0:1]
	s_branch .LBB993_425
.LBB993_449:
	v_cmp_eq_u32_e32 vcc, 1, v48
	s_and_saveexec_b64 s[0:1], vcc
	s_cbranch_execz .LBB993_451
; %bb.450:
	v_subrev_u32_e32 v14, s16, v46
	v_lshlrev_b32_e32 v14, 3, v14
	ds_write_b64 v14, v[10:11]
.LBB993_451:
	s_or_b64 exec, exec, s[0:1]
	v_and_b32_e32 v10, 1, v33
	v_cmp_eq_u32_e32 vcc, 1, v10
	s_and_saveexec_b64 s[0:1], vcc
	s_cbranch_execz .LBB993_453
; %bb.452:
	v_subrev_u32_e32 v10, s16, v44
	v_lshlrev_b32_e32 v10, 3, v10
	ds_write_b64 v10, v[12:13]
.LBB993_453:
	s_or_b64 exec, exec, s[0:1]
	v_mov_b32_e32 v10, 1
	v_and_b32_sdwa v10, v10, v30 dst_sel:DWORD dst_unused:UNUSED_PAD src0_sel:DWORD src1_sel:WORD_1
	v_cmp_eq_u32_e32 vcc, 1, v10
	s_and_saveexec_b64 s[0:1], vcc
	s_cbranch_execz .LBB993_455
; %bb.454:
	v_subrev_u32_e32 v10, s16, v42
	v_lshlrev_b32_e32 v10, 3, v10
	ds_write_b64 v10, v[6:7]
.LBB993_455:
	s_or_b64 exec, exec, s[0:1]
	v_and_b32_e32 v6, 1, v32
	v_cmp_eq_u32_e32 vcc, 1, v6
	s_and_saveexec_b64 s[0:1], vcc
	s_cbranch_execz .LBB993_457
; %bb.456:
	v_subrev_u32_e32 v6, s16, v40
	v_lshlrev_b32_e32 v6, 3, v6
	ds_write_b64 v6, v[8:9]
.LBB993_457:
	s_or_b64 exec, exec, s[0:1]
	v_and_b32_e32 v6, 1, v31
	;; [unrolled: 10-line block ×3, first 2 shown]
	v_cmp_eq_u32_e32 vcc, 1, v1
	s_and_saveexec_b64 s[0:1], vcc
	s_cbranch_execz .LBB993_461
; %bb.460:
	v_subrev_u32_e32 v1, s16, v36
	v_lshlrev_b32_e32 v1, 3, v1
	ds_write_b64 v1, v[4:5]
.LBB993_461:
	s_or_b64 exec, exec, s[0:1]
	v_mov_b32_e32 v1, 1
	v_and_b32_sdwa v1, v1, v31 dst_sel:DWORD dst_unused:UNUSED_PAD src0_sel:DWORD src1_sel:WORD_1
	v_cmp_eq_u32_e32 vcc, 1, v1
	s_and_saveexec_b64 s[0:1], vcc
	s_cbranch_execz .LBB993_463
; %bb.462:
	v_subrev_u32_e32 v1, s16, v34
	v_lshlrev_b32_e32 v1, 3, v1
	ds_write_b64 v1, v[26:27]
.LBB993_463:
	s_or_b64 exec, exec, s[0:1]
	v_cmp_gt_u32_e32 vcc, s26, v0
	s_waitcnt lgkmcnt(0)
	s_barrier
	s_and_saveexec_b64 s[0:1], vcc
	s_cbranch_execz .LBB993_466
; %bb.464:
	s_mov_b32 s17, 0
	s_lshl_b64 s[2:3], s[22:23], 3
	s_lshl_b64 s[4:5], s[16:17], 3
	s_add_u32 s2, s2, s4
	s_addc_u32 s3, s3, s5
	s_add_u32 s2, s30, s2
	v_lshlrev_b32_e32 v2, 3, v0
	v_mov_b32_e32 v3, 0
	s_addc_u32 s3, s31, s3
	v_lshl_add_u64 v[4:5], s[2:3], 0, v[2:3]
	s_mov_b64 s[2:3], 0
	s_mov_b64 s[4:5], 0x1000
.LBB993_465:                            ; =>This Inner Loop Header: Depth=1
	ds_read_b64 v[6:7], v2
	v_add_u32_e32 v0, 0x200, v0
	v_cmp_le_u32_e32 vcc, s26, v0
	v_add_u32_e32 v2, 0x1000, v2
	s_or_b64 s[2:3], vcc, s[2:3]
	s_waitcnt lgkmcnt(0)
	global_store_dwordx2 v[4:5], v[6:7], off
	v_lshl_add_u64 v[4:5], v[4:5], 0, s[4:5]
	s_andn2_b64 exec, exec, s[2:3]
	s_cbranch_execnz .LBB993_465
.LBB993_466:
	s_or_b64 exec, exec, s[0:1]
	s_and_b64 s[0:1], s[18:19], s[24:25]
	s_and_saveexec_b64 s[2:3], s[0:1]
	s_cbranch_execz .LBB993_426
.LBB993_467:
	s_add_u32 s0, s22, s26
	s_addc_u32 s1, s23, 0
	s_add_u32 s0, s0, s16
	s_addc_u32 s1, s1, 0
	v_mov_b32_e32 v2, 0
	v_mov_b64_e32 v[0:1], s[0:1]
	global_store_dwordx2 v2, v[0:1], s[20:21]
	s_endpgm
	.section	.rodata,"a",@progbits
	.p2align	6, 0x0
	.amdhsa_kernel _ZN7rocprim17ROCPRIM_400000_NS6detail17trampoline_kernelINS0_14default_configENS1_25partition_config_selectorILNS1_17partition_subalgoE9EllbEEZZNS1_14partition_implILS5_9ELb0ES3_jPlS8_PNS0_10empty_typeENS0_5tupleIJS8_S9_EEENSB_IJS8_SA_EEENS0_18inequality_wrapperIZN2at6native12_GLOBAL__N_124unique_dim_cuda_templateIfEESt5tupleIJNSF_6TensorESK_SK_EERKSK_lbbbEUlllE0_EEPmJS9_EEE10hipError_tPvRmT3_T4_T5_T6_T7_T9_mT8_P12ihipStream_tbDpT10_ENKUlT_T0_E_clISt17integral_constantIbLb0EES19_IbLb1EEEEDaS15_S16_EUlS15_E_NS1_11comp_targetILNS1_3genE5ELNS1_11target_archE942ELNS1_3gpuE9ELNS1_3repE0EEENS1_30default_config_static_selectorELNS0_4arch9wavefront6targetE1EEEvT1_
		.amdhsa_group_segment_fixed_size 28684
		.amdhsa_private_segment_fixed_size 0
		.amdhsa_kernarg_size 136
		.amdhsa_user_sgpr_count 2
		.amdhsa_user_sgpr_dispatch_ptr 0
		.amdhsa_user_sgpr_queue_ptr 0
		.amdhsa_user_sgpr_kernarg_segment_ptr 1
		.amdhsa_user_sgpr_dispatch_id 0
		.amdhsa_user_sgpr_kernarg_preload_length 0
		.amdhsa_user_sgpr_kernarg_preload_offset 0
		.amdhsa_user_sgpr_private_segment_size 0
		.amdhsa_uses_dynamic_stack 0
		.amdhsa_enable_private_segment 0
		.amdhsa_system_sgpr_workgroup_id_x 1
		.amdhsa_system_sgpr_workgroup_id_y 0
		.amdhsa_system_sgpr_workgroup_id_z 0
		.amdhsa_system_sgpr_workgroup_info 0
		.amdhsa_system_vgpr_workitem_id 0
		.amdhsa_next_free_vgpr 66
		.amdhsa_next_free_sgpr 58
		.amdhsa_accum_offset 68
		.amdhsa_reserve_vcc 1
		.amdhsa_float_round_mode_32 0
		.amdhsa_float_round_mode_16_64 0
		.amdhsa_float_denorm_mode_32 3
		.amdhsa_float_denorm_mode_16_64 3
		.amdhsa_dx10_clamp 1
		.amdhsa_ieee_mode 1
		.amdhsa_fp16_overflow 0
		.amdhsa_tg_split 0
		.amdhsa_exception_fp_ieee_invalid_op 0
		.amdhsa_exception_fp_denorm_src 0
		.amdhsa_exception_fp_ieee_div_zero 0
		.amdhsa_exception_fp_ieee_overflow 0
		.amdhsa_exception_fp_ieee_underflow 0
		.amdhsa_exception_fp_ieee_inexact 0
		.amdhsa_exception_int_div_zero 0
	.end_amdhsa_kernel
	.section	.text._ZN7rocprim17ROCPRIM_400000_NS6detail17trampoline_kernelINS0_14default_configENS1_25partition_config_selectorILNS1_17partition_subalgoE9EllbEEZZNS1_14partition_implILS5_9ELb0ES3_jPlS8_PNS0_10empty_typeENS0_5tupleIJS8_S9_EEENSB_IJS8_SA_EEENS0_18inequality_wrapperIZN2at6native12_GLOBAL__N_124unique_dim_cuda_templateIfEESt5tupleIJNSF_6TensorESK_SK_EERKSK_lbbbEUlllE0_EEPmJS9_EEE10hipError_tPvRmT3_T4_T5_T6_T7_T9_mT8_P12ihipStream_tbDpT10_ENKUlT_T0_E_clISt17integral_constantIbLb0EES19_IbLb1EEEEDaS15_S16_EUlS15_E_NS1_11comp_targetILNS1_3genE5ELNS1_11target_archE942ELNS1_3gpuE9ELNS1_3repE0EEENS1_30default_config_static_selectorELNS0_4arch9wavefront6targetE1EEEvT1_,"axG",@progbits,_ZN7rocprim17ROCPRIM_400000_NS6detail17trampoline_kernelINS0_14default_configENS1_25partition_config_selectorILNS1_17partition_subalgoE9EllbEEZZNS1_14partition_implILS5_9ELb0ES3_jPlS8_PNS0_10empty_typeENS0_5tupleIJS8_S9_EEENSB_IJS8_SA_EEENS0_18inequality_wrapperIZN2at6native12_GLOBAL__N_124unique_dim_cuda_templateIfEESt5tupleIJNSF_6TensorESK_SK_EERKSK_lbbbEUlllE0_EEPmJS9_EEE10hipError_tPvRmT3_T4_T5_T6_T7_T9_mT8_P12ihipStream_tbDpT10_ENKUlT_T0_E_clISt17integral_constantIbLb0EES19_IbLb1EEEEDaS15_S16_EUlS15_E_NS1_11comp_targetILNS1_3genE5ELNS1_11target_archE942ELNS1_3gpuE9ELNS1_3repE0EEENS1_30default_config_static_selectorELNS0_4arch9wavefront6targetE1EEEvT1_,comdat
.Lfunc_end993:
	.size	_ZN7rocprim17ROCPRIM_400000_NS6detail17trampoline_kernelINS0_14default_configENS1_25partition_config_selectorILNS1_17partition_subalgoE9EllbEEZZNS1_14partition_implILS5_9ELb0ES3_jPlS8_PNS0_10empty_typeENS0_5tupleIJS8_S9_EEENSB_IJS8_SA_EEENS0_18inequality_wrapperIZN2at6native12_GLOBAL__N_124unique_dim_cuda_templateIfEESt5tupleIJNSF_6TensorESK_SK_EERKSK_lbbbEUlllE0_EEPmJS9_EEE10hipError_tPvRmT3_T4_T5_T6_T7_T9_mT8_P12ihipStream_tbDpT10_ENKUlT_T0_E_clISt17integral_constantIbLb0EES19_IbLb1EEEEDaS15_S16_EUlS15_E_NS1_11comp_targetILNS1_3genE5ELNS1_11target_archE942ELNS1_3gpuE9ELNS1_3repE0EEENS1_30default_config_static_selectorELNS0_4arch9wavefront6targetE1EEEvT1_, .Lfunc_end993-_ZN7rocprim17ROCPRIM_400000_NS6detail17trampoline_kernelINS0_14default_configENS1_25partition_config_selectorILNS1_17partition_subalgoE9EllbEEZZNS1_14partition_implILS5_9ELb0ES3_jPlS8_PNS0_10empty_typeENS0_5tupleIJS8_S9_EEENSB_IJS8_SA_EEENS0_18inequality_wrapperIZN2at6native12_GLOBAL__N_124unique_dim_cuda_templateIfEESt5tupleIJNSF_6TensorESK_SK_EERKSK_lbbbEUlllE0_EEPmJS9_EEE10hipError_tPvRmT3_T4_T5_T6_T7_T9_mT8_P12ihipStream_tbDpT10_ENKUlT_T0_E_clISt17integral_constantIbLb0EES19_IbLb1EEEEDaS15_S16_EUlS15_E_NS1_11comp_targetILNS1_3genE5ELNS1_11target_archE942ELNS1_3gpuE9ELNS1_3repE0EEENS1_30default_config_static_selectorELNS0_4arch9wavefront6targetE1EEEvT1_
                                        ; -- End function
	.section	.AMDGPU.csdata,"",@progbits
; Kernel info:
; codeLenInByte = 14484
; NumSgprs: 64
; NumVgprs: 66
; NumAgprs: 0
; TotalNumVgprs: 66
; ScratchSize: 0
; MemoryBound: 0
; FloatMode: 240
; IeeeMode: 1
; LDSByteSize: 28684 bytes/workgroup (compile time only)
; SGPRBlocks: 7
; VGPRBlocks: 8
; NumSGPRsForWavesPerEU: 64
; NumVGPRsForWavesPerEU: 66
; AccumOffset: 68
; Occupancy: 4
; WaveLimiterHint : 1
; COMPUTE_PGM_RSRC2:SCRATCH_EN: 0
; COMPUTE_PGM_RSRC2:USER_SGPR: 2
; COMPUTE_PGM_RSRC2:TRAP_HANDLER: 0
; COMPUTE_PGM_RSRC2:TGID_X_EN: 1
; COMPUTE_PGM_RSRC2:TGID_Y_EN: 0
; COMPUTE_PGM_RSRC2:TGID_Z_EN: 0
; COMPUTE_PGM_RSRC2:TIDIG_COMP_CNT: 0
; COMPUTE_PGM_RSRC3_GFX90A:ACCUM_OFFSET: 16
; COMPUTE_PGM_RSRC3_GFX90A:TG_SPLIT: 0
	.section	.text._ZN7rocprim17ROCPRIM_400000_NS6detail17trampoline_kernelINS0_14default_configENS1_25partition_config_selectorILNS1_17partition_subalgoE9EllbEEZZNS1_14partition_implILS5_9ELb0ES3_jPlS8_PNS0_10empty_typeENS0_5tupleIJS8_S9_EEENSB_IJS8_SA_EEENS0_18inequality_wrapperIZN2at6native12_GLOBAL__N_124unique_dim_cuda_templateIfEESt5tupleIJNSF_6TensorESK_SK_EERKSK_lbbbEUlllE0_EEPmJS9_EEE10hipError_tPvRmT3_T4_T5_T6_T7_T9_mT8_P12ihipStream_tbDpT10_ENKUlT_T0_E_clISt17integral_constantIbLb0EES19_IbLb1EEEEDaS15_S16_EUlS15_E_NS1_11comp_targetILNS1_3genE4ELNS1_11target_archE910ELNS1_3gpuE8ELNS1_3repE0EEENS1_30default_config_static_selectorELNS0_4arch9wavefront6targetE1EEEvT1_,"axG",@progbits,_ZN7rocprim17ROCPRIM_400000_NS6detail17trampoline_kernelINS0_14default_configENS1_25partition_config_selectorILNS1_17partition_subalgoE9EllbEEZZNS1_14partition_implILS5_9ELb0ES3_jPlS8_PNS0_10empty_typeENS0_5tupleIJS8_S9_EEENSB_IJS8_SA_EEENS0_18inequality_wrapperIZN2at6native12_GLOBAL__N_124unique_dim_cuda_templateIfEESt5tupleIJNSF_6TensorESK_SK_EERKSK_lbbbEUlllE0_EEPmJS9_EEE10hipError_tPvRmT3_T4_T5_T6_T7_T9_mT8_P12ihipStream_tbDpT10_ENKUlT_T0_E_clISt17integral_constantIbLb0EES19_IbLb1EEEEDaS15_S16_EUlS15_E_NS1_11comp_targetILNS1_3genE4ELNS1_11target_archE910ELNS1_3gpuE8ELNS1_3repE0EEENS1_30default_config_static_selectorELNS0_4arch9wavefront6targetE1EEEvT1_,comdat
	.globl	_ZN7rocprim17ROCPRIM_400000_NS6detail17trampoline_kernelINS0_14default_configENS1_25partition_config_selectorILNS1_17partition_subalgoE9EllbEEZZNS1_14partition_implILS5_9ELb0ES3_jPlS8_PNS0_10empty_typeENS0_5tupleIJS8_S9_EEENSB_IJS8_SA_EEENS0_18inequality_wrapperIZN2at6native12_GLOBAL__N_124unique_dim_cuda_templateIfEESt5tupleIJNSF_6TensorESK_SK_EERKSK_lbbbEUlllE0_EEPmJS9_EEE10hipError_tPvRmT3_T4_T5_T6_T7_T9_mT8_P12ihipStream_tbDpT10_ENKUlT_T0_E_clISt17integral_constantIbLb0EES19_IbLb1EEEEDaS15_S16_EUlS15_E_NS1_11comp_targetILNS1_3genE4ELNS1_11target_archE910ELNS1_3gpuE8ELNS1_3repE0EEENS1_30default_config_static_selectorELNS0_4arch9wavefront6targetE1EEEvT1_ ; -- Begin function _ZN7rocprim17ROCPRIM_400000_NS6detail17trampoline_kernelINS0_14default_configENS1_25partition_config_selectorILNS1_17partition_subalgoE9EllbEEZZNS1_14partition_implILS5_9ELb0ES3_jPlS8_PNS0_10empty_typeENS0_5tupleIJS8_S9_EEENSB_IJS8_SA_EEENS0_18inequality_wrapperIZN2at6native12_GLOBAL__N_124unique_dim_cuda_templateIfEESt5tupleIJNSF_6TensorESK_SK_EERKSK_lbbbEUlllE0_EEPmJS9_EEE10hipError_tPvRmT3_T4_T5_T6_T7_T9_mT8_P12ihipStream_tbDpT10_ENKUlT_T0_E_clISt17integral_constantIbLb0EES19_IbLb1EEEEDaS15_S16_EUlS15_E_NS1_11comp_targetILNS1_3genE4ELNS1_11target_archE910ELNS1_3gpuE8ELNS1_3repE0EEENS1_30default_config_static_selectorELNS0_4arch9wavefront6targetE1EEEvT1_
	.p2align	8
	.type	_ZN7rocprim17ROCPRIM_400000_NS6detail17trampoline_kernelINS0_14default_configENS1_25partition_config_selectorILNS1_17partition_subalgoE9EllbEEZZNS1_14partition_implILS5_9ELb0ES3_jPlS8_PNS0_10empty_typeENS0_5tupleIJS8_S9_EEENSB_IJS8_SA_EEENS0_18inequality_wrapperIZN2at6native12_GLOBAL__N_124unique_dim_cuda_templateIfEESt5tupleIJNSF_6TensorESK_SK_EERKSK_lbbbEUlllE0_EEPmJS9_EEE10hipError_tPvRmT3_T4_T5_T6_T7_T9_mT8_P12ihipStream_tbDpT10_ENKUlT_T0_E_clISt17integral_constantIbLb0EES19_IbLb1EEEEDaS15_S16_EUlS15_E_NS1_11comp_targetILNS1_3genE4ELNS1_11target_archE910ELNS1_3gpuE8ELNS1_3repE0EEENS1_30default_config_static_selectorELNS0_4arch9wavefront6targetE1EEEvT1_,@function
_ZN7rocprim17ROCPRIM_400000_NS6detail17trampoline_kernelINS0_14default_configENS1_25partition_config_selectorILNS1_17partition_subalgoE9EllbEEZZNS1_14partition_implILS5_9ELb0ES3_jPlS8_PNS0_10empty_typeENS0_5tupleIJS8_S9_EEENSB_IJS8_SA_EEENS0_18inequality_wrapperIZN2at6native12_GLOBAL__N_124unique_dim_cuda_templateIfEESt5tupleIJNSF_6TensorESK_SK_EERKSK_lbbbEUlllE0_EEPmJS9_EEE10hipError_tPvRmT3_T4_T5_T6_T7_T9_mT8_P12ihipStream_tbDpT10_ENKUlT_T0_E_clISt17integral_constantIbLb0EES19_IbLb1EEEEDaS15_S16_EUlS15_E_NS1_11comp_targetILNS1_3genE4ELNS1_11target_archE910ELNS1_3gpuE8ELNS1_3repE0EEENS1_30default_config_static_selectorELNS0_4arch9wavefront6targetE1EEEvT1_: ; @_ZN7rocprim17ROCPRIM_400000_NS6detail17trampoline_kernelINS0_14default_configENS1_25partition_config_selectorILNS1_17partition_subalgoE9EllbEEZZNS1_14partition_implILS5_9ELb0ES3_jPlS8_PNS0_10empty_typeENS0_5tupleIJS8_S9_EEENSB_IJS8_SA_EEENS0_18inequality_wrapperIZN2at6native12_GLOBAL__N_124unique_dim_cuda_templateIfEESt5tupleIJNSF_6TensorESK_SK_EERKSK_lbbbEUlllE0_EEPmJS9_EEE10hipError_tPvRmT3_T4_T5_T6_T7_T9_mT8_P12ihipStream_tbDpT10_ENKUlT_T0_E_clISt17integral_constantIbLb0EES19_IbLb1EEEEDaS15_S16_EUlS15_E_NS1_11comp_targetILNS1_3genE4ELNS1_11target_archE910ELNS1_3gpuE8ELNS1_3repE0EEENS1_30default_config_static_selectorELNS0_4arch9wavefront6targetE1EEEvT1_
; %bb.0:
	.section	.rodata,"a",@progbits
	.p2align	6, 0x0
	.amdhsa_kernel _ZN7rocprim17ROCPRIM_400000_NS6detail17trampoline_kernelINS0_14default_configENS1_25partition_config_selectorILNS1_17partition_subalgoE9EllbEEZZNS1_14partition_implILS5_9ELb0ES3_jPlS8_PNS0_10empty_typeENS0_5tupleIJS8_S9_EEENSB_IJS8_SA_EEENS0_18inequality_wrapperIZN2at6native12_GLOBAL__N_124unique_dim_cuda_templateIfEESt5tupleIJNSF_6TensorESK_SK_EERKSK_lbbbEUlllE0_EEPmJS9_EEE10hipError_tPvRmT3_T4_T5_T6_T7_T9_mT8_P12ihipStream_tbDpT10_ENKUlT_T0_E_clISt17integral_constantIbLb0EES19_IbLb1EEEEDaS15_S16_EUlS15_E_NS1_11comp_targetILNS1_3genE4ELNS1_11target_archE910ELNS1_3gpuE8ELNS1_3repE0EEENS1_30default_config_static_selectorELNS0_4arch9wavefront6targetE1EEEvT1_
		.amdhsa_group_segment_fixed_size 0
		.amdhsa_private_segment_fixed_size 0
		.amdhsa_kernarg_size 136
		.amdhsa_user_sgpr_count 2
		.amdhsa_user_sgpr_dispatch_ptr 0
		.amdhsa_user_sgpr_queue_ptr 0
		.amdhsa_user_sgpr_kernarg_segment_ptr 1
		.amdhsa_user_sgpr_dispatch_id 0
		.amdhsa_user_sgpr_kernarg_preload_length 0
		.amdhsa_user_sgpr_kernarg_preload_offset 0
		.amdhsa_user_sgpr_private_segment_size 0
		.amdhsa_uses_dynamic_stack 0
		.amdhsa_enable_private_segment 0
		.amdhsa_system_sgpr_workgroup_id_x 1
		.amdhsa_system_sgpr_workgroup_id_y 0
		.amdhsa_system_sgpr_workgroup_id_z 0
		.amdhsa_system_sgpr_workgroup_info 0
		.amdhsa_system_vgpr_workitem_id 0
		.amdhsa_next_free_vgpr 1
		.amdhsa_next_free_sgpr 0
		.amdhsa_accum_offset 4
		.amdhsa_reserve_vcc 0
		.amdhsa_float_round_mode_32 0
		.amdhsa_float_round_mode_16_64 0
		.amdhsa_float_denorm_mode_32 3
		.amdhsa_float_denorm_mode_16_64 3
		.amdhsa_dx10_clamp 1
		.amdhsa_ieee_mode 1
		.amdhsa_fp16_overflow 0
		.amdhsa_tg_split 0
		.amdhsa_exception_fp_ieee_invalid_op 0
		.amdhsa_exception_fp_denorm_src 0
		.amdhsa_exception_fp_ieee_div_zero 0
		.amdhsa_exception_fp_ieee_overflow 0
		.amdhsa_exception_fp_ieee_underflow 0
		.amdhsa_exception_fp_ieee_inexact 0
		.amdhsa_exception_int_div_zero 0
	.end_amdhsa_kernel
	.section	.text._ZN7rocprim17ROCPRIM_400000_NS6detail17trampoline_kernelINS0_14default_configENS1_25partition_config_selectorILNS1_17partition_subalgoE9EllbEEZZNS1_14partition_implILS5_9ELb0ES3_jPlS8_PNS0_10empty_typeENS0_5tupleIJS8_S9_EEENSB_IJS8_SA_EEENS0_18inequality_wrapperIZN2at6native12_GLOBAL__N_124unique_dim_cuda_templateIfEESt5tupleIJNSF_6TensorESK_SK_EERKSK_lbbbEUlllE0_EEPmJS9_EEE10hipError_tPvRmT3_T4_T5_T6_T7_T9_mT8_P12ihipStream_tbDpT10_ENKUlT_T0_E_clISt17integral_constantIbLb0EES19_IbLb1EEEEDaS15_S16_EUlS15_E_NS1_11comp_targetILNS1_3genE4ELNS1_11target_archE910ELNS1_3gpuE8ELNS1_3repE0EEENS1_30default_config_static_selectorELNS0_4arch9wavefront6targetE1EEEvT1_,"axG",@progbits,_ZN7rocprim17ROCPRIM_400000_NS6detail17trampoline_kernelINS0_14default_configENS1_25partition_config_selectorILNS1_17partition_subalgoE9EllbEEZZNS1_14partition_implILS5_9ELb0ES3_jPlS8_PNS0_10empty_typeENS0_5tupleIJS8_S9_EEENSB_IJS8_SA_EEENS0_18inequality_wrapperIZN2at6native12_GLOBAL__N_124unique_dim_cuda_templateIfEESt5tupleIJNSF_6TensorESK_SK_EERKSK_lbbbEUlllE0_EEPmJS9_EEE10hipError_tPvRmT3_T4_T5_T6_T7_T9_mT8_P12ihipStream_tbDpT10_ENKUlT_T0_E_clISt17integral_constantIbLb0EES19_IbLb1EEEEDaS15_S16_EUlS15_E_NS1_11comp_targetILNS1_3genE4ELNS1_11target_archE910ELNS1_3gpuE8ELNS1_3repE0EEENS1_30default_config_static_selectorELNS0_4arch9wavefront6targetE1EEEvT1_,comdat
.Lfunc_end994:
	.size	_ZN7rocprim17ROCPRIM_400000_NS6detail17trampoline_kernelINS0_14default_configENS1_25partition_config_selectorILNS1_17partition_subalgoE9EllbEEZZNS1_14partition_implILS5_9ELb0ES3_jPlS8_PNS0_10empty_typeENS0_5tupleIJS8_S9_EEENSB_IJS8_SA_EEENS0_18inequality_wrapperIZN2at6native12_GLOBAL__N_124unique_dim_cuda_templateIfEESt5tupleIJNSF_6TensorESK_SK_EERKSK_lbbbEUlllE0_EEPmJS9_EEE10hipError_tPvRmT3_T4_T5_T6_T7_T9_mT8_P12ihipStream_tbDpT10_ENKUlT_T0_E_clISt17integral_constantIbLb0EES19_IbLb1EEEEDaS15_S16_EUlS15_E_NS1_11comp_targetILNS1_3genE4ELNS1_11target_archE910ELNS1_3gpuE8ELNS1_3repE0EEENS1_30default_config_static_selectorELNS0_4arch9wavefront6targetE1EEEvT1_, .Lfunc_end994-_ZN7rocprim17ROCPRIM_400000_NS6detail17trampoline_kernelINS0_14default_configENS1_25partition_config_selectorILNS1_17partition_subalgoE9EllbEEZZNS1_14partition_implILS5_9ELb0ES3_jPlS8_PNS0_10empty_typeENS0_5tupleIJS8_S9_EEENSB_IJS8_SA_EEENS0_18inequality_wrapperIZN2at6native12_GLOBAL__N_124unique_dim_cuda_templateIfEESt5tupleIJNSF_6TensorESK_SK_EERKSK_lbbbEUlllE0_EEPmJS9_EEE10hipError_tPvRmT3_T4_T5_T6_T7_T9_mT8_P12ihipStream_tbDpT10_ENKUlT_T0_E_clISt17integral_constantIbLb0EES19_IbLb1EEEEDaS15_S16_EUlS15_E_NS1_11comp_targetILNS1_3genE4ELNS1_11target_archE910ELNS1_3gpuE8ELNS1_3repE0EEENS1_30default_config_static_selectorELNS0_4arch9wavefront6targetE1EEEvT1_
                                        ; -- End function
	.section	.AMDGPU.csdata,"",@progbits
; Kernel info:
; codeLenInByte = 0
; NumSgprs: 6
; NumVgprs: 0
; NumAgprs: 0
; TotalNumVgprs: 0
; ScratchSize: 0
; MemoryBound: 0
; FloatMode: 240
; IeeeMode: 1
; LDSByteSize: 0 bytes/workgroup (compile time only)
; SGPRBlocks: 0
; VGPRBlocks: 0
; NumSGPRsForWavesPerEU: 6
; NumVGPRsForWavesPerEU: 1
; AccumOffset: 4
; Occupancy: 8
; WaveLimiterHint : 0
; COMPUTE_PGM_RSRC2:SCRATCH_EN: 0
; COMPUTE_PGM_RSRC2:USER_SGPR: 2
; COMPUTE_PGM_RSRC2:TRAP_HANDLER: 0
; COMPUTE_PGM_RSRC2:TGID_X_EN: 1
; COMPUTE_PGM_RSRC2:TGID_Y_EN: 0
; COMPUTE_PGM_RSRC2:TGID_Z_EN: 0
; COMPUTE_PGM_RSRC2:TIDIG_COMP_CNT: 0
; COMPUTE_PGM_RSRC3_GFX90A:ACCUM_OFFSET: 0
; COMPUTE_PGM_RSRC3_GFX90A:TG_SPLIT: 0
	.section	.text._ZN7rocprim17ROCPRIM_400000_NS6detail17trampoline_kernelINS0_14default_configENS1_25partition_config_selectorILNS1_17partition_subalgoE9EllbEEZZNS1_14partition_implILS5_9ELb0ES3_jPlS8_PNS0_10empty_typeENS0_5tupleIJS8_S9_EEENSB_IJS8_SA_EEENS0_18inequality_wrapperIZN2at6native12_GLOBAL__N_124unique_dim_cuda_templateIfEESt5tupleIJNSF_6TensorESK_SK_EERKSK_lbbbEUlllE0_EEPmJS9_EEE10hipError_tPvRmT3_T4_T5_T6_T7_T9_mT8_P12ihipStream_tbDpT10_ENKUlT_T0_E_clISt17integral_constantIbLb0EES19_IbLb1EEEEDaS15_S16_EUlS15_E_NS1_11comp_targetILNS1_3genE3ELNS1_11target_archE908ELNS1_3gpuE7ELNS1_3repE0EEENS1_30default_config_static_selectorELNS0_4arch9wavefront6targetE1EEEvT1_,"axG",@progbits,_ZN7rocprim17ROCPRIM_400000_NS6detail17trampoline_kernelINS0_14default_configENS1_25partition_config_selectorILNS1_17partition_subalgoE9EllbEEZZNS1_14partition_implILS5_9ELb0ES3_jPlS8_PNS0_10empty_typeENS0_5tupleIJS8_S9_EEENSB_IJS8_SA_EEENS0_18inequality_wrapperIZN2at6native12_GLOBAL__N_124unique_dim_cuda_templateIfEESt5tupleIJNSF_6TensorESK_SK_EERKSK_lbbbEUlllE0_EEPmJS9_EEE10hipError_tPvRmT3_T4_T5_T6_T7_T9_mT8_P12ihipStream_tbDpT10_ENKUlT_T0_E_clISt17integral_constantIbLb0EES19_IbLb1EEEEDaS15_S16_EUlS15_E_NS1_11comp_targetILNS1_3genE3ELNS1_11target_archE908ELNS1_3gpuE7ELNS1_3repE0EEENS1_30default_config_static_selectorELNS0_4arch9wavefront6targetE1EEEvT1_,comdat
	.globl	_ZN7rocprim17ROCPRIM_400000_NS6detail17trampoline_kernelINS0_14default_configENS1_25partition_config_selectorILNS1_17partition_subalgoE9EllbEEZZNS1_14partition_implILS5_9ELb0ES3_jPlS8_PNS0_10empty_typeENS0_5tupleIJS8_S9_EEENSB_IJS8_SA_EEENS0_18inequality_wrapperIZN2at6native12_GLOBAL__N_124unique_dim_cuda_templateIfEESt5tupleIJNSF_6TensorESK_SK_EERKSK_lbbbEUlllE0_EEPmJS9_EEE10hipError_tPvRmT3_T4_T5_T6_T7_T9_mT8_P12ihipStream_tbDpT10_ENKUlT_T0_E_clISt17integral_constantIbLb0EES19_IbLb1EEEEDaS15_S16_EUlS15_E_NS1_11comp_targetILNS1_3genE3ELNS1_11target_archE908ELNS1_3gpuE7ELNS1_3repE0EEENS1_30default_config_static_selectorELNS0_4arch9wavefront6targetE1EEEvT1_ ; -- Begin function _ZN7rocprim17ROCPRIM_400000_NS6detail17trampoline_kernelINS0_14default_configENS1_25partition_config_selectorILNS1_17partition_subalgoE9EllbEEZZNS1_14partition_implILS5_9ELb0ES3_jPlS8_PNS0_10empty_typeENS0_5tupleIJS8_S9_EEENSB_IJS8_SA_EEENS0_18inequality_wrapperIZN2at6native12_GLOBAL__N_124unique_dim_cuda_templateIfEESt5tupleIJNSF_6TensorESK_SK_EERKSK_lbbbEUlllE0_EEPmJS9_EEE10hipError_tPvRmT3_T4_T5_T6_T7_T9_mT8_P12ihipStream_tbDpT10_ENKUlT_T0_E_clISt17integral_constantIbLb0EES19_IbLb1EEEEDaS15_S16_EUlS15_E_NS1_11comp_targetILNS1_3genE3ELNS1_11target_archE908ELNS1_3gpuE7ELNS1_3repE0EEENS1_30default_config_static_selectorELNS0_4arch9wavefront6targetE1EEEvT1_
	.p2align	8
	.type	_ZN7rocprim17ROCPRIM_400000_NS6detail17trampoline_kernelINS0_14default_configENS1_25partition_config_selectorILNS1_17partition_subalgoE9EllbEEZZNS1_14partition_implILS5_9ELb0ES3_jPlS8_PNS0_10empty_typeENS0_5tupleIJS8_S9_EEENSB_IJS8_SA_EEENS0_18inequality_wrapperIZN2at6native12_GLOBAL__N_124unique_dim_cuda_templateIfEESt5tupleIJNSF_6TensorESK_SK_EERKSK_lbbbEUlllE0_EEPmJS9_EEE10hipError_tPvRmT3_T4_T5_T6_T7_T9_mT8_P12ihipStream_tbDpT10_ENKUlT_T0_E_clISt17integral_constantIbLb0EES19_IbLb1EEEEDaS15_S16_EUlS15_E_NS1_11comp_targetILNS1_3genE3ELNS1_11target_archE908ELNS1_3gpuE7ELNS1_3repE0EEENS1_30default_config_static_selectorELNS0_4arch9wavefront6targetE1EEEvT1_,@function
_ZN7rocprim17ROCPRIM_400000_NS6detail17trampoline_kernelINS0_14default_configENS1_25partition_config_selectorILNS1_17partition_subalgoE9EllbEEZZNS1_14partition_implILS5_9ELb0ES3_jPlS8_PNS0_10empty_typeENS0_5tupleIJS8_S9_EEENSB_IJS8_SA_EEENS0_18inequality_wrapperIZN2at6native12_GLOBAL__N_124unique_dim_cuda_templateIfEESt5tupleIJNSF_6TensorESK_SK_EERKSK_lbbbEUlllE0_EEPmJS9_EEE10hipError_tPvRmT3_T4_T5_T6_T7_T9_mT8_P12ihipStream_tbDpT10_ENKUlT_T0_E_clISt17integral_constantIbLb0EES19_IbLb1EEEEDaS15_S16_EUlS15_E_NS1_11comp_targetILNS1_3genE3ELNS1_11target_archE908ELNS1_3gpuE7ELNS1_3repE0EEENS1_30default_config_static_selectorELNS0_4arch9wavefront6targetE1EEEvT1_: ; @_ZN7rocprim17ROCPRIM_400000_NS6detail17trampoline_kernelINS0_14default_configENS1_25partition_config_selectorILNS1_17partition_subalgoE9EllbEEZZNS1_14partition_implILS5_9ELb0ES3_jPlS8_PNS0_10empty_typeENS0_5tupleIJS8_S9_EEENSB_IJS8_SA_EEENS0_18inequality_wrapperIZN2at6native12_GLOBAL__N_124unique_dim_cuda_templateIfEESt5tupleIJNSF_6TensorESK_SK_EERKSK_lbbbEUlllE0_EEPmJS9_EEE10hipError_tPvRmT3_T4_T5_T6_T7_T9_mT8_P12ihipStream_tbDpT10_ENKUlT_T0_E_clISt17integral_constantIbLb0EES19_IbLb1EEEEDaS15_S16_EUlS15_E_NS1_11comp_targetILNS1_3genE3ELNS1_11target_archE908ELNS1_3gpuE7ELNS1_3repE0EEENS1_30default_config_static_selectorELNS0_4arch9wavefront6targetE1EEEvT1_
; %bb.0:
	.section	.rodata,"a",@progbits
	.p2align	6, 0x0
	.amdhsa_kernel _ZN7rocprim17ROCPRIM_400000_NS6detail17trampoline_kernelINS0_14default_configENS1_25partition_config_selectorILNS1_17partition_subalgoE9EllbEEZZNS1_14partition_implILS5_9ELb0ES3_jPlS8_PNS0_10empty_typeENS0_5tupleIJS8_S9_EEENSB_IJS8_SA_EEENS0_18inequality_wrapperIZN2at6native12_GLOBAL__N_124unique_dim_cuda_templateIfEESt5tupleIJNSF_6TensorESK_SK_EERKSK_lbbbEUlllE0_EEPmJS9_EEE10hipError_tPvRmT3_T4_T5_T6_T7_T9_mT8_P12ihipStream_tbDpT10_ENKUlT_T0_E_clISt17integral_constantIbLb0EES19_IbLb1EEEEDaS15_S16_EUlS15_E_NS1_11comp_targetILNS1_3genE3ELNS1_11target_archE908ELNS1_3gpuE7ELNS1_3repE0EEENS1_30default_config_static_selectorELNS0_4arch9wavefront6targetE1EEEvT1_
		.amdhsa_group_segment_fixed_size 0
		.amdhsa_private_segment_fixed_size 0
		.amdhsa_kernarg_size 136
		.amdhsa_user_sgpr_count 2
		.amdhsa_user_sgpr_dispatch_ptr 0
		.amdhsa_user_sgpr_queue_ptr 0
		.amdhsa_user_sgpr_kernarg_segment_ptr 1
		.amdhsa_user_sgpr_dispatch_id 0
		.amdhsa_user_sgpr_kernarg_preload_length 0
		.amdhsa_user_sgpr_kernarg_preload_offset 0
		.amdhsa_user_sgpr_private_segment_size 0
		.amdhsa_uses_dynamic_stack 0
		.amdhsa_enable_private_segment 0
		.amdhsa_system_sgpr_workgroup_id_x 1
		.amdhsa_system_sgpr_workgroup_id_y 0
		.amdhsa_system_sgpr_workgroup_id_z 0
		.amdhsa_system_sgpr_workgroup_info 0
		.amdhsa_system_vgpr_workitem_id 0
		.amdhsa_next_free_vgpr 1
		.amdhsa_next_free_sgpr 0
		.amdhsa_accum_offset 4
		.amdhsa_reserve_vcc 0
		.amdhsa_float_round_mode_32 0
		.amdhsa_float_round_mode_16_64 0
		.amdhsa_float_denorm_mode_32 3
		.amdhsa_float_denorm_mode_16_64 3
		.amdhsa_dx10_clamp 1
		.amdhsa_ieee_mode 1
		.amdhsa_fp16_overflow 0
		.amdhsa_tg_split 0
		.amdhsa_exception_fp_ieee_invalid_op 0
		.amdhsa_exception_fp_denorm_src 0
		.amdhsa_exception_fp_ieee_div_zero 0
		.amdhsa_exception_fp_ieee_overflow 0
		.amdhsa_exception_fp_ieee_underflow 0
		.amdhsa_exception_fp_ieee_inexact 0
		.amdhsa_exception_int_div_zero 0
	.end_amdhsa_kernel
	.section	.text._ZN7rocprim17ROCPRIM_400000_NS6detail17trampoline_kernelINS0_14default_configENS1_25partition_config_selectorILNS1_17partition_subalgoE9EllbEEZZNS1_14partition_implILS5_9ELb0ES3_jPlS8_PNS0_10empty_typeENS0_5tupleIJS8_S9_EEENSB_IJS8_SA_EEENS0_18inequality_wrapperIZN2at6native12_GLOBAL__N_124unique_dim_cuda_templateIfEESt5tupleIJNSF_6TensorESK_SK_EERKSK_lbbbEUlllE0_EEPmJS9_EEE10hipError_tPvRmT3_T4_T5_T6_T7_T9_mT8_P12ihipStream_tbDpT10_ENKUlT_T0_E_clISt17integral_constantIbLb0EES19_IbLb1EEEEDaS15_S16_EUlS15_E_NS1_11comp_targetILNS1_3genE3ELNS1_11target_archE908ELNS1_3gpuE7ELNS1_3repE0EEENS1_30default_config_static_selectorELNS0_4arch9wavefront6targetE1EEEvT1_,"axG",@progbits,_ZN7rocprim17ROCPRIM_400000_NS6detail17trampoline_kernelINS0_14default_configENS1_25partition_config_selectorILNS1_17partition_subalgoE9EllbEEZZNS1_14partition_implILS5_9ELb0ES3_jPlS8_PNS0_10empty_typeENS0_5tupleIJS8_S9_EEENSB_IJS8_SA_EEENS0_18inequality_wrapperIZN2at6native12_GLOBAL__N_124unique_dim_cuda_templateIfEESt5tupleIJNSF_6TensorESK_SK_EERKSK_lbbbEUlllE0_EEPmJS9_EEE10hipError_tPvRmT3_T4_T5_T6_T7_T9_mT8_P12ihipStream_tbDpT10_ENKUlT_T0_E_clISt17integral_constantIbLb0EES19_IbLb1EEEEDaS15_S16_EUlS15_E_NS1_11comp_targetILNS1_3genE3ELNS1_11target_archE908ELNS1_3gpuE7ELNS1_3repE0EEENS1_30default_config_static_selectorELNS0_4arch9wavefront6targetE1EEEvT1_,comdat
.Lfunc_end995:
	.size	_ZN7rocprim17ROCPRIM_400000_NS6detail17trampoline_kernelINS0_14default_configENS1_25partition_config_selectorILNS1_17partition_subalgoE9EllbEEZZNS1_14partition_implILS5_9ELb0ES3_jPlS8_PNS0_10empty_typeENS0_5tupleIJS8_S9_EEENSB_IJS8_SA_EEENS0_18inequality_wrapperIZN2at6native12_GLOBAL__N_124unique_dim_cuda_templateIfEESt5tupleIJNSF_6TensorESK_SK_EERKSK_lbbbEUlllE0_EEPmJS9_EEE10hipError_tPvRmT3_T4_T5_T6_T7_T9_mT8_P12ihipStream_tbDpT10_ENKUlT_T0_E_clISt17integral_constantIbLb0EES19_IbLb1EEEEDaS15_S16_EUlS15_E_NS1_11comp_targetILNS1_3genE3ELNS1_11target_archE908ELNS1_3gpuE7ELNS1_3repE0EEENS1_30default_config_static_selectorELNS0_4arch9wavefront6targetE1EEEvT1_, .Lfunc_end995-_ZN7rocprim17ROCPRIM_400000_NS6detail17trampoline_kernelINS0_14default_configENS1_25partition_config_selectorILNS1_17partition_subalgoE9EllbEEZZNS1_14partition_implILS5_9ELb0ES3_jPlS8_PNS0_10empty_typeENS0_5tupleIJS8_S9_EEENSB_IJS8_SA_EEENS0_18inequality_wrapperIZN2at6native12_GLOBAL__N_124unique_dim_cuda_templateIfEESt5tupleIJNSF_6TensorESK_SK_EERKSK_lbbbEUlllE0_EEPmJS9_EEE10hipError_tPvRmT3_T4_T5_T6_T7_T9_mT8_P12ihipStream_tbDpT10_ENKUlT_T0_E_clISt17integral_constantIbLb0EES19_IbLb1EEEEDaS15_S16_EUlS15_E_NS1_11comp_targetILNS1_3genE3ELNS1_11target_archE908ELNS1_3gpuE7ELNS1_3repE0EEENS1_30default_config_static_selectorELNS0_4arch9wavefront6targetE1EEEvT1_
                                        ; -- End function
	.section	.AMDGPU.csdata,"",@progbits
; Kernel info:
; codeLenInByte = 0
; NumSgprs: 6
; NumVgprs: 0
; NumAgprs: 0
; TotalNumVgprs: 0
; ScratchSize: 0
; MemoryBound: 0
; FloatMode: 240
; IeeeMode: 1
; LDSByteSize: 0 bytes/workgroup (compile time only)
; SGPRBlocks: 0
; VGPRBlocks: 0
; NumSGPRsForWavesPerEU: 6
; NumVGPRsForWavesPerEU: 1
; AccumOffset: 4
; Occupancy: 8
; WaveLimiterHint : 0
; COMPUTE_PGM_RSRC2:SCRATCH_EN: 0
; COMPUTE_PGM_RSRC2:USER_SGPR: 2
; COMPUTE_PGM_RSRC2:TRAP_HANDLER: 0
; COMPUTE_PGM_RSRC2:TGID_X_EN: 1
; COMPUTE_PGM_RSRC2:TGID_Y_EN: 0
; COMPUTE_PGM_RSRC2:TGID_Z_EN: 0
; COMPUTE_PGM_RSRC2:TIDIG_COMP_CNT: 0
; COMPUTE_PGM_RSRC3_GFX90A:ACCUM_OFFSET: 0
; COMPUTE_PGM_RSRC3_GFX90A:TG_SPLIT: 0
	.section	.text._ZN7rocprim17ROCPRIM_400000_NS6detail17trampoline_kernelINS0_14default_configENS1_25partition_config_selectorILNS1_17partition_subalgoE9EllbEEZZNS1_14partition_implILS5_9ELb0ES3_jPlS8_PNS0_10empty_typeENS0_5tupleIJS8_S9_EEENSB_IJS8_SA_EEENS0_18inequality_wrapperIZN2at6native12_GLOBAL__N_124unique_dim_cuda_templateIfEESt5tupleIJNSF_6TensorESK_SK_EERKSK_lbbbEUlllE0_EEPmJS9_EEE10hipError_tPvRmT3_T4_T5_T6_T7_T9_mT8_P12ihipStream_tbDpT10_ENKUlT_T0_E_clISt17integral_constantIbLb0EES19_IbLb1EEEEDaS15_S16_EUlS15_E_NS1_11comp_targetILNS1_3genE2ELNS1_11target_archE906ELNS1_3gpuE6ELNS1_3repE0EEENS1_30default_config_static_selectorELNS0_4arch9wavefront6targetE1EEEvT1_,"axG",@progbits,_ZN7rocprim17ROCPRIM_400000_NS6detail17trampoline_kernelINS0_14default_configENS1_25partition_config_selectorILNS1_17partition_subalgoE9EllbEEZZNS1_14partition_implILS5_9ELb0ES3_jPlS8_PNS0_10empty_typeENS0_5tupleIJS8_S9_EEENSB_IJS8_SA_EEENS0_18inequality_wrapperIZN2at6native12_GLOBAL__N_124unique_dim_cuda_templateIfEESt5tupleIJNSF_6TensorESK_SK_EERKSK_lbbbEUlllE0_EEPmJS9_EEE10hipError_tPvRmT3_T4_T5_T6_T7_T9_mT8_P12ihipStream_tbDpT10_ENKUlT_T0_E_clISt17integral_constantIbLb0EES19_IbLb1EEEEDaS15_S16_EUlS15_E_NS1_11comp_targetILNS1_3genE2ELNS1_11target_archE906ELNS1_3gpuE6ELNS1_3repE0EEENS1_30default_config_static_selectorELNS0_4arch9wavefront6targetE1EEEvT1_,comdat
	.globl	_ZN7rocprim17ROCPRIM_400000_NS6detail17trampoline_kernelINS0_14default_configENS1_25partition_config_selectorILNS1_17partition_subalgoE9EllbEEZZNS1_14partition_implILS5_9ELb0ES3_jPlS8_PNS0_10empty_typeENS0_5tupleIJS8_S9_EEENSB_IJS8_SA_EEENS0_18inequality_wrapperIZN2at6native12_GLOBAL__N_124unique_dim_cuda_templateIfEESt5tupleIJNSF_6TensorESK_SK_EERKSK_lbbbEUlllE0_EEPmJS9_EEE10hipError_tPvRmT3_T4_T5_T6_T7_T9_mT8_P12ihipStream_tbDpT10_ENKUlT_T0_E_clISt17integral_constantIbLb0EES19_IbLb1EEEEDaS15_S16_EUlS15_E_NS1_11comp_targetILNS1_3genE2ELNS1_11target_archE906ELNS1_3gpuE6ELNS1_3repE0EEENS1_30default_config_static_selectorELNS0_4arch9wavefront6targetE1EEEvT1_ ; -- Begin function _ZN7rocprim17ROCPRIM_400000_NS6detail17trampoline_kernelINS0_14default_configENS1_25partition_config_selectorILNS1_17partition_subalgoE9EllbEEZZNS1_14partition_implILS5_9ELb0ES3_jPlS8_PNS0_10empty_typeENS0_5tupleIJS8_S9_EEENSB_IJS8_SA_EEENS0_18inequality_wrapperIZN2at6native12_GLOBAL__N_124unique_dim_cuda_templateIfEESt5tupleIJNSF_6TensorESK_SK_EERKSK_lbbbEUlllE0_EEPmJS9_EEE10hipError_tPvRmT3_T4_T5_T6_T7_T9_mT8_P12ihipStream_tbDpT10_ENKUlT_T0_E_clISt17integral_constantIbLb0EES19_IbLb1EEEEDaS15_S16_EUlS15_E_NS1_11comp_targetILNS1_3genE2ELNS1_11target_archE906ELNS1_3gpuE6ELNS1_3repE0EEENS1_30default_config_static_selectorELNS0_4arch9wavefront6targetE1EEEvT1_
	.p2align	8
	.type	_ZN7rocprim17ROCPRIM_400000_NS6detail17trampoline_kernelINS0_14default_configENS1_25partition_config_selectorILNS1_17partition_subalgoE9EllbEEZZNS1_14partition_implILS5_9ELb0ES3_jPlS8_PNS0_10empty_typeENS0_5tupleIJS8_S9_EEENSB_IJS8_SA_EEENS0_18inequality_wrapperIZN2at6native12_GLOBAL__N_124unique_dim_cuda_templateIfEESt5tupleIJNSF_6TensorESK_SK_EERKSK_lbbbEUlllE0_EEPmJS9_EEE10hipError_tPvRmT3_T4_T5_T6_T7_T9_mT8_P12ihipStream_tbDpT10_ENKUlT_T0_E_clISt17integral_constantIbLb0EES19_IbLb1EEEEDaS15_S16_EUlS15_E_NS1_11comp_targetILNS1_3genE2ELNS1_11target_archE906ELNS1_3gpuE6ELNS1_3repE0EEENS1_30default_config_static_selectorELNS0_4arch9wavefront6targetE1EEEvT1_,@function
_ZN7rocprim17ROCPRIM_400000_NS6detail17trampoline_kernelINS0_14default_configENS1_25partition_config_selectorILNS1_17partition_subalgoE9EllbEEZZNS1_14partition_implILS5_9ELb0ES3_jPlS8_PNS0_10empty_typeENS0_5tupleIJS8_S9_EEENSB_IJS8_SA_EEENS0_18inequality_wrapperIZN2at6native12_GLOBAL__N_124unique_dim_cuda_templateIfEESt5tupleIJNSF_6TensorESK_SK_EERKSK_lbbbEUlllE0_EEPmJS9_EEE10hipError_tPvRmT3_T4_T5_T6_T7_T9_mT8_P12ihipStream_tbDpT10_ENKUlT_T0_E_clISt17integral_constantIbLb0EES19_IbLb1EEEEDaS15_S16_EUlS15_E_NS1_11comp_targetILNS1_3genE2ELNS1_11target_archE906ELNS1_3gpuE6ELNS1_3repE0EEENS1_30default_config_static_selectorELNS0_4arch9wavefront6targetE1EEEvT1_: ; @_ZN7rocprim17ROCPRIM_400000_NS6detail17trampoline_kernelINS0_14default_configENS1_25partition_config_selectorILNS1_17partition_subalgoE9EllbEEZZNS1_14partition_implILS5_9ELb0ES3_jPlS8_PNS0_10empty_typeENS0_5tupleIJS8_S9_EEENSB_IJS8_SA_EEENS0_18inequality_wrapperIZN2at6native12_GLOBAL__N_124unique_dim_cuda_templateIfEESt5tupleIJNSF_6TensorESK_SK_EERKSK_lbbbEUlllE0_EEPmJS9_EEE10hipError_tPvRmT3_T4_T5_T6_T7_T9_mT8_P12ihipStream_tbDpT10_ENKUlT_T0_E_clISt17integral_constantIbLb0EES19_IbLb1EEEEDaS15_S16_EUlS15_E_NS1_11comp_targetILNS1_3genE2ELNS1_11target_archE906ELNS1_3gpuE6ELNS1_3repE0EEENS1_30default_config_static_selectorELNS0_4arch9wavefront6targetE1EEEvT1_
; %bb.0:
	.section	.rodata,"a",@progbits
	.p2align	6, 0x0
	.amdhsa_kernel _ZN7rocprim17ROCPRIM_400000_NS6detail17trampoline_kernelINS0_14default_configENS1_25partition_config_selectorILNS1_17partition_subalgoE9EllbEEZZNS1_14partition_implILS5_9ELb0ES3_jPlS8_PNS0_10empty_typeENS0_5tupleIJS8_S9_EEENSB_IJS8_SA_EEENS0_18inequality_wrapperIZN2at6native12_GLOBAL__N_124unique_dim_cuda_templateIfEESt5tupleIJNSF_6TensorESK_SK_EERKSK_lbbbEUlllE0_EEPmJS9_EEE10hipError_tPvRmT3_T4_T5_T6_T7_T9_mT8_P12ihipStream_tbDpT10_ENKUlT_T0_E_clISt17integral_constantIbLb0EES19_IbLb1EEEEDaS15_S16_EUlS15_E_NS1_11comp_targetILNS1_3genE2ELNS1_11target_archE906ELNS1_3gpuE6ELNS1_3repE0EEENS1_30default_config_static_selectorELNS0_4arch9wavefront6targetE1EEEvT1_
		.amdhsa_group_segment_fixed_size 0
		.amdhsa_private_segment_fixed_size 0
		.amdhsa_kernarg_size 136
		.amdhsa_user_sgpr_count 2
		.amdhsa_user_sgpr_dispatch_ptr 0
		.amdhsa_user_sgpr_queue_ptr 0
		.amdhsa_user_sgpr_kernarg_segment_ptr 1
		.amdhsa_user_sgpr_dispatch_id 0
		.amdhsa_user_sgpr_kernarg_preload_length 0
		.amdhsa_user_sgpr_kernarg_preload_offset 0
		.amdhsa_user_sgpr_private_segment_size 0
		.amdhsa_uses_dynamic_stack 0
		.amdhsa_enable_private_segment 0
		.amdhsa_system_sgpr_workgroup_id_x 1
		.amdhsa_system_sgpr_workgroup_id_y 0
		.amdhsa_system_sgpr_workgroup_id_z 0
		.amdhsa_system_sgpr_workgroup_info 0
		.amdhsa_system_vgpr_workitem_id 0
		.amdhsa_next_free_vgpr 1
		.amdhsa_next_free_sgpr 0
		.amdhsa_accum_offset 4
		.amdhsa_reserve_vcc 0
		.amdhsa_float_round_mode_32 0
		.amdhsa_float_round_mode_16_64 0
		.amdhsa_float_denorm_mode_32 3
		.amdhsa_float_denorm_mode_16_64 3
		.amdhsa_dx10_clamp 1
		.amdhsa_ieee_mode 1
		.amdhsa_fp16_overflow 0
		.amdhsa_tg_split 0
		.amdhsa_exception_fp_ieee_invalid_op 0
		.amdhsa_exception_fp_denorm_src 0
		.amdhsa_exception_fp_ieee_div_zero 0
		.amdhsa_exception_fp_ieee_overflow 0
		.amdhsa_exception_fp_ieee_underflow 0
		.amdhsa_exception_fp_ieee_inexact 0
		.amdhsa_exception_int_div_zero 0
	.end_amdhsa_kernel
	.section	.text._ZN7rocprim17ROCPRIM_400000_NS6detail17trampoline_kernelINS0_14default_configENS1_25partition_config_selectorILNS1_17partition_subalgoE9EllbEEZZNS1_14partition_implILS5_9ELb0ES3_jPlS8_PNS0_10empty_typeENS0_5tupleIJS8_S9_EEENSB_IJS8_SA_EEENS0_18inequality_wrapperIZN2at6native12_GLOBAL__N_124unique_dim_cuda_templateIfEESt5tupleIJNSF_6TensorESK_SK_EERKSK_lbbbEUlllE0_EEPmJS9_EEE10hipError_tPvRmT3_T4_T5_T6_T7_T9_mT8_P12ihipStream_tbDpT10_ENKUlT_T0_E_clISt17integral_constantIbLb0EES19_IbLb1EEEEDaS15_S16_EUlS15_E_NS1_11comp_targetILNS1_3genE2ELNS1_11target_archE906ELNS1_3gpuE6ELNS1_3repE0EEENS1_30default_config_static_selectorELNS0_4arch9wavefront6targetE1EEEvT1_,"axG",@progbits,_ZN7rocprim17ROCPRIM_400000_NS6detail17trampoline_kernelINS0_14default_configENS1_25partition_config_selectorILNS1_17partition_subalgoE9EllbEEZZNS1_14partition_implILS5_9ELb0ES3_jPlS8_PNS0_10empty_typeENS0_5tupleIJS8_S9_EEENSB_IJS8_SA_EEENS0_18inequality_wrapperIZN2at6native12_GLOBAL__N_124unique_dim_cuda_templateIfEESt5tupleIJNSF_6TensorESK_SK_EERKSK_lbbbEUlllE0_EEPmJS9_EEE10hipError_tPvRmT3_T4_T5_T6_T7_T9_mT8_P12ihipStream_tbDpT10_ENKUlT_T0_E_clISt17integral_constantIbLb0EES19_IbLb1EEEEDaS15_S16_EUlS15_E_NS1_11comp_targetILNS1_3genE2ELNS1_11target_archE906ELNS1_3gpuE6ELNS1_3repE0EEENS1_30default_config_static_selectorELNS0_4arch9wavefront6targetE1EEEvT1_,comdat
.Lfunc_end996:
	.size	_ZN7rocprim17ROCPRIM_400000_NS6detail17trampoline_kernelINS0_14default_configENS1_25partition_config_selectorILNS1_17partition_subalgoE9EllbEEZZNS1_14partition_implILS5_9ELb0ES3_jPlS8_PNS0_10empty_typeENS0_5tupleIJS8_S9_EEENSB_IJS8_SA_EEENS0_18inequality_wrapperIZN2at6native12_GLOBAL__N_124unique_dim_cuda_templateIfEESt5tupleIJNSF_6TensorESK_SK_EERKSK_lbbbEUlllE0_EEPmJS9_EEE10hipError_tPvRmT3_T4_T5_T6_T7_T9_mT8_P12ihipStream_tbDpT10_ENKUlT_T0_E_clISt17integral_constantIbLb0EES19_IbLb1EEEEDaS15_S16_EUlS15_E_NS1_11comp_targetILNS1_3genE2ELNS1_11target_archE906ELNS1_3gpuE6ELNS1_3repE0EEENS1_30default_config_static_selectorELNS0_4arch9wavefront6targetE1EEEvT1_, .Lfunc_end996-_ZN7rocprim17ROCPRIM_400000_NS6detail17trampoline_kernelINS0_14default_configENS1_25partition_config_selectorILNS1_17partition_subalgoE9EllbEEZZNS1_14partition_implILS5_9ELb0ES3_jPlS8_PNS0_10empty_typeENS0_5tupleIJS8_S9_EEENSB_IJS8_SA_EEENS0_18inequality_wrapperIZN2at6native12_GLOBAL__N_124unique_dim_cuda_templateIfEESt5tupleIJNSF_6TensorESK_SK_EERKSK_lbbbEUlllE0_EEPmJS9_EEE10hipError_tPvRmT3_T4_T5_T6_T7_T9_mT8_P12ihipStream_tbDpT10_ENKUlT_T0_E_clISt17integral_constantIbLb0EES19_IbLb1EEEEDaS15_S16_EUlS15_E_NS1_11comp_targetILNS1_3genE2ELNS1_11target_archE906ELNS1_3gpuE6ELNS1_3repE0EEENS1_30default_config_static_selectorELNS0_4arch9wavefront6targetE1EEEvT1_
                                        ; -- End function
	.section	.AMDGPU.csdata,"",@progbits
; Kernel info:
; codeLenInByte = 0
; NumSgprs: 6
; NumVgprs: 0
; NumAgprs: 0
; TotalNumVgprs: 0
; ScratchSize: 0
; MemoryBound: 0
; FloatMode: 240
; IeeeMode: 1
; LDSByteSize: 0 bytes/workgroup (compile time only)
; SGPRBlocks: 0
; VGPRBlocks: 0
; NumSGPRsForWavesPerEU: 6
; NumVGPRsForWavesPerEU: 1
; AccumOffset: 4
; Occupancy: 8
; WaveLimiterHint : 0
; COMPUTE_PGM_RSRC2:SCRATCH_EN: 0
; COMPUTE_PGM_RSRC2:USER_SGPR: 2
; COMPUTE_PGM_RSRC2:TRAP_HANDLER: 0
; COMPUTE_PGM_RSRC2:TGID_X_EN: 1
; COMPUTE_PGM_RSRC2:TGID_Y_EN: 0
; COMPUTE_PGM_RSRC2:TGID_Z_EN: 0
; COMPUTE_PGM_RSRC2:TIDIG_COMP_CNT: 0
; COMPUTE_PGM_RSRC3_GFX90A:ACCUM_OFFSET: 0
; COMPUTE_PGM_RSRC3_GFX90A:TG_SPLIT: 0
	.section	.text._ZN7rocprim17ROCPRIM_400000_NS6detail17trampoline_kernelINS0_14default_configENS1_25partition_config_selectorILNS1_17partition_subalgoE9EllbEEZZNS1_14partition_implILS5_9ELb0ES3_jPlS8_PNS0_10empty_typeENS0_5tupleIJS8_S9_EEENSB_IJS8_SA_EEENS0_18inequality_wrapperIZN2at6native12_GLOBAL__N_124unique_dim_cuda_templateIfEESt5tupleIJNSF_6TensorESK_SK_EERKSK_lbbbEUlllE0_EEPmJS9_EEE10hipError_tPvRmT3_T4_T5_T6_T7_T9_mT8_P12ihipStream_tbDpT10_ENKUlT_T0_E_clISt17integral_constantIbLb0EES19_IbLb1EEEEDaS15_S16_EUlS15_E_NS1_11comp_targetILNS1_3genE10ELNS1_11target_archE1200ELNS1_3gpuE4ELNS1_3repE0EEENS1_30default_config_static_selectorELNS0_4arch9wavefront6targetE1EEEvT1_,"axG",@progbits,_ZN7rocprim17ROCPRIM_400000_NS6detail17trampoline_kernelINS0_14default_configENS1_25partition_config_selectorILNS1_17partition_subalgoE9EllbEEZZNS1_14partition_implILS5_9ELb0ES3_jPlS8_PNS0_10empty_typeENS0_5tupleIJS8_S9_EEENSB_IJS8_SA_EEENS0_18inequality_wrapperIZN2at6native12_GLOBAL__N_124unique_dim_cuda_templateIfEESt5tupleIJNSF_6TensorESK_SK_EERKSK_lbbbEUlllE0_EEPmJS9_EEE10hipError_tPvRmT3_T4_T5_T6_T7_T9_mT8_P12ihipStream_tbDpT10_ENKUlT_T0_E_clISt17integral_constantIbLb0EES19_IbLb1EEEEDaS15_S16_EUlS15_E_NS1_11comp_targetILNS1_3genE10ELNS1_11target_archE1200ELNS1_3gpuE4ELNS1_3repE0EEENS1_30default_config_static_selectorELNS0_4arch9wavefront6targetE1EEEvT1_,comdat
	.globl	_ZN7rocprim17ROCPRIM_400000_NS6detail17trampoline_kernelINS0_14default_configENS1_25partition_config_selectorILNS1_17partition_subalgoE9EllbEEZZNS1_14partition_implILS5_9ELb0ES3_jPlS8_PNS0_10empty_typeENS0_5tupleIJS8_S9_EEENSB_IJS8_SA_EEENS0_18inequality_wrapperIZN2at6native12_GLOBAL__N_124unique_dim_cuda_templateIfEESt5tupleIJNSF_6TensorESK_SK_EERKSK_lbbbEUlllE0_EEPmJS9_EEE10hipError_tPvRmT3_T4_T5_T6_T7_T9_mT8_P12ihipStream_tbDpT10_ENKUlT_T0_E_clISt17integral_constantIbLb0EES19_IbLb1EEEEDaS15_S16_EUlS15_E_NS1_11comp_targetILNS1_3genE10ELNS1_11target_archE1200ELNS1_3gpuE4ELNS1_3repE0EEENS1_30default_config_static_selectorELNS0_4arch9wavefront6targetE1EEEvT1_ ; -- Begin function _ZN7rocprim17ROCPRIM_400000_NS6detail17trampoline_kernelINS0_14default_configENS1_25partition_config_selectorILNS1_17partition_subalgoE9EllbEEZZNS1_14partition_implILS5_9ELb0ES3_jPlS8_PNS0_10empty_typeENS0_5tupleIJS8_S9_EEENSB_IJS8_SA_EEENS0_18inequality_wrapperIZN2at6native12_GLOBAL__N_124unique_dim_cuda_templateIfEESt5tupleIJNSF_6TensorESK_SK_EERKSK_lbbbEUlllE0_EEPmJS9_EEE10hipError_tPvRmT3_T4_T5_T6_T7_T9_mT8_P12ihipStream_tbDpT10_ENKUlT_T0_E_clISt17integral_constantIbLb0EES19_IbLb1EEEEDaS15_S16_EUlS15_E_NS1_11comp_targetILNS1_3genE10ELNS1_11target_archE1200ELNS1_3gpuE4ELNS1_3repE0EEENS1_30default_config_static_selectorELNS0_4arch9wavefront6targetE1EEEvT1_
	.p2align	8
	.type	_ZN7rocprim17ROCPRIM_400000_NS6detail17trampoline_kernelINS0_14default_configENS1_25partition_config_selectorILNS1_17partition_subalgoE9EllbEEZZNS1_14partition_implILS5_9ELb0ES3_jPlS8_PNS0_10empty_typeENS0_5tupleIJS8_S9_EEENSB_IJS8_SA_EEENS0_18inequality_wrapperIZN2at6native12_GLOBAL__N_124unique_dim_cuda_templateIfEESt5tupleIJNSF_6TensorESK_SK_EERKSK_lbbbEUlllE0_EEPmJS9_EEE10hipError_tPvRmT3_T4_T5_T6_T7_T9_mT8_P12ihipStream_tbDpT10_ENKUlT_T0_E_clISt17integral_constantIbLb0EES19_IbLb1EEEEDaS15_S16_EUlS15_E_NS1_11comp_targetILNS1_3genE10ELNS1_11target_archE1200ELNS1_3gpuE4ELNS1_3repE0EEENS1_30default_config_static_selectorELNS0_4arch9wavefront6targetE1EEEvT1_,@function
_ZN7rocprim17ROCPRIM_400000_NS6detail17trampoline_kernelINS0_14default_configENS1_25partition_config_selectorILNS1_17partition_subalgoE9EllbEEZZNS1_14partition_implILS5_9ELb0ES3_jPlS8_PNS0_10empty_typeENS0_5tupleIJS8_S9_EEENSB_IJS8_SA_EEENS0_18inequality_wrapperIZN2at6native12_GLOBAL__N_124unique_dim_cuda_templateIfEESt5tupleIJNSF_6TensorESK_SK_EERKSK_lbbbEUlllE0_EEPmJS9_EEE10hipError_tPvRmT3_T4_T5_T6_T7_T9_mT8_P12ihipStream_tbDpT10_ENKUlT_T0_E_clISt17integral_constantIbLb0EES19_IbLb1EEEEDaS15_S16_EUlS15_E_NS1_11comp_targetILNS1_3genE10ELNS1_11target_archE1200ELNS1_3gpuE4ELNS1_3repE0EEENS1_30default_config_static_selectorELNS0_4arch9wavefront6targetE1EEEvT1_: ; @_ZN7rocprim17ROCPRIM_400000_NS6detail17trampoline_kernelINS0_14default_configENS1_25partition_config_selectorILNS1_17partition_subalgoE9EllbEEZZNS1_14partition_implILS5_9ELb0ES3_jPlS8_PNS0_10empty_typeENS0_5tupleIJS8_S9_EEENSB_IJS8_SA_EEENS0_18inequality_wrapperIZN2at6native12_GLOBAL__N_124unique_dim_cuda_templateIfEESt5tupleIJNSF_6TensorESK_SK_EERKSK_lbbbEUlllE0_EEPmJS9_EEE10hipError_tPvRmT3_T4_T5_T6_T7_T9_mT8_P12ihipStream_tbDpT10_ENKUlT_T0_E_clISt17integral_constantIbLb0EES19_IbLb1EEEEDaS15_S16_EUlS15_E_NS1_11comp_targetILNS1_3genE10ELNS1_11target_archE1200ELNS1_3gpuE4ELNS1_3repE0EEENS1_30default_config_static_selectorELNS0_4arch9wavefront6targetE1EEEvT1_
; %bb.0:
	.section	.rodata,"a",@progbits
	.p2align	6, 0x0
	.amdhsa_kernel _ZN7rocprim17ROCPRIM_400000_NS6detail17trampoline_kernelINS0_14default_configENS1_25partition_config_selectorILNS1_17partition_subalgoE9EllbEEZZNS1_14partition_implILS5_9ELb0ES3_jPlS8_PNS0_10empty_typeENS0_5tupleIJS8_S9_EEENSB_IJS8_SA_EEENS0_18inequality_wrapperIZN2at6native12_GLOBAL__N_124unique_dim_cuda_templateIfEESt5tupleIJNSF_6TensorESK_SK_EERKSK_lbbbEUlllE0_EEPmJS9_EEE10hipError_tPvRmT3_T4_T5_T6_T7_T9_mT8_P12ihipStream_tbDpT10_ENKUlT_T0_E_clISt17integral_constantIbLb0EES19_IbLb1EEEEDaS15_S16_EUlS15_E_NS1_11comp_targetILNS1_3genE10ELNS1_11target_archE1200ELNS1_3gpuE4ELNS1_3repE0EEENS1_30default_config_static_selectorELNS0_4arch9wavefront6targetE1EEEvT1_
		.amdhsa_group_segment_fixed_size 0
		.amdhsa_private_segment_fixed_size 0
		.amdhsa_kernarg_size 136
		.amdhsa_user_sgpr_count 2
		.amdhsa_user_sgpr_dispatch_ptr 0
		.amdhsa_user_sgpr_queue_ptr 0
		.amdhsa_user_sgpr_kernarg_segment_ptr 1
		.amdhsa_user_sgpr_dispatch_id 0
		.amdhsa_user_sgpr_kernarg_preload_length 0
		.amdhsa_user_sgpr_kernarg_preload_offset 0
		.amdhsa_user_sgpr_private_segment_size 0
		.amdhsa_uses_dynamic_stack 0
		.amdhsa_enable_private_segment 0
		.amdhsa_system_sgpr_workgroup_id_x 1
		.amdhsa_system_sgpr_workgroup_id_y 0
		.amdhsa_system_sgpr_workgroup_id_z 0
		.amdhsa_system_sgpr_workgroup_info 0
		.amdhsa_system_vgpr_workitem_id 0
		.amdhsa_next_free_vgpr 1
		.amdhsa_next_free_sgpr 0
		.amdhsa_accum_offset 4
		.amdhsa_reserve_vcc 0
		.amdhsa_float_round_mode_32 0
		.amdhsa_float_round_mode_16_64 0
		.amdhsa_float_denorm_mode_32 3
		.amdhsa_float_denorm_mode_16_64 3
		.amdhsa_dx10_clamp 1
		.amdhsa_ieee_mode 1
		.amdhsa_fp16_overflow 0
		.amdhsa_tg_split 0
		.amdhsa_exception_fp_ieee_invalid_op 0
		.amdhsa_exception_fp_denorm_src 0
		.amdhsa_exception_fp_ieee_div_zero 0
		.amdhsa_exception_fp_ieee_overflow 0
		.amdhsa_exception_fp_ieee_underflow 0
		.amdhsa_exception_fp_ieee_inexact 0
		.amdhsa_exception_int_div_zero 0
	.end_amdhsa_kernel
	.section	.text._ZN7rocprim17ROCPRIM_400000_NS6detail17trampoline_kernelINS0_14default_configENS1_25partition_config_selectorILNS1_17partition_subalgoE9EllbEEZZNS1_14partition_implILS5_9ELb0ES3_jPlS8_PNS0_10empty_typeENS0_5tupleIJS8_S9_EEENSB_IJS8_SA_EEENS0_18inequality_wrapperIZN2at6native12_GLOBAL__N_124unique_dim_cuda_templateIfEESt5tupleIJNSF_6TensorESK_SK_EERKSK_lbbbEUlllE0_EEPmJS9_EEE10hipError_tPvRmT3_T4_T5_T6_T7_T9_mT8_P12ihipStream_tbDpT10_ENKUlT_T0_E_clISt17integral_constantIbLb0EES19_IbLb1EEEEDaS15_S16_EUlS15_E_NS1_11comp_targetILNS1_3genE10ELNS1_11target_archE1200ELNS1_3gpuE4ELNS1_3repE0EEENS1_30default_config_static_selectorELNS0_4arch9wavefront6targetE1EEEvT1_,"axG",@progbits,_ZN7rocprim17ROCPRIM_400000_NS6detail17trampoline_kernelINS0_14default_configENS1_25partition_config_selectorILNS1_17partition_subalgoE9EllbEEZZNS1_14partition_implILS5_9ELb0ES3_jPlS8_PNS0_10empty_typeENS0_5tupleIJS8_S9_EEENSB_IJS8_SA_EEENS0_18inequality_wrapperIZN2at6native12_GLOBAL__N_124unique_dim_cuda_templateIfEESt5tupleIJNSF_6TensorESK_SK_EERKSK_lbbbEUlllE0_EEPmJS9_EEE10hipError_tPvRmT3_T4_T5_T6_T7_T9_mT8_P12ihipStream_tbDpT10_ENKUlT_T0_E_clISt17integral_constantIbLb0EES19_IbLb1EEEEDaS15_S16_EUlS15_E_NS1_11comp_targetILNS1_3genE10ELNS1_11target_archE1200ELNS1_3gpuE4ELNS1_3repE0EEENS1_30default_config_static_selectorELNS0_4arch9wavefront6targetE1EEEvT1_,comdat
.Lfunc_end997:
	.size	_ZN7rocprim17ROCPRIM_400000_NS6detail17trampoline_kernelINS0_14default_configENS1_25partition_config_selectorILNS1_17partition_subalgoE9EllbEEZZNS1_14partition_implILS5_9ELb0ES3_jPlS8_PNS0_10empty_typeENS0_5tupleIJS8_S9_EEENSB_IJS8_SA_EEENS0_18inequality_wrapperIZN2at6native12_GLOBAL__N_124unique_dim_cuda_templateIfEESt5tupleIJNSF_6TensorESK_SK_EERKSK_lbbbEUlllE0_EEPmJS9_EEE10hipError_tPvRmT3_T4_T5_T6_T7_T9_mT8_P12ihipStream_tbDpT10_ENKUlT_T0_E_clISt17integral_constantIbLb0EES19_IbLb1EEEEDaS15_S16_EUlS15_E_NS1_11comp_targetILNS1_3genE10ELNS1_11target_archE1200ELNS1_3gpuE4ELNS1_3repE0EEENS1_30default_config_static_selectorELNS0_4arch9wavefront6targetE1EEEvT1_, .Lfunc_end997-_ZN7rocprim17ROCPRIM_400000_NS6detail17trampoline_kernelINS0_14default_configENS1_25partition_config_selectorILNS1_17partition_subalgoE9EllbEEZZNS1_14partition_implILS5_9ELb0ES3_jPlS8_PNS0_10empty_typeENS0_5tupleIJS8_S9_EEENSB_IJS8_SA_EEENS0_18inequality_wrapperIZN2at6native12_GLOBAL__N_124unique_dim_cuda_templateIfEESt5tupleIJNSF_6TensorESK_SK_EERKSK_lbbbEUlllE0_EEPmJS9_EEE10hipError_tPvRmT3_T4_T5_T6_T7_T9_mT8_P12ihipStream_tbDpT10_ENKUlT_T0_E_clISt17integral_constantIbLb0EES19_IbLb1EEEEDaS15_S16_EUlS15_E_NS1_11comp_targetILNS1_3genE10ELNS1_11target_archE1200ELNS1_3gpuE4ELNS1_3repE0EEENS1_30default_config_static_selectorELNS0_4arch9wavefront6targetE1EEEvT1_
                                        ; -- End function
	.section	.AMDGPU.csdata,"",@progbits
; Kernel info:
; codeLenInByte = 0
; NumSgprs: 6
; NumVgprs: 0
; NumAgprs: 0
; TotalNumVgprs: 0
; ScratchSize: 0
; MemoryBound: 0
; FloatMode: 240
; IeeeMode: 1
; LDSByteSize: 0 bytes/workgroup (compile time only)
; SGPRBlocks: 0
; VGPRBlocks: 0
; NumSGPRsForWavesPerEU: 6
; NumVGPRsForWavesPerEU: 1
; AccumOffset: 4
; Occupancy: 8
; WaveLimiterHint : 0
; COMPUTE_PGM_RSRC2:SCRATCH_EN: 0
; COMPUTE_PGM_RSRC2:USER_SGPR: 2
; COMPUTE_PGM_RSRC2:TRAP_HANDLER: 0
; COMPUTE_PGM_RSRC2:TGID_X_EN: 1
; COMPUTE_PGM_RSRC2:TGID_Y_EN: 0
; COMPUTE_PGM_RSRC2:TGID_Z_EN: 0
; COMPUTE_PGM_RSRC2:TIDIG_COMP_CNT: 0
; COMPUTE_PGM_RSRC3_GFX90A:ACCUM_OFFSET: 0
; COMPUTE_PGM_RSRC3_GFX90A:TG_SPLIT: 0
	.section	.text._ZN7rocprim17ROCPRIM_400000_NS6detail17trampoline_kernelINS0_14default_configENS1_25partition_config_selectorILNS1_17partition_subalgoE9EllbEEZZNS1_14partition_implILS5_9ELb0ES3_jPlS8_PNS0_10empty_typeENS0_5tupleIJS8_S9_EEENSB_IJS8_SA_EEENS0_18inequality_wrapperIZN2at6native12_GLOBAL__N_124unique_dim_cuda_templateIfEESt5tupleIJNSF_6TensorESK_SK_EERKSK_lbbbEUlllE0_EEPmJS9_EEE10hipError_tPvRmT3_T4_T5_T6_T7_T9_mT8_P12ihipStream_tbDpT10_ENKUlT_T0_E_clISt17integral_constantIbLb0EES19_IbLb1EEEEDaS15_S16_EUlS15_E_NS1_11comp_targetILNS1_3genE9ELNS1_11target_archE1100ELNS1_3gpuE3ELNS1_3repE0EEENS1_30default_config_static_selectorELNS0_4arch9wavefront6targetE1EEEvT1_,"axG",@progbits,_ZN7rocprim17ROCPRIM_400000_NS6detail17trampoline_kernelINS0_14default_configENS1_25partition_config_selectorILNS1_17partition_subalgoE9EllbEEZZNS1_14partition_implILS5_9ELb0ES3_jPlS8_PNS0_10empty_typeENS0_5tupleIJS8_S9_EEENSB_IJS8_SA_EEENS0_18inequality_wrapperIZN2at6native12_GLOBAL__N_124unique_dim_cuda_templateIfEESt5tupleIJNSF_6TensorESK_SK_EERKSK_lbbbEUlllE0_EEPmJS9_EEE10hipError_tPvRmT3_T4_T5_T6_T7_T9_mT8_P12ihipStream_tbDpT10_ENKUlT_T0_E_clISt17integral_constantIbLb0EES19_IbLb1EEEEDaS15_S16_EUlS15_E_NS1_11comp_targetILNS1_3genE9ELNS1_11target_archE1100ELNS1_3gpuE3ELNS1_3repE0EEENS1_30default_config_static_selectorELNS0_4arch9wavefront6targetE1EEEvT1_,comdat
	.globl	_ZN7rocprim17ROCPRIM_400000_NS6detail17trampoline_kernelINS0_14default_configENS1_25partition_config_selectorILNS1_17partition_subalgoE9EllbEEZZNS1_14partition_implILS5_9ELb0ES3_jPlS8_PNS0_10empty_typeENS0_5tupleIJS8_S9_EEENSB_IJS8_SA_EEENS0_18inequality_wrapperIZN2at6native12_GLOBAL__N_124unique_dim_cuda_templateIfEESt5tupleIJNSF_6TensorESK_SK_EERKSK_lbbbEUlllE0_EEPmJS9_EEE10hipError_tPvRmT3_T4_T5_T6_T7_T9_mT8_P12ihipStream_tbDpT10_ENKUlT_T0_E_clISt17integral_constantIbLb0EES19_IbLb1EEEEDaS15_S16_EUlS15_E_NS1_11comp_targetILNS1_3genE9ELNS1_11target_archE1100ELNS1_3gpuE3ELNS1_3repE0EEENS1_30default_config_static_selectorELNS0_4arch9wavefront6targetE1EEEvT1_ ; -- Begin function _ZN7rocprim17ROCPRIM_400000_NS6detail17trampoline_kernelINS0_14default_configENS1_25partition_config_selectorILNS1_17partition_subalgoE9EllbEEZZNS1_14partition_implILS5_9ELb0ES3_jPlS8_PNS0_10empty_typeENS0_5tupleIJS8_S9_EEENSB_IJS8_SA_EEENS0_18inequality_wrapperIZN2at6native12_GLOBAL__N_124unique_dim_cuda_templateIfEESt5tupleIJNSF_6TensorESK_SK_EERKSK_lbbbEUlllE0_EEPmJS9_EEE10hipError_tPvRmT3_T4_T5_T6_T7_T9_mT8_P12ihipStream_tbDpT10_ENKUlT_T0_E_clISt17integral_constantIbLb0EES19_IbLb1EEEEDaS15_S16_EUlS15_E_NS1_11comp_targetILNS1_3genE9ELNS1_11target_archE1100ELNS1_3gpuE3ELNS1_3repE0EEENS1_30default_config_static_selectorELNS0_4arch9wavefront6targetE1EEEvT1_
	.p2align	8
	.type	_ZN7rocprim17ROCPRIM_400000_NS6detail17trampoline_kernelINS0_14default_configENS1_25partition_config_selectorILNS1_17partition_subalgoE9EllbEEZZNS1_14partition_implILS5_9ELb0ES3_jPlS8_PNS0_10empty_typeENS0_5tupleIJS8_S9_EEENSB_IJS8_SA_EEENS0_18inequality_wrapperIZN2at6native12_GLOBAL__N_124unique_dim_cuda_templateIfEESt5tupleIJNSF_6TensorESK_SK_EERKSK_lbbbEUlllE0_EEPmJS9_EEE10hipError_tPvRmT3_T4_T5_T6_T7_T9_mT8_P12ihipStream_tbDpT10_ENKUlT_T0_E_clISt17integral_constantIbLb0EES19_IbLb1EEEEDaS15_S16_EUlS15_E_NS1_11comp_targetILNS1_3genE9ELNS1_11target_archE1100ELNS1_3gpuE3ELNS1_3repE0EEENS1_30default_config_static_selectorELNS0_4arch9wavefront6targetE1EEEvT1_,@function
_ZN7rocprim17ROCPRIM_400000_NS6detail17trampoline_kernelINS0_14default_configENS1_25partition_config_selectorILNS1_17partition_subalgoE9EllbEEZZNS1_14partition_implILS5_9ELb0ES3_jPlS8_PNS0_10empty_typeENS0_5tupleIJS8_S9_EEENSB_IJS8_SA_EEENS0_18inequality_wrapperIZN2at6native12_GLOBAL__N_124unique_dim_cuda_templateIfEESt5tupleIJNSF_6TensorESK_SK_EERKSK_lbbbEUlllE0_EEPmJS9_EEE10hipError_tPvRmT3_T4_T5_T6_T7_T9_mT8_P12ihipStream_tbDpT10_ENKUlT_T0_E_clISt17integral_constantIbLb0EES19_IbLb1EEEEDaS15_S16_EUlS15_E_NS1_11comp_targetILNS1_3genE9ELNS1_11target_archE1100ELNS1_3gpuE3ELNS1_3repE0EEENS1_30default_config_static_selectorELNS0_4arch9wavefront6targetE1EEEvT1_: ; @_ZN7rocprim17ROCPRIM_400000_NS6detail17trampoline_kernelINS0_14default_configENS1_25partition_config_selectorILNS1_17partition_subalgoE9EllbEEZZNS1_14partition_implILS5_9ELb0ES3_jPlS8_PNS0_10empty_typeENS0_5tupleIJS8_S9_EEENSB_IJS8_SA_EEENS0_18inequality_wrapperIZN2at6native12_GLOBAL__N_124unique_dim_cuda_templateIfEESt5tupleIJNSF_6TensorESK_SK_EERKSK_lbbbEUlllE0_EEPmJS9_EEE10hipError_tPvRmT3_T4_T5_T6_T7_T9_mT8_P12ihipStream_tbDpT10_ENKUlT_T0_E_clISt17integral_constantIbLb0EES19_IbLb1EEEEDaS15_S16_EUlS15_E_NS1_11comp_targetILNS1_3genE9ELNS1_11target_archE1100ELNS1_3gpuE3ELNS1_3repE0EEENS1_30default_config_static_selectorELNS0_4arch9wavefront6targetE1EEEvT1_
; %bb.0:
	.section	.rodata,"a",@progbits
	.p2align	6, 0x0
	.amdhsa_kernel _ZN7rocprim17ROCPRIM_400000_NS6detail17trampoline_kernelINS0_14default_configENS1_25partition_config_selectorILNS1_17partition_subalgoE9EllbEEZZNS1_14partition_implILS5_9ELb0ES3_jPlS8_PNS0_10empty_typeENS0_5tupleIJS8_S9_EEENSB_IJS8_SA_EEENS0_18inequality_wrapperIZN2at6native12_GLOBAL__N_124unique_dim_cuda_templateIfEESt5tupleIJNSF_6TensorESK_SK_EERKSK_lbbbEUlllE0_EEPmJS9_EEE10hipError_tPvRmT3_T4_T5_T6_T7_T9_mT8_P12ihipStream_tbDpT10_ENKUlT_T0_E_clISt17integral_constantIbLb0EES19_IbLb1EEEEDaS15_S16_EUlS15_E_NS1_11comp_targetILNS1_3genE9ELNS1_11target_archE1100ELNS1_3gpuE3ELNS1_3repE0EEENS1_30default_config_static_selectorELNS0_4arch9wavefront6targetE1EEEvT1_
		.amdhsa_group_segment_fixed_size 0
		.amdhsa_private_segment_fixed_size 0
		.amdhsa_kernarg_size 136
		.amdhsa_user_sgpr_count 2
		.amdhsa_user_sgpr_dispatch_ptr 0
		.amdhsa_user_sgpr_queue_ptr 0
		.amdhsa_user_sgpr_kernarg_segment_ptr 1
		.amdhsa_user_sgpr_dispatch_id 0
		.amdhsa_user_sgpr_kernarg_preload_length 0
		.amdhsa_user_sgpr_kernarg_preload_offset 0
		.amdhsa_user_sgpr_private_segment_size 0
		.amdhsa_uses_dynamic_stack 0
		.amdhsa_enable_private_segment 0
		.amdhsa_system_sgpr_workgroup_id_x 1
		.amdhsa_system_sgpr_workgroup_id_y 0
		.amdhsa_system_sgpr_workgroup_id_z 0
		.amdhsa_system_sgpr_workgroup_info 0
		.amdhsa_system_vgpr_workitem_id 0
		.amdhsa_next_free_vgpr 1
		.amdhsa_next_free_sgpr 0
		.amdhsa_accum_offset 4
		.amdhsa_reserve_vcc 0
		.amdhsa_float_round_mode_32 0
		.amdhsa_float_round_mode_16_64 0
		.amdhsa_float_denorm_mode_32 3
		.amdhsa_float_denorm_mode_16_64 3
		.amdhsa_dx10_clamp 1
		.amdhsa_ieee_mode 1
		.amdhsa_fp16_overflow 0
		.amdhsa_tg_split 0
		.amdhsa_exception_fp_ieee_invalid_op 0
		.amdhsa_exception_fp_denorm_src 0
		.amdhsa_exception_fp_ieee_div_zero 0
		.amdhsa_exception_fp_ieee_overflow 0
		.amdhsa_exception_fp_ieee_underflow 0
		.amdhsa_exception_fp_ieee_inexact 0
		.amdhsa_exception_int_div_zero 0
	.end_amdhsa_kernel
	.section	.text._ZN7rocprim17ROCPRIM_400000_NS6detail17trampoline_kernelINS0_14default_configENS1_25partition_config_selectorILNS1_17partition_subalgoE9EllbEEZZNS1_14partition_implILS5_9ELb0ES3_jPlS8_PNS0_10empty_typeENS0_5tupleIJS8_S9_EEENSB_IJS8_SA_EEENS0_18inequality_wrapperIZN2at6native12_GLOBAL__N_124unique_dim_cuda_templateIfEESt5tupleIJNSF_6TensorESK_SK_EERKSK_lbbbEUlllE0_EEPmJS9_EEE10hipError_tPvRmT3_T4_T5_T6_T7_T9_mT8_P12ihipStream_tbDpT10_ENKUlT_T0_E_clISt17integral_constantIbLb0EES19_IbLb1EEEEDaS15_S16_EUlS15_E_NS1_11comp_targetILNS1_3genE9ELNS1_11target_archE1100ELNS1_3gpuE3ELNS1_3repE0EEENS1_30default_config_static_selectorELNS0_4arch9wavefront6targetE1EEEvT1_,"axG",@progbits,_ZN7rocprim17ROCPRIM_400000_NS6detail17trampoline_kernelINS0_14default_configENS1_25partition_config_selectorILNS1_17partition_subalgoE9EllbEEZZNS1_14partition_implILS5_9ELb0ES3_jPlS8_PNS0_10empty_typeENS0_5tupleIJS8_S9_EEENSB_IJS8_SA_EEENS0_18inequality_wrapperIZN2at6native12_GLOBAL__N_124unique_dim_cuda_templateIfEESt5tupleIJNSF_6TensorESK_SK_EERKSK_lbbbEUlllE0_EEPmJS9_EEE10hipError_tPvRmT3_T4_T5_T6_T7_T9_mT8_P12ihipStream_tbDpT10_ENKUlT_T0_E_clISt17integral_constantIbLb0EES19_IbLb1EEEEDaS15_S16_EUlS15_E_NS1_11comp_targetILNS1_3genE9ELNS1_11target_archE1100ELNS1_3gpuE3ELNS1_3repE0EEENS1_30default_config_static_selectorELNS0_4arch9wavefront6targetE1EEEvT1_,comdat
.Lfunc_end998:
	.size	_ZN7rocprim17ROCPRIM_400000_NS6detail17trampoline_kernelINS0_14default_configENS1_25partition_config_selectorILNS1_17partition_subalgoE9EllbEEZZNS1_14partition_implILS5_9ELb0ES3_jPlS8_PNS0_10empty_typeENS0_5tupleIJS8_S9_EEENSB_IJS8_SA_EEENS0_18inequality_wrapperIZN2at6native12_GLOBAL__N_124unique_dim_cuda_templateIfEESt5tupleIJNSF_6TensorESK_SK_EERKSK_lbbbEUlllE0_EEPmJS9_EEE10hipError_tPvRmT3_T4_T5_T6_T7_T9_mT8_P12ihipStream_tbDpT10_ENKUlT_T0_E_clISt17integral_constantIbLb0EES19_IbLb1EEEEDaS15_S16_EUlS15_E_NS1_11comp_targetILNS1_3genE9ELNS1_11target_archE1100ELNS1_3gpuE3ELNS1_3repE0EEENS1_30default_config_static_selectorELNS0_4arch9wavefront6targetE1EEEvT1_, .Lfunc_end998-_ZN7rocprim17ROCPRIM_400000_NS6detail17trampoline_kernelINS0_14default_configENS1_25partition_config_selectorILNS1_17partition_subalgoE9EllbEEZZNS1_14partition_implILS5_9ELb0ES3_jPlS8_PNS0_10empty_typeENS0_5tupleIJS8_S9_EEENSB_IJS8_SA_EEENS0_18inequality_wrapperIZN2at6native12_GLOBAL__N_124unique_dim_cuda_templateIfEESt5tupleIJNSF_6TensorESK_SK_EERKSK_lbbbEUlllE0_EEPmJS9_EEE10hipError_tPvRmT3_T4_T5_T6_T7_T9_mT8_P12ihipStream_tbDpT10_ENKUlT_T0_E_clISt17integral_constantIbLb0EES19_IbLb1EEEEDaS15_S16_EUlS15_E_NS1_11comp_targetILNS1_3genE9ELNS1_11target_archE1100ELNS1_3gpuE3ELNS1_3repE0EEENS1_30default_config_static_selectorELNS0_4arch9wavefront6targetE1EEEvT1_
                                        ; -- End function
	.section	.AMDGPU.csdata,"",@progbits
; Kernel info:
; codeLenInByte = 0
; NumSgprs: 6
; NumVgprs: 0
; NumAgprs: 0
; TotalNumVgprs: 0
; ScratchSize: 0
; MemoryBound: 0
; FloatMode: 240
; IeeeMode: 1
; LDSByteSize: 0 bytes/workgroup (compile time only)
; SGPRBlocks: 0
; VGPRBlocks: 0
; NumSGPRsForWavesPerEU: 6
; NumVGPRsForWavesPerEU: 1
; AccumOffset: 4
; Occupancy: 8
; WaveLimiterHint : 0
; COMPUTE_PGM_RSRC2:SCRATCH_EN: 0
; COMPUTE_PGM_RSRC2:USER_SGPR: 2
; COMPUTE_PGM_RSRC2:TRAP_HANDLER: 0
; COMPUTE_PGM_RSRC2:TGID_X_EN: 1
; COMPUTE_PGM_RSRC2:TGID_Y_EN: 0
; COMPUTE_PGM_RSRC2:TGID_Z_EN: 0
; COMPUTE_PGM_RSRC2:TIDIG_COMP_CNT: 0
; COMPUTE_PGM_RSRC3_GFX90A:ACCUM_OFFSET: 0
; COMPUTE_PGM_RSRC3_GFX90A:TG_SPLIT: 0
	.section	.text._ZN7rocprim17ROCPRIM_400000_NS6detail17trampoline_kernelINS0_14default_configENS1_25partition_config_selectorILNS1_17partition_subalgoE9EllbEEZZNS1_14partition_implILS5_9ELb0ES3_jPlS8_PNS0_10empty_typeENS0_5tupleIJS8_S9_EEENSB_IJS8_SA_EEENS0_18inequality_wrapperIZN2at6native12_GLOBAL__N_124unique_dim_cuda_templateIfEESt5tupleIJNSF_6TensorESK_SK_EERKSK_lbbbEUlllE0_EEPmJS9_EEE10hipError_tPvRmT3_T4_T5_T6_T7_T9_mT8_P12ihipStream_tbDpT10_ENKUlT_T0_E_clISt17integral_constantIbLb0EES19_IbLb1EEEEDaS15_S16_EUlS15_E_NS1_11comp_targetILNS1_3genE8ELNS1_11target_archE1030ELNS1_3gpuE2ELNS1_3repE0EEENS1_30default_config_static_selectorELNS0_4arch9wavefront6targetE1EEEvT1_,"axG",@progbits,_ZN7rocprim17ROCPRIM_400000_NS6detail17trampoline_kernelINS0_14default_configENS1_25partition_config_selectorILNS1_17partition_subalgoE9EllbEEZZNS1_14partition_implILS5_9ELb0ES3_jPlS8_PNS0_10empty_typeENS0_5tupleIJS8_S9_EEENSB_IJS8_SA_EEENS0_18inequality_wrapperIZN2at6native12_GLOBAL__N_124unique_dim_cuda_templateIfEESt5tupleIJNSF_6TensorESK_SK_EERKSK_lbbbEUlllE0_EEPmJS9_EEE10hipError_tPvRmT3_T4_T5_T6_T7_T9_mT8_P12ihipStream_tbDpT10_ENKUlT_T0_E_clISt17integral_constantIbLb0EES19_IbLb1EEEEDaS15_S16_EUlS15_E_NS1_11comp_targetILNS1_3genE8ELNS1_11target_archE1030ELNS1_3gpuE2ELNS1_3repE0EEENS1_30default_config_static_selectorELNS0_4arch9wavefront6targetE1EEEvT1_,comdat
	.globl	_ZN7rocprim17ROCPRIM_400000_NS6detail17trampoline_kernelINS0_14default_configENS1_25partition_config_selectorILNS1_17partition_subalgoE9EllbEEZZNS1_14partition_implILS5_9ELb0ES3_jPlS8_PNS0_10empty_typeENS0_5tupleIJS8_S9_EEENSB_IJS8_SA_EEENS0_18inequality_wrapperIZN2at6native12_GLOBAL__N_124unique_dim_cuda_templateIfEESt5tupleIJNSF_6TensorESK_SK_EERKSK_lbbbEUlllE0_EEPmJS9_EEE10hipError_tPvRmT3_T4_T5_T6_T7_T9_mT8_P12ihipStream_tbDpT10_ENKUlT_T0_E_clISt17integral_constantIbLb0EES19_IbLb1EEEEDaS15_S16_EUlS15_E_NS1_11comp_targetILNS1_3genE8ELNS1_11target_archE1030ELNS1_3gpuE2ELNS1_3repE0EEENS1_30default_config_static_selectorELNS0_4arch9wavefront6targetE1EEEvT1_ ; -- Begin function _ZN7rocprim17ROCPRIM_400000_NS6detail17trampoline_kernelINS0_14default_configENS1_25partition_config_selectorILNS1_17partition_subalgoE9EllbEEZZNS1_14partition_implILS5_9ELb0ES3_jPlS8_PNS0_10empty_typeENS0_5tupleIJS8_S9_EEENSB_IJS8_SA_EEENS0_18inequality_wrapperIZN2at6native12_GLOBAL__N_124unique_dim_cuda_templateIfEESt5tupleIJNSF_6TensorESK_SK_EERKSK_lbbbEUlllE0_EEPmJS9_EEE10hipError_tPvRmT3_T4_T5_T6_T7_T9_mT8_P12ihipStream_tbDpT10_ENKUlT_T0_E_clISt17integral_constantIbLb0EES19_IbLb1EEEEDaS15_S16_EUlS15_E_NS1_11comp_targetILNS1_3genE8ELNS1_11target_archE1030ELNS1_3gpuE2ELNS1_3repE0EEENS1_30default_config_static_selectorELNS0_4arch9wavefront6targetE1EEEvT1_
	.p2align	8
	.type	_ZN7rocprim17ROCPRIM_400000_NS6detail17trampoline_kernelINS0_14default_configENS1_25partition_config_selectorILNS1_17partition_subalgoE9EllbEEZZNS1_14partition_implILS5_9ELb0ES3_jPlS8_PNS0_10empty_typeENS0_5tupleIJS8_S9_EEENSB_IJS8_SA_EEENS0_18inequality_wrapperIZN2at6native12_GLOBAL__N_124unique_dim_cuda_templateIfEESt5tupleIJNSF_6TensorESK_SK_EERKSK_lbbbEUlllE0_EEPmJS9_EEE10hipError_tPvRmT3_T4_T5_T6_T7_T9_mT8_P12ihipStream_tbDpT10_ENKUlT_T0_E_clISt17integral_constantIbLb0EES19_IbLb1EEEEDaS15_S16_EUlS15_E_NS1_11comp_targetILNS1_3genE8ELNS1_11target_archE1030ELNS1_3gpuE2ELNS1_3repE0EEENS1_30default_config_static_selectorELNS0_4arch9wavefront6targetE1EEEvT1_,@function
_ZN7rocprim17ROCPRIM_400000_NS6detail17trampoline_kernelINS0_14default_configENS1_25partition_config_selectorILNS1_17partition_subalgoE9EllbEEZZNS1_14partition_implILS5_9ELb0ES3_jPlS8_PNS0_10empty_typeENS0_5tupleIJS8_S9_EEENSB_IJS8_SA_EEENS0_18inequality_wrapperIZN2at6native12_GLOBAL__N_124unique_dim_cuda_templateIfEESt5tupleIJNSF_6TensorESK_SK_EERKSK_lbbbEUlllE0_EEPmJS9_EEE10hipError_tPvRmT3_T4_T5_T6_T7_T9_mT8_P12ihipStream_tbDpT10_ENKUlT_T0_E_clISt17integral_constantIbLb0EES19_IbLb1EEEEDaS15_S16_EUlS15_E_NS1_11comp_targetILNS1_3genE8ELNS1_11target_archE1030ELNS1_3gpuE2ELNS1_3repE0EEENS1_30default_config_static_selectorELNS0_4arch9wavefront6targetE1EEEvT1_: ; @_ZN7rocprim17ROCPRIM_400000_NS6detail17trampoline_kernelINS0_14default_configENS1_25partition_config_selectorILNS1_17partition_subalgoE9EllbEEZZNS1_14partition_implILS5_9ELb0ES3_jPlS8_PNS0_10empty_typeENS0_5tupleIJS8_S9_EEENSB_IJS8_SA_EEENS0_18inequality_wrapperIZN2at6native12_GLOBAL__N_124unique_dim_cuda_templateIfEESt5tupleIJNSF_6TensorESK_SK_EERKSK_lbbbEUlllE0_EEPmJS9_EEE10hipError_tPvRmT3_T4_T5_T6_T7_T9_mT8_P12ihipStream_tbDpT10_ENKUlT_T0_E_clISt17integral_constantIbLb0EES19_IbLb1EEEEDaS15_S16_EUlS15_E_NS1_11comp_targetILNS1_3genE8ELNS1_11target_archE1030ELNS1_3gpuE2ELNS1_3repE0EEENS1_30default_config_static_selectorELNS0_4arch9wavefront6targetE1EEEvT1_
; %bb.0:
	.section	.rodata,"a",@progbits
	.p2align	6, 0x0
	.amdhsa_kernel _ZN7rocprim17ROCPRIM_400000_NS6detail17trampoline_kernelINS0_14default_configENS1_25partition_config_selectorILNS1_17partition_subalgoE9EllbEEZZNS1_14partition_implILS5_9ELb0ES3_jPlS8_PNS0_10empty_typeENS0_5tupleIJS8_S9_EEENSB_IJS8_SA_EEENS0_18inequality_wrapperIZN2at6native12_GLOBAL__N_124unique_dim_cuda_templateIfEESt5tupleIJNSF_6TensorESK_SK_EERKSK_lbbbEUlllE0_EEPmJS9_EEE10hipError_tPvRmT3_T4_T5_T6_T7_T9_mT8_P12ihipStream_tbDpT10_ENKUlT_T0_E_clISt17integral_constantIbLb0EES19_IbLb1EEEEDaS15_S16_EUlS15_E_NS1_11comp_targetILNS1_3genE8ELNS1_11target_archE1030ELNS1_3gpuE2ELNS1_3repE0EEENS1_30default_config_static_selectorELNS0_4arch9wavefront6targetE1EEEvT1_
		.amdhsa_group_segment_fixed_size 0
		.amdhsa_private_segment_fixed_size 0
		.amdhsa_kernarg_size 136
		.amdhsa_user_sgpr_count 2
		.amdhsa_user_sgpr_dispatch_ptr 0
		.amdhsa_user_sgpr_queue_ptr 0
		.amdhsa_user_sgpr_kernarg_segment_ptr 1
		.amdhsa_user_sgpr_dispatch_id 0
		.amdhsa_user_sgpr_kernarg_preload_length 0
		.amdhsa_user_sgpr_kernarg_preload_offset 0
		.amdhsa_user_sgpr_private_segment_size 0
		.amdhsa_uses_dynamic_stack 0
		.amdhsa_enable_private_segment 0
		.amdhsa_system_sgpr_workgroup_id_x 1
		.amdhsa_system_sgpr_workgroup_id_y 0
		.amdhsa_system_sgpr_workgroup_id_z 0
		.amdhsa_system_sgpr_workgroup_info 0
		.amdhsa_system_vgpr_workitem_id 0
		.amdhsa_next_free_vgpr 1
		.amdhsa_next_free_sgpr 0
		.amdhsa_accum_offset 4
		.amdhsa_reserve_vcc 0
		.amdhsa_float_round_mode_32 0
		.amdhsa_float_round_mode_16_64 0
		.amdhsa_float_denorm_mode_32 3
		.amdhsa_float_denorm_mode_16_64 3
		.amdhsa_dx10_clamp 1
		.amdhsa_ieee_mode 1
		.amdhsa_fp16_overflow 0
		.amdhsa_tg_split 0
		.amdhsa_exception_fp_ieee_invalid_op 0
		.amdhsa_exception_fp_denorm_src 0
		.amdhsa_exception_fp_ieee_div_zero 0
		.amdhsa_exception_fp_ieee_overflow 0
		.amdhsa_exception_fp_ieee_underflow 0
		.amdhsa_exception_fp_ieee_inexact 0
		.amdhsa_exception_int_div_zero 0
	.end_amdhsa_kernel
	.section	.text._ZN7rocprim17ROCPRIM_400000_NS6detail17trampoline_kernelINS0_14default_configENS1_25partition_config_selectorILNS1_17partition_subalgoE9EllbEEZZNS1_14partition_implILS5_9ELb0ES3_jPlS8_PNS0_10empty_typeENS0_5tupleIJS8_S9_EEENSB_IJS8_SA_EEENS0_18inequality_wrapperIZN2at6native12_GLOBAL__N_124unique_dim_cuda_templateIfEESt5tupleIJNSF_6TensorESK_SK_EERKSK_lbbbEUlllE0_EEPmJS9_EEE10hipError_tPvRmT3_T4_T5_T6_T7_T9_mT8_P12ihipStream_tbDpT10_ENKUlT_T0_E_clISt17integral_constantIbLb0EES19_IbLb1EEEEDaS15_S16_EUlS15_E_NS1_11comp_targetILNS1_3genE8ELNS1_11target_archE1030ELNS1_3gpuE2ELNS1_3repE0EEENS1_30default_config_static_selectorELNS0_4arch9wavefront6targetE1EEEvT1_,"axG",@progbits,_ZN7rocprim17ROCPRIM_400000_NS6detail17trampoline_kernelINS0_14default_configENS1_25partition_config_selectorILNS1_17partition_subalgoE9EllbEEZZNS1_14partition_implILS5_9ELb0ES3_jPlS8_PNS0_10empty_typeENS0_5tupleIJS8_S9_EEENSB_IJS8_SA_EEENS0_18inequality_wrapperIZN2at6native12_GLOBAL__N_124unique_dim_cuda_templateIfEESt5tupleIJNSF_6TensorESK_SK_EERKSK_lbbbEUlllE0_EEPmJS9_EEE10hipError_tPvRmT3_T4_T5_T6_T7_T9_mT8_P12ihipStream_tbDpT10_ENKUlT_T0_E_clISt17integral_constantIbLb0EES19_IbLb1EEEEDaS15_S16_EUlS15_E_NS1_11comp_targetILNS1_3genE8ELNS1_11target_archE1030ELNS1_3gpuE2ELNS1_3repE0EEENS1_30default_config_static_selectorELNS0_4arch9wavefront6targetE1EEEvT1_,comdat
.Lfunc_end999:
	.size	_ZN7rocprim17ROCPRIM_400000_NS6detail17trampoline_kernelINS0_14default_configENS1_25partition_config_selectorILNS1_17partition_subalgoE9EllbEEZZNS1_14partition_implILS5_9ELb0ES3_jPlS8_PNS0_10empty_typeENS0_5tupleIJS8_S9_EEENSB_IJS8_SA_EEENS0_18inequality_wrapperIZN2at6native12_GLOBAL__N_124unique_dim_cuda_templateIfEESt5tupleIJNSF_6TensorESK_SK_EERKSK_lbbbEUlllE0_EEPmJS9_EEE10hipError_tPvRmT3_T4_T5_T6_T7_T9_mT8_P12ihipStream_tbDpT10_ENKUlT_T0_E_clISt17integral_constantIbLb0EES19_IbLb1EEEEDaS15_S16_EUlS15_E_NS1_11comp_targetILNS1_3genE8ELNS1_11target_archE1030ELNS1_3gpuE2ELNS1_3repE0EEENS1_30default_config_static_selectorELNS0_4arch9wavefront6targetE1EEEvT1_, .Lfunc_end999-_ZN7rocprim17ROCPRIM_400000_NS6detail17trampoline_kernelINS0_14default_configENS1_25partition_config_selectorILNS1_17partition_subalgoE9EllbEEZZNS1_14partition_implILS5_9ELb0ES3_jPlS8_PNS0_10empty_typeENS0_5tupleIJS8_S9_EEENSB_IJS8_SA_EEENS0_18inequality_wrapperIZN2at6native12_GLOBAL__N_124unique_dim_cuda_templateIfEESt5tupleIJNSF_6TensorESK_SK_EERKSK_lbbbEUlllE0_EEPmJS9_EEE10hipError_tPvRmT3_T4_T5_T6_T7_T9_mT8_P12ihipStream_tbDpT10_ENKUlT_T0_E_clISt17integral_constantIbLb0EES19_IbLb1EEEEDaS15_S16_EUlS15_E_NS1_11comp_targetILNS1_3genE8ELNS1_11target_archE1030ELNS1_3gpuE2ELNS1_3repE0EEENS1_30default_config_static_selectorELNS0_4arch9wavefront6targetE1EEEvT1_
                                        ; -- End function
	.section	.AMDGPU.csdata,"",@progbits
; Kernel info:
; codeLenInByte = 0
; NumSgprs: 6
; NumVgprs: 0
; NumAgprs: 0
; TotalNumVgprs: 0
; ScratchSize: 0
; MemoryBound: 0
; FloatMode: 240
; IeeeMode: 1
; LDSByteSize: 0 bytes/workgroup (compile time only)
; SGPRBlocks: 0
; VGPRBlocks: 0
; NumSGPRsForWavesPerEU: 6
; NumVGPRsForWavesPerEU: 1
; AccumOffset: 4
; Occupancy: 8
; WaveLimiterHint : 0
; COMPUTE_PGM_RSRC2:SCRATCH_EN: 0
; COMPUTE_PGM_RSRC2:USER_SGPR: 2
; COMPUTE_PGM_RSRC2:TRAP_HANDLER: 0
; COMPUTE_PGM_RSRC2:TGID_X_EN: 1
; COMPUTE_PGM_RSRC2:TGID_Y_EN: 0
; COMPUTE_PGM_RSRC2:TGID_Z_EN: 0
; COMPUTE_PGM_RSRC2:TIDIG_COMP_CNT: 0
; COMPUTE_PGM_RSRC3_GFX90A:ACCUM_OFFSET: 0
; COMPUTE_PGM_RSRC3_GFX90A:TG_SPLIT: 0
	.section	.text._ZN7rocprim17ROCPRIM_400000_NS6detail17trampoline_kernelINS0_14default_configENS1_37merge_sort_block_sort_config_selectorIlNS0_10empty_typeEEEZNS1_21merge_sort_block_sortIS3_PlS8_PS5_S9_ZN2at6native12_GLOBAL__N_124unique_dim_cuda_templateIbEESt5tupleIJNSA_6TensorESF_SF_EERKSF_lbbbEUlllE_EE10hipError_tT0_T1_T2_T3_mRjT4_P12ihipStream_tbNS1_7vsmem_tEEUlT_E_NS1_11comp_targetILNS1_3genE0ELNS1_11target_archE4294967295ELNS1_3gpuE0ELNS1_3repE0EEENS1_30default_config_static_selectorELNS0_4arch9wavefront6targetE1EEEvSM_,"axG",@progbits,_ZN7rocprim17ROCPRIM_400000_NS6detail17trampoline_kernelINS0_14default_configENS1_37merge_sort_block_sort_config_selectorIlNS0_10empty_typeEEEZNS1_21merge_sort_block_sortIS3_PlS8_PS5_S9_ZN2at6native12_GLOBAL__N_124unique_dim_cuda_templateIbEESt5tupleIJNSA_6TensorESF_SF_EERKSF_lbbbEUlllE_EE10hipError_tT0_T1_T2_T3_mRjT4_P12ihipStream_tbNS1_7vsmem_tEEUlT_E_NS1_11comp_targetILNS1_3genE0ELNS1_11target_archE4294967295ELNS1_3gpuE0ELNS1_3repE0EEENS1_30default_config_static_selectorELNS0_4arch9wavefront6targetE1EEEvSM_,comdat
	.globl	_ZN7rocprim17ROCPRIM_400000_NS6detail17trampoline_kernelINS0_14default_configENS1_37merge_sort_block_sort_config_selectorIlNS0_10empty_typeEEEZNS1_21merge_sort_block_sortIS3_PlS8_PS5_S9_ZN2at6native12_GLOBAL__N_124unique_dim_cuda_templateIbEESt5tupleIJNSA_6TensorESF_SF_EERKSF_lbbbEUlllE_EE10hipError_tT0_T1_T2_T3_mRjT4_P12ihipStream_tbNS1_7vsmem_tEEUlT_E_NS1_11comp_targetILNS1_3genE0ELNS1_11target_archE4294967295ELNS1_3gpuE0ELNS1_3repE0EEENS1_30default_config_static_selectorELNS0_4arch9wavefront6targetE1EEEvSM_ ; -- Begin function _ZN7rocprim17ROCPRIM_400000_NS6detail17trampoline_kernelINS0_14default_configENS1_37merge_sort_block_sort_config_selectorIlNS0_10empty_typeEEEZNS1_21merge_sort_block_sortIS3_PlS8_PS5_S9_ZN2at6native12_GLOBAL__N_124unique_dim_cuda_templateIbEESt5tupleIJNSA_6TensorESF_SF_EERKSF_lbbbEUlllE_EE10hipError_tT0_T1_T2_T3_mRjT4_P12ihipStream_tbNS1_7vsmem_tEEUlT_E_NS1_11comp_targetILNS1_3genE0ELNS1_11target_archE4294967295ELNS1_3gpuE0ELNS1_3repE0EEENS1_30default_config_static_selectorELNS0_4arch9wavefront6targetE1EEEvSM_
	.p2align	8
	.type	_ZN7rocprim17ROCPRIM_400000_NS6detail17trampoline_kernelINS0_14default_configENS1_37merge_sort_block_sort_config_selectorIlNS0_10empty_typeEEEZNS1_21merge_sort_block_sortIS3_PlS8_PS5_S9_ZN2at6native12_GLOBAL__N_124unique_dim_cuda_templateIbEESt5tupleIJNSA_6TensorESF_SF_EERKSF_lbbbEUlllE_EE10hipError_tT0_T1_T2_T3_mRjT4_P12ihipStream_tbNS1_7vsmem_tEEUlT_E_NS1_11comp_targetILNS1_3genE0ELNS1_11target_archE4294967295ELNS1_3gpuE0ELNS1_3repE0EEENS1_30default_config_static_selectorELNS0_4arch9wavefront6targetE1EEEvSM_,@function
_ZN7rocprim17ROCPRIM_400000_NS6detail17trampoline_kernelINS0_14default_configENS1_37merge_sort_block_sort_config_selectorIlNS0_10empty_typeEEEZNS1_21merge_sort_block_sortIS3_PlS8_PS5_S9_ZN2at6native12_GLOBAL__N_124unique_dim_cuda_templateIbEESt5tupleIJNSA_6TensorESF_SF_EERKSF_lbbbEUlllE_EE10hipError_tT0_T1_T2_T3_mRjT4_P12ihipStream_tbNS1_7vsmem_tEEUlT_E_NS1_11comp_targetILNS1_3genE0ELNS1_11target_archE4294967295ELNS1_3gpuE0ELNS1_3repE0EEENS1_30default_config_static_selectorELNS0_4arch9wavefront6targetE1EEEvSM_: ; @_ZN7rocprim17ROCPRIM_400000_NS6detail17trampoline_kernelINS0_14default_configENS1_37merge_sort_block_sort_config_selectorIlNS0_10empty_typeEEEZNS1_21merge_sort_block_sortIS3_PlS8_PS5_S9_ZN2at6native12_GLOBAL__N_124unique_dim_cuda_templateIbEESt5tupleIJNSA_6TensorESF_SF_EERKSF_lbbbEUlllE_EE10hipError_tT0_T1_T2_T3_mRjT4_P12ihipStream_tbNS1_7vsmem_tEEUlT_E_NS1_11comp_targetILNS1_3genE0ELNS1_11target_archE4294967295ELNS1_3gpuE0ELNS1_3repE0EEENS1_30default_config_static_selectorELNS0_4arch9wavefront6targetE1EEEvSM_
; %bb.0:
	.section	.rodata,"a",@progbits
	.p2align	6, 0x0
	.amdhsa_kernel _ZN7rocprim17ROCPRIM_400000_NS6detail17trampoline_kernelINS0_14default_configENS1_37merge_sort_block_sort_config_selectorIlNS0_10empty_typeEEEZNS1_21merge_sort_block_sortIS3_PlS8_PS5_S9_ZN2at6native12_GLOBAL__N_124unique_dim_cuda_templateIbEESt5tupleIJNSA_6TensorESF_SF_EERKSF_lbbbEUlllE_EE10hipError_tT0_T1_T2_T3_mRjT4_P12ihipStream_tbNS1_7vsmem_tEEUlT_E_NS1_11comp_targetILNS1_3genE0ELNS1_11target_archE4294967295ELNS1_3gpuE0ELNS1_3repE0EEENS1_30default_config_static_selectorELNS0_4arch9wavefront6targetE1EEEvSM_
		.amdhsa_group_segment_fixed_size 0
		.amdhsa_private_segment_fixed_size 0
		.amdhsa_kernarg_size 72
		.amdhsa_user_sgpr_count 2
		.amdhsa_user_sgpr_dispatch_ptr 0
		.amdhsa_user_sgpr_queue_ptr 0
		.amdhsa_user_sgpr_kernarg_segment_ptr 1
		.amdhsa_user_sgpr_dispatch_id 0
		.amdhsa_user_sgpr_kernarg_preload_length 0
		.amdhsa_user_sgpr_kernarg_preload_offset 0
		.amdhsa_user_sgpr_private_segment_size 0
		.amdhsa_uses_dynamic_stack 0
		.amdhsa_enable_private_segment 0
		.amdhsa_system_sgpr_workgroup_id_x 1
		.amdhsa_system_sgpr_workgroup_id_y 0
		.amdhsa_system_sgpr_workgroup_id_z 0
		.amdhsa_system_sgpr_workgroup_info 0
		.amdhsa_system_vgpr_workitem_id 0
		.amdhsa_next_free_vgpr 1
		.amdhsa_next_free_sgpr 0
		.amdhsa_accum_offset 4
		.amdhsa_reserve_vcc 0
		.amdhsa_float_round_mode_32 0
		.amdhsa_float_round_mode_16_64 0
		.amdhsa_float_denorm_mode_32 3
		.amdhsa_float_denorm_mode_16_64 3
		.amdhsa_dx10_clamp 1
		.amdhsa_ieee_mode 1
		.amdhsa_fp16_overflow 0
		.amdhsa_tg_split 0
		.amdhsa_exception_fp_ieee_invalid_op 0
		.amdhsa_exception_fp_denorm_src 0
		.amdhsa_exception_fp_ieee_div_zero 0
		.amdhsa_exception_fp_ieee_overflow 0
		.amdhsa_exception_fp_ieee_underflow 0
		.amdhsa_exception_fp_ieee_inexact 0
		.amdhsa_exception_int_div_zero 0
	.end_amdhsa_kernel
	.section	.text._ZN7rocprim17ROCPRIM_400000_NS6detail17trampoline_kernelINS0_14default_configENS1_37merge_sort_block_sort_config_selectorIlNS0_10empty_typeEEEZNS1_21merge_sort_block_sortIS3_PlS8_PS5_S9_ZN2at6native12_GLOBAL__N_124unique_dim_cuda_templateIbEESt5tupleIJNSA_6TensorESF_SF_EERKSF_lbbbEUlllE_EE10hipError_tT0_T1_T2_T3_mRjT4_P12ihipStream_tbNS1_7vsmem_tEEUlT_E_NS1_11comp_targetILNS1_3genE0ELNS1_11target_archE4294967295ELNS1_3gpuE0ELNS1_3repE0EEENS1_30default_config_static_selectorELNS0_4arch9wavefront6targetE1EEEvSM_,"axG",@progbits,_ZN7rocprim17ROCPRIM_400000_NS6detail17trampoline_kernelINS0_14default_configENS1_37merge_sort_block_sort_config_selectorIlNS0_10empty_typeEEEZNS1_21merge_sort_block_sortIS3_PlS8_PS5_S9_ZN2at6native12_GLOBAL__N_124unique_dim_cuda_templateIbEESt5tupleIJNSA_6TensorESF_SF_EERKSF_lbbbEUlllE_EE10hipError_tT0_T1_T2_T3_mRjT4_P12ihipStream_tbNS1_7vsmem_tEEUlT_E_NS1_11comp_targetILNS1_3genE0ELNS1_11target_archE4294967295ELNS1_3gpuE0ELNS1_3repE0EEENS1_30default_config_static_selectorELNS0_4arch9wavefront6targetE1EEEvSM_,comdat
.Lfunc_end1000:
	.size	_ZN7rocprim17ROCPRIM_400000_NS6detail17trampoline_kernelINS0_14default_configENS1_37merge_sort_block_sort_config_selectorIlNS0_10empty_typeEEEZNS1_21merge_sort_block_sortIS3_PlS8_PS5_S9_ZN2at6native12_GLOBAL__N_124unique_dim_cuda_templateIbEESt5tupleIJNSA_6TensorESF_SF_EERKSF_lbbbEUlllE_EE10hipError_tT0_T1_T2_T3_mRjT4_P12ihipStream_tbNS1_7vsmem_tEEUlT_E_NS1_11comp_targetILNS1_3genE0ELNS1_11target_archE4294967295ELNS1_3gpuE0ELNS1_3repE0EEENS1_30default_config_static_selectorELNS0_4arch9wavefront6targetE1EEEvSM_, .Lfunc_end1000-_ZN7rocprim17ROCPRIM_400000_NS6detail17trampoline_kernelINS0_14default_configENS1_37merge_sort_block_sort_config_selectorIlNS0_10empty_typeEEEZNS1_21merge_sort_block_sortIS3_PlS8_PS5_S9_ZN2at6native12_GLOBAL__N_124unique_dim_cuda_templateIbEESt5tupleIJNSA_6TensorESF_SF_EERKSF_lbbbEUlllE_EE10hipError_tT0_T1_T2_T3_mRjT4_P12ihipStream_tbNS1_7vsmem_tEEUlT_E_NS1_11comp_targetILNS1_3genE0ELNS1_11target_archE4294967295ELNS1_3gpuE0ELNS1_3repE0EEENS1_30default_config_static_selectorELNS0_4arch9wavefront6targetE1EEEvSM_
                                        ; -- End function
	.section	.AMDGPU.csdata,"",@progbits
; Kernel info:
; codeLenInByte = 0
; NumSgprs: 6
; NumVgprs: 0
; NumAgprs: 0
; TotalNumVgprs: 0
; ScratchSize: 0
; MemoryBound: 0
; FloatMode: 240
; IeeeMode: 1
; LDSByteSize: 0 bytes/workgroup (compile time only)
; SGPRBlocks: 0
; VGPRBlocks: 0
; NumSGPRsForWavesPerEU: 6
; NumVGPRsForWavesPerEU: 1
; AccumOffset: 4
; Occupancy: 8
; WaveLimiterHint : 0
; COMPUTE_PGM_RSRC2:SCRATCH_EN: 0
; COMPUTE_PGM_RSRC2:USER_SGPR: 2
; COMPUTE_PGM_RSRC2:TRAP_HANDLER: 0
; COMPUTE_PGM_RSRC2:TGID_X_EN: 1
; COMPUTE_PGM_RSRC2:TGID_Y_EN: 0
; COMPUTE_PGM_RSRC2:TGID_Z_EN: 0
; COMPUTE_PGM_RSRC2:TIDIG_COMP_CNT: 0
; COMPUTE_PGM_RSRC3_GFX90A:ACCUM_OFFSET: 0
; COMPUTE_PGM_RSRC3_GFX90A:TG_SPLIT: 0
	.text
	.p2align	2                               ; -- Begin function _ZN7rocprim17ROCPRIM_400000_NS6detail15block_sort_implIlNS0_10empty_typeELj256ELj8ELNS0_4arch9wavefront6targetE1EvE4sortIPlS9_PS3_SA_ZN2at6native12_GLOBAL__N_124unique_dim_cuda_templateIbEESt5tupleIJNSB_6TensorESG_SG_EERKSG_lbbbEUlllE_EEvjbT_T0_T1_T2_T3_RNS7_12storage_typeE
	.type	_ZN7rocprim17ROCPRIM_400000_NS6detail15block_sort_implIlNS0_10empty_typeELj256ELj8ELNS0_4arch9wavefront6targetE1EvE4sortIPlS9_PS3_SA_ZN2at6native12_GLOBAL__N_124unique_dim_cuda_templateIbEESt5tupleIJNSB_6TensorESG_SG_EERKSG_lbbbEUlllE_EEvjbT_T0_T1_T2_T3_RNS7_12storage_typeE,@function
_ZN7rocprim17ROCPRIM_400000_NS6detail15block_sort_implIlNS0_10empty_typeELj256ELj8ELNS0_4arch9wavefront6targetE1EvE4sortIPlS9_PS3_SA_ZN2at6native12_GLOBAL__N_124unique_dim_cuda_templateIbEESt5tupleIJNSB_6TensorESG_SG_EERKSG_lbbbEUlllE_EEvjbT_T0_T1_T2_T3_RNS7_12storage_typeE: ; @_ZN7rocprim17ROCPRIM_400000_NS6detail15block_sort_implIlNS0_10empty_typeELj256ELj8ELNS0_4arch9wavefront6targetE1EvE4sortIPlS9_PS3_SA_ZN2at6native12_GLOBAL__N_124unique_dim_cuda_templateIbEESt5tupleIJNSB_6TensorESG_SG_EERKSG_lbbbEUlllE_EEvjbT_T0_T1_T2_T3_RNS7_12storage_typeE
; %bb.0:
	s_waitcnt vmcnt(0) expcnt(0) lgkmcnt(0)
	s_or_saveexec_b64 s[0:1], -1
	scratch_store_dword off, v40, s32       ; 4-byte Folded Spill
	s_mov_b64 exec, s[0:1]
	v_writelane_b32 v40, s34, 0
	v_writelane_b32 v40, s35, 1
	;; [unrolled: 1-line block ×38, first 2 shown]
	s_nop 1
	v_writelane_b32 v40, s31, 38
	v_and_b32_e32 v1, 1, v1
	v_cmp_eq_u32_e32 vcc, 1, v1
	v_and_b32_e32 v28, 0x3ff, v31
	s_xor_b64 s[0:1], vcc, -1
	s_mov_b64 s[22:23], 0
	v_bfe_u32 v64, v31, 10, 10
	v_bfe_u32 v65, v31, 20, 10
	v_lshlrev_b32_e32 v30, 3, v28
	v_lshrrev_b32_e32 v32, 5, v28
	v_lshrrev_b32_e32 v1, 2, v28
                                        ; implicit-def: $vgpr12_vgpr13
	s_and_saveexec_b64 s[2:3], s[0:1]
	s_xor_b64 s[10:11], exec, s[2:3]
	s_cbranch_execnz .LBB1001_5
; %bb.1:
	s_andn2_saveexec_b64 s[24:25], s[10:11]
	s_cbranch_execnz .LBB1001_641
.LBB1001_2:
	s_or_b64 exec, exec, s[24:25]
	s_and_saveexec_b64 s[0:1], s[22:23]
	s_cbranch_execz .LBB1001_4
.LBB1001_3:
	s_waitcnt vmcnt(0) lgkmcnt(0)
	v_lshl_add_u64 v[0:1], v[28:29], 3, v[4:5]
	v_add_co_u32_e32 v0, vcc, 0x3000, v0
	s_nop 1
	v_addc_co_u32_e32 v1, vcc, 0, v1, vcc
	flat_store_dwordx2 v[0:1], v[12:13] offset:2048
.LBB1001_4:
	s_or_b64 exec, exec, s[0:1]
	v_readlane_b32 s30, v40, 37
	v_readlane_b32 s31, v40, 38
	;; [unrolled: 1-line block ×39, first 2 shown]
	s_or_saveexec_b64 s[0:1], -1
	scratch_load_dword v40, off, s32        ; 4-byte Folded Reload
	s_mov_b64 exec, s[0:1]
	s_waitcnt vmcnt(0) lgkmcnt(0)
	s_setpc_b64 s[30:31]
.LBB1001_5:
	v_mov_b32_e32 v29, 0
	v_mov_b32_e32 v31, v29
	v_lshl_add_u64 v[2:3], v[2:3], 0, v[30:31]
	v_add_co_u32_e32 v12, vcc, 0x1000, v2
	v_add_u32_e32 v26, 0x200, v28
	s_nop 0
	v_addc_co_u32_e32 v13, vcc, 0, v3, vcc
	flat_load_dwordx2 v[14:15], v[2:3]
	flat_load_dwordx2 v[16:17], v[2:3] offset:2048
	flat_load_dwordx2 v[18:19], v[12:13]
	flat_load_dwordx2 v[20:21], v[12:13] offset:2048
	v_add_co_u32_e32 v12, vcc, 0x2000, v2
	v_add_u32_e32 v31, 0x300, v28
	s_nop 0
	v_addc_co_u32_e32 v13, vcc, 0, v3, vcc
	v_add_co_u32_e32 v2, vcc, 0x3000, v2
	v_or_b32_e32 v34, 0x400, v28
	s_nop 0
	v_addc_co_u32_e32 v3, vcc, 0, v3, vcc
	flat_load_dwordx2 v[22:23], v[12:13]
	flat_load_dwordx2 v[54:55], v[12:13] offset:2048
	flat_load_dwordx2 v[66:67], v[2:3]
	flat_load_dwordx2 v[68:69], v[2:3] offset:2048
	v_add_u32_e32 v3, 0x100, v28
	v_add_u32_e32 v35, 0x500, v28
	v_add_u32_e32 v48, 0x600, v28
	v_add_u32_e32 v49, 0x700, v28
	v_add_lshl_u32 v0, v32, v28, 3
	v_add_lshl_u32 v2, v1, v30, 3
	v_mov_b32_e32 v1, v29
	v_lshrrev_b32_e32 v12, 5, v3
	v_lshrrev_b32_e32 v32, 5, v26
	v_lshrrev_b32_e32 v36, 5, v31
	v_lshrrev_b32_e32 v38, 5, v34
	v_lshrrev_b32_e32 v50, 5, v35
	v_lshrrev_b32_e32 v52, 5, v48
	v_lshrrev_b32_e32 v53, 5, v49
	v_mov_b32_e32 v3, v29
	v_mov_b32_e32 v13, v29
	;; [unrolled: 1-line block ×8, first 2 shown]
	v_lshl_add_u64 v[24:25], v[10:11], 0, v[0:1]
	v_add_lshl_u32 v12, v12, v28, 3
	v_add_lshl_u32 v26, v32, v26, 3
	;; [unrolled: 1-line block ×7, first 2 shown]
	v_lshl_add_u64 v[52:53], v[10:11], 0, v[2:3]
	v_lshl_add_u64 v[34:35], v[10:11], 0, v[12:13]
	;; [unrolled: 1-line block ×8, first 2 shown]
	v_cmp_lt_i64_e32 vcc, 0, v[6:7]
	s_waitcnt vmcnt(0) lgkmcnt(0)
	flat_store_dwordx2 v[24:25], v[14:15]
	flat_store_dwordx2 v[34:35], v[16:17] offset:2048
	flat_store_dwordx2 v[26:27], v[18:19]
	flat_store_dwordx2 v[48:49], v[20:21]
	;; [unrolled: 1-line block ×6, first 2 shown]
	s_waitcnt lgkmcnt(0)
	s_barrier
	flat_load_dwordx4 v[20:23], v[52:53]
	flat_load_dwordx4 v[16:19], v[52:53] offset:16
	flat_load_dwordx4 v[12:15], v[52:53] offset:32
	;; [unrolled: 1-line block ×3, first 2 shown]
	s_waitcnt lgkmcnt(0)
	s_barrier
	s_load_dwordx2 s[0:1], s[8:9], 0x0
	s_waitcnt lgkmcnt(0)
	s_cmp_lt_u32 s12, s0
	s_cselect_b32 s2, 12, 18
	s_cmp_lt_u32 s13, s1
	s_cselect_b32 s0, 14, 20
	s_add_u32 s0, s8, s0
	s_addc_u32 s1, s9, 0
	s_add_u32 s2, s8, s2
	s_addc_u32 s3, s9, 0
	global_load_ushort v31, v29, s[0:1]
	global_load_ushort v54, v29, s[2:3]
	s_movk_i32 s0, 0x800
	s_waitcnt vmcnt(0)
	v_mad_u32_u24 v31, v65, v31, v64
	v_mul_lo_u32 v31, v31, v54
	v_add_lshl_u32 v31, v31, v28, 3
	v_cmp_gt_u32_e64 s[0:1], s0, v31
	s_and_saveexec_b64 s[4:5], s[0:1]
	s_cbranch_execz .LBB1001_227
; %bb.6:
	s_and_saveexec_b64 s[6:7], vcc
	s_cbranch_execnz .LBB1001_32
; %bb.7:
	s_or_b64 exec, exec, s[6:7]
	s_and_saveexec_b64 s[6:7], vcc
	s_cbranch_execnz .LBB1001_39
.LBB1001_8:
	s_or_b64 exec, exec, s[6:7]
	s_and_saveexec_b64 s[6:7], vcc
	s_cbranch_execnz .LBB1001_46
.LBB1001_9:
	s_or_b64 exec, exec, s[6:7]
	s_and_saveexec_b64 s[6:7], vcc
	s_cbranch_execnz .LBB1001_53
.LBB1001_10:
	s_or_b64 exec, exec, s[6:7]
	s_and_saveexec_b64 s[0:1], vcc
	s_xor_b64 s[6:7], exec, s[0:1]
	s_cbranch_execnz .LBB1001_60
.LBB1001_11:
	s_or_b64 exec, exec, s[6:7]
	s_and_saveexec_b64 s[6:7], vcc
	s_cbranch_execnz .LBB1001_67
.LBB1001_12:
	s_or_b64 exec, exec, s[6:7]
	s_and_saveexec_b64 s[6:7], vcc
	s_cbranch_execnz .LBB1001_74
.LBB1001_13:
	s_or_b64 exec, exec, s[6:7]
	s_and_saveexec_b64 s[6:7], vcc
	s_cbranch_execnz .LBB1001_81
.LBB1001_14:
	s_or_b64 exec, exec, s[6:7]
	s_and_saveexec_b64 s[6:7], vcc
	s_cbranch_execnz .LBB1001_88
.LBB1001_15:
	s_or_b64 exec, exec, s[6:7]
	s_and_saveexec_b64 s[6:7], vcc
	s_cbranch_execnz .LBB1001_95
.LBB1001_16:
	s_or_b64 exec, exec, s[6:7]
	s_and_saveexec_b64 s[6:7], vcc
	s_cbranch_execnz .LBB1001_102
.LBB1001_17:
	s_or_b64 exec, exec, s[6:7]
	s_and_saveexec_b64 s[6:7], vcc
	s_cbranch_execnz .LBB1001_109
.LBB1001_18:
	s_or_b64 exec, exec, s[6:7]
	s_and_saveexec_b64 s[6:7], vcc
	s_cbranch_execnz .LBB1001_116
.LBB1001_19:
	s_or_b64 exec, exec, s[6:7]
	s_and_saveexec_b64 s[6:7], vcc
	s_cbranch_execnz .LBB1001_123
.LBB1001_20:
	s_or_b64 exec, exec, s[6:7]
	s_and_saveexec_b64 s[6:7], vcc
	s_cbranch_execnz .LBB1001_130
.LBB1001_21:
	s_or_b64 exec, exec, s[6:7]
	s_and_saveexec_b64 s[6:7], vcc
	s_cbranch_execnz .LBB1001_137
.LBB1001_22:
	s_or_b64 exec, exec, s[6:7]
	s_and_saveexec_b64 s[6:7], vcc
	s_cbranch_execnz .LBB1001_144
.LBB1001_23:
	s_or_b64 exec, exec, s[6:7]
	s_and_saveexec_b64 s[6:7], vcc
	s_cbranch_execnz .LBB1001_151
.LBB1001_24:
	s_or_b64 exec, exec, s[6:7]
	s_and_saveexec_b64 s[6:7], vcc
	s_cbranch_execnz .LBB1001_158
.LBB1001_25:
	s_or_b64 exec, exec, s[6:7]
	s_and_saveexec_b64 s[6:7], vcc
	s_cbranch_execnz .LBB1001_165
.LBB1001_26:
	s_or_b64 exec, exec, s[6:7]
	s_and_saveexec_b64 s[6:7], vcc
	s_cbranch_execnz .LBB1001_172
.LBB1001_27:
	s_or_b64 exec, exec, s[6:7]
	s_and_saveexec_b64 s[6:7], vcc
	s_cbranch_execnz .LBB1001_179
.LBB1001_28:
	s_or_b64 exec, exec, s[6:7]
	s_and_saveexec_b64 s[6:7], vcc
	s_cbranch_execnz .LBB1001_186
.LBB1001_29:
	s_or_b64 exec, exec, s[6:7]
	s_and_saveexec_b64 s[6:7], vcc
	s_cbranch_execnz .LBB1001_193
.LBB1001_30:
	s_or_b64 exec, exec, s[6:7]
	s_and_saveexec_b64 s[6:7], vcc
	s_cbranch_execnz .LBB1001_200
.LBB1001_31:
	s_or_b64 exec, exec, s[6:7]
	s_and_saveexec_b64 s[6:7], vcc
	s_cbranch_execnz .LBB1001_207
	s_branch .LBB1001_226
.LBB1001_32:
	v_mad_u64_u32 v[54:55], s[0:1], v20, v6, v[8:9]
	v_mul_lo_u32 v64, v20, v7
	v_mul_lo_u32 v65, v21, v6
	v_add3_u32 v55, v65, v55, v64
	v_mad_u64_u32 v[64:65], s[0:1], v22, v6, v[8:9]
	v_mul_lo_u32 v66, v22, v7
	v_mul_lo_u32 v67, v23, v6
	v_add3_u32 v65, v67, v65, v66
	s_mov_b64 s[16:17], 0
	v_mov_b64_e32 v[66:67], v[6:7]
                                        ; implicit-def: $sgpr14_sgpr15
                                        ; implicit-def: $sgpr18_sgpr19
                                        ; implicit-def: $sgpr22_sgpr23
                                        ; implicit-def: $sgpr20_sgpr21
                                        ; implicit-def: $sgpr24_sgpr25
                                        ; implicit-def: $sgpr26_sgpr27
	s_branch .LBB1001_34
.LBB1001_33:                            ;   in Loop: Header=BB1001_34 Depth=1
	s_or_b64 exec, exec, s[28:29]
	s_and_b64 s[0:1], exec, s[22:23]
	s_or_b64 s[16:17], s[0:1], s[16:17]
	s_andn2_b64 s[0:1], s[26:27], exec
	s_and_b64 s[26:27], s[24:25], exec
	s_or_b64 s[26:27], s[0:1], s[26:27]
	s_andn2_b64 s[0:1], s[18:19], exec
	s_and_b64 s[18:19], s[20:21], exec
	;; [unrolled: 3-line block ×3, first 2 shown]
	s_or_b64 s[14:15], s[0:1], s[2:3]
	s_andn2_b64 exec, exec, s[16:17]
	s_cbranch_execz .LBB1001_36
.LBB1001_34:                            ; =>This Inner Loop Header: Depth=1
	flat_load_ubyte v68, v[64:65]
	flat_load_ubyte v69, v[54:55]
	s_andn2_b64 s[24:25], s[24:25], exec
	s_or_b64 s[20:21], s[20:21], exec
	s_or_b64 s[22:23], s[22:23], exec
	s_waitcnt vmcnt(0) lgkmcnt(0)
	v_cmp_eq_u16_e64 s[0:1], 0, v68
	v_cmp_ne_u16_e64 s[2:3], 0, v69
	s_or_b64 s[30:31], s[0:1], s[2:3]
	s_and_b64 s[28:29], s[0:1], s[2:3]
	s_xor_b64 s[0:1], s[0:1], s[2:3]
	s_and_b64 s[2:3], s[30:31], s[26:27]
	s_or_b64 s[2:3], s[28:29], s[2:3]
	s_and_saveexec_b64 s[28:29], s[0:1]
	s_cbranch_execz .LBB1001_33
; %bb.35:                               ;   in Loop: Header=BB1001_34 Depth=1
	v_lshl_add_u64 v[66:67], v[66:67], 0, -1
	v_cmp_eq_u64_e64 s[0:1], 0, v[66:67]
	s_andn2_b64 s[24:25], s[24:25], exec
	s_and_b64 s[26:27], s[2:3], exec
	s_andn2_b64 s[22:23], s[22:23], exec
	s_and_b64 s[0:1], s[0:1], exec
	v_lshl_add_u64 v[54:55], v[54:55], 0, 1
	v_lshl_add_u64 v[64:65], v[64:65], 0, 1
	s_or_b64 s[24:25], s[24:25], s[26:27]
	s_andn2_b64 s[20:21], s[20:21], exec
	s_or_b64 s[22:23], s[22:23], s[0:1]
                                        ; implicit-def: $sgpr26_sgpr27
	s_branch .LBB1001_33
.LBB1001_36:
	s_or_b64 exec, exec, s[16:17]
	s_and_saveexec_b64 s[0:1], s[18:19]
	s_xor_b64 s[0:1], exec, s[0:1]
; %bb.37:
	v_cndmask_b32_e64 v55, v23, v21, s[14:15]
	v_cndmask_b32_e64 v54, v22, v20, s[14:15]
	v_cndmask_b32_e64 v21, v21, v23, s[14:15]
	v_cndmask_b32_e64 v20, v20, v22, s[14:15]
	v_mov_b64_e32 v[22:23], v[54:55]
; %bb.38:
	s_or_b64 exec, exec, s[0:1]
	s_or_b64 exec, exec, s[6:7]
	s_and_saveexec_b64 s[6:7], vcc
	s_cbranch_execz .LBB1001_8
.LBB1001_39:
	v_mad_u64_u32 v[54:55], s[0:1], v16, v6, v[8:9]
	v_mul_lo_u32 v64, v16, v7
	v_mul_lo_u32 v65, v17, v6
	v_add3_u32 v55, v65, v55, v64
	v_mad_u64_u32 v[64:65], s[0:1], v18, v6, v[8:9]
	v_mul_lo_u32 v66, v18, v7
	v_mul_lo_u32 v67, v19, v6
	v_add3_u32 v65, v67, v65, v66
	s_mov_b64 s[16:17], 0
	v_mov_b64_e32 v[66:67], v[6:7]
                                        ; implicit-def: $sgpr14_sgpr15
                                        ; implicit-def: $sgpr18_sgpr19
                                        ; implicit-def: $sgpr22_sgpr23
                                        ; implicit-def: $sgpr20_sgpr21
                                        ; implicit-def: $sgpr24_sgpr25
                                        ; implicit-def: $sgpr26_sgpr27
	s_branch .LBB1001_41
.LBB1001_40:                            ;   in Loop: Header=BB1001_41 Depth=1
	s_or_b64 exec, exec, s[28:29]
	s_and_b64 s[0:1], exec, s[22:23]
	s_or_b64 s[16:17], s[0:1], s[16:17]
	s_andn2_b64 s[0:1], s[26:27], exec
	s_and_b64 s[26:27], s[24:25], exec
	s_or_b64 s[26:27], s[0:1], s[26:27]
	s_andn2_b64 s[0:1], s[18:19], exec
	s_and_b64 s[18:19], s[20:21], exec
	;; [unrolled: 3-line block ×3, first 2 shown]
	s_or_b64 s[14:15], s[0:1], s[2:3]
	s_andn2_b64 exec, exec, s[16:17]
	s_cbranch_execz .LBB1001_43
.LBB1001_41:                            ; =>This Inner Loop Header: Depth=1
	flat_load_ubyte v68, v[64:65]
	flat_load_ubyte v69, v[54:55]
	s_andn2_b64 s[24:25], s[24:25], exec
	s_or_b64 s[20:21], s[20:21], exec
	s_or_b64 s[22:23], s[22:23], exec
	s_waitcnt vmcnt(0) lgkmcnt(0)
	v_cmp_eq_u16_e64 s[0:1], 0, v68
	v_cmp_ne_u16_e64 s[2:3], 0, v69
	s_or_b64 s[30:31], s[0:1], s[2:3]
	s_and_b64 s[28:29], s[0:1], s[2:3]
	s_xor_b64 s[0:1], s[0:1], s[2:3]
	s_and_b64 s[2:3], s[30:31], s[26:27]
	s_or_b64 s[2:3], s[28:29], s[2:3]
	s_and_saveexec_b64 s[28:29], s[0:1]
	s_cbranch_execz .LBB1001_40
; %bb.42:                               ;   in Loop: Header=BB1001_41 Depth=1
	v_lshl_add_u64 v[66:67], v[66:67], 0, -1
	v_cmp_eq_u64_e64 s[0:1], 0, v[66:67]
	s_andn2_b64 s[24:25], s[24:25], exec
	s_and_b64 s[26:27], s[2:3], exec
	s_andn2_b64 s[22:23], s[22:23], exec
	s_and_b64 s[0:1], s[0:1], exec
	v_lshl_add_u64 v[54:55], v[54:55], 0, 1
	v_lshl_add_u64 v[64:65], v[64:65], 0, 1
	s_or_b64 s[24:25], s[24:25], s[26:27]
	s_andn2_b64 s[20:21], s[20:21], exec
	s_or_b64 s[22:23], s[22:23], s[0:1]
                                        ; implicit-def: $sgpr26_sgpr27
	s_branch .LBB1001_40
.LBB1001_43:
	s_or_b64 exec, exec, s[16:17]
	s_and_saveexec_b64 s[0:1], s[18:19]
	s_xor_b64 s[0:1], exec, s[0:1]
; %bb.44:
	v_cndmask_b32_e64 v55, v17, v19, s[14:15]
	v_cndmask_b32_e64 v54, v16, v18, s[14:15]
	;; [unrolled: 1-line block ×4, first 2 shown]
	v_mov_b64_e32 v[16:17], v[54:55]
; %bb.45:
	s_or_b64 exec, exec, s[0:1]
	s_or_b64 exec, exec, s[6:7]
	s_and_saveexec_b64 s[6:7], vcc
	s_cbranch_execz .LBB1001_9
.LBB1001_46:
	v_mad_u64_u32 v[54:55], s[0:1], v12, v6, v[8:9]
	v_mul_lo_u32 v64, v12, v7
	v_mul_lo_u32 v65, v13, v6
	v_add3_u32 v55, v65, v55, v64
	v_mad_u64_u32 v[64:65], s[0:1], v14, v6, v[8:9]
	v_mul_lo_u32 v66, v14, v7
	v_mul_lo_u32 v67, v15, v6
	v_add3_u32 v65, v67, v65, v66
	s_mov_b64 s[16:17], 0
	v_mov_b64_e32 v[66:67], v[6:7]
                                        ; implicit-def: $sgpr14_sgpr15
                                        ; implicit-def: $sgpr18_sgpr19
                                        ; implicit-def: $sgpr22_sgpr23
                                        ; implicit-def: $sgpr20_sgpr21
                                        ; implicit-def: $sgpr24_sgpr25
                                        ; implicit-def: $sgpr26_sgpr27
	s_branch .LBB1001_48
.LBB1001_47:                            ;   in Loop: Header=BB1001_48 Depth=1
	s_or_b64 exec, exec, s[28:29]
	s_and_b64 s[0:1], exec, s[22:23]
	s_or_b64 s[16:17], s[0:1], s[16:17]
	s_andn2_b64 s[0:1], s[26:27], exec
	s_and_b64 s[26:27], s[24:25], exec
	s_or_b64 s[26:27], s[0:1], s[26:27]
	s_andn2_b64 s[0:1], s[18:19], exec
	s_and_b64 s[18:19], s[20:21], exec
	;; [unrolled: 3-line block ×3, first 2 shown]
	s_or_b64 s[14:15], s[0:1], s[2:3]
	s_andn2_b64 exec, exec, s[16:17]
	s_cbranch_execz .LBB1001_50
.LBB1001_48:                            ; =>This Inner Loop Header: Depth=1
	flat_load_ubyte v68, v[64:65]
	flat_load_ubyte v69, v[54:55]
	s_andn2_b64 s[24:25], s[24:25], exec
	s_or_b64 s[20:21], s[20:21], exec
	s_or_b64 s[22:23], s[22:23], exec
	s_waitcnt vmcnt(0) lgkmcnt(0)
	v_cmp_eq_u16_e64 s[0:1], 0, v68
	v_cmp_ne_u16_e64 s[2:3], 0, v69
	s_or_b64 s[30:31], s[0:1], s[2:3]
	s_and_b64 s[28:29], s[0:1], s[2:3]
	s_xor_b64 s[0:1], s[0:1], s[2:3]
	s_and_b64 s[2:3], s[30:31], s[26:27]
	s_or_b64 s[2:3], s[28:29], s[2:3]
	s_and_saveexec_b64 s[28:29], s[0:1]
	s_cbranch_execz .LBB1001_47
; %bb.49:                               ;   in Loop: Header=BB1001_48 Depth=1
	v_lshl_add_u64 v[66:67], v[66:67], 0, -1
	v_cmp_eq_u64_e64 s[0:1], 0, v[66:67]
	s_andn2_b64 s[24:25], s[24:25], exec
	s_and_b64 s[26:27], s[2:3], exec
	s_andn2_b64 s[22:23], s[22:23], exec
	s_and_b64 s[0:1], s[0:1], exec
	v_lshl_add_u64 v[54:55], v[54:55], 0, 1
	v_lshl_add_u64 v[64:65], v[64:65], 0, 1
	s_or_b64 s[24:25], s[24:25], s[26:27]
	s_andn2_b64 s[20:21], s[20:21], exec
	s_or_b64 s[22:23], s[22:23], s[0:1]
                                        ; implicit-def: $sgpr26_sgpr27
	s_branch .LBB1001_47
.LBB1001_50:
	s_or_b64 exec, exec, s[16:17]
	s_and_saveexec_b64 s[0:1], s[18:19]
	s_xor_b64 s[0:1], exec, s[0:1]
; %bb.51:
	v_cndmask_b32_e64 v55, v13, v15, s[14:15]
	v_cndmask_b32_e64 v54, v12, v14, s[14:15]
	v_cndmask_b32_e64 v15, v15, v13, s[14:15]
	v_cndmask_b32_e64 v14, v14, v12, s[14:15]
	v_mov_b64_e32 v[12:13], v[54:55]
; %bb.52:
	s_or_b64 exec, exec, s[0:1]
	s_or_b64 exec, exec, s[6:7]
	s_and_saveexec_b64 s[6:7], vcc
	s_cbranch_execz .LBB1001_10
.LBB1001_53:
	v_mad_u64_u32 v[54:55], s[0:1], v0, v6, v[8:9]
	v_mul_lo_u32 v64, v0, v7
	v_mul_lo_u32 v65, v1, v6
	v_add3_u32 v55, v65, v55, v64
	v_mad_u64_u32 v[64:65], s[0:1], v2, v6, v[8:9]
	v_mul_lo_u32 v66, v2, v7
	v_mul_lo_u32 v67, v3, v6
	v_add3_u32 v65, v67, v65, v66
	s_mov_b64 s[16:17], 0
	v_mov_b64_e32 v[66:67], v[6:7]
                                        ; implicit-def: $sgpr14_sgpr15
                                        ; implicit-def: $sgpr18_sgpr19
                                        ; implicit-def: $sgpr22_sgpr23
                                        ; implicit-def: $sgpr20_sgpr21
                                        ; implicit-def: $sgpr24_sgpr25
                                        ; implicit-def: $sgpr26_sgpr27
	s_branch .LBB1001_55
.LBB1001_54:                            ;   in Loop: Header=BB1001_55 Depth=1
	s_or_b64 exec, exec, s[28:29]
	s_and_b64 s[0:1], exec, s[22:23]
	s_or_b64 s[16:17], s[0:1], s[16:17]
	s_andn2_b64 s[0:1], s[26:27], exec
	s_and_b64 s[26:27], s[24:25], exec
	s_or_b64 s[26:27], s[0:1], s[26:27]
	s_andn2_b64 s[0:1], s[18:19], exec
	s_and_b64 s[18:19], s[20:21], exec
	;; [unrolled: 3-line block ×3, first 2 shown]
	s_or_b64 s[14:15], s[0:1], s[2:3]
	s_andn2_b64 exec, exec, s[16:17]
	s_cbranch_execz .LBB1001_57
.LBB1001_55:                            ; =>This Inner Loop Header: Depth=1
	flat_load_ubyte v68, v[64:65]
	flat_load_ubyte v69, v[54:55]
	s_andn2_b64 s[24:25], s[24:25], exec
	s_or_b64 s[20:21], s[20:21], exec
	s_or_b64 s[22:23], s[22:23], exec
	s_waitcnt vmcnt(0) lgkmcnt(0)
	v_cmp_eq_u16_e64 s[0:1], 0, v68
	v_cmp_ne_u16_e64 s[2:3], 0, v69
	s_or_b64 s[30:31], s[0:1], s[2:3]
	s_and_b64 s[28:29], s[0:1], s[2:3]
	s_xor_b64 s[0:1], s[0:1], s[2:3]
	s_and_b64 s[2:3], s[30:31], s[26:27]
	s_or_b64 s[2:3], s[28:29], s[2:3]
	s_and_saveexec_b64 s[28:29], s[0:1]
	s_cbranch_execz .LBB1001_54
; %bb.56:                               ;   in Loop: Header=BB1001_55 Depth=1
	v_lshl_add_u64 v[66:67], v[66:67], 0, -1
	v_cmp_eq_u64_e64 s[0:1], 0, v[66:67]
	s_andn2_b64 s[24:25], s[24:25], exec
	s_and_b64 s[26:27], s[2:3], exec
	s_andn2_b64 s[22:23], s[22:23], exec
	s_and_b64 s[0:1], s[0:1], exec
	v_lshl_add_u64 v[54:55], v[54:55], 0, 1
	v_lshl_add_u64 v[64:65], v[64:65], 0, 1
	s_or_b64 s[24:25], s[24:25], s[26:27]
	s_andn2_b64 s[20:21], s[20:21], exec
	s_or_b64 s[22:23], s[22:23], s[0:1]
                                        ; implicit-def: $sgpr26_sgpr27
	s_branch .LBB1001_54
.LBB1001_57:
	s_or_b64 exec, exec, s[16:17]
	s_and_saveexec_b64 s[0:1], s[18:19]
	s_xor_b64 s[0:1], exec, s[0:1]
; %bb.58:
	v_cndmask_b32_e64 v55, v1, v3, s[14:15]
	v_cndmask_b32_e64 v54, v0, v2, s[14:15]
	;; [unrolled: 1-line block ×4, first 2 shown]
	v_mov_b64_e32 v[0:1], v[54:55]
; %bb.59:
	s_or_b64 exec, exec, s[0:1]
	s_or_b64 exec, exec, s[6:7]
	s_and_saveexec_b64 s[0:1], vcc
	s_xor_b64 s[6:7], exec, s[0:1]
	s_cbranch_execz .LBB1001_11
.LBB1001_60:
	v_mad_u64_u32 v[54:55], s[0:1], v22, v6, v[8:9]
	v_mul_lo_u32 v64, v22, v7
	v_mul_lo_u32 v65, v23, v6
	v_add3_u32 v55, v65, v55, v64
	v_mad_u64_u32 v[64:65], s[0:1], v16, v6, v[8:9]
	v_mul_lo_u32 v66, v16, v7
	v_mul_lo_u32 v67, v17, v6
	v_add3_u32 v65, v67, v65, v66
	s_mov_b64 s[16:17], 0
	v_mov_b64_e32 v[66:67], v[6:7]
                                        ; implicit-def: $sgpr14_sgpr15
                                        ; implicit-def: $sgpr18_sgpr19
                                        ; implicit-def: $sgpr22_sgpr23
                                        ; implicit-def: $sgpr20_sgpr21
                                        ; implicit-def: $sgpr24_sgpr25
                                        ; implicit-def: $sgpr26_sgpr27
	s_branch .LBB1001_62
.LBB1001_61:                            ;   in Loop: Header=BB1001_62 Depth=1
	s_or_b64 exec, exec, s[28:29]
	s_and_b64 s[0:1], exec, s[22:23]
	s_or_b64 s[16:17], s[0:1], s[16:17]
	s_andn2_b64 s[0:1], s[26:27], exec
	s_and_b64 s[26:27], s[24:25], exec
	s_or_b64 s[26:27], s[0:1], s[26:27]
	s_andn2_b64 s[0:1], s[18:19], exec
	s_and_b64 s[18:19], s[20:21], exec
	;; [unrolled: 3-line block ×3, first 2 shown]
	s_or_b64 s[14:15], s[0:1], s[2:3]
	s_andn2_b64 exec, exec, s[16:17]
	s_cbranch_execz .LBB1001_64
.LBB1001_62:                            ; =>This Inner Loop Header: Depth=1
	flat_load_ubyte v68, v[64:65]
	flat_load_ubyte v69, v[54:55]
	s_andn2_b64 s[24:25], s[24:25], exec
	s_or_b64 s[20:21], s[20:21], exec
	s_or_b64 s[22:23], s[22:23], exec
	s_waitcnt vmcnt(0) lgkmcnt(0)
	v_cmp_eq_u16_e64 s[0:1], 0, v68
	v_cmp_ne_u16_e64 s[2:3], 0, v69
	s_or_b64 s[30:31], s[0:1], s[2:3]
	s_and_b64 s[28:29], s[0:1], s[2:3]
	s_xor_b64 s[0:1], s[0:1], s[2:3]
	s_and_b64 s[2:3], s[30:31], s[26:27]
	s_or_b64 s[2:3], s[28:29], s[2:3]
	s_and_saveexec_b64 s[28:29], s[0:1]
	s_cbranch_execz .LBB1001_61
; %bb.63:                               ;   in Loop: Header=BB1001_62 Depth=1
	v_lshl_add_u64 v[66:67], v[66:67], 0, -1
	v_cmp_eq_u64_e64 s[0:1], 0, v[66:67]
	s_andn2_b64 s[24:25], s[24:25], exec
	s_and_b64 s[26:27], s[2:3], exec
	s_andn2_b64 s[22:23], s[22:23], exec
	s_and_b64 s[0:1], s[0:1], exec
	v_lshl_add_u64 v[54:55], v[54:55], 0, 1
	v_lshl_add_u64 v[64:65], v[64:65], 0, 1
	s_or_b64 s[24:25], s[24:25], s[26:27]
	s_andn2_b64 s[20:21], s[20:21], exec
	s_or_b64 s[22:23], s[22:23], s[0:1]
                                        ; implicit-def: $sgpr26_sgpr27
	s_branch .LBB1001_61
.LBB1001_64:
	s_or_b64 exec, exec, s[16:17]
	s_and_saveexec_b64 s[0:1], s[18:19]
	s_xor_b64 s[0:1], exec, s[0:1]
; %bb.65:
	v_cndmask_b32_e64 v55, v23, v17, s[14:15]
	v_cndmask_b32_e64 v54, v22, v16, s[14:15]
	;; [unrolled: 1-line block ×4, first 2 shown]
	v_mov_b64_e32 v[22:23], v[54:55]
; %bb.66:
	s_or_b64 exec, exec, s[0:1]
	s_or_b64 exec, exec, s[6:7]
	s_and_saveexec_b64 s[6:7], vcc
	s_cbranch_execz .LBB1001_12
.LBB1001_67:
	v_mad_u64_u32 v[54:55], s[0:1], v18, v6, v[8:9]
	v_mul_lo_u32 v64, v18, v7
	v_mul_lo_u32 v65, v19, v6
	v_add3_u32 v55, v65, v55, v64
	v_mad_u64_u32 v[64:65], s[0:1], v12, v6, v[8:9]
	v_mul_lo_u32 v66, v12, v7
	v_mul_lo_u32 v67, v13, v6
	v_add3_u32 v65, v67, v65, v66
	s_mov_b64 s[16:17], 0
	v_mov_b64_e32 v[66:67], v[6:7]
                                        ; implicit-def: $sgpr14_sgpr15
                                        ; implicit-def: $sgpr18_sgpr19
                                        ; implicit-def: $sgpr22_sgpr23
                                        ; implicit-def: $sgpr20_sgpr21
                                        ; implicit-def: $sgpr24_sgpr25
                                        ; implicit-def: $sgpr26_sgpr27
	s_branch .LBB1001_69
.LBB1001_68:                            ;   in Loop: Header=BB1001_69 Depth=1
	s_or_b64 exec, exec, s[28:29]
	s_and_b64 s[0:1], exec, s[22:23]
	s_or_b64 s[16:17], s[0:1], s[16:17]
	s_andn2_b64 s[0:1], s[26:27], exec
	s_and_b64 s[26:27], s[24:25], exec
	s_or_b64 s[26:27], s[0:1], s[26:27]
	s_andn2_b64 s[0:1], s[18:19], exec
	s_and_b64 s[18:19], s[20:21], exec
	;; [unrolled: 3-line block ×3, first 2 shown]
	s_or_b64 s[14:15], s[0:1], s[2:3]
	s_andn2_b64 exec, exec, s[16:17]
	s_cbranch_execz .LBB1001_71
.LBB1001_69:                            ; =>This Inner Loop Header: Depth=1
	flat_load_ubyte v68, v[64:65]
	flat_load_ubyte v69, v[54:55]
	s_andn2_b64 s[24:25], s[24:25], exec
	s_or_b64 s[20:21], s[20:21], exec
	s_or_b64 s[22:23], s[22:23], exec
	s_waitcnt vmcnt(0) lgkmcnt(0)
	v_cmp_eq_u16_e64 s[0:1], 0, v68
	v_cmp_ne_u16_e64 s[2:3], 0, v69
	s_or_b64 s[30:31], s[0:1], s[2:3]
	s_and_b64 s[28:29], s[0:1], s[2:3]
	s_xor_b64 s[0:1], s[0:1], s[2:3]
	s_and_b64 s[2:3], s[30:31], s[26:27]
	s_or_b64 s[2:3], s[28:29], s[2:3]
	s_and_saveexec_b64 s[28:29], s[0:1]
	s_cbranch_execz .LBB1001_68
; %bb.70:                               ;   in Loop: Header=BB1001_69 Depth=1
	v_lshl_add_u64 v[66:67], v[66:67], 0, -1
	v_cmp_eq_u64_e64 s[0:1], 0, v[66:67]
	s_andn2_b64 s[24:25], s[24:25], exec
	s_and_b64 s[26:27], s[2:3], exec
	s_andn2_b64 s[22:23], s[22:23], exec
	s_and_b64 s[0:1], s[0:1], exec
	v_lshl_add_u64 v[54:55], v[54:55], 0, 1
	v_lshl_add_u64 v[64:65], v[64:65], 0, 1
	s_or_b64 s[24:25], s[24:25], s[26:27]
	s_andn2_b64 s[20:21], s[20:21], exec
	s_or_b64 s[22:23], s[22:23], s[0:1]
                                        ; implicit-def: $sgpr26_sgpr27
	s_branch .LBB1001_68
.LBB1001_71:
	s_or_b64 exec, exec, s[16:17]
	s_and_saveexec_b64 s[0:1], s[18:19]
	s_xor_b64 s[0:1], exec, s[0:1]
; %bb.72:
	v_cndmask_b32_e64 v55, v19, v13, s[14:15]
	v_cndmask_b32_e64 v54, v18, v12, s[14:15]
	;; [unrolled: 1-line block ×4, first 2 shown]
	v_mov_b64_e32 v[18:19], v[54:55]
; %bb.73:
	s_or_b64 exec, exec, s[0:1]
	s_or_b64 exec, exec, s[6:7]
	s_and_saveexec_b64 s[6:7], vcc
	s_cbranch_execz .LBB1001_13
.LBB1001_74:
	v_mad_u64_u32 v[54:55], s[0:1], v14, v6, v[8:9]
	v_mul_lo_u32 v64, v14, v7
	v_mul_lo_u32 v65, v15, v6
	v_add3_u32 v55, v65, v55, v64
	v_mad_u64_u32 v[64:65], s[0:1], v0, v6, v[8:9]
	v_mul_lo_u32 v66, v0, v7
	v_mul_lo_u32 v67, v1, v6
	v_add3_u32 v65, v67, v65, v66
	s_mov_b64 s[16:17], 0
	v_mov_b64_e32 v[66:67], v[6:7]
                                        ; implicit-def: $sgpr14_sgpr15
                                        ; implicit-def: $sgpr18_sgpr19
                                        ; implicit-def: $sgpr22_sgpr23
                                        ; implicit-def: $sgpr20_sgpr21
                                        ; implicit-def: $sgpr24_sgpr25
                                        ; implicit-def: $sgpr26_sgpr27
	s_branch .LBB1001_76
.LBB1001_75:                            ;   in Loop: Header=BB1001_76 Depth=1
	s_or_b64 exec, exec, s[28:29]
	s_and_b64 s[0:1], exec, s[22:23]
	s_or_b64 s[16:17], s[0:1], s[16:17]
	s_andn2_b64 s[0:1], s[26:27], exec
	s_and_b64 s[26:27], s[24:25], exec
	s_or_b64 s[26:27], s[0:1], s[26:27]
	s_andn2_b64 s[0:1], s[18:19], exec
	s_and_b64 s[18:19], s[20:21], exec
	;; [unrolled: 3-line block ×3, first 2 shown]
	s_or_b64 s[14:15], s[0:1], s[2:3]
	s_andn2_b64 exec, exec, s[16:17]
	s_cbranch_execz .LBB1001_78
.LBB1001_76:                            ; =>This Inner Loop Header: Depth=1
	flat_load_ubyte v68, v[64:65]
	flat_load_ubyte v69, v[54:55]
	s_andn2_b64 s[24:25], s[24:25], exec
	s_or_b64 s[20:21], s[20:21], exec
	s_or_b64 s[22:23], s[22:23], exec
	s_waitcnt vmcnt(0) lgkmcnt(0)
	v_cmp_eq_u16_e64 s[0:1], 0, v68
	v_cmp_ne_u16_e64 s[2:3], 0, v69
	s_or_b64 s[30:31], s[0:1], s[2:3]
	s_and_b64 s[28:29], s[0:1], s[2:3]
	s_xor_b64 s[0:1], s[0:1], s[2:3]
	s_and_b64 s[2:3], s[30:31], s[26:27]
	s_or_b64 s[2:3], s[28:29], s[2:3]
	s_and_saveexec_b64 s[28:29], s[0:1]
	s_cbranch_execz .LBB1001_75
; %bb.77:                               ;   in Loop: Header=BB1001_76 Depth=1
	v_lshl_add_u64 v[66:67], v[66:67], 0, -1
	v_cmp_eq_u64_e64 s[0:1], 0, v[66:67]
	s_andn2_b64 s[24:25], s[24:25], exec
	s_and_b64 s[26:27], s[2:3], exec
	s_andn2_b64 s[22:23], s[22:23], exec
	s_and_b64 s[0:1], s[0:1], exec
	v_lshl_add_u64 v[54:55], v[54:55], 0, 1
	v_lshl_add_u64 v[64:65], v[64:65], 0, 1
	s_or_b64 s[24:25], s[24:25], s[26:27]
	s_andn2_b64 s[20:21], s[20:21], exec
	s_or_b64 s[22:23], s[22:23], s[0:1]
                                        ; implicit-def: $sgpr26_sgpr27
	s_branch .LBB1001_75
.LBB1001_78:
	s_or_b64 exec, exec, s[16:17]
	s_and_saveexec_b64 s[0:1], s[18:19]
	s_xor_b64 s[0:1], exec, s[0:1]
; %bb.79:
	v_cndmask_b32_e64 v55, v15, v1, s[14:15]
	v_cndmask_b32_e64 v54, v14, v0, s[14:15]
	;; [unrolled: 1-line block ×4, first 2 shown]
	v_mov_b64_e32 v[14:15], v[54:55]
; %bb.80:
	s_or_b64 exec, exec, s[0:1]
	s_or_b64 exec, exec, s[6:7]
	s_and_saveexec_b64 s[6:7], vcc
	s_cbranch_execz .LBB1001_14
.LBB1001_81:
	v_mad_u64_u32 v[54:55], s[0:1], v20, v6, v[8:9]
	v_mul_lo_u32 v64, v20, v7
	v_mul_lo_u32 v65, v21, v6
	v_add3_u32 v55, v65, v55, v64
	v_mad_u64_u32 v[64:65], s[0:1], v22, v6, v[8:9]
	v_mul_lo_u32 v66, v22, v7
	v_mul_lo_u32 v67, v23, v6
	v_add3_u32 v65, v67, v65, v66
	s_mov_b64 s[16:17], 0
	v_mov_b64_e32 v[66:67], v[6:7]
                                        ; implicit-def: $sgpr14_sgpr15
                                        ; implicit-def: $sgpr18_sgpr19
                                        ; implicit-def: $sgpr22_sgpr23
                                        ; implicit-def: $sgpr20_sgpr21
                                        ; implicit-def: $sgpr24_sgpr25
                                        ; implicit-def: $sgpr26_sgpr27
	s_branch .LBB1001_83
.LBB1001_82:                            ;   in Loop: Header=BB1001_83 Depth=1
	s_or_b64 exec, exec, s[28:29]
	s_and_b64 s[0:1], exec, s[22:23]
	s_or_b64 s[16:17], s[0:1], s[16:17]
	s_andn2_b64 s[0:1], s[26:27], exec
	s_and_b64 s[26:27], s[24:25], exec
	s_or_b64 s[26:27], s[0:1], s[26:27]
	s_andn2_b64 s[0:1], s[18:19], exec
	s_and_b64 s[18:19], s[20:21], exec
	;; [unrolled: 3-line block ×3, first 2 shown]
	s_or_b64 s[14:15], s[0:1], s[2:3]
	s_andn2_b64 exec, exec, s[16:17]
	s_cbranch_execz .LBB1001_85
.LBB1001_83:                            ; =>This Inner Loop Header: Depth=1
	flat_load_ubyte v68, v[64:65]
	flat_load_ubyte v69, v[54:55]
	s_andn2_b64 s[24:25], s[24:25], exec
	s_or_b64 s[20:21], s[20:21], exec
	s_or_b64 s[22:23], s[22:23], exec
	s_waitcnt vmcnt(0) lgkmcnt(0)
	v_cmp_eq_u16_e64 s[0:1], 0, v68
	v_cmp_ne_u16_e64 s[2:3], 0, v69
	s_or_b64 s[30:31], s[0:1], s[2:3]
	s_and_b64 s[28:29], s[0:1], s[2:3]
	s_xor_b64 s[0:1], s[0:1], s[2:3]
	s_and_b64 s[2:3], s[30:31], s[26:27]
	s_or_b64 s[2:3], s[28:29], s[2:3]
	s_and_saveexec_b64 s[28:29], s[0:1]
	s_cbranch_execz .LBB1001_82
; %bb.84:                               ;   in Loop: Header=BB1001_83 Depth=1
	v_lshl_add_u64 v[66:67], v[66:67], 0, -1
	v_cmp_eq_u64_e64 s[0:1], 0, v[66:67]
	s_andn2_b64 s[24:25], s[24:25], exec
	s_and_b64 s[26:27], s[2:3], exec
	s_andn2_b64 s[22:23], s[22:23], exec
	s_and_b64 s[0:1], s[0:1], exec
	v_lshl_add_u64 v[54:55], v[54:55], 0, 1
	v_lshl_add_u64 v[64:65], v[64:65], 0, 1
	s_or_b64 s[24:25], s[24:25], s[26:27]
	s_andn2_b64 s[20:21], s[20:21], exec
	s_or_b64 s[22:23], s[22:23], s[0:1]
                                        ; implicit-def: $sgpr26_sgpr27
	s_branch .LBB1001_82
.LBB1001_85:
	s_or_b64 exec, exec, s[16:17]
	s_and_saveexec_b64 s[0:1], s[18:19]
	s_xor_b64 s[0:1], exec, s[0:1]
; %bb.86:
	v_cndmask_b32_e64 v55, v23, v21, s[14:15]
	v_cndmask_b32_e64 v54, v22, v20, s[14:15]
	;; [unrolled: 1-line block ×4, first 2 shown]
	v_mov_b64_e32 v[22:23], v[54:55]
; %bb.87:
	s_or_b64 exec, exec, s[0:1]
	s_or_b64 exec, exec, s[6:7]
	s_and_saveexec_b64 s[6:7], vcc
	s_cbranch_execz .LBB1001_15
.LBB1001_88:
	v_mad_u64_u32 v[54:55], s[0:1], v16, v6, v[8:9]
	v_mul_lo_u32 v64, v16, v7
	v_mul_lo_u32 v65, v17, v6
	v_add3_u32 v55, v65, v55, v64
	v_mad_u64_u32 v[64:65], s[0:1], v18, v6, v[8:9]
	v_mul_lo_u32 v66, v18, v7
	v_mul_lo_u32 v67, v19, v6
	v_add3_u32 v65, v67, v65, v66
	s_mov_b64 s[16:17], 0
	v_mov_b64_e32 v[66:67], v[6:7]
                                        ; implicit-def: $sgpr14_sgpr15
                                        ; implicit-def: $sgpr18_sgpr19
                                        ; implicit-def: $sgpr22_sgpr23
                                        ; implicit-def: $sgpr20_sgpr21
                                        ; implicit-def: $sgpr24_sgpr25
                                        ; implicit-def: $sgpr26_sgpr27
	s_branch .LBB1001_90
.LBB1001_89:                            ;   in Loop: Header=BB1001_90 Depth=1
	s_or_b64 exec, exec, s[28:29]
	s_and_b64 s[0:1], exec, s[22:23]
	s_or_b64 s[16:17], s[0:1], s[16:17]
	s_andn2_b64 s[0:1], s[26:27], exec
	s_and_b64 s[26:27], s[24:25], exec
	s_or_b64 s[26:27], s[0:1], s[26:27]
	s_andn2_b64 s[0:1], s[18:19], exec
	s_and_b64 s[18:19], s[20:21], exec
	;; [unrolled: 3-line block ×3, first 2 shown]
	s_or_b64 s[14:15], s[0:1], s[2:3]
	s_andn2_b64 exec, exec, s[16:17]
	s_cbranch_execz .LBB1001_92
.LBB1001_90:                            ; =>This Inner Loop Header: Depth=1
	flat_load_ubyte v68, v[64:65]
	flat_load_ubyte v69, v[54:55]
	s_andn2_b64 s[24:25], s[24:25], exec
	s_or_b64 s[20:21], s[20:21], exec
	s_or_b64 s[22:23], s[22:23], exec
	s_waitcnt vmcnt(0) lgkmcnt(0)
	v_cmp_eq_u16_e64 s[0:1], 0, v68
	v_cmp_ne_u16_e64 s[2:3], 0, v69
	s_or_b64 s[30:31], s[0:1], s[2:3]
	s_and_b64 s[28:29], s[0:1], s[2:3]
	s_xor_b64 s[0:1], s[0:1], s[2:3]
	s_and_b64 s[2:3], s[30:31], s[26:27]
	s_or_b64 s[2:3], s[28:29], s[2:3]
	s_and_saveexec_b64 s[28:29], s[0:1]
	s_cbranch_execz .LBB1001_89
; %bb.91:                               ;   in Loop: Header=BB1001_90 Depth=1
	v_lshl_add_u64 v[66:67], v[66:67], 0, -1
	v_cmp_eq_u64_e64 s[0:1], 0, v[66:67]
	s_andn2_b64 s[24:25], s[24:25], exec
	s_and_b64 s[26:27], s[2:3], exec
	s_andn2_b64 s[22:23], s[22:23], exec
	s_and_b64 s[0:1], s[0:1], exec
	v_lshl_add_u64 v[54:55], v[54:55], 0, 1
	v_lshl_add_u64 v[64:65], v[64:65], 0, 1
	s_or_b64 s[24:25], s[24:25], s[26:27]
	s_andn2_b64 s[20:21], s[20:21], exec
	s_or_b64 s[22:23], s[22:23], s[0:1]
                                        ; implicit-def: $sgpr26_sgpr27
	s_branch .LBB1001_89
.LBB1001_92:
	s_or_b64 exec, exec, s[16:17]
	s_and_saveexec_b64 s[0:1], s[18:19]
	s_xor_b64 s[0:1], exec, s[0:1]
; %bb.93:
	v_cndmask_b32_e64 v55, v17, v19, s[14:15]
	v_cndmask_b32_e64 v54, v16, v18, s[14:15]
	v_cndmask_b32_e64 v19, v19, v17, s[14:15]
	v_cndmask_b32_e64 v18, v18, v16, s[14:15]
	v_mov_b64_e32 v[16:17], v[54:55]
; %bb.94:
	s_or_b64 exec, exec, s[0:1]
	s_or_b64 exec, exec, s[6:7]
	s_and_saveexec_b64 s[6:7], vcc
	s_cbranch_execz .LBB1001_16
.LBB1001_95:
	v_mad_u64_u32 v[54:55], s[0:1], v12, v6, v[8:9]
	v_mul_lo_u32 v64, v12, v7
	v_mul_lo_u32 v65, v13, v6
	v_add3_u32 v55, v65, v55, v64
	v_mad_u64_u32 v[64:65], s[0:1], v14, v6, v[8:9]
	v_mul_lo_u32 v66, v14, v7
	v_mul_lo_u32 v67, v15, v6
	v_add3_u32 v65, v67, v65, v66
	s_mov_b64 s[16:17], 0
	v_mov_b64_e32 v[66:67], v[6:7]
                                        ; implicit-def: $sgpr14_sgpr15
                                        ; implicit-def: $sgpr18_sgpr19
                                        ; implicit-def: $sgpr22_sgpr23
                                        ; implicit-def: $sgpr20_sgpr21
                                        ; implicit-def: $sgpr24_sgpr25
                                        ; implicit-def: $sgpr26_sgpr27
	s_branch .LBB1001_97
.LBB1001_96:                            ;   in Loop: Header=BB1001_97 Depth=1
	s_or_b64 exec, exec, s[28:29]
	s_and_b64 s[0:1], exec, s[22:23]
	s_or_b64 s[16:17], s[0:1], s[16:17]
	s_andn2_b64 s[0:1], s[26:27], exec
	s_and_b64 s[26:27], s[24:25], exec
	s_or_b64 s[26:27], s[0:1], s[26:27]
	s_andn2_b64 s[0:1], s[18:19], exec
	s_and_b64 s[18:19], s[20:21], exec
	;; [unrolled: 3-line block ×3, first 2 shown]
	s_or_b64 s[14:15], s[0:1], s[2:3]
	s_andn2_b64 exec, exec, s[16:17]
	s_cbranch_execz .LBB1001_99
.LBB1001_97:                            ; =>This Inner Loop Header: Depth=1
	flat_load_ubyte v68, v[64:65]
	flat_load_ubyte v69, v[54:55]
	s_andn2_b64 s[24:25], s[24:25], exec
	s_or_b64 s[20:21], s[20:21], exec
	s_or_b64 s[22:23], s[22:23], exec
	s_waitcnt vmcnt(0) lgkmcnt(0)
	v_cmp_eq_u16_e64 s[0:1], 0, v68
	v_cmp_ne_u16_e64 s[2:3], 0, v69
	s_or_b64 s[30:31], s[0:1], s[2:3]
	s_and_b64 s[28:29], s[0:1], s[2:3]
	s_xor_b64 s[0:1], s[0:1], s[2:3]
	s_and_b64 s[2:3], s[30:31], s[26:27]
	s_or_b64 s[2:3], s[28:29], s[2:3]
	s_and_saveexec_b64 s[28:29], s[0:1]
	s_cbranch_execz .LBB1001_96
; %bb.98:                               ;   in Loop: Header=BB1001_97 Depth=1
	v_lshl_add_u64 v[66:67], v[66:67], 0, -1
	v_cmp_eq_u64_e64 s[0:1], 0, v[66:67]
	s_andn2_b64 s[24:25], s[24:25], exec
	s_and_b64 s[26:27], s[2:3], exec
	s_andn2_b64 s[22:23], s[22:23], exec
	s_and_b64 s[0:1], s[0:1], exec
	v_lshl_add_u64 v[54:55], v[54:55], 0, 1
	v_lshl_add_u64 v[64:65], v[64:65], 0, 1
	s_or_b64 s[24:25], s[24:25], s[26:27]
	s_andn2_b64 s[20:21], s[20:21], exec
	s_or_b64 s[22:23], s[22:23], s[0:1]
                                        ; implicit-def: $sgpr26_sgpr27
	s_branch .LBB1001_96
.LBB1001_99:
	s_or_b64 exec, exec, s[16:17]
	s_and_saveexec_b64 s[0:1], s[18:19]
	s_xor_b64 s[0:1], exec, s[0:1]
; %bb.100:
	v_cndmask_b32_e64 v55, v13, v15, s[14:15]
	v_cndmask_b32_e64 v54, v12, v14, s[14:15]
	;; [unrolled: 1-line block ×4, first 2 shown]
	v_mov_b64_e32 v[12:13], v[54:55]
; %bb.101:
	s_or_b64 exec, exec, s[0:1]
	s_or_b64 exec, exec, s[6:7]
	s_and_saveexec_b64 s[6:7], vcc
	s_cbranch_execz .LBB1001_17
.LBB1001_102:
	v_mad_u64_u32 v[54:55], s[0:1], v0, v6, v[8:9]
	v_mul_lo_u32 v64, v0, v7
	v_mul_lo_u32 v65, v1, v6
	v_add3_u32 v55, v65, v55, v64
	v_mad_u64_u32 v[64:65], s[0:1], v2, v6, v[8:9]
	v_mul_lo_u32 v66, v2, v7
	v_mul_lo_u32 v67, v3, v6
	v_add3_u32 v65, v67, v65, v66
	s_mov_b64 s[16:17], 0
	v_mov_b64_e32 v[66:67], v[6:7]
                                        ; implicit-def: $sgpr14_sgpr15
                                        ; implicit-def: $sgpr18_sgpr19
                                        ; implicit-def: $sgpr22_sgpr23
                                        ; implicit-def: $sgpr20_sgpr21
                                        ; implicit-def: $sgpr24_sgpr25
                                        ; implicit-def: $sgpr26_sgpr27
	s_branch .LBB1001_104
.LBB1001_103:                           ;   in Loop: Header=BB1001_104 Depth=1
	s_or_b64 exec, exec, s[28:29]
	s_and_b64 s[0:1], exec, s[22:23]
	s_or_b64 s[16:17], s[0:1], s[16:17]
	s_andn2_b64 s[0:1], s[26:27], exec
	s_and_b64 s[26:27], s[24:25], exec
	s_or_b64 s[26:27], s[0:1], s[26:27]
	s_andn2_b64 s[0:1], s[18:19], exec
	s_and_b64 s[18:19], s[20:21], exec
	;; [unrolled: 3-line block ×3, first 2 shown]
	s_or_b64 s[14:15], s[0:1], s[2:3]
	s_andn2_b64 exec, exec, s[16:17]
	s_cbranch_execz .LBB1001_106
.LBB1001_104:                           ; =>This Inner Loop Header: Depth=1
	flat_load_ubyte v68, v[64:65]
	flat_load_ubyte v69, v[54:55]
	s_andn2_b64 s[24:25], s[24:25], exec
	s_or_b64 s[20:21], s[20:21], exec
	s_or_b64 s[22:23], s[22:23], exec
	s_waitcnt vmcnt(0) lgkmcnt(0)
	v_cmp_eq_u16_e64 s[0:1], 0, v68
	v_cmp_ne_u16_e64 s[2:3], 0, v69
	s_or_b64 s[30:31], s[0:1], s[2:3]
	s_and_b64 s[28:29], s[0:1], s[2:3]
	s_xor_b64 s[0:1], s[0:1], s[2:3]
	s_and_b64 s[2:3], s[30:31], s[26:27]
	s_or_b64 s[2:3], s[28:29], s[2:3]
	s_and_saveexec_b64 s[28:29], s[0:1]
	s_cbranch_execz .LBB1001_103
; %bb.105:                              ;   in Loop: Header=BB1001_104 Depth=1
	v_lshl_add_u64 v[66:67], v[66:67], 0, -1
	v_cmp_eq_u64_e64 s[0:1], 0, v[66:67]
	s_andn2_b64 s[24:25], s[24:25], exec
	s_and_b64 s[26:27], s[2:3], exec
	s_andn2_b64 s[22:23], s[22:23], exec
	s_and_b64 s[0:1], s[0:1], exec
	v_lshl_add_u64 v[54:55], v[54:55], 0, 1
	v_lshl_add_u64 v[64:65], v[64:65], 0, 1
	s_or_b64 s[24:25], s[24:25], s[26:27]
	s_andn2_b64 s[20:21], s[20:21], exec
	s_or_b64 s[22:23], s[22:23], s[0:1]
                                        ; implicit-def: $sgpr26_sgpr27
	s_branch .LBB1001_103
.LBB1001_106:
	s_or_b64 exec, exec, s[16:17]
	s_and_saveexec_b64 s[0:1], s[18:19]
	s_xor_b64 s[0:1], exec, s[0:1]
; %bb.107:
	v_cndmask_b32_e64 v55, v1, v3, s[14:15]
	v_cndmask_b32_e64 v54, v0, v2, s[14:15]
	;; [unrolled: 1-line block ×4, first 2 shown]
	v_mov_b64_e32 v[0:1], v[54:55]
; %bb.108:
	s_or_b64 exec, exec, s[0:1]
	s_or_b64 exec, exec, s[6:7]
	s_and_saveexec_b64 s[6:7], vcc
	s_cbranch_execz .LBB1001_18
.LBB1001_109:
	v_mad_u64_u32 v[54:55], s[0:1], v22, v6, v[8:9]
	v_mul_lo_u32 v64, v22, v7
	v_mul_lo_u32 v65, v23, v6
	v_add3_u32 v55, v65, v55, v64
	v_mad_u64_u32 v[64:65], s[0:1], v16, v6, v[8:9]
	v_mul_lo_u32 v66, v16, v7
	v_mul_lo_u32 v67, v17, v6
	v_add3_u32 v65, v67, v65, v66
	s_mov_b64 s[16:17], 0
	v_mov_b64_e32 v[66:67], v[6:7]
                                        ; implicit-def: $sgpr14_sgpr15
                                        ; implicit-def: $sgpr18_sgpr19
                                        ; implicit-def: $sgpr22_sgpr23
                                        ; implicit-def: $sgpr20_sgpr21
                                        ; implicit-def: $sgpr24_sgpr25
                                        ; implicit-def: $sgpr26_sgpr27
	s_branch .LBB1001_111
.LBB1001_110:                           ;   in Loop: Header=BB1001_111 Depth=1
	s_or_b64 exec, exec, s[28:29]
	s_and_b64 s[0:1], exec, s[22:23]
	s_or_b64 s[16:17], s[0:1], s[16:17]
	s_andn2_b64 s[0:1], s[26:27], exec
	s_and_b64 s[26:27], s[24:25], exec
	s_or_b64 s[26:27], s[0:1], s[26:27]
	s_andn2_b64 s[0:1], s[18:19], exec
	s_and_b64 s[18:19], s[20:21], exec
	;; [unrolled: 3-line block ×3, first 2 shown]
	s_or_b64 s[14:15], s[0:1], s[2:3]
	s_andn2_b64 exec, exec, s[16:17]
	s_cbranch_execz .LBB1001_113
.LBB1001_111:                           ; =>This Inner Loop Header: Depth=1
	flat_load_ubyte v68, v[64:65]
	flat_load_ubyte v69, v[54:55]
	s_andn2_b64 s[24:25], s[24:25], exec
	s_or_b64 s[20:21], s[20:21], exec
	s_or_b64 s[22:23], s[22:23], exec
	s_waitcnt vmcnt(0) lgkmcnt(0)
	v_cmp_eq_u16_e64 s[0:1], 0, v68
	v_cmp_ne_u16_e64 s[2:3], 0, v69
	s_or_b64 s[30:31], s[0:1], s[2:3]
	s_and_b64 s[28:29], s[0:1], s[2:3]
	s_xor_b64 s[0:1], s[0:1], s[2:3]
	s_and_b64 s[2:3], s[30:31], s[26:27]
	s_or_b64 s[2:3], s[28:29], s[2:3]
	s_and_saveexec_b64 s[28:29], s[0:1]
	s_cbranch_execz .LBB1001_110
; %bb.112:                              ;   in Loop: Header=BB1001_111 Depth=1
	v_lshl_add_u64 v[66:67], v[66:67], 0, -1
	v_cmp_eq_u64_e64 s[0:1], 0, v[66:67]
	s_andn2_b64 s[24:25], s[24:25], exec
	s_and_b64 s[26:27], s[2:3], exec
	s_andn2_b64 s[22:23], s[22:23], exec
	s_and_b64 s[0:1], s[0:1], exec
	v_lshl_add_u64 v[54:55], v[54:55], 0, 1
	v_lshl_add_u64 v[64:65], v[64:65], 0, 1
	s_or_b64 s[24:25], s[24:25], s[26:27]
	s_andn2_b64 s[20:21], s[20:21], exec
	s_or_b64 s[22:23], s[22:23], s[0:1]
                                        ; implicit-def: $sgpr26_sgpr27
	s_branch .LBB1001_110
.LBB1001_113:
	s_or_b64 exec, exec, s[16:17]
	s_and_saveexec_b64 s[0:1], s[18:19]
	s_xor_b64 s[0:1], exec, s[0:1]
; %bb.114:
	v_cndmask_b32_e64 v55, v23, v17, s[14:15]
	v_cndmask_b32_e64 v54, v22, v16, s[14:15]
	;; [unrolled: 1-line block ×4, first 2 shown]
	v_mov_b64_e32 v[22:23], v[54:55]
; %bb.115:
	s_or_b64 exec, exec, s[0:1]
	s_or_b64 exec, exec, s[6:7]
	s_and_saveexec_b64 s[6:7], vcc
	s_cbranch_execz .LBB1001_19
.LBB1001_116:
	v_mad_u64_u32 v[54:55], s[0:1], v18, v6, v[8:9]
	v_mul_lo_u32 v64, v18, v7
	v_mul_lo_u32 v65, v19, v6
	v_add3_u32 v55, v65, v55, v64
	v_mad_u64_u32 v[64:65], s[0:1], v12, v6, v[8:9]
	v_mul_lo_u32 v66, v12, v7
	v_mul_lo_u32 v67, v13, v6
	v_add3_u32 v65, v67, v65, v66
	s_mov_b64 s[16:17], 0
	v_mov_b64_e32 v[66:67], v[6:7]
                                        ; implicit-def: $sgpr14_sgpr15
                                        ; implicit-def: $sgpr18_sgpr19
                                        ; implicit-def: $sgpr22_sgpr23
                                        ; implicit-def: $sgpr20_sgpr21
                                        ; implicit-def: $sgpr24_sgpr25
                                        ; implicit-def: $sgpr26_sgpr27
	s_branch .LBB1001_118
.LBB1001_117:                           ;   in Loop: Header=BB1001_118 Depth=1
	s_or_b64 exec, exec, s[28:29]
	s_and_b64 s[0:1], exec, s[22:23]
	s_or_b64 s[16:17], s[0:1], s[16:17]
	s_andn2_b64 s[0:1], s[26:27], exec
	s_and_b64 s[26:27], s[24:25], exec
	s_or_b64 s[26:27], s[0:1], s[26:27]
	s_andn2_b64 s[0:1], s[18:19], exec
	s_and_b64 s[18:19], s[20:21], exec
	;; [unrolled: 3-line block ×3, first 2 shown]
	s_or_b64 s[14:15], s[0:1], s[2:3]
	s_andn2_b64 exec, exec, s[16:17]
	s_cbranch_execz .LBB1001_120
.LBB1001_118:                           ; =>This Inner Loop Header: Depth=1
	flat_load_ubyte v68, v[64:65]
	flat_load_ubyte v69, v[54:55]
	s_andn2_b64 s[24:25], s[24:25], exec
	s_or_b64 s[20:21], s[20:21], exec
	s_or_b64 s[22:23], s[22:23], exec
	s_waitcnt vmcnt(0) lgkmcnt(0)
	v_cmp_eq_u16_e64 s[0:1], 0, v68
	v_cmp_ne_u16_e64 s[2:3], 0, v69
	s_or_b64 s[30:31], s[0:1], s[2:3]
	s_and_b64 s[28:29], s[0:1], s[2:3]
	s_xor_b64 s[0:1], s[0:1], s[2:3]
	s_and_b64 s[2:3], s[30:31], s[26:27]
	s_or_b64 s[2:3], s[28:29], s[2:3]
	s_and_saveexec_b64 s[28:29], s[0:1]
	s_cbranch_execz .LBB1001_117
; %bb.119:                              ;   in Loop: Header=BB1001_118 Depth=1
	v_lshl_add_u64 v[66:67], v[66:67], 0, -1
	v_cmp_eq_u64_e64 s[0:1], 0, v[66:67]
	s_andn2_b64 s[24:25], s[24:25], exec
	s_and_b64 s[26:27], s[2:3], exec
	s_andn2_b64 s[22:23], s[22:23], exec
	s_and_b64 s[0:1], s[0:1], exec
	v_lshl_add_u64 v[54:55], v[54:55], 0, 1
	v_lshl_add_u64 v[64:65], v[64:65], 0, 1
	s_or_b64 s[24:25], s[24:25], s[26:27]
	s_andn2_b64 s[20:21], s[20:21], exec
	s_or_b64 s[22:23], s[22:23], s[0:1]
                                        ; implicit-def: $sgpr26_sgpr27
	s_branch .LBB1001_117
.LBB1001_120:
	s_or_b64 exec, exec, s[16:17]
	s_and_saveexec_b64 s[0:1], s[18:19]
	s_xor_b64 s[0:1], exec, s[0:1]
; %bb.121:
	v_cndmask_b32_e64 v55, v19, v13, s[14:15]
	v_cndmask_b32_e64 v54, v18, v12, s[14:15]
	;; [unrolled: 1-line block ×4, first 2 shown]
	v_mov_b64_e32 v[18:19], v[54:55]
; %bb.122:
	s_or_b64 exec, exec, s[0:1]
	s_or_b64 exec, exec, s[6:7]
	s_and_saveexec_b64 s[6:7], vcc
	s_cbranch_execz .LBB1001_20
.LBB1001_123:
	v_mad_u64_u32 v[54:55], s[0:1], v14, v6, v[8:9]
	v_mul_lo_u32 v64, v14, v7
	v_mul_lo_u32 v65, v15, v6
	v_add3_u32 v55, v65, v55, v64
	v_mad_u64_u32 v[64:65], s[0:1], v0, v6, v[8:9]
	v_mul_lo_u32 v66, v0, v7
	v_mul_lo_u32 v67, v1, v6
	v_add3_u32 v65, v67, v65, v66
	s_mov_b64 s[16:17], 0
	v_mov_b64_e32 v[66:67], v[6:7]
                                        ; implicit-def: $sgpr14_sgpr15
                                        ; implicit-def: $sgpr18_sgpr19
                                        ; implicit-def: $sgpr22_sgpr23
                                        ; implicit-def: $sgpr20_sgpr21
                                        ; implicit-def: $sgpr24_sgpr25
                                        ; implicit-def: $sgpr26_sgpr27
	s_branch .LBB1001_125
.LBB1001_124:                           ;   in Loop: Header=BB1001_125 Depth=1
	s_or_b64 exec, exec, s[28:29]
	s_and_b64 s[0:1], exec, s[22:23]
	s_or_b64 s[16:17], s[0:1], s[16:17]
	s_andn2_b64 s[0:1], s[26:27], exec
	s_and_b64 s[26:27], s[24:25], exec
	s_or_b64 s[26:27], s[0:1], s[26:27]
	s_andn2_b64 s[0:1], s[18:19], exec
	s_and_b64 s[18:19], s[20:21], exec
	;; [unrolled: 3-line block ×3, first 2 shown]
	s_or_b64 s[14:15], s[0:1], s[2:3]
	s_andn2_b64 exec, exec, s[16:17]
	s_cbranch_execz .LBB1001_127
.LBB1001_125:                           ; =>This Inner Loop Header: Depth=1
	flat_load_ubyte v68, v[64:65]
	flat_load_ubyte v69, v[54:55]
	s_andn2_b64 s[24:25], s[24:25], exec
	s_or_b64 s[20:21], s[20:21], exec
	s_or_b64 s[22:23], s[22:23], exec
	s_waitcnt vmcnt(0) lgkmcnt(0)
	v_cmp_eq_u16_e64 s[0:1], 0, v68
	v_cmp_ne_u16_e64 s[2:3], 0, v69
	s_or_b64 s[30:31], s[0:1], s[2:3]
	s_and_b64 s[28:29], s[0:1], s[2:3]
	s_xor_b64 s[0:1], s[0:1], s[2:3]
	s_and_b64 s[2:3], s[30:31], s[26:27]
	s_or_b64 s[2:3], s[28:29], s[2:3]
	s_and_saveexec_b64 s[28:29], s[0:1]
	s_cbranch_execz .LBB1001_124
; %bb.126:                              ;   in Loop: Header=BB1001_125 Depth=1
	v_lshl_add_u64 v[66:67], v[66:67], 0, -1
	v_cmp_eq_u64_e64 s[0:1], 0, v[66:67]
	s_andn2_b64 s[24:25], s[24:25], exec
	s_and_b64 s[26:27], s[2:3], exec
	s_andn2_b64 s[22:23], s[22:23], exec
	s_and_b64 s[0:1], s[0:1], exec
	v_lshl_add_u64 v[54:55], v[54:55], 0, 1
	v_lshl_add_u64 v[64:65], v[64:65], 0, 1
	s_or_b64 s[24:25], s[24:25], s[26:27]
	s_andn2_b64 s[20:21], s[20:21], exec
	s_or_b64 s[22:23], s[22:23], s[0:1]
                                        ; implicit-def: $sgpr26_sgpr27
	s_branch .LBB1001_124
.LBB1001_127:
	s_or_b64 exec, exec, s[16:17]
	s_and_saveexec_b64 s[0:1], s[18:19]
	s_xor_b64 s[0:1], exec, s[0:1]
; %bb.128:
	v_cndmask_b32_e64 v55, v15, v1, s[14:15]
	v_cndmask_b32_e64 v54, v14, v0, s[14:15]
	;; [unrolled: 1-line block ×4, first 2 shown]
	v_mov_b64_e32 v[14:15], v[54:55]
; %bb.129:
	s_or_b64 exec, exec, s[0:1]
	s_or_b64 exec, exec, s[6:7]
	s_and_saveexec_b64 s[6:7], vcc
	s_cbranch_execz .LBB1001_21
.LBB1001_130:
	v_mad_u64_u32 v[54:55], s[0:1], v20, v6, v[8:9]
	v_mul_lo_u32 v64, v20, v7
	v_mul_lo_u32 v65, v21, v6
	v_add3_u32 v55, v65, v55, v64
	v_mad_u64_u32 v[64:65], s[0:1], v22, v6, v[8:9]
	v_mul_lo_u32 v66, v22, v7
	v_mul_lo_u32 v67, v23, v6
	v_add3_u32 v65, v67, v65, v66
	s_mov_b64 s[16:17], 0
	v_mov_b64_e32 v[66:67], v[6:7]
                                        ; implicit-def: $sgpr14_sgpr15
                                        ; implicit-def: $sgpr18_sgpr19
                                        ; implicit-def: $sgpr22_sgpr23
                                        ; implicit-def: $sgpr20_sgpr21
                                        ; implicit-def: $sgpr24_sgpr25
                                        ; implicit-def: $sgpr26_sgpr27
	s_branch .LBB1001_132
.LBB1001_131:                           ;   in Loop: Header=BB1001_132 Depth=1
	s_or_b64 exec, exec, s[28:29]
	s_and_b64 s[0:1], exec, s[22:23]
	s_or_b64 s[16:17], s[0:1], s[16:17]
	s_andn2_b64 s[0:1], s[26:27], exec
	s_and_b64 s[26:27], s[24:25], exec
	s_or_b64 s[26:27], s[0:1], s[26:27]
	s_andn2_b64 s[0:1], s[18:19], exec
	s_and_b64 s[18:19], s[20:21], exec
	;; [unrolled: 3-line block ×3, first 2 shown]
	s_or_b64 s[14:15], s[0:1], s[2:3]
	s_andn2_b64 exec, exec, s[16:17]
	s_cbranch_execz .LBB1001_134
.LBB1001_132:                           ; =>This Inner Loop Header: Depth=1
	flat_load_ubyte v68, v[64:65]
	flat_load_ubyte v69, v[54:55]
	s_andn2_b64 s[24:25], s[24:25], exec
	s_or_b64 s[20:21], s[20:21], exec
	s_or_b64 s[22:23], s[22:23], exec
	s_waitcnt vmcnt(0) lgkmcnt(0)
	v_cmp_eq_u16_e64 s[0:1], 0, v68
	v_cmp_ne_u16_e64 s[2:3], 0, v69
	s_or_b64 s[30:31], s[0:1], s[2:3]
	s_and_b64 s[28:29], s[0:1], s[2:3]
	s_xor_b64 s[0:1], s[0:1], s[2:3]
	s_and_b64 s[2:3], s[30:31], s[26:27]
	s_or_b64 s[2:3], s[28:29], s[2:3]
	s_and_saveexec_b64 s[28:29], s[0:1]
	s_cbranch_execz .LBB1001_131
; %bb.133:                              ;   in Loop: Header=BB1001_132 Depth=1
	v_lshl_add_u64 v[66:67], v[66:67], 0, -1
	v_cmp_eq_u64_e64 s[0:1], 0, v[66:67]
	s_andn2_b64 s[24:25], s[24:25], exec
	s_and_b64 s[26:27], s[2:3], exec
	s_andn2_b64 s[22:23], s[22:23], exec
	s_and_b64 s[0:1], s[0:1], exec
	v_lshl_add_u64 v[54:55], v[54:55], 0, 1
	v_lshl_add_u64 v[64:65], v[64:65], 0, 1
	s_or_b64 s[24:25], s[24:25], s[26:27]
	s_andn2_b64 s[20:21], s[20:21], exec
	s_or_b64 s[22:23], s[22:23], s[0:1]
                                        ; implicit-def: $sgpr26_sgpr27
	s_branch .LBB1001_131
.LBB1001_134:
	s_or_b64 exec, exec, s[16:17]
	s_and_saveexec_b64 s[0:1], s[18:19]
	s_xor_b64 s[0:1], exec, s[0:1]
; %bb.135:
	v_cndmask_b32_e64 v55, v23, v21, s[14:15]
	v_cndmask_b32_e64 v54, v22, v20, s[14:15]
	;; [unrolled: 1-line block ×4, first 2 shown]
	v_mov_b64_e32 v[22:23], v[54:55]
; %bb.136:
	s_or_b64 exec, exec, s[0:1]
	s_or_b64 exec, exec, s[6:7]
	s_and_saveexec_b64 s[6:7], vcc
	s_cbranch_execz .LBB1001_22
.LBB1001_137:
	v_mad_u64_u32 v[54:55], s[0:1], v16, v6, v[8:9]
	v_mul_lo_u32 v64, v16, v7
	v_mul_lo_u32 v65, v17, v6
	v_add3_u32 v55, v65, v55, v64
	v_mad_u64_u32 v[64:65], s[0:1], v18, v6, v[8:9]
	v_mul_lo_u32 v66, v18, v7
	v_mul_lo_u32 v67, v19, v6
	v_add3_u32 v65, v67, v65, v66
	s_mov_b64 s[16:17], 0
	v_mov_b64_e32 v[66:67], v[6:7]
                                        ; implicit-def: $sgpr14_sgpr15
                                        ; implicit-def: $sgpr18_sgpr19
                                        ; implicit-def: $sgpr22_sgpr23
                                        ; implicit-def: $sgpr20_sgpr21
                                        ; implicit-def: $sgpr24_sgpr25
                                        ; implicit-def: $sgpr26_sgpr27
	s_branch .LBB1001_139
.LBB1001_138:                           ;   in Loop: Header=BB1001_139 Depth=1
	s_or_b64 exec, exec, s[28:29]
	s_and_b64 s[0:1], exec, s[22:23]
	s_or_b64 s[16:17], s[0:1], s[16:17]
	s_andn2_b64 s[0:1], s[26:27], exec
	s_and_b64 s[26:27], s[24:25], exec
	s_or_b64 s[26:27], s[0:1], s[26:27]
	s_andn2_b64 s[0:1], s[18:19], exec
	s_and_b64 s[18:19], s[20:21], exec
	;; [unrolled: 3-line block ×3, first 2 shown]
	s_or_b64 s[14:15], s[0:1], s[2:3]
	s_andn2_b64 exec, exec, s[16:17]
	s_cbranch_execz .LBB1001_141
.LBB1001_139:                           ; =>This Inner Loop Header: Depth=1
	flat_load_ubyte v68, v[64:65]
	flat_load_ubyte v69, v[54:55]
	s_andn2_b64 s[24:25], s[24:25], exec
	s_or_b64 s[20:21], s[20:21], exec
	s_or_b64 s[22:23], s[22:23], exec
	s_waitcnt vmcnt(0) lgkmcnt(0)
	v_cmp_eq_u16_e64 s[0:1], 0, v68
	v_cmp_ne_u16_e64 s[2:3], 0, v69
	s_or_b64 s[30:31], s[0:1], s[2:3]
	s_and_b64 s[28:29], s[0:1], s[2:3]
	s_xor_b64 s[0:1], s[0:1], s[2:3]
	s_and_b64 s[2:3], s[30:31], s[26:27]
	s_or_b64 s[2:3], s[28:29], s[2:3]
	s_and_saveexec_b64 s[28:29], s[0:1]
	s_cbranch_execz .LBB1001_138
; %bb.140:                              ;   in Loop: Header=BB1001_139 Depth=1
	v_lshl_add_u64 v[66:67], v[66:67], 0, -1
	v_cmp_eq_u64_e64 s[0:1], 0, v[66:67]
	s_andn2_b64 s[24:25], s[24:25], exec
	s_and_b64 s[26:27], s[2:3], exec
	s_andn2_b64 s[22:23], s[22:23], exec
	s_and_b64 s[0:1], s[0:1], exec
	v_lshl_add_u64 v[54:55], v[54:55], 0, 1
	v_lshl_add_u64 v[64:65], v[64:65], 0, 1
	s_or_b64 s[24:25], s[24:25], s[26:27]
	s_andn2_b64 s[20:21], s[20:21], exec
	s_or_b64 s[22:23], s[22:23], s[0:1]
                                        ; implicit-def: $sgpr26_sgpr27
	s_branch .LBB1001_138
.LBB1001_141:
	s_or_b64 exec, exec, s[16:17]
	s_and_saveexec_b64 s[0:1], s[18:19]
	s_xor_b64 s[0:1], exec, s[0:1]
; %bb.142:
	v_cndmask_b32_e64 v55, v17, v19, s[14:15]
	v_cndmask_b32_e64 v54, v16, v18, s[14:15]
	v_cndmask_b32_e64 v19, v19, v17, s[14:15]
	v_cndmask_b32_e64 v18, v18, v16, s[14:15]
	v_mov_b64_e32 v[16:17], v[54:55]
; %bb.143:
	s_or_b64 exec, exec, s[0:1]
	s_or_b64 exec, exec, s[6:7]
	s_and_saveexec_b64 s[6:7], vcc
	s_cbranch_execz .LBB1001_23
.LBB1001_144:
	v_mad_u64_u32 v[54:55], s[0:1], v12, v6, v[8:9]
	v_mul_lo_u32 v64, v12, v7
	v_mul_lo_u32 v65, v13, v6
	v_add3_u32 v55, v65, v55, v64
	v_mad_u64_u32 v[64:65], s[0:1], v14, v6, v[8:9]
	v_mul_lo_u32 v66, v14, v7
	v_mul_lo_u32 v67, v15, v6
	v_add3_u32 v65, v67, v65, v66
	s_mov_b64 s[16:17], 0
	v_mov_b64_e32 v[66:67], v[6:7]
                                        ; implicit-def: $sgpr14_sgpr15
                                        ; implicit-def: $sgpr18_sgpr19
                                        ; implicit-def: $sgpr22_sgpr23
                                        ; implicit-def: $sgpr20_sgpr21
                                        ; implicit-def: $sgpr24_sgpr25
                                        ; implicit-def: $sgpr26_sgpr27
	s_branch .LBB1001_146
.LBB1001_145:                           ;   in Loop: Header=BB1001_146 Depth=1
	s_or_b64 exec, exec, s[28:29]
	s_and_b64 s[0:1], exec, s[22:23]
	s_or_b64 s[16:17], s[0:1], s[16:17]
	s_andn2_b64 s[0:1], s[26:27], exec
	s_and_b64 s[26:27], s[24:25], exec
	s_or_b64 s[26:27], s[0:1], s[26:27]
	s_andn2_b64 s[0:1], s[18:19], exec
	s_and_b64 s[18:19], s[20:21], exec
	;; [unrolled: 3-line block ×3, first 2 shown]
	s_or_b64 s[14:15], s[0:1], s[2:3]
	s_andn2_b64 exec, exec, s[16:17]
	s_cbranch_execz .LBB1001_148
.LBB1001_146:                           ; =>This Inner Loop Header: Depth=1
	flat_load_ubyte v68, v[64:65]
	flat_load_ubyte v69, v[54:55]
	s_andn2_b64 s[24:25], s[24:25], exec
	s_or_b64 s[20:21], s[20:21], exec
	s_or_b64 s[22:23], s[22:23], exec
	s_waitcnt vmcnt(0) lgkmcnt(0)
	v_cmp_eq_u16_e64 s[0:1], 0, v68
	v_cmp_ne_u16_e64 s[2:3], 0, v69
	s_or_b64 s[30:31], s[0:1], s[2:3]
	s_and_b64 s[28:29], s[0:1], s[2:3]
	s_xor_b64 s[0:1], s[0:1], s[2:3]
	s_and_b64 s[2:3], s[30:31], s[26:27]
	s_or_b64 s[2:3], s[28:29], s[2:3]
	s_and_saveexec_b64 s[28:29], s[0:1]
	s_cbranch_execz .LBB1001_145
; %bb.147:                              ;   in Loop: Header=BB1001_146 Depth=1
	v_lshl_add_u64 v[66:67], v[66:67], 0, -1
	v_cmp_eq_u64_e64 s[0:1], 0, v[66:67]
	s_andn2_b64 s[24:25], s[24:25], exec
	s_and_b64 s[26:27], s[2:3], exec
	s_andn2_b64 s[22:23], s[22:23], exec
	s_and_b64 s[0:1], s[0:1], exec
	v_lshl_add_u64 v[54:55], v[54:55], 0, 1
	v_lshl_add_u64 v[64:65], v[64:65], 0, 1
	s_or_b64 s[24:25], s[24:25], s[26:27]
	s_andn2_b64 s[20:21], s[20:21], exec
	s_or_b64 s[22:23], s[22:23], s[0:1]
                                        ; implicit-def: $sgpr26_sgpr27
	s_branch .LBB1001_145
.LBB1001_148:
	s_or_b64 exec, exec, s[16:17]
	s_and_saveexec_b64 s[0:1], s[18:19]
	s_xor_b64 s[0:1], exec, s[0:1]
; %bb.149:
	v_cndmask_b32_e64 v55, v13, v15, s[14:15]
	v_cndmask_b32_e64 v54, v12, v14, s[14:15]
	;; [unrolled: 1-line block ×4, first 2 shown]
	v_mov_b64_e32 v[12:13], v[54:55]
; %bb.150:
	s_or_b64 exec, exec, s[0:1]
	s_or_b64 exec, exec, s[6:7]
	s_and_saveexec_b64 s[6:7], vcc
	s_cbranch_execz .LBB1001_24
.LBB1001_151:
	v_mad_u64_u32 v[54:55], s[0:1], v0, v6, v[8:9]
	v_mul_lo_u32 v64, v0, v7
	v_mul_lo_u32 v65, v1, v6
	v_add3_u32 v55, v65, v55, v64
	v_mad_u64_u32 v[64:65], s[0:1], v2, v6, v[8:9]
	v_mul_lo_u32 v66, v2, v7
	v_mul_lo_u32 v67, v3, v6
	v_add3_u32 v65, v67, v65, v66
	s_mov_b64 s[16:17], 0
	v_mov_b64_e32 v[66:67], v[6:7]
                                        ; implicit-def: $sgpr14_sgpr15
                                        ; implicit-def: $sgpr18_sgpr19
                                        ; implicit-def: $sgpr22_sgpr23
                                        ; implicit-def: $sgpr20_sgpr21
                                        ; implicit-def: $sgpr24_sgpr25
                                        ; implicit-def: $sgpr26_sgpr27
	s_branch .LBB1001_153
.LBB1001_152:                           ;   in Loop: Header=BB1001_153 Depth=1
	s_or_b64 exec, exec, s[28:29]
	s_and_b64 s[0:1], exec, s[22:23]
	s_or_b64 s[16:17], s[0:1], s[16:17]
	s_andn2_b64 s[0:1], s[26:27], exec
	s_and_b64 s[26:27], s[24:25], exec
	s_or_b64 s[26:27], s[0:1], s[26:27]
	s_andn2_b64 s[0:1], s[18:19], exec
	s_and_b64 s[18:19], s[20:21], exec
	;; [unrolled: 3-line block ×3, first 2 shown]
	s_or_b64 s[14:15], s[0:1], s[2:3]
	s_andn2_b64 exec, exec, s[16:17]
	s_cbranch_execz .LBB1001_155
.LBB1001_153:                           ; =>This Inner Loop Header: Depth=1
	flat_load_ubyte v68, v[64:65]
	flat_load_ubyte v69, v[54:55]
	s_andn2_b64 s[24:25], s[24:25], exec
	s_or_b64 s[20:21], s[20:21], exec
	s_or_b64 s[22:23], s[22:23], exec
	s_waitcnt vmcnt(0) lgkmcnt(0)
	v_cmp_eq_u16_e64 s[0:1], 0, v68
	v_cmp_ne_u16_e64 s[2:3], 0, v69
	s_or_b64 s[30:31], s[0:1], s[2:3]
	s_and_b64 s[28:29], s[0:1], s[2:3]
	s_xor_b64 s[0:1], s[0:1], s[2:3]
	s_and_b64 s[2:3], s[30:31], s[26:27]
	s_or_b64 s[2:3], s[28:29], s[2:3]
	s_and_saveexec_b64 s[28:29], s[0:1]
	s_cbranch_execz .LBB1001_152
; %bb.154:                              ;   in Loop: Header=BB1001_153 Depth=1
	v_lshl_add_u64 v[66:67], v[66:67], 0, -1
	v_cmp_eq_u64_e64 s[0:1], 0, v[66:67]
	s_andn2_b64 s[24:25], s[24:25], exec
	s_and_b64 s[26:27], s[2:3], exec
	s_andn2_b64 s[22:23], s[22:23], exec
	s_and_b64 s[0:1], s[0:1], exec
	v_lshl_add_u64 v[54:55], v[54:55], 0, 1
	v_lshl_add_u64 v[64:65], v[64:65], 0, 1
	s_or_b64 s[24:25], s[24:25], s[26:27]
	s_andn2_b64 s[20:21], s[20:21], exec
	s_or_b64 s[22:23], s[22:23], s[0:1]
                                        ; implicit-def: $sgpr26_sgpr27
	s_branch .LBB1001_152
.LBB1001_155:
	s_or_b64 exec, exec, s[16:17]
	s_and_saveexec_b64 s[0:1], s[18:19]
	s_xor_b64 s[0:1], exec, s[0:1]
; %bb.156:
	v_cndmask_b32_e64 v55, v1, v3, s[14:15]
	v_cndmask_b32_e64 v54, v0, v2, s[14:15]
	;; [unrolled: 1-line block ×4, first 2 shown]
	v_mov_b64_e32 v[0:1], v[54:55]
; %bb.157:
	s_or_b64 exec, exec, s[0:1]
	s_or_b64 exec, exec, s[6:7]
	s_and_saveexec_b64 s[6:7], vcc
	s_cbranch_execz .LBB1001_25
.LBB1001_158:
	v_mad_u64_u32 v[54:55], s[0:1], v22, v6, v[8:9]
	v_mul_lo_u32 v64, v22, v7
	v_mul_lo_u32 v65, v23, v6
	v_add3_u32 v55, v65, v55, v64
	v_mad_u64_u32 v[64:65], s[0:1], v16, v6, v[8:9]
	v_mul_lo_u32 v66, v16, v7
	v_mul_lo_u32 v67, v17, v6
	v_add3_u32 v65, v67, v65, v66
	s_mov_b64 s[16:17], 0
	v_mov_b64_e32 v[66:67], v[6:7]
                                        ; implicit-def: $sgpr14_sgpr15
                                        ; implicit-def: $sgpr18_sgpr19
                                        ; implicit-def: $sgpr22_sgpr23
                                        ; implicit-def: $sgpr20_sgpr21
                                        ; implicit-def: $sgpr24_sgpr25
                                        ; implicit-def: $sgpr26_sgpr27
	s_branch .LBB1001_160
.LBB1001_159:                           ;   in Loop: Header=BB1001_160 Depth=1
	s_or_b64 exec, exec, s[28:29]
	s_and_b64 s[0:1], exec, s[22:23]
	s_or_b64 s[16:17], s[0:1], s[16:17]
	s_andn2_b64 s[0:1], s[26:27], exec
	s_and_b64 s[26:27], s[24:25], exec
	s_or_b64 s[26:27], s[0:1], s[26:27]
	s_andn2_b64 s[0:1], s[18:19], exec
	s_and_b64 s[18:19], s[20:21], exec
	;; [unrolled: 3-line block ×3, first 2 shown]
	s_or_b64 s[14:15], s[0:1], s[2:3]
	s_andn2_b64 exec, exec, s[16:17]
	s_cbranch_execz .LBB1001_162
.LBB1001_160:                           ; =>This Inner Loop Header: Depth=1
	flat_load_ubyte v68, v[64:65]
	flat_load_ubyte v69, v[54:55]
	s_andn2_b64 s[24:25], s[24:25], exec
	s_or_b64 s[20:21], s[20:21], exec
	s_or_b64 s[22:23], s[22:23], exec
	s_waitcnt vmcnt(0) lgkmcnt(0)
	v_cmp_eq_u16_e64 s[0:1], 0, v68
	v_cmp_ne_u16_e64 s[2:3], 0, v69
	s_or_b64 s[30:31], s[0:1], s[2:3]
	s_and_b64 s[28:29], s[0:1], s[2:3]
	s_xor_b64 s[0:1], s[0:1], s[2:3]
	s_and_b64 s[2:3], s[30:31], s[26:27]
	s_or_b64 s[2:3], s[28:29], s[2:3]
	s_and_saveexec_b64 s[28:29], s[0:1]
	s_cbranch_execz .LBB1001_159
; %bb.161:                              ;   in Loop: Header=BB1001_160 Depth=1
	v_lshl_add_u64 v[66:67], v[66:67], 0, -1
	v_cmp_eq_u64_e64 s[0:1], 0, v[66:67]
	s_andn2_b64 s[24:25], s[24:25], exec
	s_and_b64 s[26:27], s[2:3], exec
	s_andn2_b64 s[22:23], s[22:23], exec
	s_and_b64 s[0:1], s[0:1], exec
	v_lshl_add_u64 v[54:55], v[54:55], 0, 1
	v_lshl_add_u64 v[64:65], v[64:65], 0, 1
	s_or_b64 s[24:25], s[24:25], s[26:27]
	s_andn2_b64 s[20:21], s[20:21], exec
	s_or_b64 s[22:23], s[22:23], s[0:1]
                                        ; implicit-def: $sgpr26_sgpr27
	s_branch .LBB1001_159
.LBB1001_162:
	s_or_b64 exec, exec, s[16:17]
	s_and_saveexec_b64 s[0:1], s[18:19]
	s_xor_b64 s[0:1], exec, s[0:1]
; %bb.163:
	v_cndmask_b32_e64 v55, v23, v17, s[14:15]
	v_cndmask_b32_e64 v54, v22, v16, s[14:15]
	;; [unrolled: 1-line block ×4, first 2 shown]
	v_mov_b64_e32 v[22:23], v[54:55]
; %bb.164:
	s_or_b64 exec, exec, s[0:1]
	s_or_b64 exec, exec, s[6:7]
	s_and_saveexec_b64 s[6:7], vcc
	s_cbranch_execz .LBB1001_26
.LBB1001_165:
	v_mad_u64_u32 v[54:55], s[0:1], v18, v6, v[8:9]
	v_mul_lo_u32 v64, v18, v7
	v_mul_lo_u32 v65, v19, v6
	v_add3_u32 v55, v65, v55, v64
	v_mad_u64_u32 v[64:65], s[0:1], v12, v6, v[8:9]
	v_mul_lo_u32 v66, v12, v7
	v_mul_lo_u32 v67, v13, v6
	v_add3_u32 v65, v67, v65, v66
	s_mov_b64 s[16:17], 0
	v_mov_b64_e32 v[66:67], v[6:7]
                                        ; implicit-def: $sgpr14_sgpr15
                                        ; implicit-def: $sgpr18_sgpr19
                                        ; implicit-def: $sgpr22_sgpr23
                                        ; implicit-def: $sgpr20_sgpr21
                                        ; implicit-def: $sgpr24_sgpr25
                                        ; implicit-def: $sgpr26_sgpr27
	s_branch .LBB1001_167
.LBB1001_166:                           ;   in Loop: Header=BB1001_167 Depth=1
	s_or_b64 exec, exec, s[28:29]
	s_and_b64 s[0:1], exec, s[22:23]
	s_or_b64 s[16:17], s[0:1], s[16:17]
	s_andn2_b64 s[0:1], s[26:27], exec
	s_and_b64 s[26:27], s[24:25], exec
	s_or_b64 s[26:27], s[0:1], s[26:27]
	s_andn2_b64 s[0:1], s[18:19], exec
	s_and_b64 s[18:19], s[20:21], exec
	;; [unrolled: 3-line block ×3, first 2 shown]
	s_or_b64 s[14:15], s[0:1], s[2:3]
	s_andn2_b64 exec, exec, s[16:17]
	s_cbranch_execz .LBB1001_169
.LBB1001_167:                           ; =>This Inner Loop Header: Depth=1
	flat_load_ubyte v68, v[64:65]
	flat_load_ubyte v69, v[54:55]
	s_andn2_b64 s[24:25], s[24:25], exec
	s_or_b64 s[20:21], s[20:21], exec
	s_or_b64 s[22:23], s[22:23], exec
	s_waitcnt vmcnt(0) lgkmcnt(0)
	v_cmp_eq_u16_e64 s[0:1], 0, v68
	v_cmp_ne_u16_e64 s[2:3], 0, v69
	s_or_b64 s[30:31], s[0:1], s[2:3]
	s_and_b64 s[28:29], s[0:1], s[2:3]
	s_xor_b64 s[0:1], s[0:1], s[2:3]
	s_and_b64 s[2:3], s[30:31], s[26:27]
	s_or_b64 s[2:3], s[28:29], s[2:3]
	s_and_saveexec_b64 s[28:29], s[0:1]
	s_cbranch_execz .LBB1001_166
; %bb.168:                              ;   in Loop: Header=BB1001_167 Depth=1
	v_lshl_add_u64 v[66:67], v[66:67], 0, -1
	v_cmp_eq_u64_e64 s[0:1], 0, v[66:67]
	s_andn2_b64 s[24:25], s[24:25], exec
	s_and_b64 s[26:27], s[2:3], exec
	s_andn2_b64 s[22:23], s[22:23], exec
	s_and_b64 s[0:1], s[0:1], exec
	v_lshl_add_u64 v[54:55], v[54:55], 0, 1
	v_lshl_add_u64 v[64:65], v[64:65], 0, 1
	s_or_b64 s[24:25], s[24:25], s[26:27]
	s_andn2_b64 s[20:21], s[20:21], exec
	s_or_b64 s[22:23], s[22:23], s[0:1]
                                        ; implicit-def: $sgpr26_sgpr27
	s_branch .LBB1001_166
.LBB1001_169:
	s_or_b64 exec, exec, s[16:17]
	s_and_saveexec_b64 s[0:1], s[18:19]
	s_xor_b64 s[0:1], exec, s[0:1]
; %bb.170:
	v_cndmask_b32_e64 v55, v19, v13, s[14:15]
	v_cndmask_b32_e64 v54, v18, v12, s[14:15]
	;; [unrolled: 1-line block ×4, first 2 shown]
	v_mov_b64_e32 v[18:19], v[54:55]
; %bb.171:
	s_or_b64 exec, exec, s[0:1]
	s_or_b64 exec, exec, s[6:7]
	s_and_saveexec_b64 s[6:7], vcc
	s_cbranch_execz .LBB1001_27
.LBB1001_172:
	v_mad_u64_u32 v[54:55], s[0:1], v14, v6, v[8:9]
	v_mul_lo_u32 v64, v14, v7
	v_mul_lo_u32 v65, v15, v6
	v_add3_u32 v55, v65, v55, v64
	v_mad_u64_u32 v[64:65], s[0:1], v0, v6, v[8:9]
	v_mul_lo_u32 v66, v0, v7
	v_mul_lo_u32 v67, v1, v6
	v_add3_u32 v65, v67, v65, v66
	s_mov_b64 s[16:17], 0
	v_mov_b64_e32 v[66:67], v[6:7]
                                        ; implicit-def: $sgpr14_sgpr15
                                        ; implicit-def: $sgpr18_sgpr19
                                        ; implicit-def: $sgpr22_sgpr23
                                        ; implicit-def: $sgpr20_sgpr21
                                        ; implicit-def: $sgpr24_sgpr25
                                        ; implicit-def: $sgpr26_sgpr27
	s_branch .LBB1001_174
.LBB1001_173:                           ;   in Loop: Header=BB1001_174 Depth=1
	s_or_b64 exec, exec, s[28:29]
	s_and_b64 s[0:1], exec, s[22:23]
	s_or_b64 s[16:17], s[0:1], s[16:17]
	s_andn2_b64 s[0:1], s[26:27], exec
	s_and_b64 s[26:27], s[24:25], exec
	s_or_b64 s[26:27], s[0:1], s[26:27]
	s_andn2_b64 s[0:1], s[18:19], exec
	s_and_b64 s[18:19], s[20:21], exec
	;; [unrolled: 3-line block ×3, first 2 shown]
	s_or_b64 s[14:15], s[0:1], s[2:3]
	s_andn2_b64 exec, exec, s[16:17]
	s_cbranch_execz .LBB1001_176
.LBB1001_174:                           ; =>This Inner Loop Header: Depth=1
	flat_load_ubyte v68, v[64:65]
	flat_load_ubyte v69, v[54:55]
	s_andn2_b64 s[24:25], s[24:25], exec
	s_or_b64 s[20:21], s[20:21], exec
	s_or_b64 s[22:23], s[22:23], exec
	s_waitcnt vmcnt(0) lgkmcnt(0)
	v_cmp_eq_u16_e64 s[0:1], 0, v68
	v_cmp_ne_u16_e64 s[2:3], 0, v69
	s_or_b64 s[30:31], s[0:1], s[2:3]
	s_and_b64 s[28:29], s[0:1], s[2:3]
	s_xor_b64 s[0:1], s[0:1], s[2:3]
	s_and_b64 s[2:3], s[30:31], s[26:27]
	s_or_b64 s[2:3], s[28:29], s[2:3]
	s_and_saveexec_b64 s[28:29], s[0:1]
	s_cbranch_execz .LBB1001_173
; %bb.175:                              ;   in Loop: Header=BB1001_174 Depth=1
	v_lshl_add_u64 v[66:67], v[66:67], 0, -1
	v_cmp_eq_u64_e64 s[0:1], 0, v[66:67]
	s_andn2_b64 s[24:25], s[24:25], exec
	s_and_b64 s[26:27], s[2:3], exec
	s_andn2_b64 s[22:23], s[22:23], exec
	s_and_b64 s[0:1], s[0:1], exec
	v_lshl_add_u64 v[54:55], v[54:55], 0, 1
	v_lshl_add_u64 v[64:65], v[64:65], 0, 1
	s_or_b64 s[24:25], s[24:25], s[26:27]
	s_andn2_b64 s[20:21], s[20:21], exec
	s_or_b64 s[22:23], s[22:23], s[0:1]
                                        ; implicit-def: $sgpr26_sgpr27
	s_branch .LBB1001_173
.LBB1001_176:
	s_or_b64 exec, exec, s[16:17]
	s_and_saveexec_b64 s[0:1], s[18:19]
	s_xor_b64 s[0:1], exec, s[0:1]
; %bb.177:
	v_cndmask_b32_e64 v55, v15, v1, s[14:15]
	v_cndmask_b32_e64 v54, v14, v0, s[14:15]
	;; [unrolled: 1-line block ×4, first 2 shown]
	v_mov_b64_e32 v[14:15], v[54:55]
; %bb.178:
	s_or_b64 exec, exec, s[0:1]
	s_or_b64 exec, exec, s[6:7]
	s_and_saveexec_b64 s[6:7], vcc
	s_cbranch_execz .LBB1001_28
.LBB1001_179:
	v_mad_u64_u32 v[54:55], s[0:1], v20, v6, v[8:9]
	v_mul_lo_u32 v64, v20, v7
	v_mul_lo_u32 v65, v21, v6
	v_add3_u32 v55, v65, v55, v64
	v_mad_u64_u32 v[64:65], s[0:1], v22, v6, v[8:9]
	v_mul_lo_u32 v66, v22, v7
	v_mul_lo_u32 v67, v23, v6
	v_add3_u32 v65, v67, v65, v66
	s_mov_b64 s[16:17], 0
	v_mov_b64_e32 v[66:67], v[6:7]
                                        ; implicit-def: $sgpr14_sgpr15
                                        ; implicit-def: $sgpr18_sgpr19
                                        ; implicit-def: $sgpr22_sgpr23
                                        ; implicit-def: $sgpr20_sgpr21
                                        ; implicit-def: $sgpr24_sgpr25
                                        ; implicit-def: $sgpr26_sgpr27
	s_branch .LBB1001_181
.LBB1001_180:                           ;   in Loop: Header=BB1001_181 Depth=1
	s_or_b64 exec, exec, s[28:29]
	s_and_b64 s[0:1], exec, s[22:23]
	s_or_b64 s[16:17], s[0:1], s[16:17]
	s_andn2_b64 s[0:1], s[26:27], exec
	s_and_b64 s[26:27], s[24:25], exec
	s_or_b64 s[26:27], s[0:1], s[26:27]
	s_andn2_b64 s[0:1], s[18:19], exec
	s_and_b64 s[18:19], s[20:21], exec
	;; [unrolled: 3-line block ×3, first 2 shown]
	s_or_b64 s[14:15], s[0:1], s[2:3]
	s_andn2_b64 exec, exec, s[16:17]
	s_cbranch_execz .LBB1001_183
.LBB1001_181:                           ; =>This Inner Loop Header: Depth=1
	flat_load_ubyte v68, v[64:65]
	flat_load_ubyte v69, v[54:55]
	s_andn2_b64 s[24:25], s[24:25], exec
	s_or_b64 s[20:21], s[20:21], exec
	s_or_b64 s[22:23], s[22:23], exec
	s_waitcnt vmcnt(0) lgkmcnt(0)
	v_cmp_eq_u16_e64 s[0:1], 0, v68
	v_cmp_ne_u16_e64 s[2:3], 0, v69
	s_or_b64 s[30:31], s[0:1], s[2:3]
	s_and_b64 s[28:29], s[0:1], s[2:3]
	s_xor_b64 s[0:1], s[0:1], s[2:3]
	s_and_b64 s[2:3], s[30:31], s[26:27]
	s_or_b64 s[2:3], s[28:29], s[2:3]
	s_and_saveexec_b64 s[28:29], s[0:1]
	s_cbranch_execz .LBB1001_180
; %bb.182:                              ;   in Loop: Header=BB1001_181 Depth=1
	v_lshl_add_u64 v[66:67], v[66:67], 0, -1
	v_cmp_eq_u64_e64 s[0:1], 0, v[66:67]
	s_andn2_b64 s[24:25], s[24:25], exec
	s_and_b64 s[26:27], s[2:3], exec
	s_andn2_b64 s[22:23], s[22:23], exec
	s_and_b64 s[0:1], s[0:1], exec
	v_lshl_add_u64 v[54:55], v[54:55], 0, 1
	v_lshl_add_u64 v[64:65], v[64:65], 0, 1
	s_or_b64 s[24:25], s[24:25], s[26:27]
	s_andn2_b64 s[20:21], s[20:21], exec
	s_or_b64 s[22:23], s[22:23], s[0:1]
                                        ; implicit-def: $sgpr26_sgpr27
	s_branch .LBB1001_180
.LBB1001_183:
	s_or_b64 exec, exec, s[16:17]
	s_and_saveexec_b64 s[0:1], s[18:19]
	s_xor_b64 s[0:1], exec, s[0:1]
; %bb.184:
	v_cndmask_b32_e64 v55, v23, v21, s[14:15]
	v_cndmask_b32_e64 v54, v22, v20, s[14:15]
	;; [unrolled: 1-line block ×4, first 2 shown]
	v_mov_b64_e32 v[22:23], v[54:55]
; %bb.185:
	s_or_b64 exec, exec, s[0:1]
	s_or_b64 exec, exec, s[6:7]
	s_and_saveexec_b64 s[6:7], vcc
	s_cbranch_execz .LBB1001_29
.LBB1001_186:
	v_mad_u64_u32 v[54:55], s[0:1], v16, v6, v[8:9]
	v_mul_lo_u32 v64, v16, v7
	v_mul_lo_u32 v65, v17, v6
	v_add3_u32 v55, v65, v55, v64
	v_mad_u64_u32 v[64:65], s[0:1], v18, v6, v[8:9]
	v_mul_lo_u32 v66, v18, v7
	v_mul_lo_u32 v67, v19, v6
	v_add3_u32 v65, v67, v65, v66
	s_mov_b64 s[16:17], 0
	v_mov_b64_e32 v[66:67], v[6:7]
                                        ; implicit-def: $sgpr14_sgpr15
                                        ; implicit-def: $sgpr18_sgpr19
                                        ; implicit-def: $sgpr22_sgpr23
                                        ; implicit-def: $sgpr20_sgpr21
                                        ; implicit-def: $sgpr24_sgpr25
                                        ; implicit-def: $sgpr26_sgpr27
	s_branch .LBB1001_188
.LBB1001_187:                           ;   in Loop: Header=BB1001_188 Depth=1
	s_or_b64 exec, exec, s[28:29]
	s_and_b64 s[0:1], exec, s[22:23]
	s_or_b64 s[16:17], s[0:1], s[16:17]
	s_andn2_b64 s[0:1], s[26:27], exec
	s_and_b64 s[26:27], s[24:25], exec
	s_or_b64 s[26:27], s[0:1], s[26:27]
	s_andn2_b64 s[0:1], s[18:19], exec
	s_and_b64 s[18:19], s[20:21], exec
	s_or_b64 s[18:19], s[0:1], s[18:19]
	s_andn2_b64 s[0:1], s[14:15], exec
	s_and_b64 s[2:3], s[2:3], exec
	s_or_b64 s[14:15], s[0:1], s[2:3]
	s_andn2_b64 exec, exec, s[16:17]
	s_cbranch_execz .LBB1001_190
.LBB1001_188:                           ; =>This Inner Loop Header: Depth=1
	flat_load_ubyte v68, v[64:65]
	flat_load_ubyte v69, v[54:55]
	s_andn2_b64 s[24:25], s[24:25], exec
	s_or_b64 s[20:21], s[20:21], exec
	s_or_b64 s[22:23], s[22:23], exec
	s_waitcnt vmcnt(0) lgkmcnt(0)
	v_cmp_eq_u16_e64 s[0:1], 0, v68
	v_cmp_ne_u16_e64 s[2:3], 0, v69
	s_or_b64 s[30:31], s[0:1], s[2:3]
	s_and_b64 s[28:29], s[0:1], s[2:3]
	s_xor_b64 s[0:1], s[0:1], s[2:3]
	s_and_b64 s[2:3], s[30:31], s[26:27]
	s_or_b64 s[2:3], s[28:29], s[2:3]
	s_and_saveexec_b64 s[28:29], s[0:1]
	s_cbranch_execz .LBB1001_187
; %bb.189:                              ;   in Loop: Header=BB1001_188 Depth=1
	v_lshl_add_u64 v[66:67], v[66:67], 0, -1
	v_cmp_eq_u64_e64 s[0:1], 0, v[66:67]
	s_andn2_b64 s[24:25], s[24:25], exec
	s_and_b64 s[26:27], s[2:3], exec
	s_andn2_b64 s[22:23], s[22:23], exec
	s_and_b64 s[0:1], s[0:1], exec
	v_lshl_add_u64 v[54:55], v[54:55], 0, 1
	v_lshl_add_u64 v[64:65], v[64:65], 0, 1
	s_or_b64 s[24:25], s[24:25], s[26:27]
	s_andn2_b64 s[20:21], s[20:21], exec
	s_or_b64 s[22:23], s[22:23], s[0:1]
                                        ; implicit-def: $sgpr26_sgpr27
	s_branch .LBB1001_187
.LBB1001_190:
	s_or_b64 exec, exec, s[16:17]
	s_and_saveexec_b64 s[0:1], s[18:19]
	s_xor_b64 s[0:1], exec, s[0:1]
; %bb.191:
	v_cndmask_b32_e64 v55, v17, v19, s[14:15]
	v_cndmask_b32_e64 v54, v16, v18, s[14:15]
	;; [unrolled: 1-line block ×4, first 2 shown]
	v_mov_b64_e32 v[16:17], v[54:55]
; %bb.192:
	s_or_b64 exec, exec, s[0:1]
	s_or_b64 exec, exec, s[6:7]
	s_and_saveexec_b64 s[6:7], vcc
	s_cbranch_execz .LBB1001_30
.LBB1001_193:
	v_mad_u64_u32 v[54:55], s[0:1], v12, v6, v[8:9]
	v_mul_lo_u32 v64, v12, v7
	v_mul_lo_u32 v65, v13, v6
	v_add3_u32 v55, v65, v55, v64
	v_mad_u64_u32 v[64:65], s[0:1], v14, v6, v[8:9]
	v_mul_lo_u32 v66, v14, v7
	v_mul_lo_u32 v67, v15, v6
	v_add3_u32 v65, v67, v65, v66
	s_mov_b64 s[16:17], 0
	v_mov_b64_e32 v[66:67], v[6:7]
                                        ; implicit-def: $sgpr14_sgpr15
                                        ; implicit-def: $sgpr18_sgpr19
                                        ; implicit-def: $sgpr22_sgpr23
                                        ; implicit-def: $sgpr20_sgpr21
                                        ; implicit-def: $sgpr24_sgpr25
                                        ; implicit-def: $sgpr26_sgpr27
	s_branch .LBB1001_195
.LBB1001_194:                           ;   in Loop: Header=BB1001_195 Depth=1
	s_or_b64 exec, exec, s[28:29]
	s_and_b64 s[0:1], exec, s[22:23]
	s_or_b64 s[16:17], s[0:1], s[16:17]
	s_andn2_b64 s[0:1], s[26:27], exec
	s_and_b64 s[26:27], s[24:25], exec
	s_or_b64 s[26:27], s[0:1], s[26:27]
	s_andn2_b64 s[0:1], s[18:19], exec
	s_and_b64 s[18:19], s[20:21], exec
	;; [unrolled: 3-line block ×3, first 2 shown]
	s_or_b64 s[14:15], s[0:1], s[2:3]
	s_andn2_b64 exec, exec, s[16:17]
	s_cbranch_execz .LBB1001_197
.LBB1001_195:                           ; =>This Inner Loop Header: Depth=1
	flat_load_ubyte v68, v[64:65]
	flat_load_ubyte v69, v[54:55]
	s_andn2_b64 s[24:25], s[24:25], exec
	s_or_b64 s[20:21], s[20:21], exec
	s_or_b64 s[22:23], s[22:23], exec
	s_waitcnt vmcnt(0) lgkmcnt(0)
	v_cmp_eq_u16_e64 s[0:1], 0, v68
	v_cmp_ne_u16_e64 s[2:3], 0, v69
	s_or_b64 s[30:31], s[0:1], s[2:3]
	s_and_b64 s[28:29], s[0:1], s[2:3]
	s_xor_b64 s[0:1], s[0:1], s[2:3]
	s_and_b64 s[2:3], s[30:31], s[26:27]
	s_or_b64 s[2:3], s[28:29], s[2:3]
	s_and_saveexec_b64 s[28:29], s[0:1]
	s_cbranch_execz .LBB1001_194
; %bb.196:                              ;   in Loop: Header=BB1001_195 Depth=1
	v_lshl_add_u64 v[66:67], v[66:67], 0, -1
	v_cmp_eq_u64_e64 s[0:1], 0, v[66:67]
	s_andn2_b64 s[24:25], s[24:25], exec
	s_and_b64 s[26:27], s[2:3], exec
	s_andn2_b64 s[22:23], s[22:23], exec
	s_and_b64 s[0:1], s[0:1], exec
	v_lshl_add_u64 v[54:55], v[54:55], 0, 1
	v_lshl_add_u64 v[64:65], v[64:65], 0, 1
	s_or_b64 s[24:25], s[24:25], s[26:27]
	s_andn2_b64 s[20:21], s[20:21], exec
	s_or_b64 s[22:23], s[22:23], s[0:1]
                                        ; implicit-def: $sgpr26_sgpr27
	s_branch .LBB1001_194
.LBB1001_197:
	s_or_b64 exec, exec, s[16:17]
	s_and_saveexec_b64 s[0:1], s[18:19]
	s_xor_b64 s[0:1], exec, s[0:1]
; %bb.198:
	v_cndmask_b32_e64 v55, v13, v15, s[14:15]
	v_cndmask_b32_e64 v54, v12, v14, s[14:15]
	;; [unrolled: 1-line block ×4, first 2 shown]
	v_mov_b64_e32 v[12:13], v[54:55]
; %bb.199:
	s_or_b64 exec, exec, s[0:1]
	s_or_b64 exec, exec, s[6:7]
	s_and_saveexec_b64 s[6:7], vcc
	s_cbranch_execz .LBB1001_31
.LBB1001_200:
	v_mad_u64_u32 v[54:55], s[0:1], v0, v6, v[8:9]
	v_mul_lo_u32 v64, v0, v7
	v_mul_lo_u32 v65, v1, v6
	v_add3_u32 v55, v65, v55, v64
	v_mad_u64_u32 v[64:65], s[0:1], v2, v6, v[8:9]
	v_mul_lo_u32 v66, v2, v7
	v_mul_lo_u32 v67, v3, v6
	v_add3_u32 v65, v67, v65, v66
	s_mov_b64 s[16:17], 0
	v_mov_b64_e32 v[66:67], v[6:7]
                                        ; implicit-def: $sgpr14_sgpr15
                                        ; implicit-def: $sgpr18_sgpr19
                                        ; implicit-def: $sgpr22_sgpr23
                                        ; implicit-def: $sgpr20_sgpr21
                                        ; implicit-def: $sgpr24_sgpr25
                                        ; implicit-def: $sgpr26_sgpr27
	s_branch .LBB1001_202
.LBB1001_201:                           ;   in Loop: Header=BB1001_202 Depth=1
	s_or_b64 exec, exec, s[28:29]
	s_and_b64 s[0:1], exec, s[22:23]
	s_or_b64 s[16:17], s[0:1], s[16:17]
	s_andn2_b64 s[0:1], s[26:27], exec
	s_and_b64 s[26:27], s[24:25], exec
	s_or_b64 s[26:27], s[0:1], s[26:27]
	s_andn2_b64 s[0:1], s[18:19], exec
	s_and_b64 s[18:19], s[20:21], exec
	;; [unrolled: 3-line block ×3, first 2 shown]
	s_or_b64 s[14:15], s[0:1], s[2:3]
	s_andn2_b64 exec, exec, s[16:17]
	s_cbranch_execz .LBB1001_204
.LBB1001_202:                           ; =>This Inner Loop Header: Depth=1
	flat_load_ubyte v68, v[64:65]
	flat_load_ubyte v69, v[54:55]
	s_andn2_b64 s[24:25], s[24:25], exec
	s_or_b64 s[20:21], s[20:21], exec
	s_or_b64 s[22:23], s[22:23], exec
	s_waitcnt vmcnt(0) lgkmcnt(0)
	v_cmp_eq_u16_e64 s[0:1], 0, v68
	v_cmp_ne_u16_e64 s[2:3], 0, v69
	s_or_b64 s[30:31], s[0:1], s[2:3]
	s_and_b64 s[28:29], s[0:1], s[2:3]
	s_xor_b64 s[0:1], s[0:1], s[2:3]
	s_and_b64 s[2:3], s[30:31], s[26:27]
	s_or_b64 s[2:3], s[28:29], s[2:3]
	s_and_saveexec_b64 s[28:29], s[0:1]
	s_cbranch_execz .LBB1001_201
; %bb.203:                              ;   in Loop: Header=BB1001_202 Depth=1
	v_lshl_add_u64 v[66:67], v[66:67], 0, -1
	v_cmp_eq_u64_e64 s[0:1], 0, v[66:67]
	s_andn2_b64 s[24:25], s[24:25], exec
	s_and_b64 s[26:27], s[2:3], exec
	s_andn2_b64 s[22:23], s[22:23], exec
	s_and_b64 s[0:1], s[0:1], exec
	v_lshl_add_u64 v[54:55], v[54:55], 0, 1
	v_lshl_add_u64 v[64:65], v[64:65], 0, 1
	s_or_b64 s[24:25], s[24:25], s[26:27]
	s_andn2_b64 s[20:21], s[20:21], exec
	s_or_b64 s[22:23], s[22:23], s[0:1]
                                        ; implicit-def: $sgpr26_sgpr27
	s_branch .LBB1001_201
.LBB1001_204:
	s_or_b64 exec, exec, s[16:17]
	s_and_saveexec_b64 s[0:1], s[18:19]
	s_xor_b64 s[0:1], exec, s[0:1]
; %bb.205:
	v_cndmask_b32_e64 v55, v1, v3, s[14:15]
	v_cndmask_b32_e64 v54, v0, v2, s[14:15]
	v_cndmask_b32_e64 v3, v3, v1, s[14:15]
	v_cndmask_b32_e64 v2, v2, v0, s[14:15]
	v_mov_b64_e32 v[0:1], v[54:55]
; %bb.206:
	s_or_b64 exec, exec, s[0:1]
	s_or_b64 exec, exec, s[6:7]
	s_and_saveexec_b64 s[6:7], vcc
	s_cbranch_execz .LBB1001_226
.LBB1001_207:
	v_mad_u64_u32 v[54:55], s[0:1], v22, v6, v[8:9]
	v_mul_lo_u32 v64, v22, v7
	v_mul_lo_u32 v65, v23, v6
	v_add3_u32 v55, v65, v55, v64
	v_mad_u64_u32 v[64:65], s[0:1], v16, v6, v[8:9]
	v_mul_lo_u32 v66, v16, v7
	v_mul_lo_u32 v67, v17, v6
	v_add3_u32 v65, v67, v65, v66
	s_mov_b64 s[16:17], 0
	v_mov_b64_e32 v[66:67], v[6:7]
                                        ; implicit-def: $sgpr14_sgpr15
                                        ; implicit-def: $sgpr18_sgpr19
                                        ; implicit-def: $sgpr22_sgpr23
                                        ; implicit-def: $sgpr20_sgpr21
                                        ; implicit-def: $sgpr24_sgpr25
                                        ; implicit-def: $sgpr26_sgpr27
	s_branch .LBB1001_209
.LBB1001_208:                           ;   in Loop: Header=BB1001_209 Depth=1
	s_or_b64 exec, exec, s[28:29]
	s_and_b64 s[0:1], exec, s[22:23]
	s_or_b64 s[16:17], s[0:1], s[16:17]
	s_andn2_b64 s[0:1], s[26:27], exec
	s_and_b64 s[26:27], s[24:25], exec
	s_or_b64 s[26:27], s[0:1], s[26:27]
	s_andn2_b64 s[0:1], s[18:19], exec
	s_and_b64 s[18:19], s[20:21], exec
	;; [unrolled: 3-line block ×3, first 2 shown]
	s_or_b64 s[14:15], s[0:1], s[2:3]
	s_andn2_b64 exec, exec, s[16:17]
	s_cbranch_execz .LBB1001_211
.LBB1001_209:                           ; =>This Inner Loop Header: Depth=1
	flat_load_ubyte v68, v[64:65]
	flat_load_ubyte v69, v[54:55]
	s_andn2_b64 s[24:25], s[24:25], exec
	s_or_b64 s[20:21], s[20:21], exec
	s_or_b64 s[22:23], s[22:23], exec
	s_waitcnt vmcnt(0) lgkmcnt(0)
	v_cmp_eq_u16_e64 s[0:1], 0, v68
	v_cmp_ne_u16_e64 s[2:3], 0, v69
	s_or_b64 s[30:31], s[0:1], s[2:3]
	s_and_b64 s[28:29], s[0:1], s[2:3]
	s_xor_b64 s[0:1], s[0:1], s[2:3]
	s_and_b64 s[2:3], s[30:31], s[26:27]
	s_or_b64 s[2:3], s[28:29], s[2:3]
	s_and_saveexec_b64 s[28:29], s[0:1]
	s_cbranch_execz .LBB1001_208
; %bb.210:                              ;   in Loop: Header=BB1001_209 Depth=1
	v_lshl_add_u64 v[66:67], v[66:67], 0, -1
	v_cmp_eq_u64_e64 s[0:1], 0, v[66:67]
	s_andn2_b64 s[24:25], s[24:25], exec
	s_and_b64 s[26:27], s[2:3], exec
	s_andn2_b64 s[22:23], s[22:23], exec
	s_and_b64 s[0:1], s[0:1], exec
	v_lshl_add_u64 v[54:55], v[54:55], 0, 1
	v_lshl_add_u64 v[64:65], v[64:65], 0, 1
	s_or_b64 s[24:25], s[24:25], s[26:27]
	s_andn2_b64 s[20:21], s[20:21], exec
	s_or_b64 s[22:23], s[22:23], s[0:1]
                                        ; implicit-def: $sgpr26_sgpr27
	s_branch .LBB1001_208
.LBB1001_211:
	s_or_b64 exec, exec, s[16:17]
	s_and_saveexec_b64 s[0:1], s[18:19]
	s_xor_b64 s[0:1], exec, s[0:1]
; %bb.212:
	v_cndmask_b32_e64 v55, v23, v17, s[14:15]
	v_cndmask_b32_e64 v54, v22, v16, s[14:15]
	;; [unrolled: 1-line block ×4, first 2 shown]
	v_mov_b64_e32 v[22:23], v[54:55]
; %bb.213:
	s_or_b64 exec, exec, s[0:1]
	v_mad_u64_u32 v[54:55], s[0:1], v18, v6, v[8:9]
	v_mul_lo_u32 v64, v18, v7
	v_mul_lo_u32 v65, v19, v6
	v_add3_u32 v55, v65, v55, v64
	v_mad_u64_u32 v[64:65], s[0:1], v12, v6, v[8:9]
	v_mul_lo_u32 v66, v12, v7
	v_mul_lo_u32 v67, v13, v6
	v_add3_u32 v65, v67, v65, v66
	s_mov_b64 s[16:17], 0
	v_mov_b64_e32 v[66:67], v[6:7]
                                        ; implicit-def: $sgpr14_sgpr15
                                        ; implicit-def: $sgpr18_sgpr19
                                        ; implicit-def: $sgpr22_sgpr23
                                        ; implicit-def: $sgpr20_sgpr21
                                        ; implicit-def: $sgpr24_sgpr25
                                        ; implicit-def: $sgpr26_sgpr27
	s_branch .LBB1001_215
.LBB1001_214:                           ;   in Loop: Header=BB1001_215 Depth=1
	s_or_b64 exec, exec, s[28:29]
	s_and_b64 s[0:1], exec, s[22:23]
	s_or_b64 s[16:17], s[0:1], s[16:17]
	s_andn2_b64 s[0:1], s[26:27], exec
	s_and_b64 s[26:27], s[24:25], exec
	s_or_b64 s[26:27], s[0:1], s[26:27]
	s_andn2_b64 s[0:1], s[18:19], exec
	s_and_b64 s[18:19], s[20:21], exec
	;; [unrolled: 3-line block ×3, first 2 shown]
	s_or_b64 s[14:15], s[0:1], s[2:3]
	s_andn2_b64 exec, exec, s[16:17]
	s_cbranch_execz .LBB1001_217
.LBB1001_215:                           ; =>This Inner Loop Header: Depth=1
	flat_load_ubyte v68, v[64:65]
	flat_load_ubyte v69, v[54:55]
	s_andn2_b64 s[24:25], s[24:25], exec
	s_or_b64 s[20:21], s[20:21], exec
	s_or_b64 s[22:23], s[22:23], exec
	s_waitcnt vmcnt(0) lgkmcnt(0)
	v_cmp_eq_u16_e64 s[0:1], 0, v68
	v_cmp_ne_u16_e64 s[2:3], 0, v69
	s_or_b64 s[30:31], s[0:1], s[2:3]
	s_and_b64 s[28:29], s[0:1], s[2:3]
	s_xor_b64 s[0:1], s[0:1], s[2:3]
	s_and_b64 s[2:3], s[30:31], s[26:27]
	s_or_b64 s[2:3], s[28:29], s[2:3]
	s_and_saveexec_b64 s[28:29], s[0:1]
	s_cbranch_execz .LBB1001_214
; %bb.216:                              ;   in Loop: Header=BB1001_215 Depth=1
	v_lshl_add_u64 v[66:67], v[66:67], 0, -1
	v_cmp_eq_u64_e64 s[0:1], 0, v[66:67]
	s_andn2_b64 s[24:25], s[24:25], exec
	s_and_b64 s[26:27], s[2:3], exec
	s_andn2_b64 s[22:23], s[22:23], exec
	s_and_b64 s[0:1], s[0:1], exec
	v_lshl_add_u64 v[54:55], v[54:55], 0, 1
	v_lshl_add_u64 v[64:65], v[64:65], 0, 1
	s_or_b64 s[24:25], s[24:25], s[26:27]
	s_andn2_b64 s[20:21], s[20:21], exec
	s_or_b64 s[22:23], s[22:23], s[0:1]
                                        ; implicit-def: $sgpr26_sgpr27
	s_branch .LBB1001_214
.LBB1001_217:
	s_or_b64 exec, exec, s[16:17]
	s_and_saveexec_b64 s[0:1], s[18:19]
	s_xor_b64 s[0:1], exec, s[0:1]
; %bb.218:
	v_cndmask_b32_e64 v55, v19, v13, s[14:15]
	v_cndmask_b32_e64 v54, v18, v12, s[14:15]
	;; [unrolled: 1-line block ×4, first 2 shown]
	v_mov_b64_e32 v[18:19], v[54:55]
; %bb.219:
	s_or_b64 exec, exec, s[0:1]
	v_mad_u64_u32 v[54:55], s[0:1], v14, v6, v[8:9]
	v_mul_lo_u32 v64, v14, v7
	v_mul_lo_u32 v65, v15, v6
	v_add3_u32 v55, v65, v55, v64
	v_mad_u64_u32 v[64:65], s[0:1], v0, v6, v[8:9]
	v_mul_lo_u32 v66, v0, v7
	v_mul_lo_u32 v67, v1, v6
	v_add3_u32 v65, v67, v65, v66
	s_mov_b64 s[18:19], 0
	v_mov_b64_e32 v[66:67], v[6:7]
                                        ; implicit-def: $sgpr14_sgpr15
                                        ; implicit-def: $sgpr16_sgpr17
                                        ; implicit-def: $sgpr22_sgpr23
                                        ; implicit-def: $sgpr20_sgpr21
                                        ; implicit-def: $sgpr24_sgpr25
                                        ; implicit-def: $sgpr26_sgpr27
	s_branch .LBB1001_221
.LBB1001_220:                           ;   in Loop: Header=BB1001_221 Depth=1
	s_or_b64 exec, exec, s[28:29]
	s_and_b64 s[0:1], exec, s[22:23]
	s_or_b64 s[18:19], s[0:1], s[18:19]
	s_andn2_b64 s[0:1], s[26:27], exec
	s_and_b64 s[26:27], s[24:25], exec
	s_or_b64 s[26:27], s[0:1], s[26:27]
	s_andn2_b64 s[0:1], s[16:17], exec
	s_and_b64 s[16:17], s[20:21], exec
	;; [unrolled: 3-line block ×3, first 2 shown]
	s_or_b64 s[14:15], s[0:1], s[2:3]
	s_andn2_b64 exec, exec, s[18:19]
	s_cbranch_execz .LBB1001_223
.LBB1001_221:                           ; =>This Inner Loop Header: Depth=1
	flat_load_ubyte v68, v[64:65]
	flat_load_ubyte v69, v[54:55]
	s_andn2_b64 s[24:25], s[24:25], exec
	s_or_b64 s[20:21], s[20:21], exec
	s_or_b64 s[22:23], s[22:23], exec
	s_waitcnt vmcnt(0) lgkmcnt(0)
	v_cmp_eq_u16_e64 s[0:1], 0, v68
	v_cmp_ne_u16_e64 s[2:3], 0, v69
	s_or_b64 s[30:31], s[0:1], s[2:3]
	s_and_b64 s[28:29], s[0:1], s[2:3]
	s_xor_b64 s[0:1], s[0:1], s[2:3]
	s_and_b64 s[2:3], s[30:31], s[26:27]
	s_or_b64 s[2:3], s[28:29], s[2:3]
	s_and_saveexec_b64 s[28:29], s[0:1]
	s_cbranch_execz .LBB1001_220
; %bb.222:                              ;   in Loop: Header=BB1001_221 Depth=1
	v_lshl_add_u64 v[66:67], v[66:67], 0, -1
	v_cmp_eq_u64_e64 s[0:1], 0, v[66:67]
	s_andn2_b64 s[24:25], s[24:25], exec
	s_and_b64 s[26:27], s[2:3], exec
	s_andn2_b64 s[22:23], s[22:23], exec
	s_and_b64 s[0:1], s[0:1], exec
	v_lshl_add_u64 v[54:55], v[54:55], 0, 1
	v_lshl_add_u64 v[64:65], v[64:65], 0, 1
	s_or_b64 s[24:25], s[24:25], s[26:27]
	s_andn2_b64 s[20:21], s[20:21], exec
	s_or_b64 s[22:23], s[22:23], s[0:1]
                                        ; implicit-def: $sgpr26_sgpr27
	s_branch .LBB1001_220
.LBB1001_223:
	s_or_b64 exec, exec, s[18:19]
	s_and_saveexec_b64 s[0:1], s[16:17]
	s_xor_b64 s[0:1], exec, s[0:1]
; %bb.224:
	v_cndmask_b32_e64 v55, v15, v1, s[14:15]
	v_cndmask_b32_e64 v54, v14, v0, s[14:15]
	;; [unrolled: 1-line block ×4, first 2 shown]
	v_mov_b64_e32 v[14:15], v[54:55]
; %bb.225:
	s_or_b64 exec, exec, s[0:1]
.LBB1001_226:
	s_or_b64 exec, exec, s[6:7]
.LBB1001_227:
	s_or_b64 exec, exec, s[4:5]
	v_mbcnt_lo_u32_b32 v54, -1, 0
	v_mbcnt_hi_u32_b32 v64, -1, v54
	v_and_b32_e32 v66, 0xfffffe00, v31
	s_movk_i32 s0, 0x800
	v_mov_b32_e32 v67, 0
	v_sub_u32_e64 v31, s0, v66 clamp
	v_lshl_add_u64 v[54:55], v[66:67], 3, v[10:11]
	v_lshlrev_b32_e32 v96, 3, v64
	v_lshlrev_b32_e32 v66, 6, v64
	v_lshl_add_u64 v[64:65], v[54:55], 0, v[66:67]
	v_or_b32_e32 v66, 8, v96
	v_min_u32_e32 v97, v31, v66
	v_add_u32_e32 v66, 8, v97
	v_and_b32_e32 v99, 0x3f0, v96
	v_min_u32_e32 v98, v31, v66
	v_and_b32_e32 v66, 8, v96
	v_min_u32_e32 v100, v31, v66
	v_sub_u32_e32 v66, v97, v99
	v_sub_u32_e32 v68, v98, v97
	v_sub_u32_e64 v101, v100, v68 clamp
	v_min_u32_e32 v102, v100, v66
	v_cmp_lt_u32_e64 s[0:1], v101, v102
	flat_store_dwordx4 v[64:65], v[20:23]
	flat_store_dwordx4 v[64:65], v[16:19] offset:16
	flat_store_dwordx4 v[64:65], v[12:15] offset:32
	;; [unrolled: 1-line block ×3, first 2 shown]
	; wave barrier
	s_and_saveexec_b64 s[4:5], s[0:1]
	s_cbranch_execz .LBB1001_237
; %bb.228:
	v_lshlrev_b32_e32 v66, 3, v99
	v_lshl_add_u64 v[68:69], v[54:55], 0, v[66:67]
	v_lshlrev_b32_e32 v66, 3, v97
	v_lshl_add_u64 v[70:71], v[54:55], 0, v[66:67]
	s_mov_b64 s[6:7], 0
	s_branch .LBB1001_231
.LBB1001_229:                           ;   in Loop: Header=BB1001_231 Depth=1
	s_or_b64 exec, exec, s[16:17]
	s_and_b64 s[0:1], s[18:19], exec
.LBB1001_230:                           ;   in Loop: Header=BB1001_231 Depth=1
	s_or_b64 exec, exec, s[14:15]
	v_add_u32_e32 v66, 1, v80
	v_cndmask_b32_e64 v102, v102, v80, s[0:1]
	v_cndmask_b32_e64 v101, v66, v101, s[0:1]
	v_cmp_ge_u32_e64 s[0:1], v101, v102
	s_or_b64 s[6:7], s[0:1], s[6:7]
	s_andn2_b64 exec, exec, s[6:7]
	s_cbranch_execz .LBB1001_236
.LBB1001_231:                           ; =>This Loop Header: Depth=1
                                        ;     Child Loop BB1001_234 Depth 2
	v_add_u32_e32 v66, v102, v101
	v_lshrrev_b32_e32 v80, 1, v66
	s_mov_b64 s[0:1], 0
	s_and_saveexec_b64 s[14:15], vcc
	s_cbranch_execz .LBB1001_230
; %bb.232:                              ;   in Loop: Header=BB1001_231 Depth=1
	v_mov_b32_e32 v81, v67
	v_xad_u32 v66, v80, -1, v100
	v_lshl_add_u64 v[82:83], v[80:81], 3, v[68:69]
	v_lshl_add_u64 v[84:85], v[66:67], 3, v[70:71]
	flat_load_dwordx2 v[82:83], v[82:83]
	s_mov_b64 s[16:17], 0
	flat_load_dwordx2 v[84:85], v[84:85]
                                        ; implicit-def: $sgpr18_sgpr19
                                        ; implicit-def: $sgpr20_sgpr21
                                        ; implicit-def: $sgpr22_sgpr23
                                        ; implicit-def: $sgpr2_sgpr3
                                        ; implicit-def: $sgpr24_sgpr25
	s_waitcnt vmcnt(0) lgkmcnt(0)
	v_mul_lo_u32 v66, v82, v7
	v_mul_lo_u32 v81, v83, v6
	v_mad_u64_u32 v[82:83], s[0:1], v82, v6, v[8:9]
	v_mul_lo_u32 v86, v84, v7
	v_mul_lo_u32 v87, v85, v6
	v_mad_u64_u32 v[84:85], s[0:1], v84, v6, v[8:9]
	v_add3_u32 v83, v81, v83, v66
	v_add3_u32 v85, v87, v85, v86
	v_mov_b64_e32 v[86:87], v[6:7]
	s_branch .LBB1001_234
.LBB1001_233:                           ;   in Loop: Header=BB1001_234 Depth=2
	s_or_b64 exec, exec, s[26:27]
	s_and_b64 s[0:1], exec, s[20:21]
	s_or_b64 s[16:17], s[0:1], s[16:17]
	s_andn2_b64 s[0:1], s[24:25], exec
	s_and_b64 s[24:25], s[22:23], exec
	s_or_b64 s[24:25], s[0:1], s[24:25]
	s_andn2_b64 s[0:1], s[18:19], exec
	s_and_b64 s[18:19], s[2:3], exec
	s_or_b64 s[18:19], s[0:1], s[18:19]
	s_andn2_b64 exec, exec, s[16:17]
	s_cbranch_execz .LBB1001_229
.LBB1001_234:                           ;   Parent Loop BB1001_231 Depth=1
                                        ; =>  This Inner Loop Header: Depth=2
	flat_load_ubyte v66, v[84:85]
	flat_load_ubyte v81, v[82:83]
	s_andn2_b64 s[26:27], s[2:3], exec
	s_andn2_b64 s[22:23], s[22:23], exec
	s_or_b64 s[20:21], s[20:21], exec
	s_waitcnt vmcnt(0) lgkmcnt(0)
	v_cmp_eq_u16_e64 s[0:1], 0, v66
	v_cmp_ne_u16_e64 s[2:3], 0, v81
	s_or_b64 s[30:31], s[0:1], s[2:3]
	s_and_b64 s[28:29], s[0:1], s[2:3]
	s_xor_b64 s[0:1], s[0:1], s[2:3]
	s_and_b64 s[2:3], s[30:31], s[24:25]
	s_or_b64 s[28:29], s[28:29], s[2:3]
	s_and_b64 s[2:3], s[28:29], exec
	s_or_b64 s[2:3], s[26:27], s[2:3]
	s_and_saveexec_b64 s[26:27], s[0:1]
	s_cbranch_execz .LBB1001_233
; %bb.235:                              ;   in Loop: Header=BB1001_234 Depth=2
	v_lshl_add_u64 v[86:87], v[86:87], 0, -1
	v_cmp_eq_u64_e64 s[0:1], 0, v[86:87]
	s_andn2_b64 s[22:23], s[22:23], exec
	s_and_b64 s[24:25], s[28:29], exec
	s_andn2_b64 s[20:21], s[20:21], exec
	s_and_b64 s[0:1], s[0:1], exec
	v_lshl_add_u64 v[82:83], v[82:83], 0, 1
	v_lshl_add_u64 v[84:85], v[84:85], 0, 1
	s_andn2_b64 s[2:3], s[2:3], exec
	s_or_b64 s[22:23], s[22:23], s[24:25]
	s_or_b64 s[20:21], s[20:21], s[0:1]
                                        ; implicit-def: $sgpr24_sgpr25
	s_branch .LBB1001_233
.LBB1001_236:
	s_or_b64 exec, exec, s[6:7]
.LBB1001_237:
	s_or_b64 exec, exec, s[4:5]
	v_add_u32_e32 v67, v97, v100
	v_add_u32_e32 v66, v101, v99
	v_sub_u32_e32 v68, v67, v101
	v_cmp_le_u32_e64 s[4:5], v66, v97
	v_cmp_le_u32_e64 s[6:7], v68, v98
	v_cmp_gt_i64_e64 s[0:1], 1, v[6:7]
	v_cmp_lt_i64_e64 s[2:3], 0, v[6:7]
	s_or_b64 s[4:5], s[4:5], s[6:7]
	s_and_saveexec_b64 s[14:15], s[4:5]
	s_cbranch_execz .LBB1001_309
; %bb.238:
	v_cmp_ge_u32_e64 s[4:5], v66, v97
	v_cmp_lt_u32_e64 s[6:7], v66, v97
                                        ; implicit-def: $vgpr0_vgpr1
	s_and_saveexec_b64 s[16:17], s[6:7]
	s_cbranch_execz .LBB1001_240
; %bb.239:
	v_mov_b32_e32 v67, 0
	v_lshl_add_u64 v[0:1], v[66:67], 3, v[54:55]
	flat_load_dwordx2 v[0:1], v[0:1]
.LBB1001_240:
	s_or_b64 exec, exec, s[16:17]
	v_cmp_ge_u32_e64 s[16:17], v68, v98
	v_cmp_lt_u32_e64 s[6:7], v68, v98
                                        ; implicit-def: $vgpr2_vgpr3
	s_and_saveexec_b64 s[18:19], s[6:7]
	s_cbranch_execz .LBB1001_242
; %bb.241:
	v_mov_b32_e32 v69, 0
	v_lshl_add_u64 v[2:3], v[68:69], 3, v[54:55]
	flat_load_dwordx2 v[2:3], v[2:3]
.LBB1001_242:
	s_or_b64 exec, exec, s[18:19]
	s_or_b64 s[4:5], s[4:5], s[16:17]
	s_xor_b64 s[4:5], s[4:5], -1
	s_and_saveexec_b64 s[18:19], s[4:5]
	s_cbranch_execz .LBB1001_250
; %bb.243:
	s_mov_b64 s[4:5], 0
	s_and_saveexec_b64 s[20:21], s[2:3]
	s_cbranch_execz .LBB1001_249
; %bb.244:
	s_waitcnt vmcnt(0) lgkmcnt(0)
	v_mad_u64_u32 v[12:13], s[4:5], v0, v6, v[8:9]
	v_mul_lo_u32 v14, v0, v7
	v_mul_lo_u32 v15, v1, v6
	v_add3_u32 v13, v15, v13, v14
	v_mad_u64_u32 v[14:15], s[4:5], v2, v6, v[8:9]
	v_mul_lo_u32 v16, v2, v7
	v_mul_lo_u32 v17, v3, v6
	v_add3_u32 v15, v17, v15, v16
	s_mov_b64 s[22:23], 0
	v_mov_b64_e32 v[16:17], v[6:7]
                                        ; implicit-def: $sgpr24_sgpr25
                                        ; implicit-def: $sgpr26_sgpr27
                                        ; implicit-def: $sgpr28_sgpr29
                                        ; implicit-def: $sgpr6_sgpr7
                                        ; implicit-def: $sgpr30_sgpr31
	s_branch .LBB1001_246
.LBB1001_245:                           ;   in Loop: Header=BB1001_246 Depth=1
	s_or_b64 exec, exec, s[34:35]
	s_and_b64 s[4:5], exec, s[26:27]
	s_or_b64 s[22:23], s[4:5], s[22:23]
	s_andn2_b64 s[4:5], s[30:31], exec
	s_and_b64 s[30:31], s[28:29], exec
	s_or_b64 s[30:31], s[4:5], s[30:31]
	s_andn2_b64 s[4:5], s[24:25], exec
	s_and_b64 s[24:25], s[6:7], exec
	s_or_b64 s[24:25], s[4:5], s[24:25]
	s_andn2_b64 exec, exec, s[22:23]
	s_cbranch_execz .LBB1001_248
.LBB1001_246:                           ; =>This Inner Loop Header: Depth=1
	flat_load_ubyte v18, v[14:15]
	flat_load_ubyte v19, v[12:13]
	s_andn2_b64 s[34:35], s[6:7], exec
	s_andn2_b64 s[28:29], s[28:29], exec
	s_or_b64 s[26:27], s[26:27], exec
	s_waitcnt vmcnt(0) lgkmcnt(0)
	v_cmp_eq_u16_e64 s[4:5], 0, v18
	v_cmp_ne_u16_e64 s[6:7], 0, v19
	s_or_b64 s[38:39], s[4:5], s[6:7]
	s_and_b64 s[36:37], s[4:5], s[6:7]
	s_xor_b64 s[4:5], s[4:5], s[6:7]
	s_and_b64 s[6:7], s[38:39], s[30:31]
	s_or_b64 s[36:37], s[36:37], s[6:7]
	s_and_b64 s[6:7], s[36:37], exec
	s_or_b64 s[6:7], s[34:35], s[6:7]
	s_and_saveexec_b64 s[34:35], s[4:5]
	s_cbranch_execz .LBB1001_245
; %bb.247:                              ;   in Loop: Header=BB1001_246 Depth=1
	v_lshl_add_u64 v[16:17], v[16:17], 0, -1
	v_cmp_eq_u64_e64 s[4:5], 0, v[16:17]
	s_andn2_b64 s[28:29], s[28:29], exec
	s_and_b64 s[30:31], s[36:37], exec
	s_andn2_b64 s[26:27], s[26:27], exec
	s_and_b64 s[4:5], s[4:5], exec
	v_lshl_add_u64 v[12:13], v[12:13], 0, 1
	v_lshl_add_u64 v[14:15], v[14:15], 0, 1
	s_andn2_b64 s[6:7], s[6:7], exec
	s_or_b64 s[28:29], s[28:29], s[30:31]
	s_or_b64 s[26:27], s[26:27], s[4:5]
                                        ; implicit-def: $sgpr30_sgpr31
	s_branch .LBB1001_245
.LBB1001_248:
	s_or_b64 exec, exec, s[22:23]
	s_and_b64 s[4:5], s[24:25], exec
.LBB1001_249:
	s_or_b64 exec, exec, s[20:21]
	s_xor_b64 s[4:5], s[4:5], -1
	s_andn2_b64 s[6:7], s[16:17], exec
	s_and_b64 s[4:5], s[4:5], exec
	s_or_b64 s[16:17], s[6:7], s[4:5]
.LBB1001_250:
	s_or_b64 exec, exec, s[18:19]
	v_cndmask_b32_e64 v12, v68, v66, s[16:17]
	v_cndmask_b32_e64 v13, v98, v97, s[16:17]
	v_add_u32_e32 v16, 1, v12
	v_add_u32_e32 v12, -1, v13
	v_min_u32_e32 v12, v16, v12
	v_mov_b32_e32 v13, 0
	v_lshl_add_u64 v[14:15], v[12:13], 3, v[54:55]
	flat_load_dwordx2 v[14:15], v[14:15]
	v_cndmask_b32_e64 v23, v16, v68, s[16:17]
	s_mov_b64 s[18:19], -1
	v_cndmask_b32_e64 v66, v66, v16, s[16:17]
	v_cmp_lt_u32_e64 s[4:5], v23, v98
	s_mov_b64 s[20:21], -1
	s_waitcnt vmcnt(0) lgkmcnt(0)
	v_cndmask_b32_e64 v20, v15, v3, s[16:17]
	v_cndmask_b32_e64 v21, v14, v2, s[16:17]
	;; [unrolled: 1-line block ×4, first 2 shown]
	s_and_saveexec_b64 s[22:23], s[4:5]
	s_cbranch_execz .LBB1001_260
; %bb.251:
	v_cmp_lt_u32_e64 s[4:5], v66, v97
	s_mov_b64 s[6:7], 0
	s_and_saveexec_b64 s[20:21], s[4:5]
	s_cbranch_execz .LBB1001_259
; %bb.252:
	s_mov_b64 s[4:5], 0
	s_and_saveexec_b64 s[24:25], s[2:3]
	s_cbranch_execz .LBB1001_258
; %bb.253:
	v_mad_u64_u32 v[14:15], s[4:5], v68, v6, v[8:9]
	v_mul_lo_u32 v12, v68, v7
	v_mul_lo_u32 v16, v22, v6
	v_add3_u32 v15, v16, v15, v12
	v_mad_u64_u32 v[16:17], s[4:5], v21, v6, v[8:9]
	v_mul_lo_u32 v12, v21, v7
	v_mul_lo_u32 v18, v20, v6
	v_add3_u32 v17, v18, v17, v12
	s_mov_b64 s[26:27], 0
	v_mov_b64_e32 v[18:19], v[6:7]
                                        ; implicit-def: $sgpr28_sgpr29
                                        ; implicit-def: $sgpr30_sgpr31
                                        ; implicit-def: $sgpr34_sgpr35
                                        ; implicit-def: $sgpr6_sgpr7
                                        ; implicit-def: $sgpr36_sgpr37
	s_branch .LBB1001_255
.LBB1001_254:                           ;   in Loop: Header=BB1001_255 Depth=1
	s_or_b64 exec, exec, s[38:39]
	s_and_b64 s[4:5], exec, s[30:31]
	s_or_b64 s[26:27], s[4:5], s[26:27]
	s_andn2_b64 s[4:5], s[36:37], exec
	s_and_b64 s[36:37], s[34:35], exec
	s_or_b64 s[36:37], s[4:5], s[36:37]
	s_andn2_b64 s[4:5], s[28:29], exec
	s_and_b64 s[28:29], s[6:7], exec
	s_or_b64 s[28:29], s[4:5], s[28:29]
	s_andn2_b64 exec, exec, s[26:27]
	s_cbranch_execz .LBB1001_257
.LBB1001_255:                           ; =>This Inner Loop Header: Depth=1
	flat_load_ubyte v12, v[16:17]
	flat_load_ubyte v67, v[14:15]
	s_andn2_b64 s[38:39], s[6:7], exec
	s_andn2_b64 s[34:35], s[34:35], exec
	s_or_b64 s[30:31], s[30:31], exec
	s_waitcnt vmcnt(0) lgkmcnt(0)
	v_cmp_eq_u16_e64 s[4:5], 0, v12
	v_cmp_ne_u16_e64 s[6:7], 0, v67
	s_or_b64 s[42:43], s[4:5], s[6:7]
	s_and_b64 s[40:41], s[4:5], s[6:7]
	s_xor_b64 s[4:5], s[4:5], s[6:7]
	s_and_b64 s[6:7], s[42:43], s[36:37]
	s_or_b64 s[40:41], s[40:41], s[6:7]
	s_and_b64 s[6:7], s[40:41], exec
	s_or_b64 s[6:7], s[38:39], s[6:7]
	s_and_saveexec_b64 s[38:39], s[4:5]
	s_cbranch_execz .LBB1001_254
; %bb.256:                              ;   in Loop: Header=BB1001_255 Depth=1
	v_lshl_add_u64 v[18:19], v[18:19], 0, -1
	v_cmp_eq_u64_e64 s[4:5], 0, v[18:19]
	s_andn2_b64 s[34:35], s[34:35], exec
	s_and_b64 s[36:37], s[40:41], exec
	s_andn2_b64 s[30:31], s[30:31], exec
	s_and_b64 s[4:5], s[4:5], exec
	v_lshl_add_u64 v[14:15], v[14:15], 0, 1
	v_lshl_add_u64 v[16:17], v[16:17], 0, 1
	s_andn2_b64 s[6:7], s[6:7], exec
	s_or_b64 s[34:35], s[34:35], s[36:37]
	s_or_b64 s[30:31], s[30:31], s[4:5]
                                        ; implicit-def: $sgpr36_sgpr37
	s_branch .LBB1001_254
.LBB1001_257:
	s_or_b64 exec, exec, s[26:27]
	s_and_b64 s[4:5], s[28:29], exec
.LBB1001_258:
	s_or_b64 exec, exec, s[24:25]
	s_xor_b64 s[4:5], s[4:5], -1
	s_and_b64 s[6:7], s[4:5], exec
.LBB1001_259:
	s_or_b64 exec, exec, s[20:21]
	s_orn2_b64 s[20:21], s[6:7], exec
.LBB1001_260:
	s_or_b64 exec, exec, s[22:23]
	v_cndmask_b32_e64 v12, v23, v66, s[20:21]
	v_cndmask_b32_e64 v14, v98, v97, s[20:21]
	v_add_u32_e32 v15, 1, v12
	v_add_u32_e32 v12, -1, v14
	v_min_u32_e32 v12, v15, v12
	v_lshl_add_u64 v[12:13], v[12:13], 3, v[54:55]
	flat_load_dwordx2 v[12:13], v[12:13]
	v_cndmask_b32_e64 v18, v15, v23, s[20:21]
	v_cndmask_b32_e64 v19, v66, v15, s[20:21]
	v_cmp_lt_u32_e64 s[4:5], v18, v98
	s_waitcnt vmcnt(0) lgkmcnt(0)
	v_cndmask_b32_e64 v23, v13, v20, s[20:21]
	v_cndmask_b32_e64 v69, v12, v21, s[20:21]
	;; [unrolled: 1-line block ×4, first 2 shown]
	s_and_saveexec_b64 s[22:23], s[4:5]
	s_cbranch_execz .LBB1001_268
; %bb.261:
	v_cmp_lt_u32_e64 s[18:19], v19, v97
	s_xor_b64 s[4:5], s[0:1], -1
	s_and_b64 s[4:5], s[18:19], s[4:5]
	s_and_saveexec_b64 s[24:25], s[4:5]
	s_cbranch_execz .LBB1001_267
; %bb.262:
	v_mad_u64_u32 v[12:13], s[4:5], v71, v6, v[8:9]
	v_mul_lo_u32 v14, v71, v7
	v_mul_lo_u32 v15, v70, v6
	v_add3_u32 v13, v15, v13, v14
	v_mad_u64_u32 v[14:15], s[4:5], v69, v6, v[8:9]
	v_mul_lo_u32 v16, v69, v7
	v_mul_lo_u32 v17, v23, v6
	v_add3_u32 v15, v17, v15, v16
	s_mov_b64 s[26:27], 0
	v_mov_b64_e32 v[16:17], v[6:7]
                                        ; implicit-def: $sgpr28_sgpr29
                                        ; implicit-def: $sgpr30_sgpr31
                                        ; implicit-def: $sgpr6_sgpr7
                                        ; implicit-def: $sgpr34_sgpr35
                                        ; implicit-def: $sgpr36_sgpr37
	s_branch .LBB1001_264
.LBB1001_263:                           ;   in Loop: Header=BB1001_264 Depth=1
	s_or_b64 exec, exec, s[38:39]
	s_and_b64 s[4:5], exec, s[30:31]
	s_or_b64 s[26:27], s[4:5], s[26:27]
	s_andn2_b64 s[4:5], s[36:37], exec
	s_and_b64 s[36:37], s[34:35], exec
	s_or_b64 s[36:37], s[4:5], s[36:37]
	s_andn2_b64 s[4:5], s[28:29], exec
	s_and_b64 s[28:29], s[6:7], exec
	s_or_b64 s[28:29], s[4:5], s[28:29]
	s_andn2_b64 exec, exec, s[26:27]
	s_cbranch_execz .LBB1001_266
.LBB1001_264:                           ; =>This Inner Loop Header: Depth=1
	flat_load_ubyte v66, v[14:15]
	flat_load_ubyte v67, v[12:13]
	s_andn2_b64 s[38:39], s[6:7], exec
	s_andn2_b64 s[34:35], s[34:35], exec
	s_or_b64 s[30:31], s[30:31], exec
	s_waitcnt vmcnt(0) lgkmcnt(0)
	v_cmp_eq_u16_e64 s[4:5], 0, v66
	v_cmp_ne_u16_e64 s[6:7], 0, v67
	s_or_b64 s[42:43], s[4:5], s[6:7]
	s_and_b64 s[40:41], s[4:5], s[6:7]
	s_xor_b64 s[4:5], s[4:5], s[6:7]
	s_and_b64 s[6:7], s[42:43], s[36:37]
	s_or_b64 s[40:41], s[40:41], s[6:7]
	s_and_b64 s[6:7], s[40:41], exec
	s_or_b64 s[6:7], s[38:39], s[6:7]
	s_and_saveexec_b64 s[38:39], s[4:5]
	s_cbranch_execz .LBB1001_263
; %bb.265:                              ;   in Loop: Header=BB1001_264 Depth=1
	v_lshl_add_u64 v[16:17], v[16:17], 0, -1
	v_cmp_eq_u64_e64 s[4:5], 0, v[16:17]
	s_andn2_b64 s[34:35], s[34:35], exec
	s_and_b64 s[36:37], s[40:41], exec
	s_andn2_b64 s[30:31], s[30:31], exec
	s_and_b64 s[4:5], s[4:5], exec
	v_lshl_add_u64 v[12:13], v[12:13], 0, 1
	v_lshl_add_u64 v[14:15], v[14:15], 0, 1
	s_or_b64 s[34:35], s[34:35], s[36:37]
	s_andn2_b64 s[6:7], s[6:7], exec
	s_or_b64 s[30:31], s[30:31], s[4:5]
                                        ; implicit-def: $sgpr36_sgpr37
	s_branch .LBB1001_263
.LBB1001_266:
	s_or_b64 exec, exec, s[26:27]
	s_xor_b64 s[4:5], s[28:29], -1
	s_andn2_b64 s[6:7], s[18:19], exec
	s_and_b64 s[4:5], s[4:5], exec
	s_or_b64 s[18:19], s[6:7], s[4:5]
.LBB1001_267:
	s_or_b64 exec, exec, s[24:25]
	s_orn2_b64 s[18:19], s[18:19], exec
.LBB1001_268:
	s_or_b64 exec, exec, s[22:23]
	v_cndmask_b32_e64 v12, v18, v19, s[18:19]
	v_cndmask_b32_e64 v13, v98, v97, s[18:19]
	v_add_u32_e32 v16, 1, v12
	v_add_u32_e32 v12, -1, v13
	v_min_u32_e32 v12, v16, v12
	v_mov_b32_e32 v13, 0
	v_lshl_add_u64 v[14:15], v[12:13], 3, v[54:55]
	flat_load_dwordx2 v[14:15], v[14:15]
	v_cndmask_b32_e64 v66, v16, v18, s[18:19]
	s_mov_b64 s[22:23], -1
	v_cndmask_b32_e64 v67, v19, v16, s[18:19]
	v_cmp_lt_u32_e64 s[4:5], v66, v98
	s_mov_b64 s[24:25], -1
	s_waitcnt vmcnt(0) lgkmcnt(0)
	v_cndmask_b32_e64 v80, v15, v23, s[18:19]
	v_cndmask_b32_e64 v81, v14, v69, s[18:19]
	;; [unrolled: 1-line block ×4, first 2 shown]
	s_and_saveexec_b64 s[26:27], s[4:5]
	s_cbranch_execz .LBB1001_276
; %bb.269:
	v_cmp_lt_u32_e64 s[24:25], v67, v97
	s_xor_b64 s[4:5], s[0:1], -1
	s_and_b64 s[4:5], s[24:25], s[4:5]
	s_and_saveexec_b64 s[28:29], s[4:5]
	s_cbranch_execz .LBB1001_275
; %bb.270:
	v_mad_u64_u32 v[14:15], s[4:5], v83, v6, v[8:9]
	v_mul_lo_u32 v12, v83, v7
	v_mul_lo_u32 v16, v82, v6
	v_add3_u32 v15, v16, v15, v12
	v_mad_u64_u32 v[16:17], s[4:5], v81, v6, v[8:9]
	v_mul_lo_u32 v12, v81, v7
	v_mul_lo_u32 v18, v80, v6
	v_add3_u32 v17, v18, v17, v12
	s_mov_b64 s[30:31], 0
	v_mov_b64_e32 v[18:19], v[6:7]
                                        ; implicit-def: $sgpr34_sgpr35
                                        ; implicit-def: $sgpr36_sgpr37
                                        ; implicit-def: $sgpr6_sgpr7
                                        ; implicit-def: $sgpr38_sgpr39
                                        ; implicit-def: $sgpr40_sgpr41
	s_branch .LBB1001_272
.LBB1001_271:                           ;   in Loop: Header=BB1001_272 Depth=1
	s_or_b64 exec, exec, s[42:43]
	s_and_b64 s[4:5], exec, s[36:37]
	s_or_b64 s[30:31], s[4:5], s[30:31]
	s_andn2_b64 s[4:5], s[40:41], exec
	s_and_b64 s[40:41], s[38:39], exec
	s_or_b64 s[40:41], s[4:5], s[40:41]
	s_andn2_b64 s[4:5], s[34:35], exec
	s_and_b64 s[34:35], s[6:7], exec
	s_or_b64 s[34:35], s[4:5], s[34:35]
	s_andn2_b64 exec, exec, s[30:31]
	s_cbranch_execz .LBB1001_274
.LBB1001_272:                           ; =>This Inner Loop Header: Depth=1
	flat_load_ubyte v12, v[16:17]
	flat_load_ubyte v84, v[14:15]
	s_andn2_b64 s[42:43], s[6:7], exec
	s_andn2_b64 s[38:39], s[38:39], exec
	s_or_b64 s[36:37], s[36:37], exec
	s_waitcnt vmcnt(0) lgkmcnt(0)
	v_cmp_eq_u16_e64 s[4:5], 0, v12
	v_cmp_ne_u16_e64 s[6:7], 0, v84
	s_or_b64 s[46:47], s[4:5], s[6:7]
	s_and_b64 s[44:45], s[4:5], s[6:7]
	s_xor_b64 s[4:5], s[4:5], s[6:7]
	s_and_b64 s[6:7], s[46:47], s[40:41]
	s_or_b64 s[44:45], s[44:45], s[6:7]
	s_and_b64 s[6:7], s[44:45], exec
	s_or_b64 s[6:7], s[42:43], s[6:7]
	s_and_saveexec_b64 s[42:43], s[4:5]
	s_cbranch_execz .LBB1001_271
; %bb.273:                              ;   in Loop: Header=BB1001_272 Depth=1
	v_lshl_add_u64 v[18:19], v[18:19], 0, -1
	v_cmp_eq_u64_e64 s[4:5], 0, v[18:19]
	s_andn2_b64 s[38:39], s[38:39], exec
	s_and_b64 s[40:41], s[44:45], exec
	s_andn2_b64 s[36:37], s[36:37], exec
	s_and_b64 s[4:5], s[4:5], exec
	v_lshl_add_u64 v[14:15], v[14:15], 0, 1
	v_lshl_add_u64 v[16:17], v[16:17], 0, 1
	s_or_b64 s[38:39], s[38:39], s[40:41]
	s_andn2_b64 s[6:7], s[6:7], exec
	s_or_b64 s[36:37], s[36:37], s[4:5]
                                        ; implicit-def: $sgpr40_sgpr41
	s_branch .LBB1001_271
.LBB1001_274:
	s_or_b64 exec, exec, s[30:31]
	s_xor_b64 s[4:5], s[34:35], -1
	s_andn2_b64 s[6:7], s[24:25], exec
	s_and_b64 s[4:5], s[4:5], exec
	s_or_b64 s[24:25], s[6:7], s[4:5]
.LBB1001_275:
	s_or_b64 exec, exec, s[28:29]
	s_orn2_b64 s[24:25], s[24:25], exec
.LBB1001_276:
	s_or_b64 exec, exec, s[26:27]
	v_cndmask_b32_e64 v12, v66, v67, s[24:25]
	v_cndmask_b32_e64 v14, v98, v97, s[24:25]
	v_add_u32_e32 v15, 1, v12
	v_add_u32_e32 v12, -1, v14
	v_min_u32_e32 v12, v15, v12
	v_lshl_add_u64 v[12:13], v[12:13], 3, v[54:55]
	flat_load_dwordx2 v[12:13], v[12:13]
	v_cndmask_b32_e64 v18, v15, v66, s[24:25]
	v_cndmask_b32_e64 v19, v67, v15, s[24:25]
	v_cmp_lt_u32_e64 s[4:5], v18, v98
	s_waitcnt vmcnt(0) lgkmcnt(0)
	v_cndmask_b32_e64 v84, v13, v80, s[24:25]
	v_cndmask_b32_e64 v85, v12, v81, s[24:25]
	;; [unrolled: 1-line block ×4, first 2 shown]
	s_and_saveexec_b64 s[26:27], s[4:5]
	s_cbranch_execz .LBB1001_284
; %bb.277:
	v_cmp_lt_u32_e64 s[22:23], v19, v97
	s_xor_b64 s[4:5], s[0:1], -1
	s_and_b64 s[4:5], s[22:23], s[4:5]
	s_and_saveexec_b64 s[28:29], s[4:5]
	s_cbranch_execz .LBB1001_283
; %bb.278:
	v_mad_u64_u32 v[12:13], s[4:5], v87, v6, v[8:9]
	v_mul_lo_u32 v14, v87, v7
	v_mul_lo_u32 v15, v86, v6
	v_add3_u32 v13, v15, v13, v14
	v_mad_u64_u32 v[14:15], s[4:5], v85, v6, v[8:9]
	v_mul_lo_u32 v16, v85, v7
	v_mul_lo_u32 v17, v84, v6
	v_add3_u32 v15, v17, v15, v16
	s_mov_b64 s[30:31], 0
	v_mov_b64_e32 v[16:17], v[6:7]
                                        ; implicit-def: $sgpr34_sgpr35
                                        ; implicit-def: $sgpr36_sgpr37
                                        ; implicit-def: $sgpr6_sgpr7
                                        ; implicit-def: $sgpr38_sgpr39
                                        ; implicit-def: $sgpr40_sgpr41
	s_branch .LBB1001_280
.LBB1001_279:                           ;   in Loop: Header=BB1001_280 Depth=1
	s_or_b64 exec, exec, s[42:43]
	s_and_b64 s[4:5], exec, s[36:37]
	s_or_b64 s[30:31], s[4:5], s[30:31]
	s_andn2_b64 s[4:5], s[40:41], exec
	s_and_b64 s[40:41], s[38:39], exec
	s_or_b64 s[40:41], s[4:5], s[40:41]
	s_andn2_b64 s[4:5], s[34:35], exec
	s_and_b64 s[34:35], s[6:7], exec
	s_or_b64 s[34:35], s[4:5], s[34:35]
	s_andn2_b64 exec, exec, s[30:31]
	s_cbranch_execz .LBB1001_282
.LBB1001_280:                           ; =>This Inner Loop Header: Depth=1
	flat_load_ubyte v66, v[14:15]
	flat_load_ubyte v67, v[12:13]
	s_andn2_b64 s[42:43], s[6:7], exec
	s_andn2_b64 s[38:39], s[38:39], exec
	s_or_b64 s[36:37], s[36:37], exec
	s_waitcnt vmcnt(0) lgkmcnt(0)
	v_cmp_eq_u16_e64 s[4:5], 0, v66
	v_cmp_ne_u16_e64 s[6:7], 0, v67
	s_or_b64 s[46:47], s[4:5], s[6:7]
	s_and_b64 s[44:45], s[4:5], s[6:7]
	s_xor_b64 s[4:5], s[4:5], s[6:7]
	s_and_b64 s[6:7], s[46:47], s[40:41]
	s_or_b64 s[44:45], s[44:45], s[6:7]
	s_and_b64 s[6:7], s[44:45], exec
	s_or_b64 s[6:7], s[42:43], s[6:7]
	s_and_saveexec_b64 s[42:43], s[4:5]
	s_cbranch_execz .LBB1001_279
; %bb.281:                              ;   in Loop: Header=BB1001_280 Depth=1
	v_lshl_add_u64 v[16:17], v[16:17], 0, -1
	v_cmp_eq_u64_e64 s[4:5], 0, v[16:17]
	s_andn2_b64 s[38:39], s[38:39], exec
	s_and_b64 s[40:41], s[44:45], exec
	s_andn2_b64 s[36:37], s[36:37], exec
	s_and_b64 s[4:5], s[4:5], exec
	v_lshl_add_u64 v[12:13], v[12:13], 0, 1
	v_lshl_add_u64 v[14:15], v[14:15], 0, 1
	s_or_b64 s[38:39], s[38:39], s[40:41]
	s_andn2_b64 s[6:7], s[6:7], exec
	s_or_b64 s[36:37], s[36:37], s[4:5]
                                        ; implicit-def: $sgpr40_sgpr41
	s_branch .LBB1001_279
.LBB1001_282:
	s_or_b64 exec, exec, s[30:31]
	s_xor_b64 s[4:5], s[34:35], -1
	s_andn2_b64 s[6:7], s[22:23], exec
	s_and_b64 s[4:5], s[4:5], exec
	s_or_b64 s[22:23], s[6:7], s[4:5]
.LBB1001_283:
	s_or_b64 exec, exec, s[28:29]
	s_orn2_b64 s[22:23], s[22:23], exec
.LBB1001_284:
	s_or_b64 exec, exec, s[26:27]
	v_cndmask_b32_e64 v12, v18, v19, s[22:23]
	v_cndmask_b32_e64 v13, v98, v97, s[22:23]
	v_add_u32_e32 v16, 1, v12
	v_add_u32_e32 v12, -1, v13
	v_min_u32_e32 v12, v16, v12
	v_mov_b32_e32 v13, 0
	v_lshl_add_u64 v[14:15], v[12:13], 3, v[54:55]
	flat_load_dwordx2 v[14:15], v[14:15]
	v_cndmask_b32_e64 v66, v16, v18, s[22:23]
	s_mov_b64 s[26:27], -1
	v_cndmask_b32_e64 v67, v19, v16, s[22:23]
	v_cmp_lt_u32_e64 s[4:5], v66, v98
	s_mov_b64 s[28:29], -1
	s_waitcnt vmcnt(0) lgkmcnt(0)
	v_cndmask_b32_e64 v99, v15, v84, s[22:23]
	v_cndmask_b32_e64 v100, v14, v85, s[22:23]
	;; [unrolled: 1-line block ×4, first 2 shown]
	s_and_saveexec_b64 s[30:31], s[4:5]
	s_cbranch_execz .LBB1001_292
; %bb.285:
	v_cmp_lt_u32_e64 s[28:29], v67, v97
	s_xor_b64 s[4:5], s[0:1], -1
	s_and_b64 s[4:5], s[28:29], s[4:5]
	s_and_saveexec_b64 s[34:35], s[4:5]
	s_cbranch_execz .LBB1001_291
; %bb.286:
	v_mad_u64_u32 v[14:15], s[4:5], v102, v6, v[8:9]
	v_mul_lo_u32 v12, v102, v7
	v_mul_lo_u32 v16, v101, v6
	v_add3_u32 v15, v16, v15, v12
	v_mad_u64_u32 v[16:17], s[4:5], v100, v6, v[8:9]
	v_mul_lo_u32 v12, v100, v7
	v_mul_lo_u32 v18, v99, v6
	v_add3_u32 v17, v18, v17, v12
	s_mov_b64 s[36:37], 0
	v_mov_b64_e32 v[18:19], v[6:7]
                                        ; implicit-def: $sgpr38_sgpr39
                                        ; implicit-def: $sgpr40_sgpr41
                                        ; implicit-def: $sgpr6_sgpr7
                                        ; implicit-def: $sgpr42_sgpr43
                                        ; implicit-def: $sgpr44_sgpr45
	s_branch .LBB1001_288
.LBB1001_287:                           ;   in Loop: Header=BB1001_288 Depth=1
	s_or_b64 exec, exec, s[46:47]
	s_and_b64 s[4:5], exec, s[40:41]
	s_or_b64 s[36:37], s[4:5], s[36:37]
	s_andn2_b64 s[4:5], s[44:45], exec
	s_and_b64 s[44:45], s[42:43], exec
	s_or_b64 s[44:45], s[4:5], s[44:45]
	s_andn2_b64 s[4:5], s[38:39], exec
	s_and_b64 s[38:39], s[6:7], exec
	s_or_b64 s[38:39], s[4:5], s[38:39]
	s_andn2_b64 exec, exec, s[36:37]
	s_cbranch_execz .LBB1001_290
.LBB1001_288:                           ; =>This Inner Loop Header: Depth=1
	flat_load_ubyte v12, v[16:17]
	flat_load_ubyte v103, v[14:15]
	s_andn2_b64 s[46:47], s[6:7], exec
	s_andn2_b64 s[42:43], s[42:43], exec
	s_or_b64 s[40:41], s[40:41], exec
	s_waitcnt vmcnt(0) lgkmcnt(0)
	v_cmp_eq_u16_e64 s[4:5], 0, v12
	v_cmp_ne_u16_e64 s[6:7], 0, v103
	s_or_b64 s[50:51], s[4:5], s[6:7]
	s_and_b64 s[48:49], s[4:5], s[6:7]
	s_xor_b64 s[4:5], s[4:5], s[6:7]
	s_and_b64 s[6:7], s[50:51], s[44:45]
	s_or_b64 s[48:49], s[48:49], s[6:7]
	s_and_b64 s[6:7], s[48:49], exec
	s_or_b64 s[6:7], s[46:47], s[6:7]
	s_and_saveexec_b64 s[46:47], s[4:5]
	s_cbranch_execz .LBB1001_287
; %bb.289:                              ;   in Loop: Header=BB1001_288 Depth=1
	v_lshl_add_u64 v[18:19], v[18:19], 0, -1
	v_cmp_eq_u64_e64 s[4:5], 0, v[18:19]
	s_andn2_b64 s[42:43], s[42:43], exec
	s_and_b64 s[44:45], s[48:49], exec
	s_andn2_b64 s[40:41], s[40:41], exec
	s_and_b64 s[4:5], s[4:5], exec
	v_lshl_add_u64 v[14:15], v[14:15], 0, 1
	v_lshl_add_u64 v[16:17], v[16:17], 0, 1
	s_or_b64 s[42:43], s[42:43], s[44:45]
	s_andn2_b64 s[6:7], s[6:7], exec
	s_or_b64 s[40:41], s[40:41], s[4:5]
                                        ; implicit-def: $sgpr44_sgpr45
	s_branch .LBB1001_287
.LBB1001_290:
	s_or_b64 exec, exec, s[36:37]
	s_xor_b64 s[4:5], s[38:39], -1
	s_andn2_b64 s[6:7], s[28:29], exec
	s_and_b64 s[4:5], s[4:5], exec
	s_or_b64 s[28:29], s[6:7], s[4:5]
.LBB1001_291:
	s_or_b64 exec, exec, s[34:35]
	s_orn2_b64 s[28:29], s[28:29], exec
.LBB1001_292:
	s_or_b64 exec, exec, s[30:31]
	v_cndmask_b32_e64 v12, v66, v67, s[28:29]
	v_cndmask_b32_e64 v14, v98, v97, s[28:29]
	v_add_u32_e32 v15, 1, v12
	v_add_u32_e32 v12, -1, v14
	v_min_u32_e32 v12, v15, v12
	v_lshl_add_u64 v[12:13], v[12:13], 3, v[54:55]
	flat_load_dwordx2 v[12:13], v[12:13]
	v_cndmask_b32_e64 v114, v15, v66, s[28:29]
	v_cndmask_b32_e64 v103, v67, v15, s[28:29]
	v_cmp_lt_u32_e64 s[4:5], v114, v98
	s_waitcnt vmcnt(0) lgkmcnt(0)
	v_cndmask_b32_e64 v112, v13, v99, s[28:29]
	v_cndmask_b32_e64 v113, v12, v100, s[28:29]
	;; [unrolled: 1-line block ×4, first 2 shown]
	s_and_saveexec_b64 s[30:31], s[4:5]
	s_cbranch_execz .LBB1001_300
; %bb.293:
	v_cmp_lt_u32_e64 s[26:27], v103, v97
	s_xor_b64 s[4:5], s[0:1], -1
	s_and_b64 s[4:5], s[26:27], s[4:5]
	s_and_saveexec_b64 s[34:35], s[4:5]
	s_cbranch_execz .LBB1001_299
; %bb.294:
	v_mad_u64_u32 v[12:13], s[4:5], v116, v6, v[8:9]
	v_mul_lo_u32 v14, v116, v7
	v_mul_lo_u32 v15, v115, v6
	v_add3_u32 v13, v15, v13, v14
	v_mad_u64_u32 v[14:15], s[4:5], v113, v6, v[8:9]
	v_mul_lo_u32 v16, v113, v7
	v_mul_lo_u32 v17, v112, v6
	v_add3_u32 v15, v17, v15, v16
	s_mov_b64 s[36:37], 0
	v_mov_b64_e32 v[16:17], v[6:7]
                                        ; implicit-def: $sgpr38_sgpr39
                                        ; implicit-def: $sgpr40_sgpr41
                                        ; implicit-def: $sgpr6_sgpr7
                                        ; implicit-def: $sgpr42_sgpr43
                                        ; implicit-def: $sgpr44_sgpr45
	s_branch .LBB1001_296
.LBB1001_295:                           ;   in Loop: Header=BB1001_296 Depth=1
	s_or_b64 exec, exec, s[46:47]
	s_and_b64 s[4:5], exec, s[40:41]
	s_or_b64 s[36:37], s[4:5], s[36:37]
	s_andn2_b64 s[4:5], s[44:45], exec
	s_and_b64 s[44:45], s[42:43], exec
	s_or_b64 s[44:45], s[4:5], s[44:45]
	s_andn2_b64 s[4:5], s[38:39], exec
	s_and_b64 s[38:39], s[6:7], exec
	s_or_b64 s[38:39], s[4:5], s[38:39]
	s_andn2_b64 exec, exec, s[36:37]
	s_cbranch_execz .LBB1001_298
.LBB1001_296:                           ; =>This Inner Loop Header: Depth=1
	flat_load_ubyte v18, v[14:15]
	flat_load_ubyte v19, v[12:13]
	s_andn2_b64 s[46:47], s[6:7], exec
	s_andn2_b64 s[42:43], s[42:43], exec
	s_or_b64 s[40:41], s[40:41], exec
	s_waitcnt vmcnt(0) lgkmcnt(0)
	v_cmp_eq_u16_e64 s[4:5], 0, v18
	v_cmp_ne_u16_e64 s[6:7], 0, v19
	s_or_b64 s[50:51], s[4:5], s[6:7]
	s_and_b64 s[48:49], s[4:5], s[6:7]
	s_xor_b64 s[4:5], s[4:5], s[6:7]
	s_and_b64 s[6:7], s[50:51], s[44:45]
	s_or_b64 s[48:49], s[48:49], s[6:7]
	s_and_b64 s[6:7], s[48:49], exec
	s_or_b64 s[6:7], s[46:47], s[6:7]
	s_and_saveexec_b64 s[46:47], s[4:5]
	s_cbranch_execz .LBB1001_295
; %bb.297:                              ;   in Loop: Header=BB1001_296 Depth=1
	v_lshl_add_u64 v[16:17], v[16:17], 0, -1
	v_cmp_eq_u64_e64 s[4:5], 0, v[16:17]
	s_andn2_b64 s[42:43], s[42:43], exec
	s_and_b64 s[44:45], s[48:49], exec
	s_andn2_b64 s[40:41], s[40:41], exec
	s_and_b64 s[4:5], s[4:5], exec
	v_lshl_add_u64 v[12:13], v[12:13], 0, 1
	v_lshl_add_u64 v[14:15], v[14:15], 0, 1
	s_or_b64 s[42:43], s[42:43], s[44:45]
	s_andn2_b64 s[6:7], s[6:7], exec
	s_or_b64 s[40:41], s[40:41], s[4:5]
                                        ; implicit-def: $sgpr44_sgpr45
	s_branch .LBB1001_295
.LBB1001_298:
	s_or_b64 exec, exec, s[36:37]
	s_xor_b64 s[4:5], s[38:39], -1
	s_andn2_b64 s[6:7], s[26:27], exec
	s_and_b64 s[4:5], s[4:5], exec
	s_or_b64 s[26:27], s[6:7], s[4:5]
.LBB1001_299:
	s_or_b64 exec, exec, s[34:35]
	s_orn2_b64 s[26:27], s[26:27], exec
.LBB1001_300:
	s_or_b64 exec, exec, s[30:31]
	v_cndmask_b32_e64 v12, v114, v103, s[26:27]
	v_cndmask_b32_e64 v13, v98, v97, s[26:27]
	v_add_u32_e32 v117, 1, v12
	v_add_u32_e32 v12, -1, v13
	v_min_u32_e32 v12, v117, v12
	v_mov_b32_e32 v13, 0
	v_lshl_add_u64 v[12:13], v[12:13], 3, v[54:55]
	flat_load_dwordx2 v[66:67], v[12:13]
	v_cndmask_b32_e64 v17, v23, v70, s[18:19]
	v_cndmask_b32_e64 v23, v20, v22, s[20:21]
	;; [unrolled: 1-line block ×15, first 2 shown]
	v_cmp_lt_u32_e64 s[4:5], v68, v98
	s_waitcnt vmcnt(0) lgkmcnt(0)
	v_cndmask_b32_e64 v3, v115, v67, s[26:27]
	v_cndmask_b32_e64 v2, v116, v66, s[26:27]
	s_and_saveexec_b64 s[16:17], s[4:5]
	s_cbranch_execz .LBB1001_308
; %bb.301:
	v_cndmask_b32_e64 v81, v66, v113, s[26:27]
	v_cndmask_b32_e64 v66, v103, v117, s[26:27]
	v_cmp_ge_u32_e64 s[4:5], v66, v97
	v_cndmask_b32_e64 v80, v67, v112, s[26:27]
	s_or_b64 s[6:7], s[4:5], s[0:1]
	v_cndmask_b32_e64 v67, v3, v80, s[4:5]
	s_xor_b64 s[6:7], s[6:7], -1
	v_cndmask_b32_e64 v66, v2, v81, s[4:5]
	s_and_saveexec_b64 s[18:19], s[6:7]
	s_cbranch_execz .LBB1001_307
; %bb.302:
	v_mad_u64_u32 v[66:67], s[4:5], v2, v6, v[8:9]
	v_mul_lo_u32 v68, v2, v7
	v_mul_lo_u32 v69, v3, v6
	v_add3_u32 v67, v69, v67, v68
	v_mad_u64_u32 v[68:69], s[4:5], v81, v6, v[8:9]
	v_mul_lo_u32 v70, v81, v7
	v_mul_lo_u32 v71, v80, v6
	v_add3_u32 v69, v71, v69, v70
	s_mov_b64 s[20:21], 0
	v_mov_b64_e32 v[70:71], v[6:7]
                                        ; implicit-def: $sgpr22_sgpr23
                                        ; implicit-def: $sgpr24_sgpr25
                                        ; implicit-def: $sgpr6_sgpr7
                                        ; implicit-def: $sgpr26_sgpr27
                                        ; implicit-def: $sgpr28_sgpr29
	s_branch .LBB1001_304
.LBB1001_303:                           ;   in Loop: Header=BB1001_304 Depth=1
	s_or_b64 exec, exec, s[30:31]
	s_and_b64 s[4:5], exec, s[24:25]
	s_or_b64 s[20:21], s[4:5], s[20:21]
	s_andn2_b64 s[4:5], s[28:29], exec
	s_and_b64 s[28:29], s[26:27], exec
	s_or_b64 s[28:29], s[4:5], s[28:29]
	s_andn2_b64 s[4:5], s[22:23], exec
	s_and_b64 s[22:23], s[6:7], exec
	s_or_b64 s[22:23], s[4:5], s[22:23]
	s_andn2_b64 exec, exec, s[20:21]
	s_cbranch_execz .LBB1001_306
.LBB1001_304:                           ; =>This Inner Loop Header: Depth=1
	flat_load_ubyte v82, v[68:69]
	flat_load_ubyte v83, v[66:67]
	s_andn2_b64 s[30:31], s[6:7], exec
	s_andn2_b64 s[26:27], s[26:27], exec
	s_or_b64 s[24:25], s[24:25], exec
	s_waitcnt vmcnt(0) lgkmcnt(0)
	v_cmp_eq_u16_e64 s[4:5], 0, v82
	v_cmp_ne_u16_e64 s[6:7], 0, v83
	s_or_b64 s[36:37], s[4:5], s[6:7]
	s_and_b64 s[34:35], s[4:5], s[6:7]
	s_xor_b64 s[4:5], s[4:5], s[6:7]
	s_and_b64 s[6:7], s[36:37], s[28:29]
	s_or_b64 s[34:35], s[34:35], s[6:7]
	s_and_b64 s[6:7], s[34:35], exec
	s_or_b64 s[6:7], s[30:31], s[6:7]
	s_and_saveexec_b64 s[30:31], s[4:5]
	s_cbranch_execz .LBB1001_303
; %bb.305:                              ;   in Loop: Header=BB1001_304 Depth=1
	v_lshl_add_u64 v[70:71], v[70:71], 0, -1
	v_cmp_eq_u64_e64 s[4:5], 0, v[70:71]
	s_andn2_b64 s[26:27], s[26:27], exec
	s_and_b64 s[28:29], s[34:35], exec
	s_andn2_b64 s[24:25], s[24:25], exec
	s_and_b64 s[4:5], s[4:5], exec
	v_lshl_add_u64 v[66:67], v[66:67], 0, 1
	v_lshl_add_u64 v[68:69], v[68:69], 0, 1
	s_or_b64 s[26:27], s[26:27], s[28:29]
	s_andn2_b64 s[6:7], s[6:7], exec
	s_or_b64 s[24:25], s[24:25], s[4:5]
                                        ; implicit-def: $sgpr28_sgpr29
	s_branch .LBB1001_303
.LBB1001_306:
	s_or_b64 exec, exec, s[20:21]
	v_cndmask_b32_e64 v67, v3, v80, s[22:23]
	v_cndmask_b32_e64 v66, v2, v81, s[22:23]
.LBB1001_307:
	s_or_b64 exec, exec, s[18:19]
	v_mov_b64_e32 v[2:3], v[66:67]
.LBB1001_308:
	s_or_b64 exec, exec, s[16:17]
.LBB1001_309:
	s_or_b64 exec, exec, s[14:15]
	v_and_b32_e32 v99, 0x3e0, v96
	v_or_b32_e32 v66, 16, v99
	v_min_u32_e32 v97, v31, v66
	v_add_u32_e32 v66, 16, v97
	v_min_u32_e32 v98, v31, v66
	v_and_b32_e32 v66, 24, v96
	v_min_u32_e32 v100, v31, v66
	v_sub_u32_e32 v66, v97, v99
	v_sub_u32_e32 v67, v98, v97
	v_sub_u32_e64 v101, v100, v67 clamp
	v_min_u32_e32 v102, v100, v66
	v_cmp_lt_u32_e64 s[4:5], v101, v102
	; wave barrier
	flat_store_dwordx4 v[64:65], v[20:23]
	flat_store_dwordx4 v[64:65], v[16:19] offset:16
	flat_store_dwordx4 v[64:65], v[12:15] offset:32
	flat_store_dwordx4 v[64:65], v[0:3] offset:48
	; wave barrier
	s_and_saveexec_b64 s[14:15], s[4:5]
	s_cbranch_execz .LBB1001_319
; %bb.310:
	v_lshlrev_b32_e32 v66, 3, v99
	v_mov_b32_e32 v67, 0
	v_lshl_add_u64 v[68:69], v[54:55], 0, v[66:67]
	v_lshlrev_b32_e32 v66, 3, v97
	v_lshl_add_u64 v[70:71], v[54:55], 0, v[66:67]
	s_mov_b64 s[16:17], 0
	s_branch .LBB1001_313
.LBB1001_311:                           ;   in Loop: Header=BB1001_313 Depth=1
	s_or_b64 exec, exec, s[20:21]
	s_and_b64 s[4:5], s[22:23], exec
.LBB1001_312:                           ;   in Loop: Header=BB1001_313 Depth=1
	s_or_b64 exec, exec, s[18:19]
	v_add_u32_e32 v66, 1, v80
	v_cndmask_b32_e64 v102, v102, v80, s[4:5]
	v_cndmask_b32_e64 v101, v66, v101, s[4:5]
	v_cmp_ge_u32_e64 s[4:5], v101, v102
	s_or_b64 s[16:17], s[4:5], s[16:17]
	s_andn2_b64 exec, exec, s[16:17]
	s_cbranch_execz .LBB1001_318
.LBB1001_313:                           ; =>This Loop Header: Depth=1
                                        ;     Child Loop BB1001_316 Depth 2
	v_add_u32_e32 v66, v102, v101
	v_lshrrev_b32_e32 v80, 1, v66
	s_mov_b64 s[4:5], 0
	s_and_saveexec_b64 s[18:19], vcc
	s_cbranch_execz .LBB1001_312
; %bb.314:                              ;   in Loop: Header=BB1001_313 Depth=1
	v_mov_b32_e32 v81, v67
	v_xad_u32 v66, v80, -1, v100
	v_lshl_add_u64 v[82:83], v[80:81], 3, v[68:69]
	v_lshl_add_u64 v[84:85], v[66:67], 3, v[70:71]
	flat_load_dwordx2 v[82:83], v[82:83]
	s_mov_b64 s[20:21], 0
	flat_load_dwordx2 v[84:85], v[84:85]
                                        ; implicit-def: $sgpr22_sgpr23
                                        ; implicit-def: $sgpr24_sgpr25
                                        ; implicit-def: $sgpr26_sgpr27
                                        ; implicit-def: $sgpr6_sgpr7
                                        ; implicit-def: $sgpr28_sgpr29
	s_waitcnt vmcnt(0) lgkmcnt(0)
	v_mul_lo_u32 v66, v82, v7
	v_mul_lo_u32 v81, v83, v6
	v_mad_u64_u32 v[82:83], s[4:5], v82, v6, v[8:9]
	v_mul_lo_u32 v86, v84, v7
	v_mul_lo_u32 v87, v85, v6
	v_mad_u64_u32 v[84:85], s[4:5], v84, v6, v[8:9]
	v_add3_u32 v83, v81, v83, v66
	v_add3_u32 v85, v87, v85, v86
	v_mov_b64_e32 v[86:87], v[6:7]
	s_branch .LBB1001_316
.LBB1001_315:                           ;   in Loop: Header=BB1001_316 Depth=2
	s_or_b64 exec, exec, s[30:31]
	s_and_b64 s[4:5], exec, s[24:25]
	s_or_b64 s[20:21], s[4:5], s[20:21]
	s_andn2_b64 s[4:5], s[28:29], exec
	s_and_b64 s[28:29], s[26:27], exec
	s_or_b64 s[28:29], s[4:5], s[28:29]
	s_andn2_b64 s[4:5], s[22:23], exec
	s_and_b64 s[22:23], s[6:7], exec
	s_or_b64 s[22:23], s[4:5], s[22:23]
	s_andn2_b64 exec, exec, s[20:21]
	s_cbranch_execz .LBB1001_311
.LBB1001_316:                           ;   Parent Loop BB1001_313 Depth=1
                                        ; =>  This Inner Loop Header: Depth=2
	flat_load_ubyte v66, v[84:85]
	flat_load_ubyte v81, v[82:83]
	s_andn2_b64 s[30:31], s[6:7], exec
	s_andn2_b64 s[26:27], s[26:27], exec
	s_or_b64 s[24:25], s[24:25], exec
	s_waitcnt vmcnt(0) lgkmcnt(0)
	v_cmp_eq_u16_e64 s[4:5], 0, v66
	v_cmp_ne_u16_e64 s[6:7], 0, v81
	s_or_b64 s[36:37], s[4:5], s[6:7]
	s_and_b64 s[34:35], s[4:5], s[6:7]
	s_xor_b64 s[4:5], s[4:5], s[6:7]
	s_and_b64 s[6:7], s[36:37], s[28:29]
	s_or_b64 s[34:35], s[34:35], s[6:7]
	s_and_b64 s[6:7], s[34:35], exec
	s_or_b64 s[6:7], s[30:31], s[6:7]
	s_and_saveexec_b64 s[30:31], s[4:5]
	s_cbranch_execz .LBB1001_315
; %bb.317:                              ;   in Loop: Header=BB1001_316 Depth=2
	v_lshl_add_u64 v[86:87], v[86:87], 0, -1
	v_cmp_eq_u64_e64 s[4:5], 0, v[86:87]
	s_andn2_b64 s[26:27], s[26:27], exec
	s_and_b64 s[28:29], s[34:35], exec
	s_andn2_b64 s[24:25], s[24:25], exec
	s_and_b64 s[4:5], s[4:5], exec
	v_lshl_add_u64 v[82:83], v[82:83], 0, 1
	v_lshl_add_u64 v[84:85], v[84:85], 0, 1
	s_andn2_b64 s[6:7], s[6:7], exec
	s_or_b64 s[26:27], s[26:27], s[28:29]
	s_or_b64 s[24:25], s[24:25], s[4:5]
                                        ; implicit-def: $sgpr28_sgpr29
	s_branch .LBB1001_315
.LBB1001_318:
	s_or_b64 exec, exec, s[16:17]
.LBB1001_319:
	s_or_b64 exec, exec, s[14:15]
	v_add_u32_e32 v67, v97, v100
	v_add_u32_e32 v66, v101, v99
	v_sub_u32_e32 v68, v67, v101
	v_cmp_le_u32_e64 s[4:5], v66, v97
	v_cmp_le_u32_e64 s[6:7], v68, v98
	s_or_b64 s[4:5], s[4:5], s[6:7]
	s_and_saveexec_b64 s[14:15], s[4:5]
	s_cbranch_execz .LBB1001_391
; %bb.320:
	v_cmp_ge_u32_e64 s[4:5], v66, v97
	v_cmp_lt_u32_e64 s[6:7], v66, v97
                                        ; implicit-def: $vgpr0_vgpr1
	s_and_saveexec_b64 s[16:17], s[6:7]
	s_cbranch_execz .LBB1001_322
; %bb.321:
	v_mov_b32_e32 v67, 0
	v_lshl_add_u64 v[0:1], v[66:67], 3, v[54:55]
	flat_load_dwordx2 v[0:1], v[0:1]
.LBB1001_322:
	s_or_b64 exec, exec, s[16:17]
	v_cmp_ge_u32_e64 s[16:17], v68, v98
	v_cmp_lt_u32_e64 s[6:7], v68, v98
                                        ; implicit-def: $vgpr2_vgpr3
	s_and_saveexec_b64 s[18:19], s[6:7]
	s_cbranch_execz .LBB1001_324
; %bb.323:
	v_mov_b32_e32 v69, 0
	v_lshl_add_u64 v[2:3], v[68:69], 3, v[54:55]
	flat_load_dwordx2 v[2:3], v[2:3]
.LBB1001_324:
	s_or_b64 exec, exec, s[18:19]
	s_or_b64 s[4:5], s[4:5], s[16:17]
	s_xor_b64 s[4:5], s[4:5], -1
	s_and_saveexec_b64 s[18:19], s[4:5]
	s_cbranch_execz .LBB1001_332
; %bb.325:
	s_mov_b64 s[4:5], 0
	s_and_saveexec_b64 s[20:21], s[2:3]
	s_cbranch_execz .LBB1001_331
; %bb.326:
	s_waitcnt vmcnt(0) lgkmcnt(0)
	v_mad_u64_u32 v[12:13], s[4:5], v0, v6, v[8:9]
	v_mul_lo_u32 v14, v0, v7
	v_mul_lo_u32 v15, v1, v6
	v_add3_u32 v13, v15, v13, v14
	v_mad_u64_u32 v[14:15], s[4:5], v2, v6, v[8:9]
	v_mul_lo_u32 v16, v2, v7
	v_mul_lo_u32 v17, v3, v6
	v_add3_u32 v15, v17, v15, v16
	s_mov_b64 s[22:23], 0
	v_mov_b64_e32 v[16:17], v[6:7]
                                        ; implicit-def: $sgpr24_sgpr25
                                        ; implicit-def: $sgpr26_sgpr27
                                        ; implicit-def: $sgpr28_sgpr29
                                        ; implicit-def: $sgpr6_sgpr7
                                        ; implicit-def: $sgpr30_sgpr31
	s_branch .LBB1001_328
.LBB1001_327:                           ;   in Loop: Header=BB1001_328 Depth=1
	s_or_b64 exec, exec, s[34:35]
	s_and_b64 s[4:5], exec, s[26:27]
	s_or_b64 s[22:23], s[4:5], s[22:23]
	s_andn2_b64 s[4:5], s[30:31], exec
	s_and_b64 s[30:31], s[28:29], exec
	s_or_b64 s[30:31], s[4:5], s[30:31]
	s_andn2_b64 s[4:5], s[24:25], exec
	s_and_b64 s[24:25], s[6:7], exec
	s_or_b64 s[24:25], s[4:5], s[24:25]
	s_andn2_b64 exec, exec, s[22:23]
	s_cbranch_execz .LBB1001_330
.LBB1001_328:                           ; =>This Inner Loop Header: Depth=1
	flat_load_ubyte v18, v[14:15]
	flat_load_ubyte v19, v[12:13]
	s_andn2_b64 s[34:35], s[6:7], exec
	s_andn2_b64 s[28:29], s[28:29], exec
	s_or_b64 s[26:27], s[26:27], exec
	s_waitcnt vmcnt(0) lgkmcnt(0)
	v_cmp_eq_u16_e64 s[4:5], 0, v18
	v_cmp_ne_u16_e64 s[6:7], 0, v19
	s_or_b64 s[38:39], s[4:5], s[6:7]
	s_and_b64 s[36:37], s[4:5], s[6:7]
	s_xor_b64 s[4:5], s[4:5], s[6:7]
	s_and_b64 s[6:7], s[38:39], s[30:31]
	s_or_b64 s[36:37], s[36:37], s[6:7]
	s_and_b64 s[6:7], s[36:37], exec
	s_or_b64 s[6:7], s[34:35], s[6:7]
	s_and_saveexec_b64 s[34:35], s[4:5]
	s_cbranch_execz .LBB1001_327
; %bb.329:                              ;   in Loop: Header=BB1001_328 Depth=1
	v_lshl_add_u64 v[16:17], v[16:17], 0, -1
	v_cmp_eq_u64_e64 s[4:5], 0, v[16:17]
	s_andn2_b64 s[28:29], s[28:29], exec
	s_and_b64 s[30:31], s[36:37], exec
	s_andn2_b64 s[26:27], s[26:27], exec
	s_and_b64 s[4:5], s[4:5], exec
	v_lshl_add_u64 v[12:13], v[12:13], 0, 1
	v_lshl_add_u64 v[14:15], v[14:15], 0, 1
	s_andn2_b64 s[6:7], s[6:7], exec
	s_or_b64 s[28:29], s[28:29], s[30:31]
	s_or_b64 s[26:27], s[26:27], s[4:5]
                                        ; implicit-def: $sgpr30_sgpr31
	s_branch .LBB1001_327
.LBB1001_330:
	s_or_b64 exec, exec, s[22:23]
	s_and_b64 s[4:5], s[24:25], exec
.LBB1001_331:
	s_or_b64 exec, exec, s[20:21]
	s_xor_b64 s[4:5], s[4:5], -1
	s_andn2_b64 s[6:7], s[16:17], exec
	s_and_b64 s[4:5], s[4:5], exec
	s_or_b64 s[16:17], s[6:7], s[4:5]
.LBB1001_332:
	s_or_b64 exec, exec, s[18:19]
	v_cndmask_b32_e64 v12, v68, v66, s[16:17]
	v_cndmask_b32_e64 v13, v98, v97, s[16:17]
	v_add_u32_e32 v16, 1, v12
	v_add_u32_e32 v12, -1, v13
	v_min_u32_e32 v12, v16, v12
	v_mov_b32_e32 v13, 0
	v_lshl_add_u64 v[14:15], v[12:13], 3, v[54:55]
	flat_load_dwordx2 v[14:15], v[14:15]
	v_cndmask_b32_e64 v23, v16, v68, s[16:17]
	s_mov_b64 s[18:19], -1
	v_cndmask_b32_e64 v66, v66, v16, s[16:17]
	v_cmp_lt_u32_e64 s[4:5], v23, v98
	s_mov_b64 s[20:21], -1
	s_waitcnt vmcnt(0) lgkmcnt(0)
	v_cndmask_b32_e64 v20, v15, v3, s[16:17]
	v_cndmask_b32_e64 v21, v14, v2, s[16:17]
	;; [unrolled: 1-line block ×4, first 2 shown]
	s_and_saveexec_b64 s[22:23], s[4:5]
	s_cbranch_execz .LBB1001_342
; %bb.333:
	v_cmp_lt_u32_e64 s[4:5], v66, v97
	s_mov_b64 s[6:7], 0
	s_and_saveexec_b64 s[20:21], s[4:5]
	s_cbranch_execz .LBB1001_341
; %bb.334:
	s_mov_b64 s[4:5], 0
	s_and_saveexec_b64 s[24:25], s[2:3]
	s_cbranch_execz .LBB1001_340
; %bb.335:
	v_mad_u64_u32 v[14:15], s[4:5], v68, v6, v[8:9]
	v_mul_lo_u32 v12, v68, v7
	v_mul_lo_u32 v16, v22, v6
	v_add3_u32 v15, v16, v15, v12
	v_mad_u64_u32 v[16:17], s[4:5], v21, v6, v[8:9]
	v_mul_lo_u32 v12, v21, v7
	v_mul_lo_u32 v18, v20, v6
	v_add3_u32 v17, v18, v17, v12
	s_mov_b64 s[26:27], 0
	v_mov_b64_e32 v[18:19], v[6:7]
                                        ; implicit-def: $sgpr28_sgpr29
                                        ; implicit-def: $sgpr30_sgpr31
                                        ; implicit-def: $sgpr34_sgpr35
                                        ; implicit-def: $sgpr6_sgpr7
                                        ; implicit-def: $sgpr36_sgpr37
	s_branch .LBB1001_337
.LBB1001_336:                           ;   in Loop: Header=BB1001_337 Depth=1
	s_or_b64 exec, exec, s[38:39]
	s_and_b64 s[4:5], exec, s[30:31]
	s_or_b64 s[26:27], s[4:5], s[26:27]
	s_andn2_b64 s[4:5], s[36:37], exec
	s_and_b64 s[36:37], s[34:35], exec
	s_or_b64 s[36:37], s[4:5], s[36:37]
	s_andn2_b64 s[4:5], s[28:29], exec
	s_and_b64 s[28:29], s[6:7], exec
	s_or_b64 s[28:29], s[4:5], s[28:29]
	s_andn2_b64 exec, exec, s[26:27]
	s_cbranch_execz .LBB1001_339
.LBB1001_337:                           ; =>This Inner Loop Header: Depth=1
	flat_load_ubyte v12, v[16:17]
	flat_load_ubyte v67, v[14:15]
	s_andn2_b64 s[38:39], s[6:7], exec
	s_andn2_b64 s[34:35], s[34:35], exec
	s_or_b64 s[30:31], s[30:31], exec
	s_waitcnt vmcnt(0) lgkmcnt(0)
	v_cmp_eq_u16_e64 s[4:5], 0, v12
	v_cmp_ne_u16_e64 s[6:7], 0, v67
	s_or_b64 s[42:43], s[4:5], s[6:7]
	s_and_b64 s[40:41], s[4:5], s[6:7]
	s_xor_b64 s[4:5], s[4:5], s[6:7]
	s_and_b64 s[6:7], s[42:43], s[36:37]
	s_or_b64 s[40:41], s[40:41], s[6:7]
	s_and_b64 s[6:7], s[40:41], exec
	s_or_b64 s[6:7], s[38:39], s[6:7]
	s_and_saveexec_b64 s[38:39], s[4:5]
	s_cbranch_execz .LBB1001_336
; %bb.338:                              ;   in Loop: Header=BB1001_337 Depth=1
	v_lshl_add_u64 v[18:19], v[18:19], 0, -1
	v_cmp_eq_u64_e64 s[4:5], 0, v[18:19]
	s_andn2_b64 s[34:35], s[34:35], exec
	s_and_b64 s[36:37], s[40:41], exec
	s_andn2_b64 s[30:31], s[30:31], exec
	s_and_b64 s[4:5], s[4:5], exec
	v_lshl_add_u64 v[14:15], v[14:15], 0, 1
	v_lshl_add_u64 v[16:17], v[16:17], 0, 1
	s_andn2_b64 s[6:7], s[6:7], exec
	s_or_b64 s[34:35], s[34:35], s[36:37]
	s_or_b64 s[30:31], s[30:31], s[4:5]
                                        ; implicit-def: $sgpr36_sgpr37
	s_branch .LBB1001_336
.LBB1001_339:
	s_or_b64 exec, exec, s[26:27]
	s_and_b64 s[4:5], s[28:29], exec
.LBB1001_340:
	s_or_b64 exec, exec, s[24:25]
	s_xor_b64 s[4:5], s[4:5], -1
	s_and_b64 s[6:7], s[4:5], exec
.LBB1001_341:
	s_or_b64 exec, exec, s[20:21]
	s_orn2_b64 s[20:21], s[6:7], exec
.LBB1001_342:
	s_or_b64 exec, exec, s[22:23]
	v_cndmask_b32_e64 v12, v23, v66, s[20:21]
	v_cndmask_b32_e64 v14, v98, v97, s[20:21]
	v_add_u32_e32 v15, 1, v12
	v_add_u32_e32 v12, -1, v14
	v_min_u32_e32 v12, v15, v12
	v_lshl_add_u64 v[12:13], v[12:13], 3, v[54:55]
	flat_load_dwordx2 v[12:13], v[12:13]
	v_cndmask_b32_e64 v18, v15, v23, s[20:21]
	v_cndmask_b32_e64 v19, v66, v15, s[20:21]
	v_cmp_lt_u32_e64 s[4:5], v18, v98
	s_waitcnt vmcnt(0) lgkmcnt(0)
	v_cndmask_b32_e64 v23, v13, v20, s[20:21]
	v_cndmask_b32_e64 v69, v12, v21, s[20:21]
	;; [unrolled: 1-line block ×4, first 2 shown]
	s_and_saveexec_b64 s[22:23], s[4:5]
	s_cbranch_execz .LBB1001_350
; %bb.343:
	v_cmp_lt_u32_e64 s[18:19], v19, v97
	s_xor_b64 s[4:5], s[0:1], -1
	s_and_b64 s[4:5], s[18:19], s[4:5]
	s_and_saveexec_b64 s[24:25], s[4:5]
	s_cbranch_execz .LBB1001_349
; %bb.344:
	v_mad_u64_u32 v[12:13], s[4:5], v71, v6, v[8:9]
	v_mul_lo_u32 v14, v71, v7
	v_mul_lo_u32 v15, v70, v6
	v_add3_u32 v13, v15, v13, v14
	v_mad_u64_u32 v[14:15], s[4:5], v69, v6, v[8:9]
	v_mul_lo_u32 v16, v69, v7
	v_mul_lo_u32 v17, v23, v6
	v_add3_u32 v15, v17, v15, v16
	s_mov_b64 s[26:27], 0
	v_mov_b64_e32 v[16:17], v[6:7]
                                        ; implicit-def: $sgpr28_sgpr29
                                        ; implicit-def: $sgpr30_sgpr31
                                        ; implicit-def: $sgpr6_sgpr7
                                        ; implicit-def: $sgpr34_sgpr35
                                        ; implicit-def: $sgpr36_sgpr37
	s_branch .LBB1001_346
.LBB1001_345:                           ;   in Loop: Header=BB1001_346 Depth=1
	s_or_b64 exec, exec, s[38:39]
	s_and_b64 s[4:5], exec, s[30:31]
	s_or_b64 s[26:27], s[4:5], s[26:27]
	s_andn2_b64 s[4:5], s[36:37], exec
	s_and_b64 s[36:37], s[34:35], exec
	s_or_b64 s[36:37], s[4:5], s[36:37]
	s_andn2_b64 s[4:5], s[28:29], exec
	s_and_b64 s[28:29], s[6:7], exec
	s_or_b64 s[28:29], s[4:5], s[28:29]
	s_andn2_b64 exec, exec, s[26:27]
	s_cbranch_execz .LBB1001_348
.LBB1001_346:                           ; =>This Inner Loop Header: Depth=1
	flat_load_ubyte v66, v[14:15]
	flat_load_ubyte v67, v[12:13]
	s_andn2_b64 s[38:39], s[6:7], exec
	s_andn2_b64 s[34:35], s[34:35], exec
	s_or_b64 s[30:31], s[30:31], exec
	s_waitcnt vmcnt(0) lgkmcnt(0)
	v_cmp_eq_u16_e64 s[4:5], 0, v66
	v_cmp_ne_u16_e64 s[6:7], 0, v67
	s_or_b64 s[42:43], s[4:5], s[6:7]
	s_and_b64 s[40:41], s[4:5], s[6:7]
	s_xor_b64 s[4:5], s[4:5], s[6:7]
	s_and_b64 s[6:7], s[42:43], s[36:37]
	s_or_b64 s[40:41], s[40:41], s[6:7]
	s_and_b64 s[6:7], s[40:41], exec
	s_or_b64 s[6:7], s[38:39], s[6:7]
	s_and_saveexec_b64 s[38:39], s[4:5]
	s_cbranch_execz .LBB1001_345
; %bb.347:                              ;   in Loop: Header=BB1001_346 Depth=1
	v_lshl_add_u64 v[16:17], v[16:17], 0, -1
	v_cmp_eq_u64_e64 s[4:5], 0, v[16:17]
	s_andn2_b64 s[34:35], s[34:35], exec
	s_and_b64 s[36:37], s[40:41], exec
	s_andn2_b64 s[30:31], s[30:31], exec
	s_and_b64 s[4:5], s[4:5], exec
	v_lshl_add_u64 v[12:13], v[12:13], 0, 1
	v_lshl_add_u64 v[14:15], v[14:15], 0, 1
	s_or_b64 s[34:35], s[34:35], s[36:37]
	s_andn2_b64 s[6:7], s[6:7], exec
	s_or_b64 s[30:31], s[30:31], s[4:5]
                                        ; implicit-def: $sgpr36_sgpr37
	s_branch .LBB1001_345
.LBB1001_348:
	s_or_b64 exec, exec, s[26:27]
	s_xor_b64 s[4:5], s[28:29], -1
	s_andn2_b64 s[6:7], s[18:19], exec
	s_and_b64 s[4:5], s[4:5], exec
	s_or_b64 s[18:19], s[6:7], s[4:5]
.LBB1001_349:
	s_or_b64 exec, exec, s[24:25]
	s_orn2_b64 s[18:19], s[18:19], exec
.LBB1001_350:
	s_or_b64 exec, exec, s[22:23]
	v_cndmask_b32_e64 v12, v18, v19, s[18:19]
	v_cndmask_b32_e64 v13, v98, v97, s[18:19]
	v_add_u32_e32 v16, 1, v12
	v_add_u32_e32 v12, -1, v13
	v_min_u32_e32 v12, v16, v12
	v_mov_b32_e32 v13, 0
	v_lshl_add_u64 v[14:15], v[12:13], 3, v[54:55]
	flat_load_dwordx2 v[14:15], v[14:15]
	v_cndmask_b32_e64 v66, v16, v18, s[18:19]
	s_mov_b64 s[22:23], -1
	v_cndmask_b32_e64 v67, v19, v16, s[18:19]
	v_cmp_lt_u32_e64 s[4:5], v66, v98
	s_mov_b64 s[24:25], -1
	s_waitcnt vmcnt(0) lgkmcnt(0)
	v_cndmask_b32_e64 v80, v15, v23, s[18:19]
	v_cndmask_b32_e64 v81, v14, v69, s[18:19]
	v_cndmask_b32_e64 v82, v70, v15, s[18:19]
	v_cndmask_b32_e64 v83, v71, v14, s[18:19]
	s_and_saveexec_b64 s[26:27], s[4:5]
	s_cbranch_execz .LBB1001_358
; %bb.351:
	v_cmp_lt_u32_e64 s[24:25], v67, v97
	s_xor_b64 s[4:5], s[0:1], -1
	s_and_b64 s[4:5], s[24:25], s[4:5]
	s_and_saveexec_b64 s[28:29], s[4:5]
	s_cbranch_execz .LBB1001_357
; %bb.352:
	v_mad_u64_u32 v[14:15], s[4:5], v83, v6, v[8:9]
	v_mul_lo_u32 v12, v83, v7
	v_mul_lo_u32 v16, v82, v6
	v_add3_u32 v15, v16, v15, v12
	v_mad_u64_u32 v[16:17], s[4:5], v81, v6, v[8:9]
	v_mul_lo_u32 v12, v81, v7
	v_mul_lo_u32 v18, v80, v6
	v_add3_u32 v17, v18, v17, v12
	s_mov_b64 s[30:31], 0
	v_mov_b64_e32 v[18:19], v[6:7]
                                        ; implicit-def: $sgpr34_sgpr35
                                        ; implicit-def: $sgpr36_sgpr37
                                        ; implicit-def: $sgpr6_sgpr7
                                        ; implicit-def: $sgpr38_sgpr39
                                        ; implicit-def: $sgpr40_sgpr41
	s_branch .LBB1001_354
.LBB1001_353:                           ;   in Loop: Header=BB1001_354 Depth=1
	s_or_b64 exec, exec, s[42:43]
	s_and_b64 s[4:5], exec, s[36:37]
	s_or_b64 s[30:31], s[4:5], s[30:31]
	s_andn2_b64 s[4:5], s[40:41], exec
	s_and_b64 s[40:41], s[38:39], exec
	s_or_b64 s[40:41], s[4:5], s[40:41]
	s_andn2_b64 s[4:5], s[34:35], exec
	s_and_b64 s[34:35], s[6:7], exec
	s_or_b64 s[34:35], s[4:5], s[34:35]
	s_andn2_b64 exec, exec, s[30:31]
	s_cbranch_execz .LBB1001_356
.LBB1001_354:                           ; =>This Inner Loop Header: Depth=1
	flat_load_ubyte v12, v[16:17]
	flat_load_ubyte v84, v[14:15]
	s_andn2_b64 s[42:43], s[6:7], exec
	s_andn2_b64 s[38:39], s[38:39], exec
	s_or_b64 s[36:37], s[36:37], exec
	s_waitcnt vmcnt(0) lgkmcnt(0)
	v_cmp_eq_u16_e64 s[4:5], 0, v12
	v_cmp_ne_u16_e64 s[6:7], 0, v84
	s_or_b64 s[46:47], s[4:5], s[6:7]
	s_and_b64 s[44:45], s[4:5], s[6:7]
	s_xor_b64 s[4:5], s[4:5], s[6:7]
	s_and_b64 s[6:7], s[46:47], s[40:41]
	s_or_b64 s[44:45], s[44:45], s[6:7]
	s_and_b64 s[6:7], s[44:45], exec
	s_or_b64 s[6:7], s[42:43], s[6:7]
	s_and_saveexec_b64 s[42:43], s[4:5]
	s_cbranch_execz .LBB1001_353
; %bb.355:                              ;   in Loop: Header=BB1001_354 Depth=1
	v_lshl_add_u64 v[18:19], v[18:19], 0, -1
	v_cmp_eq_u64_e64 s[4:5], 0, v[18:19]
	s_andn2_b64 s[38:39], s[38:39], exec
	s_and_b64 s[40:41], s[44:45], exec
	s_andn2_b64 s[36:37], s[36:37], exec
	s_and_b64 s[4:5], s[4:5], exec
	v_lshl_add_u64 v[14:15], v[14:15], 0, 1
	v_lshl_add_u64 v[16:17], v[16:17], 0, 1
	s_or_b64 s[38:39], s[38:39], s[40:41]
	s_andn2_b64 s[6:7], s[6:7], exec
	s_or_b64 s[36:37], s[36:37], s[4:5]
                                        ; implicit-def: $sgpr40_sgpr41
	s_branch .LBB1001_353
.LBB1001_356:
	s_or_b64 exec, exec, s[30:31]
	s_xor_b64 s[4:5], s[34:35], -1
	s_andn2_b64 s[6:7], s[24:25], exec
	s_and_b64 s[4:5], s[4:5], exec
	s_or_b64 s[24:25], s[6:7], s[4:5]
.LBB1001_357:
	s_or_b64 exec, exec, s[28:29]
	s_orn2_b64 s[24:25], s[24:25], exec
.LBB1001_358:
	s_or_b64 exec, exec, s[26:27]
	v_cndmask_b32_e64 v12, v66, v67, s[24:25]
	v_cndmask_b32_e64 v14, v98, v97, s[24:25]
	v_add_u32_e32 v15, 1, v12
	v_add_u32_e32 v12, -1, v14
	v_min_u32_e32 v12, v15, v12
	v_lshl_add_u64 v[12:13], v[12:13], 3, v[54:55]
	flat_load_dwordx2 v[12:13], v[12:13]
	v_cndmask_b32_e64 v18, v15, v66, s[24:25]
	v_cndmask_b32_e64 v19, v67, v15, s[24:25]
	v_cmp_lt_u32_e64 s[4:5], v18, v98
	s_waitcnt vmcnt(0) lgkmcnt(0)
	v_cndmask_b32_e64 v84, v13, v80, s[24:25]
	v_cndmask_b32_e64 v85, v12, v81, s[24:25]
	;; [unrolled: 1-line block ×4, first 2 shown]
	s_and_saveexec_b64 s[26:27], s[4:5]
	s_cbranch_execz .LBB1001_366
; %bb.359:
	v_cmp_lt_u32_e64 s[22:23], v19, v97
	s_xor_b64 s[4:5], s[0:1], -1
	s_and_b64 s[4:5], s[22:23], s[4:5]
	s_and_saveexec_b64 s[28:29], s[4:5]
	s_cbranch_execz .LBB1001_365
; %bb.360:
	v_mad_u64_u32 v[12:13], s[4:5], v87, v6, v[8:9]
	v_mul_lo_u32 v14, v87, v7
	v_mul_lo_u32 v15, v86, v6
	v_add3_u32 v13, v15, v13, v14
	v_mad_u64_u32 v[14:15], s[4:5], v85, v6, v[8:9]
	v_mul_lo_u32 v16, v85, v7
	v_mul_lo_u32 v17, v84, v6
	v_add3_u32 v15, v17, v15, v16
	s_mov_b64 s[30:31], 0
	v_mov_b64_e32 v[16:17], v[6:7]
                                        ; implicit-def: $sgpr34_sgpr35
                                        ; implicit-def: $sgpr36_sgpr37
                                        ; implicit-def: $sgpr6_sgpr7
                                        ; implicit-def: $sgpr38_sgpr39
                                        ; implicit-def: $sgpr40_sgpr41
	s_branch .LBB1001_362
.LBB1001_361:                           ;   in Loop: Header=BB1001_362 Depth=1
	s_or_b64 exec, exec, s[42:43]
	s_and_b64 s[4:5], exec, s[36:37]
	s_or_b64 s[30:31], s[4:5], s[30:31]
	s_andn2_b64 s[4:5], s[40:41], exec
	s_and_b64 s[40:41], s[38:39], exec
	s_or_b64 s[40:41], s[4:5], s[40:41]
	s_andn2_b64 s[4:5], s[34:35], exec
	s_and_b64 s[34:35], s[6:7], exec
	s_or_b64 s[34:35], s[4:5], s[34:35]
	s_andn2_b64 exec, exec, s[30:31]
	s_cbranch_execz .LBB1001_364
.LBB1001_362:                           ; =>This Inner Loop Header: Depth=1
	flat_load_ubyte v66, v[14:15]
	flat_load_ubyte v67, v[12:13]
	s_andn2_b64 s[42:43], s[6:7], exec
	s_andn2_b64 s[38:39], s[38:39], exec
	s_or_b64 s[36:37], s[36:37], exec
	s_waitcnt vmcnt(0) lgkmcnt(0)
	v_cmp_eq_u16_e64 s[4:5], 0, v66
	v_cmp_ne_u16_e64 s[6:7], 0, v67
	s_or_b64 s[46:47], s[4:5], s[6:7]
	s_and_b64 s[44:45], s[4:5], s[6:7]
	s_xor_b64 s[4:5], s[4:5], s[6:7]
	s_and_b64 s[6:7], s[46:47], s[40:41]
	s_or_b64 s[44:45], s[44:45], s[6:7]
	s_and_b64 s[6:7], s[44:45], exec
	s_or_b64 s[6:7], s[42:43], s[6:7]
	s_and_saveexec_b64 s[42:43], s[4:5]
	s_cbranch_execz .LBB1001_361
; %bb.363:                              ;   in Loop: Header=BB1001_362 Depth=1
	v_lshl_add_u64 v[16:17], v[16:17], 0, -1
	v_cmp_eq_u64_e64 s[4:5], 0, v[16:17]
	s_andn2_b64 s[38:39], s[38:39], exec
	s_and_b64 s[40:41], s[44:45], exec
	s_andn2_b64 s[36:37], s[36:37], exec
	s_and_b64 s[4:5], s[4:5], exec
	v_lshl_add_u64 v[12:13], v[12:13], 0, 1
	v_lshl_add_u64 v[14:15], v[14:15], 0, 1
	s_or_b64 s[38:39], s[38:39], s[40:41]
	s_andn2_b64 s[6:7], s[6:7], exec
	s_or_b64 s[36:37], s[36:37], s[4:5]
                                        ; implicit-def: $sgpr40_sgpr41
	s_branch .LBB1001_361
.LBB1001_364:
	s_or_b64 exec, exec, s[30:31]
	s_xor_b64 s[4:5], s[34:35], -1
	s_andn2_b64 s[6:7], s[22:23], exec
	s_and_b64 s[4:5], s[4:5], exec
	s_or_b64 s[22:23], s[6:7], s[4:5]
.LBB1001_365:
	s_or_b64 exec, exec, s[28:29]
	s_orn2_b64 s[22:23], s[22:23], exec
.LBB1001_366:
	s_or_b64 exec, exec, s[26:27]
	v_cndmask_b32_e64 v12, v18, v19, s[22:23]
	v_cndmask_b32_e64 v13, v98, v97, s[22:23]
	v_add_u32_e32 v16, 1, v12
	v_add_u32_e32 v12, -1, v13
	v_min_u32_e32 v12, v16, v12
	v_mov_b32_e32 v13, 0
	v_lshl_add_u64 v[14:15], v[12:13], 3, v[54:55]
	flat_load_dwordx2 v[14:15], v[14:15]
	v_cndmask_b32_e64 v66, v16, v18, s[22:23]
	s_mov_b64 s[26:27], -1
	v_cndmask_b32_e64 v67, v19, v16, s[22:23]
	v_cmp_lt_u32_e64 s[4:5], v66, v98
	s_mov_b64 s[28:29], -1
	s_waitcnt vmcnt(0) lgkmcnt(0)
	v_cndmask_b32_e64 v99, v15, v84, s[22:23]
	v_cndmask_b32_e64 v100, v14, v85, s[22:23]
	;; [unrolled: 1-line block ×4, first 2 shown]
	s_and_saveexec_b64 s[30:31], s[4:5]
	s_cbranch_execz .LBB1001_374
; %bb.367:
	v_cmp_lt_u32_e64 s[28:29], v67, v97
	s_xor_b64 s[4:5], s[0:1], -1
	s_and_b64 s[4:5], s[28:29], s[4:5]
	s_and_saveexec_b64 s[34:35], s[4:5]
	s_cbranch_execz .LBB1001_373
; %bb.368:
	v_mad_u64_u32 v[14:15], s[4:5], v102, v6, v[8:9]
	v_mul_lo_u32 v12, v102, v7
	v_mul_lo_u32 v16, v101, v6
	v_add3_u32 v15, v16, v15, v12
	v_mad_u64_u32 v[16:17], s[4:5], v100, v6, v[8:9]
	v_mul_lo_u32 v12, v100, v7
	v_mul_lo_u32 v18, v99, v6
	v_add3_u32 v17, v18, v17, v12
	s_mov_b64 s[36:37], 0
	v_mov_b64_e32 v[18:19], v[6:7]
                                        ; implicit-def: $sgpr38_sgpr39
                                        ; implicit-def: $sgpr40_sgpr41
                                        ; implicit-def: $sgpr6_sgpr7
                                        ; implicit-def: $sgpr42_sgpr43
                                        ; implicit-def: $sgpr44_sgpr45
	s_branch .LBB1001_370
.LBB1001_369:                           ;   in Loop: Header=BB1001_370 Depth=1
	s_or_b64 exec, exec, s[46:47]
	s_and_b64 s[4:5], exec, s[40:41]
	s_or_b64 s[36:37], s[4:5], s[36:37]
	s_andn2_b64 s[4:5], s[44:45], exec
	s_and_b64 s[44:45], s[42:43], exec
	s_or_b64 s[44:45], s[4:5], s[44:45]
	s_andn2_b64 s[4:5], s[38:39], exec
	s_and_b64 s[38:39], s[6:7], exec
	s_or_b64 s[38:39], s[4:5], s[38:39]
	s_andn2_b64 exec, exec, s[36:37]
	s_cbranch_execz .LBB1001_372
.LBB1001_370:                           ; =>This Inner Loop Header: Depth=1
	flat_load_ubyte v12, v[16:17]
	flat_load_ubyte v103, v[14:15]
	s_andn2_b64 s[46:47], s[6:7], exec
	s_andn2_b64 s[42:43], s[42:43], exec
	s_or_b64 s[40:41], s[40:41], exec
	s_waitcnt vmcnt(0) lgkmcnt(0)
	v_cmp_eq_u16_e64 s[4:5], 0, v12
	v_cmp_ne_u16_e64 s[6:7], 0, v103
	s_or_b64 s[50:51], s[4:5], s[6:7]
	s_and_b64 s[48:49], s[4:5], s[6:7]
	s_xor_b64 s[4:5], s[4:5], s[6:7]
	s_and_b64 s[6:7], s[50:51], s[44:45]
	s_or_b64 s[48:49], s[48:49], s[6:7]
	s_and_b64 s[6:7], s[48:49], exec
	s_or_b64 s[6:7], s[46:47], s[6:7]
	s_and_saveexec_b64 s[46:47], s[4:5]
	s_cbranch_execz .LBB1001_369
; %bb.371:                              ;   in Loop: Header=BB1001_370 Depth=1
	v_lshl_add_u64 v[18:19], v[18:19], 0, -1
	v_cmp_eq_u64_e64 s[4:5], 0, v[18:19]
	s_andn2_b64 s[42:43], s[42:43], exec
	s_and_b64 s[44:45], s[48:49], exec
	s_andn2_b64 s[40:41], s[40:41], exec
	s_and_b64 s[4:5], s[4:5], exec
	v_lshl_add_u64 v[14:15], v[14:15], 0, 1
	v_lshl_add_u64 v[16:17], v[16:17], 0, 1
	s_or_b64 s[42:43], s[42:43], s[44:45]
	s_andn2_b64 s[6:7], s[6:7], exec
	s_or_b64 s[40:41], s[40:41], s[4:5]
                                        ; implicit-def: $sgpr44_sgpr45
	s_branch .LBB1001_369
.LBB1001_372:
	s_or_b64 exec, exec, s[36:37]
	s_xor_b64 s[4:5], s[38:39], -1
	s_andn2_b64 s[6:7], s[28:29], exec
	s_and_b64 s[4:5], s[4:5], exec
	s_or_b64 s[28:29], s[6:7], s[4:5]
.LBB1001_373:
	s_or_b64 exec, exec, s[34:35]
	s_orn2_b64 s[28:29], s[28:29], exec
.LBB1001_374:
	s_or_b64 exec, exec, s[30:31]
	v_cndmask_b32_e64 v12, v66, v67, s[28:29]
	v_cndmask_b32_e64 v14, v98, v97, s[28:29]
	v_add_u32_e32 v15, 1, v12
	v_add_u32_e32 v12, -1, v14
	v_min_u32_e32 v12, v15, v12
	v_lshl_add_u64 v[12:13], v[12:13], 3, v[54:55]
	flat_load_dwordx2 v[12:13], v[12:13]
	v_cndmask_b32_e64 v114, v15, v66, s[28:29]
	v_cndmask_b32_e64 v103, v67, v15, s[28:29]
	v_cmp_lt_u32_e64 s[4:5], v114, v98
	s_waitcnt vmcnt(0) lgkmcnt(0)
	v_cndmask_b32_e64 v112, v13, v99, s[28:29]
	v_cndmask_b32_e64 v113, v12, v100, s[28:29]
	;; [unrolled: 1-line block ×4, first 2 shown]
	s_and_saveexec_b64 s[30:31], s[4:5]
	s_cbranch_execz .LBB1001_382
; %bb.375:
	v_cmp_lt_u32_e64 s[26:27], v103, v97
	s_xor_b64 s[4:5], s[0:1], -1
	s_and_b64 s[4:5], s[26:27], s[4:5]
	s_and_saveexec_b64 s[34:35], s[4:5]
	s_cbranch_execz .LBB1001_381
; %bb.376:
	v_mad_u64_u32 v[12:13], s[4:5], v116, v6, v[8:9]
	v_mul_lo_u32 v14, v116, v7
	v_mul_lo_u32 v15, v115, v6
	v_add3_u32 v13, v15, v13, v14
	v_mad_u64_u32 v[14:15], s[4:5], v113, v6, v[8:9]
	v_mul_lo_u32 v16, v113, v7
	v_mul_lo_u32 v17, v112, v6
	v_add3_u32 v15, v17, v15, v16
	s_mov_b64 s[36:37], 0
	v_mov_b64_e32 v[16:17], v[6:7]
                                        ; implicit-def: $sgpr38_sgpr39
                                        ; implicit-def: $sgpr40_sgpr41
                                        ; implicit-def: $sgpr6_sgpr7
                                        ; implicit-def: $sgpr42_sgpr43
                                        ; implicit-def: $sgpr44_sgpr45
	s_branch .LBB1001_378
.LBB1001_377:                           ;   in Loop: Header=BB1001_378 Depth=1
	s_or_b64 exec, exec, s[46:47]
	s_and_b64 s[4:5], exec, s[40:41]
	s_or_b64 s[36:37], s[4:5], s[36:37]
	s_andn2_b64 s[4:5], s[44:45], exec
	s_and_b64 s[44:45], s[42:43], exec
	s_or_b64 s[44:45], s[4:5], s[44:45]
	s_andn2_b64 s[4:5], s[38:39], exec
	s_and_b64 s[38:39], s[6:7], exec
	s_or_b64 s[38:39], s[4:5], s[38:39]
	s_andn2_b64 exec, exec, s[36:37]
	s_cbranch_execz .LBB1001_380
.LBB1001_378:                           ; =>This Inner Loop Header: Depth=1
	flat_load_ubyte v18, v[14:15]
	flat_load_ubyte v19, v[12:13]
	s_andn2_b64 s[46:47], s[6:7], exec
	s_andn2_b64 s[42:43], s[42:43], exec
	s_or_b64 s[40:41], s[40:41], exec
	s_waitcnt vmcnt(0) lgkmcnt(0)
	v_cmp_eq_u16_e64 s[4:5], 0, v18
	v_cmp_ne_u16_e64 s[6:7], 0, v19
	s_or_b64 s[50:51], s[4:5], s[6:7]
	s_and_b64 s[48:49], s[4:5], s[6:7]
	s_xor_b64 s[4:5], s[4:5], s[6:7]
	s_and_b64 s[6:7], s[50:51], s[44:45]
	s_or_b64 s[48:49], s[48:49], s[6:7]
	s_and_b64 s[6:7], s[48:49], exec
	s_or_b64 s[6:7], s[46:47], s[6:7]
	s_and_saveexec_b64 s[46:47], s[4:5]
	s_cbranch_execz .LBB1001_377
; %bb.379:                              ;   in Loop: Header=BB1001_378 Depth=1
	v_lshl_add_u64 v[16:17], v[16:17], 0, -1
	v_cmp_eq_u64_e64 s[4:5], 0, v[16:17]
	s_andn2_b64 s[42:43], s[42:43], exec
	s_and_b64 s[44:45], s[48:49], exec
	s_andn2_b64 s[40:41], s[40:41], exec
	s_and_b64 s[4:5], s[4:5], exec
	v_lshl_add_u64 v[12:13], v[12:13], 0, 1
	v_lshl_add_u64 v[14:15], v[14:15], 0, 1
	s_or_b64 s[42:43], s[42:43], s[44:45]
	s_andn2_b64 s[6:7], s[6:7], exec
	s_or_b64 s[40:41], s[40:41], s[4:5]
                                        ; implicit-def: $sgpr44_sgpr45
	s_branch .LBB1001_377
.LBB1001_380:
	s_or_b64 exec, exec, s[36:37]
	s_xor_b64 s[4:5], s[38:39], -1
	s_andn2_b64 s[6:7], s[26:27], exec
	s_and_b64 s[4:5], s[4:5], exec
	s_or_b64 s[26:27], s[6:7], s[4:5]
.LBB1001_381:
	s_or_b64 exec, exec, s[34:35]
	s_orn2_b64 s[26:27], s[26:27], exec
.LBB1001_382:
	s_or_b64 exec, exec, s[30:31]
	v_cndmask_b32_e64 v12, v114, v103, s[26:27]
	v_cndmask_b32_e64 v13, v98, v97, s[26:27]
	v_add_u32_e32 v117, 1, v12
	v_add_u32_e32 v12, -1, v13
	v_min_u32_e32 v12, v117, v12
	v_mov_b32_e32 v13, 0
	v_lshl_add_u64 v[12:13], v[12:13], 3, v[54:55]
	flat_load_dwordx2 v[66:67], v[12:13]
	v_cndmask_b32_e64 v17, v23, v70, s[18:19]
	v_cndmask_b32_e64 v23, v20, v22, s[20:21]
	;; [unrolled: 1-line block ×15, first 2 shown]
	v_cmp_lt_u32_e64 s[4:5], v68, v98
	s_waitcnt vmcnt(0) lgkmcnt(0)
	v_cndmask_b32_e64 v3, v115, v67, s[26:27]
	v_cndmask_b32_e64 v2, v116, v66, s[26:27]
	s_and_saveexec_b64 s[16:17], s[4:5]
	s_cbranch_execz .LBB1001_390
; %bb.383:
	v_cndmask_b32_e64 v81, v66, v113, s[26:27]
	v_cndmask_b32_e64 v66, v103, v117, s[26:27]
	v_cmp_ge_u32_e64 s[4:5], v66, v97
	v_cndmask_b32_e64 v80, v67, v112, s[26:27]
	s_or_b64 s[6:7], s[4:5], s[0:1]
	v_cndmask_b32_e64 v67, v3, v80, s[4:5]
	s_xor_b64 s[6:7], s[6:7], -1
	v_cndmask_b32_e64 v66, v2, v81, s[4:5]
	s_and_saveexec_b64 s[18:19], s[6:7]
	s_cbranch_execz .LBB1001_389
; %bb.384:
	v_mad_u64_u32 v[66:67], s[4:5], v2, v6, v[8:9]
	v_mul_lo_u32 v68, v2, v7
	v_mul_lo_u32 v69, v3, v6
	v_add3_u32 v67, v69, v67, v68
	v_mad_u64_u32 v[68:69], s[4:5], v81, v6, v[8:9]
	v_mul_lo_u32 v70, v81, v7
	v_mul_lo_u32 v71, v80, v6
	v_add3_u32 v69, v71, v69, v70
	s_mov_b64 s[20:21], 0
	v_mov_b64_e32 v[70:71], v[6:7]
                                        ; implicit-def: $sgpr22_sgpr23
                                        ; implicit-def: $sgpr24_sgpr25
                                        ; implicit-def: $sgpr6_sgpr7
                                        ; implicit-def: $sgpr26_sgpr27
                                        ; implicit-def: $sgpr28_sgpr29
	s_branch .LBB1001_386
.LBB1001_385:                           ;   in Loop: Header=BB1001_386 Depth=1
	s_or_b64 exec, exec, s[30:31]
	s_and_b64 s[4:5], exec, s[24:25]
	s_or_b64 s[20:21], s[4:5], s[20:21]
	s_andn2_b64 s[4:5], s[28:29], exec
	s_and_b64 s[28:29], s[26:27], exec
	s_or_b64 s[28:29], s[4:5], s[28:29]
	s_andn2_b64 s[4:5], s[22:23], exec
	s_and_b64 s[22:23], s[6:7], exec
	s_or_b64 s[22:23], s[4:5], s[22:23]
	s_andn2_b64 exec, exec, s[20:21]
	s_cbranch_execz .LBB1001_388
.LBB1001_386:                           ; =>This Inner Loop Header: Depth=1
	flat_load_ubyte v82, v[68:69]
	flat_load_ubyte v83, v[66:67]
	s_andn2_b64 s[30:31], s[6:7], exec
	s_andn2_b64 s[26:27], s[26:27], exec
	s_or_b64 s[24:25], s[24:25], exec
	s_waitcnt vmcnt(0) lgkmcnt(0)
	v_cmp_eq_u16_e64 s[4:5], 0, v82
	v_cmp_ne_u16_e64 s[6:7], 0, v83
	s_or_b64 s[36:37], s[4:5], s[6:7]
	s_and_b64 s[34:35], s[4:5], s[6:7]
	s_xor_b64 s[4:5], s[4:5], s[6:7]
	s_and_b64 s[6:7], s[36:37], s[28:29]
	s_or_b64 s[34:35], s[34:35], s[6:7]
	s_and_b64 s[6:7], s[34:35], exec
	s_or_b64 s[6:7], s[30:31], s[6:7]
	s_and_saveexec_b64 s[30:31], s[4:5]
	s_cbranch_execz .LBB1001_385
; %bb.387:                              ;   in Loop: Header=BB1001_386 Depth=1
	v_lshl_add_u64 v[70:71], v[70:71], 0, -1
	v_cmp_eq_u64_e64 s[4:5], 0, v[70:71]
	s_andn2_b64 s[26:27], s[26:27], exec
	s_and_b64 s[28:29], s[34:35], exec
	s_andn2_b64 s[24:25], s[24:25], exec
	s_and_b64 s[4:5], s[4:5], exec
	v_lshl_add_u64 v[66:67], v[66:67], 0, 1
	v_lshl_add_u64 v[68:69], v[68:69], 0, 1
	s_or_b64 s[26:27], s[26:27], s[28:29]
	s_andn2_b64 s[6:7], s[6:7], exec
	s_or_b64 s[24:25], s[24:25], s[4:5]
                                        ; implicit-def: $sgpr28_sgpr29
	s_branch .LBB1001_385
.LBB1001_388:
	s_or_b64 exec, exec, s[20:21]
	v_cndmask_b32_e64 v67, v3, v80, s[22:23]
	v_cndmask_b32_e64 v66, v2, v81, s[22:23]
.LBB1001_389:
	s_or_b64 exec, exec, s[18:19]
	v_mov_b64_e32 v[2:3], v[66:67]
.LBB1001_390:
	s_or_b64 exec, exec, s[16:17]
.LBB1001_391:
	s_or_b64 exec, exec, s[14:15]
	v_and_b32_e32 v99, 0x3c0, v96
	v_or_b32_e32 v66, 32, v99
	v_min_u32_e32 v97, v31, v66
	v_add_u32_e32 v66, 32, v97
	v_min_u32_e32 v98, v31, v66
	v_and_b32_e32 v66, 56, v96
	v_min_u32_e32 v100, v31, v66
	v_sub_u32_e32 v66, v97, v99
	v_sub_u32_e32 v67, v98, v97
	v_sub_u32_e64 v101, v100, v67 clamp
	v_min_u32_e32 v102, v100, v66
	v_cmp_lt_u32_e64 s[4:5], v101, v102
	; wave barrier
	flat_store_dwordx4 v[64:65], v[20:23]
	flat_store_dwordx4 v[64:65], v[16:19] offset:16
	flat_store_dwordx4 v[64:65], v[12:15] offset:32
	;; [unrolled: 1-line block ×3, first 2 shown]
	; wave barrier
	s_and_saveexec_b64 s[14:15], s[4:5]
	s_cbranch_execz .LBB1001_401
; %bb.392:
	v_lshlrev_b32_e32 v66, 3, v99
	v_mov_b32_e32 v67, 0
	v_lshl_add_u64 v[68:69], v[54:55], 0, v[66:67]
	v_lshlrev_b32_e32 v66, 3, v97
	v_lshl_add_u64 v[70:71], v[54:55], 0, v[66:67]
	s_mov_b64 s[16:17], 0
	s_branch .LBB1001_395
.LBB1001_393:                           ;   in Loop: Header=BB1001_395 Depth=1
	s_or_b64 exec, exec, s[20:21]
	s_and_b64 s[4:5], s[22:23], exec
.LBB1001_394:                           ;   in Loop: Header=BB1001_395 Depth=1
	s_or_b64 exec, exec, s[18:19]
	v_add_u32_e32 v66, 1, v80
	v_cndmask_b32_e64 v102, v102, v80, s[4:5]
	v_cndmask_b32_e64 v101, v66, v101, s[4:5]
	v_cmp_ge_u32_e64 s[4:5], v101, v102
	s_or_b64 s[16:17], s[4:5], s[16:17]
	s_andn2_b64 exec, exec, s[16:17]
	s_cbranch_execz .LBB1001_400
.LBB1001_395:                           ; =>This Loop Header: Depth=1
                                        ;     Child Loop BB1001_398 Depth 2
	v_add_u32_e32 v66, v102, v101
	v_lshrrev_b32_e32 v80, 1, v66
	s_mov_b64 s[4:5], 0
	s_and_saveexec_b64 s[18:19], vcc
	s_cbranch_execz .LBB1001_394
; %bb.396:                              ;   in Loop: Header=BB1001_395 Depth=1
	v_mov_b32_e32 v81, v67
	v_xad_u32 v66, v80, -1, v100
	v_lshl_add_u64 v[82:83], v[80:81], 3, v[68:69]
	v_lshl_add_u64 v[84:85], v[66:67], 3, v[70:71]
	flat_load_dwordx2 v[82:83], v[82:83]
	s_mov_b64 s[20:21], 0
	flat_load_dwordx2 v[84:85], v[84:85]
                                        ; implicit-def: $sgpr22_sgpr23
                                        ; implicit-def: $sgpr24_sgpr25
                                        ; implicit-def: $sgpr26_sgpr27
                                        ; implicit-def: $sgpr6_sgpr7
                                        ; implicit-def: $sgpr28_sgpr29
	s_waitcnt vmcnt(0) lgkmcnt(0)
	v_mul_lo_u32 v66, v82, v7
	v_mul_lo_u32 v81, v83, v6
	v_mad_u64_u32 v[82:83], s[4:5], v82, v6, v[8:9]
	v_mul_lo_u32 v86, v84, v7
	v_mul_lo_u32 v87, v85, v6
	v_mad_u64_u32 v[84:85], s[4:5], v84, v6, v[8:9]
	v_add3_u32 v83, v81, v83, v66
	v_add3_u32 v85, v87, v85, v86
	v_mov_b64_e32 v[86:87], v[6:7]
	s_branch .LBB1001_398
.LBB1001_397:                           ;   in Loop: Header=BB1001_398 Depth=2
	s_or_b64 exec, exec, s[30:31]
	s_and_b64 s[4:5], exec, s[24:25]
	s_or_b64 s[20:21], s[4:5], s[20:21]
	s_andn2_b64 s[4:5], s[28:29], exec
	s_and_b64 s[28:29], s[26:27], exec
	s_or_b64 s[28:29], s[4:5], s[28:29]
	s_andn2_b64 s[4:5], s[22:23], exec
	s_and_b64 s[22:23], s[6:7], exec
	s_or_b64 s[22:23], s[4:5], s[22:23]
	s_andn2_b64 exec, exec, s[20:21]
	s_cbranch_execz .LBB1001_393
.LBB1001_398:                           ;   Parent Loop BB1001_395 Depth=1
                                        ; =>  This Inner Loop Header: Depth=2
	flat_load_ubyte v66, v[84:85]
	flat_load_ubyte v81, v[82:83]
	s_andn2_b64 s[30:31], s[6:7], exec
	s_andn2_b64 s[26:27], s[26:27], exec
	s_or_b64 s[24:25], s[24:25], exec
	s_waitcnt vmcnt(0) lgkmcnt(0)
	v_cmp_eq_u16_e64 s[4:5], 0, v66
	v_cmp_ne_u16_e64 s[6:7], 0, v81
	s_or_b64 s[36:37], s[4:5], s[6:7]
	s_and_b64 s[34:35], s[4:5], s[6:7]
	s_xor_b64 s[4:5], s[4:5], s[6:7]
	s_and_b64 s[6:7], s[36:37], s[28:29]
	s_or_b64 s[34:35], s[34:35], s[6:7]
	s_and_b64 s[6:7], s[34:35], exec
	s_or_b64 s[6:7], s[30:31], s[6:7]
	s_and_saveexec_b64 s[30:31], s[4:5]
	s_cbranch_execz .LBB1001_397
; %bb.399:                              ;   in Loop: Header=BB1001_398 Depth=2
	v_lshl_add_u64 v[86:87], v[86:87], 0, -1
	v_cmp_eq_u64_e64 s[4:5], 0, v[86:87]
	s_andn2_b64 s[26:27], s[26:27], exec
	s_and_b64 s[28:29], s[34:35], exec
	s_andn2_b64 s[24:25], s[24:25], exec
	s_and_b64 s[4:5], s[4:5], exec
	v_lshl_add_u64 v[82:83], v[82:83], 0, 1
	v_lshl_add_u64 v[84:85], v[84:85], 0, 1
	s_andn2_b64 s[6:7], s[6:7], exec
	s_or_b64 s[26:27], s[26:27], s[28:29]
	s_or_b64 s[24:25], s[24:25], s[4:5]
                                        ; implicit-def: $sgpr28_sgpr29
	s_branch .LBB1001_397
.LBB1001_400:
	s_or_b64 exec, exec, s[16:17]
.LBB1001_401:
	s_or_b64 exec, exec, s[14:15]
	v_add_u32_e32 v67, v97, v100
	v_add_u32_e32 v66, v101, v99
	v_sub_u32_e32 v68, v67, v101
	v_cmp_le_u32_e64 s[4:5], v66, v97
	v_cmp_le_u32_e64 s[6:7], v68, v98
	s_or_b64 s[4:5], s[4:5], s[6:7]
	s_and_saveexec_b64 s[14:15], s[4:5]
	s_cbranch_execz .LBB1001_473
; %bb.402:
	v_cmp_ge_u32_e64 s[4:5], v66, v97
	v_cmp_lt_u32_e64 s[6:7], v66, v97
                                        ; implicit-def: $vgpr0_vgpr1
	s_and_saveexec_b64 s[16:17], s[6:7]
	s_cbranch_execz .LBB1001_404
; %bb.403:
	v_mov_b32_e32 v67, 0
	v_lshl_add_u64 v[0:1], v[66:67], 3, v[54:55]
	flat_load_dwordx2 v[0:1], v[0:1]
.LBB1001_404:
	s_or_b64 exec, exec, s[16:17]
	v_cmp_ge_u32_e64 s[16:17], v68, v98
	v_cmp_lt_u32_e64 s[6:7], v68, v98
                                        ; implicit-def: $vgpr2_vgpr3
	s_and_saveexec_b64 s[18:19], s[6:7]
	s_cbranch_execz .LBB1001_406
; %bb.405:
	v_mov_b32_e32 v69, 0
	v_lshl_add_u64 v[2:3], v[68:69], 3, v[54:55]
	flat_load_dwordx2 v[2:3], v[2:3]
.LBB1001_406:
	s_or_b64 exec, exec, s[18:19]
	s_or_b64 s[4:5], s[4:5], s[16:17]
	s_xor_b64 s[4:5], s[4:5], -1
	s_and_saveexec_b64 s[18:19], s[4:5]
	s_cbranch_execz .LBB1001_414
; %bb.407:
	s_mov_b64 s[4:5], 0
	s_and_saveexec_b64 s[20:21], s[2:3]
	s_cbranch_execz .LBB1001_413
; %bb.408:
	s_waitcnt vmcnt(0) lgkmcnt(0)
	v_mad_u64_u32 v[12:13], s[4:5], v0, v6, v[8:9]
	v_mul_lo_u32 v14, v0, v7
	v_mul_lo_u32 v15, v1, v6
	v_add3_u32 v13, v15, v13, v14
	v_mad_u64_u32 v[14:15], s[4:5], v2, v6, v[8:9]
	v_mul_lo_u32 v16, v2, v7
	v_mul_lo_u32 v17, v3, v6
	v_add3_u32 v15, v17, v15, v16
	s_mov_b64 s[22:23], 0
	v_mov_b64_e32 v[16:17], v[6:7]
                                        ; implicit-def: $sgpr24_sgpr25
                                        ; implicit-def: $sgpr26_sgpr27
                                        ; implicit-def: $sgpr28_sgpr29
                                        ; implicit-def: $sgpr6_sgpr7
                                        ; implicit-def: $sgpr30_sgpr31
	s_branch .LBB1001_410
.LBB1001_409:                           ;   in Loop: Header=BB1001_410 Depth=1
	s_or_b64 exec, exec, s[34:35]
	s_and_b64 s[4:5], exec, s[26:27]
	s_or_b64 s[22:23], s[4:5], s[22:23]
	s_andn2_b64 s[4:5], s[30:31], exec
	s_and_b64 s[30:31], s[28:29], exec
	s_or_b64 s[30:31], s[4:5], s[30:31]
	s_andn2_b64 s[4:5], s[24:25], exec
	s_and_b64 s[24:25], s[6:7], exec
	s_or_b64 s[24:25], s[4:5], s[24:25]
	s_andn2_b64 exec, exec, s[22:23]
	s_cbranch_execz .LBB1001_412
.LBB1001_410:                           ; =>This Inner Loop Header: Depth=1
	flat_load_ubyte v18, v[14:15]
	flat_load_ubyte v19, v[12:13]
	s_andn2_b64 s[34:35], s[6:7], exec
	s_andn2_b64 s[28:29], s[28:29], exec
	s_or_b64 s[26:27], s[26:27], exec
	s_waitcnt vmcnt(0) lgkmcnt(0)
	v_cmp_eq_u16_e64 s[4:5], 0, v18
	v_cmp_ne_u16_e64 s[6:7], 0, v19
	s_or_b64 s[38:39], s[4:5], s[6:7]
	s_and_b64 s[36:37], s[4:5], s[6:7]
	s_xor_b64 s[4:5], s[4:5], s[6:7]
	s_and_b64 s[6:7], s[38:39], s[30:31]
	s_or_b64 s[36:37], s[36:37], s[6:7]
	s_and_b64 s[6:7], s[36:37], exec
	s_or_b64 s[6:7], s[34:35], s[6:7]
	s_and_saveexec_b64 s[34:35], s[4:5]
	s_cbranch_execz .LBB1001_409
; %bb.411:                              ;   in Loop: Header=BB1001_410 Depth=1
	v_lshl_add_u64 v[16:17], v[16:17], 0, -1
	v_cmp_eq_u64_e64 s[4:5], 0, v[16:17]
	s_andn2_b64 s[28:29], s[28:29], exec
	s_and_b64 s[30:31], s[36:37], exec
	s_andn2_b64 s[26:27], s[26:27], exec
	s_and_b64 s[4:5], s[4:5], exec
	v_lshl_add_u64 v[12:13], v[12:13], 0, 1
	v_lshl_add_u64 v[14:15], v[14:15], 0, 1
	s_andn2_b64 s[6:7], s[6:7], exec
	s_or_b64 s[28:29], s[28:29], s[30:31]
	s_or_b64 s[26:27], s[26:27], s[4:5]
                                        ; implicit-def: $sgpr30_sgpr31
	s_branch .LBB1001_409
.LBB1001_412:
	s_or_b64 exec, exec, s[22:23]
	s_and_b64 s[4:5], s[24:25], exec
.LBB1001_413:
	s_or_b64 exec, exec, s[20:21]
	s_xor_b64 s[4:5], s[4:5], -1
	s_andn2_b64 s[6:7], s[16:17], exec
	s_and_b64 s[4:5], s[4:5], exec
	s_or_b64 s[16:17], s[6:7], s[4:5]
.LBB1001_414:
	s_or_b64 exec, exec, s[18:19]
	v_cndmask_b32_e64 v12, v68, v66, s[16:17]
	v_cndmask_b32_e64 v13, v98, v97, s[16:17]
	v_add_u32_e32 v16, 1, v12
	v_add_u32_e32 v12, -1, v13
	v_min_u32_e32 v12, v16, v12
	v_mov_b32_e32 v13, 0
	v_lshl_add_u64 v[14:15], v[12:13], 3, v[54:55]
	flat_load_dwordx2 v[14:15], v[14:15]
	v_cndmask_b32_e64 v23, v16, v68, s[16:17]
	s_mov_b64 s[18:19], -1
	v_cndmask_b32_e64 v66, v66, v16, s[16:17]
	v_cmp_lt_u32_e64 s[4:5], v23, v98
	s_mov_b64 s[20:21], -1
	s_waitcnt vmcnt(0) lgkmcnt(0)
	v_cndmask_b32_e64 v20, v15, v3, s[16:17]
	v_cndmask_b32_e64 v21, v14, v2, s[16:17]
	;; [unrolled: 1-line block ×4, first 2 shown]
	s_and_saveexec_b64 s[22:23], s[4:5]
	s_cbranch_execz .LBB1001_424
; %bb.415:
	v_cmp_lt_u32_e64 s[4:5], v66, v97
	s_mov_b64 s[6:7], 0
	s_and_saveexec_b64 s[20:21], s[4:5]
	s_cbranch_execz .LBB1001_423
; %bb.416:
	s_mov_b64 s[4:5], 0
	s_and_saveexec_b64 s[24:25], s[2:3]
	s_cbranch_execz .LBB1001_422
; %bb.417:
	v_mad_u64_u32 v[14:15], s[4:5], v68, v6, v[8:9]
	v_mul_lo_u32 v12, v68, v7
	v_mul_lo_u32 v16, v22, v6
	v_add3_u32 v15, v16, v15, v12
	v_mad_u64_u32 v[16:17], s[4:5], v21, v6, v[8:9]
	v_mul_lo_u32 v12, v21, v7
	v_mul_lo_u32 v18, v20, v6
	v_add3_u32 v17, v18, v17, v12
	s_mov_b64 s[26:27], 0
	v_mov_b64_e32 v[18:19], v[6:7]
                                        ; implicit-def: $sgpr28_sgpr29
                                        ; implicit-def: $sgpr30_sgpr31
                                        ; implicit-def: $sgpr34_sgpr35
                                        ; implicit-def: $sgpr6_sgpr7
                                        ; implicit-def: $sgpr36_sgpr37
	s_branch .LBB1001_419
.LBB1001_418:                           ;   in Loop: Header=BB1001_419 Depth=1
	s_or_b64 exec, exec, s[38:39]
	s_and_b64 s[4:5], exec, s[30:31]
	s_or_b64 s[26:27], s[4:5], s[26:27]
	s_andn2_b64 s[4:5], s[36:37], exec
	s_and_b64 s[36:37], s[34:35], exec
	s_or_b64 s[36:37], s[4:5], s[36:37]
	s_andn2_b64 s[4:5], s[28:29], exec
	s_and_b64 s[28:29], s[6:7], exec
	s_or_b64 s[28:29], s[4:5], s[28:29]
	s_andn2_b64 exec, exec, s[26:27]
	s_cbranch_execz .LBB1001_421
.LBB1001_419:                           ; =>This Inner Loop Header: Depth=1
	flat_load_ubyte v12, v[16:17]
	flat_load_ubyte v67, v[14:15]
	s_andn2_b64 s[38:39], s[6:7], exec
	s_andn2_b64 s[34:35], s[34:35], exec
	s_or_b64 s[30:31], s[30:31], exec
	s_waitcnt vmcnt(0) lgkmcnt(0)
	v_cmp_eq_u16_e64 s[4:5], 0, v12
	v_cmp_ne_u16_e64 s[6:7], 0, v67
	s_or_b64 s[42:43], s[4:5], s[6:7]
	s_and_b64 s[40:41], s[4:5], s[6:7]
	s_xor_b64 s[4:5], s[4:5], s[6:7]
	s_and_b64 s[6:7], s[42:43], s[36:37]
	s_or_b64 s[40:41], s[40:41], s[6:7]
	s_and_b64 s[6:7], s[40:41], exec
	s_or_b64 s[6:7], s[38:39], s[6:7]
	s_and_saveexec_b64 s[38:39], s[4:5]
	s_cbranch_execz .LBB1001_418
; %bb.420:                              ;   in Loop: Header=BB1001_419 Depth=1
	v_lshl_add_u64 v[18:19], v[18:19], 0, -1
	v_cmp_eq_u64_e64 s[4:5], 0, v[18:19]
	s_andn2_b64 s[34:35], s[34:35], exec
	s_and_b64 s[36:37], s[40:41], exec
	s_andn2_b64 s[30:31], s[30:31], exec
	s_and_b64 s[4:5], s[4:5], exec
	v_lshl_add_u64 v[14:15], v[14:15], 0, 1
	v_lshl_add_u64 v[16:17], v[16:17], 0, 1
	s_andn2_b64 s[6:7], s[6:7], exec
	s_or_b64 s[34:35], s[34:35], s[36:37]
	s_or_b64 s[30:31], s[30:31], s[4:5]
                                        ; implicit-def: $sgpr36_sgpr37
	s_branch .LBB1001_418
.LBB1001_421:
	s_or_b64 exec, exec, s[26:27]
	s_and_b64 s[4:5], s[28:29], exec
.LBB1001_422:
	s_or_b64 exec, exec, s[24:25]
	s_xor_b64 s[4:5], s[4:5], -1
	s_and_b64 s[6:7], s[4:5], exec
.LBB1001_423:
	s_or_b64 exec, exec, s[20:21]
	s_orn2_b64 s[20:21], s[6:7], exec
.LBB1001_424:
	s_or_b64 exec, exec, s[22:23]
	v_cndmask_b32_e64 v12, v23, v66, s[20:21]
	v_cndmask_b32_e64 v14, v98, v97, s[20:21]
	v_add_u32_e32 v15, 1, v12
	v_add_u32_e32 v12, -1, v14
	v_min_u32_e32 v12, v15, v12
	v_lshl_add_u64 v[12:13], v[12:13], 3, v[54:55]
	flat_load_dwordx2 v[12:13], v[12:13]
	v_cndmask_b32_e64 v18, v15, v23, s[20:21]
	v_cndmask_b32_e64 v19, v66, v15, s[20:21]
	v_cmp_lt_u32_e64 s[4:5], v18, v98
	s_waitcnt vmcnt(0) lgkmcnt(0)
	v_cndmask_b32_e64 v23, v13, v20, s[20:21]
	v_cndmask_b32_e64 v69, v12, v21, s[20:21]
	;; [unrolled: 1-line block ×4, first 2 shown]
	s_and_saveexec_b64 s[22:23], s[4:5]
	s_cbranch_execz .LBB1001_432
; %bb.425:
	v_cmp_lt_u32_e64 s[18:19], v19, v97
	s_xor_b64 s[4:5], s[0:1], -1
	s_and_b64 s[4:5], s[18:19], s[4:5]
	s_and_saveexec_b64 s[24:25], s[4:5]
	s_cbranch_execz .LBB1001_431
; %bb.426:
	v_mad_u64_u32 v[12:13], s[4:5], v71, v6, v[8:9]
	v_mul_lo_u32 v14, v71, v7
	v_mul_lo_u32 v15, v70, v6
	v_add3_u32 v13, v15, v13, v14
	v_mad_u64_u32 v[14:15], s[4:5], v69, v6, v[8:9]
	v_mul_lo_u32 v16, v69, v7
	v_mul_lo_u32 v17, v23, v6
	v_add3_u32 v15, v17, v15, v16
	s_mov_b64 s[26:27], 0
	v_mov_b64_e32 v[16:17], v[6:7]
                                        ; implicit-def: $sgpr28_sgpr29
                                        ; implicit-def: $sgpr30_sgpr31
                                        ; implicit-def: $sgpr6_sgpr7
                                        ; implicit-def: $sgpr34_sgpr35
                                        ; implicit-def: $sgpr36_sgpr37
	s_branch .LBB1001_428
.LBB1001_427:                           ;   in Loop: Header=BB1001_428 Depth=1
	s_or_b64 exec, exec, s[38:39]
	s_and_b64 s[4:5], exec, s[30:31]
	s_or_b64 s[26:27], s[4:5], s[26:27]
	s_andn2_b64 s[4:5], s[36:37], exec
	s_and_b64 s[36:37], s[34:35], exec
	s_or_b64 s[36:37], s[4:5], s[36:37]
	s_andn2_b64 s[4:5], s[28:29], exec
	s_and_b64 s[28:29], s[6:7], exec
	s_or_b64 s[28:29], s[4:5], s[28:29]
	s_andn2_b64 exec, exec, s[26:27]
	s_cbranch_execz .LBB1001_430
.LBB1001_428:                           ; =>This Inner Loop Header: Depth=1
	flat_load_ubyte v66, v[14:15]
	flat_load_ubyte v67, v[12:13]
	s_andn2_b64 s[38:39], s[6:7], exec
	s_andn2_b64 s[34:35], s[34:35], exec
	s_or_b64 s[30:31], s[30:31], exec
	s_waitcnt vmcnt(0) lgkmcnt(0)
	v_cmp_eq_u16_e64 s[4:5], 0, v66
	v_cmp_ne_u16_e64 s[6:7], 0, v67
	s_or_b64 s[42:43], s[4:5], s[6:7]
	s_and_b64 s[40:41], s[4:5], s[6:7]
	s_xor_b64 s[4:5], s[4:5], s[6:7]
	s_and_b64 s[6:7], s[42:43], s[36:37]
	s_or_b64 s[40:41], s[40:41], s[6:7]
	s_and_b64 s[6:7], s[40:41], exec
	s_or_b64 s[6:7], s[38:39], s[6:7]
	s_and_saveexec_b64 s[38:39], s[4:5]
	s_cbranch_execz .LBB1001_427
; %bb.429:                              ;   in Loop: Header=BB1001_428 Depth=1
	v_lshl_add_u64 v[16:17], v[16:17], 0, -1
	v_cmp_eq_u64_e64 s[4:5], 0, v[16:17]
	s_andn2_b64 s[34:35], s[34:35], exec
	s_and_b64 s[36:37], s[40:41], exec
	s_andn2_b64 s[30:31], s[30:31], exec
	s_and_b64 s[4:5], s[4:5], exec
	v_lshl_add_u64 v[12:13], v[12:13], 0, 1
	v_lshl_add_u64 v[14:15], v[14:15], 0, 1
	s_or_b64 s[34:35], s[34:35], s[36:37]
	s_andn2_b64 s[6:7], s[6:7], exec
	s_or_b64 s[30:31], s[30:31], s[4:5]
                                        ; implicit-def: $sgpr36_sgpr37
	s_branch .LBB1001_427
.LBB1001_430:
	s_or_b64 exec, exec, s[26:27]
	s_xor_b64 s[4:5], s[28:29], -1
	s_andn2_b64 s[6:7], s[18:19], exec
	s_and_b64 s[4:5], s[4:5], exec
	s_or_b64 s[18:19], s[6:7], s[4:5]
.LBB1001_431:
	s_or_b64 exec, exec, s[24:25]
	s_orn2_b64 s[18:19], s[18:19], exec
.LBB1001_432:
	s_or_b64 exec, exec, s[22:23]
	v_cndmask_b32_e64 v12, v18, v19, s[18:19]
	v_cndmask_b32_e64 v13, v98, v97, s[18:19]
	v_add_u32_e32 v16, 1, v12
	v_add_u32_e32 v12, -1, v13
	v_min_u32_e32 v12, v16, v12
	v_mov_b32_e32 v13, 0
	v_lshl_add_u64 v[14:15], v[12:13], 3, v[54:55]
	flat_load_dwordx2 v[14:15], v[14:15]
	v_cndmask_b32_e64 v66, v16, v18, s[18:19]
	s_mov_b64 s[22:23], -1
	v_cndmask_b32_e64 v67, v19, v16, s[18:19]
	v_cmp_lt_u32_e64 s[4:5], v66, v98
	s_mov_b64 s[24:25], -1
	s_waitcnt vmcnt(0) lgkmcnt(0)
	v_cndmask_b32_e64 v80, v15, v23, s[18:19]
	v_cndmask_b32_e64 v81, v14, v69, s[18:19]
	v_cndmask_b32_e64 v82, v70, v15, s[18:19]
	v_cndmask_b32_e64 v83, v71, v14, s[18:19]
	s_and_saveexec_b64 s[26:27], s[4:5]
	s_cbranch_execz .LBB1001_440
; %bb.433:
	v_cmp_lt_u32_e64 s[24:25], v67, v97
	s_xor_b64 s[4:5], s[0:1], -1
	s_and_b64 s[4:5], s[24:25], s[4:5]
	s_and_saveexec_b64 s[28:29], s[4:5]
	s_cbranch_execz .LBB1001_439
; %bb.434:
	v_mad_u64_u32 v[14:15], s[4:5], v83, v6, v[8:9]
	v_mul_lo_u32 v12, v83, v7
	v_mul_lo_u32 v16, v82, v6
	v_add3_u32 v15, v16, v15, v12
	v_mad_u64_u32 v[16:17], s[4:5], v81, v6, v[8:9]
	v_mul_lo_u32 v12, v81, v7
	v_mul_lo_u32 v18, v80, v6
	v_add3_u32 v17, v18, v17, v12
	s_mov_b64 s[30:31], 0
	v_mov_b64_e32 v[18:19], v[6:7]
                                        ; implicit-def: $sgpr34_sgpr35
                                        ; implicit-def: $sgpr36_sgpr37
                                        ; implicit-def: $sgpr6_sgpr7
                                        ; implicit-def: $sgpr38_sgpr39
                                        ; implicit-def: $sgpr40_sgpr41
	s_branch .LBB1001_436
.LBB1001_435:                           ;   in Loop: Header=BB1001_436 Depth=1
	s_or_b64 exec, exec, s[42:43]
	s_and_b64 s[4:5], exec, s[36:37]
	s_or_b64 s[30:31], s[4:5], s[30:31]
	s_andn2_b64 s[4:5], s[40:41], exec
	s_and_b64 s[40:41], s[38:39], exec
	s_or_b64 s[40:41], s[4:5], s[40:41]
	s_andn2_b64 s[4:5], s[34:35], exec
	s_and_b64 s[34:35], s[6:7], exec
	s_or_b64 s[34:35], s[4:5], s[34:35]
	s_andn2_b64 exec, exec, s[30:31]
	s_cbranch_execz .LBB1001_438
.LBB1001_436:                           ; =>This Inner Loop Header: Depth=1
	flat_load_ubyte v12, v[16:17]
	flat_load_ubyte v84, v[14:15]
	s_andn2_b64 s[42:43], s[6:7], exec
	s_andn2_b64 s[38:39], s[38:39], exec
	s_or_b64 s[36:37], s[36:37], exec
	s_waitcnt vmcnt(0) lgkmcnt(0)
	v_cmp_eq_u16_e64 s[4:5], 0, v12
	v_cmp_ne_u16_e64 s[6:7], 0, v84
	s_or_b64 s[46:47], s[4:5], s[6:7]
	s_and_b64 s[44:45], s[4:5], s[6:7]
	s_xor_b64 s[4:5], s[4:5], s[6:7]
	s_and_b64 s[6:7], s[46:47], s[40:41]
	s_or_b64 s[44:45], s[44:45], s[6:7]
	s_and_b64 s[6:7], s[44:45], exec
	s_or_b64 s[6:7], s[42:43], s[6:7]
	s_and_saveexec_b64 s[42:43], s[4:5]
	s_cbranch_execz .LBB1001_435
; %bb.437:                              ;   in Loop: Header=BB1001_436 Depth=1
	v_lshl_add_u64 v[18:19], v[18:19], 0, -1
	v_cmp_eq_u64_e64 s[4:5], 0, v[18:19]
	s_andn2_b64 s[38:39], s[38:39], exec
	s_and_b64 s[40:41], s[44:45], exec
	s_andn2_b64 s[36:37], s[36:37], exec
	s_and_b64 s[4:5], s[4:5], exec
	v_lshl_add_u64 v[14:15], v[14:15], 0, 1
	v_lshl_add_u64 v[16:17], v[16:17], 0, 1
	s_or_b64 s[38:39], s[38:39], s[40:41]
	s_andn2_b64 s[6:7], s[6:7], exec
	s_or_b64 s[36:37], s[36:37], s[4:5]
                                        ; implicit-def: $sgpr40_sgpr41
	s_branch .LBB1001_435
.LBB1001_438:
	s_or_b64 exec, exec, s[30:31]
	s_xor_b64 s[4:5], s[34:35], -1
	s_andn2_b64 s[6:7], s[24:25], exec
	s_and_b64 s[4:5], s[4:5], exec
	s_or_b64 s[24:25], s[6:7], s[4:5]
.LBB1001_439:
	s_or_b64 exec, exec, s[28:29]
	s_orn2_b64 s[24:25], s[24:25], exec
.LBB1001_440:
	s_or_b64 exec, exec, s[26:27]
	v_cndmask_b32_e64 v12, v66, v67, s[24:25]
	v_cndmask_b32_e64 v14, v98, v97, s[24:25]
	v_add_u32_e32 v15, 1, v12
	v_add_u32_e32 v12, -1, v14
	v_min_u32_e32 v12, v15, v12
	v_lshl_add_u64 v[12:13], v[12:13], 3, v[54:55]
	flat_load_dwordx2 v[12:13], v[12:13]
	v_cndmask_b32_e64 v18, v15, v66, s[24:25]
	v_cndmask_b32_e64 v19, v67, v15, s[24:25]
	v_cmp_lt_u32_e64 s[4:5], v18, v98
	s_waitcnt vmcnt(0) lgkmcnt(0)
	v_cndmask_b32_e64 v84, v13, v80, s[24:25]
	v_cndmask_b32_e64 v85, v12, v81, s[24:25]
	v_cndmask_b32_e64 v86, v82, v13, s[24:25]
	v_cndmask_b32_e64 v87, v83, v12, s[24:25]
	s_and_saveexec_b64 s[26:27], s[4:5]
	s_cbranch_execz .LBB1001_448
; %bb.441:
	v_cmp_lt_u32_e64 s[22:23], v19, v97
	s_xor_b64 s[4:5], s[0:1], -1
	s_and_b64 s[4:5], s[22:23], s[4:5]
	s_and_saveexec_b64 s[28:29], s[4:5]
	s_cbranch_execz .LBB1001_447
; %bb.442:
	v_mad_u64_u32 v[12:13], s[4:5], v87, v6, v[8:9]
	v_mul_lo_u32 v14, v87, v7
	v_mul_lo_u32 v15, v86, v6
	v_add3_u32 v13, v15, v13, v14
	v_mad_u64_u32 v[14:15], s[4:5], v85, v6, v[8:9]
	v_mul_lo_u32 v16, v85, v7
	v_mul_lo_u32 v17, v84, v6
	v_add3_u32 v15, v17, v15, v16
	s_mov_b64 s[30:31], 0
	v_mov_b64_e32 v[16:17], v[6:7]
                                        ; implicit-def: $sgpr34_sgpr35
                                        ; implicit-def: $sgpr36_sgpr37
                                        ; implicit-def: $sgpr6_sgpr7
                                        ; implicit-def: $sgpr38_sgpr39
                                        ; implicit-def: $sgpr40_sgpr41
	s_branch .LBB1001_444
.LBB1001_443:                           ;   in Loop: Header=BB1001_444 Depth=1
	s_or_b64 exec, exec, s[42:43]
	s_and_b64 s[4:5], exec, s[36:37]
	s_or_b64 s[30:31], s[4:5], s[30:31]
	s_andn2_b64 s[4:5], s[40:41], exec
	s_and_b64 s[40:41], s[38:39], exec
	s_or_b64 s[40:41], s[4:5], s[40:41]
	s_andn2_b64 s[4:5], s[34:35], exec
	s_and_b64 s[34:35], s[6:7], exec
	s_or_b64 s[34:35], s[4:5], s[34:35]
	s_andn2_b64 exec, exec, s[30:31]
	s_cbranch_execz .LBB1001_446
.LBB1001_444:                           ; =>This Inner Loop Header: Depth=1
	flat_load_ubyte v66, v[14:15]
	flat_load_ubyte v67, v[12:13]
	s_andn2_b64 s[42:43], s[6:7], exec
	s_andn2_b64 s[38:39], s[38:39], exec
	s_or_b64 s[36:37], s[36:37], exec
	s_waitcnt vmcnt(0) lgkmcnt(0)
	v_cmp_eq_u16_e64 s[4:5], 0, v66
	v_cmp_ne_u16_e64 s[6:7], 0, v67
	s_or_b64 s[46:47], s[4:5], s[6:7]
	s_and_b64 s[44:45], s[4:5], s[6:7]
	s_xor_b64 s[4:5], s[4:5], s[6:7]
	s_and_b64 s[6:7], s[46:47], s[40:41]
	s_or_b64 s[44:45], s[44:45], s[6:7]
	s_and_b64 s[6:7], s[44:45], exec
	s_or_b64 s[6:7], s[42:43], s[6:7]
	s_and_saveexec_b64 s[42:43], s[4:5]
	s_cbranch_execz .LBB1001_443
; %bb.445:                              ;   in Loop: Header=BB1001_444 Depth=1
	v_lshl_add_u64 v[16:17], v[16:17], 0, -1
	v_cmp_eq_u64_e64 s[4:5], 0, v[16:17]
	s_andn2_b64 s[38:39], s[38:39], exec
	s_and_b64 s[40:41], s[44:45], exec
	s_andn2_b64 s[36:37], s[36:37], exec
	s_and_b64 s[4:5], s[4:5], exec
	v_lshl_add_u64 v[12:13], v[12:13], 0, 1
	v_lshl_add_u64 v[14:15], v[14:15], 0, 1
	s_or_b64 s[38:39], s[38:39], s[40:41]
	s_andn2_b64 s[6:7], s[6:7], exec
	s_or_b64 s[36:37], s[36:37], s[4:5]
                                        ; implicit-def: $sgpr40_sgpr41
	s_branch .LBB1001_443
.LBB1001_446:
	s_or_b64 exec, exec, s[30:31]
	s_xor_b64 s[4:5], s[34:35], -1
	s_andn2_b64 s[6:7], s[22:23], exec
	s_and_b64 s[4:5], s[4:5], exec
	s_or_b64 s[22:23], s[6:7], s[4:5]
.LBB1001_447:
	s_or_b64 exec, exec, s[28:29]
	s_orn2_b64 s[22:23], s[22:23], exec
.LBB1001_448:
	s_or_b64 exec, exec, s[26:27]
	v_cndmask_b32_e64 v12, v18, v19, s[22:23]
	v_cndmask_b32_e64 v13, v98, v97, s[22:23]
	v_add_u32_e32 v16, 1, v12
	v_add_u32_e32 v12, -1, v13
	v_min_u32_e32 v12, v16, v12
	v_mov_b32_e32 v13, 0
	v_lshl_add_u64 v[14:15], v[12:13], 3, v[54:55]
	flat_load_dwordx2 v[14:15], v[14:15]
	v_cndmask_b32_e64 v66, v16, v18, s[22:23]
	s_mov_b64 s[26:27], -1
	v_cndmask_b32_e64 v67, v19, v16, s[22:23]
	v_cmp_lt_u32_e64 s[4:5], v66, v98
	s_mov_b64 s[28:29], -1
	s_waitcnt vmcnt(0) lgkmcnt(0)
	v_cndmask_b32_e64 v99, v15, v84, s[22:23]
	v_cndmask_b32_e64 v100, v14, v85, s[22:23]
	;; [unrolled: 1-line block ×4, first 2 shown]
	s_and_saveexec_b64 s[30:31], s[4:5]
	s_cbranch_execz .LBB1001_456
; %bb.449:
	v_cmp_lt_u32_e64 s[28:29], v67, v97
	s_xor_b64 s[4:5], s[0:1], -1
	s_and_b64 s[4:5], s[28:29], s[4:5]
	s_and_saveexec_b64 s[34:35], s[4:5]
	s_cbranch_execz .LBB1001_455
; %bb.450:
	v_mad_u64_u32 v[14:15], s[4:5], v102, v6, v[8:9]
	v_mul_lo_u32 v12, v102, v7
	v_mul_lo_u32 v16, v101, v6
	v_add3_u32 v15, v16, v15, v12
	v_mad_u64_u32 v[16:17], s[4:5], v100, v6, v[8:9]
	v_mul_lo_u32 v12, v100, v7
	v_mul_lo_u32 v18, v99, v6
	v_add3_u32 v17, v18, v17, v12
	s_mov_b64 s[36:37], 0
	v_mov_b64_e32 v[18:19], v[6:7]
                                        ; implicit-def: $sgpr38_sgpr39
                                        ; implicit-def: $sgpr40_sgpr41
                                        ; implicit-def: $sgpr6_sgpr7
                                        ; implicit-def: $sgpr42_sgpr43
                                        ; implicit-def: $sgpr44_sgpr45
	s_branch .LBB1001_452
.LBB1001_451:                           ;   in Loop: Header=BB1001_452 Depth=1
	s_or_b64 exec, exec, s[46:47]
	s_and_b64 s[4:5], exec, s[40:41]
	s_or_b64 s[36:37], s[4:5], s[36:37]
	s_andn2_b64 s[4:5], s[44:45], exec
	s_and_b64 s[44:45], s[42:43], exec
	s_or_b64 s[44:45], s[4:5], s[44:45]
	s_andn2_b64 s[4:5], s[38:39], exec
	s_and_b64 s[38:39], s[6:7], exec
	s_or_b64 s[38:39], s[4:5], s[38:39]
	s_andn2_b64 exec, exec, s[36:37]
	s_cbranch_execz .LBB1001_454
.LBB1001_452:                           ; =>This Inner Loop Header: Depth=1
	flat_load_ubyte v12, v[16:17]
	flat_load_ubyte v103, v[14:15]
	s_andn2_b64 s[46:47], s[6:7], exec
	s_andn2_b64 s[42:43], s[42:43], exec
	s_or_b64 s[40:41], s[40:41], exec
	s_waitcnt vmcnt(0) lgkmcnt(0)
	v_cmp_eq_u16_e64 s[4:5], 0, v12
	v_cmp_ne_u16_e64 s[6:7], 0, v103
	s_or_b64 s[50:51], s[4:5], s[6:7]
	s_and_b64 s[48:49], s[4:5], s[6:7]
	s_xor_b64 s[4:5], s[4:5], s[6:7]
	s_and_b64 s[6:7], s[50:51], s[44:45]
	s_or_b64 s[48:49], s[48:49], s[6:7]
	s_and_b64 s[6:7], s[48:49], exec
	s_or_b64 s[6:7], s[46:47], s[6:7]
	s_and_saveexec_b64 s[46:47], s[4:5]
	s_cbranch_execz .LBB1001_451
; %bb.453:                              ;   in Loop: Header=BB1001_452 Depth=1
	v_lshl_add_u64 v[18:19], v[18:19], 0, -1
	v_cmp_eq_u64_e64 s[4:5], 0, v[18:19]
	s_andn2_b64 s[42:43], s[42:43], exec
	s_and_b64 s[44:45], s[48:49], exec
	s_andn2_b64 s[40:41], s[40:41], exec
	s_and_b64 s[4:5], s[4:5], exec
	v_lshl_add_u64 v[14:15], v[14:15], 0, 1
	v_lshl_add_u64 v[16:17], v[16:17], 0, 1
	s_or_b64 s[42:43], s[42:43], s[44:45]
	s_andn2_b64 s[6:7], s[6:7], exec
	s_or_b64 s[40:41], s[40:41], s[4:5]
                                        ; implicit-def: $sgpr44_sgpr45
	s_branch .LBB1001_451
.LBB1001_454:
	s_or_b64 exec, exec, s[36:37]
	s_xor_b64 s[4:5], s[38:39], -1
	s_andn2_b64 s[6:7], s[28:29], exec
	s_and_b64 s[4:5], s[4:5], exec
	s_or_b64 s[28:29], s[6:7], s[4:5]
.LBB1001_455:
	s_or_b64 exec, exec, s[34:35]
	s_orn2_b64 s[28:29], s[28:29], exec
.LBB1001_456:
	s_or_b64 exec, exec, s[30:31]
	v_cndmask_b32_e64 v12, v66, v67, s[28:29]
	v_cndmask_b32_e64 v14, v98, v97, s[28:29]
	v_add_u32_e32 v15, 1, v12
	v_add_u32_e32 v12, -1, v14
	v_min_u32_e32 v12, v15, v12
	v_lshl_add_u64 v[12:13], v[12:13], 3, v[54:55]
	flat_load_dwordx2 v[12:13], v[12:13]
	v_cndmask_b32_e64 v114, v15, v66, s[28:29]
	v_cndmask_b32_e64 v103, v67, v15, s[28:29]
	v_cmp_lt_u32_e64 s[4:5], v114, v98
	s_waitcnt vmcnt(0) lgkmcnt(0)
	v_cndmask_b32_e64 v112, v13, v99, s[28:29]
	v_cndmask_b32_e64 v113, v12, v100, s[28:29]
	;; [unrolled: 1-line block ×4, first 2 shown]
	s_and_saveexec_b64 s[30:31], s[4:5]
	s_cbranch_execz .LBB1001_464
; %bb.457:
	v_cmp_lt_u32_e64 s[26:27], v103, v97
	s_xor_b64 s[4:5], s[0:1], -1
	s_and_b64 s[4:5], s[26:27], s[4:5]
	s_and_saveexec_b64 s[34:35], s[4:5]
	s_cbranch_execz .LBB1001_463
; %bb.458:
	v_mad_u64_u32 v[12:13], s[4:5], v116, v6, v[8:9]
	v_mul_lo_u32 v14, v116, v7
	v_mul_lo_u32 v15, v115, v6
	v_add3_u32 v13, v15, v13, v14
	v_mad_u64_u32 v[14:15], s[4:5], v113, v6, v[8:9]
	v_mul_lo_u32 v16, v113, v7
	v_mul_lo_u32 v17, v112, v6
	v_add3_u32 v15, v17, v15, v16
	s_mov_b64 s[36:37], 0
	v_mov_b64_e32 v[16:17], v[6:7]
                                        ; implicit-def: $sgpr38_sgpr39
                                        ; implicit-def: $sgpr40_sgpr41
                                        ; implicit-def: $sgpr6_sgpr7
                                        ; implicit-def: $sgpr42_sgpr43
                                        ; implicit-def: $sgpr44_sgpr45
	s_branch .LBB1001_460
.LBB1001_459:                           ;   in Loop: Header=BB1001_460 Depth=1
	s_or_b64 exec, exec, s[46:47]
	s_and_b64 s[4:5], exec, s[40:41]
	s_or_b64 s[36:37], s[4:5], s[36:37]
	s_andn2_b64 s[4:5], s[44:45], exec
	s_and_b64 s[44:45], s[42:43], exec
	s_or_b64 s[44:45], s[4:5], s[44:45]
	s_andn2_b64 s[4:5], s[38:39], exec
	s_and_b64 s[38:39], s[6:7], exec
	s_or_b64 s[38:39], s[4:5], s[38:39]
	s_andn2_b64 exec, exec, s[36:37]
	s_cbranch_execz .LBB1001_462
.LBB1001_460:                           ; =>This Inner Loop Header: Depth=1
	flat_load_ubyte v18, v[14:15]
	flat_load_ubyte v19, v[12:13]
	s_andn2_b64 s[46:47], s[6:7], exec
	s_andn2_b64 s[42:43], s[42:43], exec
	s_or_b64 s[40:41], s[40:41], exec
	s_waitcnt vmcnt(0) lgkmcnt(0)
	v_cmp_eq_u16_e64 s[4:5], 0, v18
	v_cmp_ne_u16_e64 s[6:7], 0, v19
	s_or_b64 s[50:51], s[4:5], s[6:7]
	s_and_b64 s[48:49], s[4:5], s[6:7]
	s_xor_b64 s[4:5], s[4:5], s[6:7]
	s_and_b64 s[6:7], s[50:51], s[44:45]
	s_or_b64 s[48:49], s[48:49], s[6:7]
	s_and_b64 s[6:7], s[48:49], exec
	s_or_b64 s[6:7], s[46:47], s[6:7]
	s_and_saveexec_b64 s[46:47], s[4:5]
	s_cbranch_execz .LBB1001_459
; %bb.461:                              ;   in Loop: Header=BB1001_460 Depth=1
	v_lshl_add_u64 v[16:17], v[16:17], 0, -1
	v_cmp_eq_u64_e64 s[4:5], 0, v[16:17]
	s_andn2_b64 s[42:43], s[42:43], exec
	s_and_b64 s[44:45], s[48:49], exec
	s_andn2_b64 s[40:41], s[40:41], exec
	s_and_b64 s[4:5], s[4:5], exec
	v_lshl_add_u64 v[12:13], v[12:13], 0, 1
	v_lshl_add_u64 v[14:15], v[14:15], 0, 1
	s_or_b64 s[42:43], s[42:43], s[44:45]
	s_andn2_b64 s[6:7], s[6:7], exec
	s_or_b64 s[40:41], s[40:41], s[4:5]
                                        ; implicit-def: $sgpr44_sgpr45
	s_branch .LBB1001_459
.LBB1001_462:
	s_or_b64 exec, exec, s[36:37]
	s_xor_b64 s[4:5], s[38:39], -1
	s_andn2_b64 s[6:7], s[26:27], exec
	s_and_b64 s[4:5], s[4:5], exec
	s_or_b64 s[26:27], s[6:7], s[4:5]
.LBB1001_463:
	s_or_b64 exec, exec, s[34:35]
	s_orn2_b64 s[26:27], s[26:27], exec
.LBB1001_464:
	s_or_b64 exec, exec, s[30:31]
	v_cndmask_b32_e64 v12, v114, v103, s[26:27]
	v_cndmask_b32_e64 v13, v98, v97, s[26:27]
	v_add_u32_e32 v117, 1, v12
	v_add_u32_e32 v12, -1, v13
	v_min_u32_e32 v12, v117, v12
	v_mov_b32_e32 v13, 0
	v_lshl_add_u64 v[12:13], v[12:13], 3, v[54:55]
	flat_load_dwordx2 v[66:67], v[12:13]
	v_cndmask_b32_e64 v17, v23, v70, s[18:19]
	v_cndmask_b32_e64 v23, v20, v22, s[20:21]
	;; [unrolled: 1-line block ×15, first 2 shown]
	v_cmp_lt_u32_e64 s[4:5], v68, v98
	s_waitcnt vmcnt(0) lgkmcnt(0)
	v_cndmask_b32_e64 v3, v115, v67, s[26:27]
	v_cndmask_b32_e64 v2, v116, v66, s[26:27]
	s_and_saveexec_b64 s[16:17], s[4:5]
	s_cbranch_execz .LBB1001_472
; %bb.465:
	v_cndmask_b32_e64 v81, v66, v113, s[26:27]
	v_cndmask_b32_e64 v66, v103, v117, s[26:27]
	v_cmp_ge_u32_e64 s[4:5], v66, v97
	v_cndmask_b32_e64 v80, v67, v112, s[26:27]
	s_or_b64 s[6:7], s[4:5], s[0:1]
	v_cndmask_b32_e64 v67, v3, v80, s[4:5]
	s_xor_b64 s[6:7], s[6:7], -1
	v_cndmask_b32_e64 v66, v2, v81, s[4:5]
	s_and_saveexec_b64 s[18:19], s[6:7]
	s_cbranch_execz .LBB1001_471
; %bb.466:
	v_mad_u64_u32 v[66:67], s[4:5], v2, v6, v[8:9]
	v_mul_lo_u32 v68, v2, v7
	v_mul_lo_u32 v69, v3, v6
	v_add3_u32 v67, v69, v67, v68
	v_mad_u64_u32 v[68:69], s[4:5], v81, v6, v[8:9]
	v_mul_lo_u32 v70, v81, v7
	v_mul_lo_u32 v71, v80, v6
	v_add3_u32 v69, v71, v69, v70
	s_mov_b64 s[20:21], 0
	v_mov_b64_e32 v[70:71], v[6:7]
                                        ; implicit-def: $sgpr22_sgpr23
                                        ; implicit-def: $sgpr24_sgpr25
                                        ; implicit-def: $sgpr6_sgpr7
                                        ; implicit-def: $sgpr26_sgpr27
                                        ; implicit-def: $sgpr28_sgpr29
	s_branch .LBB1001_468
.LBB1001_467:                           ;   in Loop: Header=BB1001_468 Depth=1
	s_or_b64 exec, exec, s[30:31]
	s_and_b64 s[4:5], exec, s[24:25]
	s_or_b64 s[20:21], s[4:5], s[20:21]
	s_andn2_b64 s[4:5], s[28:29], exec
	s_and_b64 s[28:29], s[26:27], exec
	s_or_b64 s[28:29], s[4:5], s[28:29]
	s_andn2_b64 s[4:5], s[22:23], exec
	s_and_b64 s[22:23], s[6:7], exec
	s_or_b64 s[22:23], s[4:5], s[22:23]
	s_andn2_b64 exec, exec, s[20:21]
	s_cbranch_execz .LBB1001_470
.LBB1001_468:                           ; =>This Inner Loop Header: Depth=1
	flat_load_ubyte v82, v[68:69]
	flat_load_ubyte v83, v[66:67]
	s_andn2_b64 s[30:31], s[6:7], exec
	s_andn2_b64 s[26:27], s[26:27], exec
	s_or_b64 s[24:25], s[24:25], exec
	s_waitcnt vmcnt(0) lgkmcnt(0)
	v_cmp_eq_u16_e64 s[4:5], 0, v82
	v_cmp_ne_u16_e64 s[6:7], 0, v83
	s_or_b64 s[36:37], s[4:5], s[6:7]
	s_and_b64 s[34:35], s[4:5], s[6:7]
	s_xor_b64 s[4:5], s[4:5], s[6:7]
	s_and_b64 s[6:7], s[36:37], s[28:29]
	s_or_b64 s[34:35], s[34:35], s[6:7]
	s_and_b64 s[6:7], s[34:35], exec
	s_or_b64 s[6:7], s[30:31], s[6:7]
	s_and_saveexec_b64 s[30:31], s[4:5]
	s_cbranch_execz .LBB1001_467
; %bb.469:                              ;   in Loop: Header=BB1001_468 Depth=1
	v_lshl_add_u64 v[70:71], v[70:71], 0, -1
	v_cmp_eq_u64_e64 s[4:5], 0, v[70:71]
	s_andn2_b64 s[26:27], s[26:27], exec
	s_and_b64 s[28:29], s[34:35], exec
	s_andn2_b64 s[24:25], s[24:25], exec
	s_and_b64 s[4:5], s[4:5], exec
	v_lshl_add_u64 v[66:67], v[66:67], 0, 1
	v_lshl_add_u64 v[68:69], v[68:69], 0, 1
	s_or_b64 s[26:27], s[26:27], s[28:29]
	s_andn2_b64 s[6:7], s[6:7], exec
	s_or_b64 s[24:25], s[24:25], s[4:5]
                                        ; implicit-def: $sgpr28_sgpr29
	s_branch .LBB1001_467
.LBB1001_470:
	s_or_b64 exec, exec, s[20:21]
	v_cndmask_b32_e64 v67, v3, v80, s[22:23]
	v_cndmask_b32_e64 v66, v2, v81, s[22:23]
.LBB1001_471:
	s_or_b64 exec, exec, s[18:19]
	v_mov_b64_e32 v[2:3], v[66:67]
.LBB1001_472:
	s_or_b64 exec, exec, s[16:17]
.LBB1001_473:
	s_or_b64 exec, exec, s[14:15]
	v_and_b32_e32 v97, 0x380, v96
	; wave barrier
	flat_store_dwordx4 v[64:65], v[20:23]
	flat_store_dwordx4 v[64:65], v[16:19] offset:16
	flat_store_dwordx4 v[64:65], v[12:15] offset:32
	;; [unrolled: 1-line block ×3, first 2 shown]
	v_or_b32_e32 v64, 64, v97
	v_min_u32_e32 v86, v31, v64
	v_add_u32_e32 v64, 64, v86
	v_min_u32_e32 v87, v31, v64
	v_and_b32_e32 v64, 0x78, v96
	v_min_u32_e32 v31, v31, v64
	v_sub_u32_e32 v64, v86, v97
	v_sub_u32_e32 v65, v87, v86
	v_sub_u32_e64 v96, v31, v65 clamp
	v_min_u32_e32 v98, v31, v64
	v_cmp_lt_u32_e64 s[4:5], v96, v98
	; wave barrier
	s_and_saveexec_b64 s[14:15], s[4:5]
	s_cbranch_execz .LBB1001_483
; %bb.474:
	v_lshlrev_b32_e32 v64, 3, v97
	v_mov_b32_e32 v65, 0
	v_lshl_add_u64 v[66:67], v[54:55], 0, v[64:65]
	v_lshlrev_b32_e32 v64, 3, v86
	v_lshl_add_u64 v[68:69], v[54:55], 0, v[64:65]
	s_mov_b64 s[16:17], 0
	s_branch .LBB1001_477
.LBB1001_475:                           ;   in Loop: Header=BB1001_477 Depth=1
	s_or_b64 exec, exec, s[20:21]
	s_and_b64 s[4:5], s[22:23], exec
.LBB1001_476:                           ;   in Loop: Header=BB1001_477 Depth=1
	s_or_b64 exec, exec, s[18:19]
	v_add_u32_e32 v64, 1, v70
	v_cndmask_b32_e64 v98, v98, v70, s[4:5]
	v_cndmask_b32_e64 v96, v64, v96, s[4:5]
	v_cmp_ge_u32_e64 s[4:5], v96, v98
	s_or_b64 s[16:17], s[4:5], s[16:17]
	s_andn2_b64 exec, exec, s[16:17]
	s_cbranch_execz .LBB1001_482
.LBB1001_477:                           ; =>This Loop Header: Depth=1
                                        ;     Child Loop BB1001_480 Depth 2
	v_add_u32_e32 v64, v98, v96
	v_lshrrev_b32_e32 v70, 1, v64
	s_mov_b64 s[4:5], 0
	s_and_saveexec_b64 s[18:19], vcc
	s_cbranch_execz .LBB1001_476
; %bb.478:                              ;   in Loop: Header=BB1001_477 Depth=1
	v_mov_b32_e32 v71, v65
	v_xad_u32 v64, v70, -1, v31
	v_lshl_add_u64 v[80:81], v[70:71], 3, v[66:67]
	v_lshl_add_u64 v[82:83], v[64:65], 3, v[68:69]
	flat_load_dwordx2 v[80:81], v[80:81]
	s_mov_b64 s[20:21], 0
	flat_load_dwordx2 v[82:83], v[82:83]
                                        ; implicit-def: $sgpr22_sgpr23
                                        ; implicit-def: $sgpr24_sgpr25
                                        ; implicit-def: $sgpr26_sgpr27
                                        ; implicit-def: $sgpr6_sgpr7
                                        ; implicit-def: $sgpr28_sgpr29
	s_waitcnt vmcnt(0) lgkmcnt(0)
	v_mul_lo_u32 v64, v80, v7
	v_mul_lo_u32 v71, v81, v6
	v_mad_u64_u32 v[80:81], s[4:5], v80, v6, v[8:9]
	v_mul_lo_u32 v84, v82, v7
	v_mul_lo_u32 v85, v83, v6
	v_mad_u64_u32 v[82:83], s[4:5], v82, v6, v[8:9]
	v_add3_u32 v81, v71, v81, v64
	v_add3_u32 v83, v85, v83, v84
	v_mov_b64_e32 v[84:85], v[6:7]
	s_branch .LBB1001_480
.LBB1001_479:                           ;   in Loop: Header=BB1001_480 Depth=2
	s_or_b64 exec, exec, s[30:31]
	s_and_b64 s[4:5], exec, s[24:25]
	s_or_b64 s[20:21], s[4:5], s[20:21]
	s_andn2_b64 s[4:5], s[28:29], exec
	s_and_b64 s[28:29], s[26:27], exec
	s_or_b64 s[28:29], s[4:5], s[28:29]
	s_andn2_b64 s[4:5], s[22:23], exec
	s_and_b64 s[22:23], s[6:7], exec
	s_or_b64 s[22:23], s[4:5], s[22:23]
	s_andn2_b64 exec, exec, s[20:21]
	s_cbranch_execz .LBB1001_475
.LBB1001_480:                           ;   Parent Loop BB1001_477 Depth=1
                                        ; =>  This Inner Loop Header: Depth=2
	flat_load_ubyte v64, v[82:83]
	flat_load_ubyte v71, v[80:81]
	s_andn2_b64 s[30:31], s[6:7], exec
	s_andn2_b64 s[26:27], s[26:27], exec
	s_or_b64 s[24:25], s[24:25], exec
	s_waitcnt vmcnt(0) lgkmcnt(0)
	v_cmp_eq_u16_e64 s[4:5], 0, v64
	v_cmp_ne_u16_e64 s[6:7], 0, v71
	s_or_b64 s[36:37], s[4:5], s[6:7]
	s_and_b64 s[34:35], s[4:5], s[6:7]
	s_xor_b64 s[4:5], s[4:5], s[6:7]
	s_and_b64 s[6:7], s[36:37], s[28:29]
	s_or_b64 s[34:35], s[34:35], s[6:7]
	s_and_b64 s[6:7], s[34:35], exec
	s_or_b64 s[6:7], s[30:31], s[6:7]
	s_and_saveexec_b64 s[30:31], s[4:5]
	s_cbranch_execz .LBB1001_479
; %bb.481:                              ;   in Loop: Header=BB1001_480 Depth=2
	v_lshl_add_u64 v[84:85], v[84:85], 0, -1
	v_cmp_eq_u64_e64 s[4:5], 0, v[84:85]
	s_andn2_b64 s[26:27], s[26:27], exec
	s_and_b64 s[28:29], s[34:35], exec
	s_andn2_b64 s[24:25], s[24:25], exec
	s_and_b64 s[4:5], s[4:5], exec
	v_lshl_add_u64 v[80:81], v[80:81], 0, 1
	v_lshl_add_u64 v[82:83], v[82:83], 0, 1
	s_andn2_b64 s[6:7], s[6:7], exec
	s_or_b64 s[26:27], s[26:27], s[28:29]
	s_or_b64 s[24:25], s[24:25], s[4:5]
                                        ; implicit-def: $sgpr28_sgpr29
	s_branch .LBB1001_479
.LBB1001_482:
	s_or_b64 exec, exec, s[16:17]
.LBB1001_483:
	s_or_b64 exec, exec, s[14:15]
	v_add_u32_e32 v31, v86, v31
	v_add_u32_e32 v64, v96, v97
	v_sub_u32_e32 v66, v31, v96
	v_cmp_le_u32_e64 s[4:5], v64, v86
	v_cmp_le_u32_e64 s[6:7], v66, v87
	s_or_b64 s[4:5], s[4:5], s[6:7]
	s_and_saveexec_b64 s[14:15], s[4:5]
	s_cbranch_execz .LBB1001_555
; %bb.484:
	v_cmp_ge_u32_e64 s[4:5], v64, v86
	v_cmp_lt_u32_e64 s[6:7], v64, v86
                                        ; implicit-def: $vgpr0_vgpr1
	s_and_saveexec_b64 s[16:17], s[6:7]
	s_cbranch_execz .LBB1001_486
; %bb.485:
	v_mov_b32_e32 v65, 0
	v_lshl_add_u64 v[0:1], v[64:65], 3, v[54:55]
	flat_load_dwordx2 v[0:1], v[0:1]
.LBB1001_486:
	s_or_b64 exec, exec, s[16:17]
	v_cmp_ge_u32_e64 s[16:17], v66, v87
	v_cmp_lt_u32_e64 s[6:7], v66, v87
                                        ; implicit-def: $vgpr2_vgpr3
	s_and_saveexec_b64 s[18:19], s[6:7]
	s_cbranch_execz .LBB1001_488
; %bb.487:
	v_mov_b32_e32 v67, 0
	v_lshl_add_u64 v[2:3], v[66:67], 3, v[54:55]
	flat_load_dwordx2 v[2:3], v[2:3]
.LBB1001_488:
	s_or_b64 exec, exec, s[18:19]
	s_or_b64 s[4:5], s[4:5], s[16:17]
	s_xor_b64 s[4:5], s[4:5], -1
	s_and_saveexec_b64 s[18:19], s[4:5]
	s_cbranch_execz .LBB1001_496
; %bb.489:
	s_mov_b64 s[4:5], 0
	s_and_saveexec_b64 s[20:21], s[2:3]
	s_cbranch_execz .LBB1001_495
; %bb.490:
	s_waitcnt vmcnt(0) lgkmcnt(0)
	v_mad_u64_u32 v[12:13], s[4:5], v0, v6, v[8:9]
	v_mul_lo_u32 v14, v0, v7
	v_mul_lo_u32 v15, v1, v6
	v_add3_u32 v13, v15, v13, v14
	v_mad_u64_u32 v[14:15], s[4:5], v2, v6, v[8:9]
	v_mul_lo_u32 v16, v2, v7
	v_mul_lo_u32 v17, v3, v6
	v_add3_u32 v15, v17, v15, v16
	s_mov_b64 s[22:23], 0
	v_mov_b64_e32 v[16:17], v[6:7]
                                        ; implicit-def: $sgpr24_sgpr25
                                        ; implicit-def: $sgpr26_sgpr27
                                        ; implicit-def: $sgpr28_sgpr29
                                        ; implicit-def: $sgpr6_sgpr7
                                        ; implicit-def: $sgpr30_sgpr31
	s_branch .LBB1001_492
.LBB1001_491:                           ;   in Loop: Header=BB1001_492 Depth=1
	s_or_b64 exec, exec, s[34:35]
	s_and_b64 s[4:5], exec, s[26:27]
	s_or_b64 s[22:23], s[4:5], s[22:23]
	s_andn2_b64 s[4:5], s[30:31], exec
	s_and_b64 s[30:31], s[28:29], exec
	s_or_b64 s[30:31], s[4:5], s[30:31]
	s_andn2_b64 s[4:5], s[24:25], exec
	s_and_b64 s[24:25], s[6:7], exec
	s_or_b64 s[24:25], s[4:5], s[24:25]
	s_andn2_b64 exec, exec, s[22:23]
	s_cbranch_execz .LBB1001_494
.LBB1001_492:                           ; =>This Inner Loop Header: Depth=1
	flat_load_ubyte v18, v[14:15]
	flat_load_ubyte v19, v[12:13]
	s_andn2_b64 s[34:35], s[6:7], exec
	s_andn2_b64 s[28:29], s[28:29], exec
	s_or_b64 s[26:27], s[26:27], exec
	s_waitcnt vmcnt(0) lgkmcnt(0)
	v_cmp_eq_u16_e64 s[4:5], 0, v18
	v_cmp_ne_u16_e64 s[6:7], 0, v19
	s_or_b64 s[38:39], s[4:5], s[6:7]
	s_and_b64 s[36:37], s[4:5], s[6:7]
	s_xor_b64 s[4:5], s[4:5], s[6:7]
	s_and_b64 s[6:7], s[38:39], s[30:31]
	s_or_b64 s[36:37], s[36:37], s[6:7]
	s_and_b64 s[6:7], s[36:37], exec
	s_or_b64 s[6:7], s[34:35], s[6:7]
	s_and_saveexec_b64 s[34:35], s[4:5]
	s_cbranch_execz .LBB1001_491
; %bb.493:                              ;   in Loop: Header=BB1001_492 Depth=1
	v_lshl_add_u64 v[16:17], v[16:17], 0, -1
	v_cmp_eq_u64_e64 s[4:5], 0, v[16:17]
	s_andn2_b64 s[28:29], s[28:29], exec
	s_and_b64 s[30:31], s[36:37], exec
	s_andn2_b64 s[26:27], s[26:27], exec
	s_and_b64 s[4:5], s[4:5], exec
	v_lshl_add_u64 v[12:13], v[12:13], 0, 1
	v_lshl_add_u64 v[14:15], v[14:15], 0, 1
	s_andn2_b64 s[6:7], s[6:7], exec
	s_or_b64 s[28:29], s[28:29], s[30:31]
	s_or_b64 s[26:27], s[26:27], s[4:5]
                                        ; implicit-def: $sgpr30_sgpr31
	s_branch .LBB1001_491
.LBB1001_494:
	s_or_b64 exec, exec, s[22:23]
	s_and_b64 s[4:5], s[24:25], exec
.LBB1001_495:
	s_or_b64 exec, exec, s[20:21]
	s_xor_b64 s[4:5], s[4:5], -1
	s_andn2_b64 s[6:7], s[16:17], exec
	s_and_b64 s[4:5], s[4:5], exec
	s_or_b64 s[16:17], s[6:7], s[4:5]
.LBB1001_496:
	s_or_b64 exec, exec, s[18:19]
	v_cndmask_b32_e64 v12, v66, v64, s[16:17]
	v_cndmask_b32_e64 v13, v87, v86, s[16:17]
	v_add_u32_e32 v16, 1, v12
	v_add_u32_e32 v12, -1, v13
	v_min_u32_e32 v12, v16, v12
	v_mov_b32_e32 v13, 0
	v_lshl_add_u64 v[14:15], v[12:13], 3, v[54:55]
	flat_load_dwordx2 v[14:15], v[14:15]
	v_cndmask_b32_e64 v23, v16, v66, s[16:17]
	s_mov_b64 s[18:19], -1
	v_cndmask_b32_e64 v64, v64, v16, s[16:17]
	v_cmp_lt_u32_e64 s[4:5], v23, v87
	s_mov_b64 s[20:21], -1
	s_waitcnt vmcnt(0) lgkmcnt(0)
	v_cndmask_b32_e64 v20, v15, v3, s[16:17]
	v_cndmask_b32_e64 v21, v14, v2, s[16:17]
	;; [unrolled: 1-line block ×4, first 2 shown]
	s_and_saveexec_b64 s[22:23], s[4:5]
	s_cbranch_execz .LBB1001_506
; %bb.497:
	v_cmp_lt_u32_e64 s[4:5], v64, v86
	s_mov_b64 s[6:7], 0
	s_and_saveexec_b64 s[20:21], s[4:5]
	s_cbranch_execz .LBB1001_505
; %bb.498:
	s_mov_b64 s[4:5], 0
	s_and_saveexec_b64 s[24:25], s[2:3]
	s_cbranch_execz .LBB1001_504
; %bb.499:
	v_mad_u64_u32 v[14:15], s[4:5], v31, v6, v[8:9]
	v_mul_lo_u32 v12, v31, v7
	v_mul_lo_u32 v16, v22, v6
	v_add3_u32 v15, v16, v15, v12
	v_mad_u64_u32 v[16:17], s[4:5], v21, v6, v[8:9]
	v_mul_lo_u32 v12, v21, v7
	v_mul_lo_u32 v18, v20, v6
	v_add3_u32 v17, v18, v17, v12
	s_mov_b64 s[26:27], 0
	v_mov_b64_e32 v[18:19], v[6:7]
                                        ; implicit-def: $sgpr28_sgpr29
                                        ; implicit-def: $sgpr30_sgpr31
                                        ; implicit-def: $sgpr34_sgpr35
                                        ; implicit-def: $sgpr6_sgpr7
                                        ; implicit-def: $sgpr36_sgpr37
	s_branch .LBB1001_501
.LBB1001_500:                           ;   in Loop: Header=BB1001_501 Depth=1
	s_or_b64 exec, exec, s[38:39]
	s_and_b64 s[4:5], exec, s[30:31]
	s_or_b64 s[26:27], s[4:5], s[26:27]
	s_andn2_b64 s[4:5], s[36:37], exec
	s_and_b64 s[36:37], s[34:35], exec
	s_or_b64 s[36:37], s[4:5], s[36:37]
	s_andn2_b64 s[4:5], s[28:29], exec
	s_and_b64 s[28:29], s[6:7], exec
	s_or_b64 s[28:29], s[4:5], s[28:29]
	s_andn2_b64 exec, exec, s[26:27]
	s_cbranch_execz .LBB1001_503
.LBB1001_501:                           ; =>This Inner Loop Header: Depth=1
	flat_load_ubyte v12, v[16:17]
	flat_load_ubyte v65, v[14:15]
	s_andn2_b64 s[38:39], s[6:7], exec
	s_andn2_b64 s[34:35], s[34:35], exec
	s_or_b64 s[30:31], s[30:31], exec
	s_waitcnt vmcnt(0) lgkmcnt(0)
	v_cmp_eq_u16_e64 s[4:5], 0, v12
	v_cmp_ne_u16_e64 s[6:7], 0, v65
	s_or_b64 s[42:43], s[4:5], s[6:7]
	s_and_b64 s[40:41], s[4:5], s[6:7]
	s_xor_b64 s[4:5], s[4:5], s[6:7]
	s_and_b64 s[6:7], s[42:43], s[36:37]
	s_or_b64 s[40:41], s[40:41], s[6:7]
	s_and_b64 s[6:7], s[40:41], exec
	s_or_b64 s[6:7], s[38:39], s[6:7]
	s_and_saveexec_b64 s[38:39], s[4:5]
	s_cbranch_execz .LBB1001_500
; %bb.502:                              ;   in Loop: Header=BB1001_501 Depth=1
	v_lshl_add_u64 v[18:19], v[18:19], 0, -1
	v_cmp_eq_u64_e64 s[4:5], 0, v[18:19]
	s_andn2_b64 s[34:35], s[34:35], exec
	s_and_b64 s[36:37], s[40:41], exec
	s_andn2_b64 s[30:31], s[30:31], exec
	s_and_b64 s[4:5], s[4:5], exec
	v_lshl_add_u64 v[14:15], v[14:15], 0, 1
	v_lshl_add_u64 v[16:17], v[16:17], 0, 1
	s_andn2_b64 s[6:7], s[6:7], exec
	s_or_b64 s[34:35], s[34:35], s[36:37]
	s_or_b64 s[30:31], s[30:31], s[4:5]
                                        ; implicit-def: $sgpr36_sgpr37
	s_branch .LBB1001_500
.LBB1001_503:
	s_or_b64 exec, exec, s[26:27]
	s_and_b64 s[4:5], s[28:29], exec
.LBB1001_504:
	s_or_b64 exec, exec, s[24:25]
	s_xor_b64 s[4:5], s[4:5], -1
	s_and_b64 s[6:7], s[4:5], exec
.LBB1001_505:
	s_or_b64 exec, exec, s[20:21]
	s_orn2_b64 s[20:21], s[6:7], exec
.LBB1001_506:
	s_or_b64 exec, exec, s[22:23]
	v_cndmask_b32_e64 v12, v23, v64, s[20:21]
	v_cndmask_b32_e64 v14, v87, v86, s[20:21]
	v_add_u32_e32 v15, 1, v12
	v_add_u32_e32 v12, -1, v14
	v_min_u32_e32 v12, v15, v12
	v_lshl_add_u64 v[12:13], v[12:13], 3, v[54:55]
	flat_load_dwordx2 v[12:13], v[12:13]
	v_cndmask_b32_e64 v18, v15, v23, s[20:21]
	v_cndmask_b32_e64 v19, v64, v15, s[20:21]
	v_cmp_lt_u32_e64 s[4:5], v18, v87
	s_waitcnt vmcnt(0) lgkmcnt(0)
	v_cndmask_b32_e64 v23, v13, v20, s[20:21]
	v_cndmask_b32_e64 v64, v12, v21, s[20:21]
	;; [unrolled: 1-line block ×4, first 2 shown]
	s_and_saveexec_b64 s[22:23], s[4:5]
	s_cbranch_execz .LBB1001_514
; %bb.507:
	v_cmp_lt_u32_e64 s[18:19], v19, v86
	s_xor_b64 s[4:5], s[0:1], -1
	s_and_b64 s[4:5], s[18:19], s[4:5]
	s_and_saveexec_b64 s[24:25], s[4:5]
	s_cbranch_execz .LBB1001_513
; %bb.508:
	v_mad_u64_u32 v[12:13], s[4:5], v66, v6, v[8:9]
	v_mul_lo_u32 v14, v66, v7
	v_mul_lo_u32 v15, v65, v6
	v_add3_u32 v13, v15, v13, v14
	v_mad_u64_u32 v[14:15], s[4:5], v64, v6, v[8:9]
	v_mul_lo_u32 v16, v64, v7
	v_mul_lo_u32 v17, v23, v6
	v_add3_u32 v15, v17, v15, v16
	s_mov_b64 s[26:27], 0
	v_mov_b64_e32 v[16:17], v[6:7]
                                        ; implicit-def: $sgpr28_sgpr29
                                        ; implicit-def: $sgpr30_sgpr31
                                        ; implicit-def: $sgpr6_sgpr7
                                        ; implicit-def: $sgpr34_sgpr35
                                        ; implicit-def: $sgpr36_sgpr37
	s_branch .LBB1001_510
.LBB1001_509:                           ;   in Loop: Header=BB1001_510 Depth=1
	s_or_b64 exec, exec, s[38:39]
	s_and_b64 s[4:5], exec, s[30:31]
	s_or_b64 s[26:27], s[4:5], s[26:27]
	s_andn2_b64 s[4:5], s[36:37], exec
	s_and_b64 s[36:37], s[34:35], exec
	s_or_b64 s[36:37], s[4:5], s[36:37]
	s_andn2_b64 s[4:5], s[28:29], exec
	s_and_b64 s[28:29], s[6:7], exec
	s_or_b64 s[28:29], s[4:5], s[28:29]
	s_andn2_b64 exec, exec, s[26:27]
	s_cbranch_execz .LBB1001_512
.LBB1001_510:                           ; =>This Inner Loop Header: Depth=1
	flat_load_ubyte v67, v[14:15]
	flat_load_ubyte v68, v[12:13]
	s_andn2_b64 s[38:39], s[6:7], exec
	s_andn2_b64 s[34:35], s[34:35], exec
	s_or_b64 s[30:31], s[30:31], exec
	s_waitcnt vmcnt(0) lgkmcnt(0)
	v_cmp_eq_u16_e64 s[4:5], 0, v67
	v_cmp_ne_u16_e64 s[6:7], 0, v68
	s_or_b64 s[42:43], s[4:5], s[6:7]
	s_and_b64 s[40:41], s[4:5], s[6:7]
	s_xor_b64 s[4:5], s[4:5], s[6:7]
	s_and_b64 s[6:7], s[42:43], s[36:37]
	s_or_b64 s[40:41], s[40:41], s[6:7]
	s_and_b64 s[6:7], s[40:41], exec
	s_or_b64 s[6:7], s[38:39], s[6:7]
	s_and_saveexec_b64 s[38:39], s[4:5]
	s_cbranch_execz .LBB1001_509
; %bb.511:                              ;   in Loop: Header=BB1001_510 Depth=1
	v_lshl_add_u64 v[16:17], v[16:17], 0, -1
	v_cmp_eq_u64_e64 s[4:5], 0, v[16:17]
	s_andn2_b64 s[34:35], s[34:35], exec
	s_and_b64 s[36:37], s[40:41], exec
	s_andn2_b64 s[30:31], s[30:31], exec
	s_and_b64 s[4:5], s[4:5], exec
	v_lshl_add_u64 v[12:13], v[12:13], 0, 1
	v_lshl_add_u64 v[14:15], v[14:15], 0, 1
	s_or_b64 s[34:35], s[34:35], s[36:37]
	s_andn2_b64 s[6:7], s[6:7], exec
	s_or_b64 s[30:31], s[30:31], s[4:5]
                                        ; implicit-def: $sgpr36_sgpr37
	s_branch .LBB1001_509
.LBB1001_512:
	s_or_b64 exec, exec, s[26:27]
	s_xor_b64 s[4:5], s[28:29], -1
	s_andn2_b64 s[6:7], s[18:19], exec
	s_and_b64 s[4:5], s[4:5], exec
	s_or_b64 s[18:19], s[6:7], s[4:5]
.LBB1001_513:
	s_or_b64 exec, exec, s[24:25]
	s_orn2_b64 s[18:19], s[18:19], exec
.LBB1001_514:
	s_or_b64 exec, exec, s[22:23]
	v_cndmask_b32_e64 v12, v18, v19, s[18:19]
	v_cndmask_b32_e64 v13, v87, v86, s[18:19]
	v_add_u32_e32 v16, 1, v12
	v_add_u32_e32 v12, -1, v13
	v_min_u32_e32 v12, v16, v12
	v_mov_b32_e32 v13, 0
	v_lshl_add_u64 v[14:15], v[12:13], 3, v[54:55]
	flat_load_dwordx2 v[14:15], v[14:15]
	v_cndmask_b32_e64 v71, v16, v18, s[18:19]
	s_mov_b64 s[22:23], -1
	v_cndmask_b32_e64 v80, v19, v16, s[18:19]
	v_cmp_lt_u32_e64 s[4:5], v71, v87
	s_mov_b64 s[24:25], -1
	s_waitcnt vmcnt(0) lgkmcnt(0)
	v_cndmask_b32_e64 v67, v15, v23, s[18:19]
	v_cndmask_b32_e64 v68, v14, v64, s[18:19]
	;; [unrolled: 1-line block ×4, first 2 shown]
	s_and_saveexec_b64 s[26:27], s[4:5]
	s_cbranch_execz .LBB1001_522
; %bb.515:
	v_cmp_lt_u32_e64 s[24:25], v80, v86
	s_xor_b64 s[4:5], s[0:1], -1
	s_and_b64 s[4:5], s[24:25], s[4:5]
	s_and_saveexec_b64 s[28:29], s[4:5]
	s_cbranch_execz .LBB1001_521
; %bb.516:
	v_mad_u64_u32 v[14:15], s[4:5], v70, v6, v[8:9]
	v_mul_lo_u32 v12, v70, v7
	v_mul_lo_u32 v16, v69, v6
	v_add3_u32 v15, v16, v15, v12
	v_mad_u64_u32 v[16:17], s[4:5], v68, v6, v[8:9]
	v_mul_lo_u32 v12, v68, v7
	v_mul_lo_u32 v18, v67, v6
	v_add3_u32 v17, v18, v17, v12
	s_mov_b64 s[30:31], 0
	v_mov_b64_e32 v[18:19], v[6:7]
                                        ; implicit-def: $sgpr34_sgpr35
                                        ; implicit-def: $sgpr36_sgpr37
                                        ; implicit-def: $sgpr6_sgpr7
                                        ; implicit-def: $sgpr38_sgpr39
                                        ; implicit-def: $sgpr40_sgpr41
	s_branch .LBB1001_518
.LBB1001_517:                           ;   in Loop: Header=BB1001_518 Depth=1
	s_or_b64 exec, exec, s[42:43]
	s_and_b64 s[4:5], exec, s[36:37]
	s_or_b64 s[30:31], s[4:5], s[30:31]
	s_andn2_b64 s[4:5], s[40:41], exec
	s_and_b64 s[40:41], s[38:39], exec
	s_or_b64 s[40:41], s[4:5], s[40:41]
	s_andn2_b64 s[4:5], s[34:35], exec
	s_and_b64 s[34:35], s[6:7], exec
	s_or_b64 s[34:35], s[4:5], s[34:35]
	s_andn2_b64 exec, exec, s[30:31]
	s_cbranch_execz .LBB1001_520
.LBB1001_518:                           ; =>This Inner Loop Header: Depth=1
	flat_load_ubyte v12, v[16:17]
	flat_load_ubyte v81, v[14:15]
	s_andn2_b64 s[42:43], s[6:7], exec
	s_andn2_b64 s[38:39], s[38:39], exec
	s_or_b64 s[36:37], s[36:37], exec
	s_waitcnt vmcnt(0) lgkmcnt(0)
	v_cmp_eq_u16_e64 s[4:5], 0, v12
	v_cmp_ne_u16_e64 s[6:7], 0, v81
	s_or_b64 s[46:47], s[4:5], s[6:7]
	s_and_b64 s[44:45], s[4:5], s[6:7]
	s_xor_b64 s[4:5], s[4:5], s[6:7]
	s_and_b64 s[6:7], s[46:47], s[40:41]
	s_or_b64 s[44:45], s[44:45], s[6:7]
	s_and_b64 s[6:7], s[44:45], exec
	s_or_b64 s[6:7], s[42:43], s[6:7]
	s_and_saveexec_b64 s[42:43], s[4:5]
	s_cbranch_execz .LBB1001_517
; %bb.519:                              ;   in Loop: Header=BB1001_518 Depth=1
	v_lshl_add_u64 v[18:19], v[18:19], 0, -1
	v_cmp_eq_u64_e64 s[4:5], 0, v[18:19]
	s_andn2_b64 s[38:39], s[38:39], exec
	s_and_b64 s[40:41], s[44:45], exec
	s_andn2_b64 s[36:37], s[36:37], exec
	s_and_b64 s[4:5], s[4:5], exec
	v_lshl_add_u64 v[14:15], v[14:15], 0, 1
	v_lshl_add_u64 v[16:17], v[16:17], 0, 1
	s_or_b64 s[38:39], s[38:39], s[40:41]
	s_andn2_b64 s[6:7], s[6:7], exec
	s_or_b64 s[36:37], s[36:37], s[4:5]
                                        ; implicit-def: $sgpr40_sgpr41
	s_branch .LBB1001_517
.LBB1001_520:
	s_or_b64 exec, exec, s[30:31]
	s_xor_b64 s[4:5], s[34:35], -1
	s_andn2_b64 s[6:7], s[24:25], exec
	s_and_b64 s[4:5], s[4:5], exec
	s_or_b64 s[24:25], s[6:7], s[4:5]
.LBB1001_521:
	s_or_b64 exec, exec, s[28:29]
	s_orn2_b64 s[24:25], s[24:25], exec
.LBB1001_522:
	s_or_b64 exec, exec, s[26:27]
	v_cndmask_b32_e64 v12, v71, v80, s[24:25]
	v_cndmask_b32_e64 v14, v87, v86, s[24:25]
	v_add_u32_e32 v15, 1, v12
	v_add_u32_e32 v12, -1, v14
	v_min_u32_e32 v12, v15, v12
	v_lshl_add_u64 v[12:13], v[12:13], 3, v[54:55]
	flat_load_dwordx2 v[12:13], v[12:13]
	v_cndmask_b32_e64 v18, v15, v71, s[24:25]
	v_cndmask_b32_e64 v19, v80, v15, s[24:25]
	v_cmp_lt_u32_e64 s[4:5], v18, v87
	s_waitcnt vmcnt(0) lgkmcnt(0)
	v_cndmask_b32_e64 v71, v13, v67, s[24:25]
	v_cndmask_b32_e64 v80, v12, v68, s[24:25]
	;; [unrolled: 1-line block ×4, first 2 shown]
	s_and_saveexec_b64 s[26:27], s[4:5]
	s_cbranch_execz .LBB1001_530
; %bb.523:
	v_cmp_lt_u32_e64 s[22:23], v19, v86
	s_xor_b64 s[4:5], s[0:1], -1
	s_and_b64 s[4:5], s[22:23], s[4:5]
	s_and_saveexec_b64 s[28:29], s[4:5]
	s_cbranch_execz .LBB1001_529
; %bb.524:
	v_mad_u64_u32 v[12:13], s[4:5], v82, v6, v[8:9]
	v_mul_lo_u32 v14, v82, v7
	v_mul_lo_u32 v15, v81, v6
	v_add3_u32 v13, v15, v13, v14
	v_mad_u64_u32 v[14:15], s[4:5], v80, v6, v[8:9]
	v_mul_lo_u32 v16, v80, v7
	v_mul_lo_u32 v17, v71, v6
	v_add3_u32 v15, v17, v15, v16
	s_mov_b64 s[30:31], 0
	v_mov_b64_e32 v[16:17], v[6:7]
                                        ; implicit-def: $sgpr34_sgpr35
                                        ; implicit-def: $sgpr36_sgpr37
                                        ; implicit-def: $sgpr6_sgpr7
                                        ; implicit-def: $sgpr38_sgpr39
                                        ; implicit-def: $sgpr40_sgpr41
	s_branch .LBB1001_526
.LBB1001_525:                           ;   in Loop: Header=BB1001_526 Depth=1
	s_or_b64 exec, exec, s[42:43]
	s_and_b64 s[4:5], exec, s[36:37]
	s_or_b64 s[30:31], s[4:5], s[30:31]
	s_andn2_b64 s[4:5], s[40:41], exec
	s_and_b64 s[40:41], s[38:39], exec
	s_or_b64 s[40:41], s[4:5], s[40:41]
	s_andn2_b64 s[4:5], s[34:35], exec
	s_and_b64 s[34:35], s[6:7], exec
	s_or_b64 s[34:35], s[4:5], s[34:35]
	s_andn2_b64 exec, exec, s[30:31]
	s_cbranch_execz .LBB1001_528
.LBB1001_526:                           ; =>This Inner Loop Header: Depth=1
	flat_load_ubyte v83, v[14:15]
	flat_load_ubyte v84, v[12:13]
	s_andn2_b64 s[42:43], s[6:7], exec
	s_andn2_b64 s[38:39], s[38:39], exec
	s_or_b64 s[36:37], s[36:37], exec
	s_waitcnt vmcnt(0) lgkmcnt(0)
	v_cmp_eq_u16_e64 s[4:5], 0, v83
	v_cmp_ne_u16_e64 s[6:7], 0, v84
	s_or_b64 s[46:47], s[4:5], s[6:7]
	s_and_b64 s[44:45], s[4:5], s[6:7]
	s_xor_b64 s[4:5], s[4:5], s[6:7]
	s_and_b64 s[6:7], s[46:47], s[40:41]
	s_or_b64 s[44:45], s[44:45], s[6:7]
	s_and_b64 s[6:7], s[44:45], exec
	s_or_b64 s[6:7], s[42:43], s[6:7]
	s_and_saveexec_b64 s[42:43], s[4:5]
	s_cbranch_execz .LBB1001_525
; %bb.527:                              ;   in Loop: Header=BB1001_526 Depth=1
	v_lshl_add_u64 v[16:17], v[16:17], 0, -1
	v_cmp_eq_u64_e64 s[4:5], 0, v[16:17]
	s_andn2_b64 s[38:39], s[38:39], exec
	s_and_b64 s[40:41], s[44:45], exec
	s_andn2_b64 s[36:37], s[36:37], exec
	s_and_b64 s[4:5], s[4:5], exec
	v_lshl_add_u64 v[12:13], v[12:13], 0, 1
	v_lshl_add_u64 v[14:15], v[14:15], 0, 1
	s_or_b64 s[38:39], s[38:39], s[40:41]
	s_andn2_b64 s[6:7], s[6:7], exec
	s_or_b64 s[36:37], s[36:37], s[4:5]
                                        ; implicit-def: $sgpr40_sgpr41
	s_branch .LBB1001_525
.LBB1001_528:
	s_or_b64 exec, exec, s[30:31]
	s_xor_b64 s[4:5], s[34:35], -1
	s_andn2_b64 s[6:7], s[22:23], exec
	s_and_b64 s[4:5], s[4:5], exec
	s_or_b64 s[22:23], s[6:7], s[4:5]
.LBB1001_529:
	s_or_b64 exec, exec, s[28:29]
	s_orn2_b64 s[22:23], s[22:23], exec
.LBB1001_530:
	s_or_b64 exec, exec, s[26:27]
	v_cndmask_b32_e64 v12, v18, v19, s[22:23]
	v_cndmask_b32_e64 v13, v87, v86, s[22:23]
	v_add_u32_e32 v16, 1, v12
	v_add_u32_e32 v12, -1, v13
	v_min_u32_e32 v12, v16, v12
	v_mov_b32_e32 v13, 0
	v_lshl_add_u64 v[14:15], v[12:13], 3, v[54:55]
	flat_load_dwordx2 v[14:15], v[14:15]
	v_cndmask_b32_e64 v97, v16, v18, s[22:23]
	s_mov_b64 s[26:27], -1
	v_cndmask_b32_e64 v98, v19, v16, s[22:23]
	v_cmp_lt_u32_e64 s[4:5], v97, v87
	s_mov_b64 s[28:29], -1
	s_waitcnt vmcnt(0) lgkmcnt(0)
	v_cndmask_b32_e64 v83, v15, v71, s[22:23]
	v_cndmask_b32_e64 v84, v14, v80, s[22:23]
	;; [unrolled: 1-line block ×4, first 2 shown]
	s_and_saveexec_b64 s[30:31], s[4:5]
	s_cbranch_execz .LBB1001_538
; %bb.531:
	v_cmp_lt_u32_e64 s[28:29], v98, v86
	s_xor_b64 s[4:5], s[0:1], -1
	s_and_b64 s[4:5], s[28:29], s[4:5]
	s_and_saveexec_b64 s[34:35], s[4:5]
	s_cbranch_execz .LBB1001_537
; %bb.532:
	v_mad_u64_u32 v[14:15], s[4:5], v96, v6, v[8:9]
	v_mul_lo_u32 v12, v96, v7
	v_mul_lo_u32 v16, v85, v6
	v_add3_u32 v15, v16, v15, v12
	v_mad_u64_u32 v[16:17], s[4:5], v84, v6, v[8:9]
	v_mul_lo_u32 v12, v84, v7
	v_mul_lo_u32 v18, v83, v6
	v_add3_u32 v17, v18, v17, v12
	s_mov_b64 s[36:37], 0
	v_mov_b64_e32 v[18:19], v[6:7]
                                        ; implicit-def: $sgpr38_sgpr39
                                        ; implicit-def: $sgpr40_sgpr41
                                        ; implicit-def: $sgpr6_sgpr7
                                        ; implicit-def: $sgpr42_sgpr43
                                        ; implicit-def: $sgpr44_sgpr45
	s_branch .LBB1001_534
.LBB1001_533:                           ;   in Loop: Header=BB1001_534 Depth=1
	s_or_b64 exec, exec, s[46:47]
	s_and_b64 s[4:5], exec, s[40:41]
	s_or_b64 s[36:37], s[4:5], s[36:37]
	s_andn2_b64 s[4:5], s[44:45], exec
	s_and_b64 s[44:45], s[42:43], exec
	s_or_b64 s[44:45], s[4:5], s[44:45]
	s_andn2_b64 s[4:5], s[38:39], exec
	s_and_b64 s[38:39], s[6:7], exec
	s_or_b64 s[38:39], s[4:5], s[38:39]
	s_andn2_b64 exec, exec, s[36:37]
	s_cbranch_execz .LBB1001_536
.LBB1001_534:                           ; =>This Inner Loop Header: Depth=1
	flat_load_ubyte v12, v[16:17]
	flat_load_ubyte v99, v[14:15]
	s_andn2_b64 s[46:47], s[6:7], exec
	s_andn2_b64 s[42:43], s[42:43], exec
	s_or_b64 s[40:41], s[40:41], exec
	s_waitcnt vmcnt(0) lgkmcnt(0)
	v_cmp_eq_u16_e64 s[4:5], 0, v12
	v_cmp_ne_u16_e64 s[6:7], 0, v99
	s_or_b64 s[50:51], s[4:5], s[6:7]
	s_and_b64 s[48:49], s[4:5], s[6:7]
	s_xor_b64 s[4:5], s[4:5], s[6:7]
	s_and_b64 s[6:7], s[50:51], s[44:45]
	s_or_b64 s[48:49], s[48:49], s[6:7]
	s_and_b64 s[6:7], s[48:49], exec
	s_or_b64 s[6:7], s[46:47], s[6:7]
	s_and_saveexec_b64 s[46:47], s[4:5]
	s_cbranch_execz .LBB1001_533
; %bb.535:                              ;   in Loop: Header=BB1001_534 Depth=1
	v_lshl_add_u64 v[18:19], v[18:19], 0, -1
	v_cmp_eq_u64_e64 s[4:5], 0, v[18:19]
	s_andn2_b64 s[42:43], s[42:43], exec
	s_and_b64 s[44:45], s[48:49], exec
	s_andn2_b64 s[40:41], s[40:41], exec
	s_and_b64 s[4:5], s[4:5], exec
	v_lshl_add_u64 v[14:15], v[14:15], 0, 1
	v_lshl_add_u64 v[16:17], v[16:17], 0, 1
	s_or_b64 s[42:43], s[42:43], s[44:45]
	s_andn2_b64 s[6:7], s[6:7], exec
	s_or_b64 s[40:41], s[40:41], s[4:5]
                                        ; implicit-def: $sgpr44_sgpr45
	s_branch .LBB1001_533
.LBB1001_536:
	s_or_b64 exec, exec, s[36:37]
	s_xor_b64 s[4:5], s[38:39], -1
	s_andn2_b64 s[6:7], s[28:29], exec
	s_and_b64 s[4:5], s[4:5], exec
	s_or_b64 s[28:29], s[6:7], s[4:5]
.LBB1001_537:
	s_or_b64 exec, exec, s[34:35]
	s_orn2_b64 s[28:29], s[28:29], exec
.LBB1001_538:
	s_or_b64 exec, exec, s[30:31]
	v_cndmask_b32_e64 v12, v97, v98, s[28:29]
	v_cndmask_b32_e64 v14, v87, v86, s[28:29]
	v_add_u32_e32 v15, 1, v12
	v_add_u32_e32 v12, -1, v14
	v_min_u32_e32 v12, v15, v12
	v_lshl_add_u64 v[12:13], v[12:13], 3, v[54:55]
	flat_load_dwordx2 v[12:13], v[12:13]
	v_cndmask_b32_e64 v100, v15, v97, s[28:29]
	v_cndmask_b32_e64 v97, v98, v15, s[28:29]
	v_cmp_lt_u32_e64 s[4:5], v100, v87
	s_waitcnt vmcnt(0) lgkmcnt(0)
	v_cndmask_b32_e64 v98, v13, v83, s[28:29]
	v_cndmask_b32_e64 v99, v12, v84, s[28:29]
	;; [unrolled: 1-line block ×4, first 2 shown]
	s_and_saveexec_b64 s[30:31], s[4:5]
	s_cbranch_execz .LBB1001_546
; %bb.539:
	v_cmp_lt_u32_e64 s[26:27], v97, v86
	s_xor_b64 s[4:5], s[0:1], -1
	s_and_b64 s[4:5], s[26:27], s[4:5]
	s_and_saveexec_b64 s[34:35], s[4:5]
	s_cbranch_execz .LBB1001_545
; %bb.540:
	v_mad_u64_u32 v[12:13], s[4:5], v102, v6, v[8:9]
	v_mul_lo_u32 v14, v102, v7
	v_mul_lo_u32 v15, v101, v6
	v_add3_u32 v13, v15, v13, v14
	v_mad_u64_u32 v[14:15], s[4:5], v99, v6, v[8:9]
	v_mul_lo_u32 v16, v99, v7
	v_mul_lo_u32 v17, v98, v6
	v_add3_u32 v15, v17, v15, v16
	s_mov_b64 s[36:37], 0
	v_mov_b64_e32 v[16:17], v[6:7]
                                        ; implicit-def: $sgpr38_sgpr39
                                        ; implicit-def: $sgpr40_sgpr41
                                        ; implicit-def: $sgpr6_sgpr7
                                        ; implicit-def: $sgpr42_sgpr43
                                        ; implicit-def: $sgpr44_sgpr45
	s_branch .LBB1001_542
.LBB1001_541:                           ;   in Loop: Header=BB1001_542 Depth=1
	s_or_b64 exec, exec, s[46:47]
	s_and_b64 s[4:5], exec, s[40:41]
	s_or_b64 s[36:37], s[4:5], s[36:37]
	s_andn2_b64 s[4:5], s[44:45], exec
	s_and_b64 s[44:45], s[42:43], exec
	s_or_b64 s[44:45], s[4:5], s[44:45]
	s_andn2_b64 s[4:5], s[38:39], exec
	s_and_b64 s[38:39], s[6:7], exec
	s_or_b64 s[38:39], s[4:5], s[38:39]
	s_andn2_b64 exec, exec, s[36:37]
	s_cbranch_execz .LBB1001_544
.LBB1001_542:                           ; =>This Inner Loop Header: Depth=1
	flat_load_ubyte v18, v[14:15]
	flat_load_ubyte v19, v[12:13]
	s_andn2_b64 s[46:47], s[6:7], exec
	s_andn2_b64 s[42:43], s[42:43], exec
	s_or_b64 s[40:41], s[40:41], exec
	s_waitcnt vmcnt(0) lgkmcnt(0)
	v_cmp_eq_u16_e64 s[4:5], 0, v18
	v_cmp_ne_u16_e64 s[6:7], 0, v19
	s_or_b64 s[50:51], s[4:5], s[6:7]
	s_and_b64 s[48:49], s[4:5], s[6:7]
	s_xor_b64 s[4:5], s[4:5], s[6:7]
	s_and_b64 s[6:7], s[50:51], s[44:45]
	s_or_b64 s[48:49], s[48:49], s[6:7]
	s_and_b64 s[6:7], s[48:49], exec
	s_or_b64 s[6:7], s[46:47], s[6:7]
	s_and_saveexec_b64 s[46:47], s[4:5]
	s_cbranch_execz .LBB1001_541
; %bb.543:                              ;   in Loop: Header=BB1001_542 Depth=1
	v_lshl_add_u64 v[16:17], v[16:17], 0, -1
	v_cmp_eq_u64_e64 s[4:5], 0, v[16:17]
	s_andn2_b64 s[42:43], s[42:43], exec
	s_and_b64 s[44:45], s[48:49], exec
	s_andn2_b64 s[40:41], s[40:41], exec
	s_and_b64 s[4:5], s[4:5], exec
	v_lshl_add_u64 v[12:13], v[12:13], 0, 1
	v_lshl_add_u64 v[14:15], v[14:15], 0, 1
	s_or_b64 s[42:43], s[42:43], s[44:45]
	s_andn2_b64 s[6:7], s[6:7], exec
	s_or_b64 s[40:41], s[40:41], s[4:5]
                                        ; implicit-def: $sgpr44_sgpr45
	s_branch .LBB1001_541
.LBB1001_544:
	s_or_b64 exec, exec, s[36:37]
	s_xor_b64 s[4:5], s[38:39], -1
	s_andn2_b64 s[6:7], s[26:27], exec
	s_and_b64 s[4:5], s[4:5], exec
	s_or_b64 s[26:27], s[6:7], s[4:5]
.LBB1001_545:
	s_or_b64 exec, exec, s[34:35]
	s_orn2_b64 s[26:27], s[26:27], exec
.LBB1001_546:
	s_or_b64 exec, exec, s[30:31]
	v_cndmask_b32_e64 v12, v100, v97, s[26:27]
	v_cndmask_b32_e64 v13, v87, v86, s[26:27]
	v_add_u32_e32 v103, 1, v12
	v_add_u32_e32 v12, -1, v13
	v_min_u32_e32 v12, v103, v12
	v_mov_b32_e32 v13, 0
	v_lshl_add_u64 v[12:13], v[12:13], 3, v[54:55]
	flat_load_dwordx2 v[54:55], v[12:13]
	v_cndmask_b32_e64 v17, v23, v65, s[18:19]
	v_cndmask_b32_e64 v23, v20, v22, s[20:21]
	;; [unrolled: 1-line block ×15, first 2 shown]
	v_cmp_lt_u32_e64 s[4:5], v31, v87
	s_waitcnt vmcnt(0) lgkmcnt(0)
	v_cndmask_b32_e64 v3, v101, v55, s[26:27]
	v_cndmask_b32_e64 v2, v102, v54, s[26:27]
	s_and_saveexec_b64 s[16:17], s[4:5]
	s_cbranch_execz .LBB1001_554
; %bb.547:
	v_cndmask_b32_e64 v68, v54, v99, s[26:27]
	v_cndmask_b32_e64 v54, v97, v103, s[26:27]
	v_cmp_ge_u32_e64 s[4:5], v54, v86
	v_cndmask_b32_e64 v31, v55, v98, s[26:27]
	s_or_b64 s[6:7], s[4:5], s[0:1]
	v_cndmask_b32_e64 v55, v3, v31, s[4:5]
	s_xor_b64 s[6:7], s[6:7], -1
	v_cndmask_b32_e64 v54, v2, v68, s[4:5]
	s_and_saveexec_b64 s[18:19], s[6:7]
	s_cbranch_execz .LBB1001_553
; %bb.548:
	v_mad_u64_u32 v[54:55], s[4:5], v2, v6, v[8:9]
	v_mul_lo_u32 v64, v2, v7
	v_mul_lo_u32 v65, v3, v6
	v_add3_u32 v55, v65, v55, v64
	v_mad_u64_u32 v[64:65], s[4:5], v68, v6, v[8:9]
	v_mul_lo_u32 v66, v68, v7
	v_mul_lo_u32 v67, v31, v6
	v_add3_u32 v65, v67, v65, v66
	s_mov_b64 s[20:21], 0
	v_mov_b64_e32 v[66:67], v[6:7]
                                        ; implicit-def: $sgpr22_sgpr23
                                        ; implicit-def: $sgpr24_sgpr25
                                        ; implicit-def: $sgpr6_sgpr7
                                        ; implicit-def: $sgpr26_sgpr27
                                        ; implicit-def: $sgpr28_sgpr29
	s_branch .LBB1001_550
.LBB1001_549:                           ;   in Loop: Header=BB1001_550 Depth=1
	s_or_b64 exec, exec, s[30:31]
	s_and_b64 s[4:5], exec, s[24:25]
	s_or_b64 s[20:21], s[4:5], s[20:21]
	s_andn2_b64 s[4:5], s[28:29], exec
	s_and_b64 s[28:29], s[26:27], exec
	s_or_b64 s[28:29], s[4:5], s[28:29]
	s_andn2_b64 s[4:5], s[22:23], exec
	s_and_b64 s[22:23], s[6:7], exec
	s_or_b64 s[22:23], s[4:5], s[22:23]
	s_andn2_b64 exec, exec, s[20:21]
	s_cbranch_execz .LBB1001_552
.LBB1001_550:                           ; =>This Inner Loop Header: Depth=1
	flat_load_ubyte v69, v[64:65]
	flat_load_ubyte v70, v[54:55]
	s_andn2_b64 s[30:31], s[6:7], exec
	s_andn2_b64 s[26:27], s[26:27], exec
	s_or_b64 s[24:25], s[24:25], exec
	s_waitcnt vmcnt(0) lgkmcnt(0)
	v_cmp_eq_u16_e64 s[4:5], 0, v69
	v_cmp_ne_u16_e64 s[6:7], 0, v70
	s_or_b64 s[36:37], s[4:5], s[6:7]
	s_and_b64 s[34:35], s[4:5], s[6:7]
	s_xor_b64 s[4:5], s[4:5], s[6:7]
	s_and_b64 s[6:7], s[36:37], s[28:29]
	s_or_b64 s[34:35], s[34:35], s[6:7]
	s_and_b64 s[6:7], s[34:35], exec
	s_or_b64 s[6:7], s[30:31], s[6:7]
	s_and_saveexec_b64 s[30:31], s[4:5]
	s_cbranch_execz .LBB1001_549
; %bb.551:                              ;   in Loop: Header=BB1001_550 Depth=1
	v_lshl_add_u64 v[66:67], v[66:67], 0, -1
	v_cmp_eq_u64_e64 s[4:5], 0, v[66:67]
	s_andn2_b64 s[26:27], s[26:27], exec
	s_and_b64 s[28:29], s[34:35], exec
	s_andn2_b64 s[24:25], s[24:25], exec
	s_and_b64 s[4:5], s[4:5], exec
	v_lshl_add_u64 v[54:55], v[54:55], 0, 1
	v_lshl_add_u64 v[64:65], v[64:65], 0, 1
	s_or_b64 s[26:27], s[26:27], s[28:29]
	s_andn2_b64 s[6:7], s[6:7], exec
	s_or_b64 s[24:25], s[24:25], s[4:5]
                                        ; implicit-def: $sgpr28_sgpr29
	s_branch .LBB1001_549
.LBB1001_552:
	s_or_b64 exec, exec, s[20:21]
	v_cndmask_b32_e64 v55, v3, v31, s[22:23]
	v_cndmask_b32_e64 v54, v2, v68, s[22:23]
.LBB1001_553:
	s_or_b64 exec, exec, s[18:19]
	v_mov_b64_e32 v[2:3], v[54:55]
.LBB1001_554:
	s_or_b64 exec, exec, s[16:17]
.LBB1001_555:
	s_or_b64 exec, exec, s[14:15]
	v_lshlrev_b32_e32 v54, 3, v30
	v_mov_b32_e32 v55, 0
	v_lshl_add_u64 v[64:65], v[10:11], 0, v[54:55]
	s_movk_i32 s50, 0x80
	; wave barrier
	s_waitcnt lgkmcnt(0)
	s_barrier
.LBB1001_556:                           ; =>This Loop Header: Depth=1
                                        ;     Child Loop BB1001_560 Depth 2
                                        ;       Child Loop BB1001_563 Depth 3
                                        ;     Child Loop BB1001_575 Depth 2
                                        ;     Child Loop BB1001_584 Depth 2
	;; [unrolled: 1-line block ×8, first 2 shown]
	s_lshl_b32 s51, s50, 1
	s_sub_i32 s5, 0, s51
	v_and_b32_e32 v87, s5, v30
	v_add_u32_e32 v31, s50, v87
	v_min_u32_e32 v31, 0x800, v31
	s_add_i32 s4, s51, -1
	v_add_u32_e32 v54, s50, v31
	v_min_u32_e32 v86, 0x800, v54
	v_and_b32_e32 v54, s4, v30
	v_min_u32_e32 v96, 0x800, v54
	v_sub_u32_e32 v54, v31, v87
	v_sub_u32_e32 v66, v86, v31
	v_sub_u32_e64 v97, v96, v66 clamp
	v_min_u32_e32 v98, v96, v54
	v_cmp_lt_u32_e64 s[4:5], v97, v98
	flat_store_dwordx4 v[64:65], v[20:23]
	flat_store_dwordx4 v[64:65], v[16:19] offset:16
	flat_store_dwordx4 v[64:65], v[12:15] offset:32
	;; [unrolled: 1-line block ×3, first 2 shown]
	s_waitcnt lgkmcnt(0)
	s_barrier
	s_and_saveexec_b64 s[14:15], s[4:5]
	s_cbranch_execz .LBB1001_566
; %bb.557:                              ;   in Loop: Header=BB1001_556 Depth=1
	v_lshlrev_b32_e32 v54, 3, v87
	v_lshl_add_u64 v[66:67], v[10:11], 0, v[54:55]
	v_lshlrev_b32_e32 v54, 3, v31
	v_lshl_add_u64 v[68:69], v[10:11], 0, v[54:55]
	s_mov_b64 s[16:17], 0
	s_branch .LBB1001_560
.LBB1001_558:                           ;   in Loop: Header=BB1001_560 Depth=2
	s_or_b64 exec, exec, s[20:21]
	s_and_b64 s[4:5], s[22:23], exec
.LBB1001_559:                           ;   in Loop: Header=BB1001_560 Depth=2
	s_or_b64 exec, exec, s[18:19]
	v_add_u32_e32 v54, 1, v70
	v_cndmask_b32_e64 v98, v98, v70, s[4:5]
	v_cndmask_b32_e64 v97, v54, v97, s[4:5]
	v_cmp_ge_u32_e64 s[4:5], v97, v98
	s_or_b64 s[16:17], s[4:5], s[16:17]
	s_andn2_b64 exec, exec, s[16:17]
	s_cbranch_execz .LBB1001_565
.LBB1001_560:                           ;   Parent Loop BB1001_556 Depth=1
                                        ; =>  This Loop Header: Depth=2
                                        ;       Child Loop BB1001_563 Depth 3
	v_add_u32_e32 v54, v98, v97
	v_lshrrev_b32_e32 v70, 1, v54
	s_mov_b64 s[4:5], 0
	s_and_saveexec_b64 s[18:19], vcc
	s_cbranch_execz .LBB1001_559
; %bb.561:                              ;   in Loop: Header=BB1001_560 Depth=2
	v_mov_b32_e32 v71, v55
	v_xad_u32 v54, v70, -1, v96
	v_lshl_add_u64 v[80:81], v[70:71], 3, v[66:67]
	v_lshl_add_u64 v[82:83], v[54:55], 3, v[68:69]
	flat_load_dwordx2 v[80:81], v[80:81]
	s_mov_b64 s[20:21], 0
	flat_load_dwordx2 v[82:83], v[82:83]
                                        ; implicit-def: $sgpr22_sgpr23
                                        ; implicit-def: $sgpr24_sgpr25
                                        ; implicit-def: $sgpr26_sgpr27
                                        ; implicit-def: $sgpr6_sgpr7
                                        ; implicit-def: $sgpr28_sgpr29
	s_waitcnt vmcnt(0) lgkmcnt(0)
	v_mul_lo_u32 v54, v80, v7
	v_mul_lo_u32 v71, v81, v6
	v_mad_u64_u32 v[80:81], s[4:5], v80, v6, v[8:9]
	v_mul_lo_u32 v84, v82, v7
	v_mul_lo_u32 v85, v83, v6
	v_mad_u64_u32 v[82:83], s[4:5], v82, v6, v[8:9]
	v_add3_u32 v81, v71, v81, v54
	v_add3_u32 v83, v85, v83, v84
	v_mov_b64_e32 v[84:85], v[6:7]
	s_branch .LBB1001_563
.LBB1001_562:                           ;   in Loop: Header=BB1001_563 Depth=3
	s_or_b64 exec, exec, s[30:31]
	s_and_b64 s[4:5], exec, s[24:25]
	s_or_b64 s[20:21], s[4:5], s[20:21]
	s_andn2_b64 s[4:5], s[28:29], exec
	s_and_b64 s[28:29], s[26:27], exec
	s_or_b64 s[28:29], s[4:5], s[28:29]
	s_andn2_b64 s[4:5], s[22:23], exec
	s_and_b64 s[22:23], s[6:7], exec
	s_or_b64 s[22:23], s[4:5], s[22:23]
	s_andn2_b64 exec, exec, s[20:21]
	s_cbranch_execz .LBB1001_558
.LBB1001_563:                           ;   Parent Loop BB1001_556 Depth=1
                                        ;     Parent Loop BB1001_560 Depth=2
                                        ; =>    This Inner Loop Header: Depth=3
	flat_load_ubyte v54, v[82:83]
	flat_load_ubyte v71, v[80:81]
	s_andn2_b64 s[30:31], s[6:7], exec
	s_andn2_b64 s[26:27], s[26:27], exec
	s_or_b64 s[24:25], s[24:25], exec
	s_waitcnt vmcnt(0) lgkmcnt(0)
	v_cmp_eq_u16_e64 s[4:5], 0, v54
	v_cmp_ne_u16_e64 s[6:7], 0, v71
	s_or_b64 s[36:37], s[4:5], s[6:7]
	s_and_b64 s[34:35], s[4:5], s[6:7]
	s_xor_b64 s[4:5], s[4:5], s[6:7]
	s_and_b64 s[6:7], s[36:37], s[28:29]
	s_or_b64 s[34:35], s[34:35], s[6:7]
	s_and_b64 s[6:7], s[34:35], exec
	s_or_b64 s[6:7], s[30:31], s[6:7]
	s_and_saveexec_b64 s[30:31], s[4:5]
	s_cbranch_execz .LBB1001_562
; %bb.564:                              ;   in Loop: Header=BB1001_563 Depth=3
	v_lshl_add_u64 v[84:85], v[84:85], 0, -1
	v_cmp_eq_u64_e64 s[4:5], 0, v[84:85]
	s_andn2_b64 s[26:27], s[26:27], exec
	s_and_b64 s[28:29], s[34:35], exec
	s_andn2_b64 s[24:25], s[24:25], exec
	s_and_b64 s[4:5], s[4:5], exec
	v_lshl_add_u64 v[80:81], v[80:81], 0, 1
	v_lshl_add_u64 v[82:83], v[82:83], 0, 1
	s_andn2_b64 s[6:7], s[6:7], exec
	s_or_b64 s[26:27], s[26:27], s[28:29]
	s_or_b64 s[24:25], s[24:25], s[4:5]
                                        ; implicit-def: $sgpr28_sgpr29
	s_branch .LBB1001_562
.LBB1001_565:                           ;   in Loop: Header=BB1001_556 Depth=1
	s_or_b64 exec, exec, s[16:17]
.LBB1001_566:                           ;   in Loop: Header=BB1001_556 Depth=1
	s_or_b64 exec, exec, s[14:15]
	v_sub_u32_e32 v54, v96, v97
	v_add_u32_e32 v66, v97, v87
	v_add_u32_e32 v68, v54, v31
	v_cmp_le_u32_e64 s[4:5], v66, v31
	v_cmp_le_u32_e64 s[6:7], v68, v86
	s_or_b64 s[4:5], s[4:5], s[6:7]
	s_and_saveexec_b64 s[14:15], s[4:5]
	s_cbranch_execz .LBB1001_638
; %bb.567:                              ;   in Loop: Header=BB1001_556 Depth=1
	v_cmp_ge_u32_e64 s[4:5], v66, v31
	v_cmp_lt_u32_e64 s[6:7], v66, v31
                                        ; implicit-def: $vgpr0_vgpr1
	s_and_saveexec_b64 s[16:17], s[6:7]
	s_cbranch_execz .LBB1001_569
; %bb.568:                              ;   in Loop: Header=BB1001_556 Depth=1
	v_mov_b32_e32 v67, v55
	v_lshl_add_u64 v[0:1], v[66:67], 3, v[10:11]
	flat_load_dwordx2 v[0:1], v[0:1]
.LBB1001_569:                           ;   in Loop: Header=BB1001_556 Depth=1
	s_or_b64 exec, exec, s[16:17]
	v_cmp_ge_u32_e64 s[16:17], v68, v86
	v_cmp_lt_u32_e64 s[6:7], v68, v86
                                        ; implicit-def: $vgpr20_vgpr21
	s_and_saveexec_b64 s[18:19], s[6:7]
	s_cbranch_execz .LBB1001_571
; %bb.570:                              ;   in Loop: Header=BB1001_556 Depth=1
	v_mov_b32_e32 v69, v55
	v_lshl_add_u64 v[2:3], v[68:69], 3, v[10:11]
	flat_load_dwordx2 v[20:21], v[2:3]
.LBB1001_571:                           ;   in Loop: Header=BB1001_556 Depth=1
	s_or_b64 exec, exec, s[18:19]
	s_or_b64 s[4:5], s[4:5], s[16:17]
	s_xor_b64 s[4:5], s[4:5], -1
	s_and_saveexec_b64 s[18:19], s[4:5]
	s_cbranch_execz .LBB1001_579
; %bb.572:                              ;   in Loop: Header=BB1001_556 Depth=1
	s_mov_b64 s[4:5], 0
	s_and_saveexec_b64 s[20:21], s[2:3]
	s_cbranch_execz .LBB1001_578
; %bb.573:                              ;   in Loop: Header=BB1001_556 Depth=1
	s_waitcnt vmcnt(0) lgkmcnt(0)
	v_mad_u64_u32 v[2:3], s[4:5], v0, v6, v[8:9]
	v_mul_lo_u32 v12, v0, v7
	v_mul_lo_u32 v13, v1, v6
	v_add3_u32 v3, v13, v3, v12
	v_mad_u64_u32 v[12:13], s[4:5], v20, v6, v[8:9]
	v_mul_lo_u32 v14, v20, v7
	v_mul_lo_u32 v15, v21, v6
	v_add3_u32 v13, v15, v13, v14
	s_mov_b64 s[22:23], 0
	v_mov_b64_e32 v[14:15], v[6:7]
                                        ; implicit-def: $sgpr24_sgpr25
                                        ; implicit-def: $sgpr26_sgpr27
                                        ; implicit-def: $sgpr28_sgpr29
                                        ; implicit-def: $sgpr6_sgpr7
                                        ; implicit-def: $sgpr30_sgpr31
	s_branch .LBB1001_575
.LBB1001_574:                           ;   in Loop: Header=BB1001_575 Depth=2
	s_or_b64 exec, exec, s[34:35]
	s_and_b64 s[4:5], exec, s[26:27]
	s_or_b64 s[22:23], s[4:5], s[22:23]
	s_andn2_b64 s[4:5], s[30:31], exec
	s_and_b64 s[30:31], s[28:29], exec
	s_or_b64 s[30:31], s[4:5], s[30:31]
	s_andn2_b64 s[4:5], s[24:25], exec
	s_and_b64 s[24:25], s[6:7], exec
	s_or_b64 s[24:25], s[4:5], s[24:25]
	s_andn2_b64 exec, exec, s[22:23]
	s_cbranch_execz .LBB1001_577
.LBB1001_575:                           ;   Parent Loop BB1001_556 Depth=1
                                        ; =>  This Inner Loop Header: Depth=2
	flat_load_ubyte v16, v[12:13]
	flat_load_ubyte v17, v[2:3]
	s_andn2_b64 s[34:35], s[6:7], exec
	s_andn2_b64 s[28:29], s[28:29], exec
	s_or_b64 s[26:27], s[26:27], exec
	s_waitcnt vmcnt(0) lgkmcnt(0)
	v_cmp_eq_u16_e64 s[4:5], 0, v16
	v_cmp_ne_u16_e64 s[6:7], 0, v17
	s_or_b64 s[38:39], s[4:5], s[6:7]
	s_and_b64 s[36:37], s[4:5], s[6:7]
	s_xor_b64 s[4:5], s[4:5], s[6:7]
	s_and_b64 s[6:7], s[38:39], s[30:31]
	s_or_b64 s[36:37], s[36:37], s[6:7]
	s_and_b64 s[6:7], s[36:37], exec
	s_or_b64 s[6:7], s[34:35], s[6:7]
	s_and_saveexec_b64 s[34:35], s[4:5]
	s_cbranch_execz .LBB1001_574
; %bb.576:                              ;   in Loop: Header=BB1001_575 Depth=2
	v_lshl_add_u64 v[14:15], v[14:15], 0, -1
	v_cmp_eq_u64_e64 s[4:5], 0, v[14:15]
	s_andn2_b64 s[28:29], s[28:29], exec
	s_and_b64 s[30:31], s[36:37], exec
	s_andn2_b64 s[26:27], s[26:27], exec
	s_and_b64 s[4:5], s[4:5], exec
	v_lshl_add_u64 v[2:3], v[2:3], 0, 1
	v_lshl_add_u64 v[12:13], v[12:13], 0, 1
	s_andn2_b64 s[6:7], s[6:7], exec
	s_or_b64 s[28:29], s[28:29], s[30:31]
	s_or_b64 s[26:27], s[26:27], s[4:5]
                                        ; implicit-def: $sgpr30_sgpr31
	s_branch .LBB1001_574
.LBB1001_577:                           ;   in Loop: Header=BB1001_556 Depth=1
	s_or_b64 exec, exec, s[22:23]
	s_and_b64 s[4:5], s[24:25], exec
.LBB1001_578:                           ;   in Loop: Header=BB1001_556 Depth=1
	s_or_b64 exec, exec, s[20:21]
	s_xor_b64 s[4:5], s[4:5], -1
	s_andn2_b64 s[6:7], s[16:17], exec
	s_and_b64 s[4:5], s[4:5], exec
	s_or_b64 s[16:17], s[6:7], s[4:5]
.LBB1001_579:                           ;   in Loop: Header=BB1001_556 Depth=1
	s_or_b64 exec, exec, s[18:19]
	v_cndmask_b32_e64 v2, v68, v66, s[16:17]
	v_cndmask_b32_e64 v3, v86, v31, s[16:17]
	v_add_u32_e32 v12, 1, v2
	v_add_u32_e32 v2, -1, v3
	v_min_u32_e32 v54, v12, v2
	v_lshl_add_u64 v[2:3], v[54:55], 3, v[10:11]
	flat_load_dwordx2 v[2:3], v[2:3]
	v_cndmask_b32_e64 v16, v12, v68, s[16:17]
	s_mov_b64 s[18:19], -1
	v_cndmask_b32_e64 v17, v66, v12, s[16:17]
	v_cmp_lt_u32_e64 s[4:5], v16, v86
	s_mov_b64 s[20:21], -1
	s_waitcnt vmcnt(0) lgkmcnt(0)
	v_cndmask_b32_e64 v22, v3, v21, s[16:17]
	v_cndmask_b32_e64 v66, v2, v20, s[16:17]
	;; [unrolled: 1-line block ×4, first 2 shown]
	s_and_saveexec_b64 s[22:23], s[4:5]
	s_cbranch_execz .LBB1001_589
; %bb.580:                              ;   in Loop: Header=BB1001_556 Depth=1
	v_cmp_lt_u32_e64 s[4:5], v17, v31
	s_mov_b64 s[6:7], 0
	s_and_saveexec_b64 s[20:21], s[4:5]
	s_cbranch_execz .LBB1001_588
; %bb.581:                              ;   in Loop: Header=BB1001_556 Depth=1
	s_mov_b64 s[4:5], 0
	s_and_saveexec_b64 s[24:25], s[2:3]
	s_cbranch_execz .LBB1001_587
; %bb.582:                              ;   in Loop: Header=BB1001_556 Depth=1
	v_mad_u64_u32 v[2:3], s[4:5], v67, v6, v[8:9]
	v_mul_lo_u32 v12, v67, v7
	v_mul_lo_u32 v13, v23, v6
	v_add3_u32 v3, v13, v3, v12
	v_mad_u64_u32 v[12:13], s[4:5], v66, v6, v[8:9]
	v_mul_lo_u32 v14, v66, v7
	v_mul_lo_u32 v15, v22, v6
	v_add3_u32 v13, v15, v13, v14
	s_mov_b64 s[26:27], 0
	v_mov_b64_e32 v[14:15], v[6:7]
                                        ; implicit-def: $sgpr28_sgpr29
                                        ; implicit-def: $sgpr30_sgpr31
                                        ; implicit-def: $sgpr34_sgpr35
                                        ; implicit-def: $sgpr6_sgpr7
                                        ; implicit-def: $sgpr36_sgpr37
	s_branch .LBB1001_584
.LBB1001_583:                           ;   in Loop: Header=BB1001_584 Depth=2
	s_or_b64 exec, exec, s[38:39]
	s_and_b64 s[4:5], exec, s[30:31]
	s_or_b64 s[26:27], s[4:5], s[26:27]
	s_andn2_b64 s[4:5], s[36:37], exec
	s_and_b64 s[36:37], s[34:35], exec
	s_or_b64 s[36:37], s[4:5], s[36:37]
	s_andn2_b64 s[4:5], s[28:29], exec
	s_and_b64 s[28:29], s[6:7], exec
	s_or_b64 s[28:29], s[4:5], s[28:29]
	s_andn2_b64 exec, exec, s[26:27]
	s_cbranch_execz .LBB1001_586
.LBB1001_584:                           ;   Parent Loop BB1001_556 Depth=1
                                        ; =>  This Inner Loop Header: Depth=2
	flat_load_ubyte v18, v[12:13]
	flat_load_ubyte v19, v[2:3]
	s_andn2_b64 s[38:39], s[6:7], exec
	s_andn2_b64 s[34:35], s[34:35], exec
	s_or_b64 s[30:31], s[30:31], exec
	s_waitcnt vmcnt(0) lgkmcnt(0)
	v_cmp_eq_u16_e64 s[4:5], 0, v18
	v_cmp_ne_u16_e64 s[6:7], 0, v19
	s_or_b64 s[42:43], s[4:5], s[6:7]
	s_and_b64 s[40:41], s[4:5], s[6:7]
	s_xor_b64 s[4:5], s[4:5], s[6:7]
	s_and_b64 s[6:7], s[42:43], s[36:37]
	s_or_b64 s[40:41], s[40:41], s[6:7]
	s_and_b64 s[6:7], s[40:41], exec
	s_or_b64 s[6:7], s[38:39], s[6:7]
	s_and_saveexec_b64 s[38:39], s[4:5]
	s_cbranch_execz .LBB1001_583
; %bb.585:                              ;   in Loop: Header=BB1001_584 Depth=2
	v_lshl_add_u64 v[14:15], v[14:15], 0, -1
	v_cmp_eq_u64_e64 s[4:5], 0, v[14:15]
	s_andn2_b64 s[34:35], s[34:35], exec
	s_and_b64 s[36:37], s[40:41], exec
	s_andn2_b64 s[30:31], s[30:31], exec
	s_and_b64 s[4:5], s[4:5], exec
	v_lshl_add_u64 v[2:3], v[2:3], 0, 1
	v_lshl_add_u64 v[12:13], v[12:13], 0, 1
	s_andn2_b64 s[6:7], s[6:7], exec
	s_or_b64 s[34:35], s[34:35], s[36:37]
	s_or_b64 s[30:31], s[30:31], s[4:5]
                                        ; implicit-def: $sgpr36_sgpr37
	s_branch .LBB1001_583
.LBB1001_586:                           ;   in Loop: Header=BB1001_556 Depth=1
	s_or_b64 exec, exec, s[26:27]
	s_and_b64 s[4:5], s[28:29], exec
.LBB1001_587:                           ;   in Loop: Header=BB1001_556 Depth=1
	s_or_b64 exec, exec, s[24:25]
	s_xor_b64 s[4:5], s[4:5], -1
	s_and_b64 s[6:7], s[4:5], exec
.LBB1001_588:                           ;   in Loop: Header=BB1001_556 Depth=1
	s_or_b64 exec, exec, s[20:21]
	s_orn2_b64 s[20:21], s[6:7], exec
.LBB1001_589:                           ;   in Loop: Header=BB1001_556 Depth=1
	s_or_b64 exec, exec, s[22:23]
	v_cndmask_b32_e64 v2, v16, v17, s[20:21]
	v_cndmask_b32_e64 v3, v86, v31, s[20:21]
	v_add_u32_e32 v12, 1, v2
	v_add_u32_e32 v2, -1, v3
	v_min_u32_e32 v54, v12, v2
	v_lshl_add_u64 v[2:3], v[54:55], 3, v[10:11]
	flat_load_dwordx2 v[2:3], v[2:3]
	v_cndmask_b32_e64 v16, v12, v16, s[20:21]
	v_cndmask_b32_e64 v17, v17, v12, s[20:21]
	v_cmp_lt_u32_e64 s[4:5], v16, v86
	s_waitcnt vmcnt(0) lgkmcnt(0)
	v_cndmask_b32_e64 v68, v3, v22, s[20:21]
	v_cndmask_b32_e64 v69, v2, v66, s[20:21]
	;; [unrolled: 1-line block ×4, first 2 shown]
	s_and_saveexec_b64 s[22:23], s[4:5]
	s_cbranch_execz .LBB1001_597
; %bb.590:                              ;   in Loop: Header=BB1001_556 Depth=1
	v_cmp_lt_u32_e64 s[18:19], v17, v31
	s_xor_b64 s[4:5], s[0:1], -1
	s_and_b64 s[4:5], s[18:19], s[4:5]
	s_and_saveexec_b64 s[24:25], s[4:5]
	s_cbranch_execz .LBB1001_596
; %bb.591:                              ;   in Loop: Header=BB1001_556 Depth=1
	v_mad_u64_u32 v[2:3], s[4:5], v71, v6, v[8:9]
	v_mul_lo_u32 v12, v71, v7
	v_mul_lo_u32 v13, v70, v6
	v_add3_u32 v3, v13, v3, v12
	v_mad_u64_u32 v[12:13], s[4:5], v69, v6, v[8:9]
	v_mul_lo_u32 v14, v69, v7
	v_mul_lo_u32 v15, v68, v6
	v_add3_u32 v13, v15, v13, v14
	s_mov_b64 s[26:27], 0
	v_mov_b64_e32 v[14:15], v[6:7]
                                        ; implicit-def: $sgpr28_sgpr29
                                        ; implicit-def: $sgpr30_sgpr31
                                        ; implicit-def: $sgpr6_sgpr7
                                        ; implicit-def: $sgpr34_sgpr35
                                        ; implicit-def: $sgpr36_sgpr37
	s_branch .LBB1001_593
.LBB1001_592:                           ;   in Loop: Header=BB1001_593 Depth=2
	s_or_b64 exec, exec, s[38:39]
	s_and_b64 s[4:5], exec, s[30:31]
	s_or_b64 s[26:27], s[4:5], s[26:27]
	s_andn2_b64 s[4:5], s[36:37], exec
	s_and_b64 s[36:37], s[34:35], exec
	s_or_b64 s[36:37], s[4:5], s[36:37]
	s_andn2_b64 s[4:5], s[28:29], exec
	s_and_b64 s[28:29], s[6:7], exec
	s_or_b64 s[28:29], s[4:5], s[28:29]
	s_andn2_b64 exec, exec, s[26:27]
	s_cbranch_execz .LBB1001_595
.LBB1001_593:                           ;   Parent Loop BB1001_556 Depth=1
                                        ; =>  This Inner Loop Header: Depth=2
	flat_load_ubyte v18, v[12:13]
	flat_load_ubyte v19, v[2:3]
	s_andn2_b64 s[38:39], s[6:7], exec
	s_andn2_b64 s[34:35], s[34:35], exec
	s_or_b64 s[30:31], s[30:31], exec
	s_waitcnt vmcnt(0) lgkmcnt(0)
	v_cmp_eq_u16_e64 s[4:5], 0, v18
	v_cmp_ne_u16_e64 s[6:7], 0, v19
	s_or_b64 s[42:43], s[4:5], s[6:7]
	s_and_b64 s[40:41], s[4:5], s[6:7]
	s_xor_b64 s[4:5], s[4:5], s[6:7]
	s_and_b64 s[6:7], s[42:43], s[36:37]
	s_or_b64 s[40:41], s[40:41], s[6:7]
	s_and_b64 s[6:7], s[40:41], exec
	s_or_b64 s[6:7], s[38:39], s[6:7]
	s_and_saveexec_b64 s[38:39], s[4:5]
	s_cbranch_execz .LBB1001_592
; %bb.594:                              ;   in Loop: Header=BB1001_593 Depth=2
	v_lshl_add_u64 v[14:15], v[14:15], 0, -1
	v_cmp_eq_u64_e64 s[4:5], 0, v[14:15]
	s_andn2_b64 s[34:35], s[34:35], exec
	s_and_b64 s[36:37], s[40:41], exec
	s_andn2_b64 s[30:31], s[30:31], exec
	s_and_b64 s[4:5], s[4:5], exec
	v_lshl_add_u64 v[2:3], v[2:3], 0, 1
	v_lshl_add_u64 v[12:13], v[12:13], 0, 1
	s_or_b64 s[34:35], s[34:35], s[36:37]
	s_andn2_b64 s[6:7], s[6:7], exec
	s_or_b64 s[30:31], s[30:31], s[4:5]
                                        ; implicit-def: $sgpr36_sgpr37
	s_branch .LBB1001_592
.LBB1001_595:                           ;   in Loop: Header=BB1001_556 Depth=1
	s_or_b64 exec, exec, s[26:27]
	s_xor_b64 s[4:5], s[28:29], -1
	s_andn2_b64 s[6:7], s[18:19], exec
	s_and_b64 s[4:5], s[4:5], exec
	s_or_b64 s[18:19], s[6:7], s[4:5]
.LBB1001_596:                           ;   in Loop: Header=BB1001_556 Depth=1
	s_or_b64 exec, exec, s[24:25]
	s_orn2_b64 s[18:19], s[18:19], exec
.LBB1001_597:                           ;   in Loop: Header=BB1001_556 Depth=1
	s_or_b64 exec, exec, s[22:23]
	v_cndmask_b32_e64 v2, v16, v17, s[18:19]
	v_cndmask_b32_e64 v3, v86, v31, s[18:19]
	v_add_u32_e32 v12, 1, v2
	v_add_u32_e32 v2, -1, v3
	v_min_u32_e32 v54, v12, v2
	v_lshl_add_u64 v[2:3], v[54:55], 3, v[10:11]
	flat_load_dwordx2 v[2:3], v[2:3]
	v_cndmask_b32_e64 v16, v12, v16, s[18:19]
	s_mov_b64 s[22:23], -1
	v_cndmask_b32_e64 v17, v17, v12, s[18:19]
	v_cmp_lt_u32_e64 s[4:5], v16, v86
	s_mov_b64 s[24:25], -1
	s_waitcnt vmcnt(0) lgkmcnt(0)
	v_cndmask_b32_e64 v18, v3, v68, s[18:19]
	v_cndmask_b32_e64 v80, v2, v69, s[18:19]
	;; [unrolled: 1-line block ×4, first 2 shown]
	s_and_saveexec_b64 s[26:27], s[4:5]
	s_cbranch_execz .LBB1001_605
; %bb.598:                              ;   in Loop: Header=BB1001_556 Depth=1
	v_cmp_lt_u32_e64 s[24:25], v17, v31
	s_xor_b64 s[4:5], s[0:1], -1
	s_and_b64 s[4:5], s[24:25], s[4:5]
	s_and_saveexec_b64 s[28:29], s[4:5]
	s_cbranch_execz .LBB1001_604
; %bb.599:                              ;   in Loop: Header=BB1001_556 Depth=1
	v_mad_u64_u32 v[2:3], s[4:5], v81, v6, v[8:9]
	v_mul_lo_u32 v12, v81, v7
	v_mul_lo_u32 v13, v19, v6
	v_add3_u32 v3, v13, v3, v12
	v_mad_u64_u32 v[12:13], s[4:5], v80, v6, v[8:9]
	v_mul_lo_u32 v14, v80, v7
	v_mul_lo_u32 v15, v18, v6
	v_add3_u32 v13, v15, v13, v14
	s_mov_b64 s[30:31], 0
	v_mov_b64_e32 v[14:15], v[6:7]
                                        ; implicit-def: $sgpr34_sgpr35
                                        ; implicit-def: $sgpr36_sgpr37
                                        ; implicit-def: $sgpr6_sgpr7
                                        ; implicit-def: $sgpr38_sgpr39
                                        ; implicit-def: $sgpr40_sgpr41
	s_branch .LBB1001_601
.LBB1001_600:                           ;   in Loop: Header=BB1001_601 Depth=2
	s_or_b64 exec, exec, s[42:43]
	s_and_b64 s[4:5], exec, s[36:37]
	s_or_b64 s[30:31], s[4:5], s[30:31]
	s_andn2_b64 s[4:5], s[40:41], exec
	s_and_b64 s[40:41], s[38:39], exec
	s_or_b64 s[40:41], s[4:5], s[40:41]
	s_andn2_b64 s[4:5], s[34:35], exec
	s_and_b64 s[34:35], s[6:7], exec
	s_or_b64 s[34:35], s[4:5], s[34:35]
	s_andn2_b64 exec, exec, s[30:31]
	s_cbranch_execz .LBB1001_603
.LBB1001_601:                           ;   Parent Loop BB1001_556 Depth=1
                                        ; =>  This Inner Loop Header: Depth=2
	flat_load_ubyte v54, v[12:13]
	flat_load_ubyte v82, v[2:3]
	s_andn2_b64 s[42:43], s[6:7], exec
	s_andn2_b64 s[38:39], s[38:39], exec
	s_or_b64 s[36:37], s[36:37], exec
	s_waitcnt vmcnt(0) lgkmcnt(0)
	v_cmp_eq_u16_e64 s[4:5], 0, v54
	v_cmp_ne_u16_e64 s[6:7], 0, v82
	s_or_b64 s[46:47], s[4:5], s[6:7]
	s_and_b64 s[44:45], s[4:5], s[6:7]
	s_xor_b64 s[4:5], s[4:5], s[6:7]
	s_and_b64 s[6:7], s[46:47], s[40:41]
	s_or_b64 s[44:45], s[44:45], s[6:7]
	s_and_b64 s[6:7], s[44:45], exec
	s_or_b64 s[6:7], s[42:43], s[6:7]
	s_and_saveexec_b64 s[42:43], s[4:5]
	s_cbranch_execz .LBB1001_600
; %bb.602:                              ;   in Loop: Header=BB1001_601 Depth=2
	v_lshl_add_u64 v[14:15], v[14:15], 0, -1
	v_cmp_eq_u64_e64 s[4:5], 0, v[14:15]
	s_andn2_b64 s[38:39], s[38:39], exec
	s_and_b64 s[40:41], s[44:45], exec
	s_andn2_b64 s[36:37], s[36:37], exec
	s_and_b64 s[4:5], s[4:5], exec
	v_lshl_add_u64 v[2:3], v[2:3], 0, 1
	v_lshl_add_u64 v[12:13], v[12:13], 0, 1
	s_or_b64 s[38:39], s[38:39], s[40:41]
	s_andn2_b64 s[6:7], s[6:7], exec
	s_or_b64 s[36:37], s[36:37], s[4:5]
                                        ; implicit-def: $sgpr40_sgpr41
	s_branch .LBB1001_600
.LBB1001_603:                           ;   in Loop: Header=BB1001_556 Depth=1
	s_or_b64 exec, exec, s[30:31]
	s_xor_b64 s[4:5], s[34:35], -1
	s_andn2_b64 s[6:7], s[24:25], exec
	s_and_b64 s[4:5], s[4:5], exec
	s_or_b64 s[24:25], s[6:7], s[4:5]
.LBB1001_604:                           ;   in Loop: Header=BB1001_556 Depth=1
	s_or_b64 exec, exec, s[28:29]
	s_orn2_b64 s[24:25], s[24:25], exec
.LBB1001_605:                           ;   in Loop: Header=BB1001_556 Depth=1
	s_or_b64 exec, exec, s[26:27]
	v_cndmask_b32_e64 v2, v16, v17, s[24:25]
	v_cndmask_b32_e64 v3, v86, v31, s[24:25]
	v_add_u32_e32 v12, 1, v2
	v_add_u32_e32 v2, -1, v3
	v_min_u32_e32 v54, v12, v2
	v_lshl_add_u64 v[2:3], v[54:55], 3, v[10:11]
	flat_load_dwordx2 v[2:3], v[2:3]
	v_cndmask_b32_e64 v16, v12, v16, s[24:25]
	v_cndmask_b32_e64 v17, v17, v12, s[24:25]
	v_cmp_lt_u32_e64 s[4:5], v16, v86
	s_waitcnt vmcnt(0) lgkmcnt(0)
	v_cndmask_b32_e64 v82, v3, v18, s[24:25]
	v_cndmask_b32_e64 v83, v2, v80, s[24:25]
	;; [unrolled: 1-line block ×4, first 2 shown]
	s_and_saveexec_b64 s[26:27], s[4:5]
	s_cbranch_execz .LBB1001_613
; %bb.606:                              ;   in Loop: Header=BB1001_556 Depth=1
	v_cmp_lt_u32_e64 s[22:23], v17, v31
	s_xor_b64 s[4:5], s[0:1], -1
	s_and_b64 s[4:5], s[22:23], s[4:5]
	s_and_saveexec_b64 s[28:29], s[4:5]
	s_cbranch_execz .LBB1001_612
; %bb.607:                              ;   in Loop: Header=BB1001_556 Depth=1
	v_mad_u64_u32 v[2:3], s[4:5], v85, v6, v[8:9]
	v_mul_lo_u32 v12, v85, v7
	v_mul_lo_u32 v13, v84, v6
	v_add3_u32 v3, v13, v3, v12
	v_mad_u64_u32 v[12:13], s[4:5], v83, v6, v[8:9]
	v_mul_lo_u32 v14, v83, v7
	v_mul_lo_u32 v15, v82, v6
	v_add3_u32 v13, v15, v13, v14
	s_mov_b64 s[30:31], 0
	v_mov_b64_e32 v[14:15], v[6:7]
                                        ; implicit-def: $sgpr34_sgpr35
                                        ; implicit-def: $sgpr36_sgpr37
                                        ; implicit-def: $sgpr6_sgpr7
                                        ; implicit-def: $sgpr38_sgpr39
                                        ; implicit-def: $sgpr40_sgpr41
	s_branch .LBB1001_609
.LBB1001_608:                           ;   in Loop: Header=BB1001_609 Depth=2
	s_or_b64 exec, exec, s[42:43]
	s_and_b64 s[4:5], exec, s[36:37]
	s_or_b64 s[30:31], s[4:5], s[30:31]
	s_andn2_b64 s[4:5], s[40:41], exec
	s_and_b64 s[40:41], s[38:39], exec
	s_or_b64 s[40:41], s[4:5], s[40:41]
	s_andn2_b64 s[4:5], s[34:35], exec
	s_and_b64 s[34:35], s[6:7], exec
	s_or_b64 s[34:35], s[4:5], s[34:35]
	s_andn2_b64 exec, exec, s[30:31]
	s_cbranch_execz .LBB1001_611
.LBB1001_609:                           ;   Parent Loop BB1001_556 Depth=1
                                        ; =>  This Inner Loop Header: Depth=2
	flat_load_ubyte v54, v[12:13]
	flat_load_ubyte v87, v[2:3]
	s_andn2_b64 s[42:43], s[6:7], exec
	s_andn2_b64 s[38:39], s[38:39], exec
	s_or_b64 s[36:37], s[36:37], exec
	s_waitcnt vmcnt(0) lgkmcnt(0)
	v_cmp_eq_u16_e64 s[4:5], 0, v54
	v_cmp_ne_u16_e64 s[6:7], 0, v87
	s_or_b64 s[46:47], s[4:5], s[6:7]
	s_and_b64 s[44:45], s[4:5], s[6:7]
	s_xor_b64 s[4:5], s[4:5], s[6:7]
	s_and_b64 s[6:7], s[46:47], s[40:41]
	s_or_b64 s[44:45], s[44:45], s[6:7]
	s_and_b64 s[6:7], s[44:45], exec
	s_or_b64 s[6:7], s[42:43], s[6:7]
	s_and_saveexec_b64 s[42:43], s[4:5]
	s_cbranch_execz .LBB1001_608
; %bb.610:                              ;   in Loop: Header=BB1001_609 Depth=2
	v_lshl_add_u64 v[14:15], v[14:15], 0, -1
	v_cmp_eq_u64_e64 s[4:5], 0, v[14:15]
	s_andn2_b64 s[38:39], s[38:39], exec
	s_and_b64 s[40:41], s[44:45], exec
	s_andn2_b64 s[36:37], s[36:37], exec
	s_and_b64 s[4:5], s[4:5], exec
	v_lshl_add_u64 v[2:3], v[2:3], 0, 1
	v_lshl_add_u64 v[12:13], v[12:13], 0, 1
	s_or_b64 s[38:39], s[38:39], s[40:41]
	s_andn2_b64 s[6:7], s[6:7], exec
	s_or_b64 s[36:37], s[36:37], s[4:5]
                                        ; implicit-def: $sgpr40_sgpr41
	s_branch .LBB1001_608
.LBB1001_611:                           ;   in Loop: Header=BB1001_556 Depth=1
	s_or_b64 exec, exec, s[30:31]
	s_xor_b64 s[4:5], s[34:35], -1
	s_andn2_b64 s[6:7], s[22:23], exec
	s_and_b64 s[4:5], s[4:5], exec
	s_or_b64 s[22:23], s[6:7], s[4:5]
.LBB1001_612:                           ;   in Loop: Header=BB1001_556 Depth=1
	s_or_b64 exec, exec, s[28:29]
	s_orn2_b64 s[22:23], s[22:23], exec
.LBB1001_613:                           ;   in Loop: Header=BB1001_556 Depth=1
	s_or_b64 exec, exec, s[26:27]
	v_cndmask_b32_e64 v2, v16, v17, s[22:23]
	v_cndmask_b32_e64 v3, v86, v31, s[22:23]
	v_add_u32_e32 v12, 1, v2
	v_add_u32_e32 v2, -1, v3
	v_min_u32_e32 v54, v12, v2
	v_lshl_add_u64 v[2:3], v[54:55], 3, v[10:11]
	flat_load_dwordx2 v[2:3], v[2:3]
	v_cndmask_b32_e64 v16, v12, v16, s[22:23]
	s_mov_b64 s[26:27], -1
	v_cndmask_b32_e64 v17, v17, v12, s[22:23]
	v_cmp_lt_u32_e64 s[4:5], v16, v86
	s_mov_b64 s[28:29], -1
	s_waitcnt vmcnt(0) lgkmcnt(0)
	v_cndmask_b32_e64 v87, v3, v82, s[22:23]
	v_cndmask_b32_e64 v96, v2, v83, s[22:23]
	;; [unrolled: 1-line block ×4, first 2 shown]
	s_and_saveexec_b64 s[30:31], s[4:5]
	s_cbranch_execz .LBB1001_621
; %bb.614:                              ;   in Loop: Header=BB1001_556 Depth=1
	v_cmp_lt_u32_e64 s[28:29], v17, v31
	s_xor_b64 s[4:5], s[0:1], -1
	s_and_b64 s[4:5], s[28:29], s[4:5]
	s_and_saveexec_b64 s[34:35], s[4:5]
	s_cbranch_execz .LBB1001_620
; %bb.615:                              ;   in Loop: Header=BB1001_556 Depth=1
	v_mad_u64_u32 v[2:3], s[4:5], v98, v6, v[8:9]
	v_mul_lo_u32 v12, v98, v7
	v_mul_lo_u32 v13, v97, v6
	v_add3_u32 v3, v13, v3, v12
	v_mad_u64_u32 v[12:13], s[4:5], v96, v6, v[8:9]
	v_mul_lo_u32 v14, v96, v7
	v_mul_lo_u32 v15, v87, v6
	v_add3_u32 v13, v15, v13, v14
	s_mov_b64 s[36:37], 0
	v_mov_b64_e32 v[14:15], v[6:7]
                                        ; implicit-def: $sgpr38_sgpr39
                                        ; implicit-def: $sgpr40_sgpr41
                                        ; implicit-def: $sgpr6_sgpr7
                                        ; implicit-def: $sgpr42_sgpr43
                                        ; implicit-def: $sgpr44_sgpr45
	s_branch .LBB1001_617
.LBB1001_616:                           ;   in Loop: Header=BB1001_617 Depth=2
	s_or_b64 exec, exec, s[46:47]
	s_and_b64 s[4:5], exec, s[40:41]
	s_or_b64 s[36:37], s[4:5], s[36:37]
	s_andn2_b64 s[4:5], s[44:45], exec
	s_and_b64 s[44:45], s[42:43], exec
	s_or_b64 s[44:45], s[4:5], s[44:45]
	s_andn2_b64 s[4:5], s[38:39], exec
	s_and_b64 s[38:39], s[6:7], exec
	s_or_b64 s[38:39], s[4:5], s[38:39]
	s_andn2_b64 exec, exec, s[36:37]
	s_cbranch_execz .LBB1001_619
.LBB1001_617:                           ;   Parent Loop BB1001_556 Depth=1
                                        ; =>  This Inner Loop Header: Depth=2
	flat_load_ubyte v54, v[12:13]
	flat_load_ubyte v99, v[2:3]
	s_andn2_b64 s[46:47], s[6:7], exec
	s_andn2_b64 s[42:43], s[42:43], exec
	s_or_b64 s[40:41], s[40:41], exec
	s_waitcnt vmcnt(0) lgkmcnt(0)
	v_cmp_eq_u16_e64 s[4:5], 0, v54
	v_cmp_ne_u16_e64 s[6:7], 0, v99
	s_or_b64 s[52:53], s[4:5], s[6:7]
	s_and_b64 s[48:49], s[4:5], s[6:7]
	s_xor_b64 s[4:5], s[4:5], s[6:7]
	s_and_b64 s[6:7], s[52:53], s[44:45]
	s_or_b64 s[48:49], s[48:49], s[6:7]
	s_and_b64 s[6:7], s[48:49], exec
	s_or_b64 s[6:7], s[46:47], s[6:7]
	s_and_saveexec_b64 s[46:47], s[4:5]
	s_cbranch_execz .LBB1001_616
; %bb.618:                              ;   in Loop: Header=BB1001_617 Depth=2
	v_lshl_add_u64 v[14:15], v[14:15], 0, -1
	v_cmp_eq_u64_e64 s[4:5], 0, v[14:15]
	s_andn2_b64 s[42:43], s[42:43], exec
	s_and_b64 s[44:45], s[48:49], exec
	s_andn2_b64 s[40:41], s[40:41], exec
	s_and_b64 s[4:5], s[4:5], exec
	v_lshl_add_u64 v[2:3], v[2:3], 0, 1
	v_lshl_add_u64 v[12:13], v[12:13], 0, 1
	s_or_b64 s[42:43], s[42:43], s[44:45]
	s_andn2_b64 s[6:7], s[6:7], exec
	s_or_b64 s[40:41], s[40:41], s[4:5]
                                        ; implicit-def: $sgpr44_sgpr45
	s_branch .LBB1001_616
.LBB1001_619:                           ;   in Loop: Header=BB1001_556 Depth=1
	s_or_b64 exec, exec, s[36:37]
	s_xor_b64 s[4:5], s[38:39], -1
	s_andn2_b64 s[6:7], s[28:29], exec
	s_and_b64 s[4:5], s[4:5], exec
	s_or_b64 s[28:29], s[6:7], s[4:5]
.LBB1001_620:                           ;   in Loop: Header=BB1001_556 Depth=1
	s_or_b64 exec, exec, s[34:35]
	s_orn2_b64 s[28:29], s[28:29], exec
.LBB1001_621:                           ;   in Loop: Header=BB1001_556 Depth=1
	s_or_b64 exec, exec, s[30:31]
	v_cndmask_b32_e64 v2, v16, v17, s[28:29]
	v_cndmask_b32_e64 v3, v86, v31, s[28:29]
	v_add_u32_e32 v12, 1, v2
	v_add_u32_e32 v2, -1, v3
	v_min_u32_e32 v54, v12, v2
	v_lshl_add_u64 v[2:3], v[54:55], 3, v[10:11]
	flat_load_dwordx2 v[2:3], v[2:3]
	v_cndmask_b32_e64 v103, v12, v16, s[28:29]
	v_cndmask_b32_e64 v16, v17, v12, s[28:29]
	v_cmp_lt_u32_e64 s[4:5], v103, v86
	s_waitcnt vmcnt(0) lgkmcnt(0)
	v_cndmask_b32_e64 v99, v3, v87, s[28:29]
	v_cndmask_b32_e64 v100, v2, v96, s[28:29]
	;; [unrolled: 1-line block ×4, first 2 shown]
	s_and_saveexec_b64 s[30:31], s[4:5]
	s_cbranch_execz .LBB1001_629
; %bb.622:                              ;   in Loop: Header=BB1001_556 Depth=1
	v_cmp_lt_u32_e64 s[26:27], v16, v31
	s_xor_b64 s[4:5], s[0:1], -1
	s_and_b64 s[4:5], s[26:27], s[4:5]
	s_and_saveexec_b64 s[34:35], s[4:5]
	s_cbranch_execz .LBB1001_628
; %bb.623:                              ;   in Loop: Header=BB1001_556 Depth=1
	v_mad_u64_u32 v[2:3], s[4:5], v102, v6, v[8:9]
	v_mul_lo_u32 v12, v102, v7
	v_mul_lo_u32 v13, v101, v6
	v_add3_u32 v3, v13, v3, v12
	v_mad_u64_u32 v[12:13], s[4:5], v100, v6, v[8:9]
	v_mul_lo_u32 v14, v100, v7
	v_mul_lo_u32 v15, v99, v6
	v_add3_u32 v13, v15, v13, v14
	s_mov_b64 s[36:37], 0
	v_mov_b64_e32 v[14:15], v[6:7]
                                        ; implicit-def: $sgpr38_sgpr39
                                        ; implicit-def: $sgpr40_sgpr41
                                        ; implicit-def: $sgpr6_sgpr7
                                        ; implicit-def: $sgpr42_sgpr43
                                        ; implicit-def: $sgpr44_sgpr45
	s_branch .LBB1001_625
.LBB1001_624:                           ;   in Loop: Header=BB1001_625 Depth=2
	s_or_b64 exec, exec, s[46:47]
	s_and_b64 s[4:5], exec, s[40:41]
	s_or_b64 s[36:37], s[4:5], s[36:37]
	s_andn2_b64 s[4:5], s[44:45], exec
	s_and_b64 s[44:45], s[42:43], exec
	s_or_b64 s[44:45], s[4:5], s[44:45]
	s_andn2_b64 s[4:5], s[38:39], exec
	s_and_b64 s[38:39], s[6:7], exec
	s_or_b64 s[38:39], s[4:5], s[38:39]
	s_andn2_b64 exec, exec, s[36:37]
	s_cbranch_execz .LBB1001_627
.LBB1001_625:                           ;   Parent Loop BB1001_556 Depth=1
                                        ; =>  This Inner Loop Header: Depth=2
	flat_load_ubyte v17, v[12:13]
	flat_load_ubyte v54, v[2:3]
	s_andn2_b64 s[46:47], s[6:7], exec
	s_andn2_b64 s[42:43], s[42:43], exec
	s_or_b64 s[40:41], s[40:41], exec
	s_waitcnt vmcnt(0) lgkmcnt(0)
	v_cmp_eq_u16_e64 s[4:5], 0, v17
	v_cmp_ne_u16_e64 s[6:7], 0, v54
	s_or_b64 s[52:53], s[4:5], s[6:7]
	s_and_b64 s[48:49], s[4:5], s[6:7]
	s_xor_b64 s[4:5], s[4:5], s[6:7]
	s_and_b64 s[6:7], s[52:53], s[44:45]
	s_or_b64 s[48:49], s[48:49], s[6:7]
	s_and_b64 s[6:7], s[48:49], exec
	s_or_b64 s[6:7], s[46:47], s[6:7]
	s_and_saveexec_b64 s[46:47], s[4:5]
	s_cbranch_execz .LBB1001_624
; %bb.626:                              ;   in Loop: Header=BB1001_625 Depth=2
	v_lshl_add_u64 v[14:15], v[14:15], 0, -1
	v_cmp_eq_u64_e64 s[4:5], 0, v[14:15]
	s_andn2_b64 s[42:43], s[42:43], exec
	s_and_b64 s[44:45], s[48:49], exec
	s_andn2_b64 s[40:41], s[40:41], exec
	s_and_b64 s[4:5], s[4:5], exec
	v_lshl_add_u64 v[2:3], v[2:3], 0, 1
	v_lshl_add_u64 v[12:13], v[12:13], 0, 1
	s_or_b64 s[42:43], s[42:43], s[44:45]
	s_andn2_b64 s[6:7], s[6:7], exec
	s_or_b64 s[40:41], s[40:41], s[4:5]
                                        ; implicit-def: $sgpr44_sgpr45
	s_branch .LBB1001_624
.LBB1001_627:                           ;   in Loop: Header=BB1001_556 Depth=1
	s_or_b64 exec, exec, s[36:37]
	s_xor_b64 s[4:5], s[38:39], -1
	s_andn2_b64 s[6:7], s[26:27], exec
	s_and_b64 s[4:5], s[4:5], exec
	s_or_b64 s[26:27], s[6:7], s[4:5]
.LBB1001_628:                           ;   in Loop: Header=BB1001_556 Depth=1
	s_or_b64 exec, exec, s[34:35]
	s_orn2_b64 s[26:27], s[26:27], exec
.LBB1001_629:                           ;   in Loop: Header=BB1001_556 Depth=1
	s_or_b64 exec, exec, s[30:31]
	v_cndmask_b32_e64 v2, v103, v16, s[26:27]
	v_cndmask_b32_e64 v3, v86, v31, s[26:27]
	v_add_u32_e32 v14, 1, v2
	v_add_u32_e32 v2, -1, v3
	v_min_u32_e32 v54, v14, v2
	v_lshl_add_u64 v[2:3], v[54:55], 3, v[10:11]
	flat_load_dwordx2 v[12:13], v[2:3]
	v_cndmask_b32_e64 v15, v14, v103, s[26:27]
	v_cmp_lt_u32_e64 s[4:5], v15, v86
	s_waitcnt vmcnt(0) lgkmcnt(0)
	v_cndmask_b32_e64 v3, v101, v13, s[26:27]
	v_cndmask_b32_e64 v2, v102, v12, s[26:27]
	s_and_saveexec_b64 s[30:31], s[4:5]
	s_cbranch_execz .LBB1001_637
; %bb.630:                              ;   in Loop: Header=BB1001_556 Depth=1
	v_cndmask_b32_e64 v86, v12, v100, s[26:27]
	v_cndmask_b32_e64 v12, v16, v14, s[26:27]
	v_cmp_ge_u32_e64 s[4:5], v12, v31
	v_cndmask_b32_e64 v54, v13, v99, s[26:27]
	s_or_b64 s[6:7], s[4:5], s[0:1]
	v_cndmask_b32_e64 v13, v3, v54, s[4:5]
	s_xor_b64 s[6:7], s[6:7], -1
	v_cndmask_b32_e64 v12, v2, v86, s[4:5]
	s_and_saveexec_b64 s[34:35], s[6:7]
	s_cbranch_execz .LBB1001_636
; %bb.631:                              ;   in Loop: Header=BB1001_556 Depth=1
	v_mad_u64_u32 v[12:13], s[4:5], v2, v6, v[8:9]
	v_mul_lo_u32 v14, v2, v7
	v_mul_lo_u32 v15, v3, v6
	v_add3_u32 v13, v15, v13, v14
	v_mad_u64_u32 v[14:15], s[4:5], v86, v6, v[8:9]
	v_mul_lo_u32 v16, v86, v7
	v_mul_lo_u32 v17, v54, v6
	v_add3_u32 v15, v17, v15, v16
	s_mov_b64 s[36:37], 0
	v_mov_b64_e32 v[16:17], v[6:7]
                                        ; implicit-def: $sgpr38_sgpr39
                                        ; implicit-def: $sgpr40_sgpr41
                                        ; implicit-def: $sgpr6_sgpr7
                                        ; implicit-def: $sgpr42_sgpr43
                                        ; implicit-def: $sgpr44_sgpr45
	s_branch .LBB1001_633
.LBB1001_632:                           ;   in Loop: Header=BB1001_633 Depth=2
	s_or_b64 exec, exec, s[46:47]
	s_and_b64 s[4:5], exec, s[40:41]
	s_or_b64 s[36:37], s[4:5], s[36:37]
	s_andn2_b64 s[4:5], s[44:45], exec
	s_and_b64 s[44:45], s[42:43], exec
	s_or_b64 s[44:45], s[4:5], s[44:45]
	s_andn2_b64 s[4:5], s[38:39], exec
	s_and_b64 s[38:39], s[6:7], exec
	s_or_b64 s[38:39], s[4:5], s[38:39]
	s_andn2_b64 exec, exec, s[36:37]
	s_cbranch_execz .LBB1001_635
.LBB1001_633:                           ;   Parent Loop BB1001_556 Depth=1
                                        ; =>  This Inner Loop Header: Depth=2
	flat_load_ubyte v31, v[14:15]
	flat_load_ubyte v103, v[12:13]
	s_andn2_b64 s[46:47], s[6:7], exec
	s_andn2_b64 s[42:43], s[42:43], exec
	s_or_b64 s[40:41], s[40:41], exec
	s_waitcnt vmcnt(0) lgkmcnt(0)
	v_cmp_eq_u16_e64 s[4:5], 0, v31
	v_cmp_ne_u16_e64 s[6:7], 0, v103
	s_or_b64 s[52:53], s[4:5], s[6:7]
	s_and_b64 s[48:49], s[4:5], s[6:7]
	s_xor_b64 s[4:5], s[4:5], s[6:7]
	s_and_b64 s[6:7], s[52:53], s[44:45]
	s_or_b64 s[48:49], s[48:49], s[6:7]
	s_and_b64 s[6:7], s[48:49], exec
	s_or_b64 s[6:7], s[46:47], s[6:7]
	s_and_saveexec_b64 s[46:47], s[4:5]
	s_cbranch_execz .LBB1001_632
; %bb.634:                              ;   in Loop: Header=BB1001_633 Depth=2
	v_lshl_add_u64 v[16:17], v[16:17], 0, -1
	v_cmp_eq_u64_e64 s[4:5], 0, v[16:17]
	s_andn2_b64 s[42:43], s[42:43], exec
	s_and_b64 s[44:45], s[48:49], exec
	s_andn2_b64 s[40:41], s[40:41], exec
	s_and_b64 s[4:5], s[4:5], exec
	v_lshl_add_u64 v[12:13], v[12:13], 0, 1
	v_lshl_add_u64 v[14:15], v[14:15], 0, 1
	s_or_b64 s[42:43], s[42:43], s[44:45]
	s_andn2_b64 s[6:7], s[6:7], exec
	s_or_b64 s[40:41], s[40:41], s[4:5]
                                        ; implicit-def: $sgpr44_sgpr45
	s_branch .LBB1001_632
.LBB1001_635:                           ;   in Loop: Header=BB1001_556 Depth=1
	s_or_b64 exec, exec, s[36:37]
	v_cndmask_b32_e64 v13, v3, v54, s[38:39]
	v_cndmask_b32_e64 v12, v2, v86, s[38:39]
.LBB1001_636:                           ;   in Loop: Header=BB1001_556 Depth=1
	s_or_b64 exec, exec, s[34:35]
	v_mov_b64_e32 v[2:3], v[12:13]
.LBB1001_637:                           ;   in Loop: Header=BB1001_556 Depth=1
	s_or_b64 exec, exec, s[30:31]
	v_cndmask_b32_e64 v15, v87, v97, s[28:29]
	v_cndmask_b32_e64 v14, v96, v98, s[28:29]
	v_cndmask_b32_e64 v13, v82, v84, s[22:23]
	v_cndmask_b32_e64 v12, v83, v85, s[22:23]
	v_cndmask_b32_e64 v19, v18, v19, s[24:25]
	v_cndmask_b32_e64 v18, v80, v81, s[24:25]
	v_cndmask_b32_e64 v17, v68, v70, s[18:19]
	v_cndmask_b32_e64 v16, v69, v71, s[18:19]
	v_cndmask_b32_e64 v23, v22, v23, s[20:21]
	v_cndmask_b32_e64 v22, v66, v67, s[20:21]
	v_cndmask_b32_e64 v21, v21, v1, s[16:17]
	v_cndmask_b32_e64 v20, v20, v0, s[16:17]
	v_cndmask_b32_e64 v1, v99, v101, s[26:27]
	v_cndmask_b32_e64 v0, v100, v102, s[26:27]
.LBB1001_638:                           ;   in Loop: Header=BB1001_556 Depth=1
	s_or_b64 exec, exec, s[14:15]
	s_cmpk_lt_u32 s50, 0x400
	s_barrier
	s_cbranch_scc0 .LBB1001_640
; %bb.639:                              ;   in Loop: Header=BB1001_556 Depth=1
	s_mov_b32 s50, s51
	s_branch .LBB1001_556
.LBB1001_640:
	s_barrier
	flat_store_dwordx4 v[52:53], v[20:23]
	flat_store_dwordx4 v[52:53], v[16:19] offset:16
	flat_store_dwordx4 v[52:53], v[12:15] offset:32
	;; [unrolled: 1-line block ×3, first 2 shown]
	s_waitcnt lgkmcnt(0)
	s_barrier
	flat_load_dwordx2 v[0:1], v[24:25]
	flat_load_dwordx2 v[2:3], v[34:35] offset:2048
	flat_load_dwordx2 v[6:7], v[26:27]
	flat_load_dwordx2 v[8:9], v[48:49]
	;; [unrolled: 1-line block ×6, first 2 shown]
	v_mov_b32_e32 v31, 0
	s_movk_i32 s0, 0x1000
	v_lshl_add_u64 v[18:19], v[4:5], 0, v[30:31]
	v_add_co_u32_e32 v20, vcc, s0, v18
	s_mov_b64 s[22:23], exec
	s_nop 0
	v_addc_co_u32_e32 v21, vcc, 0, v19, vcc
	v_add_co_u32_e32 v22, vcc, 0x2000, v18
                                        ; implicit-def: $vgpr64
                                        ; implicit-def: $vgpr65
                                        ; implicit-def: $vgpr30
                                        ; implicit-def: $vgpr32
	s_nop 1
	v_addc_co_u32_e32 v23, vcc, 0, v19, vcc
	v_add_co_u32_e32 v24, vcc, 0x3000, v18
	s_nop 1
	v_addc_co_u32_e32 v25, vcc, 0, v19, vcc
	s_waitcnt vmcnt(0) lgkmcnt(0)
	flat_store_dwordx2 v[18:19], v[0:1]
	flat_store_dwordx2 v[18:19], v[2:3] offset:2048
	flat_store_dwordx2 v[20:21], v[6:7]
	flat_store_dwordx2 v[20:21], v[8:9] offset:2048
	;; [unrolled: 2-line block ×3, first 2 shown]
	flat_store_dwordx2 v[24:25], v[16:17]
                                        ; implicit-def: $vgpr0
                                        ; implicit-def: $vgpr6_vgpr7
                                        ; implicit-def: $vgpr2_vgpr3
                                        ; implicit-def: $vgpr8_vgpr9
                                        ; implicit-def: $vgpr10_vgpr11
                                        ; implicit-def: $vgpr1
	s_andn2_saveexec_b64 s[24:25], s[10:11]
	s_cbranch_execz .LBB1001_2
.LBB1001_641:
	v_cmp_lt_u32_e32 vcc, v28, v0
                                        ; implicit-def: $vgpr12_vgpr13
	s_and_saveexec_b64 s[0:1], vcc
	s_cbranch_execz .LBB1001_643
; %bb.642:
	v_mov_b32_e32 v31, 0
	v_lshl_add_u64 v[12:13], v[2:3], 0, v[30:31]
	flat_load_dwordx2 v[12:13], v[12:13]
.LBB1001_643:
	s_or_b64 exec, exec, s[0:1]
	v_add_u32_e32 v33, 0x100, v28
	v_cmp_lt_u32_e64 s[0:1], v33, v0
                                        ; implicit-def: $vgpr14_vgpr15
	s_and_saveexec_b64 s[2:3], s[0:1]
	s_cbranch_execz .LBB1001_645
; %bb.644:
	v_mov_b32_e32 v31, 0
	v_lshl_add_u64 v[14:15], v[2:3], 0, v[30:31]
	flat_load_dwordx2 v[14:15], v[14:15] offset:2048
.LBB1001_645:
	s_or_b64 exec, exec, s[2:3]
	v_add_u32_e32 v31, 0x200, v28
	v_cmp_lt_u32_e64 s[2:3], v31, v0
                                        ; implicit-def: $vgpr16_vgpr17
	s_and_saveexec_b64 s[4:5], s[2:3]
	s_cbranch_execz .LBB1001_647
; %bb.646:
	v_lshlrev_b32_e32 v16, 3, v31
	v_mov_b32_e32 v17, 0
	v_lshl_add_u64 v[16:17], v[2:3], 0, v[16:17]
	flat_load_dwordx2 v[16:17], v[16:17]
.LBB1001_647:
	s_or_b64 exec, exec, s[4:5]
	v_add_u32_e32 v36, 0x300, v28
	v_cmp_lt_u32_e64 s[4:5], v36, v0
                                        ; implicit-def: $vgpr18_vgpr19
	s_and_saveexec_b64 s[6:7], s[4:5]
	s_cbranch_execz .LBB1001_649
; %bb.648:
	v_lshlrev_b32_e32 v18, 3, v36
	v_mov_b32_e32 v19, 0
	v_lshl_add_u64 v[18:19], v[2:3], 0, v[18:19]
	flat_load_dwordx2 v[18:19], v[18:19]
.LBB1001_649:
	s_or_b64 exec, exec, s[6:7]
	v_or_b32_e32 v38, 0x400, v28
	v_cmp_lt_u32_e64 s[6:7], v38, v0
                                        ; implicit-def: $vgpr20_vgpr21
	s_and_saveexec_b64 s[10:11], s[6:7]
	s_cbranch_execz .LBB1001_651
; %bb.650:
	v_lshlrev_b32_e32 v20, 3, v38
	v_mov_b32_e32 v21, 0
	v_lshl_add_u64 v[20:21], v[2:3], 0, v[20:21]
	flat_load_dwordx2 v[20:21], v[20:21]
.LBB1001_651:
	s_or_b64 exec, exec, s[10:11]
	v_add_u32_e32 v48, 0x500, v28
	v_cmp_lt_u32_e64 s[10:11], v48, v0
                                        ; implicit-def: $vgpr22_vgpr23
	s_and_saveexec_b64 s[14:15], s[10:11]
	s_cbranch_execz .LBB1001_653
; %bb.652:
	v_lshlrev_b32_e32 v22, 3, v48
	v_mov_b32_e32 v23, 0
	v_lshl_add_u64 v[22:23], v[2:3], 0, v[22:23]
	flat_load_dwordx2 v[22:23], v[22:23]
.LBB1001_653:
	s_or_b64 exec, exec, s[14:15]
	v_add_u32_e32 v50, 0x600, v28
	v_cmp_lt_u32_e64 s[20:21], v50, v0
                                        ; implicit-def: $vgpr24_vgpr25
	s_and_saveexec_b64 s[14:15], s[20:21]
	s_cbranch_execz .LBB1001_655
; %bb.654:
	v_lshlrev_b32_e32 v24, 3, v50
	v_mov_b32_e32 v25, 0
	v_lshl_add_u64 v[24:25], v[2:3], 0, v[24:25]
	flat_load_dwordx2 v[24:25], v[24:25]
.LBB1001_655:
	s_or_b64 exec, exec, s[14:15]
	v_add_u32_e32 v52, 0x700, v28
	v_cmp_lt_u32_e64 s[14:15], v52, v0
                                        ; implicit-def: $vgpr26_vgpr27
	s_and_saveexec_b64 s[16:17], s[14:15]
	s_cbranch_execz .LBB1001_657
; %bb.656:
	v_lshlrev_b32_e32 v26, 3, v52
	v_mov_b32_e32 v27, 0
	v_lshl_add_u64 v[2:3], v[2:3], 0, v[26:27]
	flat_load_dwordx2 v[26:27], v[2:3]
.LBB1001_657:
	s_or_b64 exec, exec, s[16:17]
	v_mov_b32_e32 v29, 0
	v_add_lshl_u32 v2, v32, v28, 3
	v_mov_b32_e32 v3, v29
	v_lshl_add_u64 v[2:3], v[10:11], 0, v[2:3]
	s_waitcnt vmcnt(0) lgkmcnt(0)
	flat_store_dwordx2 v[2:3], v[12:13]
	v_lshrrev_b32_e32 v12, 5, v33
	v_add_lshl_u32 v12, v12, v28, 3
	v_mov_b32_e32 v13, v29
	v_lshl_add_u64 v[32:33], v[10:11], 0, v[12:13]
	v_lshrrev_b32_e32 v12, 5, v31
	v_add_lshl_u32 v12, v12, v31, 3
	v_lshl_add_u64 v[34:35], v[10:11], 0, v[12:13]
	v_lshrrev_b32_e32 v12, 5, v36
	v_add_lshl_u32 v12, v12, v36, 3
	;; [unrolled: 3-line block ×6, first 2 shown]
	v_lshl_add_u64 v[52:53], v[10:11], 0, v[12:13]
	v_add_lshl_u32 v12, v1, v30, 3
	v_lshl_add_u64 v[54:55], v[10:11], 0, v[12:13]
	flat_store_dwordx2 v[32:33], v[14:15] offset:2048
	flat_store_dwordx2 v[34:35], v[16:17]
	flat_store_dwordx2 v[36:37], v[18:19]
	;; [unrolled: 1-line block ×6, first 2 shown]
	s_waitcnt lgkmcnt(0)
	s_barrier
	flat_load_dwordx4 v[24:27], v[54:55]
	flat_load_dwordx4 v[20:23], v[54:55] offset:16
	flat_load_dwordx4 v[16:19], v[54:55] offset:32
	;; [unrolled: 1-line block ×3, first 2 shown]
	s_waitcnt lgkmcnt(0)
	s_barrier
	s_load_dwordx2 s[16:17], s[8:9], 0x0
	s_mov_b64 s[30:31], 0
	s_waitcnt lgkmcnt(0)
	s_cmp_lt_u32 s12, s16
	s_cselect_b32 s16, 12, 18
	s_cmp_lt_u32 s13, s17
	s_cselect_b32 s12, 14, 20
	s_add_u32 s12, s8, s12
	s_addc_u32 s13, s9, 0
	s_add_u32 s8, s8, s16
	s_addc_u32 s9, s9, 0
	global_load_ushort v1, v29, s[12:13]
	global_load_ushort v31, v29, s[8:9]
	v_cmp_lt_i64_e64 s[16:17], 0, v[6:7]
	v_cmp_gt_i64_e64 s[8:9], 1, v[6:7]
	s_waitcnt vmcnt(0)
	v_mad_u32_u24 v1, v65, v1, v64
	v_mul_lo_u32 v1, v1, v31
	v_add_lshl_u32 v1, v1, v28, 3
	v_sub_u32_e64 v31, v0, v1 clamp
	v_cmp_lt_u32_e64 s[12:13], 1, v31
	s_and_b64 s[28:29], s[12:13], s[16:17]
	s_and_saveexec_b64 s[26:27], s[28:29]
	s_cbranch_execz .LBB1001_665
; %bb.658:
	v_mad_u64_u32 v[64:65], s[12:13], v24, v6, v[8:9]
	v_mul_lo_u32 v66, v24, v7
	v_mul_lo_u32 v67, v25, v6
	v_add3_u32 v65, v67, v65, v66
	v_mad_u64_u32 v[66:67], s[12:13], v26, v6, v[8:9]
	v_mul_lo_u32 v68, v26, v7
	v_mul_lo_u32 v69, v27, v6
	v_add3_u32 v67, v69, v67, v68
	v_mov_b64_e32 v[68:69], v[6:7]
                                        ; implicit-def: $sgpr34_sgpr35
                                        ; implicit-def: $sgpr36_sgpr37
                                        ; implicit-def: $sgpr40_sgpr41
                                        ; implicit-def: $sgpr38_sgpr39
                                        ; implicit-def: $sgpr42_sgpr43
                                        ; implicit-def: $sgpr44_sgpr45
	s_branch .LBB1001_660
.LBB1001_659:                           ;   in Loop: Header=BB1001_660 Depth=1
	s_or_b64 exec, exec, s[46:47]
	s_and_b64 s[12:13], exec, s[40:41]
	s_or_b64 s[30:31], s[12:13], s[30:31]
	s_andn2_b64 s[12:13], s[44:45], exec
	s_and_b64 s[44:45], s[42:43], exec
	s_or_b64 s[44:45], s[12:13], s[44:45]
	s_andn2_b64 s[12:13], s[36:37], exec
	s_and_b64 s[36:37], s[38:39], exec
	;; [unrolled: 3-line block ×3, first 2 shown]
	s_or_b64 s[34:35], s[12:13], s[18:19]
	s_andn2_b64 exec, exec, s[30:31]
	s_cbranch_execz .LBB1001_662
.LBB1001_660:                           ; =>This Inner Loop Header: Depth=1
	flat_load_ubyte v70, v[66:67]
	flat_load_ubyte v71, v[64:65]
	s_andn2_b64 s[42:43], s[42:43], exec
	s_or_b64 s[38:39], s[38:39], exec
	s_or_b64 s[40:41], s[40:41], exec
	s_waitcnt vmcnt(0) lgkmcnt(0)
	v_cmp_eq_u16_e64 s[12:13], 0, v70
	v_cmp_ne_u16_e64 s[18:19], 0, v71
	s_or_b64 s[48:49], s[12:13], s[18:19]
	s_and_b64 s[46:47], s[12:13], s[18:19]
	s_xor_b64 s[12:13], s[12:13], s[18:19]
	s_and_b64 s[18:19], s[48:49], s[44:45]
	s_or_b64 s[18:19], s[46:47], s[18:19]
	s_and_saveexec_b64 s[46:47], s[12:13]
	s_cbranch_execz .LBB1001_659
; %bb.661:                              ;   in Loop: Header=BB1001_660 Depth=1
	v_lshl_add_u64 v[68:69], v[68:69], 0, -1
	v_cmp_eq_u64_e64 s[12:13], 0, v[68:69]
	s_andn2_b64 s[42:43], s[42:43], exec
	s_and_b64 s[44:45], s[18:19], exec
	s_andn2_b64 s[40:41], s[40:41], exec
	s_and_b64 s[12:13], s[12:13], exec
	v_lshl_add_u64 v[64:65], v[64:65], 0, 1
	v_lshl_add_u64 v[66:67], v[66:67], 0, 1
	s_or_b64 s[42:43], s[42:43], s[44:45]
	s_andn2_b64 s[38:39], s[38:39], exec
	s_or_b64 s[40:41], s[40:41], s[12:13]
                                        ; implicit-def: $sgpr44_sgpr45
	s_branch .LBB1001_659
.LBB1001_662:
	s_or_b64 exec, exec, s[30:31]
	s_and_saveexec_b64 s[12:13], s[36:37]
	s_xor_b64 s[12:13], exec, s[12:13]
; %bb.663:
	v_cndmask_b32_e64 v65, v27, v25, s[34:35]
	v_cndmask_b32_e64 v64, v26, v24, s[34:35]
	;; [unrolled: 1-line block ×4, first 2 shown]
	v_mov_b64_e32 v[26:27], v[64:65]
; %bb.664:
	s_or_b64 exec, exec, s[12:13]
.LBB1001_665:
	s_or_b64 exec, exec, s[26:27]
	v_cmp_lt_u32_e64 s[12:13], 3, v31
	s_xor_b64 s[26:27], s[8:9], -1
	s_and_b64 s[30:31], s[12:13], s[26:27]
	s_and_saveexec_b64 s[34:35], s[30:31]
	s_cbranch_execz .LBB1001_673
; %bb.666:
	v_mad_u64_u32 v[64:65], s[12:13], v20, v6, v[8:9]
	v_mul_lo_u32 v66, v20, v7
	v_mul_lo_u32 v67, v21, v6
	v_add3_u32 v65, v67, v65, v66
	v_mad_u64_u32 v[66:67], s[12:13], v22, v6, v[8:9]
	v_mul_lo_u32 v68, v22, v7
	v_mul_lo_u32 v69, v23, v6
	v_add3_u32 v67, v69, v67, v68
	s_mov_b64 s[38:39], 0
	v_mov_b64_e32 v[68:69], v[6:7]
                                        ; implicit-def: $sgpr36_sgpr37
                                        ; implicit-def: $sgpr40_sgpr41
                                        ; implicit-def: $sgpr44_sgpr45
                                        ; implicit-def: $sgpr42_sgpr43
                                        ; implicit-def: $sgpr46_sgpr47
                                        ; implicit-def: $sgpr48_sgpr49
	s_branch .LBB1001_668
.LBB1001_667:                           ;   in Loop: Header=BB1001_668 Depth=1
	s_or_b64 exec, exec, s[50:51]
	s_and_b64 s[12:13], exec, s[44:45]
	s_or_b64 s[38:39], s[12:13], s[38:39]
	s_andn2_b64 s[12:13], s[48:49], exec
	s_and_b64 s[48:49], s[46:47], exec
	s_or_b64 s[48:49], s[12:13], s[48:49]
	s_andn2_b64 s[12:13], s[40:41], exec
	s_and_b64 s[40:41], s[42:43], exec
	;; [unrolled: 3-line block ×3, first 2 shown]
	s_or_b64 s[36:37], s[12:13], s[18:19]
	s_andn2_b64 exec, exec, s[38:39]
	s_cbranch_execz .LBB1001_670
.LBB1001_668:                           ; =>This Inner Loop Header: Depth=1
	flat_load_ubyte v70, v[66:67]
	flat_load_ubyte v71, v[64:65]
	s_andn2_b64 s[46:47], s[46:47], exec
	s_or_b64 s[42:43], s[42:43], exec
	s_or_b64 s[44:45], s[44:45], exec
	s_waitcnt vmcnt(0) lgkmcnt(0)
	v_cmp_eq_u16_e64 s[12:13], 0, v70
	v_cmp_ne_u16_e64 s[18:19], 0, v71
	s_or_b64 s[52:53], s[12:13], s[18:19]
	s_and_b64 s[50:51], s[12:13], s[18:19]
	s_xor_b64 s[12:13], s[12:13], s[18:19]
	s_and_b64 s[18:19], s[52:53], s[48:49]
	s_or_b64 s[18:19], s[50:51], s[18:19]
	s_and_saveexec_b64 s[50:51], s[12:13]
	s_cbranch_execz .LBB1001_667
; %bb.669:                              ;   in Loop: Header=BB1001_668 Depth=1
	v_lshl_add_u64 v[68:69], v[68:69], 0, -1
	v_cmp_eq_u64_e64 s[12:13], 0, v[68:69]
	s_andn2_b64 s[46:47], s[46:47], exec
	s_and_b64 s[48:49], s[18:19], exec
	s_andn2_b64 s[44:45], s[44:45], exec
	s_and_b64 s[12:13], s[12:13], exec
	v_lshl_add_u64 v[64:65], v[64:65], 0, 1
	v_lshl_add_u64 v[66:67], v[66:67], 0, 1
	s_or_b64 s[46:47], s[46:47], s[48:49]
	s_andn2_b64 s[42:43], s[42:43], exec
	s_or_b64 s[44:45], s[44:45], s[12:13]
                                        ; implicit-def: $sgpr48_sgpr49
	s_branch .LBB1001_667
.LBB1001_670:
	s_or_b64 exec, exec, s[38:39]
	s_and_saveexec_b64 s[12:13], s[40:41]
	s_xor_b64 s[12:13], exec, s[12:13]
; %bb.671:
	v_cndmask_b32_e64 v65, v21, v23, s[36:37]
	v_cndmask_b32_e64 v64, v20, v22, s[36:37]
	;; [unrolled: 1-line block ×4, first 2 shown]
	v_mov_b64_e32 v[20:21], v[64:65]
; %bb.672:
	s_or_b64 exec, exec, s[12:13]
.LBB1001_673:
	s_or_b64 exec, exec, s[34:35]
	v_cmp_lt_u32_e64 s[12:13], 5, v31
	s_and_b64 s[34:35], s[12:13], s[26:27]
	s_and_saveexec_b64 s[36:37], s[34:35]
	s_cbranch_execz .LBB1001_681
; %bb.674:
	v_mad_u64_u32 v[64:65], s[12:13], v16, v6, v[8:9]
	v_mul_lo_u32 v66, v16, v7
	v_mul_lo_u32 v67, v17, v6
	v_add3_u32 v65, v67, v65, v66
	v_mad_u64_u32 v[66:67], s[12:13], v18, v6, v[8:9]
	v_mul_lo_u32 v68, v18, v7
	v_mul_lo_u32 v69, v19, v6
	v_add3_u32 v67, v69, v67, v68
	s_mov_b64 s[40:41], 0
	v_mov_b64_e32 v[68:69], v[6:7]
                                        ; implicit-def: $sgpr38_sgpr39
                                        ; implicit-def: $sgpr42_sgpr43
                                        ; implicit-def: $sgpr46_sgpr47
                                        ; implicit-def: $sgpr44_sgpr45
                                        ; implicit-def: $sgpr48_sgpr49
                                        ; implicit-def: $sgpr50_sgpr51
	s_branch .LBB1001_676
.LBB1001_675:                           ;   in Loop: Header=BB1001_676 Depth=1
	s_or_b64 exec, exec, s[52:53]
	s_and_b64 s[12:13], exec, s[46:47]
	s_or_b64 s[40:41], s[12:13], s[40:41]
	s_andn2_b64 s[12:13], s[50:51], exec
	s_and_b64 s[50:51], s[48:49], exec
	s_or_b64 s[50:51], s[12:13], s[50:51]
	s_andn2_b64 s[12:13], s[42:43], exec
	s_and_b64 s[42:43], s[44:45], exec
	s_or_b64 s[42:43], s[12:13], s[42:43]
	s_andn2_b64 s[12:13], s[38:39], exec
	s_and_b64 s[18:19], s[18:19], exec
	s_or_b64 s[38:39], s[12:13], s[18:19]
	s_andn2_b64 exec, exec, s[40:41]
	s_cbranch_execz .LBB1001_678
.LBB1001_676:                           ; =>This Inner Loop Header: Depth=1
	flat_load_ubyte v70, v[66:67]
	flat_load_ubyte v71, v[64:65]
	s_andn2_b64 s[48:49], s[48:49], exec
	s_or_b64 s[44:45], s[44:45], exec
	s_or_b64 s[46:47], s[46:47], exec
	s_waitcnt vmcnt(0) lgkmcnt(0)
	v_cmp_eq_u16_e64 s[12:13], 0, v70
	v_cmp_ne_u16_e64 s[18:19], 0, v71
	s_or_b64 s[54:55], s[12:13], s[18:19]
	s_and_b64 s[52:53], s[12:13], s[18:19]
	s_xor_b64 s[12:13], s[12:13], s[18:19]
	s_and_b64 s[18:19], s[54:55], s[50:51]
	s_or_b64 s[18:19], s[52:53], s[18:19]
	s_and_saveexec_b64 s[52:53], s[12:13]
	s_cbranch_execz .LBB1001_675
; %bb.677:                              ;   in Loop: Header=BB1001_676 Depth=1
	v_lshl_add_u64 v[68:69], v[68:69], 0, -1
	v_cmp_eq_u64_e64 s[12:13], 0, v[68:69]
	s_andn2_b64 s[48:49], s[48:49], exec
	s_and_b64 s[50:51], s[18:19], exec
	s_andn2_b64 s[46:47], s[46:47], exec
	s_and_b64 s[12:13], s[12:13], exec
	v_lshl_add_u64 v[64:65], v[64:65], 0, 1
	v_lshl_add_u64 v[66:67], v[66:67], 0, 1
	s_or_b64 s[48:49], s[48:49], s[50:51]
	s_andn2_b64 s[44:45], s[44:45], exec
	s_or_b64 s[46:47], s[46:47], s[12:13]
                                        ; implicit-def: $sgpr50_sgpr51
	s_branch .LBB1001_675
.LBB1001_678:
	s_or_b64 exec, exec, s[40:41]
	s_and_saveexec_b64 s[12:13], s[42:43]
	s_xor_b64 s[12:13], exec, s[12:13]
; %bb.679:
	v_cndmask_b32_e64 v65, v17, v19, s[38:39]
	v_cndmask_b32_e64 v64, v16, v18, s[38:39]
	;; [unrolled: 1-line block ×4, first 2 shown]
	v_mov_b64_e32 v[16:17], v[64:65]
; %bb.680:
	s_or_b64 exec, exec, s[12:13]
.LBB1001_681:
	s_or_b64 exec, exec, s[36:37]
	v_cmp_lt_u32_e64 s[12:13], 7, v31
	s_and_b64 s[36:37], s[12:13], s[26:27]
	s_and_saveexec_b64 s[38:39], s[36:37]
	s_cbranch_execz .LBB1001_689
; %bb.682:
	v_mad_u64_u32 v[64:65], s[12:13], v12, v6, v[8:9]
	v_mul_lo_u32 v66, v12, v7
	v_mul_lo_u32 v67, v13, v6
	v_add3_u32 v65, v67, v65, v66
	v_mad_u64_u32 v[66:67], s[12:13], v14, v6, v[8:9]
	v_mul_lo_u32 v68, v14, v7
	v_mul_lo_u32 v69, v15, v6
	v_add3_u32 v67, v69, v67, v68
	s_mov_b64 s[42:43], 0
	v_mov_b64_e32 v[68:69], v[6:7]
                                        ; implicit-def: $sgpr40_sgpr41
                                        ; implicit-def: $sgpr44_sgpr45
                                        ; implicit-def: $sgpr48_sgpr49
                                        ; implicit-def: $sgpr46_sgpr47
                                        ; implicit-def: $sgpr50_sgpr51
                                        ; implicit-def: $sgpr52_sgpr53
	s_branch .LBB1001_684
.LBB1001_683:                           ;   in Loop: Header=BB1001_684 Depth=1
	s_or_b64 exec, exec, s[54:55]
	s_and_b64 s[12:13], exec, s[48:49]
	s_or_b64 s[42:43], s[12:13], s[42:43]
	s_andn2_b64 s[12:13], s[52:53], exec
	s_and_b64 s[52:53], s[50:51], exec
	s_or_b64 s[52:53], s[12:13], s[52:53]
	s_andn2_b64 s[12:13], s[44:45], exec
	s_and_b64 s[44:45], s[46:47], exec
	;; [unrolled: 3-line block ×3, first 2 shown]
	s_or_b64 s[40:41], s[12:13], s[18:19]
	s_andn2_b64 exec, exec, s[42:43]
	s_cbranch_execz .LBB1001_686
.LBB1001_684:                           ; =>This Inner Loop Header: Depth=1
	flat_load_ubyte v70, v[66:67]
	flat_load_ubyte v71, v[64:65]
	s_andn2_b64 s[50:51], s[50:51], exec
	s_or_b64 s[46:47], s[46:47], exec
	s_or_b64 s[48:49], s[48:49], exec
	s_waitcnt vmcnt(0) lgkmcnt(0)
	v_cmp_eq_u16_e64 s[12:13], 0, v70
	v_cmp_ne_u16_e64 s[18:19], 0, v71
	s_or_b64 s[56:57], s[12:13], s[18:19]
	s_and_b64 s[54:55], s[12:13], s[18:19]
	s_xor_b64 s[12:13], s[12:13], s[18:19]
	s_and_b64 s[18:19], s[56:57], s[52:53]
	s_or_b64 s[18:19], s[54:55], s[18:19]
	s_and_saveexec_b64 s[54:55], s[12:13]
	s_cbranch_execz .LBB1001_683
; %bb.685:                              ;   in Loop: Header=BB1001_684 Depth=1
	v_lshl_add_u64 v[68:69], v[68:69], 0, -1
	v_cmp_eq_u64_e64 s[12:13], 0, v[68:69]
	s_andn2_b64 s[50:51], s[50:51], exec
	s_and_b64 s[52:53], s[18:19], exec
	s_andn2_b64 s[48:49], s[48:49], exec
	s_and_b64 s[12:13], s[12:13], exec
	v_lshl_add_u64 v[64:65], v[64:65], 0, 1
	v_lshl_add_u64 v[66:67], v[66:67], 0, 1
	s_or_b64 s[50:51], s[50:51], s[52:53]
	s_andn2_b64 s[46:47], s[46:47], exec
	s_or_b64 s[48:49], s[48:49], s[12:13]
                                        ; implicit-def: $sgpr52_sgpr53
	s_branch .LBB1001_683
.LBB1001_686:
	s_or_b64 exec, exec, s[42:43]
	s_and_saveexec_b64 s[12:13], s[44:45]
	s_xor_b64 s[12:13], exec, s[12:13]
; %bb.687:
	v_cndmask_b32_e64 v65, v13, v15, s[40:41]
	v_cndmask_b32_e64 v64, v12, v14, s[40:41]
	;; [unrolled: 1-line block ×4, first 2 shown]
	v_mov_b64_e32 v[12:13], v[64:65]
; %bb.688:
	s_or_b64 exec, exec, s[12:13]
.LBB1001_689:
	s_or_b64 exec, exec, s[38:39]
	v_cmp_lt_u32_e64 s[12:13], 2, v31
	s_and_b64 s[38:39], s[12:13], s[26:27]
	s_and_saveexec_b64 s[12:13], s[38:39]
	s_xor_b64 s[40:41], exec, s[12:13]
	s_cbranch_execz .LBB1001_697
; %bb.690:
	v_mad_u64_u32 v[64:65], s[12:13], v26, v6, v[8:9]
	v_mul_lo_u32 v66, v26, v7
	v_mul_lo_u32 v67, v27, v6
	v_add3_u32 v65, v67, v65, v66
	v_mad_u64_u32 v[66:67], s[12:13], v20, v6, v[8:9]
	v_mul_lo_u32 v68, v20, v7
	v_mul_lo_u32 v69, v21, v6
	v_add3_u32 v67, v69, v67, v68
	s_mov_b64 s[44:45], 0
	v_mov_b64_e32 v[68:69], v[6:7]
                                        ; implicit-def: $sgpr42_sgpr43
                                        ; implicit-def: $sgpr46_sgpr47
                                        ; implicit-def: $sgpr50_sgpr51
                                        ; implicit-def: $sgpr48_sgpr49
                                        ; implicit-def: $sgpr52_sgpr53
                                        ; implicit-def: $sgpr54_sgpr55
	s_branch .LBB1001_692
.LBB1001_691:                           ;   in Loop: Header=BB1001_692 Depth=1
	s_or_b64 exec, exec, s[56:57]
	s_and_b64 s[12:13], exec, s[50:51]
	s_or_b64 s[44:45], s[12:13], s[44:45]
	s_andn2_b64 s[12:13], s[54:55], exec
	s_and_b64 s[54:55], s[52:53], exec
	s_or_b64 s[54:55], s[12:13], s[54:55]
	s_andn2_b64 s[12:13], s[46:47], exec
	s_and_b64 s[46:47], s[48:49], exec
	;; [unrolled: 3-line block ×3, first 2 shown]
	s_or_b64 s[42:43], s[12:13], s[18:19]
	s_andn2_b64 exec, exec, s[44:45]
	s_cbranch_execz .LBB1001_694
.LBB1001_692:                           ; =>This Inner Loop Header: Depth=1
	flat_load_ubyte v70, v[66:67]
	flat_load_ubyte v71, v[64:65]
	s_andn2_b64 s[52:53], s[52:53], exec
	s_or_b64 s[48:49], s[48:49], exec
	s_or_b64 s[50:51], s[50:51], exec
	s_waitcnt vmcnt(0) lgkmcnt(0)
	v_cmp_eq_u16_e64 s[12:13], 0, v70
	v_cmp_ne_u16_e64 s[18:19], 0, v71
	s_or_b64 s[58:59], s[12:13], s[18:19]
	s_and_b64 s[56:57], s[12:13], s[18:19]
	s_xor_b64 s[12:13], s[12:13], s[18:19]
	s_and_b64 s[18:19], s[58:59], s[54:55]
	s_or_b64 s[18:19], s[56:57], s[18:19]
	s_and_saveexec_b64 s[56:57], s[12:13]
	s_cbranch_execz .LBB1001_691
; %bb.693:                              ;   in Loop: Header=BB1001_692 Depth=1
	v_lshl_add_u64 v[68:69], v[68:69], 0, -1
	v_cmp_eq_u64_e64 s[12:13], 0, v[68:69]
	s_andn2_b64 s[52:53], s[52:53], exec
	s_and_b64 s[54:55], s[18:19], exec
	s_andn2_b64 s[50:51], s[50:51], exec
	s_and_b64 s[12:13], s[12:13], exec
	v_lshl_add_u64 v[64:65], v[64:65], 0, 1
	v_lshl_add_u64 v[66:67], v[66:67], 0, 1
	s_or_b64 s[52:53], s[52:53], s[54:55]
	s_andn2_b64 s[48:49], s[48:49], exec
	s_or_b64 s[50:51], s[50:51], s[12:13]
                                        ; implicit-def: $sgpr54_sgpr55
	s_branch .LBB1001_691
.LBB1001_694:
	s_or_b64 exec, exec, s[44:45]
	s_and_saveexec_b64 s[12:13], s[46:47]
	s_xor_b64 s[12:13], exec, s[12:13]
; %bb.695:
	v_cndmask_b32_e64 v65, v27, v21, s[42:43]
	v_cndmask_b32_e64 v64, v26, v20, s[42:43]
	;; [unrolled: 1-line block ×4, first 2 shown]
	v_mov_b64_e32 v[26:27], v[64:65]
; %bb.696:
	s_or_b64 exec, exec, s[12:13]
.LBB1001_697:
	s_or_b64 exec, exec, s[40:41]
	v_cmp_lt_u32_e64 s[12:13], 4, v31
	s_and_b64 s[40:41], s[12:13], s[26:27]
	s_and_saveexec_b64 s[42:43], s[40:41]
	s_cbranch_execz .LBB1001_705
; %bb.698:
	v_mad_u64_u32 v[64:65], s[12:13], v22, v6, v[8:9]
	v_mul_lo_u32 v66, v22, v7
	v_mul_lo_u32 v67, v23, v6
	v_add3_u32 v65, v67, v65, v66
	v_mad_u64_u32 v[66:67], s[12:13], v16, v6, v[8:9]
	v_mul_lo_u32 v68, v16, v7
	v_mul_lo_u32 v69, v17, v6
	v_add3_u32 v67, v69, v67, v68
	s_mov_b64 s[46:47], 0
	v_mov_b64_e32 v[68:69], v[6:7]
                                        ; implicit-def: $sgpr44_sgpr45
                                        ; implicit-def: $sgpr48_sgpr49
                                        ; implicit-def: $sgpr52_sgpr53
                                        ; implicit-def: $sgpr50_sgpr51
                                        ; implicit-def: $sgpr54_sgpr55
                                        ; implicit-def: $sgpr56_sgpr57
	s_branch .LBB1001_700
.LBB1001_699:                           ;   in Loop: Header=BB1001_700 Depth=1
	s_or_b64 exec, exec, s[58:59]
	s_and_b64 s[12:13], exec, s[52:53]
	s_or_b64 s[46:47], s[12:13], s[46:47]
	s_andn2_b64 s[12:13], s[56:57], exec
	s_and_b64 s[56:57], s[54:55], exec
	s_or_b64 s[56:57], s[12:13], s[56:57]
	s_andn2_b64 s[12:13], s[48:49], exec
	s_and_b64 s[48:49], s[50:51], exec
	;; [unrolled: 3-line block ×3, first 2 shown]
	s_or_b64 s[44:45], s[12:13], s[18:19]
	s_andn2_b64 exec, exec, s[46:47]
	s_cbranch_execz .LBB1001_702
.LBB1001_700:                           ; =>This Inner Loop Header: Depth=1
	flat_load_ubyte v70, v[66:67]
	flat_load_ubyte v71, v[64:65]
	s_andn2_b64 s[54:55], s[54:55], exec
	s_or_b64 s[50:51], s[50:51], exec
	s_or_b64 s[52:53], s[52:53], exec
	s_waitcnt vmcnt(0) lgkmcnt(0)
	v_cmp_eq_u16_e64 s[12:13], 0, v70
	v_cmp_ne_u16_e64 s[18:19], 0, v71
	s_or_b64 s[60:61], s[12:13], s[18:19]
	s_and_b64 s[58:59], s[12:13], s[18:19]
	s_xor_b64 s[12:13], s[12:13], s[18:19]
	s_and_b64 s[18:19], s[60:61], s[56:57]
	s_or_b64 s[18:19], s[58:59], s[18:19]
	s_and_saveexec_b64 s[58:59], s[12:13]
	s_cbranch_execz .LBB1001_699
; %bb.701:                              ;   in Loop: Header=BB1001_700 Depth=1
	v_lshl_add_u64 v[68:69], v[68:69], 0, -1
	v_cmp_eq_u64_e64 s[12:13], 0, v[68:69]
	s_andn2_b64 s[54:55], s[54:55], exec
	s_and_b64 s[56:57], s[18:19], exec
	s_andn2_b64 s[52:53], s[52:53], exec
	s_and_b64 s[12:13], s[12:13], exec
	v_lshl_add_u64 v[64:65], v[64:65], 0, 1
	v_lshl_add_u64 v[66:67], v[66:67], 0, 1
	s_or_b64 s[54:55], s[54:55], s[56:57]
	s_andn2_b64 s[50:51], s[50:51], exec
	s_or_b64 s[52:53], s[52:53], s[12:13]
                                        ; implicit-def: $sgpr56_sgpr57
	s_branch .LBB1001_699
.LBB1001_702:
	s_or_b64 exec, exec, s[46:47]
	s_and_saveexec_b64 s[12:13], s[48:49]
	s_xor_b64 s[12:13], exec, s[12:13]
; %bb.703:
	v_cndmask_b32_e64 v65, v23, v17, s[44:45]
	v_cndmask_b32_e64 v64, v22, v16, s[44:45]
	;; [unrolled: 1-line block ×4, first 2 shown]
	v_mov_b64_e32 v[22:23], v[64:65]
; %bb.704:
	s_or_b64 exec, exec, s[12:13]
.LBB1001_705:
	s_or_b64 exec, exec, s[42:43]
	v_cmp_lt_u32_e64 s[12:13], 6, v31
	s_and_b64 s[42:43], s[12:13], s[26:27]
	s_and_saveexec_b64 s[44:45], s[42:43]
	s_cbranch_execnz .LBB1001_727
; %bb.706:
	s_or_b64 exec, exec, s[44:45]
	s_and_saveexec_b64 s[44:45], s[28:29]
	s_cbranch_execnz .LBB1001_734
.LBB1001_707:
	s_or_b64 exec, exec, s[44:45]
	s_and_saveexec_b64 s[44:45], s[30:31]
	s_cbranch_execnz .LBB1001_741
.LBB1001_708:
	s_or_b64 exec, exec, s[44:45]
	s_and_saveexec_b64 s[44:45], s[34:35]
	s_cbranch_execnz .LBB1001_748
.LBB1001_709:
	s_or_b64 exec, exec, s[44:45]
	s_and_saveexec_b64 s[44:45], s[36:37]
	s_cbranch_execnz .LBB1001_755
.LBB1001_710:
	s_or_b64 exec, exec, s[44:45]
	s_and_saveexec_b64 s[44:45], s[38:39]
	s_cbranch_execnz .LBB1001_762
.LBB1001_711:
	s_or_b64 exec, exec, s[44:45]
	s_and_saveexec_b64 s[44:45], s[40:41]
	s_cbranch_execnz .LBB1001_769
.LBB1001_712:
	s_or_b64 exec, exec, s[44:45]
	s_and_saveexec_b64 s[44:45], s[42:43]
	s_cbranch_execnz .LBB1001_776
.LBB1001_713:
	s_or_b64 exec, exec, s[44:45]
	s_and_saveexec_b64 s[44:45], s[28:29]
	s_cbranch_execnz .LBB1001_783
.LBB1001_714:
	s_or_b64 exec, exec, s[44:45]
	s_and_saveexec_b64 s[44:45], s[30:31]
	s_cbranch_execnz .LBB1001_790
.LBB1001_715:
	s_or_b64 exec, exec, s[44:45]
	s_and_saveexec_b64 s[44:45], s[34:35]
	s_cbranch_execnz .LBB1001_797
.LBB1001_716:
	s_or_b64 exec, exec, s[44:45]
	s_and_saveexec_b64 s[44:45], s[36:37]
	s_cbranch_execnz .LBB1001_804
.LBB1001_717:
	s_or_b64 exec, exec, s[44:45]
	s_and_saveexec_b64 s[44:45], s[38:39]
	s_cbranch_execnz .LBB1001_811
.LBB1001_718:
	s_or_b64 exec, exec, s[44:45]
	s_and_saveexec_b64 s[44:45], s[40:41]
	s_cbranch_execnz .LBB1001_818
.LBB1001_719:
	s_or_b64 exec, exec, s[44:45]
	s_and_saveexec_b64 s[44:45], s[42:43]
	s_cbranch_execnz .LBB1001_825
.LBB1001_720:
	s_or_b64 exec, exec, s[44:45]
	s_and_saveexec_b64 s[44:45], s[28:29]
	s_cbranch_execnz .LBB1001_832
.LBB1001_721:
	s_or_b64 exec, exec, s[44:45]
	s_and_saveexec_b64 s[28:29], s[30:31]
	s_cbranch_execnz .LBB1001_839
.LBB1001_722:
	s_or_b64 exec, exec, s[28:29]
	s_and_saveexec_b64 s[28:29], s[34:35]
	s_cbranch_execnz .LBB1001_846
.LBB1001_723:
	s_or_b64 exec, exec, s[28:29]
	s_and_saveexec_b64 s[28:29], s[36:37]
	s_cbranch_execnz .LBB1001_853
.LBB1001_724:
	s_or_b64 exec, exec, s[28:29]
	s_and_saveexec_b64 s[28:29], s[38:39]
	s_cbranch_execnz .LBB1001_860
.LBB1001_725:
	s_or_b64 exec, exec, s[28:29]
	s_and_saveexec_b64 s[28:29], s[40:41]
	s_cbranch_execnz .LBB1001_867
.LBB1001_726:
	s_or_b64 exec, exec, s[28:29]
	s_and_saveexec_b64 s[28:29], s[42:43]
	s_cbranch_execnz .LBB1001_874
	s_branch .LBB1001_881
.LBB1001_727:
	v_mad_u64_u32 v[64:65], s[12:13], v18, v6, v[8:9]
	v_mul_lo_u32 v31, v18, v7
	v_mul_lo_u32 v66, v19, v6
	v_add3_u32 v65, v66, v65, v31
	v_mad_u64_u32 v[66:67], s[12:13], v12, v6, v[8:9]
	v_mul_lo_u32 v31, v12, v7
	v_mul_lo_u32 v68, v13, v6
	v_add3_u32 v67, v68, v67, v31
	s_mov_b64 s[48:49], 0
	v_mov_b64_e32 v[68:69], v[6:7]
                                        ; implicit-def: $sgpr46_sgpr47
                                        ; implicit-def: $sgpr50_sgpr51
                                        ; implicit-def: $sgpr54_sgpr55
                                        ; implicit-def: $sgpr52_sgpr53
                                        ; implicit-def: $sgpr56_sgpr57
                                        ; implicit-def: $sgpr58_sgpr59
	s_branch .LBB1001_729
.LBB1001_728:                           ;   in Loop: Header=BB1001_729 Depth=1
	s_or_b64 exec, exec, s[60:61]
	s_and_b64 s[12:13], exec, s[54:55]
	s_or_b64 s[48:49], s[12:13], s[48:49]
	s_andn2_b64 s[12:13], s[58:59], exec
	s_and_b64 s[58:59], s[56:57], exec
	s_or_b64 s[58:59], s[12:13], s[58:59]
	s_andn2_b64 s[12:13], s[50:51], exec
	s_and_b64 s[50:51], s[52:53], exec
	;; [unrolled: 3-line block ×3, first 2 shown]
	s_or_b64 s[46:47], s[12:13], s[18:19]
	s_andn2_b64 exec, exec, s[48:49]
	s_cbranch_execz .LBB1001_731
.LBB1001_729:                           ; =>This Inner Loop Header: Depth=1
	flat_load_ubyte v31, v[66:67]
	flat_load_ubyte v70, v[64:65]
	s_andn2_b64 s[56:57], s[56:57], exec
	s_or_b64 s[52:53], s[52:53], exec
	s_or_b64 s[54:55], s[54:55], exec
	s_waitcnt vmcnt(0) lgkmcnt(0)
	v_cmp_eq_u16_e64 s[12:13], 0, v31
	v_cmp_ne_u16_e64 s[18:19], 0, v70
	s_or_b64 s[62:63], s[12:13], s[18:19]
	s_and_b64 s[60:61], s[12:13], s[18:19]
	s_xor_b64 s[12:13], s[12:13], s[18:19]
	s_and_b64 s[18:19], s[62:63], s[58:59]
	s_or_b64 s[18:19], s[60:61], s[18:19]
	s_and_saveexec_b64 s[60:61], s[12:13]
	s_cbranch_execz .LBB1001_728
; %bb.730:                              ;   in Loop: Header=BB1001_729 Depth=1
	v_lshl_add_u64 v[68:69], v[68:69], 0, -1
	v_cmp_eq_u64_e64 s[12:13], 0, v[68:69]
	s_andn2_b64 s[56:57], s[56:57], exec
	s_and_b64 s[58:59], s[18:19], exec
	s_andn2_b64 s[54:55], s[54:55], exec
	s_and_b64 s[12:13], s[12:13], exec
	v_lshl_add_u64 v[64:65], v[64:65], 0, 1
	v_lshl_add_u64 v[66:67], v[66:67], 0, 1
	s_or_b64 s[56:57], s[56:57], s[58:59]
	s_andn2_b64 s[52:53], s[52:53], exec
	s_or_b64 s[54:55], s[54:55], s[12:13]
                                        ; implicit-def: $sgpr58_sgpr59
	s_branch .LBB1001_728
.LBB1001_731:
	s_or_b64 exec, exec, s[48:49]
	s_and_saveexec_b64 s[12:13], s[50:51]
	s_xor_b64 s[12:13], exec, s[12:13]
; %bb.732:
	v_cndmask_b32_e64 v65, v19, v13, s[46:47]
	v_cndmask_b32_e64 v64, v18, v12, s[46:47]
	;; [unrolled: 1-line block ×4, first 2 shown]
	v_mov_b64_e32 v[18:19], v[64:65]
; %bb.733:
	s_or_b64 exec, exec, s[12:13]
	s_or_b64 exec, exec, s[44:45]
	s_and_saveexec_b64 s[44:45], s[28:29]
	s_cbranch_execz .LBB1001_707
.LBB1001_734:
	v_mad_u64_u32 v[64:65], s[12:13], v24, v6, v[8:9]
	v_mul_lo_u32 v31, v24, v7
	v_mul_lo_u32 v66, v25, v6
	v_add3_u32 v65, v66, v65, v31
	v_mad_u64_u32 v[66:67], s[12:13], v26, v6, v[8:9]
	v_mul_lo_u32 v31, v26, v7
	v_mul_lo_u32 v68, v27, v6
	v_add3_u32 v67, v68, v67, v31
	s_mov_b64 s[48:49], 0
	v_mov_b64_e32 v[68:69], v[6:7]
                                        ; implicit-def: $sgpr46_sgpr47
                                        ; implicit-def: $sgpr50_sgpr51
                                        ; implicit-def: $sgpr54_sgpr55
                                        ; implicit-def: $sgpr52_sgpr53
                                        ; implicit-def: $sgpr56_sgpr57
                                        ; implicit-def: $sgpr58_sgpr59
	s_branch .LBB1001_736
.LBB1001_735:                           ;   in Loop: Header=BB1001_736 Depth=1
	s_or_b64 exec, exec, s[60:61]
	s_and_b64 s[12:13], exec, s[54:55]
	s_or_b64 s[48:49], s[12:13], s[48:49]
	s_andn2_b64 s[12:13], s[58:59], exec
	s_and_b64 s[58:59], s[56:57], exec
	s_or_b64 s[58:59], s[12:13], s[58:59]
	s_andn2_b64 s[12:13], s[50:51], exec
	s_and_b64 s[50:51], s[52:53], exec
	;; [unrolled: 3-line block ×3, first 2 shown]
	s_or_b64 s[46:47], s[12:13], s[18:19]
	s_andn2_b64 exec, exec, s[48:49]
	s_cbranch_execz .LBB1001_738
.LBB1001_736:                           ; =>This Inner Loop Header: Depth=1
	flat_load_ubyte v31, v[66:67]
	flat_load_ubyte v70, v[64:65]
	s_andn2_b64 s[56:57], s[56:57], exec
	s_or_b64 s[52:53], s[52:53], exec
	s_or_b64 s[54:55], s[54:55], exec
	s_waitcnt vmcnt(0) lgkmcnt(0)
	v_cmp_eq_u16_e64 s[12:13], 0, v31
	v_cmp_ne_u16_e64 s[18:19], 0, v70
	s_or_b64 s[62:63], s[12:13], s[18:19]
	s_and_b64 s[60:61], s[12:13], s[18:19]
	s_xor_b64 s[12:13], s[12:13], s[18:19]
	s_and_b64 s[18:19], s[62:63], s[58:59]
	s_or_b64 s[18:19], s[60:61], s[18:19]
	s_and_saveexec_b64 s[60:61], s[12:13]
	s_cbranch_execz .LBB1001_735
; %bb.737:                              ;   in Loop: Header=BB1001_736 Depth=1
	v_lshl_add_u64 v[68:69], v[68:69], 0, -1
	v_cmp_eq_u64_e64 s[12:13], 0, v[68:69]
	s_andn2_b64 s[56:57], s[56:57], exec
	s_and_b64 s[58:59], s[18:19], exec
	s_andn2_b64 s[54:55], s[54:55], exec
	s_and_b64 s[12:13], s[12:13], exec
	v_lshl_add_u64 v[64:65], v[64:65], 0, 1
	v_lshl_add_u64 v[66:67], v[66:67], 0, 1
	s_or_b64 s[56:57], s[56:57], s[58:59]
	s_andn2_b64 s[52:53], s[52:53], exec
	s_or_b64 s[54:55], s[54:55], s[12:13]
                                        ; implicit-def: $sgpr58_sgpr59
	s_branch .LBB1001_735
.LBB1001_738:
	s_or_b64 exec, exec, s[48:49]
	s_and_saveexec_b64 s[12:13], s[50:51]
	s_xor_b64 s[12:13], exec, s[12:13]
; %bb.739:
	v_cndmask_b32_e64 v65, v27, v25, s[46:47]
	v_cndmask_b32_e64 v64, v26, v24, s[46:47]
	;; [unrolled: 1-line block ×4, first 2 shown]
	v_mov_b64_e32 v[26:27], v[64:65]
; %bb.740:
	s_or_b64 exec, exec, s[12:13]
	s_or_b64 exec, exec, s[44:45]
	s_and_saveexec_b64 s[44:45], s[30:31]
	s_cbranch_execz .LBB1001_708
.LBB1001_741:
	v_mad_u64_u32 v[64:65], s[12:13], v20, v6, v[8:9]
	v_mul_lo_u32 v31, v20, v7
	v_mul_lo_u32 v66, v21, v6
	v_add3_u32 v65, v66, v65, v31
	v_mad_u64_u32 v[66:67], s[12:13], v22, v6, v[8:9]
	v_mul_lo_u32 v31, v22, v7
	v_mul_lo_u32 v68, v23, v6
	v_add3_u32 v67, v68, v67, v31
	s_mov_b64 s[48:49], 0
	v_mov_b64_e32 v[68:69], v[6:7]
                                        ; implicit-def: $sgpr46_sgpr47
                                        ; implicit-def: $sgpr50_sgpr51
                                        ; implicit-def: $sgpr54_sgpr55
                                        ; implicit-def: $sgpr52_sgpr53
                                        ; implicit-def: $sgpr56_sgpr57
                                        ; implicit-def: $sgpr58_sgpr59
	s_branch .LBB1001_743
.LBB1001_742:                           ;   in Loop: Header=BB1001_743 Depth=1
	s_or_b64 exec, exec, s[60:61]
	s_and_b64 s[12:13], exec, s[54:55]
	s_or_b64 s[48:49], s[12:13], s[48:49]
	s_andn2_b64 s[12:13], s[58:59], exec
	s_and_b64 s[58:59], s[56:57], exec
	s_or_b64 s[58:59], s[12:13], s[58:59]
	s_andn2_b64 s[12:13], s[50:51], exec
	s_and_b64 s[50:51], s[52:53], exec
	;; [unrolled: 3-line block ×3, first 2 shown]
	s_or_b64 s[46:47], s[12:13], s[18:19]
	s_andn2_b64 exec, exec, s[48:49]
	s_cbranch_execz .LBB1001_745
.LBB1001_743:                           ; =>This Inner Loop Header: Depth=1
	flat_load_ubyte v31, v[66:67]
	flat_load_ubyte v70, v[64:65]
	s_andn2_b64 s[56:57], s[56:57], exec
	s_or_b64 s[52:53], s[52:53], exec
	s_or_b64 s[54:55], s[54:55], exec
	s_waitcnt vmcnt(0) lgkmcnt(0)
	v_cmp_eq_u16_e64 s[12:13], 0, v31
	v_cmp_ne_u16_e64 s[18:19], 0, v70
	s_or_b64 s[62:63], s[12:13], s[18:19]
	s_and_b64 s[60:61], s[12:13], s[18:19]
	s_xor_b64 s[12:13], s[12:13], s[18:19]
	s_and_b64 s[18:19], s[62:63], s[58:59]
	s_or_b64 s[18:19], s[60:61], s[18:19]
	s_and_saveexec_b64 s[60:61], s[12:13]
	s_cbranch_execz .LBB1001_742
; %bb.744:                              ;   in Loop: Header=BB1001_743 Depth=1
	v_lshl_add_u64 v[68:69], v[68:69], 0, -1
	v_cmp_eq_u64_e64 s[12:13], 0, v[68:69]
	s_andn2_b64 s[56:57], s[56:57], exec
	s_and_b64 s[58:59], s[18:19], exec
	s_andn2_b64 s[54:55], s[54:55], exec
	s_and_b64 s[12:13], s[12:13], exec
	v_lshl_add_u64 v[64:65], v[64:65], 0, 1
	v_lshl_add_u64 v[66:67], v[66:67], 0, 1
	s_or_b64 s[56:57], s[56:57], s[58:59]
	s_andn2_b64 s[52:53], s[52:53], exec
	s_or_b64 s[54:55], s[54:55], s[12:13]
                                        ; implicit-def: $sgpr58_sgpr59
	s_branch .LBB1001_742
.LBB1001_745:
	s_or_b64 exec, exec, s[48:49]
	s_and_saveexec_b64 s[12:13], s[50:51]
	s_xor_b64 s[12:13], exec, s[12:13]
; %bb.746:
	v_cndmask_b32_e64 v65, v21, v23, s[46:47]
	v_cndmask_b32_e64 v64, v20, v22, s[46:47]
	;; [unrolled: 1-line block ×4, first 2 shown]
	v_mov_b64_e32 v[20:21], v[64:65]
; %bb.747:
	s_or_b64 exec, exec, s[12:13]
	s_or_b64 exec, exec, s[44:45]
	s_and_saveexec_b64 s[44:45], s[34:35]
	s_cbranch_execz .LBB1001_709
.LBB1001_748:
	v_mad_u64_u32 v[64:65], s[12:13], v16, v6, v[8:9]
	v_mul_lo_u32 v31, v16, v7
	v_mul_lo_u32 v66, v17, v6
	v_add3_u32 v65, v66, v65, v31
	v_mad_u64_u32 v[66:67], s[12:13], v18, v6, v[8:9]
	v_mul_lo_u32 v31, v18, v7
	v_mul_lo_u32 v68, v19, v6
	v_add3_u32 v67, v68, v67, v31
	s_mov_b64 s[48:49], 0
	v_mov_b64_e32 v[68:69], v[6:7]
                                        ; implicit-def: $sgpr46_sgpr47
                                        ; implicit-def: $sgpr50_sgpr51
                                        ; implicit-def: $sgpr54_sgpr55
                                        ; implicit-def: $sgpr52_sgpr53
                                        ; implicit-def: $sgpr56_sgpr57
                                        ; implicit-def: $sgpr58_sgpr59
	s_branch .LBB1001_750
.LBB1001_749:                           ;   in Loop: Header=BB1001_750 Depth=1
	s_or_b64 exec, exec, s[60:61]
	s_and_b64 s[12:13], exec, s[54:55]
	s_or_b64 s[48:49], s[12:13], s[48:49]
	s_andn2_b64 s[12:13], s[58:59], exec
	s_and_b64 s[58:59], s[56:57], exec
	s_or_b64 s[58:59], s[12:13], s[58:59]
	s_andn2_b64 s[12:13], s[50:51], exec
	s_and_b64 s[50:51], s[52:53], exec
	;; [unrolled: 3-line block ×3, first 2 shown]
	s_or_b64 s[46:47], s[12:13], s[18:19]
	s_andn2_b64 exec, exec, s[48:49]
	s_cbranch_execz .LBB1001_752
.LBB1001_750:                           ; =>This Inner Loop Header: Depth=1
	flat_load_ubyte v31, v[66:67]
	flat_load_ubyte v70, v[64:65]
	s_andn2_b64 s[56:57], s[56:57], exec
	s_or_b64 s[52:53], s[52:53], exec
	s_or_b64 s[54:55], s[54:55], exec
	s_waitcnt vmcnt(0) lgkmcnt(0)
	v_cmp_eq_u16_e64 s[12:13], 0, v31
	v_cmp_ne_u16_e64 s[18:19], 0, v70
	s_or_b64 s[62:63], s[12:13], s[18:19]
	s_and_b64 s[60:61], s[12:13], s[18:19]
	s_xor_b64 s[12:13], s[12:13], s[18:19]
	s_and_b64 s[18:19], s[62:63], s[58:59]
	s_or_b64 s[18:19], s[60:61], s[18:19]
	s_and_saveexec_b64 s[60:61], s[12:13]
	s_cbranch_execz .LBB1001_749
; %bb.751:                              ;   in Loop: Header=BB1001_750 Depth=1
	v_lshl_add_u64 v[68:69], v[68:69], 0, -1
	v_cmp_eq_u64_e64 s[12:13], 0, v[68:69]
	s_andn2_b64 s[56:57], s[56:57], exec
	s_and_b64 s[58:59], s[18:19], exec
	s_andn2_b64 s[54:55], s[54:55], exec
	s_and_b64 s[12:13], s[12:13], exec
	v_lshl_add_u64 v[64:65], v[64:65], 0, 1
	v_lshl_add_u64 v[66:67], v[66:67], 0, 1
	s_or_b64 s[56:57], s[56:57], s[58:59]
	s_andn2_b64 s[52:53], s[52:53], exec
	s_or_b64 s[54:55], s[54:55], s[12:13]
                                        ; implicit-def: $sgpr58_sgpr59
	s_branch .LBB1001_749
.LBB1001_752:
	s_or_b64 exec, exec, s[48:49]
	s_and_saveexec_b64 s[12:13], s[50:51]
	s_xor_b64 s[12:13], exec, s[12:13]
; %bb.753:
	v_cndmask_b32_e64 v65, v17, v19, s[46:47]
	v_cndmask_b32_e64 v64, v16, v18, s[46:47]
	v_cndmask_b32_e64 v19, v19, v17, s[46:47]
	v_cndmask_b32_e64 v18, v18, v16, s[46:47]
	v_mov_b64_e32 v[16:17], v[64:65]
; %bb.754:
	s_or_b64 exec, exec, s[12:13]
	s_or_b64 exec, exec, s[44:45]
	s_and_saveexec_b64 s[44:45], s[36:37]
	s_cbranch_execz .LBB1001_710
.LBB1001_755:
	v_mad_u64_u32 v[64:65], s[12:13], v12, v6, v[8:9]
	v_mul_lo_u32 v31, v12, v7
	v_mul_lo_u32 v66, v13, v6
	v_add3_u32 v65, v66, v65, v31
	v_mad_u64_u32 v[66:67], s[12:13], v14, v6, v[8:9]
	v_mul_lo_u32 v31, v14, v7
	v_mul_lo_u32 v68, v15, v6
	v_add3_u32 v67, v68, v67, v31
	s_mov_b64 s[48:49], 0
	v_mov_b64_e32 v[68:69], v[6:7]
                                        ; implicit-def: $sgpr46_sgpr47
                                        ; implicit-def: $sgpr50_sgpr51
                                        ; implicit-def: $sgpr54_sgpr55
                                        ; implicit-def: $sgpr52_sgpr53
                                        ; implicit-def: $sgpr56_sgpr57
                                        ; implicit-def: $sgpr58_sgpr59
	s_branch .LBB1001_757
.LBB1001_756:                           ;   in Loop: Header=BB1001_757 Depth=1
	s_or_b64 exec, exec, s[60:61]
	s_and_b64 s[12:13], exec, s[54:55]
	s_or_b64 s[48:49], s[12:13], s[48:49]
	s_andn2_b64 s[12:13], s[58:59], exec
	s_and_b64 s[58:59], s[56:57], exec
	s_or_b64 s[58:59], s[12:13], s[58:59]
	s_andn2_b64 s[12:13], s[50:51], exec
	s_and_b64 s[50:51], s[52:53], exec
	s_or_b64 s[50:51], s[12:13], s[50:51]
	s_andn2_b64 s[12:13], s[46:47], exec
	s_and_b64 s[18:19], s[18:19], exec
	s_or_b64 s[46:47], s[12:13], s[18:19]
	s_andn2_b64 exec, exec, s[48:49]
	s_cbranch_execz .LBB1001_759
.LBB1001_757:                           ; =>This Inner Loop Header: Depth=1
	flat_load_ubyte v31, v[66:67]
	flat_load_ubyte v70, v[64:65]
	s_andn2_b64 s[56:57], s[56:57], exec
	s_or_b64 s[52:53], s[52:53], exec
	s_or_b64 s[54:55], s[54:55], exec
	s_waitcnt vmcnt(0) lgkmcnt(0)
	v_cmp_eq_u16_e64 s[12:13], 0, v31
	v_cmp_ne_u16_e64 s[18:19], 0, v70
	s_or_b64 s[62:63], s[12:13], s[18:19]
	s_and_b64 s[60:61], s[12:13], s[18:19]
	s_xor_b64 s[12:13], s[12:13], s[18:19]
	s_and_b64 s[18:19], s[62:63], s[58:59]
	s_or_b64 s[18:19], s[60:61], s[18:19]
	s_and_saveexec_b64 s[60:61], s[12:13]
	s_cbranch_execz .LBB1001_756
; %bb.758:                              ;   in Loop: Header=BB1001_757 Depth=1
	v_lshl_add_u64 v[68:69], v[68:69], 0, -1
	v_cmp_eq_u64_e64 s[12:13], 0, v[68:69]
	s_andn2_b64 s[56:57], s[56:57], exec
	s_and_b64 s[58:59], s[18:19], exec
	s_andn2_b64 s[54:55], s[54:55], exec
	s_and_b64 s[12:13], s[12:13], exec
	v_lshl_add_u64 v[64:65], v[64:65], 0, 1
	v_lshl_add_u64 v[66:67], v[66:67], 0, 1
	s_or_b64 s[56:57], s[56:57], s[58:59]
	s_andn2_b64 s[52:53], s[52:53], exec
	s_or_b64 s[54:55], s[54:55], s[12:13]
                                        ; implicit-def: $sgpr58_sgpr59
	s_branch .LBB1001_756
.LBB1001_759:
	s_or_b64 exec, exec, s[48:49]
	s_and_saveexec_b64 s[12:13], s[50:51]
	s_xor_b64 s[12:13], exec, s[12:13]
; %bb.760:
	v_cndmask_b32_e64 v65, v13, v15, s[46:47]
	v_cndmask_b32_e64 v64, v12, v14, s[46:47]
	;; [unrolled: 1-line block ×4, first 2 shown]
	v_mov_b64_e32 v[12:13], v[64:65]
; %bb.761:
	s_or_b64 exec, exec, s[12:13]
	s_or_b64 exec, exec, s[44:45]
	s_and_saveexec_b64 s[44:45], s[38:39]
	s_cbranch_execz .LBB1001_711
.LBB1001_762:
	v_mad_u64_u32 v[64:65], s[12:13], v26, v6, v[8:9]
	v_mul_lo_u32 v31, v26, v7
	v_mul_lo_u32 v66, v27, v6
	v_add3_u32 v65, v66, v65, v31
	v_mad_u64_u32 v[66:67], s[12:13], v20, v6, v[8:9]
	v_mul_lo_u32 v31, v20, v7
	v_mul_lo_u32 v68, v21, v6
	v_add3_u32 v67, v68, v67, v31
	s_mov_b64 s[48:49], 0
	v_mov_b64_e32 v[68:69], v[6:7]
                                        ; implicit-def: $sgpr46_sgpr47
                                        ; implicit-def: $sgpr50_sgpr51
                                        ; implicit-def: $sgpr54_sgpr55
                                        ; implicit-def: $sgpr52_sgpr53
                                        ; implicit-def: $sgpr56_sgpr57
                                        ; implicit-def: $sgpr58_sgpr59
	s_branch .LBB1001_764
.LBB1001_763:                           ;   in Loop: Header=BB1001_764 Depth=1
	s_or_b64 exec, exec, s[60:61]
	s_and_b64 s[12:13], exec, s[54:55]
	s_or_b64 s[48:49], s[12:13], s[48:49]
	s_andn2_b64 s[12:13], s[58:59], exec
	s_and_b64 s[58:59], s[56:57], exec
	s_or_b64 s[58:59], s[12:13], s[58:59]
	s_andn2_b64 s[12:13], s[50:51], exec
	s_and_b64 s[50:51], s[52:53], exec
	;; [unrolled: 3-line block ×3, first 2 shown]
	s_or_b64 s[46:47], s[12:13], s[18:19]
	s_andn2_b64 exec, exec, s[48:49]
	s_cbranch_execz .LBB1001_766
.LBB1001_764:                           ; =>This Inner Loop Header: Depth=1
	flat_load_ubyte v31, v[66:67]
	flat_load_ubyte v70, v[64:65]
	s_andn2_b64 s[56:57], s[56:57], exec
	s_or_b64 s[52:53], s[52:53], exec
	s_or_b64 s[54:55], s[54:55], exec
	s_waitcnt vmcnt(0) lgkmcnt(0)
	v_cmp_eq_u16_e64 s[12:13], 0, v31
	v_cmp_ne_u16_e64 s[18:19], 0, v70
	s_or_b64 s[62:63], s[12:13], s[18:19]
	s_and_b64 s[60:61], s[12:13], s[18:19]
	s_xor_b64 s[12:13], s[12:13], s[18:19]
	s_and_b64 s[18:19], s[62:63], s[58:59]
	s_or_b64 s[18:19], s[60:61], s[18:19]
	s_and_saveexec_b64 s[60:61], s[12:13]
	s_cbranch_execz .LBB1001_763
; %bb.765:                              ;   in Loop: Header=BB1001_764 Depth=1
	v_lshl_add_u64 v[68:69], v[68:69], 0, -1
	v_cmp_eq_u64_e64 s[12:13], 0, v[68:69]
	s_andn2_b64 s[56:57], s[56:57], exec
	s_and_b64 s[58:59], s[18:19], exec
	s_andn2_b64 s[54:55], s[54:55], exec
	s_and_b64 s[12:13], s[12:13], exec
	v_lshl_add_u64 v[64:65], v[64:65], 0, 1
	v_lshl_add_u64 v[66:67], v[66:67], 0, 1
	s_or_b64 s[56:57], s[56:57], s[58:59]
	s_andn2_b64 s[52:53], s[52:53], exec
	s_or_b64 s[54:55], s[54:55], s[12:13]
                                        ; implicit-def: $sgpr58_sgpr59
	s_branch .LBB1001_763
.LBB1001_766:
	s_or_b64 exec, exec, s[48:49]
	s_and_saveexec_b64 s[12:13], s[50:51]
	s_xor_b64 s[12:13], exec, s[12:13]
; %bb.767:
	v_cndmask_b32_e64 v65, v27, v21, s[46:47]
	v_cndmask_b32_e64 v64, v26, v20, s[46:47]
	;; [unrolled: 1-line block ×4, first 2 shown]
	v_mov_b64_e32 v[26:27], v[64:65]
; %bb.768:
	s_or_b64 exec, exec, s[12:13]
	s_or_b64 exec, exec, s[44:45]
	s_and_saveexec_b64 s[44:45], s[40:41]
	s_cbranch_execz .LBB1001_712
.LBB1001_769:
	v_mad_u64_u32 v[64:65], s[12:13], v22, v6, v[8:9]
	v_mul_lo_u32 v31, v22, v7
	v_mul_lo_u32 v66, v23, v6
	v_add3_u32 v65, v66, v65, v31
	v_mad_u64_u32 v[66:67], s[12:13], v16, v6, v[8:9]
	v_mul_lo_u32 v31, v16, v7
	v_mul_lo_u32 v68, v17, v6
	v_add3_u32 v67, v68, v67, v31
	s_mov_b64 s[48:49], 0
	v_mov_b64_e32 v[68:69], v[6:7]
                                        ; implicit-def: $sgpr46_sgpr47
                                        ; implicit-def: $sgpr50_sgpr51
                                        ; implicit-def: $sgpr54_sgpr55
                                        ; implicit-def: $sgpr52_sgpr53
                                        ; implicit-def: $sgpr56_sgpr57
                                        ; implicit-def: $sgpr58_sgpr59
	s_branch .LBB1001_771
.LBB1001_770:                           ;   in Loop: Header=BB1001_771 Depth=1
	s_or_b64 exec, exec, s[60:61]
	s_and_b64 s[12:13], exec, s[54:55]
	s_or_b64 s[48:49], s[12:13], s[48:49]
	s_andn2_b64 s[12:13], s[58:59], exec
	s_and_b64 s[58:59], s[56:57], exec
	s_or_b64 s[58:59], s[12:13], s[58:59]
	s_andn2_b64 s[12:13], s[50:51], exec
	s_and_b64 s[50:51], s[52:53], exec
	;; [unrolled: 3-line block ×3, first 2 shown]
	s_or_b64 s[46:47], s[12:13], s[18:19]
	s_andn2_b64 exec, exec, s[48:49]
	s_cbranch_execz .LBB1001_773
.LBB1001_771:                           ; =>This Inner Loop Header: Depth=1
	flat_load_ubyte v31, v[66:67]
	flat_load_ubyte v70, v[64:65]
	s_andn2_b64 s[56:57], s[56:57], exec
	s_or_b64 s[52:53], s[52:53], exec
	s_or_b64 s[54:55], s[54:55], exec
	s_waitcnt vmcnt(0) lgkmcnt(0)
	v_cmp_eq_u16_e64 s[12:13], 0, v31
	v_cmp_ne_u16_e64 s[18:19], 0, v70
	s_or_b64 s[62:63], s[12:13], s[18:19]
	s_and_b64 s[60:61], s[12:13], s[18:19]
	s_xor_b64 s[12:13], s[12:13], s[18:19]
	s_and_b64 s[18:19], s[62:63], s[58:59]
	s_or_b64 s[18:19], s[60:61], s[18:19]
	s_and_saveexec_b64 s[60:61], s[12:13]
	s_cbranch_execz .LBB1001_770
; %bb.772:                              ;   in Loop: Header=BB1001_771 Depth=1
	v_lshl_add_u64 v[68:69], v[68:69], 0, -1
	v_cmp_eq_u64_e64 s[12:13], 0, v[68:69]
	s_andn2_b64 s[56:57], s[56:57], exec
	s_and_b64 s[58:59], s[18:19], exec
	s_andn2_b64 s[54:55], s[54:55], exec
	s_and_b64 s[12:13], s[12:13], exec
	v_lshl_add_u64 v[64:65], v[64:65], 0, 1
	v_lshl_add_u64 v[66:67], v[66:67], 0, 1
	s_or_b64 s[56:57], s[56:57], s[58:59]
	s_andn2_b64 s[52:53], s[52:53], exec
	s_or_b64 s[54:55], s[54:55], s[12:13]
                                        ; implicit-def: $sgpr58_sgpr59
	s_branch .LBB1001_770
.LBB1001_773:
	s_or_b64 exec, exec, s[48:49]
	s_and_saveexec_b64 s[12:13], s[50:51]
	s_xor_b64 s[12:13], exec, s[12:13]
; %bb.774:
	v_cndmask_b32_e64 v65, v23, v17, s[46:47]
	v_cndmask_b32_e64 v64, v22, v16, s[46:47]
	;; [unrolled: 1-line block ×4, first 2 shown]
	v_mov_b64_e32 v[22:23], v[64:65]
; %bb.775:
	s_or_b64 exec, exec, s[12:13]
	s_or_b64 exec, exec, s[44:45]
	s_and_saveexec_b64 s[44:45], s[42:43]
	s_cbranch_execz .LBB1001_713
.LBB1001_776:
	v_mad_u64_u32 v[64:65], s[12:13], v18, v6, v[8:9]
	v_mul_lo_u32 v31, v18, v7
	v_mul_lo_u32 v66, v19, v6
	v_add3_u32 v65, v66, v65, v31
	v_mad_u64_u32 v[66:67], s[12:13], v12, v6, v[8:9]
	v_mul_lo_u32 v31, v12, v7
	v_mul_lo_u32 v68, v13, v6
	v_add3_u32 v67, v68, v67, v31
	s_mov_b64 s[48:49], 0
	v_mov_b64_e32 v[68:69], v[6:7]
                                        ; implicit-def: $sgpr46_sgpr47
                                        ; implicit-def: $sgpr50_sgpr51
                                        ; implicit-def: $sgpr54_sgpr55
                                        ; implicit-def: $sgpr52_sgpr53
                                        ; implicit-def: $sgpr56_sgpr57
                                        ; implicit-def: $sgpr58_sgpr59
	s_branch .LBB1001_778
.LBB1001_777:                           ;   in Loop: Header=BB1001_778 Depth=1
	s_or_b64 exec, exec, s[60:61]
	s_and_b64 s[12:13], exec, s[54:55]
	s_or_b64 s[48:49], s[12:13], s[48:49]
	s_andn2_b64 s[12:13], s[58:59], exec
	s_and_b64 s[58:59], s[56:57], exec
	s_or_b64 s[58:59], s[12:13], s[58:59]
	s_andn2_b64 s[12:13], s[50:51], exec
	s_and_b64 s[50:51], s[52:53], exec
	;; [unrolled: 3-line block ×3, first 2 shown]
	s_or_b64 s[46:47], s[12:13], s[18:19]
	s_andn2_b64 exec, exec, s[48:49]
	s_cbranch_execz .LBB1001_780
.LBB1001_778:                           ; =>This Inner Loop Header: Depth=1
	flat_load_ubyte v31, v[66:67]
	flat_load_ubyte v70, v[64:65]
	s_andn2_b64 s[56:57], s[56:57], exec
	s_or_b64 s[52:53], s[52:53], exec
	s_or_b64 s[54:55], s[54:55], exec
	s_waitcnt vmcnt(0) lgkmcnt(0)
	v_cmp_eq_u16_e64 s[12:13], 0, v31
	v_cmp_ne_u16_e64 s[18:19], 0, v70
	s_or_b64 s[62:63], s[12:13], s[18:19]
	s_and_b64 s[60:61], s[12:13], s[18:19]
	s_xor_b64 s[12:13], s[12:13], s[18:19]
	s_and_b64 s[18:19], s[62:63], s[58:59]
	s_or_b64 s[18:19], s[60:61], s[18:19]
	s_and_saveexec_b64 s[60:61], s[12:13]
	s_cbranch_execz .LBB1001_777
; %bb.779:                              ;   in Loop: Header=BB1001_778 Depth=1
	v_lshl_add_u64 v[68:69], v[68:69], 0, -1
	v_cmp_eq_u64_e64 s[12:13], 0, v[68:69]
	s_andn2_b64 s[56:57], s[56:57], exec
	s_and_b64 s[58:59], s[18:19], exec
	s_andn2_b64 s[54:55], s[54:55], exec
	s_and_b64 s[12:13], s[12:13], exec
	v_lshl_add_u64 v[64:65], v[64:65], 0, 1
	v_lshl_add_u64 v[66:67], v[66:67], 0, 1
	s_or_b64 s[56:57], s[56:57], s[58:59]
	s_andn2_b64 s[52:53], s[52:53], exec
	s_or_b64 s[54:55], s[54:55], s[12:13]
                                        ; implicit-def: $sgpr58_sgpr59
	s_branch .LBB1001_777
.LBB1001_780:
	s_or_b64 exec, exec, s[48:49]
	s_and_saveexec_b64 s[12:13], s[50:51]
	s_xor_b64 s[12:13], exec, s[12:13]
; %bb.781:
	v_cndmask_b32_e64 v65, v19, v13, s[46:47]
	v_cndmask_b32_e64 v64, v18, v12, s[46:47]
	v_cndmask_b32_e64 v13, v13, v19, s[46:47]
	v_cndmask_b32_e64 v12, v12, v18, s[46:47]
	v_mov_b64_e32 v[18:19], v[64:65]
; %bb.782:
	s_or_b64 exec, exec, s[12:13]
	s_or_b64 exec, exec, s[44:45]
	s_and_saveexec_b64 s[44:45], s[28:29]
	s_cbranch_execz .LBB1001_714
.LBB1001_783:
	v_mad_u64_u32 v[64:65], s[12:13], v24, v6, v[8:9]
	v_mul_lo_u32 v31, v24, v7
	v_mul_lo_u32 v66, v25, v6
	v_add3_u32 v65, v66, v65, v31
	v_mad_u64_u32 v[66:67], s[12:13], v26, v6, v[8:9]
	v_mul_lo_u32 v31, v26, v7
	v_mul_lo_u32 v68, v27, v6
	v_add3_u32 v67, v68, v67, v31
	s_mov_b64 s[48:49], 0
	v_mov_b64_e32 v[68:69], v[6:7]
                                        ; implicit-def: $sgpr46_sgpr47
                                        ; implicit-def: $sgpr50_sgpr51
                                        ; implicit-def: $sgpr54_sgpr55
                                        ; implicit-def: $sgpr52_sgpr53
                                        ; implicit-def: $sgpr56_sgpr57
                                        ; implicit-def: $sgpr58_sgpr59
	s_branch .LBB1001_785
.LBB1001_784:                           ;   in Loop: Header=BB1001_785 Depth=1
	s_or_b64 exec, exec, s[60:61]
	s_and_b64 s[12:13], exec, s[54:55]
	s_or_b64 s[48:49], s[12:13], s[48:49]
	s_andn2_b64 s[12:13], s[58:59], exec
	s_and_b64 s[58:59], s[56:57], exec
	s_or_b64 s[58:59], s[12:13], s[58:59]
	s_andn2_b64 s[12:13], s[50:51], exec
	s_and_b64 s[50:51], s[52:53], exec
	;; [unrolled: 3-line block ×3, first 2 shown]
	s_or_b64 s[46:47], s[12:13], s[18:19]
	s_andn2_b64 exec, exec, s[48:49]
	s_cbranch_execz .LBB1001_787
.LBB1001_785:                           ; =>This Inner Loop Header: Depth=1
	flat_load_ubyte v31, v[66:67]
	flat_load_ubyte v70, v[64:65]
	s_andn2_b64 s[56:57], s[56:57], exec
	s_or_b64 s[52:53], s[52:53], exec
	s_or_b64 s[54:55], s[54:55], exec
	s_waitcnt vmcnt(0) lgkmcnt(0)
	v_cmp_eq_u16_e64 s[12:13], 0, v31
	v_cmp_ne_u16_e64 s[18:19], 0, v70
	s_or_b64 s[62:63], s[12:13], s[18:19]
	s_and_b64 s[60:61], s[12:13], s[18:19]
	s_xor_b64 s[12:13], s[12:13], s[18:19]
	s_and_b64 s[18:19], s[62:63], s[58:59]
	s_or_b64 s[18:19], s[60:61], s[18:19]
	s_and_saveexec_b64 s[60:61], s[12:13]
	s_cbranch_execz .LBB1001_784
; %bb.786:                              ;   in Loop: Header=BB1001_785 Depth=1
	v_lshl_add_u64 v[68:69], v[68:69], 0, -1
	v_cmp_eq_u64_e64 s[12:13], 0, v[68:69]
	s_andn2_b64 s[56:57], s[56:57], exec
	s_and_b64 s[58:59], s[18:19], exec
	s_andn2_b64 s[54:55], s[54:55], exec
	s_and_b64 s[12:13], s[12:13], exec
	v_lshl_add_u64 v[64:65], v[64:65], 0, 1
	v_lshl_add_u64 v[66:67], v[66:67], 0, 1
	s_or_b64 s[56:57], s[56:57], s[58:59]
	s_andn2_b64 s[52:53], s[52:53], exec
	s_or_b64 s[54:55], s[54:55], s[12:13]
                                        ; implicit-def: $sgpr58_sgpr59
	s_branch .LBB1001_784
.LBB1001_787:
	s_or_b64 exec, exec, s[48:49]
	s_and_saveexec_b64 s[12:13], s[50:51]
	s_xor_b64 s[12:13], exec, s[12:13]
; %bb.788:
	v_cndmask_b32_e64 v65, v27, v25, s[46:47]
	v_cndmask_b32_e64 v64, v26, v24, s[46:47]
	;; [unrolled: 1-line block ×4, first 2 shown]
	v_mov_b64_e32 v[26:27], v[64:65]
; %bb.789:
	s_or_b64 exec, exec, s[12:13]
	s_or_b64 exec, exec, s[44:45]
	s_and_saveexec_b64 s[44:45], s[30:31]
	s_cbranch_execz .LBB1001_715
.LBB1001_790:
	v_mad_u64_u32 v[64:65], s[12:13], v20, v6, v[8:9]
	v_mul_lo_u32 v31, v20, v7
	v_mul_lo_u32 v66, v21, v6
	v_add3_u32 v65, v66, v65, v31
	v_mad_u64_u32 v[66:67], s[12:13], v22, v6, v[8:9]
	v_mul_lo_u32 v31, v22, v7
	v_mul_lo_u32 v68, v23, v6
	v_add3_u32 v67, v68, v67, v31
	s_mov_b64 s[48:49], 0
	v_mov_b64_e32 v[68:69], v[6:7]
                                        ; implicit-def: $sgpr46_sgpr47
                                        ; implicit-def: $sgpr50_sgpr51
                                        ; implicit-def: $sgpr54_sgpr55
                                        ; implicit-def: $sgpr52_sgpr53
                                        ; implicit-def: $sgpr56_sgpr57
                                        ; implicit-def: $sgpr58_sgpr59
	s_branch .LBB1001_792
.LBB1001_791:                           ;   in Loop: Header=BB1001_792 Depth=1
	s_or_b64 exec, exec, s[60:61]
	s_and_b64 s[12:13], exec, s[54:55]
	s_or_b64 s[48:49], s[12:13], s[48:49]
	s_andn2_b64 s[12:13], s[58:59], exec
	s_and_b64 s[58:59], s[56:57], exec
	s_or_b64 s[58:59], s[12:13], s[58:59]
	s_andn2_b64 s[12:13], s[50:51], exec
	s_and_b64 s[50:51], s[52:53], exec
	;; [unrolled: 3-line block ×3, first 2 shown]
	s_or_b64 s[46:47], s[12:13], s[18:19]
	s_andn2_b64 exec, exec, s[48:49]
	s_cbranch_execz .LBB1001_794
.LBB1001_792:                           ; =>This Inner Loop Header: Depth=1
	flat_load_ubyte v31, v[66:67]
	flat_load_ubyte v70, v[64:65]
	s_andn2_b64 s[56:57], s[56:57], exec
	s_or_b64 s[52:53], s[52:53], exec
	s_or_b64 s[54:55], s[54:55], exec
	s_waitcnt vmcnt(0) lgkmcnt(0)
	v_cmp_eq_u16_e64 s[12:13], 0, v31
	v_cmp_ne_u16_e64 s[18:19], 0, v70
	s_or_b64 s[62:63], s[12:13], s[18:19]
	s_and_b64 s[60:61], s[12:13], s[18:19]
	s_xor_b64 s[12:13], s[12:13], s[18:19]
	s_and_b64 s[18:19], s[62:63], s[58:59]
	s_or_b64 s[18:19], s[60:61], s[18:19]
	s_and_saveexec_b64 s[60:61], s[12:13]
	s_cbranch_execz .LBB1001_791
; %bb.793:                              ;   in Loop: Header=BB1001_792 Depth=1
	v_lshl_add_u64 v[68:69], v[68:69], 0, -1
	v_cmp_eq_u64_e64 s[12:13], 0, v[68:69]
	s_andn2_b64 s[56:57], s[56:57], exec
	s_and_b64 s[58:59], s[18:19], exec
	s_andn2_b64 s[54:55], s[54:55], exec
	s_and_b64 s[12:13], s[12:13], exec
	v_lshl_add_u64 v[64:65], v[64:65], 0, 1
	v_lshl_add_u64 v[66:67], v[66:67], 0, 1
	s_or_b64 s[56:57], s[56:57], s[58:59]
	s_andn2_b64 s[52:53], s[52:53], exec
	s_or_b64 s[54:55], s[54:55], s[12:13]
                                        ; implicit-def: $sgpr58_sgpr59
	s_branch .LBB1001_791
.LBB1001_794:
	s_or_b64 exec, exec, s[48:49]
	s_and_saveexec_b64 s[12:13], s[50:51]
	s_xor_b64 s[12:13], exec, s[12:13]
; %bb.795:
	v_cndmask_b32_e64 v65, v21, v23, s[46:47]
	v_cndmask_b32_e64 v64, v20, v22, s[46:47]
	v_cndmask_b32_e64 v23, v23, v21, s[46:47]
	v_cndmask_b32_e64 v22, v22, v20, s[46:47]
	v_mov_b64_e32 v[20:21], v[64:65]
; %bb.796:
	s_or_b64 exec, exec, s[12:13]
	s_or_b64 exec, exec, s[44:45]
	s_and_saveexec_b64 s[44:45], s[34:35]
	s_cbranch_execz .LBB1001_716
.LBB1001_797:
	v_mad_u64_u32 v[64:65], s[12:13], v16, v6, v[8:9]
	v_mul_lo_u32 v31, v16, v7
	v_mul_lo_u32 v66, v17, v6
	v_add3_u32 v65, v66, v65, v31
	v_mad_u64_u32 v[66:67], s[12:13], v18, v6, v[8:9]
	v_mul_lo_u32 v31, v18, v7
	v_mul_lo_u32 v68, v19, v6
	v_add3_u32 v67, v68, v67, v31
	s_mov_b64 s[48:49], 0
	v_mov_b64_e32 v[68:69], v[6:7]
                                        ; implicit-def: $sgpr46_sgpr47
                                        ; implicit-def: $sgpr50_sgpr51
                                        ; implicit-def: $sgpr54_sgpr55
                                        ; implicit-def: $sgpr52_sgpr53
                                        ; implicit-def: $sgpr56_sgpr57
                                        ; implicit-def: $sgpr58_sgpr59
	s_branch .LBB1001_799
.LBB1001_798:                           ;   in Loop: Header=BB1001_799 Depth=1
	s_or_b64 exec, exec, s[60:61]
	s_and_b64 s[12:13], exec, s[54:55]
	s_or_b64 s[48:49], s[12:13], s[48:49]
	s_andn2_b64 s[12:13], s[58:59], exec
	s_and_b64 s[58:59], s[56:57], exec
	s_or_b64 s[58:59], s[12:13], s[58:59]
	s_andn2_b64 s[12:13], s[50:51], exec
	s_and_b64 s[50:51], s[52:53], exec
	;; [unrolled: 3-line block ×3, first 2 shown]
	s_or_b64 s[46:47], s[12:13], s[18:19]
	s_andn2_b64 exec, exec, s[48:49]
	s_cbranch_execz .LBB1001_801
.LBB1001_799:                           ; =>This Inner Loop Header: Depth=1
	flat_load_ubyte v31, v[66:67]
	flat_load_ubyte v70, v[64:65]
	s_andn2_b64 s[56:57], s[56:57], exec
	s_or_b64 s[52:53], s[52:53], exec
	s_or_b64 s[54:55], s[54:55], exec
	s_waitcnt vmcnt(0) lgkmcnt(0)
	v_cmp_eq_u16_e64 s[12:13], 0, v31
	v_cmp_ne_u16_e64 s[18:19], 0, v70
	s_or_b64 s[62:63], s[12:13], s[18:19]
	s_and_b64 s[60:61], s[12:13], s[18:19]
	s_xor_b64 s[12:13], s[12:13], s[18:19]
	s_and_b64 s[18:19], s[62:63], s[58:59]
	s_or_b64 s[18:19], s[60:61], s[18:19]
	s_and_saveexec_b64 s[60:61], s[12:13]
	s_cbranch_execz .LBB1001_798
; %bb.800:                              ;   in Loop: Header=BB1001_799 Depth=1
	v_lshl_add_u64 v[68:69], v[68:69], 0, -1
	v_cmp_eq_u64_e64 s[12:13], 0, v[68:69]
	s_andn2_b64 s[56:57], s[56:57], exec
	s_and_b64 s[58:59], s[18:19], exec
	s_andn2_b64 s[54:55], s[54:55], exec
	s_and_b64 s[12:13], s[12:13], exec
	v_lshl_add_u64 v[64:65], v[64:65], 0, 1
	v_lshl_add_u64 v[66:67], v[66:67], 0, 1
	s_or_b64 s[56:57], s[56:57], s[58:59]
	s_andn2_b64 s[52:53], s[52:53], exec
	s_or_b64 s[54:55], s[54:55], s[12:13]
                                        ; implicit-def: $sgpr58_sgpr59
	s_branch .LBB1001_798
.LBB1001_801:
	s_or_b64 exec, exec, s[48:49]
	s_and_saveexec_b64 s[12:13], s[50:51]
	s_xor_b64 s[12:13], exec, s[12:13]
; %bb.802:
	v_cndmask_b32_e64 v65, v17, v19, s[46:47]
	v_cndmask_b32_e64 v64, v16, v18, s[46:47]
	;; [unrolled: 1-line block ×4, first 2 shown]
	v_mov_b64_e32 v[16:17], v[64:65]
; %bb.803:
	s_or_b64 exec, exec, s[12:13]
	s_or_b64 exec, exec, s[44:45]
	s_and_saveexec_b64 s[44:45], s[36:37]
	s_cbranch_execz .LBB1001_717
.LBB1001_804:
	v_mad_u64_u32 v[64:65], s[12:13], v12, v6, v[8:9]
	v_mul_lo_u32 v31, v12, v7
	v_mul_lo_u32 v66, v13, v6
	v_add3_u32 v65, v66, v65, v31
	v_mad_u64_u32 v[66:67], s[12:13], v14, v6, v[8:9]
	v_mul_lo_u32 v31, v14, v7
	v_mul_lo_u32 v68, v15, v6
	v_add3_u32 v67, v68, v67, v31
	s_mov_b64 s[48:49], 0
	v_mov_b64_e32 v[68:69], v[6:7]
                                        ; implicit-def: $sgpr46_sgpr47
                                        ; implicit-def: $sgpr50_sgpr51
                                        ; implicit-def: $sgpr54_sgpr55
                                        ; implicit-def: $sgpr52_sgpr53
                                        ; implicit-def: $sgpr56_sgpr57
                                        ; implicit-def: $sgpr58_sgpr59
	s_branch .LBB1001_806
.LBB1001_805:                           ;   in Loop: Header=BB1001_806 Depth=1
	s_or_b64 exec, exec, s[60:61]
	s_and_b64 s[12:13], exec, s[54:55]
	s_or_b64 s[48:49], s[12:13], s[48:49]
	s_andn2_b64 s[12:13], s[58:59], exec
	s_and_b64 s[58:59], s[56:57], exec
	s_or_b64 s[58:59], s[12:13], s[58:59]
	s_andn2_b64 s[12:13], s[50:51], exec
	s_and_b64 s[50:51], s[52:53], exec
	;; [unrolled: 3-line block ×3, first 2 shown]
	s_or_b64 s[46:47], s[12:13], s[18:19]
	s_andn2_b64 exec, exec, s[48:49]
	s_cbranch_execz .LBB1001_808
.LBB1001_806:                           ; =>This Inner Loop Header: Depth=1
	flat_load_ubyte v31, v[66:67]
	flat_load_ubyte v70, v[64:65]
	s_andn2_b64 s[56:57], s[56:57], exec
	s_or_b64 s[52:53], s[52:53], exec
	s_or_b64 s[54:55], s[54:55], exec
	s_waitcnt vmcnt(0) lgkmcnt(0)
	v_cmp_eq_u16_e64 s[12:13], 0, v31
	v_cmp_ne_u16_e64 s[18:19], 0, v70
	s_or_b64 s[62:63], s[12:13], s[18:19]
	s_and_b64 s[60:61], s[12:13], s[18:19]
	s_xor_b64 s[12:13], s[12:13], s[18:19]
	s_and_b64 s[18:19], s[62:63], s[58:59]
	s_or_b64 s[18:19], s[60:61], s[18:19]
	s_and_saveexec_b64 s[60:61], s[12:13]
	s_cbranch_execz .LBB1001_805
; %bb.807:                              ;   in Loop: Header=BB1001_806 Depth=1
	v_lshl_add_u64 v[68:69], v[68:69], 0, -1
	v_cmp_eq_u64_e64 s[12:13], 0, v[68:69]
	s_andn2_b64 s[56:57], s[56:57], exec
	s_and_b64 s[58:59], s[18:19], exec
	s_andn2_b64 s[54:55], s[54:55], exec
	s_and_b64 s[12:13], s[12:13], exec
	v_lshl_add_u64 v[64:65], v[64:65], 0, 1
	v_lshl_add_u64 v[66:67], v[66:67], 0, 1
	s_or_b64 s[56:57], s[56:57], s[58:59]
	s_andn2_b64 s[52:53], s[52:53], exec
	s_or_b64 s[54:55], s[54:55], s[12:13]
                                        ; implicit-def: $sgpr58_sgpr59
	s_branch .LBB1001_805
.LBB1001_808:
	s_or_b64 exec, exec, s[48:49]
	s_and_saveexec_b64 s[12:13], s[50:51]
	s_xor_b64 s[12:13], exec, s[12:13]
; %bb.809:
	v_cndmask_b32_e64 v65, v13, v15, s[46:47]
	v_cndmask_b32_e64 v64, v12, v14, s[46:47]
	;; [unrolled: 1-line block ×4, first 2 shown]
	v_mov_b64_e32 v[12:13], v[64:65]
; %bb.810:
	s_or_b64 exec, exec, s[12:13]
	s_or_b64 exec, exec, s[44:45]
	s_and_saveexec_b64 s[44:45], s[38:39]
	s_cbranch_execz .LBB1001_718
.LBB1001_811:
	v_mad_u64_u32 v[64:65], s[12:13], v26, v6, v[8:9]
	v_mul_lo_u32 v31, v26, v7
	v_mul_lo_u32 v66, v27, v6
	v_add3_u32 v65, v66, v65, v31
	v_mad_u64_u32 v[66:67], s[12:13], v20, v6, v[8:9]
	v_mul_lo_u32 v31, v20, v7
	v_mul_lo_u32 v68, v21, v6
	v_add3_u32 v67, v68, v67, v31
	s_mov_b64 s[48:49], 0
	v_mov_b64_e32 v[68:69], v[6:7]
                                        ; implicit-def: $sgpr46_sgpr47
                                        ; implicit-def: $sgpr50_sgpr51
                                        ; implicit-def: $sgpr54_sgpr55
                                        ; implicit-def: $sgpr52_sgpr53
                                        ; implicit-def: $sgpr56_sgpr57
                                        ; implicit-def: $sgpr58_sgpr59
	s_branch .LBB1001_813
.LBB1001_812:                           ;   in Loop: Header=BB1001_813 Depth=1
	s_or_b64 exec, exec, s[60:61]
	s_and_b64 s[12:13], exec, s[54:55]
	s_or_b64 s[48:49], s[12:13], s[48:49]
	s_andn2_b64 s[12:13], s[58:59], exec
	s_and_b64 s[58:59], s[56:57], exec
	s_or_b64 s[58:59], s[12:13], s[58:59]
	s_andn2_b64 s[12:13], s[50:51], exec
	s_and_b64 s[50:51], s[52:53], exec
	s_or_b64 s[50:51], s[12:13], s[50:51]
	s_andn2_b64 s[12:13], s[46:47], exec
	s_and_b64 s[18:19], s[18:19], exec
	s_or_b64 s[46:47], s[12:13], s[18:19]
	s_andn2_b64 exec, exec, s[48:49]
	s_cbranch_execz .LBB1001_815
.LBB1001_813:                           ; =>This Inner Loop Header: Depth=1
	flat_load_ubyte v31, v[66:67]
	flat_load_ubyte v70, v[64:65]
	s_andn2_b64 s[56:57], s[56:57], exec
	s_or_b64 s[52:53], s[52:53], exec
	s_or_b64 s[54:55], s[54:55], exec
	s_waitcnt vmcnt(0) lgkmcnt(0)
	v_cmp_eq_u16_e64 s[12:13], 0, v31
	v_cmp_ne_u16_e64 s[18:19], 0, v70
	s_or_b64 s[62:63], s[12:13], s[18:19]
	s_and_b64 s[60:61], s[12:13], s[18:19]
	s_xor_b64 s[12:13], s[12:13], s[18:19]
	s_and_b64 s[18:19], s[62:63], s[58:59]
	s_or_b64 s[18:19], s[60:61], s[18:19]
	s_and_saveexec_b64 s[60:61], s[12:13]
	s_cbranch_execz .LBB1001_812
; %bb.814:                              ;   in Loop: Header=BB1001_813 Depth=1
	v_lshl_add_u64 v[68:69], v[68:69], 0, -1
	v_cmp_eq_u64_e64 s[12:13], 0, v[68:69]
	s_andn2_b64 s[56:57], s[56:57], exec
	s_and_b64 s[58:59], s[18:19], exec
	s_andn2_b64 s[54:55], s[54:55], exec
	s_and_b64 s[12:13], s[12:13], exec
	v_lshl_add_u64 v[64:65], v[64:65], 0, 1
	v_lshl_add_u64 v[66:67], v[66:67], 0, 1
	s_or_b64 s[56:57], s[56:57], s[58:59]
	s_andn2_b64 s[52:53], s[52:53], exec
	s_or_b64 s[54:55], s[54:55], s[12:13]
                                        ; implicit-def: $sgpr58_sgpr59
	s_branch .LBB1001_812
.LBB1001_815:
	s_or_b64 exec, exec, s[48:49]
	s_and_saveexec_b64 s[12:13], s[50:51]
	s_xor_b64 s[12:13], exec, s[12:13]
; %bb.816:
	v_cndmask_b32_e64 v65, v27, v21, s[46:47]
	v_cndmask_b32_e64 v64, v26, v20, s[46:47]
	;; [unrolled: 1-line block ×4, first 2 shown]
	v_mov_b64_e32 v[26:27], v[64:65]
; %bb.817:
	s_or_b64 exec, exec, s[12:13]
	s_or_b64 exec, exec, s[44:45]
	s_and_saveexec_b64 s[44:45], s[40:41]
	s_cbranch_execz .LBB1001_719
.LBB1001_818:
	v_mad_u64_u32 v[64:65], s[12:13], v22, v6, v[8:9]
	v_mul_lo_u32 v31, v22, v7
	v_mul_lo_u32 v66, v23, v6
	v_add3_u32 v65, v66, v65, v31
	v_mad_u64_u32 v[66:67], s[12:13], v16, v6, v[8:9]
	v_mul_lo_u32 v31, v16, v7
	v_mul_lo_u32 v68, v17, v6
	v_add3_u32 v67, v68, v67, v31
	s_mov_b64 s[48:49], 0
	v_mov_b64_e32 v[68:69], v[6:7]
                                        ; implicit-def: $sgpr46_sgpr47
                                        ; implicit-def: $sgpr50_sgpr51
                                        ; implicit-def: $sgpr54_sgpr55
                                        ; implicit-def: $sgpr52_sgpr53
                                        ; implicit-def: $sgpr56_sgpr57
                                        ; implicit-def: $sgpr58_sgpr59
	s_branch .LBB1001_820
.LBB1001_819:                           ;   in Loop: Header=BB1001_820 Depth=1
	s_or_b64 exec, exec, s[60:61]
	s_and_b64 s[12:13], exec, s[54:55]
	s_or_b64 s[48:49], s[12:13], s[48:49]
	s_andn2_b64 s[12:13], s[58:59], exec
	s_and_b64 s[58:59], s[56:57], exec
	s_or_b64 s[58:59], s[12:13], s[58:59]
	s_andn2_b64 s[12:13], s[50:51], exec
	s_and_b64 s[50:51], s[52:53], exec
	;; [unrolled: 3-line block ×3, first 2 shown]
	s_or_b64 s[46:47], s[12:13], s[18:19]
	s_andn2_b64 exec, exec, s[48:49]
	s_cbranch_execz .LBB1001_822
.LBB1001_820:                           ; =>This Inner Loop Header: Depth=1
	flat_load_ubyte v31, v[66:67]
	flat_load_ubyte v70, v[64:65]
	s_andn2_b64 s[56:57], s[56:57], exec
	s_or_b64 s[52:53], s[52:53], exec
	s_or_b64 s[54:55], s[54:55], exec
	s_waitcnt vmcnt(0) lgkmcnt(0)
	v_cmp_eq_u16_e64 s[12:13], 0, v31
	v_cmp_ne_u16_e64 s[18:19], 0, v70
	s_or_b64 s[62:63], s[12:13], s[18:19]
	s_and_b64 s[60:61], s[12:13], s[18:19]
	s_xor_b64 s[12:13], s[12:13], s[18:19]
	s_and_b64 s[18:19], s[62:63], s[58:59]
	s_or_b64 s[18:19], s[60:61], s[18:19]
	s_and_saveexec_b64 s[60:61], s[12:13]
	s_cbranch_execz .LBB1001_819
; %bb.821:                              ;   in Loop: Header=BB1001_820 Depth=1
	v_lshl_add_u64 v[68:69], v[68:69], 0, -1
	v_cmp_eq_u64_e64 s[12:13], 0, v[68:69]
	s_andn2_b64 s[56:57], s[56:57], exec
	s_and_b64 s[58:59], s[18:19], exec
	s_andn2_b64 s[54:55], s[54:55], exec
	s_and_b64 s[12:13], s[12:13], exec
	v_lshl_add_u64 v[64:65], v[64:65], 0, 1
	v_lshl_add_u64 v[66:67], v[66:67], 0, 1
	s_or_b64 s[56:57], s[56:57], s[58:59]
	s_andn2_b64 s[52:53], s[52:53], exec
	s_or_b64 s[54:55], s[54:55], s[12:13]
                                        ; implicit-def: $sgpr58_sgpr59
	s_branch .LBB1001_819
.LBB1001_822:
	s_or_b64 exec, exec, s[48:49]
	s_and_saveexec_b64 s[12:13], s[50:51]
	s_xor_b64 s[12:13], exec, s[12:13]
; %bb.823:
	v_cndmask_b32_e64 v65, v23, v17, s[46:47]
	v_cndmask_b32_e64 v64, v22, v16, s[46:47]
	;; [unrolled: 1-line block ×4, first 2 shown]
	v_mov_b64_e32 v[22:23], v[64:65]
; %bb.824:
	s_or_b64 exec, exec, s[12:13]
	s_or_b64 exec, exec, s[44:45]
	s_and_saveexec_b64 s[44:45], s[42:43]
	s_cbranch_execz .LBB1001_720
.LBB1001_825:
	v_mad_u64_u32 v[64:65], s[12:13], v18, v6, v[8:9]
	v_mul_lo_u32 v31, v18, v7
	v_mul_lo_u32 v66, v19, v6
	v_add3_u32 v65, v66, v65, v31
	v_mad_u64_u32 v[66:67], s[12:13], v12, v6, v[8:9]
	v_mul_lo_u32 v31, v12, v7
	v_mul_lo_u32 v68, v13, v6
	v_add3_u32 v67, v68, v67, v31
	s_mov_b64 s[48:49], 0
	v_mov_b64_e32 v[68:69], v[6:7]
                                        ; implicit-def: $sgpr46_sgpr47
                                        ; implicit-def: $sgpr50_sgpr51
                                        ; implicit-def: $sgpr54_sgpr55
                                        ; implicit-def: $sgpr52_sgpr53
                                        ; implicit-def: $sgpr56_sgpr57
                                        ; implicit-def: $sgpr58_sgpr59
	s_branch .LBB1001_827
.LBB1001_826:                           ;   in Loop: Header=BB1001_827 Depth=1
	s_or_b64 exec, exec, s[60:61]
	s_and_b64 s[12:13], exec, s[54:55]
	s_or_b64 s[48:49], s[12:13], s[48:49]
	s_andn2_b64 s[12:13], s[58:59], exec
	s_and_b64 s[58:59], s[56:57], exec
	s_or_b64 s[58:59], s[12:13], s[58:59]
	s_andn2_b64 s[12:13], s[50:51], exec
	s_and_b64 s[50:51], s[52:53], exec
	;; [unrolled: 3-line block ×3, first 2 shown]
	s_or_b64 s[46:47], s[12:13], s[18:19]
	s_andn2_b64 exec, exec, s[48:49]
	s_cbranch_execz .LBB1001_829
.LBB1001_827:                           ; =>This Inner Loop Header: Depth=1
	flat_load_ubyte v31, v[66:67]
	flat_load_ubyte v70, v[64:65]
	s_andn2_b64 s[56:57], s[56:57], exec
	s_or_b64 s[52:53], s[52:53], exec
	s_or_b64 s[54:55], s[54:55], exec
	s_waitcnt vmcnt(0) lgkmcnt(0)
	v_cmp_eq_u16_e64 s[12:13], 0, v31
	v_cmp_ne_u16_e64 s[18:19], 0, v70
	s_or_b64 s[62:63], s[12:13], s[18:19]
	s_and_b64 s[60:61], s[12:13], s[18:19]
	s_xor_b64 s[12:13], s[12:13], s[18:19]
	s_and_b64 s[18:19], s[62:63], s[58:59]
	s_or_b64 s[18:19], s[60:61], s[18:19]
	s_and_saveexec_b64 s[60:61], s[12:13]
	s_cbranch_execz .LBB1001_826
; %bb.828:                              ;   in Loop: Header=BB1001_827 Depth=1
	v_lshl_add_u64 v[68:69], v[68:69], 0, -1
	v_cmp_eq_u64_e64 s[12:13], 0, v[68:69]
	s_andn2_b64 s[56:57], s[56:57], exec
	s_and_b64 s[58:59], s[18:19], exec
	s_andn2_b64 s[54:55], s[54:55], exec
	s_and_b64 s[12:13], s[12:13], exec
	v_lshl_add_u64 v[64:65], v[64:65], 0, 1
	v_lshl_add_u64 v[66:67], v[66:67], 0, 1
	s_or_b64 s[56:57], s[56:57], s[58:59]
	s_andn2_b64 s[52:53], s[52:53], exec
	s_or_b64 s[54:55], s[54:55], s[12:13]
                                        ; implicit-def: $sgpr58_sgpr59
	s_branch .LBB1001_826
.LBB1001_829:
	s_or_b64 exec, exec, s[48:49]
	s_and_saveexec_b64 s[12:13], s[50:51]
	s_xor_b64 s[12:13], exec, s[12:13]
; %bb.830:
	v_cndmask_b32_e64 v65, v19, v13, s[46:47]
	v_cndmask_b32_e64 v64, v18, v12, s[46:47]
	;; [unrolled: 1-line block ×4, first 2 shown]
	v_mov_b64_e32 v[18:19], v[64:65]
; %bb.831:
	s_or_b64 exec, exec, s[12:13]
	s_or_b64 exec, exec, s[44:45]
	s_and_saveexec_b64 s[44:45], s[28:29]
	s_cbranch_execz .LBB1001_721
.LBB1001_832:
	v_mad_u64_u32 v[64:65], s[12:13], v24, v6, v[8:9]
	v_mul_lo_u32 v31, v24, v7
	v_mul_lo_u32 v66, v25, v6
	v_add3_u32 v65, v66, v65, v31
	v_mad_u64_u32 v[66:67], s[12:13], v26, v6, v[8:9]
	v_mul_lo_u32 v31, v26, v7
	v_mul_lo_u32 v68, v27, v6
	v_add3_u32 v67, v68, v67, v31
	s_mov_b64 s[46:47], 0
	v_mov_b64_e32 v[68:69], v[6:7]
                                        ; implicit-def: $sgpr28_sgpr29
                                        ; implicit-def: $sgpr48_sgpr49
                                        ; implicit-def: $sgpr52_sgpr53
                                        ; implicit-def: $sgpr50_sgpr51
                                        ; implicit-def: $sgpr54_sgpr55
                                        ; implicit-def: $sgpr56_sgpr57
	s_branch .LBB1001_834
.LBB1001_833:                           ;   in Loop: Header=BB1001_834 Depth=1
	s_or_b64 exec, exec, s[58:59]
	s_and_b64 s[12:13], exec, s[52:53]
	s_or_b64 s[46:47], s[12:13], s[46:47]
	s_andn2_b64 s[12:13], s[56:57], exec
	s_and_b64 s[56:57], s[54:55], exec
	s_or_b64 s[56:57], s[12:13], s[56:57]
	s_andn2_b64 s[12:13], s[48:49], exec
	s_and_b64 s[48:49], s[50:51], exec
	;; [unrolled: 3-line block ×3, first 2 shown]
	s_or_b64 s[28:29], s[12:13], s[18:19]
	s_andn2_b64 exec, exec, s[46:47]
	s_cbranch_execz .LBB1001_836
.LBB1001_834:                           ; =>This Inner Loop Header: Depth=1
	flat_load_ubyte v31, v[66:67]
	flat_load_ubyte v70, v[64:65]
	s_andn2_b64 s[54:55], s[54:55], exec
	s_or_b64 s[50:51], s[50:51], exec
	s_or_b64 s[52:53], s[52:53], exec
	s_waitcnt vmcnt(0) lgkmcnt(0)
	v_cmp_eq_u16_e64 s[12:13], 0, v31
	v_cmp_ne_u16_e64 s[18:19], 0, v70
	s_or_b64 s[60:61], s[12:13], s[18:19]
	s_and_b64 s[58:59], s[12:13], s[18:19]
	s_xor_b64 s[12:13], s[12:13], s[18:19]
	s_and_b64 s[18:19], s[60:61], s[56:57]
	s_or_b64 s[18:19], s[58:59], s[18:19]
	s_and_saveexec_b64 s[58:59], s[12:13]
	s_cbranch_execz .LBB1001_833
; %bb.835:                              ;   in Loop: Header=BB1001_834 Depth=1
	v_lshl_add_u64 v[68:69], v[68:69], 0, -1
	v_cmp_eq_u64_e64 s[12:13], 0, v[68:69]
	s_andn2_b64 s[54:55], s[54:55], exec
	s_and_b64 s[56:57], s[18:19], exec
	s_andn2_b64 s[52:53], s[52:53], exec
	s_and_b64 s[12:13], s[12:13], exec
	v_lshl_add_u64 v[64:65], v[64:65], 0, 1
	v_lshl_add_u64 v[66:67], v[66:67], 0, 1
	s_or_b64 s[54:55], s[54:55], s[56:57]
	s_andn2_b64 s[50:51], s[50:51], exec
	s_or_b64 s[52:53], s[52:53], s[12:13]
                                        ; implicit-def: $sgpr56_sgpr57
	s_branch .LBB1001_833
.LBB1001_836:
	s_or_b64 exec, exec, s[46:47]
	s_and_saveexec_b64 s[12:13], s[48:49]
	s_xor_b64 s[12:13], exec, s[12:13]
; %bb.837:
	v_cndmask_b32_e64 v65, v27, v25, s[28:29]
	v_cndmask_b32_e64 v64, v26, v24, s[28:29]
	;; [unrolled: 1-line block ×4, first 2 shown]
	v_mov_b64_e32 v[26:27], v[64:65]
; %bb.838:
	s_or_b64 exec, exec, s[12:13]
	s_or_b64 exec, exec, s[44:45]
	s_and_saveexec_b64 s[28:29], s[30:31]
	s_cbranch_execz .LBB1001_722
.LBB1001_839:
	v_mad_u64_u32 v[64:65], s[12:13], v20, v6, v[8:9]
	v_mul_lo_u32 v31, v20, v7
	v_mul_lo_u32 v66, v21, v6
	v_add3_u32 v65, v66, v65, v31
	v_mad_u64_u32 v[66:67], s[12:13], v22, v6, v[8:9]
	v_mul_lo_u32 v31, v22, v7
	v_mul_lo_u32 v68, v23, v6
	v_add3_u32 v67, v68, v67, v31
	s_mov_b64 s[44:45], 0
	v_mov_b64_e32 v[68:69], v[6:7]
                                        ; implicit-def: $sgpr30_sgpr31
                                        ; implicit-def: $sgpr46_sgpr47
                                        ; implicit-def: $sgpr50_sgpr51
                                        ; implicit-def: $sgpr48_sgpr49
                                        ; implicit-def: $sgpr52_sgpr53
                                        ; implicit-def: $sgpr54_sgpr55
	s_branch .LBB1001_841
.LBB1001_840:                           ;   in Loop: Header=BB1001_841 Depth=1
	s_or_b64 exec, exec, s[56:57]
	s_and_b64 s[12:13], exec, s[50:51]
	s_or_b64 s[44:45], s[12:13], s[44:45]
	s_andn2_b64 s[12:13], s[54:55], exec
	s_and_b64 s[54:55], s[52:53], exec
	s_or_b64 s[54:55], s[12:13], s[54:55]
	s_andn2_b64 s[12:13], s[46:47], exec
	s_and_b64 s[46:47], s[48:49], exec
	s_or_b64 s[46:47], s[12:13], s[46:47]
	s_andn2_b64 s[12:13], s[30:31], exec
	s_and_b64 s[18:19], s[18:19], exec
	s_or_b64 s[30:31], s[12:13], s[18:19]
	s_andn2_b64 exec, exec, s[44:45]
	s_cbranch_execz .LBB1001_843
.LBB1001_841:                           ; =>This Inner Loop Header: Depth=1
	flat_load_ubyte v31, v[66:67]
	flat_load_ubyte v70, v[64:65]
	s_andn2_b64 s[52:53], s[52:53], exec
	s_or_b64 s[48:49], s[48:49], exec
	s_or_b64 s[50:51], s[50:51], exec
	s_waitcnt vmcnt(0) lgkmcnt(0)
	v_cmp_eq_u16_e64 s[12:13], 0, v31
	v_cmp_ne_u16_e64 s[18:19], 0, v70
	s_or_b64 s[58:59], s[12:13], s[18:19]
	s_and_b64 s[56:57], s[12:13], s[18:19]
	s_xor_b64 s[12:13], s[12:13], s[18:19]
	s_and_b64 s[18:19], s[58:59], s[54:55]
	s_or_b64 s[18:19], s[56:57], s[18:19]
	s_and_saveexec_b64 s[56:57], s[12:13]
	s_cbranch_execz .LBB1001_840
; %bb.842:                              ;   in Loop: Header=BB1001_841 Depth=1
	v_lshl_add_u64 v[68:69], v[68:69], 0, -1
	v_cmp_eq_u64_e64 s[12:13], 0, v[68:69]
	s_andn2_b64 s[52:53], s[52:53], exec
	s_and_b64 s[54:55], s[18:19], exec
	s_andn2_b64 s[50:51], s[50:51], exec
	s_and_b64 s[12:13], s[12:13], exec
	v_lshl_add_u64 v[64:65], v[64:65], 0, 1
	v_lshl_add_u64 v[66:67], v[66:67], 0, 1
	s_or_b64 s[52:53], s[52:53], s[54:55]
	s_andn2_b64 s[48:49], s[48:49], exec
	s_or_b64 s[50:51], s[50:51], s[12:13]
                                        ; implicit-def: $sgpr54_sgpr55
	s_branch .LBB1001_840
.LBB1001_843:
	s_or_b64 exec, exec, s[44:45]
	s_and_saveexec_b64 s[12:13], s[46:47]
	s_xor_b64 s[12:13], exec, s[12:13]
; %bb.844:
	v_cndmask_b32_e64 v65, v21, v23, s[30:31]
	v_cndmask_b32_e64 v64, v20, v22, s[30:31]
	v_cndmask_b32_e64 v23, v23, v21, s[30:31]
	v_cndmask_b32_e64 v22, v22, v20, s[30:31]
	v_mov_b64_e32 v[20:21], v[64:65]
; %bb.845:
	s_or_b64 exec, exec, s[12:13]
	s_or_b64 exec, exec, s[28:29]
	s_and_saveexec_b64 s[28:29], s[34:35]
	s_cbranch_execz .LBB1001_723
.LBB1001_846:
	v_mad_u64_u32 v[64:65], s[12:13], v16, v6, v[8:9]
	v_mul_lo_u32 v31, v16, v7
	v_mul_lo_u32 v66, v17, v6
	v_add3_u32 v65, v66, v65, v31
	v_mad_u64_u32 v[66:67], s[12:13], v18, v6, v[8:9]
	v_mul_lo_u32 v31, v18, v7
	v_mul_lo_u32 v68, v19, v6
	v_add3_u32 v67, v68, v67, v31
	s_mov_b64 s[34:35], 0
	v_mov_b64_e32 v[68:69], v[6:7]
                                        ; implicit-def: $sgpr30_sgpr31
                                        ; implicit-def: $sgpr44_sgpr45
                                        ; implicit-def: $sgpr48_sgpr49
                                        ; implicit-def: $sgpr46_sgpr47
                                        ; implicit-def: $sgpr50_sgpr51
                                        ; implicit-def: $sgpr52_sgpr53
	s_branch .LBB1001_848
.LBB1001_847:                           ;   in Loop: Header=BB1001_848 Depth=1
	s_or_b64 exec, exec, s[54:55]
	s_and_b64 s[12:13], exec, s[48:49]
	s_or_b64 s[34:35], s[12:13], s[34:35]
	s_andn2_b64 s[12:13], s[52:53], exec
	s_and_b64 s[52:53], s[50:51], exec
	s_or_b64 s[52:53], s[12:13], s[52:53]
	s_andn2_b64 s[12:13], s[44:45], exec
	s_and_b64 s[44:45], s[46:47], exec
	;; [unrolled: 3-line block ×3, first 2 shown]
	s_or_b64 s[30:31], s[12:13], s[18:19]
	s_andn2_b64 exec, exec, s[34:35]
	s_cbranch_execz .LBB1001_850
.LBB1001_848:                           ; =>This Inner Loop Header: Depth=1
	flat_load_ubyte v31, v[66:67]
	flat_load_ubyte v70, v[64:65]
	s_andn2_b64 s[50:51], s[50:51], exec
	s_or_b64 s[46:47], s[46:47], exec
	s_or_b64 s[48:49], s[48:49], exec
	s_waitcnt vmcnt(0) lgkmcnt(0)
	v_cmp_eq_u16_e64 s[12:13], 0, v31
	v_cmp_ne_u16_e64 s[18:19], 0, v70
	s_or_b64 s[56:57], s[12:13], s[18:19]
	s_and_b64 s[54:55], s[12:13], s[18:19]
	s_xor_b64 s[12:13], s[12:13], s[18:19]
	s_and_b64 s[18:19], s[56:57], s[52:53]
	s_or_b64 s[18:19], s[54:55], s[18:19]
	s_and_saveexec_b64 s[54:55], s[12:13]
	s_cbranch_execz .LBB1001_847
; %bb.849:                              ;   in Loop: Header=BB1001_848 Depth=1
	v_lshl_add_u64 v[68:69], v[68:69], 0, -1
	v_cmp_eq_u64_e64 s[12:13], 0, v[68:69]
	s_andn2_b64 s[50:51], s[50:51], exec
	s_and_b64 s[52:53], s[18:19], exec
	s_andn2_b64 s[48:49], s[48:49], exec
	s_and_b64 s[12:13], s[12:13], exec
	v_lshl_add_u64 v[64:65], v[64:65], 0, 1
	v_lshl_add_u64 v[66:67], v[66:67], 0, 1
	s_or_b64 s[50:51], s[50:51], s[52:53]
	s_andn2_b64 s[46:47], s[46:47], exec
	s_or_b64 s[48:49], s[48:49], s[12:13]
                                        ; implicit-def: $sgpr52_sgpr53
	s_branch .LBB1001_847
.LBB1001_850:
	s_or_b64 exec, exec, s[34:35]
	s_and_saveexec_b64 s[12:13], s[44:45]
	s_xor_b64 s[12:13], exec, s[12:13]
; %bb.851:
	v_cndmask_b32_e64 v65, v17, v19, s[30:31]
	v_cndmask_b32_e64 v64, v16, v18, s[30:31]
	;; [unrolled: 1-line block ×4, first 2 shown]
	v_mov_b64_e32 v[16:17], v[64:65]
; %bb.852:
	s_or_b64 exec, exec, s[12:13]
	s_or_b64 exec, exec, s[28:29]
	s_and_saveexec_b64 s[28:29], s[36:37]
	s_cbranch_execz .LBB1001_724
.LBB1001_853:
	v_mad_u64_u32 v[64:65], s[12:13], v12, v6, v[8:9]
	v_mul_lo_u32 v31, v12, v7
	v_mul_lo_u32 v66, v13, v6
	v_add3_u32 v65, v66, v65, v31
	v_mad_u64_u32 v[66:67], s[12:13], v14, v6, v[8:9]
	v_mul_lo_u32 v31, v14, v7
	v_mul_lo_u32 v68, v15, v6
	v_add3_u32 v67, v68, v67, v31
	s_mov_b64 s[34:35], 0
	v_mov_b64_e32 v[68:69], v[6:7]
                                        ; implicit-def: $sgpr30_sgpr31
                                        ; implicit-def: $sgpr36_sgpr37
                                        ; implicit-def: $sgpr46_sgpr47
                                        ; implicit-def: $sgpr44_sgpr45
                                        ; implicit-def: $sgpr48_sgpr49
                                        ; implicit-def: $sgpr50_sgpr51
	s_branch .LBB1001_855
.LBB1001_854:                           ;   in Loop: Header=BB1001_855 Depth=1
	s_or_b64 exec, exec, s[52:53]
	s_and_b64 s[12:13], exec, s[46:47]
	s_or_b64 s[34:35], s[12:13], s[34:35]
	s_andn2_b64 s[12:13], s[50:51], exec
	s_and_b64 s[50:51], s[48:49], exec
	s_or_b64 s[50:51], s[12:13], s[50:51]
	s_andn2_b64 s[12:13], s[36:37], exec
	s_and_b64 s[36:37], s[44:45], exec
	;; [unrolled: 3-line block ×3, first 2 shown]
	s_or_b64 s[30:31], s[12:13], s[18:19]
	s_andn2_b64 exec, exec, s[34:35]
	s_cbranch_execz .LBB1001_857
.LBB1001_855:                           ; =>This Inner Loop Header: Depth=1
	flat_load_ubyte v31, v[66:67]
	flat_load_ubyte v70, v[64:65]
	s_andn2_b64 s[48:49], s[48:49], exec
	s_or_b64 s[44:45], s[44:45], exec
	s_or_b64 s[46:47], s[46:47], exec
	s_waitcnt vmcnt(0) lgkmcnt(0)
	v_cmp_eq_u16_e64 s[12:13], 0, v31
	v_cmp_ne_u16_e64 s[18:19], 0, v70
	s_or_b64 s[54:55], s[12:13], s[18:19]
	s_and_b64 s[52:53], s[12:13], s[18:19]
	s_xor_b64 s[12:13], s[12:13], s[18:19]
	s_and_b64 s[18:19], s[54:55], s[50:51]
	s_or_b64 s[18:19], s[52:53], s[18:19]
	s_and_saveexec_b64 s[52:53], s[12:13]
	s_cbranch_execz .LBB1001_854
; %bb.856:                              ;   in Loop: Header=BB1001_855 Depth=1
	v_lshl_add_u64 v[68:69], v[68:69], 0, -1
	v_cmp_eq_u64_e64 s[12:13], 0, v[68:69]
	s_andn2_b64 s[48:49], s[48:49], exec
	s_and_b64 s[50:51], s[18:19], exec
	s_andn2_b64 s[46:47], s[46:47], exec
	s_and_b64 s[12:13], s[12:13], exec
	v_lshl_add_u64 v[64:65], v[64:65], 0, 1
	v_lshl_add_u64 v[66:67], v[66:67], 0, 1
	s_or_b64 s[48:49], s[48:49], s[50:51]
	s_andn2_b64 s[44:45], s[44:45], exec
	s_or_b64 s[46:47], s[46:47], s[12:13]
                                        ; implicit-def: $sgpr50_sgpr51
	s_branch .LBB1001_854
.LBB1001_857:
	s_or_b64 exec, exec, s[34:35]
	s_and_saveexec_b64 s[12:13], s[36:37]
	s_xor_b64 s[12:13], exec, s[12:13]
; %bb.858:
	v_cndmask_b32_e64 v65, v13, v15, s[30:31]
	v_cndmask_b32_e64 v64, v12, v14, s[30:31]
	;; [unrolled: 1-line block ×4, first 2 shown]
	v_mov_b64_e32 v[12:13], v[64:65]
; %bb.859:
	s_or_b64 exec, exec, s[12:13]
	s_or_b64 exec, exec, s[28:29]
	s_and_saveexec_b64 s[28:29], s[38:39]
	s_cbranch_execz .LBB1001_725
.LBB1001_860:
	v_mad_u64_u32 v[64:65], s[12:13], v26, v6, v[8:9]
	v_mul_lo_u32 v31, v26, v7
	v_mul_lo_u32 v66, v27, v6
	v_add3_u32 v65, v66, v65, v31
	v_mad_u64_u32 v[66:67], s[12:13], v20, v6, v[8:9]
	v_mul_lo_u32 v31, v20, v7
	v_mul_lo_u32 v68, v21, v6
	v_add3_u32 v67, v68, v67, v31
	s_mov_b64 s[34:35], 0
	v_mov_b64_e32 v[68:69], v[6:7]
                                        ; implicit-def: $sgpr30_sgpr31
                                        ; implicit-def: $sgpr36_sgpr37
                                        ; implicit-def: $sgpr44_sgpr45
                                        ; implicit-def: $sgpr38_sgpr39
                                        ; implicit-def: $sgpr46_sgpr47
                                        ; implicit-def: $sgpr48_sgpr49
	s_branch .LBB1001_862
.LBB1001_861:                           ;   in Loop: Header=BB1001_862 Depth=1
	s_or_b64 exec, exec, s[50:51]
	s_and_b64 s[12:13], exec, s[44:45]
	s_or_b64 s[34:35], s[12:13], s[34:35]
	s_andn2_b64 s[12:13], s[48:49], exec
	s_and_b64 s[48:49], s[46:47], exec
	s_or_b64 s[48:49], s[12:13], s[48:49]
	s_andn2_b64 s[12:13], s[36:37], exec
	s_and_b64 s[36:37], s[38:39], exec
	;; [unrolled: 3-line block ×3, first 2 shown]
	s_or_b64 s[30:31], s[12:13], s[18:19]
	s_andn2_b64 exec, exec, s[34:35]
	s_cbranch_execz .LBB1001_864
.LBB1001_862:                           ; =>This Inner Loop Header: Depth=1
	flat_load_ubyte v31, v[66:67]
	flat_load_ubyte v70, v[64:65]
	s_andn2_b64 s[46:47], s[46:47], exec
	s_or_b64 s[38:39], s[38:39], exec
	s_or_b64 s[44:45], s[44:45], exec
	s_waitcnt vmcnt(0) lgkmcnt(0)
	v_cmp_eq_u16_e64 s[12:13], 0, v31
	v_cmp_ne_u16_e64 s[18:19], 0, v70
	s_or_b64 s[52:53], s[12:13], s[18:19]
	s_and_b64 s[50:51], s[12:13], s[18:19]
	s_xor_b64 s[12:13], s[12:13], s[18:19]
	s_and_b64 s[18:19], s[52:53], s[48:49]
	s_or_b64 s[18:19], s[50:51], s[18:19]
	s_and_saveexec_b64 s[50:51], s[12:13]
	s_cbranch_execz .LBB1001_861
; %bb.863:                              ;   in Loop: Header=BB1001_862 Depth=1
	v_lshl_add_u64 v[68:69], v[68:69], 0, -1
	v_cmp_eq_u64_e64 s[12:13], 0, v[68:69]
	s_andn2_b64 s[46:47], s[46:47], exec
	s_and_b64 s[48:49], s[18:19], exec
	s_andn2_b64 s[44:45], s[44:45], exec
	s_and_b64 s[12:13], s[12:13], exec
	v_lshl_add_u64 v[64:65], v[64:65], 0, 1
	v_lshl_add_u64 v[66:67], v[66:67], 0, 1
	s_or_b64 s[46:47], s[46:47], s[48:49]
	s_andn2_b64 s[38:39], s[38:39], exec
	s_or_b64 s[44:45], s[44:45], s[12:13]
                                        ; implicit-def: $sgpr48_sgpr49
	s_branch .LBB1001_861
.LBB1001_864:
	s_or_b64 exec, exec, s[34:35]
	s_and_saveexec_b64 s[12:13], s[36:37]
	s_xor_b64 s[12:13], exec, s[12:13]
; %bb.865:
	v_cndmask_b32_e64 v65, v27, v21, s[30:31]
	v_cndmask_b32_e64 v64, v26, v20, s[30:31]
	;; [unrolled: 1-line block ×4, first 2 shown]
	v_mov_b64_e32 v[26:27], v[64:65]
; %bb.866:
	s_or_b64 exec, exec, s[12:13]
	s_or_b64 exec, exec, s[28:29]
	s_and_saveexec_b64 s[28:29], s[40:41]
	s_cbranch_execz .LBB1001_726
.LBB1001_867:
	v_mad_u64_u32 v[64:65], s[12:13], v22, v6, v[8:9]
	v_mul_lo_u32 v31, v22, v7
	v_mul_lo_u32 v66, v23, v6
	v_add3_u32 v65, v66, v65, v31
	v_mad_u64_u32 v[66:67], s[12:13], v16, v6, v[8:9]
	v_mul_lo_u32 v31, v16, v7
	v_mul_lo_u32 v68, v17, v6
	v_add3_u32 v67, v68, v67, v31
	s_mov_b64 s[34:35], 0
	v_mov_b64_e32 v[68:69], v[6:7]
                                        ; implicit-def: $sgpr30_sgpr31
                                        ; implicit-def: $sgpr36_sgpr37
                                        ; implicit-def: $sgpr40_sgpr41
                                        ; implicit-def: $sgpr38_sgpr39
                                        ; implicit-def: $sgpr44_sgpr45
                                        ; implicit-def: $sgpr46_sgpr47
	s_branch .LBB1001_869
.LBB1001_868:                           ;   in Loop: Header=BB1001_869 Depth=1
	s_or_b64 exec, exec, s[48:49]
	s_and_b64 s[12:13], exec, s[40:41]
	s_or_b64 s[34:35], s[12:13], s[34:35]
	s_andn2_b64 s[12:13], s[46:47], exec
	s_and_b64 s[46:47], s[44:45], exec
	s_or_b64 s[46:47], s[12:13], s[46:47]
	s_andn2_b64 s[12:13], s[36:37], exec
	s_and_b64 s[36:37], s[38:39], exec
	s_or_b64 s[36:37], s[12:13], s[36:37]
	s_andn2_b64 s[12:13], s[30:31], exec
	s_and_b64 s[18:19], s[18:19], exec
	s_or_b64 s[30:31], s[12:13], s[18:19]
	s_andn2_b64 exec, exec, s[34:35]
	s_cbranch_execz .LBB1001_871
.LBB1001_869:                           ; =>This Inner Loop Header: Depth=1
	flat_load_ubyte v31, v[66:67]
	flat_load_ubyte v70, v[64:65]
	s_andn2_b64 s[44:45], s[44:45], exec
	s_or_b64 s[38:39], s[38:39], exec
	s_or_b64 s[40:41], s[40:41], exec
	s_waitcnt vmcnt(0) lgkmcnt(0)
	v_cmp_eq_u16_e64 s[12:13], 0, v31
	v_cmp_ne_u16_e64 s[18:19], 0, v70
	s_or_b64 s[50:51], s[12:13], s[18:19]
	s_and_b64 s[48:49], s[12:13], s[18:19]
	s_xor_b64 s[12:13], s[12:13], s[18:19]
	s_and_b64 s[18:19], s[50:51], s[46:47]
	s_or_b64 s[18:19], s[48:49], s[18:19]
	s_and_saveexec_b64 s[48:49], s[12:13]
	s_cbranch_execz .LBB1001_868
; %bb.870:                              ;   in Loop: Header=BB1001_869 Depth=1
	v_lshl_add_u64 v[68:69], v[68:69], 0, -1
	v_cmp_eq_u64_e64 s[12:13], 0, v[68:69]
	s_andn2_b64 s[44:45], s[44:45], exec
	s_and_b64 s[46:47], s[18:19], exec
	s_andn2_b64 s[40:41], s[40:41], exec
	s_and_b64 s[12:13], s[12:13], exec
	v_lshl_add_u64 v[64:65], v[64:65], 0, 1
	v_lshl_add_u64 v[66:67], v[66:67], 0, 1
	s_or_b64 s[44:45], s[44:45], s[46:47]
	s_andn2_b64 s[38:39], s[38:39], exec
	s_or_b64 s[40:41], s[40:41], s[12:13]
                                        ; implicit-def: $sgpr46_sgpr47
	s_branch .LBB1001_868
.LBB1001_871:
	s_or_b64 exec, exec, s[34:35]
	s_and_saveexec_b64 s[12:13], s[36:37]
	s_xor_b64 s[12:13], exec, s[12:13]
; %bb.872:
	v_cndmask_b32_e64 v65, v23, v17, s[30:31]
	v_cndmask_b32_e64 v64, v22, v16, s[30:31]
	;; [unrolled: 1-line block ×4, first 2 shown]
	v_mov_b64_e32 v[22:23], v[64:65]
; %bb.873:
	s_or_b64 exec, exec, s[12:13]
	s_or_b64 exec, exec, s[28:29]
	s_and_saveexec_b64 s[28:29], s[42:43]
	s_cbranch_execz .LBB1001_881
.LBB1001_874:
	v_mad_u64_u32 v[64:65], s[12:13], v18, v6, v[8:9]
	v_mul_lo_u32 v31, v18, v7
	v_mul_lo_u32 v66, v19, v6
	v_add3_u32 v65, v66, v65, v31
	v_mad_u64_u32 v[66:67], s[12:13], v12, v6, v[8:9]
	v_mul_lo_u32 v31, v12, v7
	v_mul_lo_u32 v68, v13, v6
	v_add3_u32 v67, v68, v67, v31
	s_mov_b64 s[34:35], 0
	v_mov_b64_e32 v[68:69], v[6:7]
                                        ; implicit-def: $sgpr30_sgpr31
                                        ; implicit-def: $sgpr36_sgpr37
                                        ; implicit-def: $sgpr40_sgpr41
                                        ; implicit-def: $sgpr38_sgpr39
                                        ; implicit-def: $sgpr42_sgpr43
                                        ; implicit-def: $sgpr44_sgpr45
	s_branch .LBB1001_876
.LBB1001_875:                           ;   in Loop: Header=BB1001_876 Depth=1
	s_or_b64 exec, exec, s[46:47]
	s_and_b64 s[12:13], exec, s[40:41]
	s_or_b64 s[34:35], s[12:13], s[34:35]
	s_andn2_b64 s[12:13], s[44:45], exec
	s_and_b64 s[44:45], s[42:43], exec
	s_or_b64 s[44:45], s[12:13], s[44:45]
	s_andn2_b64 s[12:13], s[36:37], exec
	s_and_b64 s[36:37], s[38:39], exec
	;; [unrolled: 3-line block ×3, first 2 shown]
	s_or_b64 s[30:31], s[12:13], s[18:19]
	s_andn2_b64 exec, exec, s[34:35]
	s_cbranch_execz .LBB1001_878
.LBB1001_876:                           ; =>This Inner Loop Header: Depth=1
	flat_load_ubyte v31, v[66:67]
	flat_load_ubyte v70, v[64:65]
	s_andn2_b64 s[42:43], s[42:43], exec
	s_or_b64 s[38:39], s[38:39], exec
	s_or_b64 s[40:41], s[40:41], exec
	s_waitcnt vmcnt(0) lgkmcnt(0)
	v_cmp_eq_u16_e64 s[12:13], 0, v31
	v_cmp_ne_u16_e64 s[18:19], 0, v70
	s_or_b64 s[48:49], s[12:13], s[18:19]
	s_and_b64 s[46:47], s[12:13], s[18:19]
	s_xor_b64 s[12:13], s[12:13], s[18:19]
	s_and_b64 s[18:19], s[48:49], s[44:45]
	s_or_b64 s[18:19], s[46:47], s[18:19]
	s_and_saveexec_b64 s[46:47], s[12:13]
	s_cbranch_execz .LBB1001_875
; %bb.877:                              ;   in Loop: Header=BB1001_876 Depth=1
	v_lshl_add_u64 v[68:69], v[68:69], 0, -1
	v_cmp_eq_u64_e64 s[12:13], 0, v[68:69]
	s_andn2_b64 s[42:43], s[42:43], exec
	s_and_b64 s[44:45], s[18:19], exec
	s_andn2_b64 s[40:41], s[40:41], exec
	s_and_b64 s[12:13], s[12:13], exec
	v_lshl_add_u64 v[64:65], v[64:65], 0, 1
	v_lshl_add_u64 v[66:67], v[66:67], 0, 1
	s_or_b64 s[42:43], s[42:43], s[44:45]
	s_andn2_b64 s[38:39], s[38:39], exec
	s_or_b64 s[40:41], s[40:41], s[12:13]
                                        ; implicit-def: $sgpr44_sgpr45
	s_branch .LBB1001_875
.LBB1001_878:
	s_or_b64 exec, exec, s[34:35]
	s_and_saveexec_b64 s[12:13], s[36:37]
	s_xor_b64 s[12:13], exec, s[12:13]
; %bb.879:
	v_cndmask_b32_e64 v65, v19, v13, s[30:31]
	v_cndmask_b32_e64 v64, v18, v12, s[30:31]
	;; [unrolled: 1-line block ×4, first 2 shown]
	v_mov_b64_e32 v[18:19], v[64:65]
; %bb.880:
	s_or_b64 exec, exec, s[12:13]
.LBB1001_881:
	s_or_b64 exec, exec, s[28:29]
	v_mbcnt_lo_u32_b32 v31, -1, 0
	v_mbcnt_hi_u32_b32 v66, -1, v31
	v_and_b32_e32 v68, 0xfffffe00, v1
	v_mov_b32_e32 v69, 0
	v_sub_u32_e64 v1, v0, v68 clamp
	v_lshl_add_u64 v[64:65], v[68:69], 3, v[10:11]
	v_lshlrev_b32_e32 v31, 3, v66
	v_lshlrev_b32_e32 v68, 6, v66
	v_lshl_add_u64 v[66:67], v[64:65], 0, v[68:69]
	v_or_b32_e32 v68, 8, v31
	v_min_u32_e32 v98, v1, v68
	v_add_u32_e32 v68, 8, v98
	v_and_b32_e32 v100, 0x3f0, v31
	v_min_u32_e32 v99, v1, v68
	v_and_b32_e32 v68, 8, v31
	v_min_u32_e32 v101, v1, v68
	v_sub_u32_e32 v68, v98, v100
	v_sub_u32_e32 v70, v99, v98
	v_sub_u32_e64 v102, v101, v70 clamp
	v_min_u32_e32 v103, v101, v68
	v_cmp_lt_u32_e64 s[12:13], v102, v103
	flat_store_dwordx4 v[66:67], v[24:27]
	flat_store_dwordx4 v[66:67], v[20:23] offset:16
	flat_store_dwordx4 v[66:67], v[16:19] offset:32
	;; [unrolled: 1-line block ×3, first 2 shown]
	; wave barrier
	s_and_saveexec_b64 s[28:29], s[12:13]
	s_cbranch_execz .LBB1001_891
; %bb.882:
	v_lshlrev_b32_e32 v68, 3, v100
	v_lshl_add_u64 v[70:71], v[64:65], 0, v[68:69]
	v_lshlrev_b32_e32 v68, 3, v98
	v_lshl_add_u64 v[80:81], v[64:65], 0, v[68:69]
	s_mov_b64 s[30:31], 0
	s_branch .LBB1001_885
.LBB1001_883:                           ;   in Loop: Header=BB1001_885 Depth=1
	s_or_b64 exec, exec, s[36:37]
	s_and_b64 s[12:13], s[38:39], exec
.LBB1001_884:                           ;   in Loop: Header=BB1001_885 Depth=1
	s_or_b64 exec, exec, s[34:35]
	v_add_u32_e32 v68, 1, v82
	v_cndmask_b32_e64 v103, v103, v82, s[12:13]
	v_cndmask_b32_e64 v102, v68, v102, s[12:13]
	v_cmp_ge_u32_e64 s[12:13], v102, v103
	s_or_b64 s[30:31], s[12:13], s[30:31]
	s_andn2_b64 exec, exec, s[30:31]
	s_cbranch_execz .LBB1001_890
.LBB1001_885:                           ; =>This Loop Header: Depth=1
                                        ;     Child Loop BB1001_888 Depth 2
	v_add_u32_e32 v68, v103, v102
	v_lshrrev_b32_e32 v82, 1, v68
	s_mov_b64 s[12:13], 0
	s_and_saveexec_b64 s[34:35], s[16:17]
	s_cbranch_execz .LBB1001_884
; %bb.886:                              ;   in Loop: Header=BB1001_885 Depth=1
	v_mov_b32_e32 v83, v69
	v_xad_u32 v68, v82, -1, v101
	v_lshl_add_u64 v[84:85], v[82:83], 3, v[70:71]
	v_lshl_add_u64 v[86:87], v[68:69], 3, v[80:81]
	flat_load_dwordx2 v[84:85], v[84:85]
	s_mov_b64 s[36:37], 0
	flat_load_dwordx2 v[86:87], v[86:87]
                                        ; implicit-def: $sgpr38_sgpr39
                                        ; implicit-def: $sgpr40_sgpr41
                                        ; implicit-def: $sgpr42_sgpr43
                                        ; implicit-def: $sgpr18_sgpr19
                                        ; implicit-def: $sgpr44_sgpr45
	s_waitcnt vmcnt(0) lgkmcnt(0)
	v_mul_lo_u32 v68, v84, v7
	v_mul_lo_u32 v83, v85, v6
	v_mad_u64_u32 v[84:85], s[12:13], v84, v6, v[8:9]
	v_mul_lo_u32 v96, v86, v7
	v_mul_lo_u32 v97, v87, v6
	v_mad_u64_u32 v[86:87], s[12:13], v86, v6, v[8:9]
	v_add3_u32 v85, v83, v85, v68
	v_add3_u32 v87, v97, v87, v96
	v_mov_b64_e32 v[96:97], v[6:7]
	s_branch .LBB1001_888
.LBB1001_887:                           ;   in Loop: Header=BB1001_888 Depth=2
	s_or_b64 exec, exec, s[46:47]
	s_and_b64 s[12:13], exec, s[40:41]
	s_or_b64 s[36:37], s[12:13], s[36:37]
	s_andn2_b64 s[12:13], s[44:45], exec
	s_and_b64 s[44:45], s[42:43], exec
	s_or_b64 s[44:45], s[12:13], s[44:45]
	s_andn2_b64 s[12:13], s[38:39], exec
	s_and_b64 s[38:39], s[18:19], exec
	s_or_b64 s[38:39], s[12:13], s[38:39]
	s_andn2_b64 exec, exec, s[36:37]
	s_cbranch_execz .LBB1001_883
.LBB1001_888:                           ;   Parent Loop BB1001_885 Depth=1
                                        ; =>  This Inner Loop Header: Depth=2
	flat_load_ubyte v68, v[86:87]
	flat_load_ubyte v83, v[84:85]
	s_andn2_b64 s[46:47], s[18:19], exec
	s_andn2_b64 s[42:43], s[42:43], exec
	s_or_b64 s[40:41], s[40:41], exec
	s_waitcnt vmcnt(0) lgkmcnt(0)
	v_cmp_eq_u16_e64 s[12:13], 0, v68
	v_cmp_ne_u16_e64 s[18:19], 0, v83
	s_or_b64 s[50:51], s[12:13], s[18:19]
	s_and_b64 s[48:49], s[12:13], s[18:19]
	s_xor_b64 s[12:13], s[12:13], s[18:19]
	s_and_b64 s[18:19], s[50:51], s[44:45]
	s_or_b64 s[48:49], s[48:49], s[18:19]
	s_and_b64 s[18:19], s[48:49], exec
	s_or_b64 s[18:19], s[46:47], s[18:19]
	s_and_saveexec_b64 s[46:47], s[12:13]
	s_cbranch_execz .LBB1001_887
; %bb.889:                              ;   in Loop: Header=BB1001_888 Depth=2
	v_lshl_add_u64 v[96:97], v[96:97], 0, -1
	v_cmp_eq_u64_e64 s[12:13], 0, v[96:97]
	s_andn2_b64 s[42:43], s[42:43], exec
	s_and_b64 s[44:45], s[48:49], exec
	s_andn2_b64 s[40:41], s[40:41], exec
	s_and_b64 s[12:13], s[12:13], exec
	v_lshl_add_u64 v[84:85], v[84:85], 0, 1
	v_lshl_add_u64 v[86:87], v[86:87], 0, 1
	s_andn2_b64 s[18:19], s[18:19], exec
	s_or_b64 s[42:43], s[42:43], s[44:45]
	s_or_b64 s[40:41], s[40:41], s[12:13]
                                        ; implicit-def: $sgpr44_sgpr45
	s_branch .LBB1001_887
.LBB1001_890:
	s_or_b64 exec, exec, s[30:31]
.LBB1001_891:
	s_or_b64 exec, exec, s[28:29]
	v_add_u32_e32 v69, v98, v101
	v_add_u32_e32 v68, v102, v100
	v_sub_u32_e32 v70, v69, v102
	v_cmp_le_u32_e64 s[12:13], v68, v98
	v_cmp_le_u32_e64 s[18:19], v70, v99
	s_or_b64 s[12:13], s[12:13], s[18:19]
	s_and_saveexec_b64 s[28:29], s[12:13]
	s_cbranch_execz .LBB1001_963
; %bb.892:
	v_cmp_ge_u32_e64 s[18:19], v68, v98
	v_cmp_lt_u32_e64 s[12:13], v68, v98
                                        ; implicit-def: $vgpr12_vgpr13
	s_and_saveexec_b64 s[30:31], s[12:13]
	s_cbranch_execz .LBB1001_894
; %bb.893:
	v_mov_b32_e32 v69, 0
	v_lshl_add_u64 v[12:13], v[68:69], 3, v[64:65]
	flat_load_dwordx2 v[12:13], v[12:13]
.LBB1001_894:
	s_or_b64 exec, exec, s[30:31]
	v_cmp_ge_u32_e64 s[30:31], v70, v99
	v_cmp_lt_u32_e64 s[12:13], v70, v99
                                        ; implicit-def: $vgpr14_vgpr15
	s_and_saveexec_b64 s[34:35], s[12:13]
	s_cbranch_execz .LBB1001_896
; %bb.895:
	v_mov_b32_e32 v71, 0
	v_lshl_add_u64 v[14:15], v[70:71], 3, v[64:65]
	flat_load_dwordx2 v[14:15], v[14:15]
.LBB1001_896:
	s_or_b64 exec, exec, s[34:35]
	s_or_b64 s[12:13], s[18:19], s[30:31]
	s_xor_b64 s[12:13], s[12:13], -1
	s_and_saveexec_b64 s[34:35], s[12:13]
	s_cbranch_execz .LBB1001_904
; %bb.897:
	s_mov_b64 s[12:13], 0
	s_and_saveexec_b64 s[36:37], s[16:17]
	s_cbranch_execz .LBB1001_903
; %bb.898:
	s_waitcnt vmcnt(0) lgkmcnt(0)
	v_mad_u64_u32 v[16:17], s[12:13], v12, v6, v[8:9]
	v_mul_lo_u32 v18, v12, v7
	v_mul_lo_u32 v19, v13, v6
	v_add3_u32 v17, v19, v17, v18
	v_mad_u64_u32 v[18:19], s[12:13], v14, v6, v[8:9]
	v_mul_lo_u32 v20, v14, v7
	v_mul_lo_u32 v21, v15, v6
	v_add3_u32 v19, v21, v19, v20
	s_mov_b64 s[38:39], 0
	v_mov_b64_e32 v[20:21], v[6:7]
                                        ; implicit-def: $sgpr40_sgpr41
                                        ; implicit-def: $sgpr42_sgpr43
                                        ; implicit-def: $sgpr44_sgpr45
                                        ; implicit-def: $sgpr18_sgpr19
                                        ; implicit-def: $sgpr46_sgpr47
	s_branch .LBB1001_900
.LBB1001_899:                           ;   in Loop: Header=BB1001_900 Depth=1
	s_or_b64 exec, exec, s[48:49]
	s_and_b64 s[12:13], exec, s[42:43]
	s_or_b64 s[38:39], s[12:13], s[38:39]
	s_andn2_b64 s[12:13], s[46:47], exec
	s_and_b64 s[46:47], s[44:45], exec
	s_or_b64 s[46:47], s[12:13], s[46:47]
	s_andn2_b64 s[12:13], s[40:41], exec
	s_and_b64 s[40:41], s[18:19], exec
	s_or_b64 s[40:41], s[12:13], s[40:41]
	s_andn2_b64 exec, exec, s[38:39]
	s_cbranch_execz .LBB1001_902
.LBB1001_900:                           ; =>This Inner Loop Header: Depth=1
	flat_load_ubyte v22, v[18:19]
	flat_load_ubyte v23, v[16:17]
	s_andn2_b64 s[48:49], s[18:19], exec
	s_andn2_b64 s[44:45], s[44:45], exec
	s_or_b64 s[42:43], s[42:43], exec
	s_waitcnt vmcnt(0) lgkmcnt(0)
	v_cmp_eq_u16_e64 s[12:13], 0, v22
	v_cmp_ne_u16_e64 s[18:19], 0, v23
	s_or_b64 s[52:53], s[12:13], s[18:19]
	s_and_b64 s[50:51], s[12:13], s[18:19]
	s_xor_b64 s[12:13], s[12:13], s[18:19]
	s_and_b64 s[18:19], s[52:53], s[46:47]
	s_or_b64 s[50:51], s[50:51], s[18:19]
	s_and_b64 s[18:19], s[50:51], exec
	s_or_b64 s[18:19], s[48:49], s[18:19]
	s_and_saveexec_b64 s[48:49], s[12:13]
	s_cbranch_execz .LBB1001_899
; %bb.901:                              ;   in Loop: Header=BB1001_900 Depth=1
	v_lshl_add_u64 v[20:21], v[20:21], 0, -1
	v_cmp_eq_u64_e64 s[12:13], 0, v[20:21]
	s_andn2_b64 s[44:45], s[44:45], exec
	s_and_b64 s[46:47], s[50:51], exec
	s_andn2_b64 s[42:43], s[42:43], exec
	s_and_b64 s[12:13], s[12:13], exec
	v_lshl_add_u64 v[16:17], v[16:17], 0, 1
	v_lshl_add_u64 v[18:19], v[18:19], 0, 1
	s_andn2_b64 s[18:19], s[18:19], exec
	s_or_b64 s[44:45], s[44:45], s[46:47]
	s_or_b64 s[42:43], s[42:43], s[12:13]
                                        ; implicit-def: $sgpr46_sgpr47
	s_branch .LBB1001_899
.LBB1001_902:
	s_or_b64 exec, exec, s[38:39]
	s_and_b64 s[12:13], s[40:41], exec
.LBB1001_903:
	s_or_b64 exec, exec, s[36:37]
	s_xor_b64 s[12:13], s[12:13], -1
	s_andn2_b64 s[18:19], s[30:31], exec
	s_and_b64 s[12:13], s[12:13], exec
	s_or_b64 s[30:31], s[18:19], s[12:13]
.LBB1001_904:
	s_or_b64 exec, exec, s[34:35]
	v_cndmask_b32_e64 v16, v70, v68, s[30:31]
	v_cndmask_b32_e64 v17, v99, v98, s[30:31]
	v_add_u32_e32 v20, 1, v16
	v_add_u32_e32 v16, -1, v17
	v_min_u32_e32 v16, v20, v16
	v_mov_b32_e32 v17, 0
	v_lshl_add_u64 v[18:19], v[16:17], 3, v[64:65]
	flat_load_dwordx2 v[18:19], v[18:19]
	v_cndmask_b32_e64 v27, v20, v70, s[30:31]
	s_mov_b64 s[34:35], -1
	v_cndmask_b32_e64 v68, v68, v20, s[30:31]
	v_cmp_lt_u32_e64 s[12:13], v27, v99
	s_mov_b64 s[36:37], -1
	s_waitcnt vmcnt(0) lgkmcnt(0)
	v_cndmask_b32_e64 v24, v19, v15, s[30:31]
	v_cndmask_b32_e64 v25, v18, v14, s[30:31]
	;; [unrolled: 1-line block ×4, first 2 shown]
	s_and_saveexec_b64 s[38:39], s[12:13]
	s_cbranch_execz .LBB1001_914
; %bb.905:
	v_cmp_lt_u32_e64 s[12:13], v68, v98
	s_mov_b64 s[18:19], 0
	s_and_saveexec_b64 s[36:37], s[12:13]
	s_cbranch_execz .LBB1001_913
; %bb.906:
	s_mov_b64 s[12:13], 0
	s_and_saveexec_b64 s[40:41], s[16:17]
	s_cbranch_execz .LBB1001_912
; %bb.907:
	v_mad_u64_u32 v[18:19], s[12:13], v70, v6, v[8:9]
	v_mul_lo_u32 v16, v70, v7
	v_mul_lo_u32 v20, v26, v6
	v_add3_u32 v19, v20, v19, v16
	v_mad_u64_u32 v[20:21], s[12:13], v25, v6, v[8:9]
	v_mul_lo_u32 v16, v25, v7
	v_mul_lo_u32 v22, v24, v6
	v_add3_u32 v21, v22, v21, v16
	s_mov_b64 s[42:43], 0
	v_mov_b64_e32 v[22:23], v[6:7]
                                        ; implicit-def: $sgpr44_sgpr45
                                        ; implicit-def: $sgpr46_sgpr47
                                        ; implicit-def: $sgpr48_sgpr49
                                        ; implicit-def: $sgpr18_sgpr19
                                        ; implicit-def: $sgpr50_sgpr51
	s_branch .LBB1001_909
.LBB1001_908:                           ;   in Loop: Header=BB1001_909 Depth=1
	s_or_b64 exec, exec, s[52:53]
	s_and_b64 s[12:13], exec, s[46:47]
	s_or_b64 s[42:43], s[12:13], s[42:43]
	s_andn2_b64 s[12:13], s[50:51], exec
	s_and_b64 s[50:51], s[48:49], exec
	s_or_b64 s[50:51], s[12:13], s[50:51]
	s_andn2_b64 s[12:13], s[44:45], exec
	s_and_b64 s[44:45], s[18:19], exec
	s_or_b64 s[44:45], s[12:13], s[44:45]
	s_andn2_b64 exec, exec, s[42:43]
	s_cbranch_execz .LBB1001_911
.LBB1001_909:                           ; =>This Inner Loop Header: Depth=1
	flat_load_ubyte v16, v[20:21]
	flat_load_ubyte v69, v[18:19]
	s_andn2_b64 s[52:53], s[18:19], exec
	s_andn2_b64 s[48:49], s[48:49], exec
	s_or_b64 s[46:47], s[46:47], exec
	s_waitcnt vmcnt(0) lgkmcnt(0)
	v_cmp_eq_u16_e64 s[12:13], 0, v16
	v_cmp_ne_u16_e64 s[18:19], 0, v69
	s_or_b64 s[56:57], s[12:13], s[18:19]
	s_and_b64 s[54:55], s[12:13], s[18:19]
	s_xor_b64 s[12:13], s[12:13], s[18:19]
	s_and_b64 s[18:19], s[56:57], s[50:51]
	s_or_b64 s[54:55], s[54:55], s[18:19]
	s_and_b64 s[18:19], s[54:55], exec
	s_or_b64 s[18:19], s[52:53], s[18:19]
	s_and_saveexec_b64 s[52:53], s[12:13]
	s_cbranch_execz .LBB1001_908
; %bb.910:                              ;   in Loop: Header=BB1001_909 Depth=1
	v_lshl_add_u64 v[22:23], v[22:23], 0, -1
	v_cmp_eq_u64_e64 s[12:13], 0, v[22:23]
	s_andn2_b64 s[48:49], s[48:49], exec
	s_and_b64 s[50:51], s[54:55], exec
	s_andn2_b64 s[46:47], s[46:47], exec
	s_and_b64 s[12:13], s[12:13], exec
	v_lshl_add_u64 v[18:19], v[18:19], 0, 1
	v_lshl_add_u64 v[20:21], v[20:21], 0, 1
	s_andn2_b64 s[18:19], s[18:19], exec
	s_or_b64 s[48:49], s[48:49], s[50:51]
	s_or_b64 s[46:47], s[46:47], s[12:13]
                                        ; implicit-def: $sgpr50_sgpr51
	s_branch .LBB1001_908
.LBB1001_911:
	s_or_b64 exec, exec, s[42:43]
	s_and_b64 s[12:13], s[44:45], exec
.LBB1001_912:
	s_or_b64 exec, exec, s[40:41]
	s_xor_b64 s[12:13], s[12:13], -1
	s_and_b64 s[18:19], s[12:13], exec
.LBB1001_913:
	s_or_b64 exec, exec, s[36:37]
	s_orn2_b64 s[36:37], s[18:19], exec
.LBB1001_914:
	s_or_b64 exec, exec, s[38:39]
	v_cndmask_b32_e64 v16, v27, v68, s[36:37]
	v_cndmask_b32_e64 v18, v99, v98, s[36:37]
	v_add_u32_e32 v19, 1, v16
	v_add_u32_e32 v16, -1, v18
	v_min_u32_e32 v16, v19, v16
	v_lshl_add_u64 v[16:17], v[16:17], 3, v[64:65]
	flat_load_dwordx2 v[16:17], v[16:17]
	v_cndmask_b32_e64 v22, v19, v27, s[36:37]
	v_cndmask_b32_e64 v23, v68, v19, s[36:37]
	v_cmp_lt_u32_e64 s[12:13], v22, v99
	s_waitcnt vmcnt(0) lgkmcnt(0)
	v_cndmask_b32_e64 v27, v17, v24, s[36:37]
	v_cndmask_b32_e64 v71, v16, v25, s[36:37]
	;; [unrolled: 1-line block ×4, first 2 shown]
	s_and_saveexec_b64 s[38:39], s[12:13]
	s_cbranch_execz .LBB1001_922
; %bb.915:
	v_cmp_lt_u32_e64 s[34:35], v23, v98
	s_and_b64 s[12:13], s[34:35], s[26:27]
	s_and_saveexec_b64 s[40:41], s[12:13]
	s_cbranch_execz .LBB1001_921
; %bb.916:
	v_mad_u64_u32 v[16:17], s[12:13], v81, v6, v[8:9]
	v_mul_lo_u32 v18, v81, v7
	v_mul_lo_u32 v19, v80, v6
	v_add3_u32 v17, v19, v17, v18
	v_mad_u64_u32 v[18:19], s[12:13], v71, v6, v[8:9]
	v_mul_lo_u32 v20, v71, v7
	v_mul_lo_u32 v21, v27, v6
	v_add3_u32 v19, v21, v19, v20
	s_mov_b64 s[42:43], 0
	v_mov_b64_e32 v[20:21], v[6:7]
                                        ; implicit-def: $sgpr44_sgpr45
                                        ; implicit-def: $sgpr46_sgpr47
                                        ; implicit-def: $sgpr18_sgpr19
                                        ; implicit-def: $sgpr48_sgpr49
                                        ; implicit-def: $sgpr50_sgpr51
	s_branch .LBB1001_918
.LBB1001_917:                           ;   in Loop: Header=BB1001_918 Depth=1
	s_or_b64 exec, exec, s[52:53]
	s_and_b64 s[12:13], exec, s[46:47]
	s_or_b64 s[42:43], s[12:13], s[42:43]
	s_andn2_b64 s[12:13], s[50:51], exec
	s_and_b64 s[50:51], s[48:49], exec
	s_or_b64 s[50:51], s[12:13], s[50:51]
	s_andn2_b64 s[12:13], s[44:45], exec
	s_and_b64 s[44:45], s[18:19], exec
	s_or_b64 s[44:45], s[12:13], s[44:45]
	s_andn2_b64 exec, exec, s[42:43]
	s_cbranch_execz .LBB1001_920
.LBB1001_918:                           ; =>This Inner Loop Header: Depth=1
	flat_load_ubyte v68, v[18:19]
	flat_load_ubyte v69, v[16:17]
	s_andn2_b64 s[52:53], s[18:19], exec
	s_andn2_b64 s[48:49], s[48:49], exec
	s_or_b64 s[46:47], s[46:47], exec
	s_waitcnt vmcnt(0) lgkmcnt(0)
	v_cmp_eq_u16_e64 s[12:13], 0, v68
	v_cmp_ne_u16_e64 s[18:19], 0, v69
	s_or_b64 s[56:57], s[12:13], s[18:19]
	s_and_b64 s[54:55], s[12:13], s[18:19]
	s_xor_b64 s[12:13], s[12:13], s[18:19]
	s_and_b64 s[18:19], s[56:57], s[50:51]
	s_or_b64 s[54:55], s[54:55], s[18:19]
	s_and_b64 s[18:19], s[54:55], exec
	s_or_b64 s[18:19], s[52:53], s[18:19]
	s_and_saveexec_b64 s[52:53], s[12:13]
	s_cbranch_execz .LBB1001_917
; %bb.919:                              ;   in Loop: Header=BB1001_918 Depth=1
	v_lshl_add_u64 v[20:21], v[20:21], 0, -1
	v_cmp_eq_u64_e64 s[12:13], 0, v[20:21]
	s_andn2_b64 s[48:49], s[48:49], exec
	s_and_b64 s[50:51], s[54:55], exec
	s_andn2_b64 s[46:47], s[46:47], exec
	s_and_b64 s[12:13], s[12:13], exec
	v_lshl_add_u64 v[16:17], v[16:17], 0, 1
	v_lshl_add_u64 v[18:19], v[18:19], 0, 1
	s_or_b64 s[48:49], s[48:49], s[50:51]
	s_andn2_b64 s[18:19], s[18:19], exec
	s_or_b64 s[46:47], s[46:47], s[12:13]
                                        ; implicit-def: $sgpr50_sgpr51
	s_branch .LBB1001_917
.LBB1001_920:
	s_or_b64 exec, exec, s[42:43]
	s_xor_b64 s[12:13], s[44:45], -1
	s_andn2_b64 s[18:19], s[34:35], exec
	s_and_b64 s[12:13], s[12:13], exec
	s_or_b64 s[34:35], s[18:19], s[12:13]
.LBB1001_921:
	s_or_b64 exec, exec, s[40:41]
	s_orn2_b64 s[34:35], s[34:35], exec
.LBB1001_922:
	s_or_b64 exec, exec, s[38:39]
	v_cndmask_b32_e64 v16, v22, v23, s[34:35]
	v_cndmask_b32_e64 v17, v99, v98, s[34:35]
	v_add_u32_e32 v20, 1, v16
	v_add_u32_e32 v16, -1, v17
	v_min_u32_e32 v16, v20, v16
	v_mov_b32_e32 v17, 0
	v_lshl_add_u64 v[18:19], v[16:17], 3, v[64:65]
	flat_load_dwordx2 v[18:19], v[18:19]
	v_cndmask_b32_e64 v68, v20, v22, s[34:35]
	s_mov_b64 s[38:39], -1
	v_cndmask_b32_e64 v69, v23, v20, s[34:35]
	v_cmp_lt_u32_e64 s[12:13], v68, v99
	s_mov_b64 s[40:41], -1
	s_waitcnt vmcnt(0) lgkmcnt(0)
	v_cndmask_b32_e64 v82, v19, v27, s[34:35]
	v_cndmask_b32_e64 v83, v18, v71, s[34:35]
	;; [unrolled: 1-line block ×4, first 2 shown]
	s_and_saveexec_b64 s[42:43], s[12:13]
	s_cbranch_execz .LBB1001_930
; %bb.923:
	v_cmp_lt_u32_e64 s[40:41], v69, v98
	s_and_b64 s[12:13], s[40:41], s[26:27]
	s_and_saveexec_b64 s[44:45], s[12:13]
	s_cbranch_execz .LBB1001_929
; %bb.924:
	v_mad_u64_u32 v[18:19], s[12:13], v85, v6, v[8:9]
	v_mul_lo_u32 v16, v85, v7
	v_mul_lo_u32 v20, v84, v6
	v_add3_u32 v19, v20, v19, v16
	v_mad_u64_u32 v[20:21], s[12:13], v83, v6, v[8:9]
	v_mul_lo_u32 v16, v83, v7
	v_mul_lo_u32 v22, v82, v6
	v_add3_u32 v21, v22, v21, v16
	s_mov_b64 s[46:47], 0
	v_mov_b64_e32 v[22:23], v[6:7]
                                        ; implicit-def: $sgpr48_sgpr49
                                        ; implicit-def: $sgpr50_sgpr51
                                        ; implicit-def: $sgpr18_sgpr19
                                        ; implicit-def: $sgpr52_sgpr53
                                        ; implicit-def: $sgpr54_sgpr55
	s_branch .LBB1001_926
.LBB1001_925:                           ;   in Loop: Header=BB1001_926 Depth=1
	s_or_b64 exec, exec, s[56:57]
	s_and_b64 s[12:13], exec, s[50:51]
	s_or_b64 s[46:47], s[12:13], s[46:47]
	s_andn2_b64 s[12:13], s[54:55], exec
	s_and_b64 s[54:55], s[52:53], exec
	s_or_b64 s[54:55], s[12:13], s[54:55]
	s_andn2_b64 s[12:13], s[48:49], exec
	s_and_b64 s[48:49], s[18:19], exec
	s_or_b64 s[48:49], s[12:13], s[48:49]
	s_andn2_b64 exec, exec, s[46:47]
	s_cbranch_execz .LBB1001_928
.LBB1001_926:                           ; =>This Inner Loop Header: Depth=1
	flat_load_ubyte v16, v[20:21]
	flat_load_ubyte v86, v[18:19]
	s_andn2_b64 s[56:57], s[18:19], exec
	s_andn2_b64 s[52:53], s[52:53], exec
	s_or_b64 s[50:51], s[50:51], exec
	s_waitcnt vmcnt(0) lgkmcnt(0)
	v_cmp_eq_u16_e64 s[12:13], 0, v16
	v_cmp_ne_u16_e64 s[18:19], 0, v86
	s_or_b64 s[60:61], s[12:13], s[18:19]
	s_and_b64 s[58:59], s[12:13], s[18:19]
	s_xor_b64 s[12:13], s[12:13], s[18:19]
	s_and_b64 s[18:19], s[60:61], s[54:55]
	s_or_b64 s[58:59], s[58:59], s[18:19]
	s_and_b64 s[18:19], s[58:59], exec
	s_or_b64 s[18:19], s[56:57], s[18:19]
	s_and_saveexec_b64 s[56:57], s[12:13]
	s_cbranch_execz .LBB1001_925
; %bb.927:                              ;   in Loop: Header=BB1001_926 Depth=1
	v_lshl_add_u64 v[22:23], v[22:23], 0, -1
	v_cmp_eq_u64_e64 s[12:13], 0, v[22:23]
	s_andn2_b64 s[52:53], s[52:53], exec
	s_and_b64 s[54:55], s[58:59], exec
	s_andn2_b64 s[50:51], s[50:51], exec
	s_and_b64 s[12:13], s[12:13], exec
	v_lshl_add_u64 v[18:19], v[18:19], 0, 1
	v_lshl_add_u64 v[20:21], v[20:21], 0, 1
	s_or_b64 s[52:53], s[52:53], s[54:55]
	s_andn2_b64 s[18:19], s[18:19], exec
	s_or_b64 s[50:51], s[50:51], s[12:13]
                                        ; implicit-def: $sgpr54_sgpr55
	s_branch .LBB1001_925
.LBB1001_928:
	s_or_b64 exec, exec, s[46:47]
	s_xor_b64 s[12:13], s[48:49], -1
	s_andn2_b64 s[18:19], s[40:41], exec
	s_and_b64 s[12:13], s[12:13], exec
	s_or_b64 s[40:41], s[18:19], s[12:13]
.LBB1001_929:
	s_or_b64 exec, exec, s[44:45]
	s_orn2_b64 s[40:41], s[40:41], exec
.LBB1001_930:
	s_or_b64 exec, exec, s[42:43]
	v_cndmask_b32_e64 v16, v68, v69, s[40:41]
	v_cndmask_b32_e64 v18, v99, v98, s[40:41]
	v_add_u32_e32 v19, 1, v16
	v_add_u32_e32 v16, -1, v18
	v_min_u32_e32 v16, v19, v16
	v_lshl_add_u64 v[16:17], v[16:17], 3, v[64:65]
	flat_load_dwordx2 v[16:17], v[16:17]
	v_cndmask_b32_e64 v22, v19, v68, s[40:41]
	v_cndmask_b32_e64 v23, v69, v19, s[40:41]
	v_cmp_lt_u32_e64 s[12:13], v22, v99
	s_waitcnt vmcnt(0) lgkmcnt(0)
	v_cndmask_b32_e64 v86, v17, v82, s[40:41]
	v_cndmask_b32_e64 v87, v16, v83, s[40:41]
	;; [unrolled: 1-line block ×4, first 2 shown]
	s_and_saveexec_b64 s[42:43], s[12:13]
	s_cbranch_execz .LBB1001_938
; %bb.931:
	v_cmp_lt_u32_e64 s[38:39], v23, v98
	s_and_b64 s[12:13], s[38:39], s[26:27]
	s_and_saveexec_b64 s[44:45], s[12:13]
	s_cbranch_execz .LBB1001_937
; %bb.932:
	v_mad_u64_u32 v[16:17], s[12:13], v97, v6, v[8:9]
	v_mul_lo_u32 v18, v97, v7
	v_mul_lo_u32 v19, v96, v6
	v_add3_u32 v17, v19, v17, v18
	v_mad_u64_u32 v[18:19], s[12:13], v87, v6, v[8:9]
	v_mul_lo_u32 v20, v87, v7
	v_mul_lo_u32 v21, v86, v6
	v_add3_u32 v19, v21, v19, v20
	s_mov_b64 s[46:47], 0
	v_mov_b64_e32 v[20:21], v[6:7]
                                        ; implicit-def: $sgpr48_sgpr49
                                        ; implicit-def: $sgpr50_sgpr51
                                        ; implicit-def: $sgpr18_sgpr19
                                        ; implicit-def: $sgpr52_sgpr53
                                        ; implicit-def: $sgpr54_sgpr55
	s_branch .LBB1001_934
.LBB1001_933:                           ;   in Loop: Header=BB1001_934 Depth=1
	s_or_b64 exec, exec, s[56:57]
	s_and_b64 s[12:13], exec, s[50:51]
	s_or_b64 s[46:47], s[12:13], s[46:47]
	s_andn2_b64 s[12:13], s[54:55], exec
	s_and_b64 s[54:55], s[52:53], exec
	s_or_b64 s[54:55], s[12:13], s[54:55]
	s_andn2_b64 s[12:13], s[48:49], exec
	s_and_b64 s[48:49], s[18:19], exec
	s_or_b64 s[48:49], s[12:13], s[48:49]
	s_andn2_b64 exec, exec, s[46:47]
	s_cbranch_execz .LBB1001_936
.LBB1001_934:                           ; =>This Inner Loop Header: Depth=1
	flat_load_ubyte v68, v[18:19]
	flat_load_ubyte v69, v[16:17]
	s_andn2_b64 s[56:57], s[18:19], exec
	s_andn2_b64 s[52:53], s[52:53], exec
	s_or_b64 s[50:51], s[50:51], exec
	s_waitcnt vmcnt(0) lgkmcnt(0)
	v_cmp_eq_u16_e64 s[12:13], 0, v68
	v_cmp_ne_u16_e64 s[18:19], 0, v69
	s_or_b64 s[60:61], s[12:13], s[18:19]
	s_and_b64 s[58:59], s[12:13], s[18:19]
	s_xor_b64 s[12:13], s[12:13], s[18:19]
	s_and_b64 s[18:19], s[60:61], s[54:55]
	s_or_b64 s[58:59], s[58:59], s[18:19]
	s_and_b64 s[18:19], s[58:59], exec
	s_or_b64 s[18:19], s[56:57], s[18:19]
	s_and_saveexec_b64 s[56:57], s[12:13]
	s_cbranch_execz .LBB1001_933
; %bb.935:                              ;   in Loop: Header=BB1001_934 Depth=1
	v_lshl_add_u64 v[20:21], v[20:21], 0, -1
	v_cmp_eq_u64_e64 s[12:13], 0, v[20:21]
	s_andn2_b64 s[52:53], s[52:53], exec
	s_and_b64 s[54:55], s[58:59], exec
	s_andn2_b64 s[50:51], s[50:51], exec
	s_and_b64 s[12:13], s[12:13], exec
	v_lshl_add_u64 v[16:17], v[16:17], 0, 1
	v_lshl_add_u64 v[18:19], v[18:19], 0, 1
	s_or_b64 s[52:53], s[52:53], s[54:55]
	s_andn2_b64 s[18:19], s[18:19], exec
	s_or_b64 s[50:51], s[50:51], s[12:13]
                                        ; implicit-def: $sgpr54_sgpr55
	s_branch .LBB1001_933
.LBB1001_936:
	s_or_b64 exec, exec, s[46:47]
	s_xor_b64 s[12:13], s[48:49], -1
	s_andn2_b64 s[18:19], s[38:39], exec
	s_and_b64 s[12:13], s[12:13], exec
	s_or_b64 s[38:39], s[18:19], s[12:13]
.LBB1001_937:
	s_or_b64 exec, exec, s[44:45]
	s_orn2_b64 s[38:39], s[38:39], exec
.LBB1001_938:
	s_or_b64 exec, exec, s[42:43]
	v_cndmask_b32_e64 v16, v22, v23, s[38:39]
	v_cndmask_b32_e64 v17, v99, v98, s[38:39]
	v_add_u32_e32 v20, 1, v16
	v_add_u32_e32 v16, -1, v17
	v_min_u32_e32 v16, v20, v16
	v_mov_b32_e32 v17, 0
	v_lshl_add_u64 v[18:19], v[16:17], 3, v[64:65]
	flat_load_dwordx2 v[18:19], v[18:19]
	v_cndmask_b32_e64 v68, v20, v22, s[38:39]
	s_mov_b64 s[42:43], -1
	v_cndmask_b32_e64 v69, v23, v20, s[38:39]
	v_cmp_lt_u32_e64 s[12:13], v68, v99
	s_mov_b64 s[44:45], -1
	s_waitcnt vmcnt(0) lgkmcnt(0)
	v_cndmask_b32_e64 v100, v19, v86, s[38:39]
	v_cndmask_b32_e64 v101, v18, v87, s[38:39]
	;; [unrolled: 1-line block ×4, first 2 shown]
	s_and_saveexec_b64 s[46:47], s[12:13]
	s_cbranch_execz .LBB1001_946
; %bb.939:
	v_cmp_lt_u32_e64 s[44:45], v69, v98
	s_and_b64 s[12:13], s[44:45], s[26:27]
	s_and_saveexec_b64 s[48:49], s[12:13]
	s_cbranch_execz .LBB1001_945
; %bb.940:
	v_mad_u64_u32 v[18:19], s[12:13], v103, v6, v[8:9]
	v_mul_lo_u32 v16, v103, v7
	v_mul_lo_u32 v20, v102, v6
	v_add3_u32 v19, v20, v19, v16
	v_mad_u64_u32 v[20:21], s[12:13], v101, v6, v[8:9]
	v_mul_lo_u32 v16, v101, v7
	v_mul_lo_u32 v22, v100, v6
	v_add3_u32 v21, v22, v21, v16
	s_mov_b64 s[50:51], 0
	v_mov_b64_e32 v[22:23], v[6:7]
                                        ; implicit-def: $sgpr52_sgpr53
                                        ; implicit-def: $sgpr54_sgpr55
                                        ; implicit-def: $sgpr18_sgpr19
                                        ; implicit-def: $sgpr56_sgpr57
                                        ; implicit-def: $sgpr58_sgpr59
	s_branch .LBB1001_942
.LBB1001_941:                           ;   in Loop: Header=BB1001_942 Depth=1
	s_or_b64 exec, exec, s[60:61]
	s_and_b64 s[12:13], exec, s[54:55]
	s_or_b64 s[50:51], s[12:13], s[50:51]
	s_andn2_b64 s[12:13], s[58:59], exec
	s_and_b64 s[58:59], s[56:57], exec
	s_or_b64 s[58:59], s[12:13], s[58:59]
	s_andn2_b64 s[12:13], s[52:53], exec
	s_and_b64 s[52:53], s[18:19], exec
	s_or_b64 s[52:53], s[12:13], s[52:53]
	s_andn2_b64 exec, exec, s[50:51]
	s_cbranch_execz .LBB1001_944
.LBB1001_942:                           ; =>This Inner Loop Header: Depth=1
	flat_load_ubyte v16, v[20:21]
	flat_load_ubyte v112, v[18:19]
	s_andn2_b64 s[60:61], s[18:19], exec
	s_andn2_b64 s[56:57], s[56:57], exec
	s_or_b64 s[54:55], s[54:55], exec
	s_waitcnt vmcnt(0) lgkmcnt(0)
	v_cmp_eq_u16_e64 s[12:13], 0, v16
	v_cmp_ne_u16_e64 s[18:19], 0, v112
	s_or_b64 s[64:65], s[12:13], s[18:19]
	s_and_b64 s[62:63], s[12:13], s[18:19]
	s_xor_b64 s[12:13], s[12:13], s[18:19]
	s_and_b64 s[18:19], s[64:65], s[58:59]
	s_or_b64 s[62:63], s[62:63], s[18:19]
	s_and_b64 s[18:19], s[62:63], exec
	s_or_b64 s[18:19], s[60:61], s[18:19]
	s_and_saveexec_b64 s[60:61], s[12:13]
	s_cbranch_execz .LBB1001_941
; %bb.943:                              ;   in Loop: Header=BB1001_942 Depth=1
	v_lshl_add_u64 v[22:23], v[22:23], 0, -1
	v_cmp_eq_u64_e64 s[12:13], 0, v[22:23]
	s_andn2_b64 s[56:57], s[56:57], exec
	s_and_b64 s[58:59], s[62:63], exec
	s_andn2_b64 s[54:55], s[54:55], exec
	s_and_b64 s[12:13], s[12:13], exec
	v_lshl_add_u64 v[18:19], v[18:19], 0, 1
	v_lshl_add_u64 v[20:21], v[20:21], 0, 1
	s_or_b64 s[56:57], s[56:57], s[58:59]
	s_andn2_b64 s[18:19], s[18:19], exec
	s_or_b64 s[54:55], s[54:55], s[12:13]
                                        ; implicit-def: $sgpr58_sgpr59
	s_branch .LBB1001_941
.LBB1001_944:
	s_or_b64 exec, exec, s[50:51]
	s_xor_b64 s[12:13], s[52:53], -1
	s_andn2_b64 s[18:19], s[44:45], exec
	s_and_b64 s[12:13], s[12:13], exec
	s_or_b64 s[44:45], s[18:19], s[12:13]
.LBB1001_945:
	s_or_b64 exec, exec, s[48:49]
	s_orn2_b64 s[44:45], s[44:45], exec
.LBB1001_946:
	s_or_b64 exec, exec, s[46:47]
	v_cndmask_b32_e64 v16, v68, v69, s[44:45]
	v_cndmask_b32_e64 v18, v99, v98, s[44:45]
	v_add_u32_e32 v19, 1, v16
	v_add_u32_e32 v16, -1, v18
	v_min_u32_e32 v16, v19, v16
	v_lshl_add_u64 v[16:17], v[16:17], 3, v[64:65]
	flat_load_dwordx2 v[16:17], v[16:17]
	v_cndmask_b32_e64 v115, v19, v68, s[44:45]
	v_cndmask_b32_e64 v112, v69, v19, s[44:45]
	v_cmp_lt_u32_e64 s[12:13], v115, v99
	s_waitcnt vmcnt(0) lgkmcnt(0)
	v_cndmask_b32_e64 v113, v17, v100, s[44:45]
	v_cndmask_b32_e64 v114, v16, v101, s[44:45]
	;; [unrolled: 1-line block ×4, first 2 shown]
	s_and_saveexec_b64 s[46:47], s[12:13]
	s_cbranch_execz .LBB1001_954
; %bb.947:
	v_cmp_lt_u32_e64 s[42:43], v112, v98
	s_and_b64 s[12:13], s[42:43], s[26:27]
	s_and_saveexec_b64 s[48:49], s[12:13]
	s_cbranch_execz .LBB1001_953
; %bb.948:
	v_mad_u64_u32 v[16:17], s[12:13], v117, v6, v[8:9]
	v_mul_lo_u32 v18, v117, v7
	v_mul_lo_u32 v19, v116, v6
	v_add3_u32 v17, v19, v17, v18
	v_mad_u64_u32 v[18:19], s[12:13], v114, v6, v[8:9]
	v_mul_lo_u32 v20, v114, v7
	v_mul_lo_u32 v21, v113, v6
	v_add3_u32 v19, v21, v19, v20
	s_mov_b64 s[50:51], 0
	v_mov_b64_e32 v[20:21], v[6:7]
                                        ; implicit-def: $sgpr52_sgpr53
                                        ; implicit-def: $sgpr54_sgpr55
                                        ; implicit-def: $sgpr18_sgpr19
                                        ; implicit-def: $sgpr56_sgpr57
                                        ; implicit-def: $sgpr58_sgpr59
	s_branch .LBB1001_950
.LBB1001_949:                           ;   in Loop: Header=BB1001_950 Depth=1
	s_or_b64 exec, exec, s[60:61]
	s_and_b64 s[12:13], exec, s[54:55]
	s_or_b64 s[50:51], s[12:13], s[50:51]
	s_andn2_b64 s[12:13], s[58:59], exec
	s_and_b64 s[58:59], s[56:57], exec
	s_or_b64 s[58:59], s[12:13], s[58:59]
	s_andn2_b64 s[12:13], s[52:53], exec
	s_and_b64 s[52:53], s[18:19], exec
	s_or_b64 s[52:53], s[12:13], s[52:53]
	s_andn2_b64 exec, exec, s[50:51]
	s_cbranch_execz .LBB1001_952
.LBB1001_950:                           ; =>This Inner Loop Header: Depth=1
	flat_load_ubyte v22, v[18:19]
	flat_load_ubyte v23, v[16:17]
	s_andn2_b64 s[60:61], s[18:19], exec
	s_andn2_b64 s[56:57], s[56:57], exec
	s_or_b64 s[54:55], s[54:55], exec
	s_waitcnt vmcnt(0) lgkmcnt(0)
	v_cmp_eq_u16_e64 s[12:13], 0, v22
	v_cmp_ne_u16_e64 s[18:19], 0, v23
	s_or_b64 s[64:65], s[12:13], s[18:19]
	s_and_b64 s[62:63], s[12:13], s[18:19]
	s_xor_b64 s[12:13], s[12:13], s[18:19]
	s_and_b64 s[18:19], s[64:65], s[58:59]
	s_or_b64 s[62:63], s[62:63], s[18:19]
	s_and_b64 s[18:19], s[62:63], exec
	s_or_b64 s[18:19], s[60:61], s[18:19]
	s_and_saveexec_b64 s[60:61], s[12:13]
	s_cbranch_execz .LBB1001_949
; %bb.951:                              ;   in Loop: Header=BB1001_950 Depth=1
	v_lshl_add_u64 v[20:21], v[20:21], 0, -1
	v_cmp_eq_u64_e64 s[12:13], 0, v[20:21]
	s_andn2_b64 s[56:57], s[56:57], exec
	s_and_b64 s[58:59], s[62:63], exec
	s_andn2_b64 s[54:55], s[54:55], exec
	s_and_b64 s[12:13], s[12:13], exec
	v_lshl_add_u64 v[16:17], v[16:17], 0, 1
	v_lshl_add_u64 v[18:19], v[18:19], 0, 1
	s_or_b64 s[56:57], s[56:57], s[58:59]
	s_andn2_b64 s[18:19], s[18:19], exec
	s_or_b64 s[54:55], s[54:55], s[12:13]
                                        ; implicit-def: $sgpr58_sgpr59
	s_branch .LBB1001_949
.LBB1001_952:
	s_or_b64 exec, exec, s[50:51]
	s_xor_b64 s[12:13], s[52:53], -1
	s_andn2_b64 s[18:19], s[42:43], exec
	s_and_b64 s[12:13], s[12:13], exec
	s_or_b64 s[42:43], s[18:19], s[12:13]
.LBB1001_953:
	s_or_b64 exec, exec, s[48:49]
	s_orn2_b64 s[42:43], s[42:43], exec
.LBB1001_954:
	s_or_b64 exec, exec, s[46:47]
	v_cndmask_b32_e64 v16, v115, v112, s[42:43]
	v_cndmask_b32_e64 v17, v99, v98, s[42:43]
	v_add_u32_e32 v118, 1, v16
	v_add_u32_e32 v16, -1, v17
	v_min_u32_e32 v16, v118, v16
	v_mov_b32_e32 v17, 0
	v_lshl_add_u64 v[16:17], v[16:17], 3, v[64:65]
	flat_load_dwordx2 v[68:69], v[16:17]
	v_cndmask_b32_e64 v21, v27, v80, s[34:35]
	v_cndmask_b32_e64 v27, v24, v26, s[36:37]
	;; [unrolled: 1-line block ×15, first 2 shown]
	v_cmp_lt_u32_e64 s[12:13], v70, v99
	s_waitcnt vmcnt(0) lgkmcnt(0)
	v_cndmask_b32_e64 v15, v116, v69, s[42:43]
	v_cndmask_b32_e64 v14, v117, v68, s[42:43]
	s_and_saveexec_b64 s[30:31], s[12:13]
	s_cbranch_execz .LBB1001_962
; %bb.955:
	v_cndmask_b32_e64 v83, v68, v114, s[42:43]
	v_cndmask_b32_e64 v68, v112, v118, s[42:43]
	v_cmp_ge_u32_e64 s[12:13], v68, v98
	v_cndmask_b32_e64 v82, v69, v113, s[42:43]
	s_or_b64 s[18:19], s[12:13], s[8:9]
	v_cndmask_b32_e64 v69, v15, v82, s[12:13]
	s_xor_b64 s[18:19], s[18:19], -1
	v_cndmask_b32_e64 v68, v14, v83, s[12:13]
	s_and_saveexec_b64 s[34:35], s[18:19]
	s_cbranch_execz .LBB1001_961
; %bb.956:
	v_mad_u64_u32 v[68:69], s[12:13], v14, v6, v[8:9]
	v_mul_lo_u32 v70, v14, v7
	v_mul_lo_u32 v71, v15, v6
	v_add3_u32 v69, v71, v69, v70
	v_mad_u64_u32 v[70:71], s[12:13], v83, v6, v[8:9]
	v_mul_lo_u32 v80, v83, v7
	v_mul_lo_u32 v81, v82, v6
	v_add3_u32 v71, v81, v71, v80
	s_mov_b64 s[36:37], 0
	v_mov_b64_e32 v[80:81], v[6:7]
                                        ; implicit-def: $sgpr38_sgpr39
                                        ; implicit-def: $sgpr40_sgpr41
                                        ; implicit-def: $sgpr18_sgpr19
                                        ; implicit-def: $sgpr42_sgpr43
                                        ; implicit-def: $sgpr44_sgpr45
	s_branch .LBB1001_958
.LBB1001_957:                           ;   in Loop: Header=BB1001_958 Depth=1
	s_or_b64 exec, exec, s[46:47]
	s_and_b64 s[12:13], exec, s[40:41]
	s_or_b64 s[36:37], s[12:13], s[36:37]
	s_andn2_b64 s[12:13], s[44:45], exec
	s_and_b64 s[44:45], s[42:43], exec
	s_or_b64 s[44:45], s[12:13], s[44:45]
	s_andn2_b64 s[12:13], s[38:39], exec
	s_and_b64 s[38:39], s[18:19], exec
	s_or_b64 s[38:39], s[12:13], s[38:39]
	s_andn2_b64 exec, exec, s[36:37]
	s_cbranch_execz .LBB1001_960
.LBB1001_958:                           ; =>This Inner Loop Header: Depth=1
	flat_load_ubyte v84, v[70:71]
	flat_load_ubyte v85, v[68:69]
	s_andn2_b64 s[46:47], s[18:19], exec
	s_andn2_b64 s[42:43], s[42:43], exec
	s_or_b64 s[40:41], s[40:41], exec
	s_waitcnt vmcnt(0) lgkmcnt(0)
	v_cmp_eq_u16_e64 s[12:13], 0, v84
	v_cmp_ne_u16_e64 s[18:19], 0, v85
	s_or_b64 s[50:51], s[12:13], s[18:19]
	s_and_b64 s[48:49], s[12:13], s[18:19]
	s_xor_b64 s[12:13], s[12:13], s[18:19]
	s_and_b64 s[18:19], s[50:51], s[44:45]
	s_or_b64 s[48:49], s[48:49], s[18:19]
	s_and_b64 s[18:19], s[48:49], exec
	s_or_b64 s[18:19], s[46:47], s[18:19]
	s_and_saveexec_b64 s[46:47], s[12:13]
	s_cbranch_execz .LBB1001_957
; %bb.959:                              ;   in Loop: Header=BB1001_958 Depth=1
	v_lshl_add_u64 v[80:81], v[80:81], 0, -1
	v_cmp_eq_u64_e64 s[12:13], 0, v[80:81]
	s_andn2_b64 s[42:43], s[42:43], exec
	s_and_b64 s[44:45], s[48:49], exec
	s_andn2_b64 s[40:41], s[40:41], exec
	s_and_b64 s[12:13], s[12:13], exec
	v_lshl_add_u64 v[68:69], v[68:69], 0, 1
	v_lshl_add_u64 v[70:71], v[70:71], 0, 1
	s_or_b64 s[42:43], s[42:43], s[44:45]
	s_andn2_b64 s[18:19], s[18:19], exec
	s_or_b64 s[40:41], s[40:41], s[12:13]
                                        ; implicit-def: $sgpr44_sgpr45
	s_branch .LBB1001_957
.LBB1001_960:
	s_or_b64 exec, exec, s[36:37]
	v_cndmask_b32_e64 v69, v15, v82, s[38:39]
	v_cndmask_b32_e64 v68, v14, v83, s[38:39]
.LBB1001_961:
	s_or_b64 exec, exec, s[34:35]
	v_mov_b64_e32 v[14:15], v[68:69]
.LBB1001_962:
	s_or_b64 exec, exec, s[30:31]
.LBB1001_963:
	s_or_b64 exec, exec, s[28:29]
	v_and_b32_e32 v100, 0x3e0, v31
	v_or_b32_e32 v68, 16, v100
	v_min_u32_e32 v98, v1, v68
	v_add_u32_e32 v68, 16, v98
	v_min_u32_e32 v99, v1, v68
	v_and_b32_e32 v68, 24, v31
	v_min_u32_e32 v101, v1, v68
	v_sub_u32_e32 v68, v98, v100
	v_sub_u32_e32 v69, v99, v98
	v_sub_u32_e64 v102, v101, v69 clamp
	v_min_u32_e32 v103, v101, v68
	v_cmp_lt_u32_e64 s[12:13], v102, v103
	; wave barrier
	flat_store_dwordx4 v[66:67], v[24:27]
	flat_store_dwordx4 v[66:67], v[20:23] offset:16
	flat_store_dwordx4 v[66:67], v[16:19] offset:32
	;; [unrolled: 1-line block ×3, first 2 shown]
	; wave barrier
	s_and_saveexec_b64 s[28:29], s[12:13]
	s_cbranch_execz .LBB1001_973
; %bb.964:
	v_lshlrev_b32_e32 v68, 3, v100
	v_mov_b32_e32 v69, 0
	v_lshl_add_u64 v[70:71], v[64:65], 0, v[68:69]
	v_lshlrev_b32_e32 v68, 3, v98
	v_lshl_add_u64 v[80:81], v[64:65], 0, v[68:69]
	s_mov_b64 s[30:31], 0
	s_branch .LBB1001_967
.LBB1001_965:                           ;   in Loop: Header=BB1001_967 Depth=1
	s_or_b64 exec, exec, s[36:37]
	s_and_b64 s[12:13], s[38:39], exec
.LBB1001_966:                           ;   in Loop: Header=BB1001_967 Depth=1
	s_or_b64 exec, exec, s[34:35]
	v_add_u32_e32 v68, 1, v82
	v_cndmask_b32_e64 v103, v103, v82, s[12:13]
	v_cndmask_b32_e64 v102, v68, v102, s[12:13]
	v_cmp_ge_u32_e64 s[12:13], v102, v103
	s_or_b64 s[30:31], s[12:13], s[30:31]
	s_andn2_b64 exec, exec, s[30:31]
	s_cbranch_execz .LBB1001_972
.LBB1001_967:                           ; =>This Loop Header: Depth=1
                                        ;     Child Loop BB1001_970 Depth 2
	v_add_u32_e32 v68, v103, v102
	v_lshrrev_b32_e32 v82, 1, v68
	s_mov_b64 s[12:13], 0
	s_and_saveexec_b64 s[34:35], s[16:17]
	s_cbranch_execz .LBB1001_966
; %bb.968:                              ;   in Loop: Header=BB1001_967 Depth=1
	v_mov_b32_e32 v83, v69
	v_xad_u32 v68, v82, -1, v101
	v_lshl_add_u64 v[84:85], v[82:83], 3, v[70:71]
	v_lshl_add_u64 v[86:87], v[68:69], 3, v[80:81]
	flat_load_dwordx2 v[84:85], v[84:85]
	s_mov_b64 s[36:37], 0
	flat_load_dwordx2 v[86:87], v[86:87]
                                        ; implicit-def: $sgpr38_sgpr39
                                        ; implicit-def: $sgpr40_sgpr41
                                        ; implicit-def: $sgpr42_sgpr43
                                        ; implicit-def: $sgpr18_sgpr19
                                        ; implicit-def: $sgpr44_sgpr45
	s_waitcnt vmcnt(0) lgkmcnt(0)
	v_mul_lo_u32 v68, v84, v7
	v_mul_lo_u32 v83, v85, v6
	v_mad_u64_u32 v[84:85], s[12:13], v84, v6, v[8:9]
	v_mul_lo_u32 v96, v86, v7
	v_mul_lo_u32 v97, v87, v6
	v_mad_u64_u32 v[86:87], s[12:13], v86, v6, v[8:9]
	v_add3_u32 v85, v83, v85, v68
	v_add3_u32 v87, v97, v87, v96
	v_mov_b64_e32 v[96:97], v[6:7]
	s_branch .LBB1001_970
.LBB1001_969:                           ;   in Loop: Header=BB1001_970 Depth=2
	s_or_b64 exec, exec, s[46:47]
	s_and_b64 s[12:13], exec, s[40:41]
	s_or_b64 s[36:37], s[12:13], s[36:37]
	s_andn2_b64 s[12:13], s[44:45], exec
	s_and_b64 s[44:45], s[42:43], exec
	s_or_b64 s[44:45], s[12:13], s[44:45]
	s_andn2_b64 s[12:13], s[38:39], exec
	s_and_b64 s[38:39], s[18:19], exec
	s_or_b64 s[38:39], s[12:13], s[38:39]
	s_andn2_b64 exec, exec, s[36:37]
	s_cbranch_execz .LBB1001_965
.LBB1001_970:                           ;   Parent Loop BB1001_967 Depth=1
                                        ; =>  This Inner Loop Header: Depth=2
	flat_load_ubyte v68, v[86:87]
	flat_load_ubyte v83, v[84:85]
	s_andn2_b64 s[46:47], s[18:19], exec
	s_andn2_b64 s[42:43], s[42:43], exec
	s_or_b64 s[40:41], s[40:41], exec
	s_waitcnt vmcnt(0) lgkmcnt(0)
	v_cmp_eq_u16_e64 s[12:13], 0, v68
	v_cmp_ne_u16_e64 s[18:19], 0, v83
	s_or_b64 s[50:51], s[12:13], s[18:19]
	s_and_b64 s[48:49], s[12:13], s[18:19]
	s_xor_b64 s[12:13], s[12:13], s[18:19]
	s_and_b64 s[18:19], s[50:51], s[44:45]
	s_or_b64 s[48:49], s[48:49], s[18:19]
	s_and_b64 s[18:19], s[48:49], exec
	s_or_b64 s[18:19], s[46:47], s[18:19]
	s_and_saveexec_b64 s[46:47], s[12:13]
	s_cbranch_execz .LBB1001_969
; %bb.971:                              ;   in Loop: Header=BB1001_970 Depth=2
	v_lshl_add_u64 v[96:97], v[96:97], 0, -1
	v_cmp_eq_u64_e64 s[12:13], 0, v[96:97]
	s_andn2_b64 s[42:43], s[42:43], exec
	s_and_b64 s[44:45], s[48:49], exec
	s_andn2_b64 s[40:41], s[40:41], exec
	s_and_b64 s[12:13], s[12:13], exec
	v_lshl_add_u64 v[84:85], v[84:85], 0, 1
	v_lshl_add_u64 v[86:87], v[86:87], 0, 1
	s_andn2_b64 s[18:19], s[18:19], exec
	s_or_b64 s[42:43], s[42:43], s[44:45]
	s_or_b64 s[40:41], s[40:41], s[12:13]
                                        ; implicit-def: $sgpr44_sgpr45
	s_branch .LBB1001_969
.LBB1001_972:
	s_or_b64 exec, exec, s[30:31]
.LBB1001_973:
	s_or_b64 exec, exec, s[28:29]
	v_add_u32_e32 v69, v98, v101
	v_add_u32_e32 v68, v102, v100
	v_sub_u32_e32 v70, v69, v102
	v_cmp_le_u32_e64 s[12:13], v68, v98
	v_cmp_le_u32_e64 s[18:19], v70, v99
	s_or_b64 s[12:13], s[12:13], s[18:19]
	s_and_saveexec_b64 s[28:29], s[12:13]
	s_cbranch_execz .LBB1001_1045
; %bb.974:
	v_cmp_ge_u32_e64 s[18:19], v68, v98
	v_cmp_lt_u32_e64 s[12:13], v68, v98
                                        ; implicit-def: $vgpr12_vgpr13
	s_and_saveexec_b64 s[30:31], s[12:13]
	s_cbranch_execz .LBB1001_976
; %bb.975:
	v_mov_b32_e32 v69, 0
	v_lshl_add_u64 v[12:13], v[68:69], 3, v[64:65]
	flat_load_dwordx2 v[12:13], v[12:13]
.LBB1001_976:
	s_or_b64 exec, exec, s[30:31]
	v_cmp_ge_u32_e64 s[30:31], v70, v99
	v_cmp_lt_u32_e64 s[12:13], v70, v99
                                        ; implicit-def: $vgpr14_vgpr15
	s_and_saveexec_b64 s[34:35], s[12:13]
	s_cbranch_execz .LBB1001_978
; %bb.977:
	v_mov_b32_e32 v71, 0
	v_lshl_add_u64 v[14:15], v[70:71], 3, v[64:65]
	flat_load_dwordx2 v[14:15], v[14:15]
.LBB1001_978:
	s_or_b64 exec, exec, s[34:35]
	s_or_b64 s[12:13], s[18:19], s[30:31]
	s_xor_b64 s[12:13], s[12:13], -1
	s_and_saveexec_b64 s[34:35], s[12:13]
	s_cbranch_execz .LBB1001_986
; %bb.979:
	s_mov_b64 s[12:13], 0
	s_and_saveexec_b64 s[36:37], s[16:17]
	s_cbranch_execz .LBB1001_985
; %bb.980:
	s_waitcnt vmcnt(0) lgkmcnt(0)
	v_mad_u64_u32 v[16:17], s[12:13], v12, v6, v[8:9]
	v_mul_lo_u32 v18, v12, v7
	v_mul_lo_u32 v19, v13, v6
	v_add3_u32 v17, v19, v17, v18
	v_mad_u64_u32 v[18:19], s[12:13], v14, v6, v[8:9]
	v_mul_lo_u32 v20, v14, v7
	v_mul_lo_u32 v21, v15, v6
	v_add3_u32 v19, v21, v19, v20
	s_mov_b64 s[38:39], 0
	v_mov_b64_e32 v[20:21], v[6:7]
                                        ; implicit-def: $sgpr40_sgpr41
                                        ; implicit-def: $sgpr42_sgpr43
                                        ; implicit-def: $sgpr44_sgpr45
                                        ; implicit-def: $sgpr18_sgpr19
                                        ; implicit-def: $sgpr46_sgpr47
	s_branch .LBB1001_982
.LBB1001_981:                           ;   in Loop: Header=BB1001_982 Depth=1
	s_or_b64 exec, exec, s[48:49]
	s_and_b64 s[12:13], exec, s[42:43]
	s_or_b64 s[38:39], s[12:13], s[38:39]
	s_andn2_b64 s[12:13], s[46:47], exec
	s_and_b64 s[46:47], s[44:45], exec
	s_or_b64 s[46:47], s[12:13], s[46:47]
	s_andn2_b64 s[12:13], s[40:41], exec
	s_and_b64 s[40:41], s[18:19], exec
	s_or_b64 s[40:41], s[12:13], s[40:41]
	s_andn2_b64 exec, exec, s[38:39]
	s_cbranch_execz .LBB1001_984
.LBB1001_982:                           ; =>This Inner Loop Header: Depth=1
	flat_load_ubyte v22, v[18:19]
	flat_load_ubyte v23, v[16:17]
	s_andn2_b64 s[48:49], s[18:19], exec
	s_andn2_b64 s[44:45], s[44:45], exec
	s_or_b64 s[42:43], s[42:43], exec
	s_waitcnt vmcnt(0) lgkmcnt(0)
	v_cmp_eq_u16_e64 s[12:13], 0, v22
	v_cmp_ne_u16_e64 s[18:19], 0, v23
	s_or_b64 s[52:53], s[12:13], s[18:19]
	s_and_b64 s[50:51], s[12:13], s[18:19]
	s_xor_b64 s[12:13], s[12:13], s[18:19]
	s_and_b64 s[18:19], s[52:53], s[46:47]
	s_or_b64 s[50:51], s[50:51], s[18:19]
	s_and_b64 s[18:19], s[50:51], exec
	s_or_b64 s[18:19], s[48:49], s[18:19]
	s_and_saveexec_b64 s[48:49], s[12:13]
	s_cbranch_execz .LBB1001_981
; %bb.983:                              ;   in Loop: Header=BB1001_982 Depth=1
	v_lshl_add_u64 v[20:21], v[20:21], 0, -1
	v_cmp_eq_u64_e64 s[12:13], 0, v[20:21]
	s_andn2_b64 s[44:45], s[44:45], exec
	s_and_b64 s[46:47], s[50:51], exec
	s_andn2_b64 s[42:43], s[42:43], exec
	s_and_b64 s[12:13], s[12:13], exec
	v_lshl_add_u64 v[16:17], v[16:17], 0, 1
	v_lshl_add_u64 v[18:19], v[18:19], 0, 1
	s_andn2_b64 s[18:19], s[18:19], exec
	s_or_b64 s[44:45], s[44:45], s[46:47]
	s_or_b64 s[42:43], s[42:43], s[12:13]
                                        ; implicit-def: $sgpr46_sgpr47
	s_branch .LBB1001_981
.LBB1001_984:
	s_or_b64 exec, exec, s[38:39]
	s_and_b64 s[12:13], s[40:41], exec
.LBB1001_985:
	s_or_b64 exec, exec, s[36:37]
	s_xor_b64 s[12:13], s[12:13], -1
	s_andn2_b64 s[18:19], s[30:31], exec
	s_and_b64 s[12:13], s[12:13], exec
	s_or_b64 s[30:31], s[18:19], s[12:13]
.LBB1001_986:
	s_or_b64 exec, exec, s[34:35]
	v_cndmask_b32_e64 v16, v70, v68, s[30:31]
	v_cndmask_b32_e64 v17, v99, v98, s[30:31]
	v_add_u32_e32 v20, 1, v16
	v_add_u32_e32 v16, -1, v17
	v_min_u32_e32 v16, v20, v16
	v_mov_b32_e32 v17, 0
	v_lshl_add_u64 v[18:19], v[16:17], 3, v[64:65]
	flat_load_dwordx2 v[18:19], v[18:19]
	v_cndmask_b32_e64 v27, v20, v70, s[30:31]
	s_mov_b64 s[34:35], -1
	v_cndmask_b32_e64 v68, v68, v20, s[30:31]
	v_cmp_lt_u32_e64 s[12:13], v27, v99
	s_mov_b64 s[36:37], -1
	s_waitcnt vmcnt(0) lgkmcnt(0)
	v_cndmask_b32_e64 v24, v19, v15, s[30:31]
	v_cndmask_b32_e64 v25, v18, v14, s[30:31]
	;; [unrolled: 1-line block ×4, first 2 shown]
	s_and_saveexec_b64 s[38:39], s[12:13]
	s_cbranch_execz .LBB1001_996
; %bb.987:
	v_cmp_lt_u32_e64 s[12:13], v68, v98
	s_mov_b64 s[18:19], 0
	s_and_saveexec_b64 s[36:37], s[12:13]
	s_cbranch_execz .LBB1001_995
; %bb.988:
	s_mov_b64 s[12:13], 0
	s_and_saveexec_b64 s[40:41], s[16:17]
	s_cbranch_execz .LBB1001_994
; %bb.989:
	v_mad_u64_u32 v[18:19], s[12:13], v70, v6, v[8:9]
	v_mul_lo_u32 v16, v70, v7
	v_mul_lo_u32 v20, v26, v6
	v_add3_u32 v19, v20, v19, v16
	v_mad_u64_u32 v[20:21], s[12:13], v25, v6, v[8:9]
	v_mul_lo_u32 v16, v25, v7
	v_mul_lo_u32 v22, v24, v6
	v_add3_u32 v21, v22, v21, v16
	s_mov_b64 s[42:43], 0
	v_mov_b64_e32 v[22:23], v[6:7]
                                        ; implicit-def: $sgpr44_sgpr45
                                        ; implicit-def: $sgpr46_sgpr47
                                        ; implicit-def: $sgpr48_sgpr49
                                        ; implicit-def: $sgpr18_sgpr19
                                        ; implicit-def: $sgpr50_sgpr51
	s_branch .LBB1001_991
.LBB1001_990:                           ;   in Loop: Header=BB1001_991 Depth=1
	s_or_b64 exec, exec, s[52:53]
	s_and_b64 s[12:13], exec, s[46:47]
	s_or_b64 s[42:43], s[12:13], s[42:43]
	s_andn2_b64 s[12:13], s[50:51], exec
	s_and_b64 s[50:51], s[48:49], exec
	s_or_b64 s[50:51], s[12:13], s[50:51]
	s_andn2_b64 s[12:13], s[44:45], exec
	s_and_b64 s[44:45], s[18:19], exec
	s_or_b64 s[44:45], s[12:13], s[44:45]
	s_andn2_b64 exec, exec, s[42:43]
	s_cbranch_execz .LBB1001_993
.LBB1001_991:                           ; =>This Inner Loop Header: Depth=1
	flat_load_ubyte v16, v[20:21]
	flat_load_ubyte v69, v[18:19]
	s_andn2_b64 s[52:53], s[18:19], exec
	s_andn2_b64 s[48:49], s[48:49], exec
	s_or_b64 s[46:47], s[46:47], exec
	s_waitcnt vmcnt(0) lgkmcnt(0)
	v_cmp_eq_u16_e64 s[12:13], 0, v16
	v_cmp_ne_u16_e64 s[18:19], 0, v69
	s_or_b64 s[56:57], s[12:13], s[18:19]
	s_and_b64 s[54:55], s[12:13], s[18:19]
	s_xor_b64 s[12:13], s[12:13], s[18:19]
	s_and_b64 s[18:19], s[56:57], s[50:51]
	s_or_b64 s[54:55], s[54:55], s[18:19]
	s_and_b64 s[18:19], s[54:55], exec
	s_or_b64 s[18:19], s[52:53], s[18:19]
	s_and_saveexec_b64 s[52:53], s[12:13]
	s_cbranch_execz .LBB1001_990
; %bb.992:                              ;   in Loop: Header=BB1001_991 Depth=1
	v_lshl_add_u64 v[22:23], v[22:23], 0, -1
	v_cmp_eq_u64_e64 s[12:13], 0, v[22:23]
	s_andn2_b64 s[48:49], s[48:49], exec
	s_and_b64 s[50:51], s[54:55], exec
	s_andn2_b64 s[46:47], s[46:47], exec
	s_and_b64 s[12:13], s[12:13], exec
	v_lshl_add_u64 v[18:19], v[18:19], 0, 1
	v_lshl_add_u64 v[20:21], v[20:21], 0, 1
	s_andn2_b64 s[18:19], s[18:19], exec
	s_or_b64 s[48:49], s[48:49], s[50:51]
	s_or_b64 s[46:47], s[46:47], s[12:13]
                                        ; implicit-def: $sgpr50_sgpr51
	s_branch .LBB1001_990
.LBB1001_993:
	s_or_b64 exec, exec, s[42:43]
	s_and_b64 s[12:13], s[44:45], exec
.LBB1001_994:
	s_or_b64 exec, exec, s[40:41]
	s_xor_b64 s[12:13], s[12:13], -1
	s_and_b64 s[18:19], s[12:13], exec
.LBB1001_995:
	s_or_b64 exec, exec, s[36:37]
	s_orn2_b64 s[36:37], s[18:19], exec
.LBB1001_996:
	s_or_b64 exec, exec, s[38:39]
	v_cndmask_b32_e64 v16, v27, v68, s[36:37]
	v_cndmask_b32_e64 v18, v99, v98, s[36:37]
	v_add_u32_e32 v19, 1, v16
	v_add_u32_e32 v16, -1, v18
	v_min_u32_e32 v16, v19, v16
	v_lshl_add_u64 v[16:17], v[16:17], 3, v[64:65]
	flat_load_dwordx2 v[16:17], v[16:17]
	v_cndmask_b32_e64 v22, v19, v27, s[36:37]
	v_cndmask_b32_e64 v23, v68, v19, s[36:37]
	v_cmp_lt_u32_e64 s[12:13], v22, v99
	s_waitcnt vmcnt(0) lgkmcnt(0)
	v_cndmask_b32_e64 v27, v17, v24, s[36:37]
	v_cndmask_b32_e64 v71, v16, v25, s[36:37]
	;; [unrolled: 1-line block ×4, first 2 shown]
	s_and_saveexec_b64 s[38:39], s[12:13]
	s_cbranch_execz .LBB1001_1004
; %bb.997:
	v_cmp_lt_u32_e64 s[34:35], v23, v98
	s_and_b64 s[12:13], s[34:35], s[26:27]
	s_and_saveexec_b64 s[40:41], s[12:13]
	s_cbranch_execz .LBB1001_1003
; %bb.998:
	v_mad_u64_u32 v[16:17], s[12:13], v81, v6, v[8:9]
	v_mul_lo_u32 v18, v81, v7
	v_mul_lo_u32 v19, v80, v6
	v_add3_u32 v17, v19, v17, v18
	v_mad_u64_u32 v[18:19], s[12:13], v71, v6, v[8:9]
	v_mul_lo_u32 v20, v71, v7
	v_mul_lo_u32 v21, v27, v6
	v_add3_u32 v19, v21, v19, v20
	s_mov_b64 s[42:43], 0
	v_mov_b64_e32 v[20:21], v[6:7]
                                        ; implicit-def: $sgpr44_sgpr45
                                        ; implicit-def: $sgpr46_sgpr47
                                        ; implicit-def: $sgpr18_sgpr19
                                        ; implicit-def: $sgpr48_sgpr49
                                        ; implicit-def: $sgpr50_sgpr51
	s_branch .LBB1001_1000
.LBB1001_999:                           ;   in Loop: Header=BB1001_1000 Depth=1
	s_or_b64 exec, exec, s[52:53]
	s_and_b64 s[12:13], exec, s[46:47]
	s_or_b64 s[42:43], s[12:13], s[42:43]
	s_andn2_b64 s[12:13], s[50:51], exec
	s_and_b64 s[50:51], s[48:49], exec
	s_or_b64 s[50:51], s[12:13], s[50:51]
	s_andn2_b64 s[12:13], s[44:45], exec
	s_and_b64 s[44:45], s[18:19], exec
	s_or_b64 s[44:45], s[12:13], s[44:45]
	s_andn2_b64 exec, exec, s[42:43]
	s_cbranch_execz .LBB1001_1002
.LBB1001_1000:                          ; =>This Inner Loop Header: Depth=1
	flat_load_ubyte v68, v[18:19]
	flat_load_ubyte v69, v[16:17]
	s_andn2_b64 s[52:53], s[18:19], exec
	s_andn2_b64 s[48:49], s[48:49], exec
	s_or_b64 s[46:47], s[46:47], exec
	s_waitcnt vmcnt(0) lgkmcnt(0)
	v_cmp_eq_u16_e64 s[12:13], 0, v68
	v_cmp_ne_u16_e64 s[18:19], 0, v69
	s_or_b64 s[56:57], s[12:13], s[18:19]
	s_and_b64 s[54:55], s[12:13], s[18:19]
	s_xor_b64 s[12:13], s[12:13], s[18:19]
	s_and_b64 s[18:19], s[56:57], s[50:51]
	s_or_b64 s[54:55], s[54:55], s[18:19]
	s_and_b64 s[18:19], s[54:55], exec
	s_or_b64 s[18:19], s[52:53], s[18:19]
	s_and_saveexec_b64 s[52:53], s[12:13]
	s_cbranch_execz .LBB1001_999
; %bb.1001:                             ;   in Loop: Header=BB1001_1000 Depth=1
	v_lshl_add_u64 v[20:21], v[20:21], 0, -1
	v_cmp_eq_u64_e64 s[12:13], 0, v[20:21]
	s_andn2_b64 s[48:49], s[48:49], exec
	s_and_b64 s[50:51], s[54:55], exec
	s_andn2_b64 s[46:47], s[46:47], exec
	s_and_b64 s[12:13], s[12:13], exec
	v_lshl_add_u64 v[16:17], v[16:17], 0, 1
	v_lshl_add_u64 v[18:19], v[18:19], 0, 1
	s_or_b64 s[48:49], s[48:49], s[50:51]
	s_andn2_b64 s[18:19], s[18:19], exec
	s_or_b64 s[46:47], s[46:47], s[12:13]
                                        ; implicit-def: $sgpr50_sgpr51
	s_branch .LBB1001_999
.LBB1001_1002:
	s_or_b64 exec, exec, s[42:43]
	s_xor_b64 s[12:13], s[44:45], -1
	s_andn2_b64 s[18:19], s[34:35], exec
	s_and_b64 s[12:13], s[12:13], exec
	s_or_b64 s[34:35], s[18:19], s[12:13]
.LBB1001_1003:
	s_or_b64 exec, exec, s[40:41]
	s_orn2_b64 s[34:35], s[34:35], exec
.LBB1001_1004:
	s_or_b64 exec, exec, s[38:39]
	v_cndmask_b32_e64 v16, v22, v23, s[34:35]
	v_cndmask_b32_e64 v17, v99, v98, s[34:35]
	v_add_u32_e32 v20, 1, v16
	v_add_u32_e32 v16, -1, v17
	v_min_u32_e32 v16, v20, v16
	v_mov_b32_e32 v17, 0
	v_lshl_add_u64 v[18:19], v[16:17], 3, v[64:65]
	flat_load_dwordx2 v[18:19], v[18:19]
	v_cndmask_b32_e64 v68, v20, v22, s[34:35]
	s_mov_b64 s[38:39], -1
	v_cndmask_b32_e64 v69, v23, v20, s[34:35]
	v_cmp_lt_u32_e64 s[12:13], v68, v99
	s_mov_b64 s[40:41], -1
	s_waitcnt vmcnt(0) lgkmcnt(0)
	v_cndmask_b32_e64 v82, v19, v27, s[34:35]
	v_cndmask_b32_e64 v83, v18, v71, s[34:35]
	;; [unrolled: 1-line block ×4, first 2 shown]
	s_and_saveexec_b64 s[42:43], s[12:13]
	s_cbranch_execz .LBB1001_1012
; %bb.1005:
	v_cmp_lt_u32_e64 s[40:41], v69, v98
	s_and_b64 s[12:13], s[40:41], s[26:27]
	s_and_saveexec_b64 s[44:45], s[12:13]
	s_cbranch_execz .LBB1001_1011
; %bb.1006:
	v_mad_u64_u32 v[18:19], s[12:13], v85, v6, v[8:9]
	v_mul_lo_u32 v16, v85, v7
	v_mul_lo_u32 v20, v84, v6
	v_add3_u32 v19, v20, v19, v16
	v_mad_u64_u32 v[20:21], s[12:13], v83, v6, v[8:9]
	v_mul_lo_u32 v16, v83, v7
	v_mul_lo_u32 v22, v82, v6
	v_add3_u32 v21, v22, v21, v16
	s_mov_b64 s[46:47], 0
	v_mov_b64_e32 v[22:23], v[6:7]
                                        ; implicit-def: $sgpr48_sgpr49
                                        ; implicit-def: $sgpr50_sgpr51
                                        ; implicit-def: $sgpr18_sgpr19
                                        ; implicit-def: $sgpr52_sgpr53
                                        ; implicit-def: $sgpr54_sgpr55
	s_branch .LBB1001_1008
.LBB1001_1007:                          ;   in Loop: Header=BB1001_1008 Depth=1
	s_or_b64 exec, exec, s[56:57]
	s_and_b64 s[12:13], exec, s[50:51]
	s_or_b64 s[46:47], s[12:13], s[46:47]
	s_andn2_b64 s[12:13], s[54:55], exec
	s_and_b64 s[54:55], s[52:53], exec
	s_or_b64 s[54:55], s[12:13], s[54:55]
	s_andn2_b64 s[12:13], s[48:49], exec
	s_and_b64 s[48:49], s[18:19], exec
	s_or_b64 s[48:49], s[12:13], s[48:49]
	s_andn2_b64 exec, exec, s[46:47]
	s_cbranch_execz .LBB1001_1010
.LBB1001_1008:                          ; =>This Inner Loop Header: Depth=1
	flat_load_ubyte v16, v[20:21]
	flat_load_ubyte v86, v[18:19]
	s_andn2_b64 s[56:57], s[18:19], exec
	s_andn2_b64 s[52:53], s[52:53], exec
	s_or_b64 s[50:51], s[50:51], exec
	s_waitcnt vmcnt(0) lgkmcnt(0)
	v_cmp_eq_u16_e64 s[12:13], 0, v16
	v_cmp_ne_u16_e64 s[18:19], 0, v86
	s_or_b64 s[60:61], s[12:13], s[18:19]
	s_and_b64 s[58:59], s[12:13], s[18:19]
	s_xor_b64 s[12:13], s[12:13], s[18:19]
	s_and_b64 s[18:19], s[60:61], s[54:55]
	s_or_b64 s[58:59], s[58:59], s[18:19]
	s_and_b64 s[18:19], s[58:59], exec
	s_or_b64 s[18:19], s[56:57], s[18:19]
	s_and_saveexec_b64 s[56:57], s[12:13]
	s_cbranch_execz .LBB1001_1007
; %bb.1009:                             ;   in Loop: Header=BB1001_1008 Depth=1
	v_lshl_add_u64 v[22:23], v[22:23], 0, -1
	v_cmp_eq_u64_e64 s[12:13], 0, v[22:23]
	s_andn2_b64 s[52:53], s[52:53], exec
	s_and_b64 s[54:55], s[58:59], exec
	s_andn2_b64 s[50:51], s[50:51], exec
	s_and_b64 s[12:13], s[12:13], exec
	v_lshl_add_u64 v[18:19], v[18:19], 0, 1
	v_lshl_add_u64 v[20:21], v[20:21], 0, 1
	s_or_b64 s[52:53], s[52:53], s[54:55]
	s_andn2_b64 s[18:19], s[18:19], exec
	s_or_b64 s[50:51], s[50:51], s[12:13]
                                        ; implicit-def: $sgpr54_sgpr55
	s_branch .LBB1001_1007
.LBB1001_1010:
	s_or_b64 exec, exec, s[46:47]
	s_xor_b64 s[12:13], s[48:49], -1
	s_andn2_b64 s[18:19], s[40:41], exec
	s_and_b64 s[12:13], s[12:13], exec
	s_or_b64 s[40:41], s[18:19], s[12:13]
.LBB1001_1011:
	s_or_b64 exec, exec, s[44:45]
	s_orn2_b64 s[40:41], s[40:41], exec
.LBB1001_1012:
	s_or_b64 exec, exec, s[42:43]
	v_cndmask_b32_e64 v16, v68, v69, s[40:41]
	v_cndmask_b32_e64 v18, v99, v98, s[40:41]
	v_add_u32_e32 v19, 1, v16
	v_add_u32_e32 v16, -1, v18
	v_min_u32_e32 v16, v19, v16
	v_lshl_add_u64 v[16:17], v[16:17], 3, v[64:65]
	flat_load_dwordx2 v[16:17], v[16:17]
	v_cndmask_b32_e64 v22, v19, v68, s[40:41]
	v_cndmask_b32_e64 v23, v69, v19, s[40:41]
	v_cmp_lt_u32_e64 s[12:13], v22, v99
	s_waitcnt vmcnt(0) lgkmcnt(0)
	v_cndmask_b32_e64 v86, v17, v82, s[40:41]
	v_cndmask_b32_e64 v87, v16, v83, s[40:41]
	;; [unrolled: 1-line block ×4, first 2 shown]
	s_and_saveexec_b64 s[42:43], s[12:13]
	s_cbranch_execz .LBB1001_1020
; %bb.1013:
	v_cmp_lt_u32_e64 s[38:39], v23, v98
	s_and_b64 s[12:13], s[38:39], s[26:27]
	s_and_saveexec_b64 s[44:45], s[12:13]
	s_cbranch_execz .LBB1001_1019
; %bb.1014:
	v_mad_u64_u32 v[16:17], s[12:13], v97, v6, v[8:9]
	v_mul_lo_u32 v18, v97, v7
	v_mul_lo_u32 v19, v96, v6
	v_add3_u32 v17, v19, v17, v18
	v_mad_u64_u32 v[18:19], s[12:13], v87, v6, v[8:9]
	v_mul_lo_u32 v20, v87, v7
	v_mul_lo_u32 v21, v86, v6
	v_add3_u32 v19, v21, v19, v20
	s_mov_b64 s[46:47], 0
	v_mov_b64_e32 v[20:21], v[6:7]
                                        ; implicit-def: $sgpr48_sgpr49
                                        ; implicit-def: $sgpr50_sgpr51
                                        ; implicit-def: $sgpr18_sgpr19
                                        ; implicit-def: $sgpr52_sgpr53
                                        ; implicit-def: $sgpr54_sgpr55
	s_branch .LBB1001_1016
.LBB1001_1015:                          ;   in Loop: Header=BB1001_1016 Depth=1
	s_or_b64 exec, exec, s[56:57]
	s_and_b64 s[12:13], exec, s[50:51]
	s_or_b64 s[46:47], s[12:13], s[46:47]
	s_andn2_b64 s[12:13], s[54:55], exec
	s_and_b64 s[54:55], s[52:53], exec
	s_or_b64 s[54:55], s[12:13], s[54:55]
	s_andn2_b64 s[12:13], s[48:49], exec
	s_and_b64 s[48:49], s[18:19], exec
	s_or_b64 s[48:49], s[12:13], s[48:49]
	s_andn2_b64 exec, exec, s[46:47]
	s_cbranch_execz .LBB1001_1018
.LBB1001_1016:                          ; =>This Inner Loop Header: Depth=1
	flat_load_ubyte v68, v[18:19]
	flat_load_ubyte v69, v[16:17]
	s_andn2_b64 s[56:57], s[18:19], exec
	s_andn2_b64 s[52:53], s[52:53], exec
	s_or_b64 s[50:51], s[50:51], exec
	s_waitcnt vmcnt(0) lgkmcnt(0)
	v_cmp_eq_u16_e64 s[12:13], 0, v68
	v_cmp_ne_u16_e64 s[18:19], 0, v69
	s_or_b64 s[60:61], s[12:13], s[18:19]
	s_and_b64 s[58:59], s[12:13], s[18:19]
	s_xor_b64 s[12:13], s[12:13], s[18:19]
	s_and_b64 s[18:19], s[60:61], s[54:55]
	s_or_b64 s[58:59], s[58:59], s[18:19]
	s_and_b64 s[18:19], s[58:59], exec
	s_or_b64 s[18:19], s[56:57], s[18:19]
	s_and_saveexec_b64 s[56:57], s[12:13]
	s_cbranch_execz .LBB1001_1015
; %bb.1017:                             ;   in Loop: Header=BB1001_1016 Depth=1
	v_lshl_add_u64 v[20:21], v[20:21], 0, -1
	v_cmp_eq_u64_e64 s[12:13], 0, v[20:21]
	s_andn2_b64 s[52:53], s[52:53], exec
	s_and_b64 s[54:55], s[58:59], exec
	s_andn2_b64 s[50:51], s[50:51], exec
	s_and_b64 s[12:13], s[12:13], exec
	v_lshl_add_u64 v[16:17], v[16:17], 0, 1
	v_lshl_add_u64 v[18:19], v[18:19], 0, 1
	s_or_b64 s[52:53], s[52:53], s[54:55]
	s_andn2_b64 s[18:19], s[18:19], exec
	s_or_b64 s[50:51], s[50:51], s[12:13]
                                        ; implicit-def: $sgpr54_sgpr55
	s_branch .LBB1001_1015
.LBB1001_1018:
	s_or_b64 exec, exec, s[46:47]
	s_xor_b64 s[12:13], s[48:49], -1
	s_andn2_b64 s[18:19], s[38:39], exec
	s_and_b64 s[12:13], s[12:13], exec
	s_or_b64 s[38:39], s[18:19], s[12:13]
.LBB1001_1019:
	s_or_b64 exec, exec, s[44:45]
	s_orn2_b64 s[38:39], s[38:39], exec
.LBB1001_1020:
	s_or_b64 exec, exec, s[42:43]
	v_cndmask_b32_e64 v16, v22, v23, s[38:39]
	v_cndmask_b32_e64 v17, v99, v98, s[38:39]
	v_add_u32_e32 v20, 1, v16
	v_add_u32_e32 v16, -1, v17
	v_min_u32_e32 v16, v20, v16
	v_mov_b32_e32 v17, 0
	v_lshl_add_u64 v[18:19], v[16:17], 3, v[64:65]
	flat_load_dwordx2 v[18:19], v[18:19]
	v_cndmask_b32_e64 v68, v20, v22, s[38:39]
	s_mov_b64 s[42:43], -1
	v_cndmask_b32_e64 v69, v23, v20, s[38:39]
	v_cmp_lt_u32_e64 s[12:13], v68, v99
	s_mov_b64 s[44:45], -1
	s_waitcnt vmcnt(0) lgkmcnt(0)
	v_cndmask_b32_e64 v100, v19, v86, s[38:39]
	v_cndmask_b32_e64 v101, v18, v87, s[38:39]
	;; [unrolled: 1-line block ×4, first 2 shown]
	s_and_saveexec_b64 s[46:47], s[12:13]
	s_cbranch_execz .LBB1001_1028
; %bb.1021:
	v_cmp_lt_u32_e64 s[44:45], v69, v98
	s_and_b64 s[12:13], s[44:45], s[26:27]
	s_and_saveexec_b64 s[48:49], s[12:13]
	s_cbranch_execz .LBB1001_1027
; %bb.1022:
	v_mad_u64_u32 v[18:19], s[12:13], v103, v6, v[8:9]
	v_mul_lo_u32 v16, v103, v7
	v_mul_lo_u32 v20, v102, v6
	v_add3_u32 v19, v20, v19, v16
	v_mad_u64_u32 v[20:21], s[12:13], v101, v6, v[8:9]
	v_mul_lo_u32 v16, v101, v7
	v_mul_lo_u32 v22, v100, v6
	v_add3_u32 v21, v22, v21, v16
	s_mov_b64 s[50:51], 0
	v_mov_b64_e32 v[22:23], v[6:7]
                                        ; implicit-def: $sgpr52_sgpr53
                                        ; implicit-def: $sgpr54_sgpr55
                                        ; implicit-def: $sgpr18_sgpr19
                                        ; implicit-def: $sgpr56_sgpr57
                                        ; implicit-def: $sgpr58_sgpr59
	s_branch .LBB1001_1024
.LBB1001_1023:                          ;   in Loop: Header=BB1001_1024 Depth=1
	s_or_b64 exec, exec, s[60:61]
	s_and_b64 s[12:13], exec, s[54:55]
	s_or_b64 s[50:51], s[12:13], s[50:51]
	s_andn2_b64 s[12:13], s[58:59], exec
	s_and_b64 s[58:59], s[56:57], exec
	s_or_b64 s[58:59], s[12:13], s[58:59]
	s_andn2_b64 s[12:13], s[52:53], exec
	s_and_b64 s[52:53], s[18:19], exec
	s_or_b64 s[52:53], s[12:13], s[52:53]
	s_andn2_b64 exec, exec, s[50:51]
	s_cbranch_execz .LBB1001_1026
.LBB1001_1024:                          ; =>This Inner Loop Header: Depth=1
	flat_load_ubyte v16, v[20:21]
	flat_load_ubyte v112, v[18:19]
	s_andn2_b64 s[60:61], s[18:19], exec
	s_andn2_b64 s[56:57], s[56:57], exec
	s_or_b64 s[54:55], s[54:55], exec
	s_waitcnt vmcnt(0) lgkmcnt(0)
	v_cmp_eq_u16_e64 s[12:13], 0, v16
	v_cmp_ne_u16_e64 s[18:19], 0, v112
	s_or_b64 s[64:65], s[12:13], s[18:19]
	s_and_b64 s[62:63], s[12:13], s[18:19]
	s_xor_b64 s[12:13], s[12:13], s[18:19]
	s_and_b64 s[18:19], s[64:65], s[58:59]
	s_or_b64 s[62:63], s[62:63], s[18:19]
	s_and_b64 s[18:19], s[62:63], exec
	s_or_b64 s[18:19], s[60:61], s[18:19]
	s_and_saveexec_b64 s[60:61], s[12:13]
	s_cbranch_execz .LBB1001_1023
; %bb.1025:                             ;   in Loop: Header=BB1001_1024 Depth=1
	v_lshl_add_u64 v[22:23], v[22:23], 0, -1
	v_cmp_eq_u64_e64 s[12:13], 0, v[22:23]
	s_andn2_b64 s[56:57], s[56:57], exec
	s_and_b64 s[58:59], s[62:63], exec
	s_andn2_b64 s[54:55], s[54:55], exec
	s_and_b64 s[12:13], s[12:13], exec
	v_lshl_add_u64 v[18:19], v[18:19], 0, 1
	v_lshl_add_u64 v[20:21], v[20:21], 0, 1
	s_or_b64 s[56:57], s[56:57], s[58:59]
	s_andn2_b64 s[18:19], s[18:19], exec
	s_or_b64 s[54:55], s[54:55], s[12:13]
                                        ; implicit-def: $sgpr58_sgpr59
	s_branch .LBB1001_1023
.LBB1001_1026:
	s_or_b64 exec, exec, s[50:51]
	s_xor_b64 s[12:13], s[52:53], -1
	s_andn2_b64 s[18:19], s[44:45], exec
	s_and_b64 s[12:13], s[12:13], exec
	s_or_b64 s[44:45], s[18:19], s[12:13]
.LBB1001_1027:
	s_or_b64 exec, exec, s[48:49]
	s_orn2_b64 s[44:45], s[44:45], exec
.LBB1001_1028:
	s_or_b64 exec, exec, s[46:47]
	v_cndmask_b32_e64 v16, v68, v69, s[44:45]
	v_cndmask_b32_e64 v18, v99, v98, s[44:45]
	v_add_u32_e32 v19, 1, v16
	v_add_u32_e32 v16, -1, v18
	v_min_u32_e32 v16, v19, v16
	v_lshl_add_u64 v[16:17], v[16:17], 3, v[64:65]
	flat_load_dwordx2 v[16:17], v[16:17]
	v_cndmask_b32_e64 v115, v19, v68, s[44:45]
	v_cndmask_b32_e64 v112, v69, v19, s[44:45]
	v_cmp_lt_u32_e64 s[12:13], v115, v99
	s_waitcnt vmcnt(0) lgkmcnt(0)
	v_cndmask_b32_e64 v113, v17, v100, s[44:45]
	v_cndmask_b32_e64 v114, v16, v101, s[44:45]
	;; [unrolled: 1-line block ×4, first 2 shown]
	s_and_saveexec_b64 s[46:47], s[12:13]
	s_cbranch_execz .LBB1001_1036
; %bb.1029:
	v_cmp_lt_u32_e64 s[42:43], v112, v98
	s_and_b64 s[12:13], s[42:43], s[26:27]
	s_and_saveexec_b64 s[48:49], s[12:13]
	s_cbranch_execz .LBB1001_1035
; %bb.1030:
	v_mad_u64_u32 v[16:17], s[12:13], v117, v6, v[8:9]
	v_mul_lo_u32 v18, v117, v7
	v_mul_lo_u32 v19, v116, v6
	v_add3_u32 v17, v19, v17, v18
	v_mad_u64_u32 v[18:19], s[12:13], v114, v6, v[8:9]
	v_mul_lo_u32 v20, v114, v7
	v_mul_lo_u32 v21, v113, v6
	v_add3_u32 v19, v21, v19, v20
	s_mov_b64 s[50:51], 0
	v_mov_b64_e32 v[20:21], v[6:7]
                                        ; implicit-def: $sgpr52_sgpr53
                                        ; implicit-def: $sgpr54_sgpr55
                                        ; implicit-def: $sgpr18_sgpr19
                                        ; implicit-def: $sgpr56_sgpr57
                                        ; implicit-def: $sgpr58_sgpr59
	s_branch .LBB1001_1032
.LBB1001_1031:                          ;   in Loop: Header=BB1001_1032 Depth=1
	s_or_b64 exec, exec, s[60:61]
	s_and_b64 s[12:13], exec, s[54:55]
	s_or_b64 s[50:51], s[12:13], s[50:51]
	s_andn2_b64 s[12:13], s[58:59], exec
	s_and_b64 s[58:59], s[56:57], exec
	s_or_b64 s[58:59], s[12:13], s[58:59]
	s_andn2_b64 s[12:13], s[52:53], exec
	s_and_b64 s[52:53], s[18:19], exec
	s_or_b64 s[52:53], s[12:13], s[52:53]
	s_andn2_b64 exec, exec, s[50:51]
	s_cbranch_execz .LBB1001_1034
.LBB1001_1032:                          ; =>This Inner Loop Header: Depth=1
	flat_load_ubyte v22, v[18:19]
	flat_load_ubyte v23, v[16:17]
	s_andn2_b64 s[60:61], s[18:19], exec
	s_andn2_b64 s[56:57], s[56:57], exec
	s_or_b64 s[54:55], s[54:55], exec
	s_waitcnt vmcnt(0) lgkmcnt(0)
	v_cmp_eq_u16_e64 s[12:13], 0, v22
	v_cmp_ne_u16_e64 s[18:19], 0, v23
	s_or_b64 s[64:65], s[12:13], s[18:19]
	s_and_b64 s[62:63], s[12:13], s[18:19]
	s_xor_b64 s[12:13], s[12:13], s[18:19]
	s_and_b64 s[18:19], s[64:65], s[58:59]
	s_or_b64 s[62:63], s[62:63], s[18:19]
	s_and_b64 s[18:19], s[62:63], exec
	s_or_b64 s[18:19], s[60:61], s[18:19]
	s_and_saveexec_b64 s[60:61], s[12:13]
	s_cbranch_execz .LBB1001_1031
; %bb.1033:                             ;   in Loop: Header=BB1001_1032 Depth=1
	v_lshl_add_u64 v[20:21], v[20:21], 0, -1
	v_cmp_eq_u64_e64 s[12:13], 0, v[20:21]
	s_andn2_b64 s[56:57], s[56:57], exec
	s_and_b64 s[58:59], s[62:63], exec
	s_andn2_b64 s[54:55], s[54:55], exec
	s_and_b64 s[12:13], s[12:13], exec
	v_lshl_add_u64 v[16:17], v[16:17], 0, 1
	v_lshl_add_u64 v[18:19], v[18:19], 0, 1
	s_or_b64 s[56:57], s[56:57], s[58:59]
	s_andn2_b64 s[18:19], s[18:19], exec
	s_or_b64 s[54:55], s[54:55], s[12:13]
                                        ; implicit-def: $sgpr58_sgpr59
	s_branch .LBB1001_1031
.LBB1001_1034:
	s_or_b64 exec, exec, s[50:51]
	s_xor_b64 s[12:13], s[52:53], -1
	s_andn2_b64 s[18:19], s[42:43], exec
	s_and_b64 s[12:13], s[12:13], exec
	s_or_b64 s[42:43], s[18:19], s[12:13]
.LBB1001_1035:
	s_or_b64 exec, exec, s[48:49]
	s_orn2_b64 s[42:43], s[42:43], exec
.LBB1001_1036:
	s_or_b64 exec, exec, s[46:47]
	v_cndmask_b32_e64 v16, v115, v112, s[42:43]
	v_cndmask_b32_e64 v17, v99, v98, s[42:43]
	v_add_u32_e32 v118, 1, v16
	v_add_u32_e32 v16, -1, v17
	v_min_u32_e32 v16, v118, v16
	v_mov_b32_e32 v17, 0
	v_lshl_add_u64 v[16:17], v[16:17], 3, v[64:65]
	flat_load_dwordx2 v[68:69], v[16:17]
	v_cndmask_b32_e64 v21, v27, v80, s[34:35]
	v_cndmask_b32_e64 v27, v24, v26, s[36:37]
	;; [unrolled: 1-line block ×15, first 2 shown]
	v_cmp_lt_u32_e64 s[12:13], v70, v99
	s_waitcnt vmcnt(0) lgkmcnt(0)
	v_cndmask_b32_e64 v15, v116, v69, s[42:43]
	v_cndmask_b32_e64 v14, v117, v68, s[42:43]
	s_and_saveexec_b64 s[30:31], s[12:13]
	s_cbranch_execz .LBB1001_1044
; %bb.1037:
	v_cndmask_b32_e64 v83, v68, v114, s[42:43]
	v_cndmask_b32_e64 v68, v112, v118, s[42:43]
	v_cmp_ge_u32_e64 s[12:13], v68, v98
	v_cndmask_b32_e64 v82, v69, v113, s[42:43]
	s_or_b64 s[18:19], s[12:13], s[8:9]
	v_cndmask_b32_e64 v69, v15, v82, s[12:13]
	s_xor_b64 s[18:19], s[18:19], -1
	v_cndmask_b32_e64 v68, v14, v83, s[12:13]
	s_and_saveexec_b64 s[34:35], s[18:19]
	s_cbranch_execz .LBB1001_1043
; %bb.1038:
	v_mad_u64_u32 v[68:69], s[12:13], v14, v6, v[8:9]
	v_mul_lo_u32 v70, v14, v7
	v_mul_lo_u32 v71, v15, v6
	v_add3_u32 v69, v71, v69, v70
	v_mad_u64_u32 v[70:71], s[12:13], v83, v6, v[8:9]
	v_mul_lo_u32 v80, v83, v7
	v_mul_lo_u32 v81, v82, v6
	v_add3_u32 v71, v81, v71, v80
	s_mov_b64 s[36:37], 0
	v_mov_b64_e32 v[80:81], v[6:7]
                                        ; implicit-def: $sgpr38_sgpr39
                                        ; implicit-def: $sgpr40_sgpr41
                                        ; implicit-def: $sgpr18_sgpr19
                                        ; implicit-def: $sgpr42_sgpr43
                                        ; implicit-def: $sgpr44_sgpr45
	s_branch .LBB1001_1040
.LBB1001_1039:                          ;   in Loop: Header=BB1001_1040 Depth=1
	s_or_b64 exec, exec, s[46:47]
	s_and_b64 s[12:13], exec, s[40:41]
	s_or_b64 s[36:37], s[12:13], s[36:37]
	s_andn2_b64 s[12:13], s[44:45], exec
	s_and_b64 s[44:45], s[42:43], exec
	s_or_b64 s[44:45], s[12:13], s[44:45]
	s_andn2_b64 s[12:13], s[38:39], exec
	s_and_b64 s[38:39], s[18:19], exec
	s_or_b64 s[38:39], s[12:13], s[38:39]
	s_andn2_b64 exec, exec, s[36:37]
	s_cbranch_execz .LBB1001_1042
.LBB1001_1040:                          ; =>This Inner Loop Header: Depth=1
	flat_load_ubyte v84, v[70:71]
	flat_load_ubyte v85, v[68:69]
	s_andn2_b64 s[46:47], s[18:19], exec
	s_andn2_b64 s[42:43], s[42:43], exec
	s_or_b64 s[40:41], s[40:41], exec
	s_waitcnt vmcnt(0) lgkmcnt(0)
	v_cmp_eq_u16_e64 s[12:13], 0, v84
	v_cmp_ne_u16_e64 s[18:19], 0, v85
	s_or_b64 s[50:51], s[12:13], s[18:19]
	s_and_b64 s[48:49], s[12:13], s[18:19]
	s_xor_b64 s[12:13], s[12:13], s[18:19]
	s_and_b64 s[18:19], s[50:51], s[44:45]
	s_or_b64 s[48:49], s[48:49], s[18:19]
	s_and_b64 s[18:19], s[48:49], exec
	s_or_b64 s[18:19], s[46:47], s[18:19]
	s_and_saveexec_b64 s[46:47], s[12:13]
	s_cbranch_execz .LBB1001_1039
; %bb.1041:                             ;   in Loop: Header=BB1001_1040 Depth=1
	v_lshl_add_u64 v[80:81], v[80:81], 0, -1
	v_cmp_eq_u64_e64 s[12:13], 0, v[80:81]
	s_andn2_b64 s[42:43], s[42:43], exec
	s_and_b64 s[44:45], s[48:49], exec
	s_andn2_b64 s[40:41], s[40:41], exec
	s_and_b64 s[12:13], s[12:13], exec
	v_lshl_add_u64 v[68:69], v[68:69], 0, 1
	v_lshl_add_u64 v[70:71], v[70:71], 0, 1
	s_or_b64 s[42:43], s[42:43], s[44:45]
	s_andn2_b64 s[18:19], s[18:19], exec
	s_or_b64 s[40:41], s[40:41], s[12:13]
                                        ; implicit-def: $sgpr44_sgpr45
	s_branch .LBB1001_1039
.LBB1001_1042:
	s_or_b64 exec, exec, s[36:37]
	v_cndmask_b32_e64 v69, v15, v82, s[38:39]
	v_cndmask_b32_e64 v68, v14, v83, s[38:39]
.LBB1001_1043:
	s_or_b64 exec, exec, s[34:35]
	v_mov_b64_e32 v[14:15], v[68:69]
.LBB1001_1044:
	s_or_b64 exec, exec, s[30:31]
.LBB1001_1045:
	s_or_b64 exec, exec, s[28:29]
	v_and_b32_e32 v100, 0x3c0, v31
	v_or_b32_e32 v68, 32, v100
	v_min_u32_e32 v98, v1, v68
	v_add_u32_e32 v68, 32, v98
	v_min_u32_e32 v99, v1, v68
	v_and_b32_e32 v68, 56, v31
	v_min_u32_e32 v101, v1, v68
	v_sub_u32_e32 v68, v98, v100
	v_sub_u32_e32 v69, v99, v98
	v_sub_u32_e64 v102, v101, v69 clamp
	v_min_u32_e32 v103, v101, v68
	v_cmp_lt_u32_e64 s[12:13], v102, v103
	; wave barrier
	flat_store_dwordx4 v[66:67], v[24:27]
	flat_store_dwordx4 v[66:67], v[20:23] offset:16
	flat_store_dwordx4 v[66:67], v[16:19] offset:32
	;; [unrolled: 1-line block ×3, first 2 shown]
	; wave barrier
	s_and_saveexec_b64 s[28:29], s[12:13]
	s_cbranch_execz .LBB1001_1055
; %bb.1046:
	v_lshlrev_b32_e32 v68, 3, v100
	v_mov_b32_e32 v69, 0
	v_lshl_add_u64 v[70:71], v[64:65], 0, v[68:69]
	v_lshlrev_b32_e32 v68, 3, v98
	v_lshl_add_u64 v[80:81], v[64:65], 0, v[68:69]
	s_mov_b64 s[30:31], 0
	s_branch .LBB1001_1049
.LBB1001_1047:                          ;   in Loop: Header=BB1001_1049 Depth=1
	s_or_b64 exec, exec, s[36:37]
	s_and_b64 s[12:13], s[38:39], exec
.LBB1001_1048:                          ;   in Loop: Header=BB1001_1049 Depth=1
	s_or_b64 exec, exec, s[34:35]
	v_add_u32_e32 v68, 1, v82
	v_cndmask_b32_e64 v103, v103, v82, s[12:13]
	v_cndmask_b32_e64 v102, v68, v102, s[12:13]
	v_cmp_ge_u32_e64 s[12:13], v102, v103
	s_or_b64 s[30:31], s[12:13], s[30:31]
	s_andn2_b64 exec, exec, s[30:31]
	s_cbranch_execz .LBB1001_1054
.LBB1001_1049:                          ; =>This Loop Header: Depth=1
                                        ;     Child Loop BB1001_1052 Depth 2
	v_add_u32_e32 v68, v103, v102
	v_lshrrev_b32_e32 v82, 1, v68
	s_mov_b64 s[12:13], 0
	s_and_saveexec_b64 s[34:35], s[16:17]
	s_cbranch_execz .LBB1001_1048
; %bb.1050:                             ;   in Loop: Header=BB1001_1049 Depth=1
	v_mov_b32_e32 v83, v69
	v_xad_u32 v68, v82, -1, v101
	v_lshl_add_u64 v[84:85], v[82:83], 3, v[70:71]
	v_lshl_add_u64 v[86:87], v[68:69], 3, v[80:81]
	flat_load_dwordx2 v[84:85], v[84:85]
	s_mov_b64 s[36:37], 0
	flat_load_dwordx2 v[86:87], v[86:87]
                                        ; implicit-def: $sgpr38_sgpr39
                                        ; implicit-def: $sgpr40_sgpr41
                                        ; implicit-def: $sgpr42_sgpr43
                                        ; implicit-def: $sgpr18_sgpr19
                                        ; implicit-def: $sgpr44_sgpr45
	s_waitcnt vmcnt(0) lgkmcnt(0)
	v_mul_lo_u32 v68, v84, v7
	v_mul_lo_u32 v83, v85, v6
	v_mad_u64_u32 v[84:85], s[12:13], v84, v6, v[8:9]
	v_mul_lo_u32 v96, v86, v7
	v_mul_lo_u32 v97, v87, v6
	v_mad_u64_u32 v[86:87], s[12:13], v86, v6, v[8:9]
	v_add3_u32 v85, v83, v85, v68
	v_add3_u32 v87, v97, v87, v96
	v_mov_b64_e32 v[96:97], v[6:7]
	s_branch .LBB1001_1052
.LBB1001_1051:                          ;   in Loop: Header=BB1001_1052 Depth=2
	s_or_b64 exec, exec, s[46:47]
	s_and_b64 s[12:13], exec, s[40:41]
	s_or_b64 s[36:37], s[12:13], s[36:37]
	s_andn2_b64 s[12:13], s[44:45], exec
	s_and_b64 s[44:45], s[42:43], exec
	s_or_b64 s[44:45], s[12:13], s[44:45]
	s_andn2_b64 s[12:13], s[38:39], exec
	s_and_b64 s[38:39], s[18:19], exec
	s_or_b64 s[38:39], s[12:13], s[38:39]
	s_andn2_b64 exec, exec, s[36:37]
	s_cbranch_execz .LBB1001_1047
.LBB1001_1052:                          ;   Parent Loop BB1001_1049 Depth=1
                                        ; =>  This Inner Loop Header: Depth=2
	flat_load_ubyte v68, v[86:87]
	flat_load_ubyte v83, v[84:85]
	s_andn2_b64 s[46:47], s[18:19], exec
	s_andn2_b64 s[42:43], s[42:43], exec
	s_or_b64 s[40:41], s[40:41], exec
	s_waitcnt vmcnt(0) lgkmcnt(0)
	v_cmp_eq_u16_e64 s[12:13], 0, v68
	v_cmp_ne_u16_e64 s[18:19], 0, v83
	s_or_b64 s[50:51], s[12:13], s[18:19]
	s_and_b64 s[48:49], s[12:13], s[18:19]
	s_xor_b64 s[12:13], s[12:13], s[18:19]
	s_and_b64 s[18:19], s[50:51], s[44:45]
	s_or_b64 s[48:49], s[48:49], s[18:19]
	s_and_b64 s[18:19], s[48:49], exec
	s_or_b64 s[18:19], s[46:47], s[18:19]
	s_and_saveexec_b64 s[46:47], s[12:13]
	s_cbranch_execz .LBB1001_1051
; %bb.1053:                             ;   in Loop: Header=BB1001_1052 Depth=2
	v_lshl_add_u64 v[96:97], v[96:97], 0, -1
	v_cmp_eq_u64_e64 s[12:13], 0, v[96:97]
	s_andn2_b64 s[42:43], s[42:43], exec
	s_and_b64 s[44:45], s[48:49], exec
	s_andn2_b64 s[40:41], s[40:41], exec
	s_and_b64 s[12:13], s[12:13], exec
	v_lshl_add_u64 v[84:85], v[84:85], 0, 1
	v_lshl_add_u64 v[86:87], v[86:87], 0, 1
	s_andn2_b64 s[18:19], s[18:19], exec
	s_or_b64 s[42:43], s[42:43], s[44:45]
	s_or_b64 s[40:41], s[40:41], s[12:13]
                                        ; implicit-def: $sgpr44_sgpr45
	s_branch .LBB1001_1051
.LBB1001_1054:
	s_or_b64 exec, exec, s[30:31]
.LBB1001_1055:
	s_or_b64 exec, exec, s[28:29]
	v_add_u32_e32 v69, v98, v101
	v_add_u32_e32 v68, v102, v100
	v_sub_u32_e32 v70, v69, v102
	v_cmp_le_u32_e64 s[12:13], v68, v98
	v_cmp_le_u32_e64 s[18:19], v70, v99
	s_or_b64 s[12:13], s[12:13], s[18:19]
	s_and_saveexec_b64 s[28:29], s[12:13]
	s_cbranch_execz .LBB1001_1127
; %bb.1056:
	v_cmp_ge_u32_e64 s[18:19], v68, v98
	v_cmp_lt_u32_e64 s[12:13], v68, v98
                                        ; implicit-def: $vgpr12_vgpr13
	s_and_saveexec_b64 s[30:31], s[12:13]
	s_cbranch_execz .LBB1001_1058
; %bb.1057:
	v_mov_b32_e32 v69, 0
	v_lshl_add_u64 v[12:13], v[68:69], 3, v[64:65]
	flat_load_dwordx2 v[12:13], v[12:13]
.LBB1001_1058:
	s_or_b64 exec, exec, s[30:31]
	v_cmp_ge_u32_e64 s[30:31], v70, v99
	v_cmp_lt_u32_e64 s[12:13], v70, v99
                                        ; implicit-def: $vgpr14_vgpr15
	s_and_saveexec_b64 s[34:35], s[12:13]
	s_cbranch_execz .LBB1001_1060
; %bb.1059:
	v_mov_b32_e32 v71, 0
	v_lshl_add_u64 v[14:15], v[70:71], 3, v[64:65]
	flat_load_dwordx2 v[14:15], v[14:15]
.LBB1001_1060:
	s_or_b64 exec, exec, s[34:35]
	s_or_b64 s[12:13], s[18:19], s[30:31]
	s_xor_b64 s[12:13], s[12:13], -1
	s_and_saveexec_b64 s[34:35], s[12:13]
	s_cbranch_execz .LBB1001_1068
; %bb.1061:
	s_mov_b64 s[12:13], 0
	s_and_saveexec_b64 s[36:37], s[16:17]
	s_cbranch_execz .LBB1001_1067
; %bb.1062:
	s_waitcnt vmcnt(0) lgkmcnt(0)
	v_mad_u64_u32 v[16:17], s[12:13], v12, v6, v[8:9]
	v_mul_lo_u32 v18, v12, v7
	v_mul_lo_u32 v19, v13, v6
	v_add3_u32 v17, v19, v17, v18
	v_mad_u64_u32 v[18:19], s[12:13], v14, v6, v[8:9]
	v_mul_lo_u32 v20, v14, v7
	v_mul_lo_u32 v21, v15, v6
	v_add3_u32 v19, v21, v19, v20
	s_mov_b64 s[38:39], 0
	v_mov_b64_e32 v[20:21], v[6:7]
                                        ; implicit-def: $sgpr40_sgpr41
                                        ; implicit-def: $sgpr42_sgpr43
                                        ; implicit-def: $sgpr44_sgpr45
                                        ; implicit-def: $sgpr18_sgpr19
                                        ; implicit-def: $sgpr46_sgpr47
	s_branch .LBB1001_1064
.LBB1001_1063:                          ;   in Loop: Header=BB1001_1064 Depth=1
	s_or_b64 exec, exec, s[48:49]
	s_and_b64 s[12:13], exec, s[42:43]
	s_or_b64 s[38:39], s[12:13], s[38:39]
	s_andn2_b64 s[12:13], s[46:47], exec
	s_and_b64 s[46:47], s[44:45], exec
	s_or_b64 s[46:47], s[12:13], s[46:47]
	s_andn2_b64 s[12:13], s[40:41], exec
	s_and_b64 s[40:41], s[18:19], exec
	s_or_b64 s[40:41], s[12:13], s[40:41]
	s_andn2_b64 exec, exec, s[38:39]
	s_cbranch_execz .LBB1001_1066
.LBB1001_1064:                          ; =>This Inner Loop Header: Depth=1
	flat_load_ubyte v22, v[18:19]
	flat_load_ubyte v23, v[16:17]
	s_andn2_b64 s[48:49], s[18:19], exec
	s_andn2_b64 s[44:45], s[44:45], exec
	s_or_b64 s[42:43], s[42:43], exec
	s_waitcnt vmcnt(0) lgkmcnt(0)
	v_cmp_eq_u16_e64 s[12:13], 0, v22
	v_cmp_ne_u16_e64 s[18:19], 0, v23
	s_or_b64 s[52:53], s[12:13], s[18:19]
	s_and_b64 s[50:51], s[12:13], s[18:19]
	s_xor_b64 s[12:13], s[12:13], s[18:19]
	s_and_b64 s[18:19], s[52:53], s[46:47]
	s_or_b64 s[50:51], s[50:51], s[18:19]
	s_and_b64 s[18:19], s[50:51], exec
	s_or_b64 s[18:19], s[48:49], s[18:19]
	s_and_saveexec_b64 s[48:49], s[12:13]
	s_cbranch_execz .LBB1001_1063
; %bb.1065:                             ;   in Loop: Header=BB1001_1064 Depth=1
	v_lshl_add_u64 v[20:21], v[20:21], 0, -1
	v_cmp_eq_u64_e64 s[12:13], 0, v[20:21]
	s_andn2_b64 s[44:45], s[44:45], exec
	s_and_b64 s[46:47], s[50:51], exec
	s_andn2_b64 s[42:43], s[42:43], exec
	s_and_b64 s[12:13], s[12:13], exec
	v_lshl_add_u64 v[16:17], v[16:17], 0, 1
	v_lshl_add_u64 v[18:19], v[18:19], 0, 1
	s_andn2_b64 s[18:19], s[18:19], exec
	s_or_b64 s[44:45], s[44:45], s[46:47]
	s_or_b64 s[42:43], s[42:43], s[12:13]
                                        ; implicit-def: $sgpr46_sgpr47
	s_branch .LBB1001_1063
.LBB1001_1066:
	s_or_b64 exec, exec, s[38:39]
	s_and_b64 s[12:13], s[40:41], exec
.LBB1001_1067:
	s_or_b64 exec, exec, s[36:37]
	s_xor_b64 s[12:13], s[12:13], -1
	s_andn2_b64 s[18:19], s[30:31], exec
	s_and_b64 s[12:13], s[12:13], exec
	s_or_b64 s[30:31], s[18:19], s[12:13]
.LBB1001_1068:
	s_or_b64 exec, exec, s[34:35]
	v_cndmask_b32_e64 v16, v70, v68, s[30:31]
	v_cndmask_b32_e64 v17, v99, v98, s[30:31]
	v_add_u32_e32 v20, 1, v16
	v_add_u32_e32 v16, -1, v17
	v_min_u32_e32 v16, v20, v16
	v_mov_b32_e32 v17, 0
	v_lshl_add_u64 v[18:19], v[16:17], 3, v[64:65]
	flat_load_dwordx2 v[18:19], v[18:19]
	v_cndmask_b32_e64 v27, v20, v70, s[30:31]
	s_mov_b64 s[34:35], -1
	v_cndmask_b32_e64 v68, v68, v20, s[30:31]
	v_cmp_lt_u32_e64 s[12:13], v27, v99
	s_mov_b64 s[36:37], -1
	s_waitcnt vmcnt(0) lgkmcnt(0)
	v_cndmask_b32_e64 v24, v19, v15, s[30:31]
	v_cndmask_b32_e64 v25, v18, v14, s[30:31]
	;; [unrolled: 1-line block ×4, first 2 shown]
	s_and_saveexec_b64 s[38:39], s[12:13]
	s_cbranch_execz .LBB1001_1078
; %bb.1069:
	v_cmp_lt_u32_e64 s[12:13], v68, v98
	s_mov_b64 s[18:19], 0
	s_and_saveexec_b64 s[36:37], s[12:13]
	s_cbranch_execz .LBB1001_1077
; %bb.1070:
	s_mov_b64 s[12:13], 0
	s_and_saveexec_b64 s[40:41], s[16:17]
	s_cbranch_execz .LBB1001_1076
; %bb.1071:
	v_mad_u64_u32 v[18:19], s[12:13], v70, v6, v[8:9]
	v_mul_lo_u32 v16, v70, v7
	v_mul_lo_u32 v20, v26, v6
	v_add3_u32 v19, v20, v19, v16
	v_mad_u64_u32 v[20:21], s[12:13], v25, v6, v[8:9]
	v_mul_lo_u32 v16, v25, v7
	v_mul_lo_u32 v22, v24, v6
	v_add3_u32 v21, v22, v21, v16
	s_mov_b64 s[42:43], 0
	v_mov_b64_e32 v[22:23], v[6:7]
                                        ; implicit-def: $sgpr44_sgpr45
                                        ; implicit-def: $sgpr46_sgpr47
                                        ; implicit-def: $sgpr48_sgpr49
                                        ; implicit-def: $sgpr18_sgpr19
                                        ; implicit-def: $sgpr50_sgpr51
	s_branch .LBB1001_1073
.LBB1001_1072:                          ;   in Loop: Header=BB1001_1073 Depth=1
	s_or_b64 exec, exec, s[52:53]
	s_and_b64 s[12:13], exec, s[46:47]
	s_or_b64 s[42:43], s[12:13], s[42:43]
	s_andn2_b64 s[12:13], s[50:51], exec
	s_and_b64 s[50:51], s[48:49], exec
	s_or_b64 s[50:51], s[12:13], s[50:51]
	s_andn2_b64 s[12:13], s[44:45], exec
	s_and_b64 s[44:45], s[18:19], exec
	s_or_b64 s[44:45], s[12:13], s[44:45]
	s_andn2_b64 exec, exec, s[42:43]
	s_cbranch_execz .LBB1001_1075
.LBB1001_1073:                          ; =>This Inner Loop Header: Depth=1
	flat_load_ubyte v16, v[20:21]
	flat_load_ubyte v69, v[18:19]
	s_andn2_b64 s[52:53], s[18:19], exec
	s_andn2_b64 s[48:49], s[48:49], exec
	s_or_b64 s[46:47], s[46:47], exec
	s_waitcnt vmcnt(0) lgkmcnt(0)
	v_cmp_eq_u16_e64 s[12:13], 0, v16
	v_cmp_ne_u16_e64 s[18:19], 0, v69
	s_or_b64 s[56:57], s[12:13], s[18:19]
	s_and_b64 s[54:55], s[12:13], s[18:19]
	s_xor_b64 s[12:13], s[12:13], s[18:19]
	s_and_b64 s[18:19], s[56:57], s[50:51]
	s_or_b64 s[54:55], s[54:55], s[18:19]
	s_and_b64 s[18:19], s[54:55], exec
	s_or_b64 s[18:19], s[52:53], s[18:19]
	s_and_saveexec_b64 s[52:53], s[12:13]
	s_cbranch_execz .LBB1001_1072
; %bb.1074:                             ;   in Loop: Header=BB1001_1073 Depth=1
	v_lshl_add_u64 v[22:23], v[22:23], 0, -1
	v_cmp_eq_u64_e64 s[12:13], 0, v[22:23]
	s_andn2_b64 s[48:49], s[48:49], exec
	s_and_b64 s[50:51], s[54:55], exec
	s_andn2_b64 s[46:47], s[46:47], exec
	s_and_b64 s[12:13], s[12:13], exec
	v_lshl_add_u64 v[18:19], v[18:19], 0, 1
	v_lshl_add_u64 v[20:21], v[20:21], 0, 1
	s_andn2_b64 s[18:19], s[18:19], exec
	s_or_b64 s[48:49], s[48:49], s[50:51]
	s_or_b64 s[46:47], s[46:47], s[12:13]
                                        ; implicit-def: $sgpr50_sgpr51
	s_branch .LBB1001_1072
.LBB1001_1075:
	s_or_b64 exec, exec, s[42:43]
	s_and_b64 s[12:13], s[44:45], exec
.LBB1001_1076:
	s_or_b64 exec, exec, s[40:41]
	s_xor_b64 s[12:13], s[12:13], -1
	s_and_b64 s[18:19], s[12:13], exec
.LBB1001_1077:
	s_or_b64 exec, exec, s[36:37]
	s_orn2_b64 s[36:37], s[18:19], exec
.LBB1001_1078:
	s_or_b64 exec, exec, s[38:39]
	v_cndmask_b32_e64 v16, v27, v68, s[36:37]
	v_cndmask_b32_e64 v18, v99, v98, s[36:37]
	v_add_u32_e32 v19, 1, v16
	v_add_u32_e32 v16, -1, v18
	v_min_u32_e32 v16, v19, v16
	v_lshl_add_u64 v[16:17], v[16:17], 3, v[64:65]
	flat_load_dwordx2 v[16:17], v[16:17]
	v_cndmask_b32_e64 v22, v19, v27, s[36:37]
	v_cndmask_b32_e64 v23, v68, v19, s[36:37]
	v_cmp_lt_u32_e64 s[12:13], v22, v99
	s_waitcnt vmcnt(0) lgkmcnt(0)
	v_cndmask_b32_e64 v27, v17, v24, s[36:37]
	v_cndmask_b32_e64 v71, v16, v25, s[36:37]
	;; [unrolled: 1-line block ×4, first 2 shown]
	s_and_saveexec_b64 s[38:39], s[12:13]
	s_cbranch_execz .LBB1001_1086
; %bb.1079:
	v_cmp_lt_u32_e64 s[34:35], v23, v98
	s_and_b64 s[12:13], s[34:35], s[26:27]
	s_and_saveexec_b64 s[40:41], s[12:13]
	s_cbranch_execz .LBB1001_1085
; %bb.1080:
	v_mad_u64_u32 v[16:17], s[12:13], v81, v6, v[8:9]
	v_mul_lo_u32 v18, v81, v7
	v_mul_lo_u32 v19, v80, v6
	v_add3_u32 v17, v19, v17, v18
	v_mad_u64_u32 v[18:19], s[12:13], v71, v6, v[8:9]
	v_mul_lo_u32 v20, v71, v7
	v_mul_lo_u32 v21, v27, v6
	v_add3_u32 v19, v21, v19, v20
	s_mov_b64 s[42:43], 0
	v_mov_b64_e32 v[20:21], v[6:7]
                                        ; implicit-def: $sgpr44_sgpr45
                                        ; implicit-def: $sgpr46_sgpr47
                                        ; implicit-def: $sgpr18_sgpr19
                                        ; implicit-def: $sgpr48_sgpr49
                                        ; implicit-def: $sgpr50_sgpr51
	s_branch .LBB1001_1082
.LBB1001_1081:                          ;   in Loop: Header=BB1001_1082 Depth=1
	s_or_b64 exec, exec, s[52:53]
	s_and_b64 s[12:13], exec, s[46:47]
	s_or_b64 s[42:43], s[12:13], s[42:43]
	s_andn2_b64 s[12:13], s[50:51], exec
	s_and_b64 s[50:51], s[48:49], exec
	s_or_b64 s[50:51], s[12:13], s[50:51]
	s_andn2_b64 s[12:13], s[44:45], exec
	s_and_b64 s[44:45], s[18:19], exec
	s_or_b64 s[44:45], s[12:13], s[44:45]
	s_andn2_b64 exec, exec, s[42:43]
	s_cbranch_execz .LBB1001_1084
.LBB1001_1082:                          ; =>This Inner Loop Header: Depth=1
	flat_load_ubyte v68, v[18:19]
	flat_load_ubyte v69, v[16:17]
	s_andn2_b64 s[52:53], s[18:19], exec
	s_andn2_b64 s[48:49], s[48:49], exec
	s_or_b64 s[46:47], s[46:47], exec
	s_waitcnt vmcnt(0) lgkmcnt(0)
	v_cmp_eq_u16_e64 s[12:13], 0, v68
	v_cmp_ne_u16_e64 s[18:19], 0, v69
	s_or_b64 s[56:57], s[12:13], s[18:19]
	s_and_b64 s[54:55], s[12:13], s[18:19]
	s_xor_b64 s[12:13], s[12:13], s[18:19]
	s_and_b64 s[18:19], s[56:57], s[50:51]
	s_or_b64 s[54:55], s[54:55], s[18:19]
	s_and_b64 s[18:19], s[54:55], exec
	s_or_b64 s[18:19], s[52:53], s[18:19]
	s_and_saveexec_b64 s[52:53], s[12:13]
	s_cbranch_execz .LBB1001_1081
; %bb.1083:                             ;   in Loop: Header=BB1001_1082 Depth=1
	v_lshl_add_u64 v[20:21], v[20:21], 0, -1
	v_cmp_eq_u64_e64 s[12:13], 0, v[20:21]
	s_andn2_b64 s[48:49], s[48:49], exec
	s_and_b64 s[50:51], s[54:55], exec
	s_andn2_b64 s[46:47], s[46:47], exec
	s_and_b64 s[12:13], s[12:13], exec
	v_lshl_add_u64 v[16:17], v[16:17], 0, 1
	v_lshl_add_u64 v[18:19], v[18:19], 0, 1
	s_or_b64 s[48:49], s[48:49], s[50:51]
	s_andn2_b64 s[18:19], s[18:19], exec
	s_or_b64 s[46:47], s[46:47], s[12:13]
                                        ; implicit-def: $sgpr50_sgpr51
	s_branch .LBB1001_1081
.LBB1001_1084:
	s_or_b64 exec, exec, s[42:43]
	s_xor_b64 s[12:13], s[44:45], -1
	s_andn2_b64 s[18:19], s[34:35], exec
	s_and_b64 s[12:13], s[12:13], exec
	s_or_b64 s[34:35], s[18:19], s[12:13]
.LBB1001_1085:
	s_or_b64 exec, exec, s[40:41]
	s_orn2_b64 s[34:35], s[34:35], exec
.LBB1001_1086:
	s_or_b64 exec, exec, s[38:39]
	v_cndmask_b32_e64 v16, v22, v23, s[34:35]
	v_cndmask_b32_e64 v17, v99, v98, s[34:35]
	v_add_u32_e32 v20, 1, v16
	v_add_u32_e32 v16, -1, v17
	v_min_u32_e32 v16, v20, v16
	v_mov_b32_e32 v17, 0
	v_lshl_add_u64 v[18:19], v[16:17], 3, v[64:65]
	flat_load_dwordx2 v[18:19], v[18:19]
	v_cndmask_b32_e64 v68, v20, v22, s[34:35]
	s_mov_b64 s[38:39], -1
	v_cndmask_b32_e64 v69, v23, v20, s[34:35]
	v_cmp_lt_u32_e64 s[12:13], v68, v99
	s_mov_b64 s[40:41], -1
	s_waitcnt vmcnt(0) lgkmcnt(0)
	v_cndmask_b32_e64 v82, v19, v27, s[34:35]
	v_cndmask_b32_e64 v83, v18, v71, s[34:35]
	;; [unrolled: 1-line block ×4, first 2 shown]
	s_and_saveexec_b64 s[42:43], s[12:13]
	s_cbranch_execz .LBB1001_1094
; %bb.1087:
	v_cmp_lt_u32_e64 s[40:41], v69, v98
	s_and_b64 s[12:13], s[40:41], s[26:27]
	s_and_saveexec_b64 s[44:45], s[12:13]
	s_cbranch_execz .LBB1001_1093
; %bb.1088:
	v_mad_u64_u32 v[18:19], s[12:13], v85, v6, v[8:9]
	v_mul_lo_u32 v16, v85, v7
	v_mul_lo_u32 v20, v84, v6
	v_add3_u32 v19, v20, v19, v16
	v_mad_u64_u32 v[20:21], s[12:13], v83, v6, v[8:9]
	v_mul_lo_u32 v16, v83, v7
	v_mul_lo_u32 v22, v82, v6
	v_add3_u32 v21, v22, v21, v16
	s_mov_b64 s[46:47], 0
	v_mov_b64_e32 v[22:23], v[6:7]
                                        ; implicit-def: $sgpr48_sgpr49
                                        ; implicit-def: $sgpr50_sgpr51
                                        ; implicit-def: $sgpr18_sgpr19
                                        ; implicit-def: $sgpr52_sgpr53
                                        ; implicit-def: $sgpr54_sgpr55
	s_branch .LBB1001_1090
.LBB1001_1089:                          ;   in Loop: Header=BB1001_1090 Depth=1
	s_or_b64 exec, exec, s[56:57]
	s_and_b64 s[12:13], exec, s[50:51]
	s_or_b64 s[46:47], s[12:13], s[46:47]
	s_andn2_b64 s[12:13], s[54:55], exec
	s_and_b64 s[54:55], s[52:53], exec
	s_or_b64 s[54:55], s[12:13], s[54:55]
	s_andn2_b64 s[12:13], s[48:49], exec
	s_and_b64 s[48:49], s[18:19], exec
	s_or_b64 s[48:49], s[12:13], s[48:49]
	s_andn2_b64 exec, exec, s[46:47]
	s_cbranch_execz .LBB1001_1092
.LBB1001_1090:                          ; =>This Inner Loop Header: Depth=1
	flat_load_ubyte v16, v[20:21]
	flat_load_ubyte v86, v[18:19]
	s_andn2_b64 s[56:57], s[18:19], exec
	s_andn2_b64 s[52:53], s[52:53], exec
	s_or_b64 s[50:51], s[50:51], exec
	s_waitcnt vmcnt(0) lgkmcnt(0)
	v_cmp_eq_u16_e64 s[12:13], 0, v16
	v_cmp_ne_u16_e64 s[18:19], 0, v86
	s_or_b64 s[60:61], s[12:13], s[18:19]
	s_and_b64 s[58:59], s[12:13], s[18:19]
	s_xor_b64 s[12:13], s[12:13], s[18:19]
	s_and_b64 s[18:19], s[60:61], s[54:55]
	s_or_b64 s[58:59], s[58:59], s[18:19]
	s_and_b64 s[18:19], s[58:59], exec
	s_or_b64 s[18:19], s[56:57], s[18:19]
	s_and_saveexec_b64 s[56:57], s[12:13]
	s_cbranch_execz .LBB1001_1089
; %bb.1091:                             ;   in Loop: Header=BB1001_1090 Depth=1
	v_lshl_add_u64 v[22:23], v[22:23], 0, -1
	v_cmp_eq_u64_e64 s[12:13], 0, v[22:23]
	s_andn2_b64 s[52:53], s[52:53], exec
	s_and_b64 s[54:55], s[58:59], exec
	s_andn2_b64 s[50:51], s[50:51], exec
	s_and_b64 s[12:13], s[12:13], exec
	v_lshl_add_u64 v[18:19], v[18:19], 0, 1
	v_lshl_add_u64 v[20:21], v[20:21], 0, 1
	s_or_b64 s[52:53], s[52:53], s[54:55]
	s_andn2_b64 s[18:19], s[18:19], exec
	s_or_b64 s[50:51], s[50:51], s[12:13]
                                        ; implicit-def: $sgpr54_sgpr55
	s_branch .LBB1001_1089
.LBB1001_1092:
	s_or_b64 exec, exec, s[46:47]
	s_xor_b64 s[12:13], s[48:49], -1
	s_andn2_b64 s[18:19], s[40:41], exec
	s_and_b64 s[12:13], s[12:13], exec
	s_or_b64 s[40:41], s[18:19], s[12:13]
.LBB1001_1093:
	s_or_b64 exec, exec, s[44:45]
	s_orn2_b64 s[40:41], s[40:41], exec
.LBB1001_1094:
	s_or_b64 exec, exec, s[42:43]
	v_cndmask_b32_e64 v16, v68, v69, s[40:41]
	v_cndmask_b32_e64 v18, v99, v98, s[40:41]
	v_add_u32_e32 v19, 1, v16
	v_add_u32_e32 v16, -1, v18
	v_min_u32_e32 v16, v19, v16
	v_lshl_add_u64 v[16:17], v[16:17], 3, v[64:65]
	flat_load_dwordx2 v[16:17], v[16:17]
	v_cndmask_b32_e64 v22, v19, v68, s[40:41]
	v_cndmask_b32_e64 v23, v69, v19, s[40:41]
	v_cmp_lt_u32_e64 s[12:13], v22, v99
	s_waitcnt vmcnt(0) lgkmcnt(0)
	v_cndmask_b32_e64 v86, v17, v82, s[40:41]
	v_cndmask_b32_e64 v87, v16, v83, s[40:41]
	v_cndmask_b32_e64 v96, v84, v17, s[40:41]
	v_cndmask_b32_e64 v97, v85, v16, s[40:41]
	s_and_saveexec_b64 s[42:43], s[12:13]
	s_cbranch_execz .LBB1001_1102
; %bb.1095:
	v_cmp_lt_u32_e64 s[38:39], v23, v98
	s_and_b64 s[12:13], s[38:39], s[26:27]
	s_and_saveexec_b64 s[44:45], s[12:13]
	s_cbranch_execz .LBB1001_1101
; %bb.1096:
	v_mad_u64_u32 v[16:17], s[12:13], v97, v6, v[8:9]
	v_mul_lo_u32 v18, v97, v7
	v_mul_lo_u32 v19, v96, v6
	v_add3_u32 v17, v19, v17, v18
	v_mad_u64_u32 v[18:19], s[12:13], v87, v6, v[8:9]
	v_mul_lo_u32 v20, v87, v7
	v_mul_lo_u32 v21, v86, v6
	v_add3_u32 v19, v21, v19, v20
	s_mov_b64 s[46:47], 0
	v_mov_b64_e32 v[20:21], v[6:7]
                                        ; implicit-def: $sgpr48_sgpr49
                                        ; implicit-def: $sgpr50_sgpr51
                                        ; implicit-def: $sgpr18_sgpr19
                                        ; implicit-def: $sgpr52_sgpr53
                                        ; implicit-def: $sgpr54_sgpr55
	s_branch .LBB1001_1098
.LBB1001_1097:                          ;   in Loop: Header=BB1001_1098 Depth=1
	s_or_b64 exec, exec, s[56:57]
	s_and_b64 s[12:13], exec, s[50:51]
	s_or_b64 s[46:47], s[12:13], s[46:47]
	s_andn2_b64 s[12:13], s[54:55], exec
	s_and_b64 s[54:55], s[52:53], exec
	s_or_b64 s[54:55], s[12:13], s[54:55]
	s_andn2_b64 s[12:13], s[48:49], exec
	s_and_b64 s[48:49], s[18:19], exec
	s_or_b64 s[48:49], s[12:13], s[48:49]
	s_andn2_b64 exec, exec, s[46:47]
	s_cbranch_execz .LBB1001_1100
.LBB1001_1098:                          ; =>This Inner Loop Header: Depth=1
	flat_load_ubyte v68, v[18:19]
	flat_load_ubyte v69, v[16:17]
	s_andn2_b64 s[56:57], s[18:19], exec
	s_andn2_b64 s[52:53], s[52:53], exec
	s_or_b64 s[50:51], s[50:51], exec
	s_waitcnt vmcnt(0) lgkmcnt(0)
	v_cmp_eq_u16_e64 s[12:13], 0, v68
	v_cmp_ne_u16_e64 s[18:19], 0, v69
	s_or_b64 s[60:61], s[12:13], s[18:19]
	s_and_b64 s[58:59], s[12:13], s[18:19]
	s_xor_b64 s[12:13], s[12:13], s[18:19]
	s_and_b64 s[18:19], s[60:61], s[54:55]
	s_or_b64 s[58:59], s[58:59], s[18:19]
	s_and_b64 s[18:19], s[58:59], exec
	s_or_b64 s[18:19], s[56:57], s[18:19]
	s_and_saveexec_b64 s[56:57], s[12:13]
	s_cbranch_execz .LBB1001_1097
; %bb.1099:                             ;   in Loop: Header=BB1001_1098 Depth=1
	v_lshl_add_u64 v[20:21], v[20:21], 0, -1
	v_cmp_eq_u64_e64 s[12:13], 0, v[20:21]
	s_andn2_b64 s[52:53], s[52:53], exec
	s_and_b64 s[54:55], s[58:59], exec
	s_andn2_b64 s[50:51], s[50:51], exec
	s_and_b64 s[12:13], s[12:13], exec
	v_lshl_add_u64 v[16:17], v[16:17], 0, 1
	v_lshl_add_u64 v[18:19], v[18:19], 0, 1
	s_or_b64 s[52:53], s[52:53], s[54:55]
	s_andn2_b64 s[18:19], s[18:19], exec
	s_or_b64 s[50:51], s[50:51], s[12:13]
                                        ; implicit-def: $sgpr54_sgpr55
	s_branch .LBB1001_1097
.LBB1001_1100:
	s_or_b64 exec, exec, s[46:47]
	s_xor_b64 s[12:13], s[48:49], -1
	s_andn2_b64 s[18:19], s[38:39], exec
	s_and_b64 s[12:13], s[12:13], exec
	s_or_b64 s[38:39], s[18:19], s[12:13]
.LBB1001_1101:
	s_or_b64 exec, exec, s[44:45]
	s_orn2_b64 s[38:39], s[38:39], exec
.LBB1001_1102:
	s_or_b64 exec, exec, s[42:43]
	v_cndmask_b32_e64 v16, v22, v23, s[38:39]
	v_cndmask_b32_e64 v17, v99, v98, s[38:39]
	v_add_u32_e32 v20, 1, v16
	v_add_u32_e32 v16, -1, v17
	v_min_u32_e32 v16, v20, v16
	v_mov_b32_e32 v17, 0
	v_lshl_add_u64 v[18:19], v[16:17], 3, v[64:65]
	flat_load_dwordx2 v[18:19], v[18:19]
	v_cndmask_b32_e64 v68, v20, v22, s[38:39]
	s_mov_b64 s[42:43], -1
	v_cndmask_b32_e64 v69, v23, v20, s[38:39]
	v_cmp_lt_u32_e64 s[12:13], v68, v99
	s_mov_b64 s[44:45], -1
	s_waitcnt vmcnt(0) lgkmcnt(0)
	v_cndmask_b32_e64 v100, v19, v86, s[38:39]
	v_cndmask_b32_e64 v101, v18, v87, s[38:39]
	v_cndmask_b32_e64 v102, v96, v19, s[38:39]
	v_cndmask_b32_e64 v103, v97, v18, s[38:39]
	s_and_saveexec_b64 s[46:47], s[12:13]
	s_cbranch_execz .LBB1001_1110
; %bb.1103:
	v_cmp_lt_u32_e64 s[44:45], v69, v98
	s_and_b64 s[12:13], s[44:45], s[26:27]
	s_and_saveexec_b64 s[48:49], s[12:13]
	s_cbranch_execz .LBB1001_1109
; %bb.1104:
	v_mad_u64_u32 v[18:19], s[12:13], v103, v6, v[8:9]
	v_mul_lo_u32 v16, v103, v7
	v_mul_lo_u32 v20, v102, v6
	v_add3_u32 v19, v20, v19, v16
	v_mad_u64_u32 v[20:21], s[12:13], v101, v6, v[8:9]
	v_mul_lo_u32 v16, v101, v7
	v_mul_lo_u32 v22, v100, v6
	v_add3_u32 v21, v22, v21, v16
	s_mov_b64 s[50:51], 0
	v_mov_b64_e32 v[22:23], v[6:7]
                                        ; implicit-def: $sgpr52_sgpr53
                                        ; implicit-def: $sgpr54_sgpr55
                                        ; implicit-def: $sgpr18_sgpr19
                                        ; implicit-def: $sgpr56_sgpr57
                                        ; implicit-def: $sgpr58_sgpr59
	s_branch .LBB1001_1106
.LBB1001_1105:                          ;   in Loop: Header=BB1001_1106 Depth=1
	s_or_b64 exec, exec, s[60:61]
	s_and_b64 s[12:13], exec, s[54:55]
	s_or_b64 s[50:51], s[12:13], s[50:51]
	s_andn2_b64 s[12:13], s[58:59], exec
	s_and_b64 s[58:59], s[56:57], exec
	s_or_b64 s[58:59], s[12:13], s[58:59]
	s_andn2_b64 s[12:13], s[52:53], exec
	s_and_b64 s[52:53], s[18:19], exec
	s_or_b64 s[52:53], s[12:13], s[52:53]
	s_andn2_b64 exec, exec, s[50:51]
	s_cbranch_execz .LBB1001_1108
.LBB1001_1106:                          ; =>This Inner Loop Header: Depth=1
	flat_load_ubyte v16, v[20:21]
	flat_load_ubyte v112, v[18:19]
	s_andn2_b64 s[60:61], s[18:19], exec
	s_andn2_b64 s[56:57], s[56:57], exec
	s_or_b64 s[54:55], s[54:55], exec
	s_waitcnt vmcnt(0) lgkmcnt(0)
	v_cmp_eq_u16_e64 s[12:13], 0, v16
	v_cmp_ne_u16_e64 s[18:19], 0, v112
	s_or_b64 s[64:65], s[12:13], s[18:19]
	s_and_b64 s[62:63], s[12:13], s[18:19]
	s_xor_b64 s[12:13], s[12:13], s[18:19]
	s_and_b64 s[18:19], s[64:65], s[58:59]
	s_or_b64 s[62:63], s[62:63], s[18:19]
	s_and_b64 s[18:19], s[62:63], exec
	s_or_b64 s[18:19], s[60:61], s[18:19]
	s_and_saveexec_b64 s[60:61], s[12:13]
	s_cbranch_execz .LBB1001_1105
; %bb.1107:                             ;   in Loop: Header=BB1001_1106 Depth=1
	v_lshl_add_u64 v[22:23], v[22:23], 0, -1
	v_cmp_eq_u64_e64 s[12:13], 0, v[22:23]
	s_andn2_b64 s[56:57], s[56:57], exec
	s_and_b64 s[58:59], s[62:63], exec
	s_andn2_b64 s[54:55], s[54:55], exec
	s_and_b64 s[12:13], s[12:13], exec
	v_lshl_add_u64 v[18:19], v[18:19], 0, 1
	v_lshl_add_u64 v[20:21], v[20:21], 0, 1
	s_or_b64 s[56:57], s[56:57], s[58:59]
	s_andn2_b64 s[18:19], s[18:19], exec
	s_or_b64 s[54:55], s[54:55], s[12:13]
                                        ; implicit-def: $sgpr58_sgpr59
	s_branch .LBB1001_1105
.LBB1001_1108:
	s_or_b64 exec, exec, s[50:51]
	s_xor_b64 s[12:13], s[52:53], -1
	s_andn2_b64 s[18:19], s[44:45], exec
	s_and_b64 s[12:13], s[12:13], exec
	s_or_b64 s[44:45], s[18:19], s[12:13]
.LBB1001_1109:
	s_or_b64 exec, exec, s[48:49]
	s_orn2_b64 s[44:45], s[44:45], exec
.LBB1001_1110:
	s_or_b64 exec, exec, s[46:47]
	v_cndmask_b32_e64 v16, v68, v69, s[44:45]
	v_cndmask_b32_e64 v18, v99, v98, s[44:45]
	v_add_u32_e32 v19, 1, v16
	v_add_u32_e32 v16, -1, v18
	v_min_u32_e32 v16, v19, v16
	v_lshl_add_u64 v[16:17], v[16:17], 3, v[64:65]
	flat_load_dwordx2 v[16:17], v[16:17]
	v_cndmask_b32_e64 v115, v19, v68, s[44:45]
	v_cndmask_b32_e64 v112, v69, v19, s[44:45]
	v_cmp_lt_u32_e64 s[12:13], v115, v99
	s_waitcnt vmcnt(0) lgkmcnt(0)
	v_cndmask_b32_e64 v113, v17, v100, s[44:45]
	v_cndmask_b32_e64 v114, v16, v101, s[44:45]
	;; [unrolled: 1-line block ×4, first 2 shown]
	s_and_saveexec_b64 s[46:47], s[12:13]
	s_cbranch_execz .LBB1001_1118
; %bb.1111:
	v_cmp_lt_u32_e64 s[42:43], v112, v98
	s_and_b64 s[12:13], s[42:43], s[26:27]
	s_and_saveexec_b64 s[48:49], s[12:13]
	s_cbranch_execz .LBB1001_1117
; %bb.1112:
	v_mad_u64_u32 v[16:17], s[12:13], v117, v6, v[8:9]
	v_mul_lo_u32 v18, v117, v7
	v_mul_lo_u32 v19, v116, v6
	v_add3_u32 v17, v19, v17, v18
	v_mad_u64_u32 v[18:19], s[12:13], v114, v6, v[8:9]
	v_mul_lo_u32 v20, v114, v7
	v_mul_lo_u32 v21, v113, v6
	v_add3_u32 v19, v21, v19, v20
	s_mov_b64 s[50:51], 0
	v_mov_b64_e32 v[20:21], v[6:7]
                                        ; implicit-def: $sgpr52_sgpr53
                                        ; implicit-def: $sgpr54_sgpr55
                                        ; implicit-def: $sgpr18_sgpr19
                                        ; implicit-def: $sgpr56_sgpr57
                                        ; implicit-def: $sgpr58_sgpr59
	s_branch .LBB1001_1114
.LBB1001_1113:                          ;   in Loop: Header=BB1001_1114 Depth=1
	s_or_b64 exec, exec, s[60:61]
	s_and_b64 s[12:13], exec, s[54:55]
	s_or_b64 s[50:51], s[12:13], s[50:51]
	s_andn2_b64 s[12:13], s[58:59], exec
	s_and_b64 s[58:59], s[56:57], exec
	s_or_b64 s[58:59], s[12:13], s[58:59]
	s_andn2_b64 s[12:13], s[52:53], exec
	s_and_b64 s[52:53], s[18:19], exec
	s_or_b64 s[52:53], s[12:13], s[52:53]
	s_andn2_b64 exec, exec, s[50:51]
	s_cbranch_execz .LBB1001_1116
.LBB1001_1114:                          ; =>This Inner Loop Header: Depth=1
	flat_load_ubyte v22, v[18:19]
	flat_load_ubyte v23, v[16:17]
	s_andn2_b64 s[60:61], s[18:19], exec
	s_andn2_b64 s[56:57], s[56:57], exec
	s_or_b64 s[54:55], s[54:55], exec
	s_waitcnt vmcnt(0) lgkmcnt(0)
	v_cmp_eq_u16_e64 s[12:13], 0, v22
	v_cmp_ne_u16_e64 s[18:19], 0, v23
	s_or_b64 s[64:65], s[12:13], s[18:19]
	s_and_b64 s[62:63], s[12:13], s[18:19]
	s_xor_b64 s[12:13], s[12:13], s[18:19]
	s_and_b64 s[18:19], s[64:65], s[58:59]
	s_or_b64 s[62:63], s[62:63], s[18:19]
	s_and_b64 s[18:19], s[62:63], exec
	s_or_b64 s[18:19], s[60:61], s[18:19]
	s_and_saveexec_b64 s[60:61], s[12:13]
	s_cbranch_execz .LBB1001_1113
; %bb.1115:                             ;   in Loop: Header=BB1001_1114 Depth=1
	v_lshl_add_u64 v[20:21], v[20:21], 0, -1
	v_cmp_eq_u64_e64 s[12:13], 0, v[20:21]
	s_andn2_b64 s[56:57], s[56:57], exec
	s_and_b64 s[58:59], s[62:63], exec
	s_andn2_b64 s[54:55], s[54:55], exec
	s_and_b64 s[12:13], s[12:13], exec
	v_lshl_add_u64 v[16:17], v[16:17], 0, 1
	v_lshl_add_u64 v[18:19], v[18:19], 0, 1
	s_or_b64 s[56:57], s[56:57], s[58:59]
	s_andn2_b64 s[18:19], s[18:19], exec
	s_or_b64 s[54:55], s[54:55], s[12:13]
                                        ; implicit-def: $sgpr58_sgpr59
	s_branch .LBB1001_1113
.LBB1001_1116:
	s_or_b64 exec, exec, s[50:51]
	s_xor_b64 s[12:13], s[52:53], -1
	s_andn2_b64 s[18:19], s[42:43], exec
	s_and_b64 s[12:13], s[12:13], exec
	s_or_b64 s[42:43], s[18:19], s[12:13]
.LBB1001_1117:
	s_or_b64 exec, exec, s[48:49]
	s_orn2_b64 s[42:43], s[42:43], exec
.LBB1001_1118:
	s_or_b64 exec, exec, s[46:47]
	v_cndmask_b32_e64 v16, v115, v112, s[42:43]
	v_cndmask_b32_e64 v17, v99, v98, s[42:43]
	v_add_u32_e32 v118, 1, v16
	v_add_u32_e32 v16, -1, v17
	v_min_u32_e32 v16, v118, v16
	v_mov_b32_e32 v17, 0
	v_lshl_add_u64 v[16:17], v[16:17], 3, v[64:65]
	flat_load_dwordx2 v[68:69], v[16:17]
	v_cndmask_b32_e64 v21, v27, v80, s[34:35]
	v_cndmask_b32_e64 v27, v24, v26, s[36:37]
	;; [unrolled: 1-line block ×15, first 2 shown]
	v_cmp_lt_u32_e64 s[12:13], v70, v99
	s_waitcnt vmcnt(0) lgkmcnt(0)
	v_cndmask_b32_e64 v15, v116, v69, s[42:43]
	v_cndmask_b32_e64 v14, v117, v68, s[42:43]
	s_and_saveexec_b64 s[30:31], s[12:13]
	s_cbranch_execz .LBB1001_1126
; %bb.1119:
	v_cndmask_b32_e64 v83, v68, v114, s[42:43]
	v_cndmask_b32_e64 v68, v112, v118, s[42:43]
	v_cmp_ge_u32_e64 s[12:13], v68, v98
	v_cndmask_b32_e64 v82, v69, v113, s[42:43]
	s_or_b64 s[18:19], s[12:13], s[8:9]
	v_cndmask_b32_e64 v69, v15, v82, s[12:13]
	s_xor_b64 s[18:19], s[18:19], -1
	v_cndmask_b32_e64 v68, v14, v83, s[12:13]
	s_and_saveexec_b64 s[34:35], s[18:19]
	s_cbranch_execz .LBB1001_1125
; %bb.1120:
	v_mad_u64_u32 v[68:69], s[12:13], v14, v6, v[8:9]
	v_mul_lo_u32 v70, v14, v7
	v_mul_lo_u32 v71, v15, v6
	v_add3_u32 v69, v71, v69, v70
	v_mad_u64_u32 v[70:71], s[12:13], v83, v6, v[8:9]
	v_mul_lo_u32 v80, v83, v7
	v_mul_lo_u32 v81, v82, v6
	v_add3_u32 v71, v81, v71, v80
	s_mov_b64 s[36:37], 0
	v_mov_b64_e32 v[80:81], v[6:7]
                                        ; implicit-def: $sgpr38_sgpr39
                                        ; implicit-def: $sgpr40_sgpr41
                                        ; implicit-def: $sgpr18_sgpr19
                                        ; implicit-def: $sgpr42_sgpr43
                                        ; implicit-def: $sgpr44_sgpr45
	s_branch .LBB1001_1122
.LBB1001_1121:                          ;   in Loop: Header=BB1001_1122 Depth=1
	s_or_b64 exec, exec, s[46:47]
	s_and_b64 s[12:13], exec, s[40:41]
	s_or_b64 s[36:37], s[12:13], s[36:37]
	s_andn2_b64 s[12:13], s[44:45], exec
	s_and_b64 s[44:45], s[42:43], exec
	s_or_b64 s[44:45], s[12:13], s[44:45]
	s_andn2_b64 s[12:13], s[38:39], exec
	s_and_b64 s[38:39], s[18:19], exec
	s_or_b64 s[38:39], s[12:13], s[38:39]
	s_andn2_b64 exec, exec, s[36:37]
	s_cbranch_execz .LBB1001_1124
.LBB1001_1122:                          ; =>This Inner Loop Header: Depth=1
	flat_load_ubyte v84, v[70:71]
	flat_load_ubyte v85, v[68:69]
	s_andn2_b64 s[46:47], s[18:19], exec
	s_andn2_b64 s[42:43], s[42:43], exec
	s_or_b64 s[40:41], s[40:41], exec
	s_waitcnt vmcnt(0) lgkmcnt(0)
	v_cmp_eq_u16_e64 s[12:13], 0, v84
	v_cmp_ne_u16_e64 s[18:19], 0, v85
	s_or_b64 s[50:51], s[12:13], s[18:19]
	s_and_b64 s[48:49], s[12:13], s[18:19]
	s_xor_b64 s[12:13], s[12:13], s[18:19]
	s_and_b64 s[18:19], s[50:51], s[44:45]
	s_or_b64 s[48:49], s[48:49], s[18:19]
	s_and_b64 s[18:19], s[48:49], exec
	s_or_b64 s[18:19], s[46:47], s[18:19]
	s_and_saveexec_b64 s[46:47], s[12:13]
	s_cbranch_execz .LBB1001_1121
; %bb.1123:                             ;   in Loop: Header=BB1001_1122 Depth=1
	v_lshl_add_u64 v[80:81], v[80:81], 0, -1
	v_cmp_eq_u64_e64 s[12:13], 0, v[80:81]
	s_andn2_b64 s[42:43], s[42:43], exec
	s_and_b64 s[44:45], s[48:49], exec
	s_andn2_b64 s[40:41], s[40:41], exec
	s_and_b64 s[12:13], s[12:13], exec
	v_lshl_add_u64 v[68:69], v[68:69], 0, 1
	v_lshl_add_u64 v[70:71], v[70:71], 0, 1
	s_or_b64 s[42:43], s[42:43], s[44:45]
	s_andn2_b64 s[18:19], s[18:19], exec
	s_or_b64 s[40:41], s[40:41], s[12:13]
                                        ; implicit-def: $sgpr44_sgpr45
	s_branch .LBB1001_1121
.LBB1001_1124:
	s_or_b64 exec, exec, s[36:37]
	v_cndmask_b32_e64 v69, v15, v82, s[38:39]
	v_cndmask_b32_e64 v68, v14, v83, s[38:39]
.LBB1001_1125:
	s_or_b64 exec, exec, s[34:35]
	v_mov_b64_e32 v[14:15], v[68:69]
.LBB1001_1126:
	s_or_b64 exec, exec, s[30:31]
.LBB1001_1127:
	s_or_b64 exec, exec, s[28:29]
	v_and_b32_e32 v98, 0x380, v31
	; wave barrier
	flat_store_dwordx4 v[66:67], v[24:27]
	flat_store_dwordx4 v[66:67], v[20:23] offset:16
	flat_store_dwordx4 v[66:67], v[16:19] offset:32
	;; [unrolled: 1-line block ×3, first 2 shown]
	v_or_b32_e32 v66, 64, v98
	v_min_u32_e32 v96, v1, v66
	v_add_u32_e32 v66, 64, v96
	v_min_u32_e32 v97, v1, v66
	v_and_b32_e32 v31, 0x78, v31
	v_min_u32_e32 v1, v1, v31
	v_sub_u32_e32 v66, v96, v98
	v_sub_u32_e32 v31, v97, v96
	v_sub_u32_e64 v31, v1, v31 clamp
	v_min_u32_e32 v99, v1, v66
	v_cmp_lt_u32_e64 s[12:13], v31, v99
	; wave barrier
	s_and_saveexec_b64 s[28:29], s[12:13]
	s_cbranch_execz .LBB1001_1137
; %bb.1128:
	v_lshlrev_b32_e32 v66, 3, v98
	v_mov_b32_e32 v67, 0
	v_lshl_add_u64 v[68:69], v[64:65], 0, v[66:67]
	v_lshlrev_b32_e32 v66, 3, v96
	v_lshl_add_u64 v[70:71], v[64:65], 0, v[66:67]
	s_mov_b64 s[30:31], 0
	s_branch .LBB1001_1131
.LBB1001_1129:                          ;   in Loop: Header=BB1001_1131 Depth=1
	s_or_b64 exec, exec, s[36:37]
	s_and_b64 s[12:13], s[38:39], exec
.LBB1001_1130:                          ;   in Loop: Header=BB1001_1131 Depth=1
	s_or_b64 exec, exec, s[34:35]
	v_add_u32_e32 v66, 1, v80
	v_cndmask_b32_e64 v99, v99, v80, s[12:13]
	v_cndmask_b32_e64 v31, v66, v31, s[12:13]
	v_cmp_ge_u32_e64 s[12:13], v31, v99
	s_or_b64 s[30:31], s[12:13], s[30:31]
	s_andn2_b64 exec, exec, s[30:31]
	s_cbranch_execz .LBB1001_1136
.LBB1001_1131:                          ; =>This Loop Header: Depth=1
                                        ;     Child Loop BB1001_1134 Depth 2
	v_add_u32_e32 v66, v99, v31
	v_lshrrev_b32_e32 v80, 1, v66
	s_mov_b64 s[12:13], 0
	s_and_saveexec_b64 s[34:35], s[16:17]
	s_cbranch_execz .LBB1001_1130
; %bb.1132:                             ;   in Loop: Header=BB1001_1131 Depth=1
	v_mov_b32_e32 v81, v67
	v_xad_u32 v66, v80, -1, v1
	v_lshl_add_u64 v[82:83], v[80:81], 3, v[68:69]
	v_lshl_add_u64 v[84:85], v[66:67], 3, v[70:71]
	flat_load_dwordx2 v[82:83], v[82:83]
	s_mov_b64 s[36:37], 0
	flat_load_dwordx2 v[84:85], v[84:85]
                                        ; implicit-def: $sgpr38_sgpr39
                                        ; implicit-def: $sgpr40_sgpr41
                                        ; implicit-def: $sgpr42_sgpr43
                                        ; implicit-def: $sgpr18_sgpr19
                                        ; implicit-def: $sgpr44_sgpr45
	s_waitcnt vmcnt(0) lgkmcnt(0)
	v_mul_lo_u32 v66, v82, v7
	v_mul_lo_u32 v81, v83, v6
	v_mad_u64_u32 v[82:83], s[12:13], v82, v6, v[8:9]
	v_mul_lo_u32 v86, v84, v7
	v_mul_lo_u32 v87, v85, v6
	v_mad_u64_u32 v[84:85], s[12:13], v84, v6, v[8:9]
	v_add3_u32 v83, v81, v83, v66
	v_add3_u32 v85, v87, v85, v86
	v_mov_b64_e32 v[86:87], v[6:7]
	s_branch .LBB1001_1134
.LBB1001_1133:                          ;   in Loop: Header=BB1001_1134 Depth=2
	s_or_b64 exec, exec, s[46:47]
	s_and_b64 s[12:13], exec, s[40:41]
	s_or_b64 s[36:37], s[12:13], s[36:37]
	s_andn2_b64 s[12:13], s[44:45], exec
	s_and_b64 s[44:45], s[42:43], exec
	s_or_b64 s[44:45], s[12:13], s[44:45]
	s_andn2_b64 s[12:13], s[38:39], exec
	s_and_b64 s[38:39], s[18:19], exec
	s_or_b64 s[38:39], s[12:13], s[38:39]
	s_andn2_b64 exec, exec, s[36:37]
	s_cbranch_execz .LBB1001_1129
.LBB1001_1134:                          ;   Parent Loop BB1001_1131 Depth=1
                                        ; =>  This Inner Loop Header: Depth=2
	flat_load_ubyte v66, v[84:85]
	flat_load_ubyte v81, v[82:83]
	s_andn2_b64 s[46:47], s[18:19], exec
	s_andn2_b64 s[42:43], s[42:43], exec
	s_or_b64 s[40:41], s[40:41], exec
	s_waitcnt vmcnt(0) lgkmcnt(0)
	v_cmp_eq_u16_e64 s[12:13], 0, v66
	v_cmp_ne_u16_e64 s[18:19], 0, v81
	s_or_b64 s[50:51], s[12:13], s[18:19]
	s_and_b64 s[48:49], s[12:13], s[18:19]
	s_xor_b64 s[12:13], s[12:13], s[18:19]
	s_and_b64 s[18:19], s[50:51], s[44:45]
	s_or_b64 s[48:49], s[48:49], s[18:19]
	s_and_b64 s[18:19], s[48:49], exec
	s_or_b64 s[18:19], s[46:47], s[18:19]
	s_and_saveexec_b64 s[46:47], s[12:13]
	s_cbranch_execz .LBB1001_1133
; %bb.1135:                             ;   in Loop: Header=BB1001_1134 Depth=2
	v_lshl_add_u64 v[86:87], v[86:87], 0, -1
	v_cmp_eq_u64_e64 s[12:13], 0, v[86:87]
	s_andn2_b64 s[42:43], s[42:43], exec
	s_and_b64 s[44:45], s[48:49], exec
	s_andn2_b64 s[40:41], s[40:41], exec
	s_and_b64 s[12:13], s[12:13], exec
	v_lshl_add_u64 v[82:83], v[82:83], 0, 1
	v_lshl_add_u64 v[84:85], v[84:85], 0, 1
	s_andn2_b64 s[18:19], s[18:19], exec
	s_or_b64 s[42:43], s[42:43], s[44:45]
	s_or_b64 s[40:41], s[40:41], s[12:13]
                                        ; implicit-def: $sgpr44_sgpr45
	s_branch .LBB1001_1133
.LBB1001_1136:
	s_or_b64 exec, exec, s[30:31]
.LBB1001_1137:
	s_or_b64 exec, exec, s[28:29]
	v_add_u32_e32 v1, v96, v1
	v_add_u32_e32 v66, v31, v98
	v_sub_u32_e32 v68, v1, v31
	v_cmp_le_u32_e64 s[12:13], v66, v96
	v_cmp_le_u32_e64 s[18:19], v68, v97
	s_or_b64 s[12:13], s[12:13], s[18:19]
	s_and_saveexec_b64 s[28:29], s[12:13]
	s_cbranch_execz .LBB1001_1209
; %bb.1138:
	v_cmp_ge_u32_e64 s[18:19], v66, v96
	v_cmp_lt_u32_e64 s[12:13], v66, v96
                                        ; implicit-def: $vgpr12_vgpr13
	s_and_saveexec_b64 s[30:31], s[12:13]
	s_cbranch_execz .LBB1001_1140
; %bb.1139:
	v_mov_b32_e32 v67, 0
	v_lshl_add_u64 v[12:13], v[66:67], 3, v[64:65]
	flat_load_dwordx2 v[12:13], v[12:13]
.LBB1001_1140:
	s_or_b64 exec, exec, s[30:31]
	v_cmp_ge_u32_e64 s[30:31], v68, v97
	v_cmp_lt_u32_e64 s[12:13], v68, v97
                                        ; implicit-def: $vgpr14_vgpr15
	s_and_saveexec_b64 s[34:35], s[12:13]
	s_cbranch_execz .LBB1001_1142
; %bb.1141:
	v_mov_b32_e32 v69, 0
	v_lshl_add_u64 v[14:15], v[68:69], 3, v[64:65]
	flat_load_dwordx2 v[14:15], v[14:15]
.LBB1001_1142:
	s_or_b64 exec, exec, s[34:35]
	s_or_b64 s[12:13], s[18:19], s[30:31]
	s_xor_b64 s[12:13], s[12:13], -1
	s_and_saveexec_b64 s[34:35], s[12:13]
	s_cbranch_execz .LBB1001_1150
; %bb.1143:
	s_mov_b64 s[12:13], 0
	s_and_saveexec_b64 s[36:37], s[16:17]
	s_cbranch_execz .LBB1001_1149
; %bb.1144:
	s_waitcnt vmcnt(0) lgkmcnt(0)
	v_mad_u64_u32 v[16:17], s[12:13], v12, v6, v[8:9]
	v_mul_lo_u32 v1, v12, v7
	v_mul_lo_u32 v18, v13, v6
	v_add3_u32 v17, v18, v17, v1
	v_mad_u64_u32 v[18:19], s[12:13], v14, v6, v[8:9]
	v_mul_lo_u32 v1, v14, v7
	v_mul_lo_u32 v20, v15, v6
	v_add3_u32 v19, v20, v19, v1
	s_mov_b64 s[38:39], 0
	v_mov_b64_e32 v[20:21], v[6:7]
                                        ; implicit-def: $sgpr40_sgpr41
                                        ; implicit-def: $sgpr42_sgpr43
                                        ; implicit-def: $sgpr44_sgpr45
                                        ; implicit-def: $sgpr18_sgpr19
                                        ; implicit-def: $sgpr46_sgpr47
	s_branch .LBB1001_1146
.LBB1001_1145:                          ;   in Loop: Header=BB1001_1146 Depth=1
	s_or_b64 exec, exec, s[48:49]
	s_and_b64 s[12:13], exec, s[42:43]
	s_or_b64 s[38:39], s[12:13], s[38:39]
	s_andn2_b64 s[12:13], s[46:47], exec
	s_and_b64 s[46:47], s[44:45], exec
	s_or_b64 s[46:47], s[12:13], s[46:47]
	s_andn2_b64 s[12:13], s[40:41], exec
	s_and_b64 s[40:41], s[18:19], exec
	s_or_b64 s[40:41], s[12:13], s[40:41]
	s_andn2_b64 exec, exec, s[38:39]
	s_cbranch_execz .LBB1001_1148
.LBB1001_1146:                          ; =>This Inner Loop Header: Depth=1
	flat_load_ubyte v1, v[18:19]
	flat_load_ubyte v22, v[16:17]
	s_andn2_b64 s[48:49], s[18:19], exec
	s_andn2_b64 s[44:45], s[44:45], exec
	s_or_b64 s[42:43], s[42:43], exec
	s_waitcnt vmcnt(0) lgkmcnt(0)
	v_cmp_eq_u16_e64 s[12:13], 0, v1
	v_cmp_ne_u16_e64 s[18:19], 0, v22
	s_or_b64 s[52:53], s[12:13], s[18:19]
	s_and_b64 s[50:51], s[12:13], s[18:19]
	s_xor_b64 s[12:13], s[12:13], s[18:19]
	s_and_b64 s[18:19], s[52:53], s[46:47]
	s_or_b64 s[50:51], s[50:51], s[18:19]
	s_and_b64 s[18:19], s[50:51], exec
	s_or_b64 s[18:19], s[48:49], s[18:19]
	s_and_saveexec_b64 s[48:49], s[12:13]
	s_cbranch_execz .LBB1001_1145
; %bb.1147:                             ;   in Loop: Header=BB1001_1146 Depth=1
	v_lshl_add_u64 v[20:21], v[20:21], 0, -1
	v_cmp_eq_u64_e64 s[12:13], 0, v[20:21]
	s_andn2_b64 s[44:45], s[44:45], exec
	s_and_b64 s[46:47], s[50:51], exec
	s_andn2_b64 s[42:43], s[42:43], exec
	s_and_b64 s[12:13], s[12:13], exec
	v_lshl_add_u64 v[16:17], v[16:17], 0, 1
	v_lshl_add_u64 v[18:19], v[18:19], 0, 1
	s_andn2_b64 s[18:19], s[18:19], exec
	s_or_b64 s[44:45], s[44:45], s[46:47]
	s_or_b64 s[42:43], s[42:43], s[12:13]
                                        ; implicit-def: $sgpr46_sgpr47
	s_branch .LBB1001_1145
.LBB1001_1148:
	s_or_b64 exec, exec, s[38:39]
	s_and_b64 s[12:13], s[40:41], exec
.LBB1001_1149:
	s_or_b64 exec, exec, s[36:37]
	s_xor_b64 s[12:13], s[12:13], -1
	s_andn2_b64 s[18:19], s[30:31], exec
	s_and_b64 s[12:13], s[12:13], exec
	s_or_b64 s[30:31], s[18:19], s[12:13]
.LBB1001_1150:
	s_or_b64 exec, exec, s[34:35]
	v_cndmask_b32_e64 v1, v68, v66, s[30:31]
	v_cndmask_b32_e64 v16, v97, v96, s[30:31]
	v_add_u32_e32 v1, 1, v1
	v_add_u32_e32 v16, -1, v16
	v_min_u32_e32 v16, v1, v16
	v_mov_b32_e32 v17, 0
	v_lshl_add_u64 v[18:19], v[16:17], 3, v[64:65]
	flat_load_dwordx2 v[18:19], v[18:19]
	v_cndmask_b32_e64 v27, v1, v68, s[30:31]
	s_mov_b64 s[34:35], -1
	v_cndmask_b32_e64 v31, v66, v1, s[30:31]
	v_cmp_lt_u32_e64 s[12:13], v27, v97
	s_mov_b64 s[36:37], -1
	s_waitcnt vmcnt(0) lgkmcnt(0)
	v_cndmask_b32_e64 v1, v19, v15, s[30:31]
	v_cndmask_b32_e64 v24, v18, v14, s[30:31]
	;; [unrolled: 1-line block ×4, first 2 shown]
	s_and_saveexec_b64 s[38:39], s[12:13]
	s_cbranch_execz .LBB1001_1160
; %bb.1151:
	v_cmp_lt_u32_e64 s[12:13], v31, v96
	s_mov_b64 s[18:19], 0
	s_and_saveexec_b64 s[36:37], s[12:13]
	s_cbranch_execz .LBB1001_1159
; %bb.1152:
	s_mov_b64 s[12:13], 0
	s_and_saveexec_b64 s[40:41], s[16:17]
	s_cbranch_execz .LBB1001_1158
; %bb.1153:
	v_mad_u64_u32 v[18:19], s[12:13], v26, v6, v[8:9]
	v_mul_lo_u32 v16, v26, v7
	v_mul_lo_u32 v20, v25, v6
	v_add3_u32 v19, v20, v19, v16
	v_mad_u64_u32 v[20:21], s[12:13], v24, v6, v[8:9]
	v_mul_lo_u32 v16, v24, v7
	v_mul_lo_u32 v22, v1, v6
	v_add3_u32 v21, v22, v21, v16
	s_mov_b64 s[42:43], 0
	v_mov_b64_e32 v[22:23], v[6:7]
                                        ; implicit-def: $sgpr44_sgpr45
                                        ; implicit-def: $sgpr46_sgpr47
                                        ; implicit-def: $sgpr48_sgpr49
                                        ; implicit-def: $sgpr18_sgpr19
                                        ; implicit-def: $sgpr50_sgpr51
	s_branch .LBB1001_1155
.LBB1001_1154:                          ;   in Loop: Header=BB1001_1155 Depth=1
	s_or_b64 exec, exec, s[52:53]
	s_and_b64 s[12:13], exec, s[46:47]
	s_or_b64 s[42:43], s[12:13], s[42:43]
	s_andn2_b64 s[12:13], s[50:51], exec
	s_and_b64 s[50:51], s[48:49], exec
	s_or_b64 s[50:51], s[12:13], s[50:51]
	s_andn2_b64 s[12:13], s[44:45], exec
	s_and_b64 s[44:45], s[18:19], exec
	s_or_b64 s[44:45], s[12:13], s[44:45]
	s_andn2_b64 exec, exec, s[42:43]
	s_cbranch_execz .LBB1001_1157
.LBB1001_1155:                          ; =>This Inner Loop Header: Depth=1
	flat_load_ubyte v16, v[20:21]
	flat_load_ubyte v66, v[18:19]
	s_andn2_b64 s[52:53], s[18:19], exec
	s_andn2_b64 s[48:49], s[48:49], exec
	s_or_b64 s[46:47], s[46:47], exec
	s_waitcnt vmcnt(0) lgkmcnt(0)
	v_cmp_eq_u16_e64 s[12:13], 0, v16
	v_cmp_ne_u16_e64 s[18:19], 0, v66
	s_or_b64 s[56:57], s[12:13], s[18:19]
	s_and_b64 s[54:55], s[12:13], s[18:19]
	s_xor_b64 s[12:13], s[12:13], s[18:19]
	s_and_b64 s[18:19], s[56:57], s[50:51]
	s_or_b64 s[54:55], s[54:55], s[18:19]
	s_and_b64 s[18:19], s[54:55], exec
	s_or_b64 s[18:19], s[52:53], s[18:19]
	s_and_saveexec_b64 s[52:53], s[12:13]
	s_cbranch_execz .LBB1001_1154
; %bb.1156:                             ;   in Loop: Header=BB1001_1155 Depth=1
	v_lshl_add_u64 v[22:23], v[22:23], 0, -1
	v_cmp_eq_u64_e64 s[12:13], 0, v[22:23]
	s_andn2_b64 s[48:49], s[48:49], exec
	s_and_b64 s[50:51], s[54:55], exec
	s_andn2_b64 s[46:47], s[46:47], exec
	s_and_b64 s[12:13], s[12:13], exec
	v_lshl_add_u64 v[18:19], v[18:19], 0, 1
	v_lshl_add_u64 v[20:21], v[20:21], 0, 1
	s_andn2_b64 s[18:19], s[18:19], exec
	s_or_b64 s[48:49], s[48:49], s[50:51]
	s_or_b64 s[46:47], s[46:47], s[12:13]
                                        ; implicit-def: $sgpr50_sgpr51
	s_branch .LBB1001_1154
.LBB1001_1157:
	s_or_b64 exec, exec, s[42:43]
	s_and_b64 s[12:13], s[44:45], exec
.LBB1001_1158:
	s_or_b64 exec, exec, s[40:41]
	s_xor_b64 s[12:13], s[12:13], -1
	s_and_b64 s[18:19], s[12:13], exec
.LBB1001_1159:
	s_or_b64 exec, exec, s[36:37]
	s_orn2_b64 s[36:37], s[18:19], exec
.LBB1001_1160:
	s_or_b64 exec, exec, s[38:39]
	v_cndmask_b32_e64 v16, v27, v31, s[36:37]
	v_cndmask_b32_e64 v18, v97, v96, s[36:37]
	v_add_u32_e32 v19, 1, v16
	v_add_u32_e32 v16, -1, v18
	v_min_u32_e32 v16, v19, v16
	v_lshl_add_u64 v[16:17], v[16:17], 3, v[64:65]
	flat_load_dwordx2 v[16:17], v[16:17]
	v_cndmask_b32_e64 v22, v19, v27, s[36:37]
	v_cndmask_b32_e64 v23, v31, v19, s[36:37]
	v_cmp_lt_u32_e64 s[12:13], v22, v97
	s_waitcnt vmcnt(0) lgkmcnt(0)
	v_cndmask_b32_e64 v27, v17, v1, s[36:37]
	v_cndmask_b32_e64 v31, v16, v24, s[36:37]
	;; [unrolled: 1-line block ×4, first 2 shown]
	s_and_saveexec_b64 s[38:39], s[12:13]
	s_cbranch_execz .LBB1001_1168
; %bb.1161:
	v_cmp_lt_u32_e64 s[34:35], v23, v96
	s_and_b64 s[12:13], s[34:35], s[26:27]
	s_and_saveexec_b64 s[40:41], s[12:13]
	s_cbranch_execz .LBB1001_1167
; %bb.1162:
	v_mad_u64_u32 v[16:17], s[12:13], v67, v6, v[8:9]
	v_mul_lo_u32 v18, v67, v7
	v_mul_lo_u32 v19, v66, v6
	v_add3_u32 v17, v19, v17, v18
	v_mad_u64_u32 v[18:19], s[12:13], v31, v6, v[8:9]
	v_mul_lo_u32 v20, v31, v7
	v_mul_lo_u32 v21, v27, v6
	v_add3_u32 v19, v21, v19, v20
	s_mov_b64 s[42:43], 0
	v_mov_b64_e32 v[20:21], v[6:7]
                                        ; implicit-def: $sgpr44_sgpr45
                                        ; implicit-def: $sgpr46_sgpr47
                                        ; implicit-def: $sgpr18_sgpr19
                                        ; implicit-def: $sgpr48_sgpr49
                                        ; implicit-def: $sgpr50_sgpr51
	s_branch .LBB1001_1164
.LBB1001_1163:                          ;   in Loop: Header=BB1001_1164 Depth=1
	s_or_b64 exec, exec, s[52:53]
	s_and_b64 s[12:13], exec, s[46:47]
	s_or_b64 s[42:43], s[12:13], s[42:43]
	s_andn2_b64 s[12:13], s[50:51], exec
	s_and_b64 s[50:51], s[48:49], exec
	s_or_b64 s[50:51], s[12:13], s[50:51]
	s_andn2_b64 s[12:13], s[44:45], exec
	s_and_b64 s[44:45], s[18:19], exec
	s_or_b64 s[44:45], s[12:13], s[44:45]
	s_andn2_b64 exec, exec, s[42:43]
	s_cbranch_execz .LBB1001_1166
.LBB1001_1164:                          ; =>This Inner Loop Header: Depth=1
	flat_load_ubyte v68, v[18:19]
	flat_load_ubyte v69, v[16:17]
	s_andn2_b64 s[52:53], s[18:19], exec
	s_andn2_b64 s[48:49], s[48:49], exec
	s_or_b64 s[46:47], s[46:47], exec
	s_waitcnt vmcnt(0) lgkmcnt(0)
	v_cmp_eq_u16_e64 s[12:13], 0, v68
	v_cmp_ne_u16_e64 s[18:19], 0, v69
	s_or_b64 s[56:57], s[12:13], s[18:19]
	s_and_b64 s[54:55], s[12:13], s[18:19]
	s_xor_b64 s[12:13], s[12:13], s[18:19]
	s_and_b64 s[18:19], s[56:57], s[50:51]
	s_or_b64 s[54:55], s[54:55], s[18:19]
	s_and_b64 s[18:19], s[54:55], exec
	s_or_b64 s[18:19], s[52:53], s[18:19]
	s_and_saveexec_b64 s[52:53], s[12:13]
	s_cbranch_execz .LBB1001_1163
; %bb.1165:                             ;   in Loop: Header=BB1001_1164 Depth=1
	v_lshl_add_u64 v[20:21], v[20:21], 0, -1
	v_cmp_eq_u64_e64 s[12:13], 0, v[20:21]
	s_andn2_b64 s[48:49], s[48:49], exec
	s_and_b64 s[50:51], s[54:55], exec
	s_andn2_b64 s[46:47], s[46:47], exec
	s_and_b64 s[12:13], s[12:13], exec
	v_lshl_add_u64 v[16:17], v[16:17], 0, 1
	v_lshl_add_u64 v[18:19], v[18:19], 0, 1
	s_or_b64 s[48:49], s[48:49], s[50:51]
	s_andn2_b64 s[18:19], s[18:19], exec
	s_or_b64 s[46:47], s[46:47], s[12:13]
                                        ; implicit-def: $sgpr50_sgpr51
	s_branch .LBB1001_1163
.LBB1001_1166:
	s_or_b64 exec, exec, s[42:43]
	s_xor_b64 s[12:13], s[44:45], -1
	s_andn2_b64 s[18:19], s[34:35], exec
	s_and_b64 s[12:13], s[12:13], exec
	s_or_b64 s[34:35], s[18:19], s[12:13]
.LBB1001_1167:
	s_or_b64 exec, exec, s[40:41]
	s_orn2_b64 s[34:35], s[34:35], exec
.LBB1001_1168:
	s_or_b64 exec, exec, s[38:39]
	v_cndmask_b32_e64 v16, v22, v23, s[34:35]
	v_cndmask_b32_e64 v17, v97, v96, s[34:35]
	v_add_u32_e32 v20, 1, v16
	v_add_u32_e32 v16, -1, v17
	v_min_u32_e32 v16, v20, v16
	v_mov_b32_e32 v17, 0
	v_lshl_add_u64 v[18:19], v[16:17], 3, v[64:65]
	flat_load_dwordx2 v[18:19], v[18:19]
	v_cndmask_b32_e64 v80, v20, v22, s[34:35]
	s_mov_b64 s[38:39], -1
	v_cndmask_b32_e64 v81, v23, v20, s[34:35]
	v_cmp_lt_u32_e64 s[12:13], v80, v97
	s_mov_b64 s[40:41], -1
	s_waitcnt vmcnt(0) lgkmcnt(0)
	v_cndmask_b32_e64 v68, v19, v27, s[34:35]
	v_cndmask_b32_e64 v69, v18, v31, s[34:35]
	;; [unrolled: 1-line block ×4, first 2 shown]
	s_and_saveexec_b64 s[42:43], s[12:13]
	s_cbranch_execz .LBB1001_1176
; %bb.1169:
	v_cmp_lt_u32_e64 s[40:41], v81, v96
	s_and_b64 s[12:13], s[40:41], s[26:27]
	s_and_saveexec_b64 s[44:45], s[12:13]
	s_cbranch_execz .LBB1001_1175
; %bb.1170:
	v_mad_u64_u32 v[18:19], s[12:13], v71, v6, v[8:9]
	v_mul_lo_u32 v16, v71, v7
	v_mul_lo_u32 v20, v70, v6
	v_add3_u32 v19, v20, v19, v16
	v_mad_u64_u32 v[20:21], s[12:13], v69, v6, v[8:9]
	v_mul_lo_u32 v16, v69, v7
	v_mul_lo_u32 v22, v68, v6
	v_add3_u32 v21, v22, v21, v16
	s_mov_b64 s[46:47], 0
	v_mov_b64_e32 v[22:23], v[6:7]
                                        ; implicit-def: $sgpr48_sgpr49
                                        ; implicit-def: $sgpr50_sgpr51
                                        ; implicit-def: $sgpr18_sgpr19
                                        ; implicit-def: $sgpr52_sgpr53
                                        ; implicit-def: $sgpr54_sgpr55
	s_branch .LBB1001_1172
.LBB1001_1171:                          ;   in Loop: Header=BB1001_1172 Depth=1
	s_or_b64 exec, exec, s[56:57]
	s_and_b64 s[12:13], exec, s[50:51]
	s_or_b64 s[46:47], s[12:13], s[46:47]
	s_andn2_b64 s[12:13], s[54:55], exec
	s_and_b64 s[54:55], s[52:53], exec
	s_or_b64 s[54:55], s[12:13], s[54:55]
	s_andn2_b64 s[12:13], s[48:49], exec
	s_and_b64 s[48:49], s[18:19], exec
	s_or_b64 s[48:49], s[12:13], s[48:49]
	s_andn2_b64 exec, exec, s[46:47]
	s_cbranch_execz .LBB1001_1174
.LBB1001_1172:                          ; =>This Inner Loop Header: Depth=1
	flat_load_ubyte v16, v[20:21]
	flat_load_ubyte v82, v[18:19]
	s_andn2_b64 s[56:57], s[18:19], exec
	s_andn2_b64 s[52:53], s[52:53], exec
	s_or_b64 s[50:51], s[50:51], exec
	s_waitcnt vmcnt(0) lgkmcnt(0)
	v_cmp_eq_u16_e64 s[12:13], 0, v16
	v_cmp_ne_u16_e64 s[18:19], 0, v82
	s_or_b64 s[60:61], s[12:13], s[18:19]
	s_and_b64 s[58:59], s[12:13], s[18:19]
	s_xor_b64 s[12:13], s[12:13], s[18:19]
	s_and_b64 s[18:19], s[60:61], s[54:55]
	s_or_b64 s[58:59], s[58:59], s[18:19]
	s_and_b64 s[18:19], s[58:59], exec
	s_or_b64 s[18:19], s[56:57], s[18:19]
	s_and_saveexec_b64 s[56:57], s[12:13]
	s_cbranch_execz .LBB1001_1171
; %bb.1173:                             ;   in Loop: Header=BB1001_1172 Depth=1
	v_lshl_add_u64 v[22:23], v[22:23], 0, -1
	v_cmp_eq_u64_e64 s[12:13], 0, v[22:23]
	s_andn2_b64 s[52:53], s[52:53], exec
	s_and_b64 s[54:55], s[58:59], exec
	s_andn2_b64 s[50:51], s[50:51], exec
	s_and_b64 s[12:13], s[12:13], exec
	v_lshl_add_u64 v[18:19], v[18:19], 0, 1
	v_lshl_add_u64 v[20:21], v[20:21], 0, 1
	s_or_b64 s[52:53], s[52:53], s[54:55]
	s_andn2_b64 s[18:19], s[18:19], exec
	s_or_b64 s[50:51], s[50:51], s[12:13]
                                        ; implicit-def: $sgpr54_sgpr55
	s_branch .LBB1001_1171
.LBB1001_1174:
	s_or_b64 exec, exec, s[46:47]
	s_xor_b64 s[12:13], s[48:49], -1
	s_andn2_b64 s[18:19], s[40:41], exec
	s_and_b64 s[12:13], s[12:13], exec
	s_or_b64 s[40:41], s[18:19], s[12:13]
.LBB1001_1175:
	s_or_b64 exec, exec, s[44:45]
	s_orn2_b64 s[40:41], s[40:41], exec
.LBB1001_1176:
	s_or_b64 exec, exec, s[42:43]
	v_cndmask_b32_e64 v16, v80, v81, s[40:41]
	v_cndmask_b32_e64 v18, v97, v96, s[40:41]
	v_add_u32_e32 v19, 1, v16
	v_add_u32_e32 v16, -1, v18
	v_min_u32_e32 v16, v19, v16
	v_lshl_add_u64 v[16:17], v[16:17], 3, v[64:65]
	flat_load_dwordx2 v[16:17], v[16:17]
	v_cndmask_b32_e64 v22, v19, v80, s[40:41]
	v_cndmask_b32_e64 v23, v81, v19, s[40:41]
	v_cmp_lt_u32_e64 s[12:13], v22, v97
	s_waitcnt vmcnt(0) lgkmcnt(0)
	v_cndmask_b32_e64 v80, v17, v68, s[40:41]
	v_cndmask_b32_e64 v81, v16, v69, s[40:41]
	;; [unrolled: 1-line block ×4, first 2 shown]
	s_and_saveexec_b64 s[42:43], s[12:13]
	s_cbranch_execz .LBB1001_1184
; %bb.1177:
	v_cmp_lt_u32_e64 s[38:39], v23, v96
	s_and_b64 s[12:13], s[38:39], s[26:27]
	s_and_saveexec_b64 s[44:45], s[12:13]
	s_cbranch_execz .LBB1001_1183
; %bb.1178:
	v_mad_u64_u32 v[16:17], s[12:13], v83, v6, v[8:9]
	v_mul_lo_u32 v18, v83, v7
	v_mul_lo_u32 v19, v82, v6
	v_add3_u32 v17, v19, v17, v18
	v_mad_u64_u32 v[18:19], s[12:13], v81, v6, v[8:9]
	v_mul_lo_u32 v20, v81, v7
	v_mul_lo_u32 v21, v80, v6
	v_add3_u32 v19, v21, v19, v20
	s_mov_b64 s[46:47], 0
	v_mov_b64_e32 v[20:21], v[6:7]
                                        ; implicit-def: $sgpr48_sgpr49
                                        ; implicit-def: $sgpr50_sgpr51
                                        ; implicit-def: $sgpr18_sgpr19
                                        ; implicit-def: $sgpr52_sgpr53
                                        ; implicit-def: $sgpr54_sgpr55
	s_branch .LBB1001_1180
.LBB1001_1179:                          ;   in Loop: Header=BB1001_1180 Depth=1
	s_or_b64 exec, exec, s[56:57]
	s_and_b64 s[12:13], exec, s[50:51]
	s_or_b64 s[46:47], s[12:13], s[46:47]
	s_andn2_b64 s[12:13], s[54:55], exec
	s_and_b64 s[54:55], s[52:53], exec
	s_or_b64 s[54:55], s[12:13], s[54:55]
	s_andn2_b64 s[12:13], s[48:49], exec
	s_and_b64 s[48:49], s[18:19], exec
	s_or_b64 s[48:49], s[12:13], s[48:49]
	s_andn2_b64 exec, exec, s[46:47]
	s_cbranch_execz .LBB1001_1182
.LBB1001_1180:                          ; =>This Inner Loop Header: Depth=1
	flat_load_ubyte v84, v[18:19]
	flat_load_ubyte v85, v[16:17]
	s_andn2_b64 s[56:57], s[18:19], exec
	s_andn2_b64 s[52:53], s[52:53], exec
	s_or_b64 s[50:51], s[50:51], exec
	s_waitcnt vmcnt(0) lgkmcnt(0)
	v_cmp_eq_u16_e64 s[12:13], 0, v84
	v_cmp_ne_u16_e64 s[18:19], 0, v85
	s_or_b64 s[60:61], s[12:13], s[18:19]
	s_and_b64 s[58:59], s[12:13], s[18:19]
	s_xor_b64 s[12:13], s[12:13], s[18:19]
	s_and_b64 s[18:19], s[60:61], s[54:55]
	s_or_b64 s[58:59], s[58:59], s[18:19]
	s_and_b64 s[18:19], s[58:59], exec
	s_or_b64 s[18:19], s[56:57], s[18:19]
	s_and_saveexec_b64 s[56:57], s[12:13]
	s_cbranch_execz .LBB1001_1179
; %bb.1181:                             ;   in Loop: Header=BB1001_1180 Depth=1
	v_lshl_add_u64 v[20:21], v[20:21], 0, -1
	v_cmp_eq_u64_e64 s[12:13], 0, v[20:21]
	s_andn2_b64 s[52:53], s[52:53], exec
	s_and_b64 s[54:55], s[58:59], exec
	s_andn2_b64 s[50:51], s[50:51], exec
	s_and_b64 s[12:13], s[12:13], exec
	v_lshl_add_u64 v[16:17], v[16:17], 0, 1
	v_lshl_add_u64 v[18:19], v[18:19], 0, 1
	s_or_b64 s[52:53], s[52:53], s[54:55]
	s_andn2_b64 s[18:19], s[18:19], exec
	s_or_b64 s[50:51], s[50:51], s[12:13]
                                        ; implicit-def: $sgpr54_sgpr55
	s_branch .LBB1001_1179
.LBB1001_1182:
	s_or_b64 exec, exec, s[46:47]
	s_xor_b64 s[12:13], s[48:49], -1
	s_andn2_b64 s[18:19], s[38:39], exec
	s_and_b64 s[12:13], s[12:13], exec
	s_or_b64 s[38:39], s[18:19], s[12:13]
.LBB1001_1183:
	s_or_b64 exec, exec, s[44:45]
	s_orn2_b64 s[38:39], s[38:39], exec
.LBB1001_1184:
	s_or_b64 exec, exec, s[42:43]
	v_cndmask_b32_e64 v16, v22, v23, s[38:39]
	v_cndmask_b32_e64 v17, v97, v96, s[38:39]
	v_add_u32_e32 v20, 1, v16
	v_add_u32_e32 v16, -1, v17
	v_min_u32_e32 v16, v20, v16
	v_mov_b32_e32 v17, 0
	v_lshl_add_u64 v[18:19], v[16:17], 3, v[64:65]
	flat_load_dwordx2 v[18:19], v[18:19]
	v_cndmask_b32_e64 v98, v20, v22, s[38:39]
	s_mov_b64 s[42:43], -1
	v_cndmask_b32_e64 v99, v23, v20, s[38:39]
	v_cmp_lt_u32_e64 s[12:13], v98, v97
	s_mov_b64 s[44:45], -1
	s_waitcnt vmcnt(0) lgkmcnt(0)
	v_cndmask_b32_e64 v84, v19, v80, s[38:39]
	v_cndmask_b32_e64 v85, v18, v81, s[38:39]
	v_cndmask_b32_e64 v86, v82, v19, s[38:39]
	v_cndmask_b32_e64 v87, v83, v18, s[38:39]
	s_and_saveexec_b64 s[46:47], s[12:13]
	s_cbranch_execz .LBB1001_1192
; %bb.1185:
	v_cmp_lt_u32_e64 s[44:45], v99, v96
	s_and_b64 s[12:13], s[44:45], s[26:27]
	s_and_saveexec_b64 s[48:49], s[12:13]
	s_cbranch_execz .LBB1001_1191
; %bb.1186:
	v_mad_u64_u32 v[18:19], s[12:13], v87, v6, v[8:9]
	v_mul_lo_u32 v16, v87, v7
	v_mul_lo_u32 v20, v86, v6
	v_add3_u32 v19, v20, v19, v16
	v_mad_u64_u32 v[20:21], s[12:13], v85, v6, v[8:9]
	v_mul_lo_u32 v16, v85, v7
	v_mul_lo_u32 v22, v84, v6
	v_add3_u32 v21, v22, v21, v16
	s_mov_b64 s[50:51], 0
	v_mov_b64_e32 v[22:23], v[6:7]
                                        ; implicit-def: $sgpr52_sgpr53
                                        ; implicit-def: $sgpr54_sgpr55
                                        ; implicit-def: $sgpr18_sgpr19
                                        ; implicit-def: $sgpr56_sgpr57
                                        ; implicit-def: $sgpr58_sgpr59
	s_branch .LBB1001_1188
.LBB1001_1187:                          ;   in Loop: Header=BB1001_1188 Depth=1
	s_or_b64 exec, exec, s[60:61]
	s_and_b64 s[12:13], exec, s[54:55]
	s_or_b64 s[50:51], s[12:13], s[50:51]
	s_andn2_b64 s[12:13], s[58:59], exec
	s_and_b64 s[58:59], s[56:57], exec
	s_or_b64 s[58:59], s[12:13], s[58:59]
	s_andn2_b64 s[12:13], s[52:53], exec
	s_and_b64 s[52:53], s[18:19], exec
	s_or_b64 s[52:53], s[12:13], s[52:53]
	s_andn2_b64 exec, exec, s[50:51]
	s_cbranch_execz .LBB1001_1190
.LBB1001_1188:                          ; =>This Inner Loop Header: Depth=1
	flat_load_ubyte v16, v[20:21]
	flat_load_ubyte v100, v[18:19]
	s_andn2_b64 s[60:61], s[18:19], exec
	s_andn2_b64 s[56:57], s[56:57], exec
	s_or_b64 s[54:55], s[54:55], exec
	s_waitcnt vmcnt(0) lgkmcnt(0)
	v_cmp_eq_u16_e64 s[12:13], 0, v16
	v_cmp_ne_u16_e64 s[18:19], 0, v100
	s_or_b64 s[64:65], s[12:13], s[18:19]
	s_and_b64 s[62:63], s[12:13], s[18:19]
	s_xor_b64 s[12:13], s[12:13], s[18:19]
	s_and_b64 s[18:19], s[64:65], s[58:59]
	s_or_b64 s[62:63], s[62:63], s[18:19]
	s_and_b64 s[18:19], s[62:63], exec
	s_or_b64 s[18:19], s[60:61], s[18:19]
	s_and_saveexec_b64 s[60:61], s[12:13]
	s_cbranch_execz .LBB1001_1187
; %bb.1189:                             ;   in Loop: Header=BB1001_1188 Depth=1
	v_lshl_add_u64 v[22:23], v[22:23], 0, -1
	v_cmp_eq_u64_e64 s[12:13], 0, v[22:23]
	s_andn2_b64 s[56:57], s[56:57], exec
	s_and_b64 s[58:59], s[62:63], exec
	s_andn2_b64 s[54:55], s[54:55], exec
	s_and_b64 s[12:13], s[12:13], exec
	v_lshl_add_u64 v[18:19], v[18:19], 0, 1
	v_lshl_add_u64 v[20:21], v[20:21], 0, 1
	s_or_b64 s[56:57], s[56:57], s[58:59]
	s_andn2_b64 s[18:19], s[18:19], exec
	s_or_b64 s[54:55], s[54:55], s[12:13]
                                        ; implicit-def: $sgpr58_sgpr59
	s_branch .LBB1001_1187
.LBB1001_1190:
	s_or_b64 exec, exec, s[50:51]
	s_xor_b64 s[12:13], s[52:53], -1
	s_andn2_b64 s[18:19], s[44:45], exec
	s_and_b64 s[12:13], s[12:13], exec
	s_or_b64 s[44:45], s[18:19], s[12:13]
.LBB1001_1191:
	s_or_b64 exec, exec, s[48:49]
	s_orn2_b64 s[44:45], s[44:45], exec
.LBB1001_1192:
	s_or_b64 exec, exec, s[46:47]
	v_cndmask_b32_e64 v16, v98, v99, s[44:45]
	v_cndmask_b32_e64 v18, v97, v96, s[44:45]
	v_add_u32_e32 v19, 1, v16
	v_add_u32_e32 v16, -1, v18
	v_min_u32_e32 v16, v19, v16
	v_lshl_add_u64 v[16:17], v[16:17], 3, v[64:65]
	flat_load_dwordx2 v[16:17], v[16:17]
	v_cndmask_b32_e64 v101, v19, v98, s[44:45]
	v_cndmask_b32_e64 v98, v99, v19, s[44:45]
	v_cmp_lt_u32_e64 s[12:13], v101, v97
	s_waitcnt vmcnt(0) lgkmcnt(0)
	v_cndmask_b32_e64 v99, v17, v84, s[44:45]
	v_cndmask_b32_e64 v100, v16, v85, s[44:45]
	;; [unrolled: 1-line block ×4, first 2 shown]
	s_and_saveexec_b64 s[46:47], s[12:13]
	s_cbranch_execz .LBB1001_1200
; %bb.1193:
	v_cmp_lt_u32_e64 s[42:43], v98, v96
	s_and_b64 s[12:13], s[42:43], s[26:27]
	s_and_saveexec_b64 s[48:49], s[12:13]
	s_cbranch_execz .LBB1001_1199
; %bb.1194:
	v_mad_u64_u32 v[16:17], s[12:13], v103, v6, v[8:9]
	v_mul_lo_u32 v18, v103, v7
	v_mul_lo_u32 v19, v102, v6
	v_add3_u32 v17, v19, v17, v18
	v_mad_u64_u32 v[18:19], s[12:13], v100, v6, v[8:9]
	v_mul_lo_u32 v20, v100, v7
	v_mul_lo_u32 v21, v99, v6
	v_add3_u32 v19, v21, v19, v20
	s_mov_b64 s[50:51], 0
	v_mov_b64_e32 v[20:21], v[6:7]
                                        ; implicit-def: $sgpr52_sgpr53
                                        ; implicit-def: $sgpr54_sgpr55
                                        ; implicit-def: $sgpr18_sgpr19
                                        ; implicit-def: $sgpr56_sgpr57
                                        ; implicit-def: $sgpr58_sgpr59
	s_branch .LBB1001_1196
.LBB1001_1195:                          ;   in Loop: Header=BB1001_1196 Depth=1
	s_or_b64 exec, exec, s[60:61]
	s_and_b64 s[12:13], exec, s[54:55]
	s_or_b64 s[50:51], s[12:13], s[50:51]
	s_andn2_b64 s[12:13], s[58:59], exec
	s_and_b64 s[58:59], s[56:57], exec
	s_or_b64 s[58:59], s[12:13], s[58:59]
	s_andn2_b64 s[12:13], s[52:53], exec
	s_and_b64 s[52:53], s[18:19], exec
	s_or_b64 s[52:53], s[12:13], s[52:53]
	s_andn2_b64 exec, exec, s[50:51]
	s_cbranch_execz .LBB1001_1198
.LBB1001_1196:                          ; =>This Inner Loop Header: Depth=1
	flat_load_ubyte v22, v[18:19]
	flat_load_ubyte v23, v[16:17]
	s_andn2_b64 s[60:61], s[18:19], exec
	s_andn2_b64 s[56:57], s[56:57], exec
	s_or_b64 s[54:55], s[54:55], exec
	s_waitcnt vmcnt(0) lgkmcnt(0)
	v_cmp_eq_u16_e64 s[12:13], 0, v22
	v_cmp_ne_u16_e64 s[18:19], 0, v23
	s_or_b64 s[64:65], s[12:13], s[18:19]
	s_and_b64 s[62:63], s[12:13], s[18:19]
	s_xor_b64 s[12:13], s[12:13], s[18:19]
	s_and_b64 s[18:19], s[64:65], s[58:59]
	s_or_b64 s[62:63], s[62:63], s[18:19]
	s_and_b64 s[18:19], s[62:63], exec
	s_or_b64 s[18:19], s[60:61], s[18:19]
	s_and_saveexec_b64 s[60:61], s[12:13]
	s_cbranch_execz .LBB1001_1195
; %bb.1197:                             ;   in Loop: Header=BB1001_1196 Depth=1
	v_lshl_add_u64 v[20:21], v[20:21], 0, -1
	v_cmp_eq_u64_e64 s[12:13], 0, v[20:21]
	s_andn2_b64 s[56:57], s[56:57], exec
	s_and_b64 s[58:59], s[62:63], exec
	s_andn2_b64 s[54:55], s[54:55], exec
	s_and_b64 s[12:13], s[12:13], exec
	v_lshl_add_u64 v[16:17], v[16:17], 0, 1
	v_lshl_add_u64 v[18:19], v[18:19], 0, 1
	s_or_b64 s[56:57], s[56:57], s[58:59]
	s_andn2_b64 s[18:19], s[18:19], exec
	s_or_b64 s[54:55], s[54:55], s[12:13]
                                        ; implicit-def: $sgpr58_sgpr59
	s_branch .LBB1001_1195
.LBB1001_1198:
	s_or_b64 exec, exec, s[50:51]
	s_xor_b64 s[12:13], s[52:53], -1
	s_andn2_b64 s[18:19], s[42:43], exec
	s_and_b64 s[12:13], s[12:13], exec
	s_or_b64 s[42:43], s[18:19], s[12:13]
.LBB1001_1199:
	s_or_b64 exec, exec, s[48:49]
	s_orn2_b64 s[42:43], s[42:43], exec
.LBB1001_1200:
	s_or_b64 exec, exec, s[46:47]
	v_cndmask_b32_e64 v16, v101, v98, s[42:43]
	v_cndmask_b32_e64 v17, v97, v96, s[42:43]
	v_add_u32_e32 v112, 1, v16
	v_add_u32_e32 v16, -1, v17
	v_min_u32_e32 v16, v112, v16
	v_mov_b32_e32 v17, 0
	v_lshl_add_u64 v[16:17], v[16:17], 3, v[64:65]
	flat_load_dwordx2 v[64:65], v[16:17]
	v_cndmask_b32_e64 v21, v27, v66, s[34:35]
	v_cndmask_b32_e64 v27, v1, v25, s[36:37]
	;; [unrolled: 1-line block ×15, first 2 shown]
	v_cmp_lt_u32_e64 s[12:13], v1, v97
	s_waitcnt vmcnt(0) lgkmcnt(0)
	v_cndmask_b32_e64 v15, v102, v65, s[42:43]
	v_cndmask_b32_e64 v14, v103, v64, s[42:43]
	s_and_saveexec_b64 s[30:31], s[12:13]
	s_cbranch_execz .LBB1001_1208
; %bb.1201:
	v_cndmask_b32_e64 v31, v64, v100, s[42:43]
	v_cndmask_b32_e64 v64, v98, v112, s[42:43]
	v_cmp_ge_u32_e64 s[12:13], v64, v96
	v_cndmask_b32_e64 v1, v65, v99, s[42:43]
	s_or_b64 s[18:19], s[12:13], s[8:9]
	v_cndmask_b32_e64 v65, v15, v1, s[12:13]
	s_xor_b64 s[18:19], s[18:19], -1
	v_cndmask_b32_e64 v64, v14, v31, s[12:13]
	s_and_saveexec_b64 s[34:35], s[18:19]
	s_cbranch_execz .LBB1001_1207
; %bb.1202:
	v_mad_u64_u32 v[64:65], s[12:13], v14, v6, v[8:9]
	v_mul_lo_u32 v66, v14, v7
	v_mul_lo_u32 v67, v15, v6
	v_add3_u32 v65, v67, v65, v66
	v_mad_u64_u32 v[66:67], s[12:13], v31, v6, v[8:9]
	v_mul_lo_u32 v68, v31, v7
	v_mul_lo_u32 v69, v1, v6
	v_add3_u32 v67, v69, v67, v68
	s_mov_b64 s[36:37], 0
	v_mov_b64_e32 v[68:69], v[6:7]
                                        ; implicit-def: $sgpr38_sgpr39
                                        ; implicit-def: $sgpr40_sgpr41
                                        ; implicit-def: $sgpr18_sgpr19
                                        ; implicit-def: $sgpr42_sgpr43
                                        ; implicit-def: $sgpr44_sgpr45
	s_branch .LBB1001_1204
.LBB1001_1203:                          ;   in Loop: Header=BB1001_1204 Depth=1
	s_or_b64 exec, exec, s[46:47]
	s_and_b64 s[12:13], exec, s[40:41]
	s_or_b64 s[36:37], s[12:13], s[36:37]
	s_andn2_b64 s[12:13], s[44:45], exec
	s_and_b64 s[44:45], s[42:43], exec
	s_or_b64 s[44:45], s[12:13], s[44:45]
	s_andn2_b64 s[12:13], s[38:39], exec
	s_and_b64 s[38:39], s[18:19], exec
	s_or_b64 s[38:39], s[12:13], s[38:39]
	s_andn2_b64 exec, exec, s[36:37]
	s_cbranch_execz .LBB1001_1206
.LBB1001_1204:                          ; =>This Inner Loop Header: Depth=1
	flat_load_ubyte v70, v[66:67]
	flat_load_ubyte v71, v[64:65]
	s_andn2_b64 s[46:47], s[18:19], exec
	s_andn2_b64 s[42:43], s[42:43], exec
	s_or_b64 s[40:41], s[40:41], exec
	s_waitcnt vmcnt(0) lgkmcnt(0)
	v_cmp_eq_u16_e64 s[12:13], 0, v70
	v_cmp_ne_u16_e64 s[18:19], 0, v71
	s_or_b64 s[50:51], s[12:13], s[18:19]
	s_and_b64 s[48:49], s[12:13], s[18:19]
	s_xor_b64 s[12:13], s[12:13], s[18:19]
	s_and_b64 s[18:19], s[50:51], s[44:45]
	s_or_b64 s[48:49], s[48:49], s[18:19]
	s_and_b64 s[18:19], s[48:49], exec
	s_or_b64 s[18:19], s[46:47], s[18:19]
	s_and_saveexec_b64 s[46:47], s[12:13]
	s_cbranch_execz .LBB1001_1203
; %bb.1205:                             ;   in Loop: Header=BB1001_1204 Depth=1
	v_lshl_add_u64 v[68:69], v[68:69], 0, -1
	v_cmp_eq_u64_e64 s[12:13], 0, v[68:69]
	s_andn2_b64 s[42:43], s[42:43], exec
	s_and_b64 s[44:45], s[48:49], exec
	s_andn2_b64 s[40:41], s[40:41], exec
	s_and_b64 s[12:13], s[12:13], exec
	v_lshl_add_u64 v[64:65], v[64:65], 0, 1
	v_lshl_add_u64 v[66:67], v[66:67], 0, 1
	s_or_b64 s[42:43], s[42:43], s[44:45]
	s_andn2_b64 s[18:19], s[18:19], exec
	s_or_b64 s[40:41], s[40:41], s[12:13]
                                        ; implicit-def: $sgpr44_sgpr45
	s_branch .LBB1001_1203
.LBB1001_1206:
	s_or_b64 exec, exec, s[36:37]
	v_cndmask_b32_e64 v65, v15, v1, s[38:39]
	v_cndmask_b32_e64 v64, v14, v31, s[38:39]
.LBB1001_1207:
	s_or_b64 exec, exec, s[34:35]
	v_mov_b64_e32 v[14:15], v[64:65]
.LBB1001_1208:
	s_or_b64 exec, exec, s[30:31]
.LBB1001_1209:
	s_or_b64 exec, exec, s[28:29]
	s_movk_i32 s68, 0x80
	v_cmp_lt_u32_e64 s[12:13], s68, v0
	; wave barrier
	s_waitcnt lgkmcnt(0)
	s_barrier
	s_and_saveexec_b64 s[28:29], s[12:13]
	s_cbranch_execz .LBB1001_1295
; %bb.1210:
	v_lshlrev_b32_e32 v64, 3, v30
	v_mov_b32_e32 v65, 0
	v_lshl_add_u64 v[66:67], v[10:11], 0, v[64:65]
	s_mov_b64 s[30:31], 0
	s_branch .LBB1001_1215
.LBB1001_1211:                          ;   in Loop: Header=BB1001_1215 Depth=1
	s_or_b64 exec, exec, s[54:55]
	v_cndmask_b32_e64 v17, v15, v1, s[56:57]
	v_cndmask_b32_e64 v16, v14, v64, s[56:57]
.LBB1001_1212:                          ;   in Loop: Header=BB1001_1215 Depth=1
	s_or_b64 exec, exec, s[52:53]
	v_mov_b64_e32 v[14:15], v[16:17]
.LBB1001_1213:                          ;   in Loop: Header=BB1001_1215 Depth=1
	s_or_b64 exec, exec, s[50:51]
	v_cndmask_b32_e64 v19, v96, v98, s[48:49]
	v_cndmask_b32_e64 v18, v97, v99, s[48:49]
	;; [unrolled: 1-line block ×14, first 2 shown]
.LBB1001_1214:                          ;   in Loop: Header=BB1001_1215 Depth=1
	s_or_b64 exec, exec, s[34:35]
	v_cmp_ge_u32_e64 s[12:13], s68, v0
	s_or_b64 s[30:31], s[12:13], s[30:31]
	s_barrier
	s_andn2_b64 exec, exec, s[30:31]
	s_cbranch_execz .LBB1001_1294
.LBB1001_1215:                          ; =>This Loop Header: Depth=1
                                        ;     Child Loop BB1001_1219 Depth 2
                                        ;       Child Loop BB1001_1222 Depth 3
                                        ;     Child Loop BB1001_1234 Depth 2
                                        ;     Child Loop BB1001_1243 Depth 2
	;; [unrolled: 1-line block ×8, first 2 shown]
	s_mov_b32 s12, s68
	s_lshl_b32 s68, s68, 1
	s_sub_i32 s18, 0, s68
	v_and_b32_e32 v31, s18, v30
	v_add_u32_e32 v1, s12, v31
	v_min_u32_e32 v68, v1, v0
	s_add_i32 s13, s68, -1
	v_add_u32_e32 v1, s12, v68
	v_min_u32_e32 v1, v1, v0
	v_and_b32_e32 v64, s13, v30
	v_min_u32_e32 v98, v64, v0
	v_sub_u32_e32 v64, v68, v31
	v_sub_u32_e32 v69, v1, v68
	v_sub_u32_e64 v99, v98, v69 clamp
	v_min_u32_e32 v100, v98, v64
	v_cmp_lt_u32_e64 s[12:13], v99, v100
	flat_store_dwordx4 v[66:67], v[24:27]
	flat_store_dwordx4 v[66:67], v[20:23] offset:16
	flat_store_dwordx4 v[66:67], v[16:19] offset:32
	;; [unrolled: 1-line block ×3, first 2 shown]
	s_waitcnt lgkmcnt(0)
	s_barrier
	s_and_saveexec_b64 s[34:35], s[12:13]
	s_cbranch_execz .LBB1001_1225
; %bb.1216:                             ;   in Loop: Header=BB1001_1215 Depth=1
	v_lshlrev_b32_e32 v64, 3, v31
	v_mov_b32_e32 v69, v65
	v_lshl_add_u64 v[70:71], v[10:11], 0, v[64:65]
	v_lshl_add_u64 v[80:81], v[68:69], 3, v[10:11]
	s_mov_b64 s[36:37], 0
	s_branch .LBB1001_1219
.LBB1001_1217:                          ;   in Loop: Header=BB1001_1219 Depth=2
	s_or_b64 exec, exec, s[40:41]
	s_and_b64 s[12:13], s[42:43], exec
.LBB1001_1218:                          ;   in Loop: Header=BB1001_1219 Depth=2
	s_or_b64 exec, exec, s[38:39]
	v_add_u32_e32 v64, 1, v82
	v_cndmask_b32_e64 v100, v100, v82, s[12:13]
	v_cndmask_b32_e64 v99, v64, v99, s[12:13]
	v_cmp_ge_u32_e64 s[12:13], v99, v100
	s_or_b64 s[36:37], s[12:13], s[36:37]
	s_andn2_b64 exec, exec, s[36:37]
	s_cbranch_execz .LBB1001_1224
.LBB1001_1219:                          ;   Parent Loop BB1001_1215 Depth=1
                                        ; =>  This Loop Header: Depth=2
                                        ;       Child Loop BB1001_1222 Depth 3
	v_add_u32_e32 v64, v100, v99
	v_lshrrev_b32_e32 v82, 1, v64
	s_mov_b64 s[12:13], 0
	s_and_saveexec_b64 s[38:39], s[16:17]
	s_cbranch_execz .LBB1001_1218
; %bb.1220:                             ;   in Loop: Header=BB1001_1219 Depth=2
	v_mov_b32_e32 v83, v65
	v_xad_u32 v64, v82, -1, v98
	v_lshl_add_u64 v[84:85], v[82:83], 3, v[70:71]
	v_lshl_add_u64 v[86:87], v[64:65], 3, v[80:81]
	flat_load_dwordx2 v[84:85], v[84:85]
	s_mov_b64 s[40:41], 0
	flat_load_dwordx2 v[86:87], v[86:87]
                                        ; implicit-def: $sgpr42_sgpr43
                                        ; implicit-def: $sgpr44_sgpr45
                                        ; implicit-def: $sgpr46_sgpr47
                                        ; implicit-def: $sgpr18_sgpr19
                                        ; implicit-def: $sgpr48_sgpr49
	s_waitcnt vmcnt(0) lgkmcnt(0)
	v_mul_lo_u32 v64, v84, v7
	v_mul_lo_u32 v69, v85, v6
	v_mad_u64_u32 v[84:85], s[12:13], v84, v6, v[8:9]
	v_mul_lo_u32 v83, v86, v7
	v_mul_lo_u32 v96, v87, v6
	v_mad_u64_u32 v[86:87], s[12:13], v86, v6, v[8:9]
	v_add3_u32 v85, v69, v85, v64
	v_add3_u32 v87, v96, v87, v83
	v_mov_b64_e32 v[96:97], v[6:7]
	s_branch .LBB1001_1222
.LBB1001_1221:                          ;   in Loop: Header=BB1001_1222 Depth=3
	s_or_b64 exec, exec, s[50:51]
	s_and_b64 s[12:13], exec, s[44:45]
	s_or_b64 s[40:41], s[12:13], s[40:41]
	s_andn2_b64 s[12:13], s[48:49], exec
	s_and_b64 s[48:49], s[46:47], exec
	s_or_b64 s[48:49], s[12:13], s[48:49]
	s_andn2_b64 s[12:13], s[42:43], exec
	s_and_b64 s[42:43], s[18:19], exec
	s_or_b64 s[42:43], s[12:13], s[42:43]
	s_andn2_b64 exec, exec, s[40:41]
	s_cbranch_execz .LBB1001_1217
.LBB1001_1222:                          ;   Parent Loop BB1001_1215 Depth=1
                                        ;     Parent Loop BB1001_1219 Depth=2
                                        ; =>    This Inner Loop Header: Depth=3
	flat_load_ubyte v64, v[86:87]
	flat_load_ubyte v69, v[84:85]
	s_andn2_b64 s[50:51], s[18:19], exec
	s_andn2_b64 s[46:47], s[46:47], exec
	s_or_b64 s[44:45], s[44:45], exec
	s_waitcnt vmcnt(0) lgkmcnt(0)
	v_cmp_eq_u16_e64 s[12:13], 0, v64
	v_cmp_ne_u16_e64 s[18:19], 0, v69
	s_or_b64 s[54:55], s[12:13], s[18:19]
	s_and_b64 s[52:53], s[12:13], s[18:19]
	s_xor_b64 s[12:13], s[12:13], s[18:19]
	s_and_b64 s[18:19], s[54:55], s[48:49]
	s_or_b64 s[52:53], s[52:53], s[18:19]
	s_and_b64 s[18:19], s[52:53], exec
	s_or_b64 s[18:19], s[50:51], s[18:19]
	s_and_saveexec_b64 s[50:51], s[12:13]
	s_cbranch_execz .LBB1001_1221
; %bb.1223:                             ;   in Loop: Header=BB1001_1222 Depth=3
	v_lshl_add_u64 v[96:97], v[96:97], 0, -1
	v_cmp_eq_u64_e64 s[12:13], 0, v[96:97]
	s_andn2_b64 s[46:47], s[46:47], exec
	s_and_b64 s[48:49], s[52:53], exec
	s_andn2_b64 s[44:45], s[44:45], exec
	s_and_b64 s[12:13], s[12:13], exec
	v_lshl_add_u64 v[84:85], v[84:85], 0, 1
	v_lshl_add_u64 v[86:87], v[86:87], 0, 1
	s_andn2_b64 s[18:19], s[18:19], exec
	s_or_b64 s[46:47], s[46:47], s[48:49]
	s_or_b64 s[44:45], s[44:45], s[12:13]
                                        ; implicit-def: $sgpr48_sgpr49
	s_branch .LBB1001_1221
.LBB1001_1224:                          ;   in Loop: Header=BB1001_1215 Depth=1
	s_or_b64 exec, exec, s[36:37]
.LBB1001_1225:                          ;   in Loop: Header=BB1001_1215 Depth=1
	s_or_b64 exec, exec, s[34:35]
	v_sub_u32_e32 v64, v98, v99
	v_add_u32_e32 v70, v99, v31
	v_add_u32_e32 v80, v64, v68
	v_cmp_le_u32_e64 s[12:13], v70, v68
	v_cmp_le_u32_e64 s[18:19], v80, v1
	s_or_b64 s[12:13], s[12:13], s[18:19]
	s_and_saveexec_b64 s[34:35], s[12:13]
	s_cbranch_execz .LBB1001_1214
; %bb.1226:                             ;   in Loop: Header=BB1001_1215 Depth=1
	v_cmp_ge_u32_e64 s[18:19], v70, v68
	v_cmp_lt_u32_e64 s[12:13], v70, v68
                                        ; implicit-def: $vgpr12_vgpr13
	s_and_saveexec_b64 s[36:37], s[12:13]
	s_cbranch_execz .LBB1001_1228
; %bb.1227:                             ;   in Loop: Header=BB1001_1215 Depth=1
	v_mov_b32_e32 v71, v65
	v_lshl_add_u64 v[12:13], v[70:71], 3, v[10:11]
	flat_load_dwordx2 v[12:13], v[12:13]
.LBB1001_1228:                          ;   in Loop: Header=BB1001_1215 Depth=1
	s_or_b64 exec, exec, s[36:37]
	v_cmp_ge_u32_e64 s[36:37], v80, v1
	v_cmp_lt_u32_e64 s[12:13], v80, v1
                                        ; implicit-def: $vgpr24_vgpr25
	s_and_saveexec_b64 s[38:39], s[12:13]
	s_cbranch_execz .LBB1001_1230
; %bb.1229:                             ;   in Loop: Header=BB1001_1215 Depth=1
	v_mov_b32_e32 v81, v65
	v_lshl_add_u64 v[14:15], v[80:81], 3, v[10:11]
	flat_load_dwordx2 v[24:25], v[14:15]
.LBB1001_1230:                          ;   in Loop: Header=BB1001_1215 Depth=1
	s_or_b64 exec, exec, s[38:39]
	s_or_b64 s[12:13], s[18:19], s[36:37]
	s_xor_b64 s[12:13], s[12:13], -1
	s_and_saveexec_b64 s[38:39], s[12:13]
	s_cbranch_execz .LBB1001_1238
; %bb.1231:                             ;   in Loop: Header=BB1001_1215 Depth=1
	s_mov_b64 s[12:13], 0
	s_and_saveexec_b64 s[40:41], s[16:17]
	s_cbranch_execz .LBB1001_1237
; %bb.1232:                             ;   in Loop: Header=BB1001_1215 Depth=1
	s_waitcnt vmcnt(0) lgkmcnt(0)
	v_mad_u64_u32 v[14:15], s[12:13], v12, v6, v[8:9]
	v_mul_lo_u32 v16, v12, v7
	v_mul_lo_u32 v17, v13, v6
	v_add3_u32 v15, v17, v15, v16
	v_mad_u64_u32 v[16:17], s[12:13], v24, v6, v[8:9]
	v_mul_lo_u32 v18, v24, v7
	v_mul_lo_u32 v19, v25, v6
	v_add3_u32 v17, v19, v17, v18
	s_mov_b64 s[42:43], 0
	v_mov_b64_e32 v[18:19], v[6:7]
                                        ; implicit-def: $sgpr44_sgpr45
                                        ; implicit-def: $sgpr46_sgpr47
                                        ; implicit-def: $sgpr48_sgpr49
                                        ; implicit-def: $sgpr18_sgpr19
                                        ; implicit-def: $sgpr50_sgpr51
	s_branch .LBB1001_1234
.LBB1001_1233:                          ;   in Loop: Header=BB1001_1234 Depth=2
	s_or_b64 exec, exec, s[52:53]
	s_and_b64 s[12:13], exec, s[46:47]
	s_or_b64 s[42:43], s[12:13], s[42:43]
	s_andn2_b64 s[12:13], s[50:51], exec
	s_and_b64 s[50:51], s[48:49], exec
	s_or_b64 s[50:51], s[12:13], s[50:51]
	s_andn2_b64 s[12:13], s[44:45], exec
	s_and_b64 s[44:45], s[18:19], exec
	s_or_b64 s[44:45], s[12:13], s[44:45]
	s_andn2_b64 exec, exec, s[42:43]
	s_cbranch_execz .LBB1001_1236
.LBB1001_1234:                          ;   Parent Loop BB1001_1215 Depth=1
                                        ; =>  This Inner Loop Header: Depth=2
	flat_load_ubyte v20, v[16:17]
	flat_load_ubyte v21, v[14:15]
	s_andn2_b64 s[52:53], s[18:19], exec
	s_andn2_b64 s[48:49], s[48:49], exec
	s_or_b64 s[46:47], s[46:47], exec
	s_waitcnt vmcnt(0) lgkmcnt(0)
	v_cmp_eq_u16_e64 s[12:13], 0, v20
	v_cmp_ne_u16_e64 s[18:19], 0, v21
	s_or_b64 s[56:57], s[12:13], s[18:19]
	s_and_b64 s[54:55], s[12:13], s[18:19]
	s_xor_b64 s[12:13], s[12:13], s[18:19]
	s_and_b64 s[18:19], s[56:57], s[50:51]
	s_or_b64 s[54:55], s[54:55], s[18:19]
	s_and_b64 s[18:19], s[54:55], exec
	s_or_b64 s[18:19], s[52:53], s[18:19]
	s_and_saveexec_b64 s[52:53], s[12:13]
	s_cbranch_execz .LBB1001_1233
; %bb.1235:                             ;   in Loop: Header=BB1001_1234 Depth=2
	v_lshl_add_u64 v[18:19], v[18:19], 0, -1
	v_cmp_eq_u64_e64 s[12:13], 0, v[18:19]
	s_andn2_b64 s[48:49], s[48:49], exec
	s_and_b64 s[50:51], s[54:55], exec
	s_andn2_b64 s[46:47], s[46:47], exec
	s_and_b64 s[12:13], s[12:13], exec
	v_lshl_add_u64 v[14:15], v[14:15], 0, 1
	v_lshl_add_u64 v[16:17], v[16:17], 0, 1
	s_andn2_b64 s[18:19], s[18:19], exec
	s_or_b64 s[48:49], s[48:49], s[50:51]
	s_or_b64 s[46:47], s[46:47], s[12:13]
                                        ; implicit-def: $sgpr50_sgpr51
	s_branch .LBB1001_1233
.LBB1001_1236:                          ;   in Loop: Header=BB1001_1215 Depth=1
	s_or_b64 exec, exec, s[42:43]
	s_and_b64 s[12:13], s[44:45], exec
.LBB1001_1237:                          ;   in Loop: Header=BB1001_1215 Depth=1
	s_or_b64 exec, exec, s[40:41]
	s_xor_b64 s[12:13], s[12:13], -1
	s_andn2_b64 s[18:19], s[36:37], exec
	s_and_b64 s[12:13], s[12:13], exec
	s_or_b64 s[36:37], s[18:19], s[12:13]
.LBB1001_1238:                          ;   in Loop: Header=BB1001_1215 Depth=1
	s_or_b64 exec, exec, s[38:39]
	v_cndmask_b32_e64 v14, v80, v70, s[36:37]
	v_cndmask_b32_e64 v15, v1, v68, s[36:37]
	v_add_u32_e32 v16, 1, v14
	v_add_u32_e32 v14, -1, v15
	v_min_u32_e32 v64, v16, v14
	v_lshl_add_u64 v[14:15], v[64:65], 3, v[10:11]
	flat_load_dwordx2 v[14:15], v[14:15]
	v_cndmask_b32_e64 v20, v16, v80, s[36:37]
	s_mov_b64 s[38:39], -1
	v_cndmask_b32_e64 v21, v70, v16, s[36:37]
	v_cmp_lt_u32_e64 s[12:13], v20, v1
	s_mov_b64 s[40:41], -1
	s_waitcnt vmcnt(0) lgkmcnt(0)
	v_cndmask_b32_e64 v26, v15, v25, s[36:37]
	v_cndmask_b32_e64 v31, v14, v24, s[36:37]
	;; [unrolled: 1-line block ×4, first 2 shown]
	s_and_saveexec_b64 s[42:43], s[12:13]
	s_cbranch_execz .LBB1001_1248
; %bb.1239:                             ;   in Loop: Header=BB1001_1215 Depth=1
	v_cmp_lt_u32_e64 s[12:13], v21, v68
	s_mov_b64 s[18:19], 0
	s_and_saveexec_b64 s[40:41], s[12:13]
	s_cbranch_execz .LBB1001_1247
; %bb.1240:                             ;   in Loop: Header=BB1001_1215 Depth=1
	s_mov_b64 s[12:13], 0
	s_and_saveexec_b64 s[44:45], s[16:17]
	s_cbranch_execz .LBB1001_1246
; %bb.1241:                             ;   in Loop: Header=BB1001_1215 Depth=1
	v_mad_u64_u32 v[14:15], s[12:13], v69, v6, v[8:9]
	v_mul_lo_u32 v16, v69, v7
	v_mul_lo_u32 v17, v27, v6
	v_add3_u32 v15, v17, v15, v16
	v_mad_u64_u32 v[16:17], s[12:13], v31, v6, v[8:9]
	v_mul_lo_u32 v18, v31, v7
	v_mul_lo_u32 v19, v26, v6
	v_add3_u32 v17, v19, v17, v18
	s_mov_b64 s[46:47], 0
	v_mov_b64_e32 v[18:19], v[6:7]
                                        ; implicit-def: $sgpr48_sgpr49
                                        ; implicit-def: $sgpr50_sgpr51
                                        ; implicit-def: $sgpr52_sgpr53
                                        ; implicit-def: $sgpr18_sgpr19
                                        ; implicit-def: $sgpr54_sgpr55
	s_branch .LBB1001_1243
.LBB1001_1242:                          ;   in Loop: Header=BB1001_1243 Depth=2
	s_or_b64 exec, exec, s[56:57]
	s_and_b64 s[12:13], exec, s[50:51]
	s_or_b64 s[46:47], s[12:13], s[46:47]
	s_andn2_b64 s[12:13], s[54:55], exec
	s_and_b64 s[54:55], s[52:53], exec
	s_or_b64 s[54:55], s[12:13], s[54:55]
	s_andn2_b64 s[12:13], s[48:49], exec
	s_and_b64 s[48:49], s[18:19], exec
	s_or_b64 s[48:49], s[12:13], s[48:49]
	s_andn2_b64 exec, exec, s[46:47]
	s_cbranch_execz .LBB1001_1245
.LBB1001_1243:                          ;   Parent Loop BB1001_1215 Depth=1
                                        ; =>  This Inner Loop Header: Depth=2
	flat_load_ubyte v22, v[16:17]
	flat_load_ubyte v23, v[14:15]
	s_andn2_b64 s[56:57], s[18:19], exec
	s_andn2_b64 s[52:53], s[52:53], exec
	s_or_b64 s[50:51], s[50:51], exec
	s_waitcnt vmcnt(0) lgkmcnt(0)
	v_cmp_eq_u16_e64 s[12:13], 0, v22
	v_cmp_ne_u16_e64 s[18:19], 0, v23
	s_or_b64 s[60:61], s[12:13], s[18:19]
	s_and_b64 s[58:59], s[12:13], s[18:19]
	s_xor_b64 s[12:13], s[12:13], s[18:19]
	s_and_b64 s[18:19], s[60:61], s[54:55]
	s_or_b64 s[58:59], s[58:59], s[18:19]
	s_and_b64 s[18:19], s[58:59], exec
	s_or_b64 s[18:19], s[56:57], s[18:19]
	s_and_saveexec_b64 s[56:57], s[12:13]
	s_cbranch_execz .LBB1001_1242
; %bb.1244:                             ;   in Loop: Header=BB1001_1243 Depth=2
	v_lshl_add_u64 v[18:19], v[18:19], 0, -1
	v_cmp_eq_u64_e64 s[12:13], 0, v[18:19]
	s_andn2_b64 s[52:53], s[52:53], exec
	s_and_b64 s[54:55], s[58:59], exec
	s_andn2_b64 s[50:51], s[50:51], exec
	s_and_b64 s[12:13], s[12:13], exec
	v_lshl_add_u64 v[14:15], v[14:15], 0, 1
	v_lshl_add_u64 v[16:17], v[16:17], 0, 1
	s_andn2_b64 s[18:19], s[18:19], exec
	s_or_b64 s[52:53], s[52:53], s[54:55]
	s_or_b64 s[50:51], s[50:51], s[12:13]
                                        ; implicit-def: $sgpr54_sgpr55
	s_branch .LBB1001_1242
.LBB1001_1245:                          ;   in Loop: Header=BB1001_1215 Depth=1
	s_or_b64 exec, exec, s[46:47]
	s_and_b64 s[12:13], s[48:49], exec
.LBB1001_1246:                          ;   in Loop: Header=BB1001_1215 Depth=1
	s_or_b64 exec, exec, s[44:45]
	s_xor_b64 s[12:13], s[12:13], -1
	s_and_b64 s[18:19], s[12:13], exec
.LBB1001_1247:                          ;   in Loop: Header=BB1001_1215 Depth=1
	s_or_b64 exec, exec, s[40:41]
	s_orn2_b64 s[40:41], s[18:19], exec
.LBB1001_1248:                          ;   in Loop: Header=BB1001_1215 Depth=1
	s_or_b64 exec, exec, s[42:43]
	v_cndmask_b32_e64 v14, v20, v21, s[40:41]
	v_cndmask_b32_e64 v15, v1, v68, s[40:41]
	v_add_u32_e32 v16, 1, v14
	v_add_u32_e32 v14, -1, v15
	v_min_u32_e32 v64, v16, v14
	v_lshl_add_u64 v[14:15], v[64:65], 3, v[10:11]
	flat_load_dwordx2 v[14:15], v[14:15]
	v_cndmask_b32_e64 v20, v16, v20, s[40:41]
	v_cndmask_b32_e64 v21, v21, v16, s[40:41]
	v_cmp_lt_u32_e64 s[12:13], v20, v1
	s_waitcnt vmcnt(0) lgkmcnt(0)
	v_cndmask_b32_e64 v70, v15, v26, s[40:41]
	v_cndmask_b32_e64 v71, v14, v31, s[40:41]
	;; [unrolled: 1-line block ×4, first 2 shown]
	s_and_saveexec_b64 s[42:43], s[12:13]
	s_cbranch_execz .LBB1001_1256
; %bb.1249:                             ;   in Loop: Header=BB1001_1215 Depth=1
	v_cmp_lt_u32_e64 s[38:39], v21, v68
	s_and_b64 s[12:13], s[38:39], s[26:27]
	s_and_saveexec_b64 s[44:45], s[12:13]
	s_cbranch_execz .LBB1001_1255
; %bb.1250:                             ;   in Loop: Header=BB1001_1215 Depth=1
	v_mad_u64_u32 v[14:15], s[12:13], v81, v6, v[8:9]
	v_mul_lo_u32 v16, v81, v7
	v_mul_lo_u32 v17, v80, v6
	v_add3_u32 v15, v17, v15, v16
	v_mad_u64_u32 v[16:17], s[12:13], v71, v6, v[8:9]
	v_mul_lo_u32 v18, v71, v7
	v_mul_lo_u32 v19, v70, v6
	v_add3_u32 v17, v19, v17, v18
	s_mov_b64 s[46:47], 0
	v_mov_b64_e32 v[18:19], v[6:7]
                                        ; implicit-def: $sgpr48_sgpr49
                                        ; implicit-def: $sgpr50_sgpr51
                                        ; implicit-def: $sgpr18_sgpr19
                                        ; implicit-def: $sgpr52_sgpr53
                                        ; implicit-def: $sgpr54_sgpr55
	s_branch .LBB1001_1252
.LBB1001_1251:                          ;   in Loop: Header=BB1001_1252 Depth=2
	s_or_b64 exec, exec, s[56:57]
	s_and_b64 s[12:13], exec, s[50:51]
	s_or_b64 s[46:47], s[12:13], s[46:47]
	s_andn2_b64 s[12:13], s[54:55], exec
	s_and_b64 s[54:55], s[52:53], exec
	s_or_b64 s[54:55], s[12:13], s[54:55]
	s_andn2_b64 s[12:13], s[48:49], exec
	s_and_b64 s[48:49], s[18:19], exec
	s_or_b64 s[48:49], s[12:13], s[48:49]
	s_andn2_b64 exec, exec, s[46:47]
	s_cbranch_execz .LBB1001_1254
.LBB1001_1252:                          ;   Parent Loop BB1001_1215 Depth=1
                                        ; =>  This Inner Loop Header: Depth=2
	flat_load_ubyte v22, v[16:17]
	flat_load_ubyte v23, v[14:15]
	s_andn2_b64 s[56:57], s[18:19], exec
	s_andn2_b64 s[52:53], s[52:53], exec
	s_or_b64 s[50:51], s[50:51], exec
	s_waitcnt vmcnt(0) lgkmcnt(0)
	v_cmp_eq_u16_e64 s[12:13], 0, v22
	v_cmp_ne_u16_e64 s[18:19], 0, v23
	s_or_b64 s[60:61], s[12:13], s[18:19]
	s_and_b64 s[58:59], s[12:13], s[18:19]
	s_xor_b64 s[12:13], s[12:13], s[18:19]
	s_and_b64 s[18:19], s[60:61], s[54:55]
	s_or_b64 s[58:59], s[58:59], s[18:19]
	s_and_b64 s[18:19], s[58:59], exec
	s_or_b64 s[18:19], s[56:57], s[18:19]
	s_and_saveexec_b64 s[56:57], s[12:13]
	s_cbranch_execz .LBB1001_1251
; %bb.1253:                             ;   in Loop: Header=BB1001_1252 Depth=2
	v_lshl_add_u64 v[18:19], v[18:19], 0, -1
	v_cmp_eq_u64_e64 s[12:13], 0, v[18:19]
	s_andn2_b64 s[52:53], s[52:53], exec
	s_and_b64 s[54:55], s[58:59], exec
	s_andn2_b64 s[50:51], s[50:51], exec
	s_and_b64 s[12:13], s[12:13], exec
	v_lshl_add_u64 v[14:15], v[14:15], 0, 1
	v_lshl_add_u64 v[16:17], v[16:17], 0, 1
	s_or_b64 s[52:53], s[52:53], s[54:55]
	s_andn2_b64 s[18:19], s[18:19], exec
	s_or_b64 s[50:51], s[50:51], s[12:13]
                                        ; implicit-def: $sgpr54_sgpr55
	s_branch .LBB1001_1251
.LBB1001_1254:                          ;   in Loop: Header=BB1001_1215 Depth=1
	s_or_b64 exec, exec, s[46:47]
	s_xor_b64 s[12:13], s[48:49], -1
	s_andn2_b64 s[18:19], s[38:39], exec
	s_and_b64 s[12:13], s[12:13], exec
	s_or_b64 s[38:39], s[18:19], s[12:13]
.LBB1001_1255:                          ;   in Loop: Header=BB1001_1215 Depth=1
	s_or_b64 exec, exec, s[44:45]
	s_orn2_b64 s[38:39], s[38:39], exec
.LBB1001_1256:                          ;   in Loop: Header=BB1001_1215 Depth=1
	s_or_b64 exec, exec, s[42:43]
	v_cndmask_b32_e64 v14, v20, v21, s[38:39]
	v_cndmask_b32_e64 v15, v1, v68, s[38:39]
	v_add_u32_e32 v16, 1, v14
	v_add_u32_e32 v14, -1, v15
	v_min_u32_e32 v64, v16, v14
	v_lshl_add_u64 v[14:15], v[64:65], 3, v[10:11]
	flat_load_dwordx2 v[14:15], v[14:15]
	v_cndmask_b32_e64 v20, v16, v20, s[38:39]
	s_mov_b64 s[42:43], -1
	v_cndmask_b32_e64 v21, v21, v16, s[38:39]
	v_cmp_lt_u32_e64 s[12:13], v20, v1
	s_mov_b64 s[44:45], -1
	s_waitcnt vmcnt(0) lgkmcnt(0)
	v_cndmask_b32_e64 v22, v15, v70, s[38:39]
	v_cndmask_b32_e64 v82, v14, v71, s[38:39]
	;; [unrolled: 1-line block ×4, first 2 shown]
	s_and_saveexec_b64 s[46:47], s[12:13]
	s_cbranch_execz .LBB1001_1264
; %bb.1257:                             ;   in Loop: Header=BB1001_1215 Depth=1
	v_cmp_lt_u32_e64 s[44:45], v21, v68
	s_and_b64 s[12:13], s[44:45], s[26:27]
	s_and_saveexec_b64 s[48:49], s[12:13]
	s_cbranch_execz .LBB1001_1263
; %bb.1258:                             ;   in Loop: Header=BB1001_1215 Depth=1
	v_mad_u64_u32 v[14:15], s[12:13], v83, v6, v[8:9]
	v_mul_lo_u32 v16, v83, v7
	v_mul_lo_u32 v17, v23, v6
	v_add3_u32 v15, v17, v15, v16
	v_mad_u64_u32 v[16:17], s[12:13], v82, v6, v[8:9]
	v_mul_lo_u32 v18, v82, v7
	v_mul_lo_u32 v19, v22, v6
	v_add3_u32 v17, v19, v17, v18
	s_mov_b64 s[50:51], 0
	v_mov_b64_e32 v[18:19], v[6:7]
                                        ; implicit-def: $sgpr52_sgpr53
                                        ; implicit-def: $sgpr54_sgpr55
                                        ; implicit-def: $sgpr18_sgpr19
                                        ; implicit-def: $sgpr56_sgpr57
                                        ; implicit-def: $sgpr58_sgpr59
	s_branch .LBB1001_1260
.LBB1001_1259:                          ;   in Loop: Header=BB1001_1260 Depth=2
	s_or_b64 exec, exec, s[60:61]
	s_and_b64 s[12:13], exec, s[54:55]
	s_or_b64 s[50:51], s[12:13], s[50:51]
	s_andn2_b64 s[12:13], s[58:59], exec
	s_and_b64 s[58:59], s[56:57], exec
	s_or_b64 s[58:59], s[12:13], s[58:59]
	s_andn2_b64 s[12:13], s[52:53], exec
	s_and_b64 s[52:53], s[18:19], exec
	s_or_b64 s[52:53], s[12:13], s[52:53]
	s_andn2_b64 exec, exec, s[50:51]
	s_cbranch_execz .LBB1001_1262
.LBB1001_1260:                          ;   Parent Loop BB1001_1215 Depth=1
                                        ; =>  This Inner Loop Header: Depth=2
	flat_load_ubyte v64, v[16:17]
	flat_load_ubyte v84, v[14:15]
	s_andn2_b64 s[60:61], s[18:19], exec
	s_andn2_b64 s[56:57], s[56:57], exec
	s_or_b64 s[54:55], s[54:55], exec
	s_waitcnt vmcnt(0) lgkmcnt(0)
	v_cmp_eq_u16_e64 s[12:13], 0, v64
	v_cmp_ne_u16_e64 s[18:19], 0, v84
	s_or_b64 s[64:65], s[12:13], s[18:19]
	s_and_b64 s[62:63], s[12:13], s[18:19]
	s_xor_b64 s[12:13], s[12:13], s[18:19]
	s_and_b64 s[18:19], s[64:65], s[58:59]
	s_or_b64 s[62:63], s[62:63], s[18:19]
	s_and_b64 s[18:19], s[62:63], exec
	s_or_b64 s[18:19], s[60:61], s[18:19]
	s_and_saveexec_b64 s[60:61], s[12:13]
	s_cbranch_execz .LBB1001_1259
; %bb.1261:                             ;   in Loop: Header=BB1001_1260 Depth=2
	v_lshl_add_u64 v[18:19], v[18:19], 0, -1
	v_cmp_eq_u64_e64 s[12:13], 0, v[18:19]
	s_andn2_b64 s[56:57], s[56:57], exec
	s_and_b64 s[58:59], s[62:63], exec
	s_andn2_b64 s[54:55], s[54:55], exec
	s_and_b64 s[12:13], s[12:13], exec
	v_lshl_add_u64 v[14:15], v[14:15], 0, 1
	v_lshl_add_u64 v[16:17], v[16:17], 0, 1
	s_or_b64 s[56:57], s[56:57], s[58:59]
	s_andn2_b64 s[18:19], s[18:19], exec
	s_or_b64 s[54:55], s[54:55], s[12:13]
                                        ; implicit-def: $sgpr58_sgpr59
	s_branch .LBB1001_1259
.LBB1001_1262:                          ;   in Loop: Header=BB1001_1215 Depth=1
	s_or_b64 exec, exec, s[50:51]
	s_xor_b64 s[12:13], s[52:53], -1
	s_andn2_b64 s[18:19], s[44:45], exec
	s_and_b64 s[12:13], s[12:13], exec
	s_or_b64 s[44:45], s[18:19], s[12:13]
.LBB1001_1263:                          ;   in Loop: Header=BB1001_1215 Depth=1
	s_or_b64 exec, exec, s[48:49]
	s_orn2_b64 s[44:45], s[44:45], exec
.LBB1001_1264:                          ;   in Loop: Header=BB1001_1215 Depth=1
	s_or_b64 exec, exec, s[46:47]
	v_cndmask_b32_e64 v14, v20, v21, s[44:45]
	v_cndmask_b32_e64 v15, v1, v68, s[44:45]
	v_add_u32_e32 v16, 1, v14
	v_add_u32_e32 v14, -1, v15
	v_min_u32_e32 v64, v16, v14
	v_lshl_add_u64 v[14:15], v[64:65], 3, v[10:11]
	flat_load_dwordx2 v[14:15], v[14:15]
	v_cndmask_b32_e64 v20, v16, v20, s[44:45]
	v_cndmask_b32_e64 v21, v21, v16, s[44:45]
	v_cmp_lt_u32_e64 s[12:13], v20, v1
	s_waitcnt vmcnt(0) lgkmcnt(0)
	v_cndmask_b32_e64 v84, v15, v22, s[44:45]
	v_cndmask_b32_e64 v85, v14, v82, s[44:45]
	;; [unrolled: 1-line block ×4, first 2 shown]
	s_and_saveexec_b64 s[46:47], s[12:13]
	s_cbranch_execz .LBB1001_1272
; %bb.1265:                             ;   in Loop: Header=BB1001_1215 Depth=1
	v_cmp_lt_u32_e64 s[42:43], v21, v68
	s_and_b64 s[12:13], s[42:43], s[26:27]
	s_and_saveexec_b64 s[48:49], s[12:13]
	s_cbranch_execz .LBB1001_1271
; %bb.1266:                             ;   in Loop: Header=BB1001_1215 Depth=1
	v_mad_u64_u32 v[14:15], s[12:13], v87, v6, v[8:9]
	v_mul_lo_u32 v16, v87, v7
	v_mul_lo_u32 v17, v86, v6
	v_add3_u32 v15, v17, v15, v16
	v_mad_u64_u32 v[16:17], s[12:13], v85, v6, v[8:9]
	v_mul_lo_u32 v18, v85, v7
	v_mul_lo_u32 v19, v84, v6
	v_add3_u32 v17, v19, v17, v18
	s_mov_b64 s[50:51], 0
	v_mov_b64_e32 v[18:19], v[6:7]
                                        ; implicit-def: $sgpr52_sgpr53
                                        ; implicit-def: $sgpr54_sgpr55
                                        ; implicit-def: $sgpr18_sgpr19
                                        ; implicit-def: $sgpr56_sgpr57
                                        ; implicit-def: $sgpr58_sgpr59
	s_branch .LBB1001_1268
.LBB1001_1267:                          ;   in Loop: Header=BB1001_1268 Depth=2
	s_or_b64 exec, exec, s[60:61]
	s_and_b64 s[12:13], exec, s[54:55]
	s_or_b64 s[50:51], s[12:13], s[50:51]
	s_andn2_b64 s[12:13], s[58:59], exec
	s_and_b64 s[58:59], s[56:57], exec
	s_or_b64 s[58:59], s[12:13], s[58:59]
	s_andn2_b64 s[12:13], s[52:53], exec
	s_and_b64 s[52:53], s[18:19], exec
	s_or_b64 s[52:53], s[12:13], s[52:53]
	s_andn2_b64 exec, exec, s[50:51]
	s_cbranch_execz .LBB1001_1270
.LBB1001_1268:                          ;   Parent Loop BB1001_1215 Depth=1
                                        ; =>  This Inner Loop Header: Depth=2
	flat_load_ubyte v64, v[16:17]
	flat_load_ubyte v96, v[14:15]
	s_andn2_b64 s[60:61], s[18:19], exec
	s_andn2_b64 s[56:57], s[56:57], exec
	s_or_b64 s[54:55], s[54:55], exec
	s_waitcnt vmcnt(0) lgkmcnt(0)
	v_cmp_eq_u16_e64 s[12:13], 0, v64
	v_cmp_ne_u16_e64 s[18:19], 0, v96
	s_or_b64 s[64:65], s[12:13], s[18:19]
	s_and_b64 s[62:63], s[12:13], s[18:19]
	s_xor_b64 s[12:13], s[12:13], s[18:19]
	s_and_b64 s[18:19], s[64:65], s[58:59]
	s_or_b64 s[62:63], s[62:63], s[18:19]
	s_and_b64 s[18:19], s[62:63], exec
	s_or_b64 s[18:19], s[60:61], s[18:19]
	s_and_saveexec_b64 s[60:61], s[12:13]
	s_cbranch_execz .LBB1001_1267
; %bb.1269:                             ;   in Loop: Header=BB1001_1268 Depth=2
	v_lshl_add_u64 v[18:19], v[18:19], 0, -1
	v_cmp_eq_u64_e64 s[12:13], 0, v[18:19]
	s_andn2_b64 s[56:57], s[56:57], exec
	s_and_b64 s[58:59], s[62:63], exec
	s_andn2_b64 s[54:55], s[54:55], exec
	s_and_b64 s[12:13], s[12:13], exec
	v_lshl_add_u64 v[14:15], v[14:15], 0, 1
	v_lshl_add_u64 v[16:17], v[16:17], 0, 1
	s_or_b64 s[56:57], s[56:57], s[58:59]
	s_andn2_b64 s[18:19], s[18:19], exec
	s_or_b64 s[54:55], s[54:55], s[12:13]
                                        ; implicit-def: $sgpr58_sgpr59
	s_branch .LBB1001_1267
.LBB1001_1270:                          ;   in Loop: Header=BB1001_1215 Depth=1
	s_or_b64 exec, exec, s[50:51]
	s_xor_b64 s[12:13], s[52:53], -1
	s_andn2_b64 s[18:19], s[42:43], exec
	s_and_b64 s[12:13], s[12:13], exec
	s_or_b64 s[42:43], s[18:19], s[12:13]
.LBB1001_1271:                          ;   in Loop: Header=BB1001_1215 Depth=1
	s_or_b64 exec, exec, s[48:49]
	s_orn2_b64 s[42:43], s[42:43], exec
.LBB1001_1272:                          ;   in Loop: Header=BB1001_1215 Depth=1
	s_or_b64 exec, exec, s[46:47]
	v_cndmask_b32_e64 v14, v20, v21, s[42:43]
	v_cndmask_b32_e64 v15, v1, v68, s[42:43]
	v_add_u32_e32 v16, 1, v14
	v_add_u32_e32 v14, -1, v15
	v_min_u32_e32 v64, v16, v14
	v_lshl_add_u64 v[14:15], v[64:65], 3, v[10:11]
	flat_load_dwordx2 v[14:15], v[14:15]
	v_cndmask_b32_e64 v20, v16, v20, s[42:43]
	s_mov_b64 s[46:47], -1
	v_cndmask_b32_e64 v21, v21, v16, s[42:43]
	v_cmp_lt_u32_e64 s[12:13], v20, v1
	s_mov_b64 s[48:49], -1
	s_waitcnt vmcnt(0) lgkmcnt(0)
	v_cndmask_b32_e64 v96, v15, v84, s[42:43]
	v_cndmask_b32_e64 v97, v14, v85, s[42:43]
	;; [unrolled: 1-line block ×4, first 2 shown]
	s_and_saveexec_b64 s[50:51], s[12:13]
	s_cbranch_execz .LBB1001_1280
; %bb.1273:                             ;   in Loop: Header=BB1001_1215 Depth=1
	v_cmp_lt_u32_e64 s[48:49], v21, v68
	s_and_b64 s[12:13], s[48:49], s[26:27]
	s_and_saveexec_b64 s[52:53], s[12:13]
	s_cbranch_execz .LBB1001_1279
; %bb.1274:                             ;   in Loop: Header=BB1001_1215 Depth=1
	v_mad_u64_u32 v[14:15], s[12:13], v99, v6, v[8:9]
	v_mul_lo_u32 v16, v99, v7
	v_mul_lo_u32 v17, v98, v6
	v_add3_u32 v15, v17, v15, v16
	v_mad_u64_u32 v[16:17], s[12:13], v97, v6, v[8:9]
	v_mul_lo_u32 v18, v97, v7
	v_mul_lo_u32 v19, v96, v6
	v_add3_u32 v17, v19, v17, v18
	s_mov_b64 s[54:55], 0
	v_mov_b64_e32 v[18:19], v[6:7]
                                        ; implicit-def: $sgpr56_sgpr57
                                        ; implicit-def: $sgpr58_sgpr59
                                        ; implicit-def: $sgpr18_sgpr19
                                        ; implicit-def: $sgpr60_sgpr61
                                        ; implicit-def: $sgpr62_sgpr63
	s_branch .LBB1001_1276
.LBB1001_1275:                          ;   in Loop: Header=BB1001_1276 Depth=2
	s_or_b64 exec, exec, s[64:65]
	s_and_b64 s[12:13], exec, s[58:59]
	s_or_b64 s[54:55], s[12:13], s[54:55]
	s_andn2_b64 s[12:13], s[62:63], exec
	s_and_b64 s[62:63], s[60:61], exec
	s_or_b64 s[62:63], s[12:13], s[62:63]
	s_andn2_b64 s[12:13], s[56:57], exec
	s_and_b64 s[56:57], s[18:19], exec
	s_or_b64 s[56:57], s[12:13], s[56:57]
	s_andn2_b64 exec, exec, s[54:55]
	s_cbranch_execz .LBB1001_1278
.LBB1001_1276:                          ;   Parent Loop BB1001_1215 Depth=1
                                        ; =>  This Inner Loop Header: Depth=2
	flat_load_ubyte v64, v[16:17]
	flat_load_ubyte v100, v[14:15]
	s_andn2_b64 s[64:65], s[18:19], exec
	s_andn2_b64 s[60:61], s[60:61], exec
	s_or_b64 s[58:59], s[58:59], exec
	s_waitcnt vmcnt(0) lgkmcnt(0)
	v_cmp_eq_u16_e64 s[12:13], 0, v64
	v_cmp_ne_u16_e64 s[18:19], 0, v100
	s_or_b64 s[70:71], s[12:13], s[18:19]
	s_and_b64 s[66:67], s[12:13], s[18:19]
	s_xor_b64 s[12:13], s[12:13], s[18:19]
	s_and_b64 s[18:19], s[70:71], s[62:63]
	s_or_b64 s[66:67], s[66:67], s[18:19]
	s_and_b64 s[18:19], s[66:67], exec
	s_or_b64 s[18:19], s[64:65], s[18:19]
	s_and_saveexec_b64 s[64:65], s[12:13]
	s_cbranch_execz .LBB1001_1275
; %bb.1277:                             ;   in Loop: Header=BB1001_1276 Depth=2
	v_lshl_add_u64 v[18:19], v[18:19], 0, -1
	v_cmp_eq_u64_e64 s[12:13], 0, v[18:19]
	s_andn2_b64 s[60:61], s[60:61], exec
	s_and_b64 s[62:63], s[66:67], exec
	s_andn2_b64 s[58:59], s[58:59], exec
	s_and_b64 s[12:13], s[12:13], exec
	v_lshl_add_u64 v[14:15], v[14:15], 0, 1
	v_lshl_add_u64 v[16:17], v[16:17], 0, 1
	s_or_b64 s[60:61], s[60:61], s[62:63]
	s_andn2_b64 s[18:19], s[18:19], exec
	s_or_b64 s[58:59], s[58:59], s[12:13]
                                        ; implicit-def: $sgpr62_sgpr63
	s_branch .LBB1001_1275
.LBB1001_1278:                          ;   in Loop: Header=BB1001_1215 Depth=1
	s_or_b64 exec, exec, s[54:55]
	s_xor_b64 s[12:13], s[56:57], -1
	s_andn2_b64 s[18:19], s[48:49], exec
	s_and_b64 s[12:13], s[12:13], exec
	s_or_b64 s[48:49], s[18:19], s[12:13]
.LBB1001_1279:                          ;   in Loop: Header=BB1001_1215 Depth=1
	s_or_b64 exec, exec, s[52:53]
	s_orn2_b64 s[48:49], s[48:49], exec
.LBB1001_1280:                          ;   in Loop: Header=BB1001_1215 Depth=1
	s_or_b64 exec, exec, s[50:51]
	v_cndmask_b32_e64 v14, v20, v21, s[48:49]
	v_cndmask_b32_e64 v15, v1, v68, s[48:49]
	v_add_u32_e32 v16, 1, v14
	v_add_u32_e32 v14, -1, v15
	v_min_u32_e32 v64, v16, v14
	v_lshl_add_u64 v[14:15], v[64:65], 3, v[10:11]
	flat_load_dwordx2 v[14:15], v[14:15]
	v_cndmask_b32_e64 v112, v16, v20, s[48:49]
	v_cndmask_b32_e64 v20, v21, v16, s[48:49]
	v_cmp_lt_u32_e64 s[12:13], v112, v1
	s_waitcnt vmcnt(0) lgkmcnt(0)
	v_cndmask_b32_e64 v100, v15, v96, s[48:49]
	v_cndmask_b32_e64 v101, v14, v97, s[48:49]
	;; [unrolled: 1-line block ×4, first 2 shown]
	s_and_saveexec_b64 s[50:51], s[12:13]
	s_cbranch_execz .LBB1001_1288
; %bb.1281:                             ;   in Loop: Header=BB1001_1215 Depth=1
	v_cmp_lt_u32_e64 s[46:47], v20, v68
	s_and_b64 s[12:13], s[46:47], s[26:27]
	s_and_saveexec_b64 s[52:53], s[12:13]
	s_cbranch_execz .LBB1001_1287
; %bb.1282:                             ;   in Loop: Header=BB1001_1215 Depth=1
	v_mad_u64_u32 v[14:15], s[12:13], v103, v6, v[8:9]
	v_mul_lo_u32 v16, v103, v7
	v_mul_lo_u32 v17, v102, v6
	v_add3_u32 v15, v17, v15, v16
	v_mad_u64_u32 v[16:17], s[12:13], v101, v6, v[8:9]
	v_mul_lo_u32 v18, v101, v7
	v_mul_lo_u32 v19, v100, v6
	v_add3_u32 v17, v19, v17, v18
	s_mov_b64 s[54:55], 0
	v_mov_b64_e32 v[18:19], v[6:7]
                                        ; implicit-def: $sgpr56_sgpr57
                                        ; implicit-def: $sgpr58_sgpr59
                                        ; implicit-def: $sgpr18_sgpr19
                                        ; implicit-def: $sgpr60_sgpr61
                                        ; implicit-def: $sgpr62_sgpr63
	s_branch .LBB1001_1284
.LBB1001_1283:                          ;   in Loop: Header=BB1001_1284 Depth=2
	s_or_b64 exec, exec, s[64:65]
	s_and_b64 s[12:13], exec, s[58:59]
	s_or_b64 s[54:55], s[12:13], s[54:55]
	s_andn2_b64 s[12:13], s[62:63], exec
	s_and_b64 s[62:63], s[60:61], exec
	s_or_b64 s[62:63], s[12:13], s[62:63]
	s_andn2_b64 s[12:13], s[56:57], exec
	s_and_b64 s[56:57], s[18:19], exec
	s_or_b64 s[56:57], s[12:13], s[56:57]
	s_andn2_b64 exec, exec, s[54:55]
	s_cbranch_execz .LBB1001_1286
.LBB1001_1284:                          ;   Parent Loop BB1001_1215 Depth=1
                                        ; =>  This Inner Loop Header: Depth=2
	flat_load_ubyte v21, v[16:17]
	flat_load_ubyte v64, v[14:15]
	s_andn2_b64 s[64:65], s[18:19], exec
	s_andn2_b64 s[60:61], s[60:61], exec
	s_or_b64 s[58:59], s[58:59], exec
	s_waitcnt vmcnt(0) lgkmcnt(0)
	v_cmp_eq_u16_e64 s[12:13], 0, v21
	v_cmp_ne_u16_e64 s[18:19], 0, v64
	s_or_b64 s[70:71], s[12:13], s[18:19]
	s_and_b64 s[66:67], s[12:13], s[18:19]
	s_xor_b64 s[12:13], s[12:13], s[18:19]
	s_and_b64 s[18:19], s[70:71], s[62:63]
	s_or_b64 s[66:67], s[66:67], s[18:19]
	s_and_b64 s[18:19], s[66:67], exec
	s_or_b64 s[18:19], s[64:65], s[18:19]
	s_and_saveexec_b64 s[64:65], s[12:13]
	s_cbranch_execz .LBB1001_1283
; %bb.1285:                             ;   in Loop: Header=BB1001_1284 Depth=2
	v_lshl_add_u64 v[18:19], v[18:19], 0, -1
	v_cmp_eq_u64_e64 s[12:13], 0, v[18:19]
	s_andn2_b64 s[60:61], s[60:61], exec
	s_and_b64 s[62:63], s[66:67], exec
	s_andn2_b64 s[58:59], s[58:59], exec
	s_and_b64 s[12:13], s[12:13], exec
	v_lshl_add_u64 v[14:15], v[14:15], 0, 1
	v_lshl_add_u64 v[16:17], v[16:17], 0, 1
	s_or_b64 s[60:61], s[60:61], s[62:63]
	s_andn2_b64 s[18:19], s[18:19], exec
	s_or_b64 s[58:59], s[58:59], s[12:13]
                                        ; implicit-def: $sgpr62_sgpr63
	s_branch .LBB1001_1283
.LBB1001_1286:                          ;   in Loop: Header=BB1001_1215 Depth=1
	s_or_b64 exec, exec, s[54:55]
	s_xor_b64 s[12:13], s[56:57], -1
	s_andn2_b64 s[18:19], s[46:47], exec
	s_and_b64 s[12:13], s[12:13], exec
	s_or_b64 s[46:47], s[18:19], s[12:13]
.LBB1001_1287:                          ;   in Loop: Header=BB1001_1215 Depth=1
	s_or_b64 exec, exec, s[52:53]
	s_orn2_b64 s[46:47], s[46:47], exec
.LBB1001_1288:                          ;   in Loop: Header=BB1001_1215 Depth=1
	s_or_b64 exec, exec, s[50:51]
	v_cndmask_b32_e64 v14, v112, v20, s[46:47]
	v_cndmask_b32_e64 v15, v1, v68, s[46:47]
	v_add_u32_e32 v18, 1, v14
	v_add_u32_e32 v14, -1, v15
	v_min_u32_e32 v64, v18, v14
	v_lshl_add_u64 v[14:15], v[64:65], 3, v[10:11]
	flat_load_dwordx2 v[16:17], v[14:15]
	v_cndmask_b32_e64 v19, v18, v112, s[46:47]
	v_cmp_lt_u32_e64 s[12:13], v19, v1
	s_waitcnt vmcnt(0) lgkmcnt(0)
	v_cndmask_b32_e64 v15, v102, v17, s[46:47]
	v_cndmask_b32_e64 v14, v103, v16, s[46:47]
	s_and_saveexec_b64 s[50:51], s[12:13]
	s_cbranch_execz .LBB1001_1213
; %bb.1289:                             ;   in Loop: Header=BB1001_1215 Depth=1
	v_cndmask_b32_e64 v64, v16, v101, s[46:47]
	v_cndmask_b32_e64 v16, v20, v18, s[46:47]
	v_cmp_ge_u32_e64 s[12:13], v16, v68
	v_cndmask_b32_e64 v1, v17, v100, s[46:47]
	s_or_b64 s[18:19], s[12:13], s[8:9]
	v_cndmask_b32_e64 v17, v15, v1, s[12:13]
	s_xor_b64 s[18:19], s[18:19], -1
	v_cndmask_b32_e64 v16, v14, v64, s[12:13]
	s_and_saveexec_b64 s[52:53], s[18:19]
	s_cbranch_execz .LBB1001_1212
; %bb.1290:                             ;   in Loop: Header=BB1001_1215 Depth=1
	v_mad_u64_u32 v[16:17], s[12:13], v14, v6, v[8:9]
	v_mul_lo_u32 v18, v14, v7
	v_mul_lo_u32 v19, v15, v6
	v_add3_u32 v17, v19, v17, v18
	v_mad_u64_u32 v[18:19], s[12:13], v64, v6, v[8:9]
	v_mul_lo_u32 v20, v64, v7
	v_mul_lo_u32 v21, v1, v6
	v_add3_u32 v19, v21, v19, v20
	s_mov_b64 s[54:55], 0
	v_mov_b64_e32 v[20:21], v[6:7]
                                        ; implicit-def: $sgpr56_sgpr57
                                        ; implicit-def: $sgpr58_sgpr59
                                        ; implicit-def: $sgpr18_sgpr19
                                        ; implicit-def: $sgpr60_sgpr61
                                        ; implicit-def: $sgpr62_sgpr63
	s_branch .LBB1001_1292
.LBB1001_1291:                          ;   in Loop: Header=BB1001_1292 Depth=2
	s_or_b64 exec, exec, s[64:65]
	s_and_b64 s[12:13], exec, s[58:59]
	s_or_b64 s[54:55], s[12:13], s[54:55]
	s_andn2_b64 s[12:13], s[62:63], exec
	s_and_b64 s[62:63], s[60:61], exec
	s_or_b64 s[62:63], s[12:13], s[62:63]
	s_andn2_b64 s[12:13], s[56:57], exec
	s_and_b64 s[56:57], s[18:19], exec
	s_or_b64 s[56:57], s[12:13], s[56:57]
	s_andn2_b64 exec, exec, s[54:55]
	s_cbranch_execz .LBB1001_1211
.LBB1001_1292:                          ;   Parent Loop BB1001_1215 Depth=1
                                        ; =>  This Inner Loop Header: Depth=2
	flat_load_ubyte v68, v[18:19]
	flat_load_ubyte v112, v[16:17]
	s_andn2_b64 s[64:65], s[18:19], exec
	s_andn2_b64 s[60:61], s[60:61], exec
	s_or_b64 s[58:59], s[58:59], exec
	s_waitcnt vmcnt(0) lgkmcnt(0)
	v_cmp_eq_u16_e64 s[12:13], 0, v68
	v_cmp_ne_u16_e64 s[18:19], 0, v112
	s_or_b64 s[70:71], s[12:13], s[18:19]
	s_and_b64 s[66:67], s[12:13], s[18:19]
	s_xor_b64 s[12:13], s[12:13], s[18:19]
	s_and_b64 s[18:19], s[70:71], s[62:63]
	s_or_b64 s[66:67], s[66:67], s[18:19]
	s_and_b64 s[18:19], s[66:67], exec
	s_or_b64 s[18:19], s[64:65], s[18:19]
	s_and_saveexec_b64 s[64:65], s[12:13]
	s_cbranch_execz .LBB1001_1291
; %bb.1293:                             ;   in Loop: Header=BB1001_1292 Depth=2
	v_lshl_add_u64 v[20:21], v[20:21], 0, -1
	v_cmp_eq_u64_e64 s[12:13], 0, v[20:21]
	s_andn2_b64 s[60:61], s[60:61], exec
	s_and_b64 s[62:63], s[66:67], exec
	s_andn2_b64 s[58:59], s[58:59], exec
	s_and_b64 s[12:13], s[12:13], exec
	v_lshl_add_u64 v[16:17], v[16:17], 0, 1
	v_lshl_add_u64 v[18:19], v[18:19], 0, 1
	s_or_b64 s[60:61], s[60:61], s[62:63]
	s_andn2_b64 s[18:19], s[18:19], exec
	s_or_b64 s[58:59], s[58:59], s[12:13]
                                        ; implicit-def: $sgpr62_sgpr63
	s_branch .LBB1001_1291
.LBB1001_1294:
	s_or_b64 exec, exec, s[30:31]
.LBB1001_1295:
	s_or_b64 exec, exec, s[28:29]
	s_barrier
	flat_store_dwordx4 v[54:55], v[24:27]
	flat_store_dwordx4 v[54:55], v[20:23] offset:16
	flat_store_dwordx4 v[54:55], v[16:19] offset:32
	;; [unrolled: 1-line block ×3, first 2 shown]
	s_waitcnt lgkmcnt(0)
	s_barrier
	flat_load_dwordx2 v[18:19], v[32:33] offset:2048
	flat_load_dwordx2 v[16:17], v[34:35]
	flat_load_dwordx2 v[14:15], v[36:37]
	;; [unrolled: 1-line block ×6, first 2 shown]
	v_mov_b32_e32 v31, 0
	v_lshl_add_u64 v[8:9], v[4:5], 0, v[30:31]
	s_and_saveexec_b64 s[8:9], vcc
	s_cbranch_execnz .LBB1001_1304
; %bb.1296:
	s_or_b64 exec, exec, s[8:9]
	s_and_saveexec_b64 s[8:9], s[0:1]
	s_cbranch_execnz .LBB1001_1305
.LBB1001_1297:
	s_or_b64 exec, exec, s[8:9]
	s_and_saveexec_b64 s[0:1], s[2:3]
	s_cbranch_execnz .LBB1001_1306
.LBB1001_1298:
	s_or_b64 exec, exec, s[0:1]
	s_and_saveexec_b64 s[0:1], s[4:5]
	s_cbranch_execnz .LBB1001_1307
.LBB1001_1299:
	s_or_b64 exec, exec, s[0:1]
	s_and_saveexec_b64 s[0:1], s[6:7]
	s_cbranch_execnz .LBB1001_1308
.LBB1001_1300:
	s_or_b64 exec, exec, s[0:1]
	s_and_saveexec_b64 s[0:1], s[10:11]
	s_cbranch_execnz .LBB1001_1309
.LBB1001_1301:
	s_or_b64 exec, exec, s[0:1]
	s_and_saveexec_b64 s[0:1], s[20:21]
	s_cbranch_execz .LBB1001_1303
.LBB1001_1302:
	v_add_co_u32_e32 v2, vcc, 0x3000, v8
	s_nop 1
	v_addc_co_u32_e32 v3, vcc, 0, v9, vcc
	s_waitcnt vmcnt(0) lgkmcnt(0)
	flat_store_dwordx2 v[2:3], v[0:1]
.LBB1001_1303:
	s_or_b64 exec, exec, s[0:1]
	s_andn2_b64 s[0:1], s[22:23], exec
	s_and_b64 s[2:3], s[14:15], exec
	s_or_b64 s[22:23], s[0:1], s[2:3]
	s_or_b64 exec, exec, s[24:25]
	s_and_saveexec_b64 s[0:1], s[22:23]
	s_cbranch_execnz .LBB1001_3
	s_branch .LBB1001_4
.LBB1001_1304:
	flat_load_dwordx2 v[2:3], v[2:3]
	s_waitcnt vmcnt(0) lgkmcnt(0)
	flat_store_dwordx2 v[8:9], v[2:3]
	s_or_b64 exec, exec, s[8:9]
	s_and_saveexec_b64 s[8:9], s[0:1]
	s_cbranch_execz .LBB1001_1297
.LBB1001_1305:
	s_waitcnt vmcnt(0) lgkmcnt(0)
	flat_store_dwordx2 v[8:9], v[18:19] offset:2048
	s_or_b64 exec, exec, s[8:9]
	s_and_saveexec_b64 s[0:1], s[2:3]
	s_cbranch_execz .LBB1001_1298
.LBB1001_1306:
	v_add_co_u32_e32 v2, vcc, 0x1000, v8
	s_nop 1
	v_addc_co_u32_e32 v3, vcc, 0, v9, vcc
	s_waitcnt vmcnt(0) lgkmcnt(0)
	flat_store_dwordx2 v[2:3], v[16:17]
	s_or_b64 exec, exec, s[0:1]
	s_and_saveexec_b64 s[0:1], s[4:5]
	s_cbranch_execz .LBB1001_1299
.LBB1001_1307:
	v_add_co_u32_e32 v2, vcc, 0x1000, v8
	s_nop 1
	v_addc_co_u32_e32 v3, vcc, 0, v9, vcc
	s_waitcnt vmcnt(0) lgkmcnt(0)
	flat_store_dwordx2 v[2:3], v[14:15] offset:2048
	s_or_b64 exec, exec, s[0:1]
	s_and_saveexec_b64 s[0:1], s[6:7]
	s_cbranch_execz .LBB1001_1300
.LBB1001_1308:
	v_add_co_u32_e32 v2, vcc, 0x2000, v8
	s_nop 1
	v_addc_co_u32_e32 v3, vcc, 0, v9, vcc
	s_waitcnt vmcnt(0) lgkmcnt(0)
	flat_store_dwordx2 v[2:3], v[10:11]
	s_or_b64 exec, exec, s[0:1]
	s_and_saveexec_b64 s[0:1], s[10:11]
	s_cbranch_execz .LBB1001_1301
.LBB1001_1309:
	v_add_co_u32_e32 v2, vcc, 0x2000, v8
	s_nop 1
	v_addc_co_u32_e32 v3, vcc, 0, v9, vcc
	s_waitcnt vmcnt(0) lgkmcnt(0)
	flat_store_dwordx2 v[2:3], v[6:7] offset:2048
	s_or_b64 exec, exec, s[0:1]
	s_and_saveexec_b64 s[0:1], s[20:21]
	s_cbranch_execnz .LBB1001_1302
	s_branch .LBB1001_1303
.Lfunc_end1001:
	.size	_ZN7rocprim17ROCPRIM_400000_NS6detail15block_sort_implIlNS0_10empty_typeELj256ELj8ELNS0_4arch9wavefront6targetE1EvE4sortIPlS9_PS3_SA_ZN2at6native12_GLOBAL__N_124unique_dim_cuda_templateIbEESt5tupleIJNSB_6TensorESG_SG_EERKSG_lbbbEUlllE_EEvjbT_T0_T1_T2_T3_RNS7_12storage_typeE, .Lfunc_end1001-_ZN7rocprim17ROCPRIM_400000_NS6detail15block_sort_implIlNS0_10empty_typeELj256ELj8ELNS0_4arch9wavefront6targetE1EvE4sortIPlS9_PS3_SA_ZN2at6native12_GLOBAL__N_124unique_dim_cuda_templateIbEESt5tupleIJNSB_6TensorESG_SG_EERKSG_lbbbEUlllE_EEvjbT_T0_T1_T2_T3_RNS7_12storage_typeE
                                        ; -- End function
	.section	.AMDGPU.csdata,"",@progbits
; Function info:
; codeLenInByte = 64892
; NumSgprs: 78
; NumVgprs: 119
; NumAgprs: 0
; TotalNumVgprs: 119
; ScratchSize: 8
; MemoryBound: 1
	.section	.text._ZN7rocprim17ROCPRIM_400000_NS6detail17trampoline_kernelINS0_14default_configENS1_37merge_sort_block_sort_config_selectorIlNS0_10empty_typeEEEZNS1_21merge_sort_block_sortIS3_PlS8_PS5_S9_ZN2at6native12_GLOBAL__N_124unique_dim_cuda_templateIbEESt5tupleIJNSA_6TensorESF_SF_EERKSF_lbbbEUlllE_EE10hipError_tT0_T1_T2_T3_mRjT4_P12ihipStream_tbNS1_7vsmem_tEEUlT_E_NS1_11comp_targetILNS1_3genE5ELNS1_11target_archE942ELNS1_3gpuE9ELNS1_3repE0EEENS1_30default_config_static_selectorELNS0_4arch9wavefront6targetE1EEEvSM_,"axG",@progbits,_ZN7rocprim17ROCPRIM_400000_NS6detail17trampoline_kernelINS0_14default_configENS1_37merge_sort_block_sort_config_selectorIlNS0_10empty_typeEEEZNS1_21merge_sort_block_sortIS3_PlS8_PS5_S9_ZN2at6native12_GLOBAL__N_124unique_dim_cuda_templateIbEESt5tupleIJNSA_6TensorESF_SF_EERKSF_lbbbEUlllE_EE10hipError_tT0_T1_T2_T3_mRjT4_P12ihipStream_tbNS1_7vsmem_tEEUlT_E_NS1_11comp_targetILNS1_3genE5ELNS1_11target_archE942ELNS1_3gpuE9ELNS1_3repE0EEENS1_30default_config_static_selectorELNS0_4arch9wavefront6targetE1EEEvSM_,comdat
	.globl	_ZN7rocprim17ROCPRIM_400000_NS6detail17trampoline_kernelINS0_14default_configENS1_37merge_sort_block_sort_config_selectorIlNS0_10empty_typeEEEZNS1_21merge_sort_block_sortIS3_PlS8_PS5_S9_ZN2at6native12_GLOBAL__N_124unique_dim_cuda_templateIbEESt5tupleIJNSA_6TensorESF_SF_EERKSF_lbbbEUlllE_EE10hipError_tT0_T1_T2_T3_mRjT4_P12ihipStream_tbNS1_7vsmem_tEEUlT_E_NS1_11comp_targetILNS1_3genE5ELNS1_11target_archE942ELNS1_3gpuE9ELNS1_3repE0EEENS1_30default_config_static_selectorELNS0_4arch9wavefront6targetE1EEEvSM_ ; -- Begin function _ZN7rocprim17ROCPRIM_400000_NS6detail17trampoline_kernelINS0_14default_configENS1_37merge_sort_block_sort_config_selectorIlNS0_10empty_typeEEEZNS1_21merge_sort_block_sortIS3_PlS8_PS5_S9_ZN2at6native12_GLOBAL__N_124unique_dim_cuda_templateIbEESt5tupleIJNSA_6TensorESF_SF_EERKSF_lbbbEUlllE_EE10hipError_tT0_T1_T2_T3_mRjT4_P12ihipStream_tbNS1_7vsmem_tEEUlT_E_NS1_11comp_targetILNS1_3genE5ELNS1_11target_archE942ELNS1_3gpuE9ELNS1_3repE0EEENS1_30default_config_static_selectorELNS0_4arch9wavefront6targetE1EEEvSM_
	.p2align	8
	.type	_ZN7rocprim17ROCPRIM_400000_NS6detail17trampoline_kernelINS0_14default_configENS1_37merge_sort_block_sort_config_selectorIlNS0_10empty_typeEEEZNS1_21merge_sort_block_sortIS3_PlS8_PS5_S9_ZN2at6native12_GLOBAL__N_124unique_dim_cuda_templateIbEESt5tupleIJNSA_6TensorESF_SF_EERKSF_lbbbEUlllE_EE10hipError_tT0_T1_T2_T3_mRjT4_P12ihipStream_tbNS1_7vsmem_tEEUlT_E_NS1_11comp_targetILNS1_3genE5ELNS1_11target_archE942ELNS1_3gpuE9ELNS1_3repE0EEENS1_30default_config_static_selectorELNS0_4arch9wavefront6targetE1EEEvSM_,@function
_ZN7rocprim17ROCPRIM_400000_NS6detail17trampoline_kernelINS0_14default_configENS1_37merge_sort_block_sort_config_selectorIlNS0_10empty_typeEEEZNS1_21merge_sort_block_sortIS3_PlS8_PS5_S9_ZN2at6native12_GLOBAL__N_124unique_dim_cuda_templateIbEESt5tupleIJNSA_6TensorESF_SF_EERKSF_lbbbEUlllE_EE10hipError_tT0_T1_T2_T3_mRjT4_P12ihipStream_tbNS1_7vsmem_tEEUlT_E_NS1_11comp_targetILNS1_3genE5ELNS1_11target_archE942ELNS1_3gpuE9ELNS1_3repE0EEENS1_30default_config_static_selectorELNS0_4arch9wavefront6targetE1EEEvSM_: ; @_ZN7rocprim17ROCPRIM_400000_NS6detail17trampoline_kernelINS0_14default_configENS1_37merge_sort_block_sort_config_selectorIlNS0_10empty_typeEEEZNS1_21merge_sort_block_sortIS3_PlS8_PS5_S9_ZN2at6native12_GLOBAL__N_124unique_dim_cuda_templateIbEESt5tupleIJNSA_6TensorESF_SF_EERKSF_lbbbEUlllE_EE10hipError_tT0_T1_T2_T3_mRjT4_P12ihipStream_tbNS1_7vsmem_tEEUlT_E_NS1_11comp_targetILNS1_3genE5ELNS1_11target_archE942ELNS1_3gpuE9ELNS1_3repE0EEENS1_30default_config_static_selectorELNS0_4arch9wavefront6targetE1EEEvSM_
; %bb.0:
	s_load_dwordx2 s[6:7], s[0:1], 0x48
	s_load_dword s5, s[0:1], 0x0
	s_mov_b32 s32, 0
	s_waitcnt lgkmcnt(0)
	s_mul_i32 s4, s7, s4
	s_add_i32 s4, s4, s3
	s_mul_i32 s4, s4, s6
	s_add_i32 s4, s4, s2
	s_cmp_ge_u32 s4, s5
	s_cbranch_scc1 .LBB1002_2
; %bb.1:
	s_load_dwordx4 s[8:11], s[0:1], 0x18
	s_load_dwordx2 s[6:7], s[0:1], 0x8
	s_load_dwordx4 s[16:19], s[0:1], 0x38
	s_mov_b32 s5, 0
	s_lshl_b64 s[12:13], s[4:5], 14
	s_waitcnt lgkmcnt(0)
	s_add_u32 s10, s10, s12
	s_addc_u32 s11, s11, s13
	s_add_u32 s14, s8, s12
	s_addc_u32 s15, s9, s13
	s_lshr_b64 s[8:9], s[6:7], 11
	s_cmp_eq_u64 s[8:9], s[4:5]
	s_cselect_b64 s[8:9], -1, 0
	s_lshl_b32 s4, s4, 11
	s_sub_i32 s6, s6, s4
	v_cndmask_b32_e64 v1, 0, 1, s[8:9]
	s_add_u32 s8, s0, 0x48
	s_addc_u32 s9, s1, 0
	s_mov_b64 s[0:1], src_shared_base
	s_mov_b32 s12, s2
	s_mov_b32 s13, s3
	v_mov_b32_e32 v31, v0
	v_mov_b32_e32 v0, s6
	;; [unrolled: 1-line block ×12, first 2 shown]
	s_getpc_b64 s[4:5]
	s_add_u32 s4, s4, _ZN7rocprim17ROCPRIM_400000_NS6detail15block_sort_implIlNS0_10empty_typeELj256ELj8ELNS0_4arch9wavefront6targetE1EvE4sortIPlS9_PS3_SA_ZN2at6native12_GLOBAL__N_124unique_dim_cuda_templateIbEESt5tupleIJNSB_6TensorESG_SG_EERKSG_lbbbEUlllE_EEvjbT_T0_T1_T2_T3_RNS7_12storage_typeE@rel32@lo+4
	s_addc_u32 s5, s5, _ZN7rocprim17ROCPRIM_400000_NS6detail15block_sort_implIlNS0_10empty_typeELj256ELj8ELNS0_4arch9wavefront6targetE1EvE4sortIPlS9_PS3_SA_ZN2at6native12_GLOBAL__N_124unique_dim_cuda_templateIbEESt5tupleIJNSB_6TensorESG_SG_EERKSG_lbbbEUlllE_EEvjbT_T0_T1_T2_T3_RNS7_12storage_typeE@rel32@hi+12
	s_swappc_b64 s[30:31], s[4:5]
.LBB1002_2:
	s_endpgm
	.section	.rodata,"a",@progbits
	.p2align	6, 0x0
	.amdhsa_kernel _ZN7rocprim17ROCPRIM_400000_NS6detail17trampoline_kernelINS0_14default_configENS1_37merge_sort_block_sort_config_selectorIlNS0_10empty_typeEEEZNS1_21merge_sort_block_sortIS3_PlS8_PS5_S9_ZN2at6native12_GLOBAL__N_124unique_dim_cuda_templateIbEESt5tupleIJNSA_6TensorESF_SF_EERKSF_lbbbEUlllE_EE10hipError_tT0_T1_T2_T3_mRjT4_P12ihipStream_tbNS1_7vsmem_tEEUlT_E_NS1_11comp_targetILNS1_3genE5ELNS1_11target_archE942ELNS1_3gpuE9ELNS1_3repE0EEENS1_30default_config_static_selectorELNS0_4arch9wavefront6targetE1EEEvSM_
		.amdhsa_group_segment_fixed_size 16896
		.amdhsa_private_segment_fixed_size 8
		.amdhsa_kernarg_size 328
		.amdhsa_user_sgpr_count 2
		.amdhsa_user_sgpr_dispatch_ptr 0
		.amdhsa_user_sgpr_queue_ptr 0
		.amdhsa_user_sgpr_kernarg_segment_ptr 1
		.amdhsa_user_sgpr_dispatch_id 0
		.amdhsa_user_sgpr_kernarg_preload_length 0
		.amdhsa_user_sgpr_kernarg_preload_offset 0
		.amdhsa_user_sgpr_private_segment_size 0
		.amdhsa_uses_dynamic_stack 0
		.amdhsa_enable_private_segment 1
		.amdhsa_system_sgpr_workgroup_id_x 1
		.amdhsa_system_sgpr_workgroup_id_y 1
		.amdhsa_system_sgpr_workgroup_id_z 1
		.amdhsa_system_sgpr_workgroup_info 0
		.amdhsa_system_vgpr_workitem_id 2
		.amdhsa_next_free_vgpr 119
		.amdhsa_next_free_sgpr 72
		.amdhsa_accum_offset 120
		.amdhsa_reserve_vcc 1
		.amdhsa_float_round_mode_32 0
		.amdhsa_float_round_mode_16_64 0
		.amdhsa_float_denorm_mode_32 3
		.amdhsa_float_denorm_mode_16_64 3
		.amdhsa_dx10_clamp 1
		.amdhsa_ieee_mode 1
		.amdhsa_fp16_overflow 0
		.amdhsa_tg_split 0
		.amdhsa_exception_fp_ieee_invalid_op 0
		.amdhsa_exception_fp_denorm_src 0
		.amdhsa_exception_fp_ieee_div_zero 0
		.amdhsa_exception_fp_ieee_overflow 0
		.amdhsa_exception_fp_ieee_underflow 0
		.amdhsa_exception_fp_ieee_inexact 0
		.amdhsa_exception_int_div_zero 0
	.end_amdhsa_kernel
	.section	.text._ZN7rocprim17ROCPRIM_400000_NS6detail17trampoline_kernelINS0_14default_configENS1_37merge_sort_block_sort_config_selectorIlNS0_10empty_typeEEEZNS1_21merge_sort_block_sortIS3_PlS8_PS5_S9_ZN2at6native12_GLOBAL__N_124unique_dim_cuda_templateIbEESt5tupleIJNSA_6TensorESF_SF_EERKSF_lbbbEUlllE_EE10hipError_tT0_T1_T2_T3_mRjT4_P12ihipStream_tbNS1_7vsmem_tEEUlT_E_NS1_11comp_targetILNS1_3genE5ELNS1_11target_archE942ELNS1_3gpuE9ELNS1_3repE0EEENS1_30default_config_static_selectorELNS0_4arch9wavefront6targetE1EEEvSM_,"axG",@progbits,_ZN7rocprim17ROCPRIM_400000_NS6detail17trampoline_kernelINS0_14default_configENS1_37merge_sort_block_sort_config_selectorIlNS0_10empty_typeEEEZNS1_21merge_sort_block_sortIS3_PlS8_PS5_S9_ZN2at6native12_GLOBAL__N_124unique_dim_cuda_templateIbEESt5tupleIJNSA_6TensorESF_SF_EERKSF_lbbbEUlllE_EE10hipError_tT0_T1_T2_T3_mRjT4_P12ihipStream_tbNS1_7vsmem_tEEUlT_E_NS1_11comp_targetILNS1_3genE5ELNS1_11target_archE942ELNS1_3gpuE9ELNS1_3repE0EEENS1_30default_config_static_selectorELNS0_4arch9wavefront6targetE1EEEvSM_,comdat
.Lfunc_end1002:
	.size	_ZN7rocprim17ROCPRIM_400000_NS6detail17trampoline_kernelINS0_14default_configENS1_37merge_sort_block_sort_config_selectorIlNS0_10empty_typeEEEZNS1_21merge_sort_block_sortIS3_PlS8_PS5_S9_ZN2at6native12_GLOBAL__N_124unique_dim_cuda_templateIbEESt5tupleIJNSA_6TensorESF_SF_EERKSF_lbbbEUlllE_EE10hipError_tT0_T1_T2_T3_mRjT4_P12ihipStream_tbNS1_7vsmem_tEEUlT_E_NS1_11comp_targetILNS1_3genE5ELNS1_11target_archE942ELNS1_3gpuE9ELNS1_3repE0EEENS1_30default_config_static_selectorELNS0_4arch9wavefront6targetE1EEEvSM_, .Lfunc_end1002-_ZN7rocprim17ROCPRIM_400000_NS6detail17trampoline_kernelINS0_14default_configENS1_37merge_sort_block_sort_config_selectorIlNS0_10empty_typeEEEZNS1_21merge_sort_block_sortIS3_PlS8_PS5_S9_ZN2at6native12_GLOBAL__N_124unique_dim_cuda_templateIbEESt5tupleIJNSA_6TensorESF_SF_EERKSF_lbbbEUlllE_EE10hipError_tT0_T1_T2_T3_mRjT4_P12ihipStream_tbNS1_7vsmem_tEEUlT_E_NS1_11comp_targetILNS1_3genE5ELNS1_11target_archE942ELNS1_3gpuE9ELNS1_3repE0EEENS1_30default_config_static_selectorELNS0_4arch9wavefront6targetE1EEEvSM_
                                        ; -- End function
	.section	.AMDGPU.csdata,"",@progbits
; Kernel info:
; codeLenInByte = 228
; NumSgprs: 78
; NumVgprs: 119
; NumAgprs: 0
; TotalNumVgprs: 119
; ScratchSize: 8
; MemoryBound: 0
; FloatMode: 240
; IeeeMode: 1
; LDSByteSize: 16896 bytes/workgroup (compile time only)
; SGPRBlocks: 9
; VGPRBlocks: 14
; NumSGPRsForWavesPerEU: 78
; NumVGPRsForWavesPerEU: 119
; AccumOffset: 120
; Occupancy: 3
; WaveLimiterHint : 1
; COMPUTE_PGM_RSRC2:SCRATCH_EN: 1
; COMPUTE_PGM_RSRC2:USER_SGPR: 2
; COMPUTE_PGM_RSRC2:TRAP_HANDLER: 0
; COMPUTE_PGM_RSRC2:TGID_X_EN: 1
; COMPUTE_PGM_RSRC2:TGID_Y_EN: 1
; COMPUTE_PGM_RSRC2:TGID_Z_EN: 1
; COMPUTE_PGM_RSRC2:TIDIG_COMP_CNT: 2
; COMPUTE_PGM_RSRC3_GFX90A:ACCUM_OFFSET: 29
; COMPUTE_PGM_RSRC3_GFX90A:TG_SPLIT: 0
	.section	.text._ZN7rocprim17ROCPRIM_400000_NS6detail17trampoline_kernelINS0_14default_configENS1_37merge_sort_block_sort_config_selectorIlNS0_10empty_typeEEEZNS1_21merge_sort_block_sortIS3_PlS8_PS5_S9_ZN2at6native12_GLOBAL__N_124unique_dim_cuda_templateIbEESt5tupleIJNSA_6TensorESF_SF_EERKSF_lbbbEUlllE_EE10hipError_tT0_T1_T2_T3_mRjT4_P12ihipStream_tbNS1_7vsmem_tEEUlT_E_NS1_11comp_targetILNS1_3genE4ELNS1_11target_archE910ELNS1_3gpuE8ELNS1_3repE0EEENS1_30default_config_static_selectorELNS0_4arch9wavefront6targetE1EEEvSM_,"axG",@progbits,_ZN7rocprim17ROCPRIM_400000_NS6detail17trampoline_kernelINS0_14default_configENS1_37merge_sort_block_sort_config_selectorIlNS0_10empty_typeEEEZNS1_21merge_sort_block_sortIS3_PlS8_PS5_S9_ZN2at6native12_GLOBAL__N_124unique_dim_cuda_templateIbEESt5tupleIJNSA_6TensorESF_SF_EERKSF_lbbbEUlllE_EE10hipError_tT0_T1_T2_T3_mRjT4_P12ihipStream_tbNS1_7vsmem_tEEUlT_E_NS1_11comp_targetILNS1_3genE4ELNS1_11target_archE910ELNS1_3gpuE8ELNS1_3repE0EEENS1_30default_config_static_selectorELNS0_4arch9wavefront6targetE1EEEvSM_,comdat
	.globl	_ZN7rocprim17ROCPRIM_400000_NS6detail17trampoline_kernelINS0_14default_configENS1_37merge_sort_block_sort_config_selectorIlNS0_10empty_typeEEEZNS1_21merge_sort_block_sortIS3_PlS8_PS5_S9_ZN2at6native12_GLOBAL__N_124unique_dim_cuda_templateIbEESt5tupleIJNSA_6TensorESF_SF_EERKSF_lbbbEUlllE_EE10hipError_tT0_T1_T2_T3_mRjT4_P12ihipStream_tbNS1_7vsmem_tEEUlT_E_NS1_11comp_targetILNS1_3genE4ELNS1_11target_archE910ELNS1_3gpuE8ELNS1_3repE0EEENS1_30default_config_static_selectorELNS0_4arch9wavefront6targetE1EEEvSM_ ; -- Begin function _ZN7rocprim17ROCPRIM_400000_NS6detail17trampoline_kernelINS0_14default_configENS1_37merge_sort_block_sort_config_selectorIlNS0_10empty_typeEEEZNS1_21merge_sort_block_sortIS3_PlS8_PS5_S9_ZN2at6native12_GLOBAL__N_124unique_dim_cuda_templateIbEESt5tupleIJNSA_6TensorESF_SF_EERKSF_lbbbEUlllE_EE10hipError_tT0_T1_T2_T3_mRjT4_P12ihipStream_tbNS1_7vsmem_tEEUlT_E_NS1_11comp_targetILNS1_3genE4ELNS1_11target_archE910ELNS1_3gpuE8ELNS1_3repE0EEENS1_30default_config_static_selectorELNS0_4arch9wavefront6targetE1EEEvSM_
	.p2align	8
	.type	_ZN7rocprim17ROCPRIM_400000_NS6detail17trampoline_kernelINS0_14default_configENS1_37merge_sort_block_sort_config_selectorIlNS0_10empty_typeEEEZNS1_21merge_sort_block_sortIS3_PlS8_PS5_S9_ZN2at6native12_GLOBAL__N_124unique_dim_cuda_templateIbEESt5tupleIJNSA_6TensorESF_SF_EERKSF_lbbbEUlllE_EE10hipError_tT0_T1_T2_T3_mRjT4_P12ihipStream_tbNS1_7vsmem_tEEUlT_E_NS1_11comp_targetILNS1_3genE4ELNS1_11target_archE910ELNS1_3gpuE8ELNS1_3repE0EEENS1_30default_config_static_selectorELNS0_4arch9wavefront6targetE1EEEvSM_,@function
_ZN7rocprim17ROCPRIM_400000_NS6detail17trampoline_kernelINS0_14default_configENS1_37merge_sort_block_sort_config_selectorIlNS0_10empty_typeEEEZNS1_21merge_sort_block_sortIS3_PlS8_PS5_S9_ZN2at6native12_GLOBAL__N_124unique_dim_cuda_templateIbEESt5tupleIJNSA_6TensorESF_SF_EERKSF_lbbbEUlllE_EE10hipError_tT0_T1_T2_T3_mRjT4_P12ihipStream_tbNS1_7vsmem_tEEUlT_E_NS1_11comp_targetILNS1_3genE4ELNS1_11target_archE910ELNS1_3gpuE8ELNS1_3repE0EEENS1_30default_config_static_selectorELNS0_4arch9wavefront6targetE1EEEvSM_: ; @_ZN7rocprim17ROCPRIM_400000_NS6detail17trampoline_kernelINS0_14default_configENS1_37merge_sort_block_sort_config_selectorIlNS0_10empty_typeEEEZNS1_21merge_sort_block_sortIS3_PlS8_PS5_S9_ZN2at6native12_GLOBAL__N_124unique_dim_cuda_templateIbEESt5tupleIJNSA_6TensorESF_SF_EERKSF_lbbbEUlllE_EE10hipError_tT0_T1_T2_T3_mRjT4_P12ihipStream_tbNS1_7vsmem_tEEUlT_E_NS1_11comp_targetILNS1_3genE4ELNS1_11target_archE910ELNS1_3gpuE8ELNS1_3repE0EEENS1_30default_config_static_selectorELNS0_4arch9wavefront6targetE1EEEvSM_
; %bb.0:
	.section	.rodata,"a",@progbits
	.p2align	6, 0x0
	.amdhsa_kernel _ZN7rocprim17ROCPRIM_400000_NS6detail17trampoline_kernelINS0_14default_configENS1_37merge_sort_block_sort_config_selectorIlNS0_10empty_typeEEEZNS1_21merge_sort_block_sortIS3_PlS8_PS5_S9_ZN2at6native12_GLOBAL__N_124unique_dim_cuda_templateIbEESt5tupleIJNSA_6TensorESF_SF_EERKSF_lbbbEUlllE_EE10hipError_tT0_T1_T2_T3_mRjT4_P12ihipStream_tbNS1_7vsmem_tEEUlT_E_NS1_11comp_targetILNS1_3genE4ELNS1_11target_archE910ELNS1_3gpuE8ELNS1_3repE0EEENS1_30default_config_static_selectorELNS0_4arch9wavefront6targetE1EEEvSM_
		.amdhsa_group_segment_fixed_size 0
		.amdhsa_private_segment_fixed_size 0
		.amdhsa_kernarg_size 72
		.amdhsa_user_sgpr_count 2
		.amdhsa_user_sgpr_dispatch_ptr 0
		.amdhsa_user_sgpr_queue_ptr 0
		.amdhsa_user_sgpr_kernarg_segment_ptr 1
		.amdhsa_user_sgpr_dispatch_id 0
		.amdhsa_user_sgpr_kernarg_preload_length 0
		.amdhsa_user_sgpr_kernarg_preload_offset 0
		.amdhsa_user_sgpr_private_segment_size 0
		.amdhsa_uses_dynamic_stack 0
		.amdhsa_enable_private_segment 0
		.amdhsa_system_sgpr_workgroup_id_x 1
		.amdhsa_system_sgpr_workgroup_id_y 0
		.amdhsa_system_sgpr_workgroup_id_z 0
		.amdhsa_system_sgpr_workgroup_info 0
		.amdhsa_system_vgpr_workitem_id 0
		.amdhsa_next_free_vgpr 1
		.amdhsa_next_free_sgpr 0
		.amdhsa_accum_offset 4
		.amdhsa_reserve_vcc 0
		.amdhsa_float_round_mode_32 0
		.amdhsa_float_round_mode_16_64 0
		.amdhsa_float_denorm_mode_32 3
		.amdhsa_float_denorm_mode_16_64 3
		.amdhsa_dx10_clamp 1
		.amdhsa_ieee_mode 1
		.amdhsa_fp16_overflow 0
		.amdhsa_tg_split 0
		.amdhsa_exception_fp_ieee_invalid_op 0
		.amdhsa_exception_fp_denorm_src 0
		.amdhsa_exception_fp_ieee_div_zero 0
		.amdhsa_exception_fp_ieee_overflow 0
		.amdhsa_exception_fp_ieee_underflow 0
		.amdhsa_exception_fp_ieee_inexact 0
		.amdhsa_exception_int_div_zero 0
	.end_amdhsa_kernel
	.section	.text._ZN7rocprim17ROCPRIM_400000_NS6detail17trampoline_kernelINS0_14default_configENS1_37merge_sort_block_sort_config_selectorIlNS0_10empty_typeEEEZNS1_21merge_sort_block_sortIS3_PlS8_PS5_S9_ZN2at6native12_GLOBAL__N_124unique_dim_cuda_templateIbEESt5tupleIJNSA_6TensorESF_SF_EERKSF_lbbbEUlllE_EE10hipError_tT0_T1_T2_T3_mRjT4_P12ihipStream_tbNS1_7vsmem_tEEUlT_E_NS1_11comp_targetILNS1_3genE4ELNS1_11target_archE910ELNS1_3gpuE8ELNS1_3repE0EEENS1_30default_config_static_selectorELNS0_4arch9wavefront6targetE1EEEvSM_,"axG",@progbits,_ZN7rocprim17ROCPRIM_400000_NS6detail17trampoline_kernelINS0_14default_configENS1_37merge_sort_block_sort_config_selectorIlNS0_10empty_typeEEEZNS1_21merge_sort_block_sortIS3_PlS8_PS5_S9_ZN2at6native12_GLOBAL__N_124unique_dim_cuda_templateIbEESt5tupleIJNSA_6TensorESF_SF_EERKSF_lbbbEUlllE_EE10hipError_tT0_T1_T2_T3_mRjT4_P12ihipStream_tbNS1_7vsmem_tEEUlT_E_NS1_11comp_targetILNS1_3genE4ELNS1_11target_archE910ELNS1_3gpuE8ELNS1_3repE0EEENS1_30default_config_static_selectorELNS0_4arch9wavefront6targetE1EEEvSM_,comdat
.Lfunc_end1003:
	.size	_ZN7rocprim17ROCPRIM_400000_NS6detail17trampoline_kernelINS0_14default_configENS1_37merge_sort_block_sort_config_selectorIlNS0_10empty_typeEEEZNS1_21merge_sort_block_sortIS3_PlS8_PS5_S9_ZN2at6native12_GLOBAL__N_124unique_dim_cuda_templateIbEESt5tupleIJNSA_6TensorESF_SF_EERKSF_lbbbEUlllE_EE10hipError_tT0_T1_T2_T3_mRjT4_P12ihipStream_tbNS1_7vsmem_tEEUlT_E_NS1_11comp_targetILNS1_3genE4ELNS1_11target_archE910ELNS1_3gpuE8ELNS1_3repE0EEENS1_30default_config_static_selectorELNS0_4arch9wavefront6targetE1EEEvSM_, .Lfunc_end1003-_ZN7rocprim17ROCPRIM_400000_NS6detail17trampoline_kernelINS0_14default_configENS1_37merge_sort_block_sort_config_selectorIlNS0_10empty_typeEEEZNS1_21merge_sort_block_sortIS3_PlS8_PS5_S9_ZN2at6native12_GLOBAL__N_124unique_dim_cuda_templateIbEESt5tupleIJNSA_6TensorESF_SF_EERKSF_lbbbEUlllE_EE10hipError_tT0_T1_T2_T3_mRjT4_P12ihipStream_tbNS1_7vsmem_tEEUlT_E_NS1_11comp_targetILNS1_3genE4ELNS1_11target_archE910ELNS1_3gpuE8ELNS1_3repE0EEENS1_30default_config_static_selectorELNS0_4arch9wavefront6targetE1EEEvSM_
                                        ; -- End function
	.section	.AMDGPU.csdata,"",@progbits
; Kernel info:
; codeLenInByte = 0
; NumSgprs: 6
; NumVgprs: 0
; NumAgprs: 0
; TotalNumVgprs: 0
; ScratchSize: 0
; MemoryBound: 0
; FloatMode: 240
; IeeeMode: 1
; LDSByteSize: 0 bytes/workgroup (compile time only)
; SGPRBlocks: 0
; VGPRBlocks: 0
; NumSGPRsForWavesPerEU: 6
; NumVGPRsForWavesPerEU: 1
; AccumOffset: 4
; Occupancy: 8
; WaveLimiterHint : 0
; COMPUTE_PGM_RSRC2:SCRATCH_EN: 0
; COMPUTE_PGM_RSRC2:USER_SGPR: 2
; COMPUTE_PGM_RSRC2:TRAP_HANDLER: 0
; COMPUTE_PGM_RSRC2:TGID_X_EN: 1
; COMPUTE_PGM_RSRC2:TGID_Y_EN: 0
; COMPUTE_PGM_RSRC2:TGID_Z_EN: 0
; COMPUTE_PGM_RSRC2:TIDIG_COMP_CNT: 0
; COMPUTE_PGM_RSRC3_GFX90A:ACCUM_OFFSET: 0
; COMPUTE_PGM_RSRC3_GFX90A:TG_SPLIT: 0
	.section	.text._ZN7rocprim17ROCPRIM_400000_NS6detail17trampoline_kernelINS0_14default_configENS1_37merge_sort_block_sort_config_selectorIlNS0_10empty_typeEEEZNS1_21merge_sort_block_sortIS3_PlS8_PS5_S9_ZN2at6native12_GLOBAL__N_124unique_dim_cuda_templateIbEESt5tupleIJNSA_6TensorESF_SF_EERKSF_lbbbEUlllE_EE10hipError_tT0_T1_T2_T3_mRjT4_P12ihipStream_tbNS1_7vsmem_tEEUlT_E_NS1_11comp_targetILNS1_3genE3ELNS1_11target_archE908ELNS1_3gpuE7ELNS1_3repE0EEENS1_30default_config_static_selectorELNS0_4arch9wavefront6targetE1EEEvSM_,"axG",@progbits,_ZN7rocprim17ROCPRIM_400000_NS6detail17trampoline_kernelINS0_14default_configENS1_37merge_sort_block_sort_config_selectorIlNS0_10empty_typeEEEZNS1_21merge_sort_block_sortIS3_PlS8_PS5_S9_ZN2at6native12_GLOBAL__N_124unique_dim_cuda_templateIbEESt5tupleIJNSA_6TensorESF_SF_EERKSF_lbbbEUlllE_EE10hipError_tT0_T1_T2_T3_mRjT4_P12ihipStream_tbNS1_7vsmem_tEEUlT_E_NS1_11comp_targetILNS1_3genE3ELNS1_11target_archE908ELNS1_3gpuE7ELNS1_3repE0EEENS1_30default_config_static_selectorELNS0_4arch9wavefront6targetE1EEEvSM_,comdat
	.globl	_ZN7rocprim17ROCPRIM_400000_NS6detail17trampoline_kernelINS0_14default_configENS1_37merge_sort_block_sort_config_selectorIlNS0_10empty_typeEEEZNS1_21merge_sort_block_sortIS3_PlS8_PS5_S9_ZN2at6native12_GLOBAL__N_124unique_dim_cuda_templateIbEESt5tupleIJNSA_6TensorESF_SF_EERKSF_lbbbEUlllE_EE10hipError_tT0_T1_T2_T3_mRjT4_P12ihipStream_tbNS1_7vsmem_tEEUlT_E_NS1_11comp_targetILNS1_3genE3ELNS1_11target_archE908ELNS1_3gpuE7ELNS1_3repE0EEENS1_30default_config_static_selectorELNS0_4arch9wavefront6targetE1EEEvSM_ ; -- Begin function _ZN7rocprim17ROCPRIM_400000_NS6detail17trampoline_kernelINS0_14default_configENS1_37merge_sort_block_sort_config_selectorIlNS0_10empty_typeEEEZNS1_21merge_sort_block_sortIS3_PlS8_PS5_S9_ZN2at6native12_GLOBAL__N_124unique_dim_cuda_templateIbEESt5tupleIJNSA_6TensorESF_SF_EERKSF_lbbbEUlllE_EE10hipError_tT0_T1_T2_T3_mRjT4_P12ihipStream_tbNS1_7vsmem_tEEUlT_E_NS1_11comp_targetILNS1_3genE3ELNS1_11target_archE908ELNS1_3gpuE7ELNS1_3repE0EEENS1_30default_config_static_selectorELNS0_4arch9wavefront6targetE1EEEvSM_
	.p2align	8
	.type	_ZN7rocprim17ROCPRIM_400000_NS6detail17trampoline_kernelINS0_14default_configENS1_37merge_sort_block_sort_config_selectorIlNS0_10empty_typeEEEZNS1_21merge_sort_block_sortIS3_PlS8_PS5_S9_ZN2at6native12_GLOBAL__N_124unique_dim_cuda_templateIbEESt5tupleIJNSA_6TensorESF_SF_EERKSF_lbbbEUlllE_EE10hipError_tT0_T1_T2_T3_mRjT4_P12ihipStream_tbNS1_7vsmem_tEEUlT_E_NS1_11comp_targetILNS1_3genE3ELNS1_11target_archE908ELNS1_3gpuE7ELNS1_3repE0EEENS1_30default_config_static_selectorELNS0_4arch9wavefront6targetE1EEEvSM_,@function
_ZN7rocprim17ROCPRIM_400000_NS6detail17trampoline_kernelINS0_14default_configENS1_37merge_sort_block_sort_config_selectorIlNS0_10empty_typeEEEZNS1_21merge_sort_block_sortIS3_PlS8_PS5_S9_ZN2at6native12_GLOBAL__N_124unique_dim_cuda_templateIbEESt5tupleIJNSA_6TensorESF_SF_EERKSF_lbbbEUlllE_EE10hipError_tT0_T1_T2_T3_mRjT4_P12ihipStream_tbNS1_7vsmem_tEEUlT_E_NS1_11comp_targetILNS1_3genE3ELNS1_11target_archE908ELNS1_3gpuE7ELNS1_3repE0EEENS1_30default_config_static_selectorELNS0_4arch9wavefront6targetE1EEEvSM_: ; @_ZN7rocprim17ROCPRIM_400000_NS6detail17trampoline_kernelINS0_14default_configENS1_37merge_sort_block_sort_config_selectorIlNS0_10empty_typeEEEZNS1_21merge_sort_block_sortIS3_PlS8_PS5_S9_ZN2at6native12_GLOBAL__N_124unique_dim_cuda_templateIbEESt5tupleIJNSA_6TensorESF_SF_EERKSF_lbbbEUlllE_EE10hipError_tT0_T1_T2_T3_mRjT4_P12ihipStream_tbNS1_7vsmem_tEEUlT_E_NS1_11comp_targetILNS1_3genE3ELNS1_11target_archE908ELNS1_3gpuE7ELNS1_3repE0EEENS1_30default_config_static_selectorELNS0_4arch9wavefront6targetE1EEEvSM_
; %bb.0:
	.section	.rodata,"a",@progbits
	.p2align	6, 0x0
	.amdhsa_kernel _ZN7rocprim17ROCPRIM_400000_NS6detail17trampoline_kernelINS0_14default_configENS1_37merge_sort_block_sort_config_selectorIlNS0_10empty_typeEEEZNS1_21merge_sort_block_sortIS3_PlS8_PS5_S9_ZN2at6native12_GLOBAL__N_124unique_dim_cuda_templateIbEESt5tupleIJNSA_6TensorESF_SF_EERKSF_lbbbEUlllE_EE10hipError_tT0_T1_T2_T3_mRjT4_P12ihipStream_tbNS1_7vsmem_tEEUlT_E_NS1_11comp_targetILNS1_3genE3ELNS1_11target_archE908ELNS1_3gpuE7ELNS1_3repE0EEENS1_30default_config_static_selectorELNS0_4arch9wavefront6targetE1EEEvSM_
		.amdhsa_group_segment_fixed_size 0
		.amdhsa_private_segment_fixed_size 0
		.amdhsa_kernarg_size 72
		.amdhsa_user_sgpr_count 2
		.amdhsa_user_sgpr_dispatch_ptr 0
		.amdhsa_user_sgpr_queue_ptr 0
		.amdhsa_user_sgpr_kernarg_segment_ptr 1
		.amdhsa_user_sgpr_dispatch_id 0
		.amdhsa_user_sgpr_kernarg_preload_length 0
		.amdhsa_user_sgpr_kernarg_preload_offset 0
		.amdhsa_user_sgpr_private_segment_size 0
		.amdhsa_uses_dynamic_stack 0
		.amdhsa_enable_private_segment 0
		.amdhsa_system_sgpr_workgroup_id_x 1
		.amdhsa_system_sgpr_workgroup_id_y 0
		.amdhsa_system_sgpr_workgroup_id_z 0
		.amdhsa_system_sgpr_workgroup_info 0
		.amdhsa_system_vgpr_workitem_id 0
		.amdhsa_next_free_vgpr 1
		.amdhsa_next_free_sgpr 0
		.amdhsa_accum_offset 4
		.amdhsa_reserve_vcc 0
		.amdhsa_float_round_mode_32 0
		.amdhsa_float_round_mode_16_64 0
		.amdhsa_float_denorm_mode_32 3
		.amdhsa_float_denorm_mode_16_64 3
		.amdhsa_dx10_clamp 1
		.amdhsa_ieee_mode 1
		.amdhsa_fp16_overflow 0
		.amdhsa_tg_split 0
		.amdhsa_exception_fp_ieee_invalid_op 0
		.amdhsa_exception_fp_denorm_src 0
		.amdhsa_exception_fp_ieee_div_zero 0
		.amdhsa_exception_fp_ieee_overflow 0
		.amdhsa_exception_fp_ieee_underflow 0
		.amdhsa_exception_fp_ieee_inexact 0
		.amdhsa_exception_int_div_zero 0
	.end_amdhsa_kernel
	.section	.text._ZN7rocprim17ROCPRIM_400000_NS6detail17trampoline_kernelINS0_14default_configENS1_37merge_sort_block_sort_config_selectorIlNS0_10empty_typeEEEZNS1_21merge_sort_block_sortIS3_PlS8_PS5_S9_ZN2at6native12_GLOBAL__N_124unique_dim_cuda_templateIbEESt5tupleIJNSA_6TensorESF_SF_EERKSF_lbbbEUlllE_EE10hipError_tT0_T1_T2_T3_mRjT4_P12ihipStream_tbNS1_7vsmem_tEEUlT_E_NS1_11comp_targetILNS1_3genE3ELNS1_11target_archE908ELNS1_3gpuE7ELNS1_3repE0EEENS1_30default_config_static_selectorELNS0_4arch9wavefront6targetE1EEEvSM_,"axG",@progbits,_ZN7rocprim17ROCPRIM_400000_NS6detail17trampoline_kernelINS0_14default_configENS1_37merge_sort_block_sort_config_selectorIlNS0_10empty_typeEEEZNS1_21merge_sort_block_sortIS3_PlS8_PS5_S9_ZN2at6native12_GLOBAL__N_124unique_dim_cuda_templateIbEESt5tupleIJNSA_6TensorESF_SF_EERKSF_lbbbEUlllE_EE10hipError_tT0_T1_T2_T3_mRjT4_P12ihipStream_tbNS1_7vsmem_tEEUlT_E_NS1_11comp_targetILNS1_3genE3ELNS1_11target_archE908ELNS1_3gpuE7ELNS1_3repE0EEENS1_30default_config_static_selectorELNS0_4arch9wavefront6targetE1EEEvSM_,comdat
.Lfunc_end1004:
	.size	_ZN7rocprim17ROCPRIM_400000_NS6detail17trampoline_kernelINS0_14default_configENS1_37merge_sort_block_sort_config_selectorIlNS0_10empty_typeEEEZNS1_21merge_sort_block_sortIS3_PlS8_PS5_S9_ZN2at6native12_GLOBAL__N_124unique_dim_cuda_templateIbEESt5tupleIJNSA_6TensorESF_SF_EERKSF_lbbbEUlllE_EE10hipError_tT0_T1_T2_T3_mRjT4_P12ihipStream_tbNS1_7vsmem_tEEUlT_E_NS1_11comp_targetILNS1_3genE3ELNS1_11target_archE908ELNS1_3gpuE7ELNS1_3repE0EEENS1_30default_config_static_selectorELNS0_4arch9wavefront6targetE1EEEvSM_, .Lfunc_end1004-_ZN7rocprim17ROCPRIM_400000_NS6detail17trampoline_kernelINS0_14default_configENS1_37merge_sort_block_sort_config_selectorIlNS0_10empty_typeEEEZNS1_21merge_sort_block_sortIS3_PlS8_PS5_S9_ZN2at6native12_GLOBAL__N_124unique_dim_cuda_templateIbEESt5tupleIJNSA_6TensorESF_SF_EERKSF_lbbbEUlllE_EE10hipError_tT0_T1_T2_T3_mRjT4_P12ihipStream_tbNS1_7vsmem_tEEUlT_E_NS1_11comp_targetILNS1_3genE3ELNS1_11target_archE908ELNS1_3gpuE7ELNS1_3repE0EEENS1_30default_config_static_selectorELNS0_4arch9wavefront6targetE1EEEvSM_
                                        ; -- End function
	.section	.AMDGPU.csdata,"",@progbits
; Kernel info:
; codeLenInByte = 0
; NumSgprs: 6
; NumVgprs: 0
; NumAgprs: 0
; TotalNumVgprs: 0
; ScratchSize: 0
; MemoryBound: 0
; FloatMode: 240
; IeeeMode: 1
; LDSByteSize: 0 bytes/workgroup (compile time only)
; SGPRBlocks: 0
; VGPRBlocks: 0
; NumSGPRsForWavesPerEU: 6
; NumVGPRsForWavesPerEU: 1
; AccumOffset: 4
; Occupancy: 8
; WaveLimiterHint : 0
; COMPUTE_PGM_RSRC2:SCRATCH_EN: 0
; COMPUTE_PGM_RSRC2:USER_SGPR: 2
; COMPUTE_PGM_RSRC2:TRAP_HANDLER: 0
; COMPUTE_PGM_RSRC2:TGID_X_EN: 1
; COMPUTE_PGM_RSRC2:TGID_Y_EN: 0
; COMPUTE_PGM_RSRC2:TGID_Z_EN: 0
; COMPUTE_PGM_RSRC2:TIDIG_COMP_CNT: 0
; COMPUTE_PGM_RSRC3_GFX90A:ACCUM_OFFSET: 0
; COMPUTE_PGM_RSRC3_GFX90A:TG_SPLIT: 0
	.section	.text._ZN7rocprim17ROCPRIM_400000_NS6detail17trampoline_kernelINS0_14default_configENS1_37merge_sort_block_sort_config_selectorIlNS0_10empty_typeEEEZNS1_21merge_sort_block_sortIS3_PlS8_PS5_S9_ZN2at6native12_GLOBAL__N_124unique_dim_cuda_templateIbEESt5tupleIJNSA_6TensorESF_SF_EERKSF_lbbbEUlllE_EE10hipError_tT0_T1_T2_T3_mRjT4_P12ihipStream_tbNS1_7vsmem_tEEUlT_E_NS1_11comp_targetILNS1_3genE2ELNS1_11target_archE906ELNS1_3gpuE6ELNS1_3repE0EEENS1_30default_config_static_selectorELNS0_4arch9wavefront6targetE1EEEvSM_,"axG",@progbits,_ZN7rocprim17ROCPRIM_400000_NS6detail17trampoline_kernelINS0_14default_configENS1_37merge_sort_block_sort_config_selectorIlNS0_10empty_typeEEEZNS1_21merge_sort_block_sortIS3_PlS8_PS5_S9_ZN2at6native12_GLOBAL__N_124unique_dim_cuda_templateIbEESt5tupleIJNSA_6TensorESF_SF_EERKSF_lbbbEUlllE_EE10hipError_tT0_T1_T2_T3_mRjT4_P12ihipStream_tbNS1_7vsmem_tEEUlT_E_NS1_11comp_targetILNS1_3genE2ELNS1_11target_archE906ELNS1_3gpuE6ELNS1_3repE0EEENS1_30default_config_static_selectorELNS0_4arch9wavefront6targetE1EEEvSM_,comdat
	.globl	_ZN7rocprim17ROCPRIM_400000_NS6detail17trampoline_kernelINS0_14default_configENS1_37merge_sort_block_sort_config_selectorIlNS0_10empty_typeEEEZNS1_21merge_sort_block_sortIS3_PlS8_PS5_S9_ZN2at6native12_GLOBAL__N_124unique_dim_cuda_templateIbEESt5tupleIJNSA_6TensorESF_SF_EERKSF_lbbbEUlllE_EE10hipError_tT0_T1_T2_T3_mRjT4_P12ihipStream_tbNS1_7vsmem_tEEUlT_E_NS1_11comp_targetILNS1_3genE2ELNS1_11target_archE906ELNS1_3gpuE6ELNS1_3repE0EEENS1_30default_config_static_selectorELNS0_4arch9wavefront6targetE1EEEvSM_ ; -- Begin function _ZN7rocprim17ROCPRIM_400000_NS6detail17trampoline_kernelINS0_14default_configENS1_37merge_sort_block_sort_config_selectorIlNS0_10empty_typeEEEZNS1_21merge_sort_block_sortIS3_PlS8_PS5_S9_ZN2at6native12_GLOBAL__N_124unique_dim_cuda_templateIbEESt5tupleIJNSA_6TensorESF_SF_EERKSF_lbbbEUlllE_EE10hipError_tT0_T1_T2_T3_mRjT4_P12ihipStream_tbNS1_7vsmem_tEEUlT_E_NS1_11comp_targetILNS1_3genE2ELNS1_11target_archE906ELNS1_3gpuE6ELNS1_3repE0EEENS1_30default_config_static_selectorELNS0_4arch9wavefront6targetE1EEEvSM_
	.p2align	8
	.type	_ZN7rocprim17ROCPRIM_400000_NS6detail17trampoline_kernelINS0_14default_configENS1_37merge_sort_block_sort_config_selectorIlNS0_10empty_typeEEEZNS1_21merge_sort_block_sortIS3_PlS8_PS5_S9_ZN2at6native12_GLOBAL__N_124unique_dim_cuda_templateIbEESt5tupleIJNSA_6TensorESF_SF_EERKSF_lbbbEUlllE_EE10hipError_tT0_T1_T2_T3_mRjT4_P12ihipStream_tbNS1_7vsmem_tEEUlT_E_NS1_11comp_targetILNS1_3genE2ELNS1_11target_archE906ELNS1_3gpuE6ELNS1_3repE0EEENS1_30default_config_static_selectorELNS0_4arch9wavefront6targetE1EEEvSM_,@function
_ZN7rocprim17ROCPRIM_400000_NS6detail17trampoline_kernelINS0_14default_configENS1_37merge_sort_block_sort_config_selectorIlNS0_10empty_typeEEEZNS1_21merge_sort_block_sortIS3_PlS8_PS5_S9_ZN2at6native12_GLOBAL__N_124unique_dim_cuda_templateIbEESt5tupleIJNSA_6TensorESF_SF_EERKSF_lbbbEUlllE_EE10hipError_tT0_T1_T2_T3_mRjT4_P12ihipStream_tbNS1_7vsmem_tEEUlT_E_NS1_11comp_targetILNS1_3genE2ELNS1_11target_archE906ELNS1_3gpuE6ELNS1_3repE0EEENS1_30default_config_static_selectorELNS0_4arch9wavefront6targetE1EEEvSM_: ; @_ZN7rocprim17ROCPRIM_400000_NS6detail17trampoline_kernelINS0_14default_configENS1_37merge_sort_block_sort_config_selectorIlNS0_10empty_typeEEEZNS1_21merge_sort_block_sortIS3_PlS8_PS5_S9_ZN2at6native12_GLOBAL__N_124unique_dim_cuda_templateIbEESt5tupleIJNSA_6TensorESF_SF_EERKSF_lbbbEUlllE_EE10hipError_tT0_T1_T2_T3_mRjT4_P12ihipStream_tbNS1_7vsmem_tEEUlT_E_NS1_11comp_targetILNS1_3genE2ELNS1_11target_archE906ELNS1_3gpuE6ELNS1_3repE0EEENS1_30default_config_static_selectorELNS0_4arch9wavefront6targetE1EEEvSM_
; %bb.0:
	.section	.rodata,"a",@progbits
	.p2align	6, 0x0
	.amdhsa_kernel _ZN7rocprim17ROCPRIM_400000_NS6detail17trampoline_kernelINS0_14default_configENS1_37merge_sort_block_sort_config_selectorIlNS0_10empty_typeEEEZNS1_21merge_sort_block_sortIS3_PlS8_PS5_S9_ZN2at6native12_GLOBAL__N_124unique_dim_cuda_templateIbEESt5tupleIJNSA_6TensorESF_SF_EERKSF_lbbbEUlllE_EE10hipError_tT0_T1_T2_T3_mRjT4_P12ihipStream_tbNS1_7vsmem_tEEUlT_E_NS1_11comp_targetILNS1_3genE2ELNS1_11target_archE906ELNS1_3gpuE6ELNS1_3repE0EEENS1_30default_config_static_selectorELNS0_4arch9wavefront6targetE1EEEvSM_
		.amdhsa_group_segment_fixed_size 0
		.amdhsa_private_segment_fixed_size 0
		.amdhsa_kernarg_size 72
		.amdhsa_user_sgpr_count 2
		.amdhsa_user_sgpr_dispatch_ptr 0
		.amdhsa_user_sgpr_queue_ptr 0
		.amdhsa_user_sgpr_kernarg_segment_ptr 1
		.amdhsa_user_sgpr_dispatch_id 0
		.amdhsa_user_sgpr_kernarg_preload_length 0
		.amdhsa_user_sgpr_kernarg_preload_offset 0
		.amdhsa_user_sgpr_private_segment_size 0
		.amdhsa_uses_dynamic_stack 0
		.amdhsa_enable_private_segment 0
		.amdhsa_system_sgpr_workgroup_id_x 1
		.amdhsa_system_sgpr_workgroup_id_y 0
		.amdhsa_system_sgpr_workgroup_id_z 0
		.amdhsa_system_sgpr_workgroup_info 0
		.amdhsa_system_vgpr_workitem_id 0
		.amdhsa_next_free_vgpr 1
		.amdhsa_next_free_sgpr 0
		.amdhsa_accum_offset 4
		.amdhsa_reserve_vcc 0
		.amdhsa_float_round_mode_32 0
		.amdhsa_float_round_mode_16_64 0
		.amdhsa_float_denorm_mode_32 3
		.amdhsa_float_denorm_mode_16_64 3
		.amdhsa_dx10_clamp 1
		.amdhsa_ieee_mode 1
		.amdhsa_fp16_overflow 0
		.amdhsa_tg_split 0
		.amdhsa_exception_fp_ieee_invalid_op 0
		.amdhsa_exception_fp_denorm_src 0
		.amdhsa_exception_fp_ieee_div_zero 0
		.amdhsa_exception_fp_ieee_overflow 0
		.amdhsa_exception_fp_ieee_underflow 0
		.amdhsa_exception_fp_ieee_inexact 0
		.amdhsa_exception_int_div_zero 0
	.end_amdhsa_kernel
	.section	.text._ZN7rocprim17ROCPRIM_400000_NS6detail17trampoline_kernelINS0_14default_configENS1_37merge_sort_block_sort_config_selectorIlNS0_10empty_typeEEEZNS1_21merge_sort_block_sortIS3_PlS8_PS5_S9_ZN2at6native12_GLOBAL__N_124unique_dim_cuda_templateIbEESt5tupleIJNSA_6TensorESF_SF_EERKSF_lbbbEUlllE_EE10hipError_tT0_T1_T2_T3_mRjT4_P12ihipStream_tbNS1_7vsmem_tEEUlT_E_NS1_11comp_targetILNS1_3genE2ELNS1_11target_archE906ELNS1_3gpuE6ELNS1_3repE0EEENS1_30default_config_static_selectorELNS0_4arch9wavefront6targetE1EEEvSM_,"axG",@progbits,_ZN7rocprim17ROCPRIM_400000_NS6detail17trampoline_kernelINS0_14default_configENS1_37merge_sort_block_sort_config_selectorIlNS0_10empty_typeEEEZNS1_21merge_sort_block_sortIS3_PlS8_PS5_S9_ZN2at6native12_GLOBAL__N_124unique_dim_cuda_templateIbEESt5tupleIJNSA_6TensorESF_SF_EERKSF_lbbbEUlllE_EE10hipError_tT0_T1_T2_T3_mRjT4_P12ihipStream_tbNS1_7vsmem_tEEUlT_E_NS1_11comp_targetILNS1_3genE2ELNS1_11target_archE906ELNS1_3gpuE6ELNS1_3repE0EEENS1_30default_config_static_selectorELNS0_4arch9wavefront6targetE1EEEvSM_,comdat
.Lfunc_end1005:
	.size	_ZN7rocprim17ROCPRIM_400000_NS6detail17trampoline_kernelINS0_14default_configENS1_37merge_sort_block_sort_config_selectorIlNS0_10empty_typeEEEZNS1_21merge_sort_block_sortIS3_PlS8_PS5_S9_ZN2at6native12_GLOBAL__N_124unique_dim_cuda_templateIbEESt5tupleIJNSA_6TensorESF_SF_EERKSF_lbbbEUlllE_EE10hipError_tT0_T1_T2_T3_mRjT4_P12ihipStream_tbNS1_7vsmem_tEEUlT_E_NS1_11comp_targetILNS1_3genE2ELNS1_11target_archE906ELNS1_3gpuE6ELNS1_3repE0EEENS1_30default_config_static_selectorELNS0_4arch9wavefront6targetE1EEEvSM_, .Lfunc_end1005-_ZN7rocprim17ROCPRIM_400000_NS6detail17trampoline_kernelINS0_14default_configENS1_37merge_sort_block_sort_config_selectorIlNS0_10empty_typeEEEZNS1_21merge_sort_block_sortIS3_PlS8_PS5_S9_ZN2at6native12_GLOBAL__N_124unique_dim_cuda_templateIbEESt5tupleIJNSA_6TensorESF_SF_EERKSF_lbbbEUlllE_EE10hipError_tT0_T1_T2_T3_mRjT4_P12ihipStream_tbNS1_7vsmem_tEEUlT_E_NS1_11comp_targetILNS1_3genE2ELNS1_11target_archE906ELNS1_3gpuE6ELNS1_3repE0EEENS1_30default_config_static_selectorELNS0_4arch9wavefront6targetE1EEEvSM_
                                        ; -- End function
	.section	.AMDGPU.csdata,"",@progbits
; Kernel info:
; codeLenInByte = 0
; NumSgprs: 6
; NumVgprs: 0
; NumAgprs: 0
; TotalNumVgprs: 0
; ScratchSize: 0
; MemoryBound: 0
; FloatMode: 240
; IeeeMode: 1
; LDSByteSize: 0 bytes/workgroup (compile time only)
; SGPRBlocks: 0
; VGPRBlocks: 0
; NumSGPRsForWavesPerEU: 6
; NumVGPRsForWavesPerEU: 1
; AccumOffset: 4
; Occupancy: 8
; WaveLimiterHint : 0
; COMPUTE_PGM_RSRC2:SCRATCH_EN: 0
; COMPUTE_PGM_RSRC2:USER_SGPR: 2
; COMPUTE_PGM_RSRC2:TRAP_HANDLER: 0
; COMPUTE_PGM_RSRC2:TGID_X_EN: 1
; COMPUTE_PGM_RSRC2:TGID_Y_EN: 0
; COMPUTE_PGM_RSRC2:TGID_Z_EN: 0
; COMPUTE_PGM_RSRC2:TIDIG_COMP_CNT: 0
; COMPUTE_PGM_RSRC3_GFX90A:ACCUM_OFFSET: 0
; COMPUTE_PGM_RSRC3_GFX90A:TG_SPLIT: 0
	.section	.text._ZN7rocprim17ROCPRIM_400000_NS6detail17trampoline_kernelINS0_14default_configENS1_37merge_sort_block_sort_config_selectorIlNS0_10empty_typeEEEZNS1_21merge_sort_block_sortIS3_PlS8_PS5_S9_ZN2at6native12_GLOBAL__N_124unique_dim_cuda_templateIbEESt5tupleIJNSA_6TensorESF_SF_EERKSF_lbbbEUlllE_EE10hipError_tT0_T1_T2_T3_mRjT4_P12ihipStream_tbNS1_7vsmem_tEEUlT_E_NS1_11comp_targetILNS1_3genE10ELNS1_11target_archE1201ELNS1_3gpuE5ELNS1_3repE0EEENS1_30default_config_static_selectorELNS0_4arch9wavefront6targetE1EEEvSM_,"axG",@progbits,_ZN7rocprim17ROCPRIM_400000_NS6detail17trampoline_kernelINS0_14default_configENS1_37merge_sort_block_sort_config_selectorIlNS0_10empty_typeEEEZNS1_21merge_sort_block_sortIS3_PlS8_PS5_S9_ZN2at6native12_GLOBAL__N_124unique_dim_cuda_templateIbEESt5tupleIJNSA_6TensorESF_SF_EERKSF_lbbbEUlllE_EE10hipError_tT0_T1_T2_T3_mRjT4_P12ihipStream_tbNS1_7vsmem_tEEUlT_E_NS1_11comp_targetILNS1_3genE10ELNS1_11target_archE1201ELNS1_3gpuE5ELNS1_3repE0EEENS1_30default_config_static_selectorELNS0_4arch9wavefront6targetE1EEEvSM_,comdat
	.globl	_ZN7rocprim17ROCPRIM_400000_NS6detail17trampoline_kernelINS0_14default_configENS1_37merge_sort_block_sort_config_selectorIlNS0_10empty_typeEEEZNS1_21merge_sort_block_sortIS3_PlS8_PS5_S9_ZN2at6native12_GLOBAL__N_124unique_dim_cuda_templateIbEESt5tupleIJNSA_6TensorESF_SF_EERKSF_lbbbEUlllE_EE10hipError_tT0_T1_T2_T3_mRjT4_P12ihipStream_tbNS1_7vsmem_tEEUlT_E_NS1_11comp_targetILNS1_3genE10ELNS1_11target_archE1201ELNS1_3gpuE5ELNS1_3repE0EEENS1_30default_config_static_selectorELNS0_4arch9wavefront6targetE1EEEvSM_ ; -- Begin function _ZN7rocprim17ROCPRIM_400000_NS6detail17trampoline_kernelINS0_14default_configENS1_37merge_sort_block_sort_config_selectorIlNS0_10empty_typeEEEZNS1_21merge_sort_block_sortIS3_PlS8_PS5_S9_ZN2at6native12_GLOBAL__N_124unique_dim_cuda_templateIbEESt5tupleIJNSA_6TensorESF_SF_EERKSF_lbbbEUlllE_EE10hipError_tT0_T1_T2_T3_mRjT4_P12ihipStream_tbNS1_7vsmem_tEEUlT_E_NS1_11comp_targetILNS1_3genE10ELNS1_11target_archE1201ELNS1_3gpuE5ELNS1_3repE0EEENS1_30default_config_static_selectorELNS0_4arch9wavefront6targetE1EEEvSM_
	.p2align	8
	.type	_ZN7rocprim17ROCPRIM_400000_NS6detail17trampoline_kernelINS0_14default_configENS1_37merge_sort_block_sort_config_selectorIlNS0_10empty_typeEEEZNS1_21merge_sort_block_sortIS3_PlS8_PS5_S9_ZN2at6native12_GLOBAL__N_124unique_dim_cuda_templateIbEESt5tupleIJNSA_6TensorESF_SF_EERKSF_lbbbEUlllE_EE10hipError_tT0_T1_T2_T3_mRjT4_P12ihipStream_tbNS1_7vsmem_tEEUlT_E_NS1_11comp_targetILNS1_3genE10ELNS1_11target_archE1201ELNS1_3gpuE5ELNS1_3repE0EEENS1_30default_config_static_selectorELNS0_4arch9wavefront6targetE1EEEvSM_,@function
_ZN7rocprim17ROCPRIM_400000_NS6detail17trampoline_kernelINS0_14default_configENS1_37merge_sort_block_sort_config_selectorIlNS0_10empty_typeEEEZNS1_21merge_sort_block_sortIS3_PlS8_PS5_S9_ZN2at6native12_GLOBAL__N_124unique_dim_cuda_templateIbEESt5tupleIJNSA_6TensorESF_SF_EERKSF_lbbbEUlllE_EE10hipError_tT0_T1_T2_T3_mRjT4_P12ihipStream_tbNS1_7vsmem_tEEUlT_E_NS1_11comp_targetILNS1_3genE10ELNS1_11target_archE1201ELNS1_3gpuE5ELNS1_3repE0EEENS1_30default_config_static_selectorELNS0_4arch9wavefront6targetE1EEEvSM_: ; @_ZN7rocprim17ROCPRIM_400000_NS6detail17trampoline_kernelINS0_14default_configENS1_37merge_sort_block_sort_config_selectorIlNS0_10empty_typeEEEZNS1_21merge_sort_block_sortIS3_PlS8_PS5_S9_ZN2at6native12_GLOBAL__N_124unique_dim_cuda_templateIbEESt5tupleIJNSA_6TensorESF_SF_EERKSF_lbbbEUlllE_EE10hipError_tT0_T1_T2_T3_mRjT4_P12ihipStream_tbNS1_7vsmem_tEEUlT_E_NS1_11comp_targetILNS1_3genE10ELNS1_11target_archE1201ELNS1_3gpuE5ELNS1_3repE0EEENS1_30default_config_static_selectorELNS0_4arch9wavefront6targetE1EEEvSM_
; %bb.0:
	.section	.rodata,"a",@progbits
	.p2align	6, 0x0
	.amdhsa_kernel _ZN7rocprim17ROCPRIM_400000_NS6detail17trampoline_kernelINS0_14default_configENS1_37merge_sort_block_sort_config_selectorIlNS0_10empty_typeEEEZNS1_21merge_sort_block_sortIS3_PlS8_PS5_S9_ZN2at6native12_GLOBAL__N_124unique_dim_cuda_templateIbEESt5tupleIJNSA_6TensorESF_SF_EERKSF_lbbbEUlllE_EE10hipError_tT0_T1_T2_T3_mRjT4_P12ihipStream_tbNS1_7vsmem_tEEUlT_E_NS1_11comp_targetILNS1_3genE10ELNS1_11target_archE1201ELNS1_3gpuE5ELNS1_3repE0EEENS1_30default_config_static_selectorELNS0_4arch9wavefront6targetE1EEEvSM_
		.amdhsa_group_segment_fixed_size 0
		.amdhsa_private_segment_fixed_size 0
		.amdhsa_kernarg_size 72
		.amdhsa_user_sgpr_count 2
		.amdhsa_user_sgpr_dispatch_ptr 0
		.amdhsa_user_sgpr_queue_ptr 0
		.amdhsa_user_sgpr_kernarg_segment_ptr 1
		.amdhsa_user_sgpr_dispatch_id 0
		.amdhsa_user_sgpr_kernarg_preload_length 0
		.amdhsa_user_sgpr_kernarg_preload_offset 0
		.amdhsa_user_sgpr_private_segment_size 0
		.amdhsa_uses_dynamic_stack 0
		.amdhsa_enable_private_segment 0
		.amdhsa_system_sgpr_workgroup_id_x 1
		.amdhsa_system_sgpr_workgroup_id_y 0
		.amdhsa_system_sgpr_workgroup_id_z 0
		.amdhsa_system_sgpr_workgroup_info 0
		.amdhsa_system_vgpr_workitem_id 0
		.amdhsa_next_free_vgpr 1
		.amdhsa_next_free_sgpr 0
		.amdhsa_accum_offset 4
		.amdhsa_reserve_vcc 0
		.amdhsa_float_round_mode_32 0
		.amdhsa_float_round_mode_16_64 0
		.amdhsa_float_denorm_mode_32 3
		.amdhsa_float_denorm_mode_16_64 3
		.amdhsa_dx10_clamp 1
		.amdhsa_ieee_mode 1
		.amdhsa_fp16_overflow 0
		.amdhsa_tg_split 0
		.amdhsa_exception_fp_ieee_invalid_op 0
		.amdhsa_exception_fp_denorm_src 0
		.amdhsa_exception_fp_ieee_div_zero 0
		.amdhsa_exception_fp_ieee_overflow 0
		.amdhsa_exception_fp_ieee_underflow 0
		.amdhsa_exception_fp_ieee_inexact 0
		.amdhsa_exception_int_div_zero 0
	.end_amdhsa_kernel
	.section	.text._ZN7rocprim17ROCPRIM_400000_NS6detail17trampoline_kernelINS0_14default_configENS1_37merge_sort_block_sort_config_selectorIlNS0_10empty_typeEEEZNS1_21merge_sort_block_sortIS3_PlS8_PS5_S9_ZN2at6native12_GLOBAL__N_124unique_dim_cuda_templateIbEESt5tupleIJNSA_6TensorESF_SF_EERKSF_lbbbEUlllE_EE10hipError_tT0_T1_T2_T3_mRjT4_P12ihipStream_tbNS1_7vsmem_tEEUlT_E_NS1_11comp_targetILNS1_3genE10ELNS1_11target_archE1201ELNS1_3gpuE5ELNS1_3repE0EEENS1_30default_config_static_selectorELNS0_4arch9wavefront6targetE1EEEvSM_,"axG",@progbits,_ZN7rocprim17ROCPRIM_400000_NS6detail17trampoline_kernelINS0_14default_configENS1_37merge_sort_block_sort_config_selectorIlNS0_10empty_typeEEEZNS1_21merge_sort_block_sortIS3_PlS8_PS5_S9_ZN2at6native12_GLOBAL__N_124unique_dim_cuda_templateIbEESt5tupleIJNSA_6TensorESF_SF_EERKSF_lbbbEUlllE_EE10hipError_tT0_T1_T2_T3_mRjT4_P12ihipStream_tbNS1_7vsmem_tEEUlT_E_NS1_11comp_targetILNS1_3genE10ELNS1_11target_archE1201ELNS1_3gpuE5ELNS1_3repE0EEENS1_30default_config_static_selectorELNS0_4arch9wavefront6targetE1EEEvSM_,comdat
.Lfunc_end1006:
	.size	_ZN7rocprim17ROCPRIM_400000_NS6detail17trampoline_kernelINS0_14default_configENS1_37merge_sort_block_sort_config_selectorIlNS0_10empty_typeEEEZNS1_21merge_sort_block_sortIS3_PlS8_PS5_S9_ZN2at6native12_GLOBAL__N_124unique_dim_cuda_templateIbEESt5tupleIJNSA_6TensorESF_SF_EERKSF_lbbbEUlllE_EE10hipError_tT0_T1_T2_T3_mRjT4_P12ihipStream_tbNS1_7vsmem_tEEUlT_E_NS1_11comp_targetILNS1_3genE10ELNS1_11target_archE1201ELNS1_3gpuE5ELNS1_3repE0EEENS1_30default_config_static_selectorELNS0_4arch9wavefront6targetE1EEEvSM_, .Lfunc_end1006-_ZN7rocprim17ROCPRIM_400000_NS6detail17trampoline_kernelINS0_14default_configENS1_37merge_sort_block_sort_config_selectorIlNS0_10empty_typeEEEZNS1_21merge_sort_block_sortIS3_PlS8_PS5_S9_ZN2at6native12_GLOBAL__N_124unique_dim_cuda_templateIbEESt5tupleIJNSA_6TensorESF_SF_EERKSF_lbbbEUlllE_EE10hipError_tT0_T1_T2_T3_mRjT4_P12ihipStream_tbNS1_7vsmem_tEEUlT_E_NS1_11comp_targetILNS1_3genE10ELNS1_11target_archE1201ELNS1_3gpuE5ELNS1_3repE0EEENS1_30default_config_static_selectorELNS0_4arch9wavefront6targetE1EEEvSM_
                                        ; -- End function
	.section	.AMDGPU.csdata,"",@progbits
; Kernel info:
; codeLenInByte = 0
; NumSgprs: 6
; NumVgprs: 0
; NumAgprs: 0
; TotalNumVgprs: 0
; ScratchSize: 0
; MemoryBound: 0
; FloatMode: 240
; IeeeMode: 1
; LDSByteSize: 0 bytes/workgroup (compile time only)
; SGPRBlocks: 0
; VGPRBlocks: 0
; NumSGPRsForWavesPerEU: 6
; NumVGPRsForWavesPerEU: 1
; AccumOffset: 4
; Occupancy: 8
; WaveLimiterHint : 0
; COMPUTE_PGM_RSRC2:SCRATCH_EN: 0
; COMPUTE_PGM_RSRC2:USER_SGPR: 2
; COMPUTE_PGM_RSRC2:TRAP_HANDLER: 0
; COMPUTE_PGM_RSRC2:TGID_X_EN: 1
; COMPUTE_PGM_RSRC2:TGID_Y_EN: 0
; COMPUTE_PGM_RSRC2:TGID_Z_EN: 0
; COMPUTE_PGM_RSRC2:TIDIG_COMP_CNT: 0
; COMPUTE_PGM_RSRC3_GFX90A:ACCUM_OFFSET: 0
; COMPUTE_PGM_RSRC3_GFX90A:TG_SPLIT: 0
	.section	.text._ZN7rocprim17ROCPRIM_400000_NS6detail17trampoline_kernelINS0_14default_configENS1_37merge_sort_block_sort_config_selectorIlNS0_10empty_typeEEEZNS1_21merge_sort_block_sortIS3_PlS8_PS5_S9_ZN2at6native12_GLOBAL__N_124unique_dim_cuda_templateIbEESt5tupleIJNSA_6TensorESF_SF_EERKSF_lbbbEUlllE_EE10hipError_tT0_T1_T2_T3_mRjT4_P12ihipStream_tbNS1_7vsmem_tEEUlT_E_NS1_11comp_targetILNS1_3genE10ELNS1_11target_archE1200ELNS1_3gpuE4ELNS1_3repE0EEENS1_30default_config_static_selectorELNS0_4arch9wavefront6targetE1EEEvSM_,"axG",@progbits,_ZN7rocprim17ROCPRIM_400000_NS6detail17trampoline_kernelINS0_14default_configENS1_37merge_sort_block_sort_config_selectorIlNS0_10empty_typeEEEZNS1_21merge_sort_block_sortIS3_PlS8_PS5_S9_ZN2at6native12_GLOBAL__N_124unique_dim_cuda_templateIbEESt5tupleIJNSA_6TensorESF_SF_EERKSF_lbbbEUlllE_EE10hipError_tT0_T1_T2_T3_mRjT4_P12ihipStream_tbNS1_7vsmem_tEEUlT_E_NS1_11comp_targetILNS1_3genE10ELNS1_11target_archE1200ELNS1_3gpuE4ELNS1_3repE0EEENS1_30default_config_static_selectorELNS0_4arch9wavefront6targetE1EEEvSM_,comdat
	.globl	_ZN7rocprim17ROCPRIM_400000_NS6detail17trampoline_kernelINS0_14default_configENS1_37merge_sort_block_sort_config_selectorIlNS0_10empty_typeEEEZNS1_21merge_sort_block_sortIS3_PlS8_PS5_S9_ZN2at6native12_GLOBAL__N_124unique_dim_cuda_templateIbEESt5tupleIJNSA_6TensorESF_SF_EERKSF_lbbbEUlllE_EE10hipError_tT0_T1_T2_T3_mRjT4_P12ihipStream_tbNS1_7vsmem_tEEUlT_E_NS1_11comp_targetILNS1_3genE10ELNS1_11target_archE1200ELNS1_3gpuE4ELNS1_3repE0EEENS1_30default_config_static_selectorELNS0_4arch9wavefront6targetE1EEEvSM_ ; -- Begin function _ZN7rocprim17ROCPRIM_400000_NS6detail17trampoline_kernelINS0_14default_configENS1_37merge_sort_block_sort_config_selectorIlNS0_10empty_typeEEEZNS1_21merge_sort_block_sortIS3_PlS8_PS5_S9_ZN2at6native12_GLOBAL__N_124unique_dim_cuda_templateIbEESt5tupleIJNSA_6TensorESF_SF_EERKSF_lbbbEUlllE_EE10hipError_tT0_T1_T2_T3_mRjT4_P12ihipStream_tbNS1_7vsmem_tEEUlT_E_NS1_11comp_targetILNS1_3genE10ELNS1_11target_archE1200ELNS1_3gpuE4ELNS1_3repE0EEENS1_30default_config_static_selectorELNS0_4arch9wavefront6targetE1EEEvSM_
	.p2align	8
	.type	_ZN7rocprim17ROCPRIM_400000_NS6detail17trampoline_kernelINS0_14default_configENS1_37merge_sort_block_sort_config_selectorIlNS0_10empty_typeEEEZNS1_21merge_sort_block_sortIS3_PlS8_PS5_S9_ZN2at6native12_GLOBAL__N_124unique_dim_cuda_templateIbEESt5tupleIJNSA_6TensorESF_SF_EERKSF_lbbbEUlllE_EE10hipError_tT0_T1_T2_T3_mRjT4_P12ihipStream_tbNS1_7vsmem_tEEUlT_E_NS1_11comp_targetILNS1_3genE10ELNS1_11target_archE1200ELNS1_3gpuE4ELNS1_3repE0EEENS1_30default_config_static_selectorELNS0_4arch9wavefront6targetE1EEEvSM_,@function
_ZN7rocprim17ROCPRIM_400000_NS6detail17trampoline_kernelINS0_14default_configENS1_37merge_sort_block_sort_config_selectorIlNS0_10empty_typeEEEZNS1_21merge_sort_block_sortIS3_PlS8_PS5_S9_ZN2at6native12_GLOBAL__N_124unique_dim_cuda_templateIbEESt5tupleIJNSA_6TensorESF_SF_EERKSF_lbbbEUlllE_EE10hipError_tT0_T1_T2_T3_mRjT4_P12ihipStream_tbNS1_7vsmem_tEEUlT_E_NS1_11comp_targetILNS1_3genE10ELNS1_11target_archE1200ELNS1_3gpuE4ELNS1_3repE0EEENS1_30default_config_static_selectorELNS0_4arch9wavefront6targetE1EEEvSM_: ; @_ZN7rocprim17ROCPRIM_400000_NS6detail17trampoline_kernelINS0_14default_configENS1_37merge_sort_block_sort_config_selectorIlNS0_10empty_typeEEEZNS1_21merge_sort_block_sortIS3_PlS8_PS5_S9_ZN2at6native12_GLOBAL__N_124unique_dim_cuda_templateIbEESt5tupleIJNSA_6TensorESF_SF_EERKSF_lbbbEUlllE_EE10hipError_tT0_T1_T2_T3_mRjT4_P12ihipStream_tbNS1_7vsmem_tEEUlT_E_NS1_11comp_targetILNS1_3genE10ELNS1_11target_archE1200ELNS1_3gpuE4ELNS1_3repE0EEENS1_30default_config_static_selectorELNS0_4arch9wavefront6targetE1EEEvSM_
; %bb.0:
	.section	.rodata,"a",@progbits
	.p2align	6, 0x0
	.amdhsa_kernel _ZN7rocprim17ROCPRIM_400000_NS6detail17trampoline_kernelINS0_14default_configENS1_37merge_sort_block_sort_config_selectorIlNS0_10empty_typeEEEZNS1_21merge_sort_block_sortIS3_PlS8_PS5_S9_ZN2at6native12_GLOBAL__N_124unique_dim_cuda_templateIbEESt5tupleIJNSA_6TensorESF_SF_EERKSF_lbbbEUlllE_EE10hipError_tT0_T1_T2_T3_mRjT4_P12ihipStream_tbNS1_7vsmem_tEEUlT_E_NS1_11comp_targetILNS1_3genE10ELNS1_11target_archE1200ELNS1_3gpuE4ELNS1_3repE0EEENS1_30default_config_static_selectorELNS0_4arch9wavefront6targetE1EEEvSM_
		.amdhsa_group_segment_fixed_size 0
		.amdhsa_private_segment_fixed_size 0
		.amdhsa_kernarg_size 72
		.amdhsa_user_sgpr_count 2
		.amdhsa_user_sgpr_dispatch_ptr 0
		.amdhsa_user_sgpr_queue_ptr 0
		.amdhsa_user_sgpr_kernarg_segment_ptr 1
		.amdhsa_user_sgpr_dispatch_id 0
		.amdhsa_user_sgpr_kernarg_preload_length 0
		.amdhsa_user_sgpr_kernarg_preload_offset 0
		.amdhsa_user_sgpr_private_segment_size 0
		.amdhsa_uses_dynamic_stack 0
		.amdhsa_enable_private_segment 0
		.amdhsa_system_sgpr_workgroup_id_x 1
		.amdhsa_system_sgpr_workgroup_id_y 0
		.amdhsa_system_sgpr_workgroup_id_z 0
		.amdhsa_system_sgpr_workgroup_info 0
		.amdhsa_system_vgpr_workitem_id 0
		.amdhsa_next_free_vgpr 1
		.amdhsa_next_free_sgpr 0
		.amdhsa_accum_offset 4
		.amdhsa_reserve_vcc 0
		.amdhsa_float_round_mode_32 0
		.amdhsa_float_round_mode_16_64 0
		.amdhsa_float_denorm_mode_32 3
		.amdhsa_float_denorm_mode_16_64 3
		.amdhsa_dx10_clamp 1
		.amdhsa_ieee_mode 1
		.amdhsa_fp16_overflow 0
		.amdhsa_tg_split 0
		.amdhsa_exception_fp_ieee_invalid_op 0
		.amdhsa_exception_fp_denorm_src 0
		.amdhsa_exception_fp_ieee_div_zero 0
		.amdhsa_exception_fp_ieee_overflow 0
		.amdhsa_exception_fp_ieee_underflow 0
		.amdhsa_exception_fp_ieee_inexact 0
		.amdhsa_exception_int_div_zero 0
	.end_amdhsa_kernel
	.section	.text._ZN7rocprim17ROCPRIM_400000_NS6detail17trampoline_kernelINS0_14default_configENS1_37merge_sort_block_sort_config_selectorIlNS0_10empty_typeEEEZNS1_21merge_sort_block_sortIS3_PlS8_PS5_S9_ZN2at6native12_GLOBAL__N_124unique_dim_cuda_templateIbEESt5tupleIJNSA_6TensorESF_SF_EERKSF_lbbbEUlllE_EE10hipError_tT0_T1_T2_T3_mRjT4_P12ihipStream_tbNS1_7vsmem_tEEUlT_E_NS1_11comp_targetILNS1_3genE10ELNS1_11target_archE1200ELNS1_3gpuE4ELNS1_3repE0EEENS1_30default_config_static_selectorELNS0_4arch9wavefront6targetE1EEEvSM_,"axG",@progbits,_ZN7rocprim17ROCPRIM_400000_NS6detail17trampoline_kernelINS0_14default_configENS1_37merge_sort_block_sort_config_selectorIlNS0_10empty_typeEEEZNS1_21merge_sort_block_sortIS3_PlS8_PS5_S9_ZN2at6native12_GLOBAL__N_124unique_dim_cuda_templateIbEESt5tupleIJNSA_6TensorESF_SF_EERKSF_lbbbEUlllE_EE10hipError_tT0_T1_T2_T3_mRjT4_P12ihipStream_tbNS1_7vsmem_tEEUlT_E_NS1_11comp_targetILNS1_3genE10ELNS1_11target_archE1200ELNS1_3gpuE4ELNS1_3repE0EEENS1_30default_config_static_selectorELNS0_4arch9wavefront6targetE1EEEvSM_,comdat
.Lfunc_end1007:
	.size	_ZN7rocprim17ROCPRIM_400000_NS6detail17trampoline_kernelINS0_14default_configENS1_37merge_sort_block_sort_config_selectorIlNS0_10empty_typeEEEZNS1_21merge_sort_block_sortIS3_PlS8_PS5_S9_ZN2at6native12_GLOBAL__N_124unique_dim_cuda_templateIbEESt5tupleIJNSA_6TensorESF_SF_EERKSF_lbbbEUlllE_EE10hipError_tT0_T1_T2_T3_mRjT4_P12ihipStream_tbNS1_7vsmem_tEEUlT_E_NS1_11comp_targetILNS1_3genE10ELNS1_11target_archE1200ELNS1_3gpuE4ELNS1_3repE0EEENS1_30default_config_static_selectorELNS0_4arch9wavefront6targetE1EEEvSM_, .Lfunc_end1007-_ZN7rocprim17ROCPRIM_400000_NS6detail17trampoline_kernelINS0_14default_configENS1_37merge_sort_block_sort_config_selectorIlNS0_10empty_typeEEEZNS1_21merge_sort_block_sortIS3_PlS8_PS5_S9_ZN2at6native12_GLOBAL__N_124unique_dim_cuda_templateIbEESt5tupleIJNSA_6TensorESF_SF_EERKSF_lbbbEUlllE_EE10hipError_tT0_T1_T2_T3_mRjT4_P12ihipStream_tbNS1_7vsmem_tEEUlT_E_NS1_11comp_targetILNS1_3genE10ELNS1_11target_archE1200ELNS1_3gpuE4ELNS1_3repE0EEENS1_30default_config_static_selectorELNS0_4arch9wavefront6targetE1EEEvSM_
                                        ; -- End function
	.section	.AMDGPU.csdata,"",@progbits
; Kernel info:
; codeLenInByte = 0
; NumSgprs: 6
; NumVgprs: 0
; NumAgprs: 0
; TotalNumVgprs: 0
; ScratchSize: 0
; MemoryBound: 0
; FloatMode: 240
; IeeeMode: 1
; LDSByteSize: 0 bytes/workgroup (compile time only)
; SGPRBlocks: 0
; VGPRBlocks: 0
; NumSGPRsForWavesPerEU: 6
; NumVGPRsForWavesPerEU: 1
; AccumOffset: 4
; Occupancy: 8
; WaveLimiterHint : 0
; COMPUTE_PGM_RSRC2:SCRATCH_EN: 0
; COMPUTE_PGM_RSRC2:USER_SGPR: 2
; COMPUTE_PGM_RSRC2:TRAP_HANDLER: 0
; COMPUTE_PGM_RSRC2:TGID_X_EN: 1
; COMPUTE_PGM_RSRC2:TGID_Y_EN: 0
; COMPUTE_PGM_RSRC2:TGID_Z_EN: 0
; COMPUTE_PGM_RSRC2:TIDIG_COMP_CNT: 0
; COMPUTE_PGM_RSRC3_GFX90A:ACCUM_OFFSET: 0
; COMPUTE_PGM_RSRC3_GFX90A:TG_SPLIT: 0
	.section	.text._ZN7rocprim17ROCPRIM_400000_NS6detail17trampoline_kernelINS0_14default_configENS1_37merge_sort_block_sort_config_selectorIlNS0_10empty_typeEEEZNS1_21merge_sort_block_sortIS3_PlS8_PS5_S9_ZN2at6native12_GLOBAL__N_124unique_dim_cuda_templateIbEESt5tupleIJNSA_6TensorESF_SF_EERKSF_lbbbEUlllE_EE10hipError_tT0_T1_T2_T3_mRjT4_P12ihipStream_tbNS1_7vsmem_tEEUlT_E_NS1_11comp_targetILNS1_3genE9ELNS1_11target_archE1100ELNS1_3gpuE3ELNS1_3repE0EEENS1_30default_config_static_selectorELNS0_4arch9wavefront6targetE1EEEvSM_,"axG",@progbits,_ZN7rocprim17ROCPRIM_400000_NS6detail17trampoline_kernelINS0_14default_configENS1_37merge_sort_block_sort_config_selectorIlNS0_10empty_typeEEEZNS1_21merge_sort_block_sortIS3_PlS8_PS5_S9_ZN2at6native12_GLOBAL__N_124unique_dim_cuda_templateIbEESt5tupleIJNSA_6TensorESF_SF_EERKSF_lbbbEUlllE_EE10hipError_tT0_T1_T2_T3_mRjT4_P12ihipStream_tbNS1_7vsmem_tEEUlT_E_NS1_11comp_targetILNS1_3genE9ELNS1_11target_archE1100ELNS1_3gpuE3ELNS1_3repE0EEENS1_30default_config_static_selectorELNS0_4arch9wavefront6targetE1EEEvSM_,comdat
	.globl	_ZN7rocprim17ROCPRIM_400000_NS6detail17trampoline_kernelINS0_14default_configENS1_37merge_sort_block_sort_config_selectorIlNS0_10empty_typeEEEZNS1_21merge_sort_block_sortIS3_PlS8_PS5_S9_ZN2at6native12_GLOBAL__N_124unique_dim_cuda_templateIbEESt5tupleIJNSA_6TensorESF_SF_EERKSF_lbbbEUlllE_EE10hipError_tT0_T1_T2_T3_mRjT4_P12ihipStream_tbNS1_7vsmem_tEEUlT_E_NS1_11comp_targetILNS1_3genE9ELNS1_11target_archE1100ELNS1_3gpuE3ELNS1_3repE0EEENS1_30default_config_static_selectorELNS0_4arch9wavefront6targetE1EEEvSM_ ; -- Begin function _ZN7rocprim17ROCPRIM_400000_NS6detail17trampoline_kernelINS0_14default_configENS1_37merge_sort_block_sort_config_selectorIlNS0_10empty_typeEEEZNS1_21merge_sort_block_sortIS3_PlS8_PS5_S9_ZN2at6native12_GLOBAL__N_124unique_dim_cuda_templateIbEESt5tupleIJNSA_6TensorESF_SF_EERKSF_lbbbEUlllE_EE10hipError_tT0_T1_T2_T3_mRjT4_P12ihipStream_tbNS1_7vsmem_tEEUlT_E_NS1_11comp_targetILNS1_3genE9ELNS1_11target_archE1100ELNS1_3gpuE3ELNS1_3repE0EEENS1_30default_config_static_selectorELNS0_4arch9wavefront6targetE1EEEvSM_
	.p2align	8
	.type	_ZN7rocprim17ROCPRIM_400000_NS6detail17trampoline_kernelINS0_14default_configENS1_37merge_sort_block_sort_config_selectorIlNS0_10empty_typeEEEZNS1_21merge_sort_block_sortIS3_PlS8_PS5_S9_ZN2at6native12_GLOBAL__N_124unique_dim_cuda_templateIbEESt5tupleIJNSA_6TensorESF_SF_EERKSF_lbbbEUlllE_EE10hipError_tT0_T1_T2_T3_mRjT4_P12ihipStream_tbNS1_7vsmem_tEEUlT_E_NS1_11comp_targetILNS1_3genE9ELNS1_11target_archE1100ELNS1_3gpuE3ELNS1_3repE0EEENS1_30default_config_static_selectorELNS0_4arch9wavefront6targetE1EEEvSM_,@function
_ZN7rocprim17ROCPRIM_400000_NS6detail17trampoline_kernelINS0_14default_configENS1_37merge_sort_block_sort_config_selectorIlNS0_10empty_typeEEEZNS1_21merge_sort_block_sortIS3_PlS8_PS5_S9_ZN2at6native12_GLOBAL__N_124unique_dim_cuda_templateIbEESt5tupleIJNSA_6TensorESF_SF_EERKSF_lbbbEUlllE_EE10hipError_tT0_T1_T2_T3_mRjT4_P12ihipStream_tbNS1_7vsmem_tEEUlT_E_NS1_11comp_targetILNS1_3genE9ELNS1_11target_archE1100ELNS1_3gpuE3ELNS1_3repE0EEENS1_30default_config_static_selectorELNS0_4arch9wavefront6targetE1EEEvSM_: ; @_ZN7rocprim17ROCPRIM_400000_NS6detail17trampoline_kernelINS0_14default_configENS1_37merge_sort_block_sort_config_selectorIlNS0_10empty_typeEEEZNS1_21merge_sort_block_sortIS3_PlS8_PS5_S9_ZN2at6native12_GLOBAL__N_124unique_dim_cuda_templateIbEESt5tupleIJNSA_6TensorESF_SF_EERKSF_lbbbEUlllE_EE10hipError_tT0_T1_T2_T3_mRjT4_P12ihipStream_tbNS1_7vsmem_tEEUlT_E_NS1_11comp_targetILNS1_3genE9ELNS1_11target_archE1100ELNS1_3gpuE3ELNS1_3repE0EEENS1_30default_config_static_selectorELNS0_4arch9wavefront6targetE1EEEvSM_
; %bb.0:
	.section	.rodata,"a",@progbits
	.p2align	6, 0x0
	.amdhsa_kernel _ZN7rocprim17ROCPRIM_400000_NS6detail17trampoline_kernelINS0_14default_configENS1_37merge_sort_block_sort_config_selectorIlNS0_10empty_typeEEEZNS1_21merge_sort_block_sortIS3_PlS8_PS5_S9_ZN2at6native12_GLOBAL__N_124unique_dim_cuda_templateIbEESt5tupleIJNSA_6TensorESF_SF_EERKSF_lbbbEUlllE_EE10hipError_tT0_T1_T2_T3_mRjT4_P12ihipStream_tbNS1_7vsmem_tEEUlT_E_NS1_11comp_targetILNS1_3genE9ELNS1_11target_archE1100ELNS1_3gpuE3ELNS1_3repE0EEENS1_30default_config_static_selectorELNS0_4arch9wavefront6targetE1EEEvSM_
		.amdhsa_group_segment_fixed_size 0
		.amdhsa_private_segment_fixed_size 0
		.amdhsa_kernarg_size 72
		.amdhsa_user_sgpr_count 2
		.amdhsa_user_sgpr_dispatch_ptr 0
		.amdhsa_user_sgpr_queue_ptr 0
		.amdhsa_user_sgpr_kernarg_segment_ptr 1
		.amdhsa_user_sgpr_dispatch_id 0
		.amdhsa_user_sgpr_kernarg_preload_length 0
		.amdhsa_user_sgpr_kernarg_preload_offset 0
		.amdhsa_user_sgpr_private_segment_size 0
		.amdhsa_uses_dynamic_stack 0
		.amdhsa_enable_private_segment 0
		.amdhsa_system_sgpr_workgroup_id_x 1
		.amdhsa_system_sgpr_workgroup_id_y 0
		.amdhsa_system_sgpr_workgroup_id_z 0
		.amdhsa_system_sgpr_workgroup_info 0
		.amdhsa_system_vgpr_workitem_id 0
		.amdhsa_next_free_vgpr 1
		.amdhsa_next_free_sgpr 0
		.amdhsa_accum_offset 4
		.amdhsa_reserve_vcc 0
		.amdhsa_float_round_mode_32 0
		.amdhsa_float_round_mode_16_64 0
		.amdhsa_float_denorm_mode_32 3
		.amdhsa_float_denorm_mode_16_64 3
		.amdhsa_dx10_clamp 1
		.amdhsa_ieee_mode 1
		.amdhsa_fp16_overflow 0
		.amdhsa_tg_split 0
		.amdhsa_exception_fp_ieee_invalid_op 0
		.amdhsa_exception_fp_denorm_src 0
		.amdhsa_exception_fp_ieee_div_zero 0
		.amdhsa_exception_fp_ieee_overflow 0
		.amdhsa_exception_fp_ieee_underflow 0
		.amdhsa_exception_fp_ieee_inexact 0
		.amdhsa_exception_int_div_zero 0
	.end_amdhsa_kernel
	.section	.text._ZN7rocprim17ROCPRIM_400000_NS6detail17trampoline_kernelINS0_14default_configENS1_37merge_sort_block_sort_config_selectorIlNS0_10empty_typeEEEZNS1_21merge_sort_block_sortIS3_PlS8_PS5_S9_ZN2at6native12_GLOBAL__N_124unique_dim_cuda_templateIbEESt5tupleIJNSA_6TensorESF_SF_EERKSF_lbbbEUlllE_EE10hipError_tT0_T1_T2_T3_mRjT4_P12ihipStream_tbNS1_7vsmem_tEEUlT_E_NS1_11comp_targetILNS1_3genE9ELNS1_11target_archE1100ELNS1_3gpuE3ELNS1_3repE0EEENS1_30default_config_static_selectorELNS0_4arch9wavefront6targetE1EEEvSM_,"axG",@progbits,_ZN7rocprim17ROCPRIM_400000_NS6detail17trampoline_kernelINS0_14default_configENS1_37merge_sort_block_sort_config_selectorIlNS0_10empty_typeEEEZNS1_21merge_sort_block_sortIS3_PlS8_PS5_S9_ZN2at6native12_GLOBAL__N_124unique_dim_cuda_templateIbEESt5tupleIJNSA_6TensorESF_SF_EERKSF_lbbbEUlllE_EE10hipError_tT0_T1_T2_T3_mRjT4_P12ihipStream_tbNS1_7vsmem_tEEUlT_E_NS1_11comp_targetILNS1_3genE9ELNS1_11target_archE1100ELNS1_3gpuE3ELNS1_3repE0EEENS1_30default_config_static_selectorELNS0_4arch9wavefront6targetE1EEEvSM_,comdat
.Lfunc_end1008:
	.size	_ZN7rocprim17ROCPRIM_400000_NS6detail17trampoline_kernelINS0_14default_configENS1_37merge_sort_block_sort_config_selectorIlNS0_10empty_typeEEEZNS1_21merge_sort_block_sortIS3_PlS8_PS5_S9_ZN2at6native12_GLOBAL__N_124unique_dim_cuda_templateIbEESt5tupleIJNSA_6TensorESF_SF_EERKSF_lbbbEUlllE_EE10hipError_tT0_T1_T2_T3_mRjT4_P12ihipStream_tbNS1_7vsmem_tEEUlT_E_NS1_11comp_targetILNS1_3genE9ELNS1_11target_archE1100ELNS1_3gpuE3ELNS1_3repE0EEENS1_30default_config_static_selectorELNS0_4arch9wavefront6targetE1EEEvSM_, .Lfunc_end1008-_ZN7rocprim17ROCPRIM_400000_NS6detail17trampoline_kernelINS0_14default_configENS1_37merge_sort_block_sort_config_selectorIlNS0_10empty_typeEEEZNS1_21merge_sort_block_sortIS3_PlS8_PS5_S9_ZN2at6native12_GLOBAL__N_124unique_dim_cuda_templateIbEESt5tupleIJNSA_6TensorESF_SF_EERKSF_lbbbEUlllE_EE10hipError_tT0_T1_T2_T3_mRjT4_P12ihipStream_tbNS1_7vsmem_tEEUlT_E_NS1_11comp_targetILNS1_3genE9ELNS1_11target_archE1100ELNS1_3gpuE3ELNS1_3repE0EEENS1_30default_config_static_selectorELNS0_4arch9wavefront6targetE1EEEvSM_
                                        ; -- End function
	.section	.AMDGPU.csdata,"",@progbits
; Kernel info:
; codeLenInByte = 0
; NumSgprs: 6
; NumVgprs: 0
; NumAgprs: 0
; TotalNumVgprs: 0
; ScratchSize: 0
; MemoryBound: 0
; FloatMode: 240
; IeeeMode: 1
; LDSByteSize: 0 bytes/workgroup (compile time only)
; SGPRBlocks: 0
; VGPRBlocks: 0
; NumSGPRsForWavesPerEU: 6
; NumVGPRsForWavesPerEU: 1
; AccumOffset: 4
; Occupancy: 8
; WaveLimiterHint : 0
; COMPUTE_PGM_RSRC2:SCRATCH_EN: 0
; COMPUTE_PGM_RSRC2:USER_SGPR: 2
; COMPUTE_PGM_RSRC2:TRAP_HANDLER: 0
; COMPUTE_PGM_RSRC2:TGID_X_EN: 1
; COMPUTE_PGM_RSRC2:TGID_Y_EN: 0
; COMPUTE_PGM_RSRC2:TGID_Z_EN: 0
; COMPUTE_PGM_RSRC2:TIDIG_COMP_CNT: 0
; COMPUTE_PGM_RSRC3_GFX90A:ACCUM_OFFSET: 0
; COMPUTE_PGM_RSRC3_GFX90A:TG_SPLIT: 0
	.section	.text._ZN7rocprim17ROCPRIM_400000_NS6detail17trampoline_kernelINS0_14default_configENS1_37merge_sort_block_sort_config_selectorIlNS0_10empty_typeEEEZNS1_21merge_sort_block_sortIS3_PlS8_PS5_S9_ZN2at6native12_GLOBAL__N_124unique_dim_cuda_templateIbEESt5tupleIJNSA_6TensorESF_SF_EERKSF_lbbbEUlllE_EE10hipError_tT0_T1_T2_T3_mRjT4_P12ihipStream_tbNS1_7vsmem_tEEUlT_E_NS1_11comp_targetILNS1_3genE8ELNS1_11target_archE1030ELNS1_3gpuE2ELNS1_3repE0EEENS1_30default_config_static_selectorELNS0_4arch9wavefront6targetE1EEEvSM_,"axG",@progbits,_ZN7rocprim17ROCPRIM_400000_NS6detail17trampoline_kernelINS0_14default_configENS1_37merge_sort_block_sort_config_selectorIlNS0_10empty_typeEEEZNS1_21merge_sort_block_sortIS3_PlS8_PS5_S9_ZN2at6native12_GLOBAL__N_124unique_dim_cuda_templateIbEESt5tupleIJNSA_6TensorESF_SF_EERKSF_lbbbEUlllE_EE10hipError_tT0_T1_T2_T3_mRjT4_P12ihipStream_tbNS1_7vsmem_tEEUlT_E_NS1_11comp_targetILNS1_3genE8ELNS1_11target_archE1030ELNS1_3gpuE2ELNS1_3repE0EEENS1_30default_config_static_selectorELNS0_4arch9wavefront6targetE1EEEvSM_,comdat
	.globl	_ZN7rocprim17ROCPRIM_400000_NS6detail17trampoline_kernelINS0_14default_configENS1_37merge_sort_block_sort_config_selectorIlNS0_10empty_typeEEEZNS1_21merge_sort_block_sortIS3_PlS8_PS5_S9_ZN2at6native12_GLOBAL__N_124unique_dim_cuda_templateIbEESt5tupleIJNSA_6TensorESF_SF_EERKSF_lbbbEUlllE_EE10hipError_tT0_T1_T2_T3_mRjT4_P12ihipStream_tbNS1_7vsmem_tEEUlT_E_NS1_11comp_targetILNS1_3genE8ELNS1_11target_archE1030ELNS1_3gpuE2ELNS1_3repE0EEENS1_30default_config_static_selectorELNS0_4arch9wavefront6targetE1EEEvSM_ ; -- Begin function _ZN7rocprim17ROCPRIM_400000_NS6detail17trampoline_kernelINS0_14default_configENS1_37merge_sort_block_sort_config_selectorIlNS0_10empty_typeEEEZNS1_21merge_sort_block_sortIS3_PlS8_PS5_S9_ZN2at6native12_GLOBAL__N_124unique_dim_cuda_templateIbEESt5tupleIJNSA_6TensorESF_SF_EERKSF_lbbbEUlllE_EE10hipError_tT0_T1_T2_T3_mRjT4_P12ihipStream_tbNS1_7vsmem_tEEUlT_E_NS1_11comp_targetILNS1_3genE8ELNS1_11target_archE1030ELNS1_3gpuE2ELNS1_3repE0EEENS1_30default_config_static_selectorELNS0_4arch9wavefront6targetE1EEEvSM_
	.p2align	8
	.type	_ZN7rocprim17ROCPRIM_400000_NS6detail17trampoline_kernelINS0_14default_configENS1_37merge_sort_block_sort_config_selectorIlNS0_10empty_typeEEEZNS1_21merge_sort_block_sortIS3_PlS8_PS5_S9_ZN2at6native12_GLOBAL__N_124unique_dim_cuda_templateIbEESt5tupleIJNSA_6TensorESF_SF_EERKSF_lbbbEUlllE_EE10hipError_tT0_T1_T2_T3_mRjT4_P12ihipStream_tbNS1_7vsmem_tEEUlT_E_NS1_11comp_targetILNS1_3genE8ELNS1_11target_archE1030ELNS1_3gpuE2ELNS1_3repE0EEENS1_30default_config_static_selectorELNS0_4arch9wavefront6targetE1EEEvSM_,@function
_ZN7rocprim17ROCPRIM_400000_NS6detail17trampoline_kernelINS0_14default_configENS1_37merge_sort_block_sort_config_selectorIlNS0_10empty_typeEEEZNS1_21merge_sort_block_sortIS3_PlS8_PS5_S9_ZN2at6native12_GLOBAL__N_124unique_dim_cuda_templateIbEESt5tupleIJNSA_6TensorESF_SF_EERKSF_lbbbEUlllE_EE10hipError_tT0_T1_T2_T3_mRjT4_P12ihipStream_tbNS1_7vsmem_tEEUlT_E_NS1_11comp_targetILNS1_3genE8ELNS1_11target_archE1030ELNS1_3gpuE2ELNS1_3repE0EEENS1_30default_config_static_selectorELNS0_4arch9wavefront6targetE1EEEvSM_: ; @_ZN7rocprim17ROCPRIM_400000_NS6detail17trampoline_kernelINS0_14default_configENS1_37merge_sort_block_sort_config_selectorIlNS0_10empty_typeEEEZNS1_21merge_sort_block_sortIS3_PlS8_PS5_S9_ZN2at6native12_GLOBAL__N_124unique_dim_cuda_templateIbEESt5tupleIJNSA_6TensorESF_SF_EERKSF_lbbbEUlllE_EE10hipError_tT0_T1_T2_T3_mRjT4_P12ihipStream_tbNS1_7vsmem_tEEUlT_E_NS1_11comp_targetILNS1_3genE8ELNS1_11target_archE1030ELNS1_3gpuE2ELNS1_3repE0EEENS1_30default_config_static_selectorELNS0_4arch9wavefront6targetE1EEEvSM_
; %bb.0:
	.section	.rodata,"a",@progbits
	.p2align	6, 0x0
	.amdhsa_kernel _ZN7rocprim17ROCPRIM_400000_NS6detail17trampoline_kernelINS0_14default_configENS1_37merge_sort_block_sort_config_selectorIlNS0_10empty_typeEEEZNS1_21merge_sort_block_sortIS3_PlS8_PS5_S9_ZN2at6native12_GLOBAL__N_124unique_dim_cuda_templateIbEESt5tupleIJNSA_6TensorESF_SF_EERKSF_lbbbEUlllE_EE10hipError_tT0_T1_T2_T3_mRjT4_P12ihipStream_tbNS1_7vsmem_tEEUlT_E_NS1_11comp_targetILNS1_3genE8ELNS1_11target_archE1030ELNS1_3gpuE2ELNS1_3repE0EEENS1_30default_config_static_selectorELNS0_4arch9wavefront6targetE1EEEvSM_
		.amdhsa_group_segment_fixed_size 0
		.amdhsa_private_segment_fixed_size 0
		.amdhsa_kernarg_size 72
		.amdhsa_user_sgpr_count 2
		.amdhsa_user_sgpr_dispatch_ptr 0
		.amdhsa_user_sgpr_queue_ptr 0
		.amdhsa_user_sgpr_kernarg_segment_ptr 1
		.amdhsa_user_sgpr_dispatch_id 0
		.amdhsa_user_sgpr_kernarg_preload_length 0
		.amdhsa_user_sgpr_kernarg_preload_offset 0
		.amdhsa_user_sgpr_private_segment_size 0
		.amdhsa_uses_dynamic_stack 0
		.amdhsa_enable_private_segment 0
		.amdhsa_system_sgpr_workgroup_id_x 1
		.amdhsa_system_sgpr_workgroup_id_y 0
		.amdhsa_system_sgpr_workgroup_id_z 0
		.amdhsa_system_sgpr_workgroup_info 0
		.amdhsa_system_vgpr_workitem_id 0
		.amdhsa_next_free_vgpr 1
		.amdhsa_next_free_sgpr 0
		.amdhsa_accum_offset 4
		.amdhsa_reserve_vcc 0
		.amdhsa_float_round_mode_32 0
		.amdhsa_float_round_mode_16_64 0
		.amdhsa_float_denorm_mode_32 3
		.amdhsa_float_denorm_mode_16_64 3
		.amdhsa_dx10_clamp 1
		.amdhsa_ieee_mode 1
		.amdhsa_fp16_overflow 0
		.amdhsa_tg_split 0
		.amdhsa_exception_fp_ieee_invalid_op 0
		.amdhsa_exception_fp_denorm_src 0
		.amdhsa_exception_fp_ieee_div_zero 0
		.amdhsa_exception_fp_ieee_overflow 0
		.amdhsa_exception_fp_ieee_underflow 0
		.amdhsa_exception_fp_ieee_inexact 0
		.amdhsa_exception_int_div_zero 0
	.end_amdhsa_kernel
	.section	.text._ZN7rocprim17ROCPRIM_400000_NS6detail17trampoline_kernelINS0_14default_configENS1_37merge_sort_block_sort_config_selectorIlNS0_10empty_typeEEEZNS1_21merge_sort_block_sortIS3_PlS8_PS5_S9_ZN2at6native12_GLOBAL__N_124unique_dim_cuda_templateIbEESt5tupleIJNSA_6TensorESF_SF_EERKSF_lbbbEUlllE_EE10hipError_tT0_T1_T2_T3_mRjT4_P12ihipStream_tbNS1_7vsmem_tEEUlT_E_NS1_11comp_targetILNS1_3genE8ELNS1_11target_archE1030ELNS1_3gpuE2ELNS1_3repE0EEENS1_30default_config_static_selectorELNS0_4arch9wavefront6targetE1EEEvSM_,"axG",@progbits,_ZN7rocprim17ROCPRIM_400000_NS6detail17trampoline_kernelINS0_14default_configENS1_37merge_sort_block_sort_config_selectorIlNS0_10empty_typeEEEZNS1_21merge_sort_block_sortIS3_PlS8_PS5_S9_ZN2at6native12_GLOBAL__N_124unique_dim_cuda_templateIbEESt5tupleIJNSA_6TensorESF_SF_EERKSF_lbbbEUlllE_EE10hipError_tT0_T1_T2_T3_mRjT4_P12ihipStream_tbNS1_7vsmem_tEEUlT_E_NS1_11comp_targetILNS1_3genE8ELNS1_11target_archE1030ELNS1_3gpuE2ELNS1_3repE0EEENS1_30default_config_static_selectorELNS0_4arch9wavefront6targetE1EEEvSM_,comdat
.Lfunc_end1009:
	.size	_ZN7rocprim17ROCPRIM_400000_NS6detail17trampoline_kernelINS0_14default_configENS1_37merge_sort_block_sort_config_selectorIlNS0_10empty_typeEEEZNS1_21merge_sort_block_sortIS3_PlS8_PS5_S9_ZN2at6native12_GLOBAL__N_124unique_dim_cuda_templateIbEESt5tupleIJNSA_6TensorESF_SF_EERKSF_lbbbEUlllE_EE10hipError_tT0_T1_T2_T3_mRjT4_P12ihipStream_tbNS1_7vsmem_tEEUlT_E_NS1_11comp_targetILNS1_3genE8ELNS1_11target_archE1030ELNS1_3gpuE2ELNS1_3repE0EEENS1_30default_config_static_selectorELNS0_4arch9wavefront6targetE1EEEvSM_, .Lfunc_end1009-_ZN7rocprim17ROCPRIM_400000_NS6detail17trampoline_kernelINS0_14default_configENS1_37merge_sort_block_sort_config_selectorIlNS0_10empty_typeEEEZNS1_21merge_sort_block_sortIS3_PlS8_PS5_S9_ZN2at6native12_GLOBAL__N_124unique_dim_cuda_templateIbEESt5tupleIJNSA_6TensorESF_SF_EERKSF_lbbbEUlllE_EE10hipError_tT0_T1_T2_T3_mRjT4_P12ihipStream_tbNS1_7vsmem_tEEUlT_E_NS1_11comp_targetILNS1_3genE8ELNS1_11target_archE1030ELNS1_3gpuE2ELNS1_3repE0EEENS1_30default_config_static_selectorELNS0_4arch9wavefront6targetE1EEEvSM_
                                        ; -- End function
	.section	.AMDGPU.csdata,"",@progbits
; Kernel info:
; codeLenInByte = 0
; NumSgprs: 6
; NumVgprs: 0
; NumAgprs: 0
; TotalNumVgprs: 0
; ScratchSize: 0
; MemoryBound: 0
; FloatMode: 240
; IeeeMode: 1
; LDSByteSize: 0 bytes/workgroup (compile time only)
; SGPRBlocks: 0
; VGPRBlocks: 0
; NumSGPRsForWavesPerEU: 6
; NumVGPRsForWavesPerEU: 1
; AccumOffset: 4
; Occupancy: 8
; WaveLimiterHint : 0
; COMPUTE_PGM_RSRC2:SCRATCH_EN: 0
; COMPUTE_PGM_RSRC2:USER_SGPR: 2
; COMPUTE_PGM_RSRC2:TRAP_HANDLER: 0
; COMPUTE_PGM_RSRC2:TGID_X_EN: 1
; COMPUTE_PGM_RSRC2:TGID_Y_EN: 0
; COMPUTE_PGM_RSRC2:TGID_Z_EN: 0
; COMPUTE_PGM_RSRC2:TIDIG_COMP_CNT: 0
; COMPUTE_PGM_RSRC3_GFX90A:ACCUM_OFFSET: 0
; COMPUTE_PGM_RSRC3_GFX90A:TG_SPLIT: 0
	.section	.text._ZN7rocprim17ROCPRIM_400000_NS6detail17trampoline_kernelINS0_14default_configENS1_38merge_sort_block_merge_config_selectorIlNS0_10empty_typeEEEZZNS1_27merge_sort_block_merge_implIS3_PlPS5_mZN2at6native12_GLOBAL__N_124unique_dim_cuda_templateIbEESt5tupleIJNSA_6TensorESF_SF_EERKSF_lbbbEUlllE_EE10hipError_tT0_T1_T2_jT3_P12ihipStream_tbPNSt15iterator_traitsISL_E10value_typeEPNSR_ISM_E10value_typeEPSN_NS1_7vsmem_tEENKUlT_SL_SM_SN_E_clIS8_S8_S9_S9_EESK_S10_SL_SM_SN_EUlS10_E_NS1_11comp_targetILNS1_3genE0ELNS1_11target_archE4294967295ELNS1_3gpuE0ELNS1_3repE0EEENS1_48merge_mergepath_partition_config_static_selectorELNS0_4arch9wavefront6targetE1EEEvSM_,"axG",@progbits,_ZN7rocprim17ROCPRIM_400000_NS6detail17trampoline_kernelINS0_14default_configENS1_38merge_sort_block_merge_config_selectorIlNS0_10empty_typeEEEZZNS1_27merge_sort_block_merge_implIS3_PlPS5_mZN2at6native12_GLOBAL__N_124unique_dim_cuda_templateIbEESt5tupleIJNSA_6TensorESF_SF_EERKSF_lbbbEUlllE_EE10hipError_tT0_T1_T2_jT3_P12ihipStream_tbPNSt15iterator_traitsISL_E10value_typeEPNSR_ISM_E10value_typeEPSN_NS1_7vsmem_tEENKUlT_SL_SM_SN_E_clIS8_S8_S9_S9_EESK_S10_SL_SM_SN_EUlS10_E_NS1_11comp_targetILNS1_3genE0ELNS1_11target_archE4294967295ELNS1_3gpuE0ELNS1_3repE0EEENS1_48merge_mergepath_partition_config_static_selectorELNS0_4arch9wavefront6targetE1EEEvSM_,comdat
	.globl	_ZN7rocprim17ROCPRIM_400000_NS6detail17trampoline_kernelINS0_14default_configENS1_38merge_sort_block_merge_config_selectorIlNS0_10empty_typeEEEZZNS1_27merge_sort_block_merge_implIS3_PlPS5_mZN2at6native12_GLOBAL__N_124unique_dim_cuda_templateIbEESt5tupleIJNSA_6TensorESF_SF_EERKSF_lbbbEUlllE_EE10hipError_tT0_T1_T2_jT3_P12ihipStream_tbPNSt15iterator_traitsISL_E10value_typeEPNSR_ISM_E10value_typeEPSN_NS1_7vsmem_tEENKUlT_SL_SM_SN_E_clIS8_S8_S9_S9_EESK_S10_SL_SM_SN_EUlS10_E_NS1_11comp_targetILNS1_3genE0ELNS1_11target_archE4294967295ELNS1_3gpuE0ELNS1_3repE0EEENS1_48merge_mergepath_partition_config_static_selectorELNS0_4arch9wavefront6targetE1EEEvSM_ ; -- Begin function _ZN7rocprim17ROCPRIM_400000_NS6detail17trampoline_kernelINS0_14default_configENS1_38merge_sort_block_merge_config_selectorIlNS0_10empty_typeEEEZZNS1_27merge_sort_block_merge_implIS3_PlPS5_mZN2at6native12_GLOBAL__N_124unique_dim_cuda_templateIbEESt5tupleIJNSA_6TensorESF_SF_EERKSF_lbbbEUlllE_EE10hipError_tT0_T1_T2_jT3_P12ihipStream_tbPNSt15iterator_traitsISL_E10value_typeEPNSR_ISM_E10value_typeEPSN_NS1_7vsmem_tEENKUlT_SL_SM_SN_E_clIS8_S8_S9_S9_EESK_S10_SL_SM_SN_EUlS10_E_NS1_11comp_targetILNS1_3genE0ELNS1_11target_archE4294967295ELNS1_3gpuE0ELNS1_3repE0EEENS1_48merge_mergepath_partition_config_static_selectorELNS0_4arch9wavefront6targetE1EEEvSM_
	.p2align	8
	.type	_ZN7rocprim17ROCPRIM_400000_NS6detail17trampoline_kernelINS0_14default_configENS1_38merge_sort_block_merge_config_selectorIlNS0_10empty_typeEEEZZNS1_27merge_sort_block_merge_implIS3_PlPS5_mZN2at6native12_GLOBAL__N_124unique_dim_cuda_templateIbEESt5tupleIJNSA_6TensorESF_SF_EERKSF_lbbbEUlllE_EE10hipError_tT0_T1_T2_jT3_P12ihipStream_tbPNSt15iterator_traitsISL_E10value_typeEPNSR_ISM_E10value_typeEPSN_NS1_7vsmem_tEENKUlT_SL_SM_SN_E_clIS8_S8_S9_S9_EESK_S10_SL_SM_SN_EUlS10_E_NS1_11comp_targetILNS1_3genE0ELNS1_11target_archE4294967295ELNS1_3gpuE0ELNS1_3repE0EEENS1_48merge_mergepath_partition_config_static_selectorELNS0_4arch9wavefront6targetE1EEEvSM_,@function
_ZN7rocprim17ROCPRIM_400000_NS6detail17trampoline_kernelINS0_14default_configENS1_38merge_sort_block_merge_config_selectorIlNS0_10empty_typeEEEZZNS1_27merge_sort_block_merge_implIS3_PlPS5_mZN2at6native12_GLOBAL__N_124unique_dim_cuda_templateIbEESt5tupleIJNSA_6TensorESF_SF_EERKSF_lbbbEUlllE_EE10hipError_tT0_T1_T2_jT3_P12ihipStream_tbPNSt15iterator_traitsISL_E10value_typeEPNSR_ISM_E10value_typeEPSN_NS1_7vsmem_tEENKUlT_SL_SM_SN_E_clIS8_S8_S9_S9_EESK_S10_SL_SM_SN_EUlS10_E_NS1_11comp_targetILNS1_3genE0ELNS1_11target_archE4294967295ELNS1_3gpuE0ELNS1_3repE0EEENS1_48merge_mergepath_partition_config_static_selectorELNS0_4arch9wavefront6targetE1EEEvSM_: ; @_ZN7rocprim17ROCPRIM_400000_NS6detail17trampoline_kernelINS0_14default_configENS1_38merge_sort_block_merge_config_selectorIlNS0_10empty_typeEEEZZNS1_27merge_sort_block_merge_implIS3_PlPS5_mZN2at6native12_GLOBAL__N_124unique_dim_cuda_templateIbEESt5tupleIJNSA_6TensorESF_SF_EERKSF_lbbbEUlllE_EE10hipError_tT0_T1_T2_jT3_P12ihipStream_tbPNSt15iterator_traitsISL_E10value_typeEPNSR_ISM_E10value_typeEPSN_NS1_7vsmem_tEENKUlT_SL_SM_SN_E_clIS8_S8_S9_S9_EESK_S10_SL_SM_SN_EUlS10_E_NS1_11comp_targetILNS1_3genE0ELNS1_11target_archE4294967295ELNS1_3gpuE0ELNS1_3repE0EEENS1_48merge_mergepath_partition_config_static_selectorELNS0_4arch9wavefront6targetE1EEEvSM_
; %bb.0:
	.section	.rodata,"a",@progbits
	.p2align	6, 0x0
	.amdhsa_kernel _ZN7rocprim17ROCPRIM_400000_NS6detail17trampoline_kernelINS0_14default_configENS1_38merge_sort_block_merge_config_selectorIlNS0_10empty_typeEEEZZNS1_27merge_sort_block_merge_implIS3_PlPS5_mZN2at6native12_GLOBAL__N_124unique_dim_cuda_templateIbEESt5tupleIJNSA_6TensorESF_SF_EERKSF_lbbbEUlllE_EE10hipError_tT0_T1_T2_jT3_P12ihipStream_tbPNSt15iterator_traitsISL_E10value_typeEPNSR_ISM_E10value_typeEPSN_NS1_7vsmem_tEENKUlT_SL_SM_SN_E_clIS8_S8_S9_S9_EESK_S10_SL_SM_SN_EUlS10_E_NS1_11comp_targetILNS1_3genE0ELNS1_11target_archE4294967295ELNS1_3gpuE0ELNS1_3repE0EEENS1_48merge_mergepath_partition_config_static_selectorELNS0_4arch9wavefront6targetE1EEEvSM_
		.amdhsa_group_segment_fixed_size 0
		.amdhsa_private_segment_fixed_size 0
		.amdhsa_kernarg_size 56
		.amdhsa_user_sgpr_count 2
		.amdhsa_user_sgpr_dispatch_ptr 0
		.amdhsa_user_sgpr_queue_ptr 0
		.amdhsa_user_sgpr_kernarg_segment_ptr 1
		.amdhsa_user_sgpr_dispatch_id 0
		.amdhsa_user_sgpr_kernarg_preload_length 0
		.amdhsa_user_sgpr_kernarg_preload_offset 0
		.amdhsa_user_sgpr_private_segment_size 0
		.amdhsa_uses_dynamic_stack 0
		.amdhsa_enable_private_segment 0
		.amdhsa_system_sgpr_workgroup_id_x 1
		.amdhsa_system_sgpr_workgroup_id_y 0
		.amdhsa_system_sgpr_workgroup_id_z 0
		.amdhsa_system_sgpr_workgroup_info 0
		.amdhsa_system_vgpr_workitem_id 0
		.amdhsa_next_free_vgpr 1
		.amdhsa_next_free_sgpr 0
		.amdhsa_accum_offset 4
		.amdhsa_reserve_vcc 0
		.amdhsa_float_round_mode_32 0
		.amdhsa_float_round_mode_16_64 0
		.amdhsa_float_denorm_mode_32 3
		.amdhsa_float_denorm_mode_16_64 3
		.amdhsa_dx10_clamp 1
		.amdhsa_ieee_mode 1
		.amdhsa_fp16_overflow 0
		.amdhsa_tg_split 0
		.amdhsa_exception_fp_ieee_invalid_op 0
		.amdhsa_exception_fp_denorm_src 0
		.amdhsa_exception_fp_ieee_div_zero 0
		.amdhsa_exception_fp_ieee_overflow 0
		.amdhsa_exception_fp_ieee_underflow 0
		.amdhsa_exception_fp_ieee_inexact 0
		.amdhsa_exception_int_div_zero 0
	.end_amdhsa_kernel
	.section	.text._ZN7rocprim17ROCPRIM_400000_NS6detail17trampoline_kernelINS0_14default_configENS1_38merge_sort_block_merge_config_selectorIlNS0_10empty_typeEEEZZNS1_27merge_sort_block_merge_implIS3_PlPS5_mZN2at6native12_GLOBAL__N_124unique_dim_cuda_templateIbEESt5tupleIJNSA_6TensorESF_SF_EERKSF_lbbbEUlllE_EE10hipError_tT0_T1_T2_jT3_P12ihipStream_tbPNSt15iterator_traitsISL_E10value_typeEPNSR_ISM_E10value_typeEPSN_NS1_7vsmem_tEENKUlT_SL_SM_SN_E_clIS8_S8_S9_S9_EESK_S10_SL_SM_SN_EUlS10_E_NS1_11comp_targetILNS1_3genE0ELNS1_11target_archE4294967295ELNS1_3gpuE0ELNS1_3repE0EEENS1_48merge_mergepath_partition_config_static_selectorELNS0_4arch9wavefront6targetE1EEEvSM_,"axG",@progbits,_ZN7rocprim17ROCPRIM_400000_NS6detail17trampoline_kernelINS0_14default_configENS1_38merge_sort_block_merge_config_selectorIlNS0_10empty_typeEEEZZNS1_27merge_sort_block_merge_implIS3_PlPS5_mZN2at6native12_GLOBAL__N_124unique_dim_cuda_templateIbEESt5tupleIJNSA_6TensorESF_SF_EERKSF_lbbbEUlllE_EE10hipError_tT0_T1_T2_jT3_P12ihipStream_tbPNSt15iterator_traitsISL_E10value_typeEPNSR_ISM_E10value_typeEPSN_NS1_7vsmem_tEENKUlT_SL_SM_SN_E_clIS8_S8_S9_S9_EESK_S10_SL_SM_SN_EUlS10_E_NS1_11comp_targetILNS1_3genE0ELNS1_11target_archE4294967295ELNS1_3gpuE0ELNS1_3repE0EEENS1_48merge_mergepath_partition_config_static_selectorELNS0_4arch9wavefront6targetE1EEEvSM_,comdat
.Lfunc_end1010:
	.size	_ZN7rocprim17ROCPRIM_400000_NS6detail17trampoline_kernelINS0_14default_configENS1_38merge_sort_block_merge_config_selectorIlNS0_10empty_typeEEEZZNS1_27merge_sort_block_merge_implIS3_PlPS5_mZN2at6native12_GLOBAL__N_124unique_dim_cuda_templateIbEESt5tupleIJNSA_6TensorESF_SF_EERKSF_lbbbEUlllE_EE10hipError_tT0_T1_T2_jT3_P12ihipStream_tbPNSt15iterator_traitsISL_E10value_typeEPNSR_ISM_E10value_typeEPSN_NS1_7vsmem_tEENKUlT_SL_SM_SN_E_clIS8_S8_S9_S9_EESK_S10_SL_SM_SN_EUlS10_E_NS1_11comp_targetILNS1_3genE0ELNS1_11target_archE4294967295ELNS1_3gpuE0ELNS1_3repE0EEENS1_48merge_mergepath_partition_config_static_selectorELNS0_4arch9wavefront6targetE1EEEvSM_, .Lfunc_end1010-_ZN7rocprim17ROCPRIM_400000_NS6detail17trampoline_kernelINS0_14default_configENS1_38merge_sort_block_merge_config_selectorIlNS0_10empty_typeEEEZZNS1_27merge_sort_block_merge_implIS3_PlPS5_mZN2at6native12_GLOBAL__N_124unique_dim_cuda_templateIbEESt5tupleIJNSA_6TensorESF_SF_EERKSF_lbbbEUlllE_EE10hipError_tT0_T1_T2_jT3_P12ihipStream_tbPNSt15iterator_traitsISL_E10value_typeEPNSR_ISM_E10value_typeEPSN_NS1_7vsmem_tEENKUlT_SL_SM_SN_E_clIS8_S8_S9_S9_EESK_S10_SL_SM_SN_EUlS10_E_NS1_11comp_targetILNS1_3genE0ELNS1_11target_archE4294967295ELNS1_3gpuE0ELNS1_3repE0EEENS1_48merge_mergepath_partition_config_static_selectorELNS0_4arch9wavefront6targetE1EEEvSM_
                                        ; -- End function
	.section	.AMDGPU.csdata,"",@progbits
; Kernel info:
; codeLenInByte = 0
; NumSgprs: 6
; NumVgprs: 0
; NumAgprs: 0
; TotalNumVgprs: 0
; ScratchSize: 0
; MemoryBound: 0
; FloatMode: 240
; IeeeMode: 1
; LDSByteSize: 0 bytes/workgroup (compile time only)
; SGPRBlocks: 0
; VGPRBlocks: 0
; NumSGPRsForWavesPerEU: 6
; NumVGPRsForWavesPerEU: 1
; AccumOffset: 4
; Occupancy: 8
; WaveLimiterHint : 0
; COMPUTE_PGM_RSRC2:SCRATCH_EN: 0
; COMPUTE_PGM_RSRC2:USER_SGPR: 2
; COMPUTE_PGM_RSRC2:TRAP_HANDLER: 0
; COMPUTE_PGM_RSRC2:TGID_X_EN: 1
; COMPUTE_PGM_RSRC2:TGID_Y_EN: 0
; COMPUTE_PGM_RSRC2:TGID_Z_EN: 0
; COMPUTE_PGM_RSRC2:TIDIG_COMP_CNT: 0
; COMPUTE_PGM_RSRC3_GFX90A:ACCUM_OFFSET: 0
; COMPUTE_PGM_RSRC3_GFX90A:TG_SPLIT: 0
	.section	.text._ZN7rocprim17ROCPRIM_400000_NS6detail17trampoline_kernelINS0_14default_configENS1_38merge_sort_block_merge_config_selectorIlNS0_10empty_typeEEEZZNS1_27merge_sort_block_merge_implIS3_PlPS5_mZN2at6native12_GLOBAL__N_124unique_dim_cuda_templateIbEESt5tupleIJNSA_6TensorESF_SF_EERKSF_lbbbEUlllE_EE10hipError_tT0_T1_T2_jT3_P12ihipStream_tbPNSt15iterator_traitsISL_E10value_typeEPNSR_ISM_E10value_typeEPSN_NS1_7vsmem_tEENKUlT_SL_SM_SN_E_clIS8_S8_S9_S9_EESK_S10_SL_SM_SN_EUlS10_E_NS1_11comp_targetILNS1_3genE10ELNS1_11target_archE1201ELNS1_3gpuE5ELNS1_3repE0EEENS1_48merge_mergepath_partition_config_static_selectorELNS0_4arch9wavefront6targetE1EEEvSM_,"axG",@progbits,_ZN7rocprim17ROCPRIM_400000_NS6detail17trampoline_kernelINS0_14default_configENS1_38merge_sort_block_merge_config_selectorIlNS0_10empty_typeEEEZZNS1_27merge_sort_block_merge_implIS3_PlPS5_mZN2at6native12_GLOBAL__N_124unique_dim_cuda_templateIbEESt5tupleIJNSA_6TensorESF_SF_EERKSF_lbbbEUlllE_EE10hipError_tT0_T1_T2_jT3_P12ihipStream_tbPNSt15iterator_traitsISL_E10value_typeEPNSR_ISM_E10value_typeEPSN_NS1_7vsmem_tEENKUlT_SL_SM_SN_E_clIS8_S8_S9_S9_EESK_S10_SL_SM_SN_EUlS10_E_NS1_11comp_targetILNS1_3genE10ELNS1_11target_archE1201ELNS1_3gpuE5ELNS1_3repE0EEENS1_48merge_mergepath_partition_config_static_selectorELNS0_4arch9wavefront6targetE1EEEvSM_,comdat
	.globl	_ZN7rocprim17ROCPRIM_400000_NS6detail17trampoline_kernelINS0_14default_configENS1_38merge_sort_block_merge_config_selectorIlNS0_10empty_typeEEEZZNS1_27merge_sort_block_merge_implIS3_PlPS5_mZN2at6native12_GLOBAL__N_124unique_dim_cuda_templateIbEESt5tupleIJNSA_6TensorESF_SF_EERKSF_lbbbEUlllE_EE10hipError_tT0_T1_T2_jT3_P12ihipStream_tbPNSt15iterator_traitsISL_E10value_typeEPNSR_ISM_E10value_typeEPSN_NS1_7vsmem_tEENKUlT_SL_SM_SN_E_clIS8_S8_S9_S9_EESK_S10_SL_SM_SN_EUlS10_E_NS1_11comp_targetILNS1_3genE10ELNS1_11target_archE1201ELNS1_3gpuE5ELNS1_3repE0EEENS1_48merge_mergepath_partition_config_static_selectorELNS0_4arch9wavefront6targetE1EEEvSM_ ; -- Begin function _ZN7rocprim17ROCPRIM_400000_NS6detail17trampoline_kernelINS0_14default_configENS1_38merge_sort_block_merge_config_selectorIlNS0_10empty_typeEEEZZNS1_27merge_sort_block_merge_implIS3_PlPS5_mZN2at6native12_GLOBAL__N_124unique_dim_cuda_templateIbEESt5tupleIJNSA_6TensorESF_SF_EERKSF_lbbbEUlllE_EE10hipError_tT0_T1_T2_jT3_P12ihipStream_tbPNSt15iterator_traitsISL_E10value_typeEPNSR_ISM_E10value_typeEPSN_NS1_7vsmem_tEENKUlT_SL_SM_SN_E_clIS8_S8_S9_S9_EESK_S10_SL_SM_SN_EUlS10_E_NS1_11comp_targetILNS1_3genE10ELNS1_11target_archE1201ELNS1_3gpuE5ELNS1_3repE0EEENS1_48merge_mergepath_partition_config_static_selectorELNS0_4arch9wavefront6targetE1EEEvSM_
	.p2align	8
	.type	_ZN7rocprim17ROCPRIM_400000_NS6detail17trampoline_kernelINS0_14default_configENS1_38merge_sort_block_merge_config_selectorIlNS0_10empty_typeEEEZZNS1_27merge_sort_block_merge_implIS3_PlPS5_mZN2at6native12_GLOBAL__N_124unique_dim_cuda_templateIbEESt5tupleIJNSA_6TensorESF_SF_EERKSF_lbbbEUlllE_EE10hipError_tT0_T1_T2_jT3_P12ihipStream_tbPNSt15iterator_traitsISL_E10value_typeEPNSR_ISM_E10value_typeEPSN_NS1_7vsmem_tEENKUlT_SL_SM_SN_E_clIS8_S8_S9_S9_EESK_S10_SL_SM_SN_EUlS10_E_NS1_11comp_targetILNS1_3genE10ELNS1_11target_archE1201ELNS1_3gpuE5ELNS1_3repE0EEENS1_48merge_mergepath_partition_config_static_selectorELNS0_4arch9wavefront6targetE1EEEvSM_,@function
_ZN7rocprim17ROCPRIM_400000_NS6detail17trampoline_kernelINS0_14default_configENS1_38merge_sort_block_merge_config_selectorIlNS0_10empty_typeEEEZZNS1_27merge_sort_block_merge_implIS3_PlPS5_mZN2at6native12_GLOBAL__N_124unique_dim_cuda_templateIbEESt5tupleIJNSA_6TensorESF_SF_EERKSF_lbbbEUlllE_EE10hipError_tT0_T1_T2_jT3_P12ihipStream_tbPNSt15iterator_traitsISL_E10value_typeEPNSR_ISM_E10value_typeEPSN_NS1_7vsmem_tEENKUlT_SL_SM_SN_E_clIS8_S8_S9_S9_EESK_S10_SL_SM_SN_EUlS10_E_NS1_11comp_targetILNS1_3genE10ELNS1_11target_archE1201ELNS1_3gpuE5ELNS1_3repE0EEENS1_48merge_mergepath_partition_config_static_selectorELNS0_4arch9wavefront6targetE1EEEvSM_: ; @_ZN7rocprim17ROCPRIM_400000_NS6detail17trampoline_kernelINS0_14default_configENS1_38merge_sort_block_merge_config_selectorIlNS0_10empty_typeEEEZZNS1_27merge_sort_block_merge_implIS3_PlPS5_mZN2at6native12_GLOBAL__N_124unique_dim_cuda_templateIbEESt5tupleIJNSA_6TensorESF_SF_EERKSF_lbbbEUlllE_EE10hipError_tT0_T1_T2_jT3_P12ihipStream_tbPNSt15iterator_traitsISL_E10value_typeEPNSR_ISM_E10value_typeEPSN_NS1_7vsmem_tEENKUlT_SL_SM_SN_E_clIS8_S8_S9_S9_EESK_S10_SL_SM_SN_EUlS10_E_NS1_11comp_targetILNS1_3genE10ELNS1_11target_archE1201ELNS1_3gpuE5ELNS1_3repE0EEENS1_48merge_mergepath_partition_config_static_selectorELNS0_4arch9wavefront6targetE1EEEvSM_
; %bb.0:
	.section	.rodata,"a",@progbits
	.p2align	6, 0x0
	.amdhsa_kernel _ZN7rocprim17ROCPRIM_400000_NS6detail17trampoline_kernelINS0_14default_configENS1_38merge_sort_block_merge_config_selectorIlNS0_10empty_typeEEEZZNS1_27merge_sort_block_merge_implIS3_PlPS5_mZN2at6native12_GLOBAL__N_124unique_dim_cuda_templateIbEESt5tupleIJNSA_6TensorESF_SF_EERKSF_lbbbEUlllE_EE10hipError_tT0_T1_T2_jT3_P12ihipStream_tbPNSt15iterator_traitsISL_E10value_typeEPNSR_ISM_E10value_typeEPSN_NS1_7vsmem_tEENKUlT_SL_SM_SN_E_clIS8_S8_S9_S9_EESK_S10_SL_SM_SN_EUlS10_E_NS1_11comp_targetILNS1_3genE10ELNS1_11target_archE1201ELNS1_3gpuE5ELNS1_3repE0EEENS1_48merge_mergepath_partition_config_static_selectorELNS0_4arch9wavefront6targetE1EEEvSM_
		.amdhsa_group_segment_fixed_size 0
		.amdhsa_private_segment_fixed_size 0
		.amdhsa_kernarg_size 56
		.amdhsa_user_sgpr_count 2
		.amdhsa_user_sgpr_dispatch_ptr 0
		.amdhsa_user_sgpr_queue_ptr 0
		.amdhsa_user_sgpr_kernarg_segment_ptr 1
		.amdhsa_user_sgpr_dispatch_id 0
		.amdhsa_user_sgpr_kernarg_preload_length 0
		.amdhsa_user_sgpr_kernarg_preload_offset 0
		.amdhsa_user_sgpr_private_segment_size 0
		.amdhsa_uses_dynamic_stack 0
		.amdhsa_enable_private_segment 0
		.amdhsa_system_sgpr_workgroup_id_x 1
		.amdhsa_system_sgpr_workgroup_id_y 0
		.amdhsa_system_sgpr_workgroup_id_z 0
		.amdhsa_system_sgpr_workgroup_info 0
		.amdhsa_system_vgpr_workitem_id 0
		.amdhsa_next_free_vgpr 1
		.amdhsa_next_free_sgpr 0
		.amdhsa_accum_offset 4
		.amdhsa_reserve_vcc 0
		.amdhsa_float_round_mode_32 0
		.amdhsa_float_round_mode_16_64 0
		.amdhsa_float_denorm_mode_32 3
		.amdhsa_float_denorm_mode_16_64 3
		.amdhsa_dx10_clamp 1
		.amdhsa_ieee_mode 1
		.amdhsa_fp16_overflow 0
		.amdhsa_tg_split 0
		.amdhsa_exception_fp_ieee_invalid_op 0
		.amdhsa_exception_fp_denorm_src 0
		.amdhsa_exception_fp_ieee_div_zero 0
		.amdhsa_exception_fp_ieee_overflow 0
		.amdhsa_exception_fp_ieee_underflow 0
		.amdhsa_exception_fp_ieee_inexact 0
		.amdhsa_exception_int_div_zero 0
	.end_amdhsa_kernel
	.section	.text._ZN7rocprim17ROCPRIM_400000_NS6detail17trampoline_kernelINS0_14default_configENS1_38merge_sort_block_merge_config_selectorIlNS0_10empty_typeEEEZZNS1_27merge_sort_block_merge_implIS3_PlPS5_mZN2at6native12_GLOBAL__N_124unique_dim_cuda_templateIbEESt5tupleIJNSA_6TensorESF_SF_EERKSF_lbbbEUlllE_EE10hipError_tT0_T1_T2_jT3_P12ihipStream_tbPNSt15iterator_traitsISL_E10value_typeEPNSR_ISM_E10value_typeEPSN_NS1_7vsmem_tEENKUlT_SL_SM_SN_E_clIS8_S8_S9_S9_EESK_S10_SL_SM_SN_EUlS10_E_NS1_11comp_targetILNS1_3genE10ELNS1_11target_archE1201ELNS1_3gpuE5ELNS1_3repE0EEENS1_48merge_mergepath_partition_config_static_selectorELNS0_4arch9wavefront6targetE1EEEvSM_,"axG",@progbits,_ZN7rocprim17ROCPRIM_400000_NS6detail17trampoline_kernelINS0_14default_configENS1_38merge_sort_block_merge_config_selectorIlNS0_10empty_typeEEEZZNS1_27merge_sort_block_merge_implIS3_PlPS5_mZN2at6native12_GLOBAL__N_124unique_dim_cuda_templateIbEESt5tupleIJNSA_6TensorESF_SF_EERKSF_lbbbEUlllE_EE10hipError_tT0_T1_T2_jT3_P12ihipStream_tbPNSt15iterator_traitsISL_E10value_typeEPNSR_ISM_E10value_typeEPSN_NS1_7vsmem_tEENKUlT_SL_SM_SN_E_clIS8_S8_S9_S9_EESK_S10_SL_SM_SN_EUlS10_E_NS1_11comp_targetILNS1_3genE10ELNS1_11target_archE1201ELNS1_3gpuE5ELNS1_3repE0EEENS1_48merge_mergepath_partition_config_static_selectorELNS0_4arch9wavefront6targetE1EEEvSM_,comdat
.Lfunc_end1011:
	.size	_ZN7rocprim17ROCPRIM_400000_NS6detail17trampoline_kernelINS0_14default_configENS1_38merge_sort_block_merge_config_selectorIlNS0_10empty_typeEEEZZNS1_27merge_sort_block_merge_implIS3_PlPS5_mZN2at6native12_GLOBAL__N_124unique_dim_cuda_templateIbEESt5tupleIJNSA_6TensorESF_SF_EERKSF_lbbbEUlllE_EE10hipError_tT0_T1_T2_jT3_P12ihipStream_tbPNSt15iterator_traitsISL_E10value_typeEPNSR_ISM_E10value_typeEPSN_NS1_7vsmem_tEENKUlT_SL_SM_SN_E_clIS8_S8_S9_S9_EESK_S10_SL_SM_SN_EUlS10_E_NS1_11comp_targetILNS1_3genE10ELNS1_11target_archE1201ELNS1_3gpuE5ELNS1_3repE0EEENS1_48merge_mergepath_partition_config_static_selectorELNS0_4arch9wavefront6targetE1EEEvSM_, .Lfunc_end1011-_ZN7rocprim17ROCPRIM_400000_NS6detail17trampoline_kernelINS0_14default_configENS1_38merge_sort_block_merge_config_selectorIlNS0_10empty_typeEEEZZNS1_27merge_sort_block_merge_implIS3_PlPS5_mZN2at6native12_GLOBAL__N_124unique_dim_cuda_templateIbEESt5tupleIJNSA_6TensorESF_SF_EERKSF_lbbbEUlllE_EE10hipError_tT0_T1_T2_jT3_P12ihipStream_tbPNSt15iterator_traitsISL_E10value_typeEPNSR_ISM_E10value_typeEPSN_NS1_7vsmem_tEENKUlT_SL_SM_SN_E_clIS8_S8_S9_S9_EESK_S10_SL_SM_SN_EUlS10_E_NS1_11comp_targetILNS1_3genE10ELNS1_11target_archE1201ELNS1_3gpuE5ELNS1_3repE0EEENS1_48merge_mergepath_partition_config_static_selectorELNS0_4arch9wavefront6targetE1EEEvSM_
                                        ; -- End function
	.section	.AMDGPU.csdata,"",@progbits
; Kernel info:
; codeLenInByte = 0
; NumSgprs: 6
; NumVgprs: 0
; NumAgprs: 0
; TotalNumVgprs: 0
; ScratchSize: 0
; MemoryBound: 0
; FloatMode: 240
; IeeeMode: 1
; LDSByteSize: 0 bytes/workgroup (compile time only)
; SGPRBlocks: 0
; VGPRBlocks: 0
; NumSGPRsForWavesPerEU: 6
; NumVGPRsForWavesPerEU: 1
; AccumOffset: 4
; Occupancy: 8
; WaveLimiterHint : 0
; COMPUTE_PGM_RSRC2:SCRATCH_EN: 0
; COMPUTE_PGM_RSRC2:USER_SGPR: 2
; COMPUTE_PGM_RSRC2:TRAP_HANDLER: 0
; COMPUTE_PGM_RSRC2:TGID_X_EN: 1
; COMPUTE_PGM_RSRC2:TGID_Y_EN: 0
; COMPUTE_PGM_RSRC2:TGID_Z_EN: 0
; COMPUTE_PGM_RSRC2:TIDIG_COMP_CNT: 0
; COMPUTE_PGM_RSRC3_GFX90A:ACCUM_OFFSET: 0
; COMPUTE_PGM_RSRC3_GFX90A:TG_SPLIT: 0
	.section	.text._ZN7rocprim17ROCPRIM_400000_NS6detail17trampoline_kernelINS0_14default_configENS1_38merge_sort_block_merge_config_selectorIlNS0_10empty_typeEEEZZNS1_27merge_sort_block_merge_implIS3_PlPS5_mZN2at6native12_GLOBAL__N_124unique_dim_cuda_templateIbEESt5tupleIJNSA_6TensorESF_SF_EERKSF_lbbbEUlllE_EE10hipError_tT0_T1_T2_jT3_P12ihipStream_tbPNSt15iterator_traitsISL_E10value_typeEPNSR_ISM_E10value_typeEPSN_NS1_7vsmem_tEENKUlT_SL_SM_SN_E_clIS8_S8_S9_S9_EESK_S10_SL_SM_SN_EUlS10_E_NS1_11comp_targetILNS1_3genE5ELNS1_11target_archE942ELNS1_3gpuE9ELNS1_3repE0EEENS1_48merge_mergepath_partition_config_static_selectorELNS0_4arch9wavefront6targetE1EEEvSM_,"axG",@progbits,_ZN7rocprim17ROCPRIM_400000_NS6detail17trampoline_kernelINS0_14default_configENS1_38merge_sort_block_merge_config_selectorIlNS0_10empty_typeEEEZZNS1_27merge_sort_block_merge_implIS3_PlPS5_mZN2at6native12_GLOBAL__N_124unique_dim_cuda_templateIbEESt5tupleIJNSA_6TensorESF_SF_EERKSF_lbbbEUlllE_EE10hipError_tT0_T1_T2_jT3_P12ihipStream_tbPNSt15iterator_traitsISL_E10value_typeEPNSR_ISM_E10value_typeEPSN_NS1_7vsmem_tEENKUlT_SL_SM_SN_E_clIS8_S8_S9_S9_EESK_S10_SL_SM_SN_EUlS10_E_NS1_11comp_targetILNS1_3genE5ELNS1_11target_archE942ELNS1_3gpuE9ELNS1_3repE0EEENS1_48merge_mergepath_partition_config_static_selectorELNS0_4arch9wavefront6targetE1EEEvSM_,comdat
	.globl	_ZN7rocprim17ROCPRIM_400000_NS6detail17trampoline_kernelINS0_14default_configENS1_38merge_sort_block_merge_config_selectorIlNS0_10empty_typeEEEZZNS1_27merge_sort_block_merge_implIS3_PlPS5_mZN2at6native12_GLOBAL__N_124unique_dim_cuda_templateIbEESt5tupleIJNSA_6TensorESF_SF_EERKSF_lbbbEUlllE_EE10hipError_tT0_T1_T2_jT3_P12ihipStream_tbPNSt15iterator_traitsISL_E10value_typeEPNSR_ISM_E10value_typeEPSN_NS1_7vsmem_tEENKUlT_SL_SM_SN_E_clIS8_S8_S9_S9_EESK_S10_SL_SM_SN_EUlS10_E_NS1_11comp_targetILNS1_3genE5ELNS1_11target_archE942ELNS1_3gpuE9ELNS1_3repE0EEENS1_48merge_mergepath_partition_config_static_selectorELNS0_4arch9wavefront6targetE1EEEvSM_ ; -- Begin function _ZN7rocprim17ROCPRIM_400000_NS6detail17trampoline_kernelINS0_14default_configENS1_38merge_sort_block_merge_config_selectorIlNS0_10empty_typeEEEZZNS1_27merge_sort_block_merge_implIS3_PlPS5_mZN2at6native12_GLOBAL__N_124unique_dim_cuda_templateIbEESt5tupleIJNSA_6TensorESF_SF_EERKSF_lbbbEUlllE_EE10hipError_tT0_T1_T2_jT3_P12ihipStream_tbPNSt15iterator_traitsISL_E10value_typeEPNSR_ISM_E10value_typeEPSN_NS1_7vsmem_tEENKUlT_SL_SM_SN_E_clIS8_S8_S9_S9_EESK_S10_SL_SM_SN_EUlS10_E_NS1_11comp_targetILNS1_3genE5ELNS1_11target_archE942ELNS1_3gpuE9ELNS1_3repE0EEENS1_48merge_mergepath_partition_config_static_selectorELNS0_4arch9wavefront6targetE1EEEvSM_
	.p2align	8
	.type	_ZN7rocprim17ROCPRIM_400000_NS6detail17trampoline_kernelINS0_14default_configENS1_38merge_sort_block_merge_config_selectorIlNS0_10empty_typeEEEZZNS1_27merge_sort_block_merge_implIS3_PlPS5_mZN2at6native12_GLOBAL__N_124unique_dim_cuda_templateIbEESt5tupleIJNSA_6TensorESF_SF_EERKSF_lbbbEUlllE_EE10hipError_tT0_T1_T2_jT3_P12ihipStream_tbPNSt15iterator_traitsISL_E10value_typeEPNSR_ISM_E10value_typeEPSN_NS1_7vsmem_tEENKUlT_SL_SM_SN_E_clIS8_S8_S9_S9_EESK_S10_SL_SM_SN_EUlS10_E_NS1_11comp_targetILNS1_3genE5ELNS1_11target_archE942ELNS1_3gpuE9ELNS1_3repE0EEENS1_48merge_mergepath_partition_config_static_selectorELNS0_4arch9wavefront6targetE1EEEvSM_,@function
_ZN7rocprim17ROCPRIM_400000_NS6detail17trampoline_kernelINS0_14default_configENS1_38merge_sort_block_merge_config_selectorIlNS0_10empty_typeEEEZZNS1_27merge_sort_block_merge_implIS3_PlPS5_mZN2at6native12_GLOBAL__N_124unique_dim_cuda_templateIbEESt5tupleIJNSA_6TensorESF_SF_EERKSF_lbbbEUlllE_EE10hipError_tT0_T1_T2_jT3_P12ihipStream_tbPNSt15iterator_traitsISL_E10value_typeEPNSR_ISM_E10value_typeEPSN_NS1_7vsmem_tEENKUlT_SL_SM_SN_E_clIS8_S8_S9_S9_EESK_S10_SL_SM_SN_EUlS10_E_NS1_11comp_targetILNS1_3genE5ELNS1_11target_archE942ELNS1_3gpuE9ELNS1_3repE0EEENS1_48merge_mergepath_partition_config_static_selectorELNS0_4arch9wavefront6targetE1EEEvSM_: ; @_ZN7rocprim17ROCPRIM_400000_NS6detail17trampoline_kernelINS0_14default_configENS1_38merge_sort_block_merge_config_selectorIlNS0_10empty_typeEEEZZNS1_27merge_sort_block_merge_implIS3_PlPS5_mZN2at6native12_GLOBAL__N_124unique_dim_cuda_templateIbEESt5tupleIJNSA_6TensorESF_SF_EERKSF_lbbbEUlllE_EE10hipError_tT0_T1_T2_jT3_P12ihipStream_tbPNSt15iterator_traitsISL_E10value_typeEPNSR_ISM_E10value_typeEPSN_NS1_7vsmem_tEENKUlT_SL_SM_SN_E_clIS8_S8_S9_S9_EESK_S10_SL_SM_SN_EUlS10_E_NS1_11comp_targetILNS1_3genE5ELNS1_11target_archE942ELNS1_3gpuE9ELNS1_3repE0EEENS1_48merge_mergepath_partition_config_static_selectorELNS0_4arch9wavefront6targetE1EEEvSM_
; %bb.0:
	s_load_dword s3, s[0:1], 0x0
	v_lshl_or_b32 v0, s2, 7, v0
	s_waitcnt lgkmcnt(0)
	v_cmp_gt_u32_e32 vcc, s3, v0
	s_and_saveexec_b64 s[2:3], vcc
	s_cbranch_execz .LBB1012_12
; %bb.1:
	s_load_dwordx4 s[12:15], s[0:1], 0x8
	s_load_dwordx8 s[4:11], s[0:1], 0x18
	v_mov_b32_e32 v5, 0
	v_mov_b32_e32 v7, v5
	s_waitcnt lgkmcnt(0)
	v_mov_b32_e32 v1, s12
	v_alignbit_b32 v1, s13, v1, 9
	v_and_b32_e32 v1, -2, v1
	v_add_u32_e32 v2, -1, v1
	v_sub_u32_e32 v1, 0, v1
	v_and_b32_e32 v4, v0, v1
	v_lshlrev_b64 v[8:9], 10, v[4:5]
	v_mov_b32_e32 v1, s15
	v_cmp_lt_u64_e32 vcc, s[14:15], v[8:9]
	v_mov_b32_e32 v4, s14
	v_and_b32_e32 v6, v2, v0
	v_cndmask_b32_e32 v3, v9, v1, vcc
	v_cndmask_b32_e32 v2, v8, v4, vcc
	v_lshl_add_u64 v[8:9], v[8:9], 0, s[12:13]
	v_cmp_lt_u64_e32 vcc, s[14:15], v[8:9]
	s_nop 1
	v_cndmask_b32_e32 v11, v9, v1, vcc
	v_cndmask_b32_e32 v10, v8, v4, vcc
	v_lshl_add_u64 v[8:9], v[10:11], 0, s[12:13]
	v_cmp_lt_u64_e32 vcc, s[14:15], v[8:9]
	s_nop 1
	v_cndmask_b32_e32 v14, v8, v4, vcc
	v_cndmask_b32_e32 v1, v9, v1, vcc
	v_sub_co_u32_e32 v8, vcc, v14, v2
	v_lshlrev_b64 v[4:5], 10, v[6:7]
	s_nop 0
	v_subb_co_u32_e32 v9, vcc, v1, v3, vcc
	v_cmp_lt_u64_e32 vcc, v[8:9], v[4:5]
	s_nop 1
	v_cndmask_b32_e32 v13, v5, v9, vcc
	v_cndmask_b32_e32 v12, v4, v8, vcc
	v_sub_co_u32_e32 v6, vcc, v10, v2
	s_nop 1
	v_subb_co_u32_e32 v7, vcc, v11, v3, vcc
	v_sub_co_u32_e32 v4, vcc, v10, v14
	s_nop 1
	v_subb_co_u32_e32 v5, vcc, v11, v1, vcc
	v_lshl_add_u64 v[4:5], v[12:13], 0, v[4:5]
	v_cmp_gt_u64_e32 vcc, v[4:5], v[12:13]
	s_nop 1
	v_cndmask_b32_e64 v5, v5, 0, vcc
	v_cndmask_b32_e64 v4, v4, 0, vcc
	v_cmp_lt_u64_e32 vcc, v[12:13], v[6:7]
	s_nop 1
	v_cndmask_b32_e32 v7, v7, v13, vcc
	v_cndmask_b32_e32 v6, v6, v12, vcc
	v_cmp_lt_u64_e32 vcc, v[4:5], v[6:7]
	s_and_saveexec_b64 s[12:13], vcc
	s_cbranch_execz .LBB1012_11
; %bb.2:
	v_cmp_gt_i64_e64 s[0:1], s[6:7], 0
	v_lshl_add_u64 v[10:11], v[10:11], 3, s[4:5]
	v_lshl_add_u64 v[8:9], v[2:3], 3, s[4:5]
	v_cndmask_b32_e64 v1, 0, 1, s[0:1]
	s_mov_b64 s[4:5], 0
	v_lshl_add_u64 v[10:11], v[12:13], 3, v[10:11]
	v_cmp_ne_u32_e64 s[0:1], 1, v1
	s_branch .LBB1012_5
.LBB1012_3:                             ;   in Loop: Header=BB1012_5 Depth=1
	s_or_b64 exec, exec, s[16:17]
.LBB1012_4:                             ;   in Loop: Header=BB1012_5 Depth=1
	v_lshl_add_u64 v[14:15], v[12:13], 0, 1
	v_cndmask_b32_e64 v7, v7, v13, s[14:15]
	v_cndmask_b32_e64 v6, v6, v12, s[14:15]
	;; [unrolled: 1-line block ×4, first 2 shown]
	v_cmp_ge_u64_e32 vcc, v[4:5], v[6:7]
	s_or_b64 s[4:5], vcc, s[4:5]
	s_andn2_b64 exec, exec, s[4:5]
	s_cbranch_execz .LBB1012_10
.LBB1012_5:                             ; =>This Loop Header: Depth=1
                                        ;     Child Loop BB1012_8 Depth 2
	v_lshl_add_u64 v[12:13], v[6:7], 0, v[4:5]
	v_lshrrev_b64 v[12:13], 1, v[12:13]
	s_and_b64 vcc, exec, s[0:1]
	s_mov_b64 s[14:15], 0
	s_cbranch_vccnz .LBB1012_4
; %bb.6:                                ;   in Loop: Header=BB1012_5 Depth=1
	v_not_b32_e32 v15, v13
	v_not_b32_e32 v14, v12
	v_lshl_add_u64 v[14:15], v[14:15], 3, v[10:11]
	v_lshl_add_u64 v[16:17], v[12:13], 3, v[8:9]
	global_load_dwordx2 v[14:15], v[14:15], off
	v_mov_b64_e32 v[18:19], s[8:9]
	global_load_dwordx2 v[16:17], v[16:17], off
	s_mov_b64 s[16:17], 0
                                        ; implicit-def: $sgpr14_sgpr15
                                        ; implicit-def: $sgpr18_sgpr19
                                        ; implicit-def: $sgpr20_sgpr21
                                        ; implicit-def: $sgpr2_sgpr3
                                        ; implicit-def: $sgpr24_sgpr25
	s_waitcnt vmcnt(1)
	v_mul_lo_u32 v1, v14, s7
	v_mul_lo_u32 v20, v15, s6
	v_mad_u64_u32 v[14:15], s[22:23], v14, s6, v[18:19]
	s_waitcnt vmcnt(0)
	v_mul_lo_u32 v21, v16, s7
	v_mul_lo_u32 v22, v17, s6
	v_mad_u64_u32 v[16:17], s[22:23], v16, s6, v[18:19]
	v_add3_u32 v15, v20, v15, v1
	v_add3_u32 v17, v22, v17, v21
	s_mov_b64 s[22:23], s[6:7]
	s_branch .LBB1012_8
.LBB1012_7:                             ;   in Loop: Header=BB1012_8 Depth=2
	s_or_b64 exec, exec, s[26:27]
	s_and_b64 s[26:27], exec, s[18:19]
	s_or_b64 s[16:17], s[26:27], s[16:17]
	s_andn2_b64 s[24:25], s[24:25], exec
	s_and_b64 s[26:27], s[20:21], exec
	s_or_b64 s[24:25], s[24:25], s[26:27]
	s_andn2_b64 s[14:15], s[14:15], exec
	s_and_b64 s[26:27], s[2:3], exec
	s_or_b64 s[14:15], s[14:15], s[26:27]
	s_andn2_b64 exec, exec, s[16:17]
	s_cbranch_execz .LBB1012_3
.LBB1012_8:                             ;   Parent Loop BB1012_5 Depth=1
                                        ; =>  This Inner Loop Header: Depth=2
	global_load_ubyte v1, v[14:15], off
	global_load_ubyte v18, v[16:17], off
	s_andn2_b64 s[26:27], s[2:3], exec
	s_andn2_b64 s[20:21], s[20:21], exec
	s_or_b64 s[18:19], s[18:19], exec
	s_waitcnt vmcnt(1)
	v_cmp_eq_u16_e32 vcc, 0, v1
	s_waitcnt vmcnt(0)
	v_cmp_ne_u16_e64 s[2:3], 0, v18
	s_or_b64 s[30:31], vcc, s[2:3]
	s_and_b64 s[28:29], vcc, s[2:3]
	s_xor_b64 s[34:35], vcc, s[2:3]
	s_and_b64 s[2:3], s[30:31], s[24:25]
	s_or_b64 s[28:29], s[28:29], s[2:3]
	s_and_b64 s[2:3], s[28:29], exec
	s_or_b64 s[2:3], s[26:27], s[2:3]
	s_and_saveexec_b64 s[26:27], s[34:35]
	s_cbranch_execz .LBB1012_7
; %bb.9:                                ;   in Loop: Header=BB1012_8 Depth=2
	s_add_u32 s22, s22, -1
	s_addc_u32 s23, s23, -1
	s_cmp_eq_u64 s[22:23], 0
	s_cselect_b64 s[24:25], -1, 0
	s_andn2_b64 s[20:21], s[20:21], exec
	s_and_b64 s[28:29], s[28:29], exec
	s_andn2_b64 s[18:19], s[18:19], exec
	s_and_b64 s[24:25], s[24:25], exec
	v_lshl_add_u64 v[14:15], v[14:15], 0, 1
	v_lshl_add_u64 v[16:17], v[16:17], 0, 1
	s_andn2_b64 s[2:3], s[2:3], exec
	s_or_b64 s[20:21], s[20:21], s[28:29]
	s_or_b64 s[18:19], s[18:19], s[24:25]
                                        ; implicit-def: $sgpr24_sgpr25
	s_branch .LBB1012_7
.LBB1012_10:
	s_or_b64 exec, exec, s[4:5]
.LBB1012_11:
	s_or_b64 exec, exec, s[12:13]
	v_mov_b32_e32 v6, s10
	v_mov_b32_e32 v7, s11
	;; [unrolled: 1-line block ×3, first 2 shown]
	v_lshl_add_u64 v[2:3], v[4:5], 0, v[2:3]
	v_lshl_add_u64 v[0:1], v[0:1], 3, v[6:7]
	global_store_dwordx2 v[0:1], v[2:3], off
.LBB1012_12:
	s_endpgm
	.section	.rodata,"a",@progbits
	.p2align	6, 0x0
	.amdhsa_kernel _ZN7rocprim17ROCPRIM_400000_NS6detail17trampoline_kernelINS0_14default_configENS1_38merge_sort_block_merge_config_selectorIlNS0_10empty_typeEEEZZNS1_27merge_sort_block_merge_implIS3_PlPS5_mZN2at6native12_GLOBAL__N_124unique_dim_cuda_templateIbEESt5tupleIJNSA_6TensorESF_SF_EERKSF_lbbbEUlllE_EE10hipError_tT0_T1_T2_jT3_P12ihipStream_tbPNSt15iterator_traitsISL_E10value_typeEPNSR_ISM_E10value_typeEPSN_NS1_7vsmem_tEENKUlT_SL_SM_SN_E_clIS8_S8_S9_S9_EESK_S10_SL_SM_SN_EUlS10_E_NS1_11comp_targetILNS1_3genE5ELNS1_11target_archE942ELNS1_3gpuE9ELNS1_3repE0EEENS1_48merge_mergepath_partition_config_static_selectorELNS0_4arch9wavefront6targetE1EEEvSM_
		.amdhsa_group_segment_fixed_size 0
		.amdhsa_private_segment_fixed_size 0
		.amdhsa_kernarg_size 56
		.amdhsa_user_sgpr_count 2
		.amdhsa_user_sgpr_dispatch_ptr 0
		.amdhsa_user_sgpr_queue_ptr 0
		.amdhsa_user_sgpr_kernarg_segment_ptr 1
		.amdhsa_user_sgpr_dispatch_id 0
		.amdhsa_user_sgpr_kernarg_preload_length 0
		.amdhsa_user_sgpr_kernarg_preload_offset 0
		.amdhsa_user_sgpr_private_segment_size 0
		.amdhsa_uses_dynamic_stack 0
		.amdhsa_enable_private_segment 0
		.amdhsa_system_sgpr_workgroup_id_x 1
		.amdhsa_system_sgpr_workgroup_id_y 0
		.amdhsa_system_sgpr_workgroup_id_z 0
		.amdhsa_system_sgpr_workgroup_info 0
		.amdhsa_system_vgpr_workitem_id 0
		.amdhsa_next_free_vgpr 23
		.amdhsa_next_free_sgpr 36
		.amdhsa_accum_offset 24
		.amdhsa_reserve_vcc 1
		.amdhsa_float_round_mode_32 0
		.amdhsa_float_round_mode_16_64 0
		.amdhsa_float_denorm_mode_32 3
		.amdhsa_float_denorm_mode_16_64 3
		.amdhsa_dx10_clamp 1
		.amdhsa_ieee_mode 1
		.amdhsa_fp16_overflow 0
		.amdhsa_tg_split 0
		.amdhsa_exception_fp_ieee_invalid_op 0
		.amdhsa_exception_fp_denorm_src 0
		.amdhsa_exception_fp_ieee_div_zero 0
		.amdhsa_exception_fp_ieee_overflow 0
		.amdhsa_exception_fp_ieee_underflow 0
		.amdhsa_exception_fp_ieee_inexact 0
		.amdhsa_exception_int_div_zero 0
	.end_amdhsa_kernel
	.section	.text._ZN7rocprim17ROCPRIM_400000_NS6detail17trampoline_kernelINS0_14default_configENS1_38merge_sort_block_merge_config_selectorIlNS0_10empty_typeEEEZZNS1_27merge_sort_block_merge_implIS3_PlPS5_mZN2at6native12_GLOBAL__N_124unique_dim_cuda_templateIbEESt5tupleIJNSA_6TensorESF_SF_EERKSF_lbbbEUlllE_EE10hipError_tT0_T1_T2_jT3_P12ihipStream_tbPNSt15iterator_traitsISL_E10value_typeEPNSR_ISM_E10value_typeEPSN_NS1_7vsmem_tEENKUlT_SL_SM_SN_E_clIS8_S8_S9_S9_EESK_S10_SL_SM_SN_EUlS10_E_NS1_11comp_targetILNS1_3genE5ELNS1_11target_archE942ELNS1_3gpuE9ELNS1_3repE0EEENS1_48merge_mergepath_partition_config_static_selectorELNS0_4arch9wavefront6targetE1EEEvSM_,"axG",@progbits,_ZN7rocprim17ROCPRIM_400000_NS6detail17trampoline_kernelINS0_14default_configENS1_38merge_sort_block_merge_config_selectorIlNS0_10empty_typeEEEZZNS1_27merge_sort_block_merge_implIS3_PlPS5_mZN2at6native12_GLOBAL__N_124unique_dim_cuda_templateIbEESt5tupleIJNSA_6TensorESF_SF_EERKSF_lbbbEUlllE_EE10hipError_tT0_T1_T2_jT3_P12ihipStream_tbPNSt15iterator_traitsISL_E10value_typeEPNSR_ISM_E10value_typeEPSN_NS1_7vsmem_tEENKUlT_SL_SM_SN_E_clIS8_S8_S9_S9_EESK_S10_SL_SM_SN_EUlS10_E_NS1_11comp_targetILNS1_3genE5ELNS1_11target_archE942ELNS1_3gpuE9ELNS1_3repE0EEENS1_48merge_mergepath_partition_config_static_selectorELNS0_4arch9wavefront6targetE1EEEvSM_,comdat
.Lfunc_end1012:
	.size	_ZN7rocprim17ROCPRIM_400000_NS6detail17trampoline_kernelINS0_14default_configENS1_38merge_sort_block_merge_config_selectorIlNS0_10empty_typeEEEZZNS1_27merge_sort_block_merge_implIS3_PlPS5_mZN2at6native12_GLOBAL__N_124unique_dim_cuda_templateIbEESt5tupleIJNSA_6TensorESF_SF_EERKSF_lbbbEUlllE_EE10hipError_tT0_T1_T2_jT3_P12ihipStream_tbPNSt15iterator_traitsISL_E10value_typeEPNSR_ISM_E10value_typeEPSN_NS1_7vsmem_tEENKUlT_SL_SM_SN_E_clIS8_S8_S9_S9_EESK_S10_SL_SM_SN_EUlS10_E_NS1_11comp_targetILNS1_3genE5ELNS1_11target_archE942ELNS1_3gpuE9ELNS1_3repE0EEENS1_48merge_mergepath_partition_config_static_selectorELNS0_4arch9wavefront6targetE1EEEvSM_, .Lfunc_end1012-_ZN7rocprim17ROCPRIM_400000_NS6detail17trampoline_kernelINS0_14default_configENS1_38merge_sort_block_merge_config_selectorIlNS0_10empty_typeEEEZZNS1_27merge_sort_block_merge_implIS3_PlPS5_mZN2at6native12_GLOBAL__N_124unique_dim_cuda_templateIbEESt5tupleIJNSA_6TensorESF_SF_EERKSF_lbbbEUlllE_EE10hipError_tT0_T1_T2_jT3_P12ihipStream_tbPNSt15iterator_traitsISL_E10value_typeEPNSR_ISM_E10value_typeEPSN_NS1_7vsmem_tEENKUlT_SL_SM_SN_E_clIS8_S8_S9_S9_EESK_S10_SL_SM_SN_EUlS10_E_NS1_11comp_targetILNS1_3genE5ELNS1_11target_archE942ELNS1_3gpuE9ELNS1_3repE0EEENS1_48merge_mergepath_partition_config_static_selectorELNS0_4arch9wavefront6targetE1EEEvSM_
                                        ; -- End function
	.section	.AMDGPU.csdata,"",@progbits
; Kernel info:
; codeLenInByte = 800
; NumSgprs: 42
; NumVgprs: 23
; NumAgprs: 0
; TotalNumVgprs: 23
; ScratchSize: 0
; MemoryBound: 0
; FloatMode: 240
; IeeeMode: 1
; LDSByteSize: 0 bytes/workgroup (compile time only)
; SGPRBlocks: 5
; VGPRBlocks: 2
; NumSGPRsForWavesPerEU: 42
; NumVGPRsForWavesPerEU: 23
; AccumOffset: 24
; Occupancy: 8
; WaveLimiterHint : 0
; COMPUTE_PGM_RSRC2:SCRATCH_EN: 0
; COMPUTE_PGM_RSRC2:USER_SGPR: 2
; COMPUTE_PGM_RSRC2:TRAP_HANDLER: 0
; COMPUTE_PGM_RSRC2:TGID_X_EN: 1
; COMPUTE_PGM_RSRC2:TGID_Y_EN: 0
; COMPUTE_PGM_RSRC2:TGID_Z_EN: 0
; COMPUTE_PGM_RSRC2:TIDIG_COMP_CNT: 0
; COMPUTE_PGM_RSRC3_GFX90A:ACCUM_OFFSET: 5
; COMPUTE_PGM_RSRC3_GFX90A:TG_SPLIT: 0
	.section	.text._ZN7rocprim17ROCPRIM_400000_NS6detail17trampoline_kernelINS0_14default_configENS1_38merge_sort_block_merge_config_selectorIlNS0_10empty_typeEEEZZNS1_27merge_sort_block_merge_implIS3_PlPS5_mZN2at6native12_GLOBAL__N_124unique_dim_cuda_templateIbEESt5tupleIJNSA_6TensorESF_SF_EERKSF_lbbbEUlllE_EE10hipError_tT0_T1_T2_jT3_P12ihipStream_tbPNSt15iterator_traitsISL_E10value_typeEPNSR_ISM_E10value_typeEPSN_NS1_7vsmem_tEENKUlT_SL_SM_SN_E_clIS8_S8_S9_S9_EESK_S10_SL_SM_SN_EUlS10_E_NS1_11comp_targetILNS1_3genE4ELNS1_11target_archE910ELNS1_3gpuE8ELNS1_3repE0EEENS1_48merge_mergepath_partition_config_static_selectorELNS0_4arch9wavefront6targetE1EEEvSM_,"axG",@progbits,_ZN7rocprim17ROCPRIM_400000_NS6detail17trampoline_kernelINS0_14default_configENS1_38merge_sort_block_merge_config_selectorIlNS0_10empty_typeEEEZZNS1_27merge_sort_block_merge_implIS3_PlPS5_mZN2at6native12_GLOBAL__N_124unique_dim_cuda_templateIbEESt5tupleIJNSA_6TensorESF_SF_EERKSF_lbbbEUlllE_EE10hipError_tT0_T1_T2_jT3_P12ihipStream_tbPNSt15iterator_traitsISL_E10value_typeEPNSR_ISM_E10value_typeEPSN_NS1_7vsmem_tEENKUlT_SL_SM_SN_E_clIS8_S8_S9_S9_EESK_S10_SL_SM_SN_EUlS10_E_NS1_11comp_targetILNS1_3genE4ELNS1_11target_archE910ELNS1_3gpuE8ELNS1_3repE0EEENS1_48merge_mergepath_partition_config_static_selectorELNS0_4arch9wavefront6targetE1EEEvSM_,comdat
	.globl	_ZN7rocprim17ROCPRIM_400000_NS6detail17trampoline_kernelINS0_14default_configENS1_38merge_sort_block_merge_config_selectorIlNS0_10empty_typeEEEZZNS1_27merge_sort_block_merge_implIS3_PlPS5_mZN2at6native12_GLOBAL__N_124unique_dim_cuda_templateIbEESt5tupleIJNSA_6TensorESF_SF_EERKSF_lbbbEUlllE_EE10hipError_tT0_T1_T2_jT3_P12ihipStream_tbPNSt15iterator_traitsISL_E10value_typeEPNSR_ISM_E10value_typeEPSN_NS1_7vsmem_tEENKUlT_SL_SM_SN_E_clIS8_S8_S9_S9_EESK_S10_SL_SM_SN_EUlS10_E_NS1_11comp_targetILNS1_3genE4ELNS1_11target_archE910ELNS1_3gpuE8ELNS1_3repE0EEENS1_48merge_mergepath_partition_config_static_selectorELNS0_4arch9wavefront6targetE1EEEvSM_ ; -- Begin function _ZN7rocprim17ROCPRIM_400000_NS6detail17trampoline_kernelINS0_14default_configENS1_38merge_sort_block_merge_config_selectorIlNS0_10empty_typeEEEZZNS1_27merge_sort_block_merge_implIS3_PlPS5_mZN2at6native12_GLOBAL__N_124unique_dim_cuda_templateIbEESt5tupleIJNSA_6TensorESF_SF_EERKSF_lbbbEUlllE_EE10hipError_tT0_T1_T2_jT3_P12ihipStream_tbPNSt15iterator_traitsISL_E10value_typeEPNSR_ISM_E10value_typeEPSN_NS1_7vsmem_tEENKUlT_SL_SM_SN_E_clIS8_S8_S9_S9_EESK_S10_SL_SM_SN_EUlS10_E_NS1_11comp_targetILNS1_3genE4ELNS1_11target_archE910ELNS1_3gpuE8ELNS1_3repE0EEENS1_48merge_mergepath_partition_config_static_selectorELNS0_4arch9wavefront6targetE1EEEvSM_
	.p2align	8
	.type	_ZN7rocprim17ROCPRIM_400000_NS6detail17trampoline_kernelINS0_14default_configENS1_38merge_sort_block_merge_config_selectorIlNS0_10empty_typeEEEZZNS1_27merge_sort_block_merge_implIS3_PlPS5_mZN2at6native12_GLOBAL__N_124unique_dim_cuda_templateIbEESt5tupleIJNSA_6TensorESF_SF_EERKSF_lbbbEUlllE_EE10hipError_tT0_T1_T2_jT3_P12ihipStream_tbPNSt15iterator_traitsISL_E10value_typeEPNSR_ISM_E10value_typeEPSN_NS1_7vsmem_tEENKUlT_SL_SM_SN_E_clIS8_S8_S9_S9_EESK_S10_SL_SM_SN_EUlS10_E_NS1_11comp_targetILNS1_3genE4ELNS1_11target_archE910ELNS1_3gpuE8ELNS1_3repE0EEENS1_48merge_mergepath_partition_config_static_selectorELNS0_4arch9wavefront6targetE1EEEvSM_,@function
_ZN7rocprim17ROCPRIM_400000_NS6detail17trampoline_kernelINS0_14default_configENS1_38merge_sort_block_merge_config_selectorIlNS0_10empty_typeEEEZZNS1_27merge_sort_block_merge_implIS3_PlPS5_mZN2at6native12_GLOBAL__N_124unique_dim_cuda_templateIbEESt5tupleIJNSA_6TensorESF_SF_EERKSF_lbbbEUlllE_EE10hipError_tT0_T1_T2_jT3_P12ihipStream_tbPNSt15iterator_traitsISL_E10value_typeEPNSR_ISM_E10value_typeEPSN_NS1_7vsmem_tEENKUlT_SL_SM_SN_E_clIS8_S8_S9_S9_EESK_S10_SL_SM_SN_EUlS10_E_NS1_11comp_targetILNS1_3genE4ELNS1_11target_archE910ELNS1_3gpuE8ELNS1_3repE0EEENS1_48merge_mergepath_partition_config_static_selectorELNS0_4arch9wavefront6targetE1EEEvSM_: ; @_ZN7rocprim17ROCPRIM_400000_NS6detail17trampoline_kernelINS0_14default_configENS1_38merge_sort_block_merge_config_selectorIlNS0_10empty_typeEEEZZNS1_27merge_sort_block_merge_implIS3_PlPS5_mZN2at6native12_GLOBAL__N_124unique_dim_cuda_templateIbEESt5tupleIJNSA_6TensorESF_SF_EERKSF_lbbbEUlllE_EE10hipError_tT0_T1_T2_jT3_P12ihipStream_tbPNSt15iterator_traitsISL_E10value_typeEPNSR_ISM_E10value_typeEPSN_NS1_7vsmem_tEENKUlT_SL_SM_SN_E_clIS8_S8_S9_S9_EESK_S10_SL_SM_SN_EUlS10_E_NS1_11comp_targetILNS1_3genE4ELNS1_11target_archE910ELNS1_3gpuE8ELNS1_3repE0EEENS1_48merge_mergepath_partition_config_static_selectorELNS0_4arch9wavefront6targetE1EEEvSM_
; %bb.0:
	.section	.rodata,"a",@progbits
	.p2align	6, 0x0
	.amdhsa_kernel _ZN7rocprim17ROCPRIM_400000_NS6detail17trampoline_kernelINS0_14default_configENS1_38merge_sort_block_merge_config_selectorIlNS0_10empty_typeEEEZZNS1_27merge_sort_block_merge_implIS3_PlPS5_mZN2at6native12_GLOBAL__N_124unique_dim_cuda_templateIbEESt5tupleIJNSA_6TensorESF_SF_EERKSF_lbbbEUlllE_EE10hipError_tT0_T1_T2_jT3_P12ihipStream_tbPNSt15iterator_traitsISL_E10value_typeEPNSR_ISM_E10value_typeEPSN_NS1_7vsmem_tEENKUlT_SL_SM_SN_E_clIS8_S8_S9_S9_EESK_S10_SL_SM_SN_EUlS10_E_NS1_11comp_targetILNS1_3genE4ELNS1_11target_archE910ELNS1_3gpuE8ELNS1_3repE0EEENS1_48merge_mergepath_partition_config_static_selectorELNS0_4arch9wavefront6targetE1EEEvSM_
		.amdhsa_group_segment_fixed_size 0
		.amdhsa_private_segment_fixed_size 0
		.amdhsa_kernarg_size 56
		.amdhsa_user_sgpr_count 2
		.amdhsa_user_sgpr_dispatch_ptr 0
		.amdhsa_user_sgpr_queue_ptr 0
		.amdhsa_user_sgpr_kernarg_segment_ptr 1
		.amdhsa_user_sgpr_dispatch_id 0
		.amdhsa_user_sgpr_kernarg_preload_length 0
		.amdhsa_user_sgpr_kernarg_preload_offset 0
		.amdhsa_user_sgpr_private_segment_size 0
		.amdhsa_uses_dynamic_stack 0
		.amdhsa_enable_private_segment 0
		.amdhsa_system_sgpr_workgroup_id_x 1
		.amdhsa_system_sgpr_workgroup_id_y 0
		.amdhsa_system_sgpr_workgroup_id_z 0
		.amdhsa_system_sgpr_workgroup_info 0
		.amdhsa_system_vgpr_workitem_id 0
		.amdhsa_next_free_vgpr 1
		.amdhsa_next_free_sgpr 0
		.amdhsa_accum_offset 4
		.amdhsa_reserve_vcc 0
		.amdhsa_float_round_mode_32 0
		.amdhsa_float_round_mode_16_64 0
		.amdhsa_float_denorm_mode_32 3
		.amdhsa_float_denorm_mode_16_64 3
		.amdhsa_dx10_clamp 1
		.amdhsa_ieee_mode 1
		.amdhsa_fp16_overflow 0
		.amdhsa_tg_split 0
		.amdhsa_exception_fp_ieee_invalid_op 0
		.amdhsa_exception_fp_denorm_src 0
		.amdhsa_exception_fp_ieee_div_zero 0
		.amdhsa_exception_fp_ieee_overflow 0
		.amdhsa_exception_fp_ieee_underflow 0
		.amdhsa_exception_fp_ieee_inexact 0
		.amdhsa_exception_int_div_zero 0
	.end_amdhsa_kernel
	.section	.text._ZN7rocprim17ROCPRIM_400000_NS6detail17trampoline_kernelINS0_14default_configENS1_38merge_sort_block_merge_config_selectorIlNS0_10empty_typeEEEZZNS1_27merge_sort_block_merge_implIS3_PlPS5_mZN2at6native12_GLOBAL__N_124unique_dim_cuda_templateIbEESt5tupleIJNSA_6TensorESF_SF_EERKSF_lbbbEUlllE_EE10hipError_tT0_T1_T2_jT3_P12ihipStream_tbPNSt15iterator_traitsISL_E10value_typeEPNSR_ISM_E10value_typeEPSN_NS1_7vsmem_tEENKUlT_SL_SM_SN_E_clIS8_S8_S9_S9_EESK_S10_SL_SM_SN_EUlS10_E_NS1_11comp_targetILNS1_3genE4ELNS1_11target_archE910ELNS1_3gpuE8ELNS1_3repE0EEENS1_48merge_mergepath_partition_config_static_selectorELNS0_4arch9wavefront6targetE1EEEvSM_,"axG",@progbits,_ZN7rocprim17ROCPRIM_400000_NS6detail17trampoline_kernelINS0_14default_configENS1_38merge_sort_block_merge_config_selectorIlNS0_10empty_typeEEEZZNS1_27merge_sort_block_merge_implIS3_PlPS5_mZN2at6native12_GLOBAL__N_124unique_dim_cuda_templateIbEESt5tupleIJNSA_6TensorESF_SF_EERKSF_lbbbEUlllE_EE10hipError_tT0_T1_T2_jT3_P12ihipStream_tbPNSt15iterator_traitsISL_E10value_typeEPNSR_ISM_E10value_typeEPSN_NS1_7vsmem_tEENKUlT_SL_SM_SN_E_clIS8_S8_S9_S9_EESK_S10_SL_SM_SN_EUlS10_E_NS1_11comp_targetILNS1_3genE4ELNS1_11target_archE910ELNS1_3gpuE8ELNS1_3repE0EEENS1_48merge_mergepath_partition_config_static_selectorELNS0_4arch9wavefront6targetE1EEEvSM_,comdat
.Lfunc_end1013:
	.size	_ZN7rocprim17ROCPRIM_400000_NS6detail17trampoline_kernelINS0_14default_configENS1_38merge_sort_block_merge_config_selectorIlNS0_10empty_typeEEEZZNS1_27merge_sort_block_merge_implIS3_PlPS5_mZN2at6native12_GLOBAL__N_124unique_dim_cuda_templateIbEESt5tupleIJNSA_6TensorESF_SF_EERKSF_lbbbEUlllE_EE10hipError_tT0_T1_T2_jT3_P12ihipStream_tbPNSt15iterator_traitsISL_E10value_typeEPNSR_ISM_E10value_typeEPSN_NS1_7vsmem_tEENKUlT_SL_SM_SN_E_clIS8_S8_S9_S9_EESK_S10_SL_SM_SN_EUlS10_E_NS1_11comp_targetILNS1_3genE4ELNS1_11target_archE910ELNS1_3gpuE8ELNS1_3repE0EEENS1_48merge_mergepath_partition_config_static_selectorELNS0_4arch9wavefront6targetE1EEEvSM_, .Lfunc_end1013-_ZN7rocprim17ROCPRIM_400000_NS6detail17trampoline_kernelINS0_14default_configENS1_38merge_sort_block_merge_config_selectorIlNS0_10empty_typeEEEZZNS1_27merge_sort_block_merge_implIS3_PlPS5_mZN2at6native12_GLOBAL__N_124unique_dim_cuda_templateIbEESt5tupleIJNSA_6TensorESF_SF_EERKSF_lbbbEUlllE_EE10hipError_tT0_T1_T2_jT3_P12ihipStream_tbPNSt15iterator_traitsISL_E10value_typeEPNSR_ISM_E10value_typeEPSN_NS1_7vsmem_tEENKUlT_SL_SM_SN_E_clIS8_S8_S9_S9_EESK_S10_SL_SM_SN_EUlS10_E_NS1_11comp_targetILNS1_3genE4ELNS1_11target_archE910ELNS1_3gpuE8ELNS1_3repE0EEENS1_48merge_mergepath_partition_config_static_selectorELNS0_4arch9wavefront6targetE1EEEvSM_
                                        ; -- End function
	.section	.AMDGPU.csdata,"",@progbits
; Kernel info:
; codeLenInByte = 0
; NumSgprs: 6
; NumVgprs: 0
; NumAgprs: 0
; TotalNumVgprs: 0
; ScratchSize: 0
; MemoryBound: 0
; FloatMode: 240
; IeeeMode: 1
; LDSByteSize: 0 bytes/workgroup (compile time only)
; SGPRBlocks: 0
; VGPRBlocks: 0
; NumSGPRsForWavesPerEU: 6
; NumVGPRsForWavesPerEU: 1
; AccumOffset: 4
; Occupancy: 8
; WaveLimiterHint : 0
; COMPUTE_PGM_RSRC2:SCRATCH_EN: 0
; COMPUTE_PGM_RSRC2:USER_SGPR: 2
; COMPUTE_PGM_RSRC2:TRAP_HANDLER: 0
; COMPUTE_PGM_RSRC2:TGID_X_EN: 1
; COMPUTE_PGM_RSRC2:TGID_Y_EN: 0
; COMPUTE_PGM_RSRC2:TGID_Z_EN: 0
; COMPUTE_PGM_RSRC2:TIDIG_COMP_CNT: 0
; COMPUTE_PGM_RSRC3_GFX90A:ACCUM_OFFSET: 0
; COMPUTE_PGM_RSRC3_GFX90A:TG_SPLIT: 0
	.section	.text._ZN7rocprim17ROCPRIM_400000_NS6detail17trampoline_kernelINS0_14default_configENS1_38merge_sort_block_merge_config_selectorIlNS0_10empty_typeEEEZZNS1_27merge_sort_block_merge_implIS3_PlPS5_mZN2at6native12_GLOBAL__N_124unique_dim_cuda_templateIbEESt5tupleIJNSA_6TensorESF_SF_EERKSF_lbbbEUlllE_EE10hipError_tT0_T1_T2_jT3_P12ihipStream_tbPNSt15iterator_traitsISL_E10value_typeEPNSR_ISM_E10value_typeEPSN_NS1_7vsmem_tEENKUlT_SL_SM_SN_E_clIS8_S8_S9_S9_EESK_S10_SL_SM_SN_EUlS10_E_NS1_11comp_targetILNS1_3genE3ELNS1_11target_archE908ELNS1_3gpuE7ELNS1_3repE0EEENS1_48merge_mergepath_partition_config_static_selectorELNS0_4arch9wavefront6targetE1EEEvSM_,"axG",@progbits,_ZN7rocprim17ROCPRIM_400000_NS6detail17trampoline_kernelINS0_14default_configENS1_38merge_sort_block_merge_config_selectorIlNS0_10empty_typeEEEZZNS1_27merge_sort_block_merge_implIS3_PlPS5_mZN2at6native12_GLOBAL__N_124unique_dim_cuda_templateIbEESt5tupleIJNSA_6TensorESF_SF_EERKSF_lbbbEUlllE_EE10hipError_tT0_T1_T2_jT3_P12ihipStream_tbPNSt15iterator_traitsISL_E10value_typeEPNSR_ISM_E10value_typeEPSN_NS1_7vsmem_tEENKUlT_SL_SM_SN_E_clIS8_S8_S9_S9_EESK_S10_SL_SM_SN_EUlS10_E_NS1_11comp_targetILNS1_3genE3ELNS1_11target_archE908ELNS1_3gpuE7ELNS1_3repE0EEENS1_48merge_mergepath_partition_config_static_selectorELNS0_4arch9wavefront6targetE1EEEvSM_,comdat
	.globl	_ZN7rocprim17ROCPRIM_400000_NS6detail17trampoline_kernelINS0_14default_configENS1_38merge_sort_block_merge_config_selectorIlNS0_10empty_typeEEEZZNS1_27merge_sort_block_merge_implIS3_PlPS5_mZN2at6native12_GLOBAL__N_124unique_dim_cuda_templateIbEESt5tupleIJNSA_6TensorESF_SF_EERKSF_lbbbEUlllE_EE10hipError_tT0_T1_T2_jT3_P12ihipStream_tbPNSt15iterator_traitsISL_E10value_typeEPNSR_ISM_E10value_typeEPSN_NS1_7vsmem_tEENKUlT_SL_SM_SN_E_clIS8_S8_S9_S9_EESK_S10_SL_SM_SN_EUlS10_E_NS1_11comp_targetILNS1_3genE3ELNS1_11target_archE908ELNS1_3gpuE7ELNS1_3repE0EEENS1_48merge_mergepath_partition_config_static_selectorELNS0_4arch9wavefront6targetE1EEEvSM_ ; -- Begin function _ZN7rocprim17ROCPRIM_400000_NS6detail17trampoline_kernelINS0_14default_configENS1_38merge_sort_block_merge_config_selectorIlNS0_10empty_typeEEEZZNS1_27merge_sort_block_merge_implIS3_PlPS5_mZN2at6native12_GLOBAL__N_124unique_dim_cuda_templateIbEESt5tupleIJNSA_6TensorESF_SF_EERKSF_lbbbEUlllE_EE10hipError_tT0_T1_T2_jT3_P12ihipStream_tbPNSt15iterator_traitsISL_E10value_typeEPNSR_ISM_E10value_typeEPSN_NS1_7vsmem_tEENKUlT_SL_SM_SN_E_clIS8_S8_S9_S9_EESK_S10_SL_SM_SN_EUlS10_E_NS1_11comp_targetILNS1_3genE3ELNS1_11target_archE908ELNS1_3gpuE7ELNS1_3repE0EEENS1_48merge_mergepath_partition_config_static_selectorELNS0_4arch9wavefront6targetE1EEEvSM_
	.p2align	8
	.type	_ZN7rocprim17ROCPRIM_400000_NS6detail17trampoline_kernelINS0_14default_configENS1_38merge_sort_block_merge_config_selectorIlNS0_10empty_typeEEEZZNS1_27merge_sort_block_merge_implIS3_PlPS5_mZN2at6native12_GLOBAL__N_124unique_dim_cuda_templateIbEESt5tupleIJNSA_6TensorESF_SF_EERKSF_lbbbEUlllE_EE10hipError_tT0_T1_T2_jT3_P12ihipStream_tbPNSt15iterator_traitsISL_E10value_typeEPNSR_ISM_E10value_typeEPSN_NS1_7vsmem_tEENKUlT_SL_SM_SN_E_clIS8_S8_S9_S9_EESK_S10_SL_SM_SN_EUlS10_E_NS1_11comp_targetILNS1_3genE3ELNS1_11target_archE908ELNS1_3gpuE7ELNS1_3repE0EEENS1_48merge_mergepath_partition_config_static_selectorELNS0_4arch9wavefront6targetE1EEEvSM_,@function
_ZN7rocprim17ROCPRIM_400000_NS6detail17trampoline_kernelINS0_14default_configENS1_38merge_sort_block_merge_config_selectorIlNS0_10empty_typeEEEZZNS1_27merge_sort_block_merge_implIS3_PlPS5_mZN2at6native12_GLOBAL__N_124unique_dim_cuda_templateIbEESt5tupleIJNSA_6TensorESF_SF_EERKSF_lbbbEUlllE_EE10hipError_tT0_T1_T2_jT3_P12ihipStream_tbPNSt15iterator_traitsISL_E10value_typeEPNSR_ISM_E10value_typeEPSN_NS1_7vsmem_tEENKUlT_SL_SM_SN_E_clIS8_S8_S9_S9_EESK_S10_SL_SM_SN_EUlS10_E_NS1_11comp_targetILNS1_3genE3ELNS1_11target_archE908ELNS1_3gpuE7ELNS1_3repE0EEENS1_48merge_mergepath_partition_config_static_selectorELNS0_4arch9wavefront6targetE1EEEvSM_: ; @_ZN7rocprim17ROCPRIM_400000_NS6detail17trampoline_kernelINS0_14default_configENS1_38merge_sort_block_merge_config_selectorIlNS0_10empty_typeEEEZZNS1_27merge_sort_block_merge_implIS3_PlPS5_mZN2at6native12_GLOBAL__N_124unique_dim_cuda_templateIbEESt5tupleIJNSA_6TensorESF_SF_EERKSF_lbbbEUlllE_EE10hipError_tT0_T1_T2_jT3_P12ihipStream_tbPNSt15iterator_traitsISL_E10value_typeEPNSR_ISM_E10value_typeEPSN_NS1_7vsmem_tEENKUlT_SL_SM_SN_E_clIS8_S8_S9_S9_EESK_S10_SL_SM_SN_EUlS10_E_NS1_11comp_targetILNS1_3genE3ELNS1_11target_archE908ELNS1_3gpuE7ELNS1_3repE0EEENS1_48merge_mergepath_partition_config_static_selectorELNS0_4arch9wavefront6targetE1EEEvSM_
; %bb.0:
	.section	.rodata,"a",@progbits
	.p2align	6, 0x0
	.amdhsa_kernel _ZN7rocprim17ROCPRIM_400000_NS6detail17trampoline_kernelINS0_14default_configENS1_38merge_sort_block_merge_config_selectorIlNS0_10empty_typeEEEZZNS1_27merge_sort_block_merge_implIS3_PlPS5_mZN2at6native12_GLOBAL__N_124unique_dim_cuda_templateIbEESt5tupleIJNSA_6TensorESF_SF_EERKSF_lbbbEUlllE_EE10hipError_tT0_T1_T2_jT3_P12ihipStream_tbPNSt15iterator_traitsISL_E10value_typeEPNSR_ISM_E10value_typeEPSN_NS1_7vsmem_tEENKUlT_SL_SM_SN_E_clIS8_S8_S9_S9_EESK_S10_SL_SM_SN_EUlS10_E_NS1_11comp_targetILNS1_3genE3ELNS1_11target_archE908ELNS1_3gpuE7ELNS1_3repE0EEENS1_48merge_mergepath_partition_config_static_selectorELNS0_4arch9wavefront6targetE1EEEvSM_
		.amdhsa_group_segment_fixed_size 0
		.amdhsa_private_segment_fixed_size 0
		.amdhsa_kernarg_size 56
		.amdhsa_user_sgpr_count 2
		.amdhsa_user_sgpr_dispatch_ptr 0
		.amdhsa_user_sgpr_queue_ptr 0
		.amdhsa_user_sgpr_kernarg_segment_ptr 1
		.amdhsa_user_sgpr_dispatch_id 0
		.amdhsa_user_sgpr_kernarg_preload_length 0
		.amdhsa_user_sgpr_kernarg_preload_offset 0
		.amdhsa_user_sgpr_private_segment_size 0
		.amdhsa_uses_dynamic_stack 0
		.amdhsa_enable_private_segment 0
		.amdhsa_system_sgpr_workgroup_id_x 1
		.amdhsa_system_sgpr_workgroup_id_y 0
		.amdhsa_system_sgpr_workgroup_id_z 0
		.amdhsa_system_sgpr_workgroup_info 0
		.amdhsa_system_vgpr_workitem_id 0
		.amdhsa_next_free_vgpr 1
		.amdhsa_next_free_sgpr 0
		.amdhsa_accum_offset 4
		.amdhsa_reserve_vcc 0
		.amdhsa_float_round_mode_32 0
		.amdhsa_float_round_mode_16_64 0
		.amdhsa_float_denorm_mode_32 3
		.amdhsa_float_denorm_mode_16_64 3
		.amdhsa_dx10_clamp 1
		.amdhsa_ieee_mode 1
		.amdhsa_fp16_overflow 0
		.amdhsa_tg_split 0
		.amdhsa_exception_fp_ieee_invalid_op 0
		.amdhsa_exception_fp_denorm_src 0
		.amdhsa_exception_fp_ieee_div_zero 0
		.amdhsa_exception_fp_ieee_overflow 0
		.amdhsa_exception_fp_ieee_underflow 0
		.amdhsa_exception_fp_ieee_inexact 0
		.amdhsa_exception_int_div_zero 0
	.end_amdhsa_kernel
	.section	.text._ZN7rocprim17ROCPRIM_400000_NS6detail17trampoline_kernelINS0_14default_configENS1_38merge_sort_block_merge_config_selectorIlNS0_10empty_typeEEEZZNS1_27merge_sort_block_merge_implIS3_PlPS5_mZN2at6native12_GLOBAL__N_124unique_dim_cuda_templateIbEESt5tupleIJNSA_6TensorESF_SF_EERKSF_lbbbEUlllE_EE10hipError_tT0_T1_T2_jT3_P12ihipStream_tbPNSt15iterator_traitsISL_E10value_typeEPNSR_ISM_E10value_typeEPSN_NS1_7vsmem_tEENKUlT_SL_SM_SN_E_clIS8_S8_S9_S9_EESK_S10_SL_SM_SN_EUlS10_E_NS1_11comp_targetILNS1_3genE3ELNS1_11target_archE908ELNS1_3gpuE7ELNS1_3repE0EEENS1_48merge_mergepath_partition_config_static_selectorELNS0_4arch9wavefront6targetE1EEEvSM_,"axG",@progbits,_ZN7rocprim17ROCPRIM_400000_NS6detail17trampoline_kernelINS0_14default_configENS1_38merge_sort_block_merge_config_selectorIlNS0_10empty_typeEEEZZNS1_27merge_sort_block_merge_implIS3_PlPS5_mZN2at6native12_GLOBAL__N_124unique_dim_cuda_templateIbEESt5tupleIJNSA_6TensorESF_SF_EERKSF_lbbbEUlllE_EE10hipError_tT0_T1_T2_jT3_P12ihipStream_tbPNSt15iterator_traitsISL_E10value_typeEPNSR_ISM_E10value_typeEPSN_NS1_7vsmem_tEENKUlT_SL_SM_SN_E_clIS8_S8_S9_S9_EESK_S10_SL_SM_SN_EUlS10_E_NS1_11comp_targetILNS1_3genE3ELNS1_11target_archE908ELNS1_3gpuE7ELNS1_3repE0EEENS1_48merge_mergepath_partition_config_static_selectorELNS0_4arch9wavefront6targetE1EEEvSM_,comdat
.Lfunc_end1014:
	.size	_ZN7rocprim17ROCPRIM_400000_NS6detail17trampoline_kernelINS0_14default_configENS1_38merge_sort_block_merge_config_selectorIlNS0_10empty_typeEEEZZNS1_27merge_sort_block_merge_implIS3_PlPS5_mZN2at6native12_GLOBAL__N_124unique_dim_cuda_templateIbEESt5tupleIJNSA_6TensorESF_SF_EERKSF_lbbbEUlllE_EE10hipError_tT0_T1_T2_jT3_P12ihipStream_tbPNSt15iterator_traitsISL_E10value_typeEPNSR_ISM_E10value_typeEPSN_NS1_7vsmem_tEENKUlT_SL_SM_SN_E_clIS8_S8_S9_S9_EESK_S10_SL_SM_SN_EUlS10_E_NS1_11comp_targetILNS1_3genE3ELNS1_11target_archE908ELNS1_3gpuE7ELNS1_3repE0EEENS1_48merge_mergepath_partition_config_static_selectorELNS0_4arch9wavefront6targetE1EEEvSM_, .Lfunc_end1014-_ZN7rocprim17ROCPRIM_400000_NS6detail17trampoline_kernelINS0_14default_configENS1_38merge_sort_block_merge_config_selectorIlNS0_10empty_typeEEEZZNS1_27merge_sort_block_merge_implIS3_PlPS5_mZN2at6native12_GLOBAL__N_124unique_dim_cuda_templateIbEESt5tupleIJNSA_6TensorESF_SF_EERKSF_lbbbEUlllE_EE10hipError_tT0_T1_T2_jT3_P12ihipStream_tbPNSt15iterator_traitsISL_E10value_typeEPNSR_ISM_E10value_typeEPSN_NS1_7vsmem_tEENKUlT_SL_SM_SN_E_clIS8_S8_S9_S9_EESK_S10_SL_SM_SN_EUlS10_E_NS1_11comp_targetILNS1_3genE3ELNS1_11target_archE908ELNS1_3gpuE7ELNS1_3repE0EEENS1_48merge_mergepath_partition_config_static_selectorELNS0_4arch9wavefront6targetE1EEEvSM_
                                        ; -- End function
	.section	.AMDGPU.csdata,"",@progbits
; Kernel info:
; codeLenInByte = 0
; NumSgprs: 6
; NumVgprs: 0
; NumAgprs: 0
; TotalNumVgprs: 0
; ScratchSize: 0
; MemoryBound: 0
; FloatMode: 240
; IeeeMode: 1
; LDSByteSize: 0 bytes/workgroup (compile time only)
; SGPRBlocks: 0
; VGPRBlocks: 0
; NumSGPRsForWavesPerEU: 6
; NumVGPRsForWavesPerEU: 1
; AccumOffset: 4
; Occupancy: 8
; WaveLimiterHint : 0
; COMPUTE_PGM_RSRC2:SCRATCH_EN: 0
; COMPUTE_PGM_RSRC2:USER_SGPR: 2
; COMPUTE_PGM_RSRC2:TRAP_HANDLER: 0
; COMPUTE_PGM_RSRC2:TGID_X_EN: 1
; COMPUTE_PGM_RSRC2:TGID_Y_EN: 0
; COMPUTE_PGM_RSRC2:TGID_Z_EN: 0
; COMPUTE_PGM_RSRC2:TIDIG_COMP_CNT: 0
; COMPUTE_PGM_RSRC3_GFX90A:ACCUM_OFFSET: 0
; COMPUTE_PGM_RSRC3_GFX90A:TG_SPLIT: 0
	.section	.text._ZN7rocprim17ROCPRIM_400000_NS6detail17trampoline_kernelINS0_14default_configENS1_38merge_sort_block_merge_config_selectorIlNS0_10empty_typeEEEZZNS1_27merge_sort_block_merge_implIS3_PlPS5_mZN2at6native12_GLOBAL__N_124unique_dim_cuda_templateIbEESt5tupleIJNSA_6TensorESF_SF_EERKSF_lbbbEUlllE_EE10hipError_tT0_T1_T2_jT3_P12ihipStream_tbPNSt15iterator_traitsISL_E10value_typeEPNSR_ISM_E10value_typeEPSN_NS1_7vsmem_tEENKUlT_SL_SM_SN_E_clIS8_S8_S9_S9_EESK_S10_SL_SM_SN_EUlS10_E_NS1_11comp_targetILNS1_3genE2ELNS1_11target_archE906ELNS1_3gpuE6ELNS1_3repE0EEENS1_48merge_mergepath_partition_config_static_selectorELNS0_4arch9wavefront6targetE1EEEvSM_,"axG",@progbits,_ZN7rocprim17ROCPRIM_400000_NS6detail17trampoline_kernelINS0_14default_configENS1_38merge_sort_block_merge_config_selectorIlNS0_10empty_typeEEEZZNS1_27merge_sort_block_merge_implIS3_PlPS5_mZN2at6native12_GLOBAL__N_124unique_dim_cuda_templateIbEESt5tupleIJNSA_6TensorESF_SF_EERKSF_lbbbEUlllE_EE10hipError_tT0_T1_T2_jT3_P12ihipStream_tbPNSt15iterator_traitsISL_E10value_typeEPNSR_ISM_E10value_typeEPSN_NS1_7vsmem_tEENKUlT_SL_SM_SN_E_clIS8_S8_S9_S9_EESK_S10_SL_SM_SN_EUlS10_E_NS1_11comp_targetILNS1_3genE2ELNS1_11target_archE906ELNS1_3gpuE6ELNS1_3repE0EEENS1_48merge_mergepath_partition_config_static_selectorELNS0_4arch9wavefront6targetE1EEEvSM_,comdat
	.globl	_ZN7rocprim17ROCPRIM_400000_NS6detail17trampoline_kernelINS0_14default_configENS1_38merge_sort_block_merge_config_selectorIlNS0_10empty_typeEEEZZNS1_27merge_sort_block_merge_implIS3_PlPS5_mZN2at6native12_GLOBAL__N_124unique_dim_cuda_templateIbEESt5tupleIJNSA_6TensorESF_SF_EERKSF_lbbbEUlllE_EE10hipError_tT0_T1_T2_jT3_P12ihipStream_tbPNSt15iterator_traitsISL_E10value_typeEPNSR_ISM_E10value_typeEPSN_NS1_7vsmem_tEENKUlT_SL_SM_SN_E_clIS8_S8_S9_S9_EESK_S10_SL_SM_SN_EUlS10_E_NS1_11comp_targetILNS1_3genE2ELNS1_11target_archE906ELNS1_3gpuE6ELNS1_3repE0EEENS1_48merge_mergepath_partition_config_static_selectorELNS0_4arch9wavefront6targetE1EEEvSM_ ; -- Begin function _ZN7rocprim17ROCPRIM_400000_NS6detail17trampoline_kernelINS0_14default_configENS1_38merge_sort_block_merge_config_selectorIlNS0_10empty_typeEEEZZNS1_27merge_sort_block_merge_implIS3_PlPS5_mZN2at6native12_GLOBAL__N_124unique_dim_cuda_templateIbEESt5tupleIJNSA_6TensorESF_SF_EERKSF_lbbbEUlllE_EE10hipError_tT0_T1_T2_jT3_P12ihipStream_tbPNSt15iterator_traitsISL_E10value_typeEPNSR_ISM_E10value_typeEPSN_NS1_7vsmem_tEENKUlT_SL_SM_SN_E_clIS8_S8_S9_S9_EESK_S10_SL_SM_SN_EUlS10_E_NS1_11comp_targetILNS1_3genE2ELNS1_11target_archE906ELNS1_3gpuE6ELNS1_3repE0EEENS1_48merge_mergepath_partition_config_static_selectorELNS0_4arch9wavefront6targetE1EEEvSM_
	.p2align	8
	.type	_ZN7rocprim17ROCPRIM_400000_NS6detail17trampoline_kernelINS0_14default_configENS1_38merge_sort_block_merge_config_selectorIlNS0_10empty_typeEEEZZNS1_27merge_sort_block_merge_implIS3_PlPS5_mZN2at6native12_GLOBAL__N_124unique_dim_cuda_templateIbEESt5tupleIJNSA_6TensorESF_SF_EERKSF_lbbbEUlllE_EE10hipError_tT0_T1_T2_jT3_P12ihipStream_tbPNSt15iterator_traitsISL_E10value_typeEPNSR_ISM_E10value_typeEPSN_NS1_7vsmem_tEENKUlT_SL_SM_SN_E_clIS8_S8_S9_S9_EESK_S10_SL_SM_SN_EUlS10_E_NS1_11comp_targetILNS1_3genE2ELNS1_11target_archE906ELNS1_3gpuE6ELNS1_3repE0EEENS1_48merge_mergepath_partition_config_static_selectorELNS0_4arch9wavefront6targetE1EEEvSM_,@function
_ZN7rocprim17ROCPRIM_400000_NS6detail17trampoline_kernelINS0_14default_configENS1_38merge_sort_block_merge_config_selectorIlNS0_10empty_typeEEEZZNS1_27merge_sort_block_merge_implIS3_PlPS5_mZN2at6native12_GLOBAL__N_124unique_dim_cuda_templateIbEESt5tupleIJNSA_6TensorESF_SF_EERKSF_lbbbEUlllE_EE10hipError_tT0_T1_T2_jT3_P12ihipStream_tbPNSt15iterator_traitsISL_E10value_typeEPNSR_ISM_E10value_typeEPSN_NS1_7vsmem_tEENKUlT_SL_SM_SN_E_clIS8_S8_S9_S9_EESK_S10_SL_SM_SN_EUlS10_E_NS1_11comp_targetILNS1_3genE2ELNS1_11target_archE906ELNS1_3gpuE6ELNS1_3repE0EEENS1_48merge_mergepath_partition_config_static_selectorELNS0_4arch9wavefront6targetE1EEEvSM_: ; @_ZN7rocprim17ROCPRIM_400000_NS6detail17trampoline_kernelINS0_14default_configENS1_38merge_sort_block_merge_config_selectorIlNS0_10empty_typeEEEZZNS1_27merge_sort_block_merge_implIS3_PlPS5_mZN2at6native12_GLOBAL__N_124unique_dim_cuda_templateIbEESt5tupleIJNSA_6TensorESF_SF_EERKSF_lbbbEUlllE_EE10hipError_tT0_T1_T2_jT3_P12ihipStream_tbPNSt15iterator_traitsISL_E10value_typeEPNSR_ISM_E10value_typeEPSN_NS1_7vsmem_tEENKUlT_SL_SM_SN_E_clIS8_S8_S9_S9_EESK_S10_SL_SM_SN_EUlS10_E_NS1_11comp_targetILNS1_3genE2ELNS1_11target_archE906ELNS1_3gpuE6ELNS1_3repE0EEENS1_48merge_mergepath_partition_config_static_selectorELNS0_4arch9wavefront6targetE1EEEvSM_
; %bb.0:
	.section	.rodata,"a",@progbits
	.p2align	6, 0x0
	.amdhsa_kernel _ZN7rocprim17ROCPRIM_400000_NS6detail17trampoline_kernelINS0_14default_configENS1_38merge_sort_block_merge_config_selectorIlNS0_10empty_typeEEEZZNS1_27merge_sort_block_merge_implIS3_PlPS5_mZN2at6native12_GLOBAL__N_124unique_dim_cuda_templateIbEESt5tupleIJNSA_6TensorESF_SF_EERKSF_lbbbEUlllE_EE10hipError_tT0_T1_T2_jT3_P12ihipStream_tbPNSt15iterator_traitsISL_E10value_typeEPNSR_ISM_E10value_typeEPSN_NS1_7vsmem_tEENKUlT_SL_SM_SN_E_clIS8_S8_S9_S9_EESK_S10_SL_SM_SN_EUlS10_E_NS1_11comp_targetILNS1_3genE2ELNS1_11target_archE906ELNS1_3gpuE6ELNS1_3repE0EEENS1_48merge_mergepath_partition_config_static_selectorELNS0_4arch9wavefront6targetE1EEEvSM_
		.amdhsa_group_segment_fixed_size 0
		.amdhsa_private_segment_fixed_size 0
		.amdhsa_kernarg_size 56
		.amdhsa_user_sgpr_count 2
		.amdhsa_user_sgpr_dispatch_ptr 0
		.amdhsa_user_sgpr_queue_ptr 0
		.amdhsa_user_sgpr_kernarg_segment_ptr 1
		.amdhsa_user_sgpr_dispatch_id 0
		.amdhsa_user_sgpr_kernarg_preload_length 0
		.amdhsa_user_sgpr_kernarg_preload_offset 0
		.amdhsa_user_sgpr_private_segment_size 0
		.amdhsa_uses_dynamic_stack 0
		.amdhsa_enable_private_segment 0
		.amdhsa_system_sgpr_workgroup_id_x 1
		.amdhsa_system_sgpr_workgroup_id_y 0
		.amdhsa_system_sgpr_workgroup_id_z 0
		.amdhsa_system_sgpr_workgroup_info 0
		.amdhsa_system_vgpr_workitem_id 0
		.amdhsa_next_free_vgpr 1
		.amdhsa_next_free_sgpr 0
		.amdhsa_accum_offset 4
		.amdhsa_reserve_vcc 0
		.amdhsa_float_round_mode_32 0
		.amdhsa_float_round_mode_16_64 0
		.amdhsa_float_denorm_mode_32 3
		.amdhsa_float_denorm_mode_16_64 3
		.amdhsa_dx10_clamp 1
		.amdhsa_ieee_mode 1
		.amdhsa_fp16_overflow 0
		.amdhsa_tg_split 0
		.amdhsa_exception_fp_ieee_invalid_op 0
		.amdhsa_exception_fp_denorm_src 0
		.amdhsa_exception_fp_ieee_div_zero 0
		.amdhsa_exception_fp_ieee_overflow 0
		.amdhsa_exception_fp_ieee_underflow 0
		.amdhsa_exception_fp_ieee_inexact 0
		.amdhsa_exception_int_div_zero 0
	.end_amdhsa_kernel
	.section	.text._ZN7rocprim17ROCPRIM_400000_NS6detail17trampoline_kernelINS0_14default_configENS1_38merge_sort_block_merge_config_selectorIlNS0_10empty_typeEEEZZNS1_27merge_sort_block_merge_implIS3_PlPS5_mZN2at6native12_GLOBAL__N_124unique_dim_cuda_templateIbEESt5tupleIJNSA_6TensorESF_SF_EERKSF_lbbbEUlllE_EE10hipError_tT0_T1_T2_jT3_P12ihipStream_tbPNSt15iterator_traitsISL_E10value_typeEPNSR_ISM_E10value_typeEPSN_NS1_7vsmem_tEENKUlT_SL_SM_SN_E_clIS8_S8_S9_S9_EESK_S10_SL_SM_SN_EUlS10_E_NS1_11comp_targetILNS1_3genE2ELNS1_11target_archE906ELNS1_3gpuE6ELNS1_3repE0EEENS1_48merge_mergepath_partition_config_static_selectorELNS0_4arch9wavefront6targetE1EEEvSM_,"axG",@progbits,_ZN7rocprim17ROCPRIM_400000_NS6detail17trampoline_kernelINS0_14default_configENS1_38merge_sort_block_merge_config_selectorIlNS0_10empty_typeEEEZZNS1_27merge_sort_block_merge_implIS3_PlPS5_mZN2at6native12_GLOBAL__N_124unique_dim_cuda_templateIbEESt5tupleIJNSA_6TensorESF_SF_EERKSF_lbbbEUlllE_EE10hipError_tT0_T1_T2_jT3_P12ihipStream_tbPNSt15iterator_traitsISL_E10value_typeEPNSR_ISM_E10value_typeEPSN_NS1_7vsmem_tEENKUlT_SL_SM_SN_E_clIS8_S8_S9_S9_EESK_S10_SL_SM_SN_EUlS10_E_NS1_11comp_targetILNS1_3genE2ELNS1_11target_archE906ELNS1_3gpuE6ELNS1_3repE0EEENS1_48merge_mergepath_partition_config_static_selectorELNS0_4arch9wavefront6targetE1EEEvSM_,comdat
.Lfunc_end1015:
	.size	_ZN7rocprim17ROCPRIM_400000_NS6detail17trampoline_kernelINS0_14default_configENS1_38merge_sort_block_merge_config_selectorIlNS0_10empty_typeEEEZZNS1_27merge_sort_block_merge_implIS3_PlPS5_mZN2at6native12_GLOBAL__N_124unique_dim_cuda_templateIbEESt5tupleIJNSA_6TensorESF_SF_EERKSF_lbbbEUlllE_EE10hipError_tT0_T1_T2_jT3_P12ihipStream_tbPNSt15iterator_traitsISL_E10value_typeEPNSR_ISM_E10value_typeEPSN_NS1_7vsmem_tEENKUlT_SL_SM_SN_E_clIS8_S8_S9_S9_EESK_S10_SL_SM_SN_EUlS10_E_NS1_11comp_targetILNS1_3genE2ELNS1_11target_archE906ELNS1_3gpuE6ELNS1_3repE0EEENS1_48merge_mergepath_partition_config_static_selectorELNS0_4arch9wavefront6targetE1EEEvSM_, .Lfunc_end1015-_ZN7rocprim17ROCPRIM_400000_NS6detail17trampoline_kernelINS0_14default_configENS1_38merge_sort_block_merge_config_selectorIlNS0_10empty_typeEEEZZNS1_27merge_sort_block_merge_implIS3_PlPS5_mZN2at6native12_GLOBAL__N_124unique_dim_cuda_templateIbEESt5tupleIJNSA_6TensorESF_SF_EERKSF_lbbbEUlllE_EE10hipError_tT0_T1_T2_jT3_P12ihipStream_tbPNSt15iterator_traitsISL_E10value_typeEPNSR_ISM_E10value_typeEPSN_NS1_7vsmem_tEENKUlT_SL_SM_SN_E_clIS8_S8_S9_S9_EESK_S10_SL_SM_SN_EUlS10_E_NS1_11comp_targetILNS1_3genE2ELNS1_11target_archE906ELNS1_3gpuE6ELNS1_3repE0EEENS1_48merge_mergepath_partition_config_static_selectorELNS0_4arch9wavefront6targetE1EEEvSM_
                                        ; -- End function
	.section	.AMDGPU.csdata,"",@progbits
; Kernel info:
; codeLenInByte = 0
; NumSgprs: 6
; NumVgprs: 0
; NumAgprs: 0
; TotalNumVgprs: 0
; ScratchSize: 0
; MemoryBound: 0
; FloatMode: 240
; IeeeMode: 1
; LDSByteSize: 0 bytes/workgroup (compile time only)
; SGPRBlocks: 0
; VGPRBlocks: 0
; NumSGPRsForWavesPerEU: 6
; NumVGPRsForWavesPerEU: 1
; AccumOffset: 4
; Occupancy: 8
; WaveLimiterHint : 0
; COMPUTE_PGM_RSRC2:SCRATCH_EN: 0
; COMPUTE_PGM_RSRC2:USER_SGPR: 2
; COMPUTE_PGM_RSRC2:TRAP_HANDLER: 0
; COMPUTE_PGM_RSRC2:TGID_X_EN: 1
; COMPUTE_PGM_RSRC2:TGID_Y_EN: 0
; COMPUTE_PGM_RSRC2:TGID_Z_EN: 0
; COMPUTE_PGM_RSRC2:TIDIG_COMP_CNT: 0
; COMPUTE_PGM_RSRC3_GFX90A:ACCUM_OFFSET: 0
; COMPUTE_PGM_RSRC3_GFX90A:TG_SPLIT: 0
	.section	.text._ZN7rocprim17ROCPRIM_400000_NS6detail17trampoline_kernelINS0_14default_configENS1_38merge_sort_block_merge_config_selectorIlNS0_10empty_typeEEEZZNS1_27merge_sort_block_merge_implIS3_PlPS5_mZN2at6native12_GLOBAL__N_124unique_dim_cuda_templateIbEESt5tupleIJNSA_6TensorESF_SF_EERKSF_lbbbEUlllE_EE10hipError_tT0_T1_T2_jT3_P12ihipStream_tbPNSt15iterator_traitsISL_E10value_typeEPNSR_ISM_E10value_typeEPSN_NS1_7vsmem_tEENKUlT_SL_SM_SN_E_clIS8_S8_S9_S9_EESK_S10_SL_SM_SN_EUlS10_E_NS1_11comp_targetILNS1_3genE9ELNS1_11target_archE1100ELNS1_3gpuE3ELNS1_3repE0EEENS1_48merge_mergepath_partition_config_static_selectorELNS0_4arch9wavefront6targetE1EEEvSM_,"axG",@progbits,_ZN7rocprim17ROCPRIM_400000_NS6detail17trampoline_kernelINS0_14default_configENS1_38merge_sort_block_merge_config_selectorIlNS0_10empty_typeEEEZZNS1_27merge_sort_block_merge_implIS3_PlPS5_mZN2at6native12_GLOBAL__N_124unique_dim_cuda_templateIbEESt5tupleIJNSA_6TensorESF_SF_EERKSF_lbbbEUlllE_EE10hipError_tT0_T1_T2_jT3_P12ihipStream_tbPNSt15iterator_traitsISL_E10value_typeEPNSR_ISM_E10value_typeEPSN_NS1_7vsmem_tEENKUlT_SL_SM_SN_E_clIS8_S8_S9_S9_EESK_S10_SL_SM_SN_EUlS10_E_NS1_11comp_targetILNS1_3genE9ELNS1_11target_archE1100ELNS1_3gpuE3ELNS1_3repE0EEENS1_48merge_mergepath_partition_config_static_selectorELNS0_4arch9wavefront6targetE1EEEvSM_,comdat
	.globl	_ZN7rocprim17ROCPRIM_400000_NS6detail17trampoline_kernelINS0_14default_configENS1_38merge_sort_block_merge_config_selectorIlNS0_10empty_typeEEEZZNS1_27merge_sort_block_merge_implIS3_PlPS5_mZN2at6native12_GLOBAL__N_124unique_dim_cuda_templateIbEESt5tupleIJNSA_6TensorESF_SF_EERKSF_lbbbEUlllE_EE10hipError_tT0_T1_T2_jT3_P12ihipStream_tbPNSt15iterator_traitsISL_E10value_typeEPNSR_ISM_E10value_typeEPSN_NS1_7vsmem_tEENKUlT_SL_SM_SN_E_clIS8_S8_S9_S9_EESK_S10_SL_SM_SN_EUlS10_E_NS1_11comp_targetILNS1_3genE9ELNS1_11target_archE1100ELNS1_3gpuE3ELNS1_3repE0EEENS1_48merge_mergepath_partition_config_static_selectorELNS0_4arch9wavefront6targetE1EEEvSM_ ; -- Begin function _ZN7rocprim17ROCPRIM_400000_NS6detail17trampoline_kernelINS0_14default_configENS1_38merge_sort_block_merge_config_selectorIlNS0_10empty_typeEEEZZNS1_27merge_sort_block_merge_implIS3_PlPS5_mZN2at6native12_GLOBAL__N_124unique_dim_cuda_templateIbEESt5tupleIJNSA_6TensorESF_SF_EERKSF_lbbbEUlllE_EE10hipError_tT0_T1_T2_jT3_P12ihipStream_tbPNSt15iterator_traitsISL_E10value_typeEPNSR_ISM_E10value_typeEPSN_NS1_7vsmem_tEENKUlT_SL_SM_SN_E_clIS8_S8_S9_S9_EESK_S10_SL_SM_SN_EUlS10_E_NS1_11comp_targetILNS1_3genE9ELNS1_11target_archE1100ELNS1_3gpuE3ELNS1_3repE0EEENS1_48merge_mergepath_partition_config_static_selectorELNS0_4arch9wavefront6targetE1EEEvSM_
	.p2align	8
	.type	_ZN7rocprim17ROCPRIM_400000_NS6detail17trampoline_kernelINS0_14default_configENS1_38merge_sort_block_merge_config_selectorIlNS0_10empty_typeEEEZZNS1_27merge_sort_block_merge_implIS3_PlPS5_mZN2at6native12_GLOBAL__N_124unique_dim_cuda_templateIbEESt5tupleIJNSA_6TensorESF_SF_EERKSF_lbbbEUlllE_EE10hipError_tT0_T1_T2_jT3_P12ihipStream_tbPNSt15iterator_traitsISL_E10value_typeEPNSR_ISM_E10value_typeEPSN_NS1_7vsmem_tEENKUlT_SL_SM_SN_E_clIS8_S8_S9_S9_EESK_S10_SL_SM_SN_EUlS10_E_NS1_11comp_targetILNS1_3genE9ELNS1_11target_archE1100ELNS1_3gpuE3ELNS1_3repE0EEENS1_48merge_mergepath_partition_config_static_selectorELNS0_4arch9wavefront6targetE1EEEvSM_,@function
_ZN7rocprim17ROCPRIM_400000_NS6detail17trampoline_kernelINS0_14default_configENS1_38merge_sort_block_merge_config_selectorIlNS0_10empty_typeEEEZZNS1_27merge_sort_block_merge_implIS3_PlPS5_mZN2at6native12_GLOBAL__N_124unique_dim_cuda_templateIbEESt5tupleIJNSA_6TensorESF_SF_EERKSF_lbbbEUlllE_EE10hipError_tT0_T1_T2_jT3_P12ihipStream_tbPNSt15iterator_traitsISL_E10value_typeEPNSR_ISM_E10value_typeEPSN_NS1_7vsmem_tEENKUlT_SL_SM_SN_E_clIS8_S8_S9_S9_EESK_S10_SL_SM_SN_EUlS10_E_NS1_11comp_targetILNS1_3genE9ELNS1_11target_archE1100ELNS1_3gpuE3ELNS1_3repE0EEENS1_48merge_mergepath_partition_config_static_selectorELNS0_4arch9wavefront6targetE1EEEvSM_: ; @_ZN7rocprim17ROCPRIM_400000_NS6detail17trampoline_kernelINS0_14default_configENS1_38merge_sort_block_merge_config_selectorIlNS0_10empty_typeEEEZZNS1_27merge_sort_block_merge_implIS3_PlPS5_mZN2at6native12_GLOBAL__N_124unique_dim_cuda_templateIbEESt5tupleIJNSA_6TensorESF_SF_EERKSF_lbbbEUlllE_EE10hipError_tT0_T1_T2_jT3_P12ihipStream_tbPNSt15iterator_traitsISL_E10value_typeEPNSR_ISM_E10value_typeEPSN_NS1_7vsmem_tEENKUlT_SL_SM_SN_E_clIS8_S8_S9_S9_EESK_S10_SL_SM_SN_EUlS10_E_NS1_11comp_targetILNS1_3genE9ELNS1_11target_archE1100ELNS1_3gpuE3ELNS1_3repE0EEENS1_48merge_mergepath_partition_config_static_selectorELNS0_4arch9wavefront6targetE1EEEvSM_
; %bb.0:
	.section	.rodata,"a",@progbits
	.p2align	6, 0x0
	.amdhsa_kernel _ZN7rocprim17ROCPRIM_400000_NS6detail17trampoline_kernelINS0_14default_configENS1_38merge_sort_block_merge_config_selectorIlNS0_10empty_typeEEEZZNS1_27merge_sort_block_merge_implIS3_PlPS5_mZN2at6native12_GLOBAL__N_124unique_dim_cuda_templateIbEESt5tupleIJNSA_6TensorESF_SF_EERKSF_lbbbEUlllE_EE10hipError_tT0_T1_T2_jT3_P12ihipStream_tbPNSt15iterator_traitsISL_E10value_typeEPNSR_ISM_E10value_typeEPSN_NS1_7vsmem_tEENKUlT_SL_SM_SN_E_clIS8_S8_S9_S9_EESK_S10_SL_SM_SN_EUlS10_E_NS1_11comp_targetILNS1_3genE9ELNS1_11target_archE1100ELNS1_3gpuE3ELNS1_3repE0EEENS1_48merge_mergepath_partition_config_static_selectorELNS0_4arch9wavefront6targetE1EEEvSM_
		.amdhsa_group_segment_fixed_size 0
		.amdhsa_private_segment_fixed_size 0
		.amdhsa_kernarg_size 56
		.amdhsa_user_sgpr_count 2
		.amdhsa_user_sgpr_dispatch_ptr 0
		.amdhsa_user_sgpr_queue_ptr 0
		.amdhsa_user_sgpr_kernarg_segment_ptr 1
		.amdhsa_user_sgpr_dispatch_id 0
		.amdhsa_user_sgpr_kernarg_preload_length 0
		.amdhsa_user_sgpr_kernarg_preload_offset 0
		.amdhsa_user_sgpr_private_segment_size 0
		.amdhsa_uses_dynamic_stack 0
		.amdhsa_enable_private_segment 0
		.amdhsa_system_sgpr_workgroup_id_x 1
		.amdhsa_system_sgpr_workgroup_id_y 0
		.amdhsa_system_sgpr_workgroup_id_z 0
		.amdhsa_system_sgpr_workgroup_info 0
		.amdhsa_system_vgpr_workitem_id 0
		.amdhsa_next_free_vgpr 1
		.amdhsa_next_free_sgpr 0
		.amdhsa_accum_offset 4
		.amdhsa_reserve_vcc 0
		.amdhsa_float_round_mode_32 0
		.amdhsa_float_round_mode_16_64 0
		.amdhsa_float_denorm_mode_32 3
		.amdhsa_float_denorm_mode_16_64 3
		.amdhsa_dx10_clamp 1
		.amdhsa_ieee_mode 1
		.amdhsa_fp16_overflow 0
		.amdhsa_tg_split 0
		.amdhsa_exception_fp_ieee_invalid_op 0
		.amdhsa_exception_fp_denorm_src 0
		.amdhsa_exception_fp_ieee_div_zero 0
		.amdhsa_exception_fp_ieee_overflow 0
		.amdhsa_exception_fp_ieee_underflow 0
		.amdhsa_exception_fp_ieee_inexact 0
		.amdhsa_exception_int_div_zero 0
	.end_amdhsa_kernel
	.section	.text._ZN7rocprim17ROCPRIM_400000_NS6detail17trampoline_kernelINS0_14default_configENS1_38merge_sort_block_merge_config_selectorIlNS0_10empty_typeEEEZZNS1_27merge_sort_block_merge_implIS3_PlPS5_mZN2at6native12_GLOBAL__N_124unique_dim_cuda_templateIbEESt5tupleIJNSA_6TensorESF_SF_EERKSF_lbbbEUlllE_EE10hipError_tT0_T1_T2_jT3_P12ihipStream_tbPNSt15iterator_traitsISL_E10value_typeEPNSR_ISM_E10value_typeEPSN_NS1_7vsmem_tEENKUlT_SL_SM_SN_E_clIS8_S8_S9_S9_EESK_S10_SL_SM_SN_EUlS10_E_NS1_11comp_targetILNS1_3genE9ELNS1_11target_archE1100ELNS1_3gpuE3ELNS1_3repE0EEENS1_48merge_mergepath_partition_config_static_selectorELNS0_4arch9wavefront6targetE1EEEvSM_,"axG",@progbits,_ZN7rocprim17ROCPRIM_400000_NS6detail17trampoline_kernelINS0_14default_configENS1_38merge_sort_block_merge_config_selectorIlNS0_10empty_typeEEEZZNS1_27merge_sort_block_merge_implIS3_PlPS5_mZN2at6native12_GLOBAL__N_124unique_dim_cuda_templateIbEESt5tupleIJNSA_6TensorESF_SF_EERKSF_lbbbEUlllE_EE10hipError_tT0_T1_T2_jT3_P12ihipStream_tbPNSt15iterator_traitsISL_E10value_typeEPNSR_ISM_E10value_typeEPSN_NS1_7vsmem_tEENKUlT_SL_SM_SN_E_clIS8_S8_S9_S9_EESK_S10_SL_SM_SN_EUlS10_E_NS1_11comp_targetILNS1_3genE9ELNS1_11target_archE1100ELNS1_3gpuE3ELNS1_3repE0EEENS1_48merge_mergepath_partition_config_static_selectorELNS0_4arch9wavefront6targetE1EEEvSM_,comdat
.Lfunc_end1016:
	.size	_ZN7rocprim17ROCPRIM_400000_NS6detail17trampoline_kernelINS0_14default_configENS1_38merge_sort_block_merge_config_selectorIlNS0_10empty_typeEEEZZNS1_27merge_sort_block_merge_implIS3_PlPS5_mZN2at6native12_GLOBAL__N_124unique_dim_cuda_templateIbEESt5tupleIJNSA_6TensorESF_SF_EERKSF_lbbbEUlllE_EE10hipError_tT0_T1_T2_jT3_P12ihipStream_tbPNSt15iterator_traitsISL_E10value_typeEPNSR_ISM_E10value_typeEPSN_NS1_7vsmem_tEENKUlT_SL_SM_SN_E_clIS8_S8_S9_S9_EESK_S10_SL_SM_SN_EUlS10_E_NS1_11comp_targetILNS1_3genE9ELNS1_11target_archE1100ELNS1_3gpuE3ELNS1_3repE0EEENS1_48merge_mergepath_partition_config_static_selectorELNS0_4arch9wavefront6targetE1EEEvSM_, .Lfunc_end1016-_ZN7rocprim17ROCPRIM_400000_NS6detail17trampoline_kernelINS0_14default_configENS1_38merge_sort_block_merge_config_selectorIlNS0_10empty_typeEEEZZNS1_27merge_sort_block_merge_implIS3_PlPS5_mZN2at6native12_GLOBAL__N_124unique_dim_cuda_templateIbEESt5tupleIJNSA_6TensorESF_SF_EERKSF_lbbbEUlllE_EE10hipError_tT0_T1_T2_jT3_P12ihipStream_tbPNSt15iterator_traitsISL_E10value_typeEPNSR_ISM_E10value_typeEPSN_NS1_7vsmem_tEENKUlT_SL_SM_SN_E_clIS8_S8_S9_S9_EESK_S10_SL_SM_SN_EUlS10_E_NS1_11comp_targetILNS1_3genE9ELNS1_11target_archE1100ELNS1_3gpuE3ELNS1_3repE0EEENS1_48merge_mergepath_partition_config_static_selectorELNS0_4arch9wavefront6targetE1EEEvSM_
                                        ; -- End function
	.section	.AMDGPU.csdata,"",@progbits
; Kernel info:
; codeLenInByte = 0
; NumSgprs: 6
; NumVgprs: 0
; NumAgprs: 0
; TotalNumVgprs: 0
; ScratchSize: 0
; MemoryBound: 0
; FloatMode: 240
; IeeeMode: 1
; LDSByteSize: 0 bytes/workgroup (compile time only)
; SGPRBlocks: 0
; VGPRBlocks: 0
; NumSGPRsForWavesPerEU: 6
; NumVGPRsForWavesPerEU: 1
; AccumOffset: 4
; Occupancy: 8
; WaveLimiterHint : 0
; COMPUTE_PGM_RSRC2:SCRATCH_EN: 0
; COMPUTE_PGM_RSRC2:USER_SGPR: 2
; COMPUTE_PGM_RSRC2:TRAP_HANDLER: 0
; COMPUTE_PGM_RSRC2:TGID_X_EN: 1
; COMPUTE_PGM_RSRC2:TGID_Y_EN: 0
; COMPUTE_PGM_RSRC2:TGID_Z_EN: 0
; COMPUTE_PGM_RSRC2:TIDIG_COMP_CNT: 0
; COMPUTE_PGM_RSRC3_GFX90A:ACCUM_OFFSET: 0
; COMPUTE_PGM_RSRC3_GFX90A:TG_SPLIT: 0
	.section	.text._ZN7rocprim17ROCPRIM_400000_NS6detail17trampoline_kernelINS0_14default_configENS1_38merge_sort_block_merge_config_selectorIlNS0_10empty_typeEEEZZNS1_27merge_sort_block_merge_implIS3_PlPS5_mZN2at6native12_GLOBAL__N_124unique_dim_cuda_templateIbEESt5tupleIJNSA_6TensorESF_SF_EERKSF_lbbbEUlllE_EE10hipError_tT0_T1_T2_jT3_P12ihipStream_tbPNSt15iterator_traitsISL_E10value_typeEPNSR_ISM_E10value_typeEPSN_NS1_7vsmem_tEENKUlT_SL_SM_SN_E_clIS8_S8_S9_S9_EESK_S10_SL_SM_SN_EUlS10_E_NS1_11comp_targetILNS1_3genE8ELNS1_11target_archE1030ELNS1_3gpuE2ELNS1_3repE0EEENS1_48merge_mergepath_partition_config_static_selectorELNS0_4arch9wavefront6targetE1EEEvSM_,"axG",@progbits,_ZN7rocprim17ROCPRIM_400000_NS6detail17trampoline_kernelINS0_14default_configENS1_38merge_sort_block_merge_config_selectorIlNS0_10empty_typeEEEZZNS1_27merge_sort_block_merge_implIS3_PlPS5_mZN2at6native12_GLOBAL__N_124unique_dim_cuda_templateIbEESt5tupleIJNSA_6TensorESF_SF_EERKSF_lbbbEUlllE_EE10hipError_tT0_T1_T2_jT3_P12ihipStream_tbPNSt15iterator_traitsISL_E10value_typeEPNSR_ISM_E10value_typeEPSN_NS1_7vsmem_tEENKUlT_SL_SM_SN_E_clIS8_S8_S9_S9_EESK_S10_SL_SM_SN_EUlS10_E_NS1_11comp_targetILNS1_3genE8ELNS1_11target_archE1030ELNS1_3gpuE2ELNS1_3repE0EEENS1_48merge_mergepath_partition_config_static_selectorELNS0_4arch9wavefront6targetE1EEEvSM_,comdat
	.globl	_ZN7rocprim17ROCPRIM_400000_NS6detail17trampoline_kernelINS0_14default_configENS1_38merge_sort_block_merge_config_selectorIlNS0_10empty_typeEEEZZNS1_27merge_sort_block_merge_implIS3_PlPS5_mZN2at6native12_GLOBAL__N_124unique_dim_cuda_templateIbEESt5tupleIJNSA_6TensorESF_SF_EERKSF_lbbbEUlllE_EE10hipError_tT0_T1_T2_jT3_P12ihipStream_tbPNSt15iterator_traitsISL_E10value_typeEPNSR_ISM_E10value_typeEPSN_NS1_7vsmem_tEENKUlT_SL_SM_SN_E_clIS8_S8_S9_S9_EESK_S10_SL_SM_SN_EUlS10_E_NS1_11comp_targetILNS1_3genE8ELNS1_11target_archE1030ELNS1_3gpuE2ELNS1_3repE0EEENS1_48merge_mergepath_partition_config_static_selectorELNS0_4arch9wavefront6targetE1EEEvSM_ ; -- Begin function _ZN7rocprim17ROCPRIM_400000_NS6detail17trampoline_kernelINS0_14default_configENS1_38merge_sort_block_merge_config_selectorIlNS0_10empty_typeEEEZZNS1_27merge_sort_block_merge_implIS3_PlPS5_mZN2at6native12_GLOBAL__N_124unique_dim_cuda_templateIbEESt5tupleIJNSA_6TensorESF_SF_EERKSF_lbbbEUlllE_EE10hipError_tT0_T1_T2_jT3_P12ihipStream_tbPNSt15iterator_traitsISL_E10value_typeEPNSR_ISM_E10value_typeEPSN_NS1_7vsmem_tEENKUlT_SL_SM_SN_E_clIS8_S8_S9_S9_EESK_S10_SL_SM_SN_EUlS10_E_NS1_11comp_targetILNS1_3genE8ELNS1_11target_archE1030ELNS1_3gpuE2ELNS1_3repE0EEENS1_48merge_mergepath_partition_config_static_selectorELNS0_4arch9wavefront6targetE1EEEvSM_
	.p2align	8
	.type	_ZN7rocprim17ROCPRIM_400000_NS6detail17trampoline_kernelINS0_14default_configENS1_38merge_sort_block_merge_config_selectorIlNS0_10empty_typeEEEZZNS1_27merge_sort_block_merge_implIS3_PlPS5_mZN2at6native12_GLOBAL__N_124unique_dim_cuda_templateIbEESt5tupleIJNSA_6TensorESF_SF_EERKSF_lbbbEUlllE_EE10hipError_tT0_T1_T2_jT3_P12ihipStream_tbPNSt15iterator_traitsISL_E10value_typeEPNSR_ISM_E10value_typeEPSN_NS1_7vsmem_tEENKUlT_SL_SM_SN_E_clIS8_S8_S9_S9_EESK_S10_SL_SM_SN_EUlS10_E_NS1_11comp_targetILNS1_3genE8ELNS1_11target_archE1030ELNS1_3gpuE2ELNS1_3repE0EEENS1_48merge_mergepath_partition_config_static_selectorELNS0_4arch9wavefront6targetE1EEEvSM_,@function
_ZN7rocprim17ROCPRIM_400000_NS6detail17trampoline_kernelINS0_14default_configENS1_38merge_sort_block_merge_config_selectorIlNS0_10empty_typeEEEZZNS1_27merge_sort_block_merge_implIS3_PlPS5_mZN2at6native12_GLOBAL__N_124unique_dim_cuda_templateIbEESt5tupleIJNSA_6TensorESF_SF_EERKSF_lbbbEUlllE_EE10hipError_tT0_T1_T2_jT3_P12ihipStream_tbPNSt15iterator_traitsISL_E10value_typeEPNSR_ISM_E10value_typeEPSN_NS1_7vsmem_tEENKUlT_SL_SM_SN_E_clIS8_S8_S9_S9_EESK_S10_SL_SM_SN_EUlS10_E_NS1_11comp_targetILNS1_3genE8ELNS1_11target_archE1030ELNS1_3gpuE2ELNS1_3repE0EEENS1_48merge_mergepath_partition_config_static_selectorELNS0_4arch9wavefront6targetE1EEEvSM_: ; @_ZN7rocprim17ROCPRIM_400000_NS6detail17trampoline_kernelINS0_14default_configENS1_38merge_sort_block_merge_config_selectorIlNS0_10empty_typeEEEZZNS1_27merge_sort_block_merge_implIS3_PlPS5_mZN2at6native12_GLOBAL__N_124unique_dim_cuda_templateIbEESt5tupleIJNSA_6TensorESF_SF_EERKSF_lbbbEUlllE_EE10hipError_tT0_T1_T2_jT3_P12ihipStream_tbPNSt15iterator_traitsISL_E10value_typeEPNSR_ISM_E10value_typeEPSN_NS1_7vsmem_tEENKUlT_SL_SM_SN_E_clIS8_S8_S9_S9_EESK_S10_SL_SM_SN_EUlS10_E_NS1_11comp_targetILNS1_3genE8ELNS1_11target_archE1030ELNS1_3gpuE2ELNS1_3repE0EEENS1_48merge_mergepath_partition_config_static_selectorELNS0_4arch9wavefront6targetE1EEEvSM_
; %bb.0:
	.section	.rodata,"a",@progbits
	.p2align	6, 0x0
	.amdhsa_kernel _ZN7rocprim17ROCPRIM_400000_NS6detail17trampoline_kernelINS0_14default_configENS1_38merge_sort_block_merge_config_selectorIlNS0_10empty_typeEEEZZNS1_27merge_sort_block_merge_implIS3_PlPS5_mZN2at6native12_GLOBAL__N_124unique_dim_cuda_templateIbEESt5tupleIJNSA_6TensorESF_SF_EERKSF_lbbbEUlllE_EE10hipError_tT0_T1_T2_jT3_P12ihipStream_tbPNSt15iterator_traitsISL_E10value_typeEPNSR_ISM_E10value_typeEPSN_NS1_7vsmem_tEENKUlT_SL_SM_SN_E_clIS8_S8_S9_S9_EESK_S10_SL_SM_SN_EUlS10_E_NS1_11comp_targetILNS1_3genE8ELNS1_11target_archE1030ELNS1_3gpuE2ELNS1_3repE0EEENS1_48merge_mergepath_partition_config_static_selectorELNS0_4arch9wavefront6targetE1EEEvSM_
		.amdhsa_group_segment_fixed_size 0
		.amdhsa_private_segment_fixed_size 0
		.amdhsa_kernarg_size 56
		.amdhsa_user_sgpr_count 2
		.amdhsa_user_sgpr_dispatch_ptr 0
		.amdhsa_user_sgpr_queue_ptr 0
		.amdhsa_user_sgpr_kernarg_segment_ptr 1
		.amdhsa_user_sgpr_dispatch_id 0
		.amdhsa_user_sgpr_kernarg_preload_length 0
		.amdhsa_user_sgpr_kernarg_preload_offset 0
		.amdhsa_user_sgpr_private_segment_size 0
		.amdhsa_uses_dynamic_stack 0
		.amdhsa_enable_private_segment 0
		.amdhsa_system_sgpr_workgroup_id_x 1
		.amdhsa_system_sgpr_workgroup_id_y 0
		.amdhsa_system_sgpr_workgroup_id_z 0
		.amdhsa_system_sgpr_workgroup_info 0
		.amdhsa_system_vgpr_workitem_id 0
		.amdhsa_next_free_vgpr 1
		.amdhsa_next_free_sgpr 0
		.amdhsa_accum_offset 4
		.amdhsa_reserve_vcc 0
		.amdhsa_float_round_mode_32 0
		.amdhsa_float_round_mode_16_64 0
		.amdhsa_float_denorm_mode_32 3
		.amdhsa_float_denorm_mode_16_64 3
		.amdhsa_dx10_clamp 1
		.amdhsa_ieee_mode 1
		.amdhsa_fp16_overflow 0
		.amdhsa_tg_split 0
		.amdhsa_exception_fp_ieee_invalid_op 0
		.amdhsa_exception_fp_denorm_src 0
		.amdhsa_exception_fp_ieee_div_zero 0
		.amdhsa_exception_fp_ieee_overflow 0
		.amdhsa_exception_fp_ieee_underflow 0
		.amdhsa_exception_fp_ieee_inexact 0
		.amdhsa_exception_int_div_zero 0
	.end_amdhsa_kernel
	.section	.text._ZN7rocprim17ROCPRIM_400000_NS6detail17trampoline_kernelINS0_14default_configENS1_38merge_sort_block_merge_config_selectorIlNS0_10empty_typeEEEZZNS1_27merge_sort_block_merge_implIS3_PlPS5_mZN2at6native12_GLOBAL__N_124unique_dim_cuda_templateIbEESt5tupleIJNSA_6TensorESF_SF_EERKSF_lbbbEUlllE_EE10hipError_tT0_T1_T2_jT3_P12ihipStream_tbPNSt15iterator_traitsISL_E10value_typeEPNSR_ISM_E10value_typeEPSN_NS1_7vsmem_tEENKUlT_SL_SM_SN_E_clIS8_S8_S9_S9_EESK_S10_SL_SM_SN_EUlS10_E_NS1_11comp_targetILNS1_3genE8ELNS1_11target_archE1030ELNS1_3gpuE2ELNS1_3repE0EEENS1_48merge_mergepath_partition_config_static_selectorELNS0_4arch9wavefront6targetE1EEEvSM_,"axG",@progbits,_ZN7rocprim17ROCPRIM_400000_NS6detail17trampoline_kernelINS0_14default_configENS1_38merge_sort_block_merge_config_selectorIlNS0_10empty_typeEEEZZNS1_27merge_sort_block_merge_implIS3_PlPS5_mZN2at6native12_GLOBAL__N_124unique_dim_cuda_templateIbEESt5tupleIJNSA_6TensorESF_SF_EERKSF_lbbbEUlllE_EE10hipError_tT0_T1_T2_jT3_P12ihipStream_tbPNSt15iterator_traitsISL_E10value_typeEPNSR_ISM_E10value_typeEPSN_NS1_7vsmem_tEENKUlT_SL_SM_SN_E_clIS8_S8_S9_S9_EESK_S10_SL_SM_SN_EUlS10_E_NS1_11comp_targetILNS1_3genE8ELNS1_11target_archE1030ELNS1_3gpuE2ELNS1_3repE0EEENS1_48merge_mergepath_partition_config_static_selectorELNS0_4arch9wavefront6targetE1EEEvSM_,comdat
.Lfunc_end1017:
	.size	_ZN7rocprim17ROCPRIM_400000_NS6detail17trampoline_kernelINS0_14default_configENS1_38merge_sort_block_merge_config_selectorIlNS0_10empty_typeEEEZZNS1_27merge_sort_block_merge_implIS3_PlPS5_mZN2at6native12_GLOBAL__N_124unique_dim_cuda_templateIbEESt5tupleIJNSA_6TensorESF_SF_EERKSF_lbbbEUlllE_EE10hipError_tT0_T1_T2_jT3_P12ihipStream_tbPNSt15iterator_traitsISL_E10value_typeEPNSR_ISM_E10value_typeEPSN_NS1_7vsmem_tEENKUlT_SL_SM_SN_E_clIS8_S8_S9_S9_EESK_S10_SL_SM_SN_EUlS10_E_NS1_11comp_targetILNS1_3genE8ELNS1_11target_archE1030ELNS1_3gpuE2ELNS1_3repE0EEENS1_48merge_mergepath_partition_config_static_selectorELNS0_4arch9wavefront6targetE1EEEvSM_, .Lfunc_end1017-_ZN7rocprim17ROCPRIM_400000_NS6detail17trampoline_kernelINS0_14default_configENS1_38merge_sort_block_merge_config_selectorIlNS0_10empty_typeEEEZZNS1_27merge_sort_block_merge_implIS3_PlPS5_mZN2at6native12_GLOBAL__N_124unique_dim_cuda_templateIbEESt5tupleIJNSA_6TensorESF_SF_EERKSF_lbbbEUlllE_EE10hipError_tT0_T1_T2_jT3_P12ihipStream_tbPNSt15iterator_traitsISL_E10value_typeEPNSR_ISM_E10value_typeEPSN_NS1_7vsmem_tEENKUlT_SL_SM_SN_E_clIS8_S8_S9_S9_EESK_S10_SL_SM_SN_EUlS10_E_NS1_11comp_targetILNS1_3genE8ELNS1_11target_archE1030ELNS1_3gpuE2ELNS1_3repE0EEENS1_48merge_mergepath_partition_config_static_selectorELNS0_4arch9wavefront6targetE1EEEvSM_
                                        ; -- End function
	.section	.AMDGPU.csdata,"",@progbits
; Kernel info:
; codeLenInByte = 0
; NumSgprs: 6
; NumVgprs: 0
; NumAgprs: 0
; TotalNumVgprs: 0
; ScratchSize: 0
; MemoryBound: 0
; FloatMode: 240
; IeeeMode: 1
; LDSByteSize: 0 bytes/workgroup (compile time only)
; SGPRBlocks: 0
; VGPRBlocks: 0
; NumSGPRsForWavesPerEU: 6
; NumVGPRsForWavesPerEU: 1
; AccumOffset: 4
; Occupancy: 8
; WaveLimiterHint : 0
; COMPUTE_PGM_RSRC2:SCRATCH_EN: 0
; COMPUTE_PGM_RSRC2:USER_SGPR: 2
; COMPUTE_PGM_RSRC2:TRAP_HANDLER: 0
; COMPUTE_PGM_RSRC2:TGID_X_EN: 1
; COMPUTE_PGM_RSRC2:TGID_Y_EN: 0
; COMPUTE_PGM_RSRC2:TGID_Z_EN: 0
; COMPUTE_PGM_RSRC2:TIDIG_COMP_CNT: 0
; COMPUTE_PGM_RSRC3_GFX90A:ACCUM_OFFSET: 0
; COMPUTE_PGM_RSRC3_GFX90A:TG_SPLIT: 0
	.section	.text._ZN7rocprim17ROCPRIM_400000_NS6detail17trampoline_kernelINS0_14default_configENS1_38merge_sort_block_merge_config_selectorIlNS0_10empty_typeEEEZZNS1_27merge_sort_block_merge_implIS3_PlPS5_mZN2at6native12_GLOBAL__N_124unique_dim_cuda_templateIbEESt5tupleIJNSA_6TensorESF_SF_EERKSF_lbbbEUlllE_EE10hipError_tT0_T1_T2_jT3_P12ihipStream_tbPNSt15iterator_traitsISL_E10value_typeEPNSR_ISM_E10value_typeEPSN_NS1_7vsmem_tEENKUlT_SL_SM_SN_E_clIS8_S8_S9_S9_EESK_S10_SL_SM_SN_EUlS10_E0_NS1_11comp_targetILNS1_3genE0ELNS1_11target_archE4294967295ELNS1_3gpuE0ELNS1_3repE0EEENS1_38merge_mergepath_config_static_selectorELNS0_4arch9wavefront6targetE1EEEvSM_,"axG",@progbits,_ZN7rocprim17ROCPRIM_400000_NS6detail17trampoline_kernelINS0_14default_configENS1_38merge_sort_block_merge_config_selectorIlNS0_10empty_typeEEEZZNS1_27merge_sort_block_merge_implIS3_PlPS5_mZN2at6native12_GLOBAL__N_124unique_dim_cuda_templateIbEESt5tupleIJNSA_6TensorESF_SF_EERKSF_lbbbEUlllE_EE10hipError_tT0_T1_T2_jT3_P12ihipStream_tbPNSt15iterator_traitsISL_E10value_typeEPNSR_ISM_E10value_typeEPSN_NS1_7vsmem_tEENKUlT_SL_SM_SN_E_clIS8_S8_S9_S9_EESK_S10_SL_SM_SN_EUlS10_E0_NS1_11comp_targetILNS1_3genE0ELNS1_11target_archE4294967295ELNS1_3gpuE0ELNS1_3repE0EEENS1_38merge_mergepath_config_static_selectorELNS0_4arch9wavefront6targetE1EEEvSM_,comdat
	.globl	_ZN7rocprim17ROCPRIM_400000_NS6detail17trampoline_kernelINS0_14default_configENS1_38merge_sort_block_merge_config_selectorIlNS0_10empty_typeEEEZZNS1_27merge_sort_block_merge_implIS3_PlPS5_mZN2at6native12_GLOBAL__N_124unique_dim_cuda_templateIbEESt5tupleIJNSA_6TensorESF_SF_EERKSF_lbbbEUlllE_EE10hipError_tT0_T1_T2_jT3_P12ihipStream_tbPNSt15iterator_traitsISL_E10value_typeEPNSR_ISM_E10value_typeEPSN_NS1_7vsmem_tEENKUlT_SL_SM_SN_E_clIS8_S8_S9_S9_EESK_S10_SL_SM_SN_EUlS10_E0_NS1_11comp_targetILNS1_3genE0ELNS1_11target_archE4294967295ELNS1_3gpuE0ELNS1_3repE0EEENS1_38merge_mergepath_config_static_selectorELNS0_4arch9wavefront6targetE1EEEvSM_ ; -- Begin function _ZN7rocprim17ROCPRIM_400000_NS6detail17trampoline_kernelINS0_14default_configENS1_38merge_sort_block_merge_config_selectorIlNS0_10empty_typeEEEZZNS1_27merge_sort_block_merge_implIS3_PlPS5_mZN2at6native12_GLOBAL__N_124unique_dim_cuda_templateIbEESt5tupleIJNSA_6TensorESF_SF_EERKSF_lbbbEUlllE_EE10hipError_tT0_T1_T2_jT3_P12ihipStream_tbPNSt15iterator_traitsISL_E10value_typeEPNSR_ISM_E10value_typeEPSN_NS1_7vsmem_tEENKUlT_SL_SM_SN_E_clIS8_S8_S9_S9_EESK_S10_SL_SM_SN_EUlS10_E0_NS1_11comp_targetILNS1_3genE0ELNS1_11target_archE4294967295ELNS1_3gpuE0ELNS1_3repE0EEENS1_38merge_mergepath_config_static_selectorELNS0_4arch9wavefront6targetE1EEEvSM_
	.p2align	8
	.type	_ZN7rocprim17ROCPRIM_400000_NS6detail17trampoline_kernelINS0_14default_configENS1_38merge_sort_block_merge_config_selectorIlNS0_10empty_typeEEEZZNS1_27merge_sort_block_merge_implIS3_PlPS5_mZN2at6native12_GLOBAL__N_124unique_dim_cuda_templateIbEESt5tupleIJNSA_6TensorESF_SF_EERKSF_lbbbEUlllE_EE10hipError_tT0_T1_T2_jT3_P12ihipStream_tbPNSt15iterator_traitsISL_E10value_typeEPNSR_ISM_E10value_typeEPSN_NS1_7vsmem_tEENKUlT_SL_SM_SN_E_clIS8_S8_S9_S9_EESK_S10_SL_SM_SN_EUlS10_E0_NS1_11comp_targetILNS1_3genE0ELNS1_11target_archE4294967295ELNS1_3gpuE0ELNS1_3repE0EEENS1_38merge_mergepath_config_static_selectorELNS0_4arch9wavefront6targetE1EEEvSM_,@function
_ZN7rocprim17ROCPRIM_400000_NS6detail17trampoline_kernelINS0_14default_configENS1_38merge_sort_block_merge_config_selectorIlNS0_10empty_typeEEEZZNS1_27merge_sort_block_merge_implIS3_PlPS5_mZN2at6native12_GLOBAL__N_124unique_dim_cuda_templateIbEESt5tupleIJNSA_6TensorESF_SF_EERKSF_lbbbEUlllE_EE10hipError_tT0_T1_T2_jT3_P12ihipStream_tbPNSt15iterator_traitsISL_E10value_typeEPNSR_ISM_E10value_typeEPSN_NS1_7vsmem_tEENKUlT_SL_SM_SN_E_clIS8_S8_S9_S9_EESK_S10_SL_SM_SN_EUlS10_E0_NS1_11comp_targetILNS1_3genE0ELNS1_11target_archE4294967295ELNS1_3gpuE0ELNS1_3repE0EEENS1_38merge_mergepath_config_static_selectorELNS0_4arch9wavefront6targetE1EEEvSM_: ; @_ZN7rocprim17ROCPRIM_400000_NS6detail17trampoline_kernelINS0_14default_configENS1_38merge_sort_block_merge_config_selectorIlNS0_10empty_typeEEEZZNS1_27merge_sort_block_merge_implIS3_PlPS5_mZN2at6native12_GLOBAL__N_124unique_dim_cuda_templateIbEESt5tupleIJNSA_6TensorESF_SF_EERKSF_lbbbEUlllE_EE10hipError_tT0_T1_T2_jT3_P12ihipStream_tbPNSt15iterator_traitsISL_E10value_typeEPNSR_ISM_E10value_typeEPSN_NS1_7vsmem_tEENKUlT_SL_SM_SN_E_clIS8_S8_S9_S9_EESK_S10_SL_SM_SN_EUlS10_E0_NS1_11comp_targetILNS1_3genE0ELNS1_11target_archE4294967295ELNS1_3gpuE0ELNS1_3repE0EEENS1_38merge_mergepath_config_static_selectorELNS0_4arch9wavefront6targetE1EEEvSM_
; %bb.0:
	.section	.rodata,"a",@progbits
	.p2align	6, 0x0
	.amdhsa_kernel _ZN7rocprim17ROCPRIM_400000_NS6detail17trampoline_kernelINS0_14default_configENS1_38merge_sort_block_merge_config_selectorIlNS0_10empty_typeEEEZZNS1_27merge_sort_block_merge_implIS3_PlPS5_mZN2at6native12_GLOBAL__N_124unique_dim_cuda_templateIbEESt5tupleIJNSA_6TensorESF_SF_EERKSF_lbbbEUlllE_EE10hipError_tT0_T1_T2_jT3_P12ihipStream_tbPNSt15iterator_traitsISL_E10value_typeEPNSR_ISM_E10value_typeEPSN_NS1_7vsmem_tEENKUlT_SL_SM_SN_E_clIS8_S8_S9_S9_EESK_S10_SL_SM_SN_EUlS10_E0_NS1_11comp_targetILNS1_3genE0ELNS1_11target_archE4294967295ELNS1_3gpuE0ELNS1_3repE0EEENS1_38merge_mergepath_config_static_selectorELNS0_4arch9wavefront6targetE1EEEvSM_
		.amdhsa_group_segment_fixed_size 0
		.amdhsa_private_segment_fixed_size 0
		.amdhsa_kernarg_size 88
		.amdhsa_user_sgpr_count 2
		.amdhsa_user_sgpr_dispatch_ptr 0
		.amdhsa_user_sgpr_queue_ptr 0
		.amdhsa_user_sgpr_kernarg_segment_ptr 1
		.amdhsa_user_sgpr_dispatch_id 0
		.amdhsa_user_sgpr_kernarg_preload_length 0
		.amdhsa_user_sgpr_kernarg_preload_offset 0
		.amdhsa_user_sgpr_private_segment_size 0
		.amdhsa_uses_dynamic_stack 0
		.amdhsa_enable_private_segment 0
		.amdhsa_system_sgpr_workgroup_id_x 1
		.amdhsa_system_sgpr_workgroup_id_y 0
		.amdhsa_system_sgpr_workgroup_id_z 0
		.amdhsa_system_sgpr_workgroup_info 0
		.amdhsa_system_vgpr_workitem_id 0
		.amdhsa_next_free_vgpr 1
		.amdhsa_next_free_sgpr 0
		.amdhsa_accum_offset 4
		.amdhsa_reserve_vcc 0
		.amdhsa_float_round_mode_32 0
		.amdhsa_float_round_mode_16_64 0
		.amdhsa_float_denorm_mode_32 3
		.amdhsa_float_denorm_mode_16_64 3
		.amdhsa_dx10_clamp 1
		.amdhsa_ieee_mode 1
		.amdhsa_fp16_overflow 0
		.amdhsa_tg_split 0
		.amdhsa_exception_fp_ieee_invalid_op 0
		.amdhsa_exception_fp_denorm_src 0
		.amdhsa_exception_fp_ieee_div_zero 0
		.amdhsa_exception_fp_ieee_overflow 0
		.amdhsa_exception_fp_ieee_underflow 0
		.amdhsa_exception_fp_ieee_inexact 0
		.amdhsa_exception_int_div_zero 0
	.end_amdhsa_kernel
	.section	.text._ZN7rocprim17ROCPRIM_400000_NS6detail17trampoline_kernelINS0_14default_configENS1_38merge_sort_block_merge_config_selectorIlNS0_10empty_typeEEEZZNS1_27merge_sort_block_merge_implIS3_PlPS5_mZN2at6native12_GLOBAL__N_124unique_dim_cuda_templateIbEESt5tupleIJNSA_6TensorESF_SF_EERKSF_lbbbEUlllE_EE10hipError_tT0_T1_T2_jT3_P12ihipStream_tbPNSt15iterator_traitsISL_E10value_typeEPNSR_ISM_E10value_typeEPSN_NS1_7vsmem_tEENKUlT_SL_SM_SN_E_clIS8_S8_S9_S9_EESK_S10_SL_SM_SN_EUlS10_E0_NS1_11comp_targetILNS1_3genE0ELNS1_11target_archE4294967295ELNS1_3gpuE0ELNS1_3repE0EEENS1_38merge_mergepath_config_static_selectorELNS0_4arch9wavefront6targetE1EEEvSM_,"axG",@progbits,_ZN7rocprim17ROCPRIM_400000_NS6detail17trampoline_kernelINS0_14default_configENS1_38merge_sort_block_merge_config_selectorIlNS0_10empty_typeEEEZZNS1_27merge_sort_block_merge_implIS3_PlPS5_mZN2at6native12_GLOBAL__N_124unique_dim_cuda_templateIbEESt5tupleIJNSA_6TensorESF_SF_EERKSF_lbbbEUlllE_EE10hipError_tT0_T1_T2_jT3_P12ihipStream_tbPNSt15iterator_traitsISL_E10value_typeEPNSR_ISM_E10value_typeEPSN_NS1_7vsmem_tEENKUlT_SL_SM_SN_E_clIS8_S8_S9_S9_EESK_S10_SL_SM_SN_EUlS10_E0_NS1_11comp_targetILNS1_3genE0ELNS1_11target_archE4294967295ELNS1_3gpuE0ELNS1_3repE0EEENS1_38merge_mergepath_config_static_selectorELNS0_4arch9wavefront6targetE1EEEvSM_,comdat
.Lfunc_end1018:
	.size	_ZN7rocprim17ROCPRIM_400000_NS6detail17trampoline_kernelINS0_14default_configENS1_38merge_sort_block_merge_config_selectorIlNS0_10empty_typeEEEZZNS1_27merge_sort_block_merge_implIS3_PlPS5_mZN2at6native12_GLOBAL__N_124unique_dim_cuda_templateIbEESt5tupleIJNSA_6TensorESF_SF_EERKSF_lbbbEUlllE_EE10hipError_tT0_T1_T2_jT3_P12ihipStream_tbPNSt15iterator_traitsISL_E10value_typeEPNSR_ISM_E10value_typeEPSN_NS1_7vsmem_tEENKUlT_SL_SM_SN_E_clIS8_S8_S9_S9_EESK_S10_SL_SM_SN_EUlS10_E0_NS1_11comp_targetILNS1_3genE0ELNS1_11target_archE4294967295ELNS1_3gpuE0ELNS1_3repE0EEENS1_38merge_mergepath_config_static_selectorELNS0_4arch9wavefront6targetE1EEEvSM_, .Lfunc_end1018-_ZN7rocprim17ROCPRIM_400000_NS6detail17trampoline_kernelINS0_14default_configENS1_38merge_sort_block_merge_config_selectorIlNS0_10empty_typeEEEZZNS1_27merge_sort_block_merge_implIS3_PlPS5_mZN2at6native12_GLOBAL__N_124unique_dim_cuda_templateIbEESt5tupleIJNSA_6TensorESF_SF_EERKSF_lbbbEUlllE_EE10hipError_tT0_T1_T2_jT3_P12ihipStream_tbPNSt15iterator_traitsISL_E10value_typeEPNSR_ISM_E10value_typeEPSN_NS1_7vsmem_tEENKUlT_SL_SM_SN_E_clIS8_S8_S9_S9_EESK_S10_SL_SM_SN_EUlS10_E0_NS1_11comp_targetILNS1_3genE0ELNS1_11target_archE4294967295ELNS1_3gpuE0ELNS1_3repE0EEENS1_38merge_mergepath_config_static_selectorELNS0_4arch9wavefront6targetE1EEEvSM_
                                        ; -- End function
	.section	.AMDGPU.csdata,"",@progbits
; Kernel info:
; codeLenInByte = 0
; NumSgprs: 6
; NumVgprs: 0
; NumAgprs: 0
; TotalNumVgprs: 0
; ScratchSize: 0
; MemoryBound: 0
; FloatMode: 240
; IeeeMode: 1
; LDSByteSize: 0 bytes/workgroup (compile time only)
; SGPRBlocks: 0
; VGPRBlocks: 0
; NumSGPRsForWavesPerEU: 6
; NumVGPRsForWavesPerEU: 1
; AccumOffset: 4
; Occupancy: 8
; WaveLimiterHint : 0
; COMPUTE_PGM_RSRC2:SCRATCH_EN: 0
; COMPUTE_PGM_RSRC2:USER_SGPR: 2
; COMPUTE_PGM_RSRC2:TRAP_HANDLER: 0
; COMPUTE_PGM_RSRC2:TGID_X_EN: 1
; COMPUTE_PGM_RSRC2:TGID_Y_EN: 0
; COMPUTE_PGM_RSRC2:TGID_Z_EN: 0
; COMPUTE_PGM_RSRC2:TIDIG_COMP_CNT: 0
; COMPUTE_PGM_RSRC3_GFX90A:ACCUM_OFFSET: 0
; COMPUTE_PGM_RSRC3_GFX90A:TG_SPLIT: 0
	.section	.text._ZN7rocprim17ROCPRIM_400000_NS6detail17trampoline_kernelINS0_14default_configENS1_38merge_sort_block_merge_config_selectorIlNS0_10empty_typeEEEZZNS1_27merge_sort_block_merge_implIS3_PlPS5_mZN2at6native12_GLOBAL__N_124unique_dim_cuda_templateIbEESt5tupleIJNSA_6TensorESF_SF_EERKSF_lbbbEUlllE_EE10hipError_tT0_T1_T2_jT3_P12ihipStream_tbPNSt15iterator_traitsISL_E10value_typeEPNSR_ISM_E10value_typeEPSN_NS1_7vsmem_tEENKUlT_SL_SM_SN_E_clIS8_S8_S9_S9_EESK_S10_SL_SM_SN_EUlS10_E0_NS1_11comp_targetILNS1_3genE10ELNS1_11target_archE1201ELNS1_3gpuE5ELNS1_3repE0EEENS1_38merge_mergepath_config_static_selectorELNS0_4arch9wavefront6targetE1EEEvSM_,"axG",@progbits,_ZN7rocprim17ROCPRIM_400000_NS6detail17trampoline_kernelINS0_14default_configENS1_38merge_sort_block_merge_config_selectorIlNS0_10empty_typeEEEZZNS1_27merge_sort_block_merge_implIS3_PlPS5_mZN2at6native12_GLOBAL__N_124unique_dim_cuda_templateIbEESt5tupleIJNSA_6TensorESF_SF_EERKSF_lbbbEUlllE_EE10hipError_tT0_T1_T2_jT3_P12ihipStream_tbPNSt15iterator_traitsISL_E10value_typeEPNSR_ISM_E10value_typeEPSN_NS1_7vsmem_tEENKUlT_SL_SM_SN_E_clIS8_S8_S9_S9_EESK_S10_SL_SM_SN_EUlS10_E0_NS1_11comp_targetILNS1_3genE10ELNS1_11target_archE1201ELNS1_3gpuE5ELNS1_3repE0EEENS1_38merge_mergepath_config_static_selectorELNS0_4arch9wavefront6targetE1EEEvSM_,comdat
	.globl	_ZN7rocprim17ROCPRIM_400000_NS6detail17trampoline_kernelINS0_14default_configENS1_38merge_sort_block_merge_config_selectorIlNS0_10empty_typeEEEZZNS1_27merge_sort_block_merge_implIS3_PlPS5_mZN2at6native12_GLOBAL__N_124unique_dim_cuda_templateIbEESt5tupleIJNSA_6TensorESF_SF_EERKSF_lbbbEUlllE_EE10hipError_tT0_T1_T2_jT3_P12ihipStream_tbPNSt15iterator_traitsISL_E10value_typeEPNSR_ISM_E10value_typeEPSN_NS1_7vsmem_tEENKUlT_SL_SM_SN_E_clIS8_S8_S9_S9_EESK_S10_SL_SM_SN_EUlS10_E0_NS1_11comp_targetILNS1_3genE10ELNS1_11target_archE1201ELNS1_3gpuE5ELNS1_3repE0EEENS1_38merge_mergepath_config_static_selectorELNS0_4arch9wavefront6targetE1EEEvSM_ ; -- Begin function _ZN7rocprim17ROCPRIM_400000_NS6detail17trampoline_kernelINS0_14default_configENS1_38merge_sort_block_merge_config_selectorIlNS0_10empty_typeEEEZZNS1_27merge_sort_block_merge_implIS3_PlPS5_mZN2at6native12_GLOBAL__N_124unique_dim_cuda_templateIbEESt5tupleIJNSA_6TensorESF_SF_EERKSF_lbbbEUlllE_EE10hipError_tT0_T1_T2_jT3_P12ihipStream_tbPNSt15iterator_traitsISL_E10value_typeEPNSR_ISM_E10value_typeEPSN_NS1_7vsmem_tEENKUlT_SL_SM_SN_E_clIS8_S8_S9_S9_EESK_S10_SL_SM_SN_EUlS10_E0_NS1_11comp_targetILNS1_3genE10ELNS1_11target_archE1201ELNS1_3gpuE5ELNS1_3repE0EEENS1_38merge_mergepath_config_static_selectorELNS0_4arch9wavefront6targetE1EEEvSM_
	.p2align	8
	.type	_ZN7rocprim17ROCPRIM_400000_NS6detail17trampoline_kernelINS0_14default_configENS1_38merge_sort_block_merge_config_selectorIlNS0_10empty_typeEEEZZNS1_27merge_sort_block_merge_implIS3_PlPS5_mZN2at6native12_GLOBAL__N_124unique_dim_cuda_templateIbEESt5tupleIJNSA_6TensorESF_SF_EERKSF_lbbbEUlllE_EE10hipError_tT0_T1_T2_jT3_P12ihipStream_tbPNSt15iterator_traitsISL_E10value_typeEPNSR_ISM_E10value_typeEPSN_NS1_7vsmem_tEENKUlT_SL_SM_SN_E_clIS8_S8_S9_S9_EESK_S10_SL_SM_SN_EUlS10_E0_NS1_11comp_targetILNS1_3genE10ELNS1_11target_archE1201ELNS1_3gpuE5ELNS1_3repE0EEENS1_38merge_mergepath_config_static_selectorELNS0_4arch9wavefront6targetE1EEEvSM_,@function
_ZN7rocprim17ROCPRIM_400000_NS6detail17trampoline_kernelINS0_14default_configENS1_38merge_sort_block_merge_config_selectorIlNS0_10empty_typeEEEZZNS1_27merge_sort_block_merge_implIS3_PlPS5_mZN2at6native12_GLOBAL__N_124unique_dim_cuda_templateIbEESt5tupleIJNSA_6TensorESF_SF_EERKSF_lbbbEUlllE_EE10hipError_tT0_T1_T2_jT3_P12ihipStream_tbPNSt15iterator_traitsISL_E10value_typeEPNSR_ISM_E10value_typeEPSN_NS1_7vsmem_tEENKUlT_SL_SM_SN_E_clIS8_S8_S9_S9_EESK_S10_SL_SM_SN_EUlS10_E0_NS1_11comp_targetILNS1_3genE10ELNS1_11target_archE1201ELNS1_3gpuE5ELNS1_3repE0EEENS1_38merge_mergepath_config_static_selectorELNS0_4arch9wavefront6targetE1EEEvSM_: ; @_ZN7rocprim17ROCPRIM_400000_NS6detail17trampoline_kernelINS0_14default_configENS1_38merge_sort_block_merge_config_selectorIlNS0_10empty_typeEEEZZNS1_27merge_sort_block_merge_implIS3_PlPS5_mZN2at6native12_GLOBAL__N_124unique_dim_cuda_templateIbEESt5tupleIJNSA_6TensorESF_SF_EERKSF_lbbbEUlllE_EE10hipError_tT0_T1_T2_jT3_P12ihipStream_tbPNSt15iterator_traitsISL_E10value_typeEPNSR_ISM_E10value_typeEPSN_NS1_7vsmem_tEENKUlT_SL_SM_SN_E_clIS8_S8_S9_S9_EESK_S10_SL_SM_SN_EUlS10_E0_NS1_11comp_targetILNS1_3genE10ELNS1_11target_archE1201ELNS1_3gpuE5ELNS1_3repE0EEENS1_38merge_mergepath_config_static_selectorELNS0_4arch9wavefront6targetE1EEEvSM_
; %bb.0:
	.section	.rodata,"a",@progbits
	.p2align	6, 0x0
	.amdhsa_kernel _ZN7rocprim17ROCPRIM_400000_NS6detail17trampoline_kernelINS0_14default_configENS1_38merge_sort_block_merge_config_selectorIlNS0_10empty_typeEEEZZNS1_27merge_sort_block_merge_implIS3_PlPS5_mZN2at6native12_GLOBAL__N_124unique_dim_cuda_templateIbEESt5tupleIJNSA_6TensorESF_SF_EERKSF_lbbbEUlllE_EE10hipError_tT0_T1_T2_jT3_P12ihipStream_tbPNSt15iterator_traitsISL_E10value_typeEPNSR_ISM_E10value_typeEPSN_NS1_7vsmem_tEENKUlT_SL_SM_SN_E_clIS8_S8_S9_S9_EESK_S10_SL_SM_SN_EUlS10_E0_NS1_11comp_targetILNS1_3genE10ELNS1_11target_archE1201ELNS1_3gpuE5ELNS1_3repE0EEENS1_38merge_mergepath_config_static_selectorELNS0_4arch9wavefront6targetE1EEEvSM_
		.amdhsa_group_segment_fixed_size 0
		.amdhsa_private_segment_fixed_size 0
		.amdhsa_kernarg_size 88
		.amdhsa_user_sgpr_count 2
		.amdhsa_user_sgpr_dispatch_ptr 0
		.amdhsa_user_sgpr_queue_ptr 0
		.amdhsa_user_sgpr_kernarg_segment_ptr 1
		.amdhsa_user_sgpr_dispatch_id 0
		.amdhsa_user_sgpr_kernarg_preload_length 0
		.amdhsa_user_sgpr_kernarg_preload_offset 0
		.amdhsa_user_sgpr_private_segment_size 0
		.amdhsa_uses_dynamic_stack 0
		.amdhsa_enable_private_segment 0
		.amdhsa_system_sgpr_workgroup_id_x 1
		.amdhsa_system_sgpr_workgroup_id_y 0
		.amdhsa_system_sgpr_workgroup_id_z 0
		.amdhsa_system_sgpr_workgroup_info 0
		.amdhsa_system_vgpr_workitem_id 0
		.amdhsa_next_free_vgpr 1
		.amdhsa_next_free_sgpr 0
		.amdhsa_accum_offset 4
		.amdhsa_reserve_vcc 0
		.amdhsa_float_round_mode_32 0
		.amdhsa_float_round_mode_16_64 0
		.amdhsa_float_denorm_mode_32 3
		.amdhsa_float_denorm_mode_16_64 3
		.amdhsa_dx10_clamp 1
		.amdhsa_ieee_mode 1
		.amdhsa_fp16_overflow 0
		.amdhsa_tg_split 0
		.amdhsa_exception_fp_ieee_invalid_op 0
		.amdhsa_exception_fp_denorm_src 0
		.amdhsa_exception_fp_ieee_div_zero 0
		.amdhsa_exception_fp_ieee_overflow 0
		.amdhsa_exception_fp_ieee_underflow 0
		.amdhsa_exception_fp_ieee_inexact 0
		.amdhsa_exception_int_div_zero 0
	.end_amdhsa_kernel
	.section	.text._ZN7rocprim17ROCPRIM_400000_NS6detail17trampoline_kernelINS0_14default_configENS1_38merge_sort_block_merge_config_selectorIlNS0_10empty_typeEEEZZNS1_27merge_sort_block_merge_implIS3_PlPS5_mZN2at6native12_GLOBAL__N_124unique_dim_cuda_templateIbEESt5tupleIJNSA_6TensorESF_SF_EERKSF_lbbbEUlllE_EE10hipError_tT0_T1_T2_jT3_P12ihipStream_tbPNSt15iterator_traitsISL_E10value_typeEPNSR_ISM_E10value_typeEPSN_NS1_7vsmem_tEENKUlT_SL_SM_SN_E_clIS8_S8_S9_S9_EESK_S10_SL_SM_SN_EUlS10_E0_NS1_11comp_targetILNS1_3genE10ELNS1_11target_archE1201ELNS1_3gpuE5ELNS1_3repE0EEENS1_38merge_mergepath_config_static_selectorELNS0_4arch9wavefront6targetE1EEEvSM_,"axG",@progbits,_ZN7rocprim17ROCPRIM_400000_NS6detail17trampoline_kernelINS0_14default_configENS1_38merge_sort_block_merge_config_selectorIlNS0_10empty_typeEEEZZNS1_27merge_sort_block_merge_implIS3_PlPS5_mZN2at6native12_GLOBAL__N_124unique_dim_cuda_templateIbEESt5tupleIJNSA_6TensorESF_SF_EERKSF_lbbbEUlllE_EE10hipError_tT0_T1_T2_jT3_P12ihipStream_tbPNSt15iterator_traitsISL_E10value_typeEPNSR_ISM_E10value_typeEPSN_NS1_7vsmem_tEENKUlT_SL_SM_SN_E_clIS8_S8_S9_S9_EESK_S10_SL_SM_SN_EUlS10_E0_NS1_11comp_targetILNS1_3genE10ELNS1_11target_archE1201ELNS1_3gpuE5ELNS1_3repE0EEENS1_38merge_mergepath_config_static_selectorELNS0_4arch9wavefront6targetE1EEEvSM_,comdat
.Lfunc_end1019:
	.size	_ZN7rocprim17ROCPRIM_400000_NS6detail17trampoline_kernelINS0_14default_configENS1_38merge_sort_block_merge_config_selectorIlNS0_10empty_typeEEEZZNS1_27merge_sort_block_merge_implIS3_PlPS5_mZN2at6native12_GLOBAL__N_124unique_dim_cuda_templateIbEESt5tupleIJNSA_6TensorESF_SF_EERKSF_lbbbEUlllE_EE10hipError_tT0_T1_T2_jT3_P12ihipStream_tbPNSt15iterator_traitsISL_E10value_typeEPNSR_ISM_E10value_typeEPSN_NS1_7vsmem_tEENKUlT_SL_SM_SN_E_clIS8_S8_S9_S9_EESK_S10_SL_SM_SN_EUlS10_E0_NS1_11comp_targetILNS1_3genE10ELNS1_11target_archE1201ELNS1_3gpuE5ELNS1_3repE0EEENS1_38merge_mergepath_config_static_selectorELNS0_4arch9wavefront6targetE1EEEvSM_, .Lfunc_end1019-_ZN7rocprim17ROCPRIM_400000_NS6detail17trampoline_kernelINS0_14default_configENS1_38merge_sort_block_merge_config_selectorIlNS0_10empty_typeEEEZZNS1_27merge_sort_block_merge_implIS3_PlPS5_mZN2at6native12_GLOBAL__N_124unique_dim_cuda_templateIbEESt5tupleIJNSA_6TensorESF_SF_EERKSF_lbbbEUlllE_EE10hipError_tT0_T1_T2_jT3_P12ihipStream_tbPNSt15iterator_traitsISL_E10value_typeEPNSR_ISM_E10value_typeEPSN_NS1_7vsmem_tEENKUlT_SL_SM_SN_E_clIS8_S8_S9_S9_EESK_S10_SL_SM_SN_EUlS10_E0_NS1_11comp_targetILNS1_3genE10ELNS1_11target_archE1201ELNS1_3gpuE5ELNS1_3repE0EEENS1_38merge_mergepath_config_static_selectorELNS0_4arch9wavefront6targetE1EEEvSM_
                                        ; -- End function
	.section	.AMDGPU.csdata,"",@progbits
; Kernel info:
; codeLenInByte = 0
; NumSgprs: 6
; NumVgprs: 0
; NumAgprs: 0
; TotalNumVgprs: 0
; ScratchSize: 0
; MemoryBound: 0
; FloatMode: 240
; IeeeMode: 1
; LDSByteSize: 0 bytes/workgroup (compile time only)
; SGPRBlocks: 0
; VGPRBlocks: 0
; NumSGPRsForWavesPerEU: 6
; NumVGPRsForWavesPerEU: 1
; AccumOffset: 4
; Occupancy: 8
; WaveLimiterHint : 0
; COMPUTE_PGM_RSRC2:SCRATCH_EN: 0
; COMPUTE_PGM_RSRC2:USER_SGPR: 2
; COMPUTE_PGM_RSRC2:TRAP_HANDLER: 0
; COMPUTE_PGM_RSRC2:TGID_X_EN: 1
; COMPUTE_PGM_RSRC2:TGID_Y_EN: 0
; COMPUTE_PGM_RSRC2:TGID_Z_EN: 0
; COMPUTE_PGM_RSRC2:TIDIG_COMP_CNT: 0
; COMPUTE_PGM_RSRC3_GFX90A:ACCUM_OFFSET: 0
; COMPUTE_PGM_RSRC3_GFX90A:TG_SPLIT: 0
	.section	.text._ZN7rocprim17ROCPRIM_400000_NS6detail17trampoline_kernelINS0_14default_configENS1_38merge_sort_block_merge_config_selectorIlNS0_10empty_typeEEEZZNS1_27merge_sort_block_merge_implIS3_PlPS5_mZN2at6native12_GLOBAL__N_124unique_dim_cuda_templateIbEESt5tupleIJNSA_6TensorESF_SF_EERKSF_lbbbEUlllE_EE10hipError_tT0_T1_T2_jT3_P12ihipStream_tbPNSt15iterator_traitsISL_E10value_typeEPNSR_ISM_E10value_typeEPSN_NS1_7vsmem_tEENKUlT_SL_SM_SN_E_clIS8_S8_S9_S9_EESK_S10_SL_SM_SN_EUlS10_E0_NS1_11comp_targetILNS1_3genE5ELNS1_11target_archE942ELNS1_3gpuE9ELNS1_3repE0EEENS1_38merge_mergepath_config_static_selectorELNS0_4arch9wavefront6targetE1EEEvSM_,"axG",@progbits,_ZN7rocprim17ROCPRIM_400000_NS6detail17trampoline_kernelINS0_14default_configENS1_38merge_sort_block_merge_config_selectorIlNS0_10empty_typeEEEZZNS1_27merge_sort_block_merge_implIS3_PlPS5_mZN2at6native12_GLOBAL__N_124unique_dim_cuda_templateIbEESt5tupleIJNSA_6TensorESF_SF_EERKSF_lbbbEUlllE_EE10hipError_tT0_T1_T2_jT3_P12ihipStream_tbPNSt15iterator_traitsISL_E10value_typeEPNSR_ISM_E10value_typeEPSN_NS1_7vsmem_tEENKUlT_SL_SM_SN_E_clIS8_S8_S9_S9_EESK_S10_SL_SM_SN_EUlS10_E0_NS1_11comp_targetILNS1_3genE5ELNS1_11target_archE942ELNS1_3gpuE9ELNS1_3repE0EEENS1_38merge_mergepath_config_static_selectorELNS0_4arch9wavefront6targetE1EEEvSM_,comdat
	.globl	_ZN7rocprim17ROCPRIM_400000_NS6detail17trampoline_kernelINS0_14default_configENS1_38merge_sort_block_merge_config_selectorIlNS0_10empty_typeEEEZZNS1_27merge_sort_block_merge_implIS3_PlPS5_mZN2at6native12_GLOBAL__N_124unique_dim_cuda_templateIbEESt5tupleIJNSA_6TensorESF_SF_EERKSF_lbbbEUlllE_EE10hipError_tT0_T1_T2_jT3_P12ihipStream_tbPNSt15iterator_traitsISL_E10value_typeEPNSR_ISM_E10value_typeEPSN_NS1_7vsmem_tEENKUlT_SL_SM_SN_E_clIS8_S8_S9_S9_EESK_S10_SL_SM_SN_EUlS10_E0_NS1_11comp_targetILNS1_3genE5ELNS1_11target_archE942ELNS1_3gpuE9ELNS1_3repE0EEENS1_38merge_mergepath_config_static_selectorELNS0_4arch9wavefront6targetE1EEEvSM_ ; -- Begin function _ZN7rocprim17ROCPRIM_400000_NS6detail17trampoline_kernelINS0_14default_configENS1_38merge_sort_block_merge_config_selectorIlNS0_10empty_typeEEEZZNS1_27merge_sort_block_merge_implIS3_PlPS5_mZN2at6native12_GLOBAL__N_124unique_dim_cuda_templateIbEESt5tupleIJNSA_6TensorESF_SF_EERKSF_lbbbEUlllE_EE10hipError_tT0_T1_T2_jT3_P12ihipStream_tbPNSt15iterator_traitsISL_E10value_typeEPNSR_ISM_E10value_typeEPSN_NS1_7vsmem_tEENKUlT_SL_SM_SN_E_clIS8_S8_S9_S9_EESK_S10_SL_SM_SN_EUlS10_E0_NS1_11comp_targetILNS1_3genE5ELNS1_11target_archE942ELNS1_3gpuE9ELNS1_3repE0EEENS1_38merge_mergepath_config_static_selectorELNS0_4arch9wavefront6targetE1EEEvSM_
	.p2align	8
	.type	_ZN7rocprim17ROCPRIM_400000_NS6detail17trampoline_kernelINS0_14default_configENS1_38merge_sort_block_merge_config_selectorIlNS0_10empty_typeEEEZZNS1_27merge_sort_block_merge_implIS3_PlPS5_mZN2at6native12_GLOBAL__N_124unique_dim_cuda_templateIbEESt5tupleIJNSA_6TensorESF_SF_EERKSF_lbbbEUlllE_EE10hipError_tT0_T1_T2_jT3_P12ihipStream_tbPNSt15iterator_traitsISL_E10value_typeEPNSR_ISM_E10value_typeEPSN_NS1_7vsmem_tEENKUlT_SL_SM_SN_E_clIS8_S8_S9_S9_EESK_S10_SL_SM_SN_EUlS10_E0_NS1_11comp_targetILNS1_3genE5ELNS1_11target_archE942ELNS1_3gpuE9ELNS1_3repE0EEENS1_38merge_mergepath_config_static_selectorELNS0_4arch9wavefront6targetE1EEEvSM_,@function
_ZN7rocprim17ROCPRIM_400000_NS6detail17trampoline_kernelINS0_14default_configENS1_38merge_sort_block_merge_config_selectorIlNS0_10empty_typeEEEZZNS1_27merge_sort_block_merge_implIS3_PlPS5_mZN2at6native12_GLOBAL__N_124unique_dim_cuda_templateIbEESt5tupleIJNSA_6TensorESF_SF_EERKSF_lbbbEUlllE_EE10hipError_tT0_T1_T2_jT3_P12ihipStream_tbPNSt15iterator_traitsISL_E10value_typeEPNSR_ISM_E10value_typeEPSN_NS1_7vsmem_tEENKUlT_SL_SM_SN_E_clIS8_S8_S9_S9_EESK_S10_SL_SM_SN_EUlS10_E0_NS1_11comp_targetILNS1_3genE5ELNS1_11target_archE942ELNS1_3gpuE9ELNS1_3repE0EEENS1_38merge_mergepath_config_static_selectorELNS0_4arch9wavefront6targetE1EEEvSM_: ; @_ZN7rocprim17ROCPRIM_400000_NS6detail17trampoline_kernelINS0_14default_configENS1_38merge_sort_block_merge_config_selectorIlNS0_10empty_typeEEEZZNS1_27merge_sort_block_merge_implIS3_PlPS5_mZN2at6native12_GLOBAL__N_124unique_dim_cuda_templateIbEESt5tupleIJNSA_6TensorESF_SF_EERKSF_lbbbEUlllE_EE10hipError_tT0_T1_T2_jT3_P12ihipStream_tbPNSt15iterator_traitsISL_E10value_typeEPNSR_ISM_E10value_typeEPSN_NS1_7vsmem_tEENKUlT_SL_SM_SN_E_clIS8_S8_S9_S9_EESK_S10_SL_SM_SN_EUlS10_E0_NS1_11comp_targetILNS1_3genE5ELNS1_11target_archE942ELNS1_3gpuE9ELNS1_3repE0EEENS1_38merge_mergepath_config_static_selectorELNS0_4arch9wavefront6targetE1EEEvSM_
; %bb.0:
	s_load_dwordx2 s[24:25], s[0:1], 0x58
	s_load_dword s5, s[0:1], 0x38
	s_add_u32 s22, s0, 0x58
	s_addc_u32 s23, s1, 0
	s_waitcnt lgkmcnt(0)
	s_mul_i32 s4, s25, s4
	s_add_i32 s3, s4, s3
	s_mul_i32 s3, s3, s24
	s_add_i32 s6, s3, s2
	s_cmp_ge_u32 s6, s5
	s_cbranch_scc1 .LBB1020_120
; %bb.1:
	s_load_dwordx2 s[4:5], s[0:1], 0x50
	s_load_dwordx4 s[12:15], s[0:1], 0x8
	s_load_dwordx4 s[8:11], s[0:1], 0x28
	s_mov_b32 s7, 0
	s_lshl_b64 s[16:17], s[6:7], 3
	s_waitcnt lgkmcnt(0)
	s_add_u32 s4, s4, s16
	s_addc_u32 s5, s5, s17
	v_mov_b32_e32 v1, s10
	v_alignbit_b32 v1, s11, v1, 9
	v_and_b32_e32 v1, -2, v1
	v_sub_u32_e32 v1, 0, v1
	s_load_dwordx4 s[16:19], s[4:5], 0x0
	v_and_b32_e32 v2, s6, v1
	v_mov_b32_e32 v3, 0
	v_lshlrev_b64 v[6:7], 10, v[2:3]
	s_lshl_b64 s[20:21], s[6:7], 10
	v_mov_b32_e32 v5, s21
	v_sub_co_u32_e32 v4, vcc, s20, v6
	v_lshlrev_b64 v[2:3], 11, v[2:3]
	s_nop 0
	v_subb_co_u32_e32 v5, vcc, v5, v7, vcc
	v_lshl_add_u64 v[8:9], v[2:3], 0, s[10:11]
	v_lshl_add_u64 v[2:3], v[8:9], 0, v[4:5]
	s_waitcnt lgkmcnt(0)
	v_mov_b32_e32 v5, s19
	v_subrev_co_u32_e32 v4, vcc, s18, v2
	s_mov_b64 s[4:5], 0x400
	s_nop 0
	v_subb_co_u32_e32 v5, vcc, v3, v5, vcc
	v_or_b32_e32 v1, s6, v1
	v_lshl_add_u64 v[10:11], v[4:5], 0, s[4:5]
	v_cmp_ne_u32_e32 vcc, -1, v1
	v_cmp_lt_u64_e64 s[4:5], s[8:9], v[10:11]
	s_cbranch_vccz .LBB1020_3
; %bb.2:
	v_mov_b32_e32 v1, s8
	v_mov_b64_e32 v[4:5], s[18:19]
	v_cndmask_b32_e64 v6, v10, v1, s[4:5]
	s_branch .LBB1020_4
.LBB1020_3:
	v_sub_co_u32_e32 v6, vcc, v8, v6
	v_mov_b32_e32 v1, s8
	s_nop 0
	v_subb_co_u32_e32 v7, vcc, v9, v7, vcc
	v_cmp_lt_u64_e32 vcc, s[8:9], v[6:7]
	s_nop 1
	v_cndmask_b32_e32 v4, v6, v1, vcc
	v_lshl_add_u64 v[6:7], v[6:7], 0, s[10:11]
	v_cmp_lt_u64_e32 vcc, s[8:9], v[6:7]
	s_nop 1
	v_cndmask_b32_e32 v6, v6, v1, vcc
.LBB1020_4:
	s_lshr_b64 s[18:19], s[8:9], 10
	s_cmp_lg_u64 s[18:19], s[6:7]
	s_cselect_b64 s[10:11], -1, 0
	s_lshl_b64 s[4:5], s[16:17], 3
	s_add_u32 s4, s12, s4
	s_addc_u32 s5, s13, s5
	s_cmp_lt_u32 s2, s24
	v_mov_b32_e32 v19, 0
	s_cselect_b32 s2, 12, 18
	global_load_dword v5, v19, s[22:23] offset:14
	s_add_u32 s2, s22, s2
	s_addc_u32 s3, s23, 0
	global_load_ushort v7, v19, s[2:3]
	v_mov_b32_e32 v8, s17
	v_subrev_co_u32_e32 v2, vcc, s16, v2
	v_mov_b32_e32 v9, s9
	s_nop 0
	v_subb_co_u32_e32 v3, vcc, v3, v8, vcc
	v_mov_b32_e32 v10, s8
	v_cmp_lt_u64_e32 vcc, s[8:9], v[2:3]
	v_subrev_u32_e32 v1, s16, v4
	s_cmp_eq_u64 s[18:19], s[6:7]
	v_cndmask_b32_e32 v3, v3, v9, vcc
	v_cndmask_b32_e32 v2, v2, v10, vcc
	v_sub_u32_e32 v25, v6, v2
	v_lshlrev_b64 v[2:3], 3, v[2:3]
	v_lshl_add_u64 v[20:21], s[12:13], 0, v[2:3]
	v_lshlrev_b32_e32 v18, 3, v0
	s_waitcnt vmcnt(1)
	v_lshrrev_b32_e32 v2, 16, v5
	v_and_b32_e32 v3, 0xffff, v5
	v_mul_lo_u32 v2, v3, v2
	s_waitcnt vmcnt(0)
	v_mul_lo_u32 v26, v2, v7
	s_cbranch_scc1 .LBB1020_6
; %bb.5:
	v_sub_u32_e32 v4, v0, v1
	v_mov_b32_e32 v5, v19
	v_add_u32_e32 v6, v26, v0
	v_lshl_add_u64 v[2:3], s[4:5], 0, v[18:19]
	v_lshl_add_u64 v[4:5], v[4:5], 3, v[20:21]
	v_cmp_lt_u32_e32 vcc, v0, v1
	v_mov_b32_e32 v7, v19
	v_sub_u32_e32 v8, v6, v1
	v_mov_b32_e32 v9, v19
	v_cndmask_b32_e32 v3, v5, v3, vcc
	v_cndmask_b32_e32 v2, v4, v2, vcc
	v_lshl_add_u64 v[4:5], v[6:7], 3, s[4:5]
	v_lshl_add_u64 v[8:9], v[8:9], 3, v[20:21]
	v_cmp_lt_u32_e32 vcc, v6, v1
	v_mov_b32_e32 v11, v19
	v_mov_b32_e32 v13, v19
	v_cndmask_b32_e32 v4, v8, v4, vcc
	v_add_u32_e32 v8, v6, v26
	v_cndmask_b32_e32 v5, v9, v5, vcc
	v_mov_b32_e32 v9, v19
	v_sub_u32_e32 v10, v8, v1
	v_lshl_add_u64 v[6:7], v[8:9], 3, s[4:5]
	v_lshl_add_u64 v[10:11], v[10:11], 3, v[20:21]
	v_cmp_lt_u32_e32 vcc, v8, v1
	v_mov_b32_e32 v15, v19
	v_mov_b32_e32 v17, v19
	v_cndmask_b32_e32 v6, v10, v6, vcc
	v_add_u32_e32 v10, v8, v26
	v_cndmask_b32_e32 v7, v11, v7, vcc
	v_mov_b32_e32 v11, v19
	v_sub_u32_e32 v12, v10, v1
	;; [unrolled: 10-line block ×3, first 2 shown]
	v_lshl_add_u64 v[10:11], v[12:13], 3, s[4:5]
	v_lshl_add_u64 v[14:15], v[14:15], 3, v[20:21]
	v_cmp_lt_u32_e32 vcc, v12, v1
	global_load_dwordx2 v[2:3], v[2:3], off
	v_add_u32_e32 v24, v1, v25
	v_cndmask_b32_e32 v10, v14, v10, vcc
	v_add_u32_e32 v14, v12, v26
	v_cndmask_b32_e32 v11, v15, v11, vcc
	v_mov_b32_e32 v15, v19
	v_sub_u32_e32 v16, v14, v1
	v_lshl_add_u64 v[12:13], v[14:15], 3, s[4:5]
	v_lshl_add_u64 v[16:17], v[16:17], 3, v[20:21]
	v_cmp_lt_u32_e32 vcc, v14, v1
	global_load_dwordx2 v[4:5], v[4:5], off
	s_nop 0
	v_cndmask_b32_e32 v13, v17, v13, vcc
	v_cndmask_b32_e32 v12, v16, v12, vcc
	v_add_u32_e32 v16, v14, v26
	v_mov_b32_e32 v17, v19
	v_lshl_add_u64 v[14:15], v[16:17], 3, s[4:5]
	v_sub_u32_e32 v22, v16, v1
	v_cmp_lt_u32_e32 vcc, v16, v1
	v_add_u32_e32 v16, v16, v26
	v_lshl_add_u64 v[22:23], v[22:23], 3, v[20:21]
	v_sub_u32_e32 v28, v16, v1
	v_cndmask_b32_e32 v15, v23, v15, vcc
	v_cndmask_b32_e32 v14, v22, v14, vcc
	v_lshl_add_u64 v[22:23], v[16:17], 3, s[4:5]
	v_lshl_add_u64 v[28:29], v[28:29], 3, v[20:21]
	v_cmp_lt_u32_e32 vcc, v16, v1
	global_load_dwordx2 v[6:7], v[6:7], off
	s_nop 0
	v_cndmask_b32_e32 v17, v29, v23, vcc
	v_cndmask_b32_e32 v16, v28, v22, vcc
	global_load_dwordx2 v[8:9], v[8:9], off
	s_nop 0
	global_load_dwordx2 v[10:11], v[10:11], off
	s_nop 0
	;; [unrolled: 2-line block ×4, first 2 shown]
	global_load_dwordx2 v[16:17], v[16:17], off
	s_cbranch_execz .LBB1020_7
	s_branch .LBB1020_24
.LBB1020_6:
                                        ; implicit-def: $vgpr2_vgpr3_vgpr4_vgpr5_vgpr6_vgpr7_vgpr8_vgpr9_vgpr10_vgpr11_vgpr12_vgpr13_vgpr14_vgpr15_vgpr16_vgpr17
                                        ; implicit-def: $vgpr24
.LBB1020_7:
	v_add_u32_e32 v24, v1, v25
	v_cmp_lt_u32_e32 vcc, v0, v24
                                        ; implicit-def: $vgpr2_vgpr3_vgpr4_vgpr5_vgpr6_vgpr7_vgpr8_vgpr9_vgpr10_vgpr11_vgpr12_vgpr13_vgpr14_vgpr15_vgpr16_vgpr17
	s_and_saveexec_b64 s[2:3], vcc
	s_cbranch_execz .LBB1020_9
; %bb.8:
	v_mov_b32_e32 v19, 0
	s_waitcnt vmcnt(6)
	v_sub_u32_e32 v4, v0, v1
	v_mov_b32_e32 v5, v19
	v_lshl_add_u64 v[2:3], s[4:5], 0, v[18:19]
	v_lshl_add_u64 v[4:5], v[4:5], 3, v[20:21]
	v_cmp_lt_u32_e32 vcc, v0, v1
	s_nop 1
	v_cndmask_b32_e32 v3, v5, v3, vcc
	v_cndmask_b32_e32 v2, v4, v2, vcc
	global_load_dwordx2 v[2:3], v[2:3], off
.LBB1020_9:
	s_or_b64 exec, exec, s[2:3]
	v_add_u32_e32 v22, v26, v0
	v_cmp_lt_u32_e32 vcc, v22, v24
	s_and_saveexec_b64 s[2:3], vcc
	s_cbranch_execz .LBB1020_11
; %bb.10:
	v_mov_b32_e32 v23, 0
	v_sub_u32_e32 v28, v22, v1
	v_mov_b32_e32 v29, v23
	s_waitcnt vmcnt(6)
	v_lshl_add_u64 v[4:5], v[22:23], 3, s[4:5]
	v_lshl_add_u64 v[28:29], v[28:29], 3, v[20:21]
	v_cmp_lt_u32_e32 vcc, v22, v1
	s_nop 1
	v_cndmask_b32_e32 v5, v29, v5, vcc
	v_cndmask_b32_e32 v4, v28, v4, vcc
	global_load_dwordx2 v[4:5], v[4:5], off
.LBB1020_11:
	s_or_b64 exec, exec, s[2:3]
	v_add_u32_e32 v22, v22, v26
	v_cmp_lt_u32_e32 vcc, v22, v24
	s_and_saveexec_b64 s[2:3], vcc
	s_cbranch_execz .LBB1020_13
; %bb.12:
	v_mov_b32_e32 v23, 0
	v_sub_u32_e32 v28, v22, v1
	v_mov_b32_e32 v29, v23
	s_waitcnt vmcnt(5)
	v_lshl_add_u64 v[6:7], v[22:23], 3, s[4:5]
	v_lshl_add_u64 v[28:29], v[28:29], 3, v[20:21]
	v_cmp_lt_u32_e32 vcc, v22, v1
	s_nop 1
	v_cndmask_b32_e32 v7, v29, v7, vcc
	v_cndmask_b32_e32 v6, v28, v6, vcc
	global_load_dwordx2 v[6:7], v[6:7], off
.LBB1020_13:
	;; [unrolled: 18-line block ×6, first 2 shown]
	s_or_b64 exec, exec, s[2:3]
	v_add_u32_e32 v22, v22, v26
	v_cmp_lt_u32_e32 vcc, v22, v24
	s_and_saveexec_b64 s[2:3], vcc
	s_cbranch_execz .LBB1020_23
; %bb.22:
	v_mov_b32_e32 v23, 0
	s_waitcnt vmcnt(0)
	v_lshl_add_u64 v[16:17], v[22:23], 3, s[4:5]
	v_cmp_lt_u32_e32 vcc, v22, v1
	v_sub_u32_e32 v22, v22, v1
	v_lshl_add_u64 v[20:21], v[22:23], 3, v[20:21]
	v_cndmask_b32_e32 v17, v21, v17, vcc
	v_cndmask_b32_e32 v16, v20, v16, vcc
	global_load_dwordx2 v[16:17], v[16:17], off
.LBB1020_23:
	s_or_b64 exec, exec, s[2:3]
.LBB1020_24:
	s_load_dwordx4 s[4:7], s[0:1], 0x40
	v_min_u32_e32 v19, v24, v18
	v_sub_u32_e64 v25, v19, v25 clamp
	v_min_u32_e32 v26, v19, v1
	v_cmp_lt_u32_e32 vcc, v25, v26
	s_waitcnt vmcnt(0)
	ds_write2st64_b64 v18, v[2:3], v[4:5] offset1:2
	ds_write2st64_b64 v18, v[6:7], v[8:9] offset0:4 offset1:6
	ds_write2st64_b64 v18, v[10:11], v[12:13] offset0:8 offset1:10
	;; [unrolled: 1-line block ×3, first 2 shown]
	s_waitcnt lgkmcnt(0)
	s_barrier
	s_and_saveexec_b64 s[12:13], vcc
	s_cbranch_execz .LBB1020_34
; %bb.25:
	v_lshlrev_b32_e32 v20, 3, v19
	v_cmp_gt_i64_e64 s[0:1], s[4:5], 0
	v_lshl_add_u32 v27, v1, 3, v20
	s_mov_b64 s[16:17], 0
	v_cndmask_b32_e64 v20, 0, 1, s[0:1]
	v_cmp_ne_u32_e64 s[0:1], 1, v20
	s_branch .LBB1020_28
.LBB1020_26:                            ;   in Loop: Header=BB1020_28 Depth=1
	s_or_b64 exec, exec, s[22:23]
.LBB1020_27:                            ;   in Loop: Header=BB1020_28 Depth=1
	v_add_u32_e32 v20, 1, v28
	v_cndmask_b32_e64 v26, v26, v28, s[18:19]
	v_cndmask_b32_e64 v25, v20, v25, s[18:19]
	v_cmp_ge_u32_e32 vcc, v25, v26
	s_or_b64 s[16:17], vcc, s[16:17]
	s_andn2_b64 exec, exec, s[16:17]
	s_cbranch_execz .LBB1020_33
.LBB1020_28:                            ; =>This Loop Header: Depth=1
                                        ;     Child Loop BB1020_31 Depth 2
	v_add_u32_e32 v20, v26, v25
	v_lshrrev_b32_e32 v28, 1, v20
	s_and_b64 vcc, exec, s[0:1]
	s_mov_b64 s[18:19], 0
	s_cbranch_vccnz .LBB1020_27
; %bb.29:                               ;   in Loop: Header=BB1020_28 Depth=1
	v_not_b32_e32 v20, v28
	v_lshl_add_u32 v20, v20, 3, v27
	ds_read_b64 v[20:21], v20
	v_lshlrev_b32_e32 v29, 3, v28
	ds_read_b64 v[30:31], v29
	v_mov_b64_e32 v[22:23], s[6:7]
	s_mov_b64 s[22:23], 0
	s_waitcnt lgkmcnt(1)
	v_mul_lo_u32 v29, v20, s5
	v_mul_lo_u32 v32, v21, s4
	v_mad_u64_u32 v[20:21], s[2:3], v20, s4, v[22:23]
	v_add3_u32 v21, v32, v21, v29
	s_waitcnt lgkmcnt(0)
	v_mul_lo_u32 v29, v30, s5
	v_mul_lo_u32 v31, v31, s4
	v_mad_u64_u32 v[22:23], s[2:3], v30, s4, v[22:23]
	v_add3_u32 v23, v31, v23, v29
	s_mov_b64 s[28:29], s[4:5]
                                        ; implicit-def: $sgpr18_sgpr19
                                        ; implicit-def: $sgpr24_sgpr25
                                        ; implicit-def: $sgpr26_sgpr27
                                        ; implicit-def: $sgpr2_sgpr3
                                        ; implicit-def: $sgpr30_sgpr31
	s_branch .LBB1020_31
.LBB1020_30:                            ;   in Loop: Header=BB1020_31 Depth=2
	s_or_b64 exec, exec, s[34:35]
	s_and_b64 s[34:35], exec, s[24:25]
	s_or_b64 s[22:23], s[34:35], s[22:23]
	s_andn2_b64 s[30:31], s[30:31], exec
	s_and_b64 s[34:35], s[26:27], exec
	s_or_b64 s[30:31], s[30:31], s[34:35]
	s_andn2_b64 s[18:19], s[18:19], exec
	s_and_b64 s[34:35], s[2:3], exec
	s_or_b64 s[18:19], s[18:19], s[34:35]
	s_andn2_b64 exec, exec, s[22:23]
	s_cbranch_execz .LBB1020_26
.LBB1020_31:                            ;   Parent Loop BB1020_28 Depth=1
                                        ; =>  This Inner Loop Header: Depth=2
	global_load_ubyte v29, v[20:21], off
	global_load_ubyte v30, v[22:23], off
	s_andn2_b64 s[34:35], s[2:3], exec
	s_andn2_b64 s[26:27], s[26:27], exec
	s_or_b64 s[24:25], s[24:25], exec
	s_waitcnt vmcnt(1)
	v_cmp_eq_u16_e32 vcc, 0, v29
	s_waitcnt vmcnt(0)
	v_cmp_ne_u16_e64 s[2:3], 0, v30
	s_or_b64 s[38:39], vcc, s[2:3]
	s_and_b64 s[36:37], vcc, s[2:3]
	s_xor_b64 s[40:41], vcc, s[2:3]
	s_and_b64 s[2:3], s[38:39], s[30:31]
	s_or_b64 s[36:37], s[36:37], s[2:3]
	s_and_b64 s[2:3], s[36:37], exec
	s_or_b64 s[2:3], s[34:35], s[2:3]
	s_and_saveexec_b64 s[34:35], s[40:41]
	s_cbranch_execz .LBB1020_30
; %bb.32:                               ;   in Loop: Header=BB1020_31 Depth=2
	s_add_u32 s28, s28, -1
	s_addc_u32 s29, s29, -1
	s_cmp_eq_u64 s[28:29], 0
	s_cselect_b64 s[30:31], -1, 0
	s_andn2_b64 s[26:27], s[26:27], exec
	s_and_b64 s[36:37], s[36:37], exec
	s_andn2_b64 s[24:25], s[24:25], exec
	s_and_b64 s[30:31], s[30:31], exec
	v_lshl_add_u64 v[20:21], v[20:21], 0, 1
	v_lshl_add_u64 v[22:23], v[22:23], 0, 1
	s_andn2_b64 s[2:3], s[2:3], exec
	s_or_b64 s[26:27], s[26:27], s[36:37]
	s_or_b64 s[24:25], s[24:25], s[30:31]
                                        ; implicit-def: $sgpr30_sgpr31
	s_branch .LBB1020_30
.LBB1020_33:
	s_or_b64 exec, exec, s[16:17]
.LBB1020_34:
	s_or_b64 exec, exec, s[12:13]
	v_sub_u32_e32 v19, v19, v25
	v_add_u32_e32 v23, v19, v1
	v_cmp_le_u32_e32 vcc, v25, v1
	v_cmp_le_u32_e64 s[0:1], v23, v24
	s_or_b64 s[0:1], vcc, s[0:1]
	s_and_saveexec_b64 s[2:3], s[0:1]
	s_cbranch_execz .LBB1020_106
; %bb.35:
	v_cmp_ge_u32_e32 vcc, v25, v1
	v_cmp_lt_u32_e64 s[0:1], v25, v1
                                        ; implicit-def: $vgpr2_vgpr3
	s_and_saveexec_b64 s[12:13], s[0:1]
	s_cbranch_execz .LBB1020_37
; %bb.36:
	v_lshlrev_b32_e32 v2, 3, v25
	ds_read_b64 v[2:3], v2
.LBB1020_37:
	s_or_b64 exec, exec, s[12:13]
	v_cmp_ge_u32_e64 s[12:13], v23, v24
	v_cmp_lt_u32_e64 s[0:1], v23, v24
                                        ; implicit-def: $vgpr16_vgpr17
	s_and_saveexec_b64 s[16:17], s[0:1]
	s_cbranch_execz .LBB1020_39
; %bb.38:
	v_lshlrev_b32_e32 v4, 3, v23
	ds_read_b64 v[16:17], v4
.LBB1020_39:
	s_or_b64 exec, exec, s[16:17]
	s_or_b64 s[0:1], vcc, s[12:13]
	v_cmp_lt_i64_e64 s[16:17], s[4:5], 1
	s_mov_b64 s[22:23], 0
	v_cmp_gt_i64_e64 s[24:25], s[4:5], 0
	s_xor_b64 s[0:1], s[0:1], -1
	s_and_saveexec_b64 s[18:19], s[0:1]
	s_cbranch_execz .LBB1020_47
; %bb.40:
	s_andn2_b64 vcc, exec, s[24:25]
	s_cbranch_vccnz .LBB1020_46
; %bb.41:
	v_mov_b64_e32 v[6:7], s[6:7]
	s_waitcnt lgkmcnt(0)
	v_mad_u64_u32 v[4:5], s[0:1], v16, s4, v[6:7]
	v_mul_lo_u32 v8, v16, s5
	v_mul_lo_u32 v9, v17, s4
	v_add3_u32 v5, v9, v5, v8
	v_mad_u64_u32 v[6:7], s[0:1], v2, s4, v[6:7]
	v_mul_lo_u32 v8, v2, s5
	v_mul_lo_u32 v9, v3, s4
	v_add3_u32 v7, v9, v7, v8
	s_mov_b64 s[26:27], 0
	s_mov_b64 s[34:35], s[4:5]
                                        ; implicit-def: $sgpr22_sgpr23
                                        ; implicit-def: $sgpr28_sgpr29
                                        ; implicit-def: $sgpr30_sgpr31
                                        ; implicit-def: $sgpr0_sgpr1
                                        ; implicit-def: $sgpr36_sgpr37
	s_branch .LBB1020_43
.LBB1020_42:                            ;   in Loop: Header=BB1020_43 Depth=1
	s_or_b64 exec, exec, s[38:39]
	s_and_b64 s[38:39], exec, s[28:29]
	s_or_b64 s[26:27], s[38:39], s[26:27]
	s_andn2_b64 s[36:37], s[36:37], exec
	s_and_b64 s[38:39], s[30:31], exec
	s_or_b64 s[36:37], s[36:37], s[38:39]
	s_andn2_b64 s[22:23], s[22:23], exec
	s_and_b64 s[38:39], s[0:1], exec
	s_or_b64 s[22:23], s[22:23], s[38:39]
	s_andn2_b64 exec, exec, s[26:27]
	s_cbranch_execz .LBB1020_45
.LBB1020_43:                            ; =>This Inner Loop Header: Depth=1
	global_load_ubyte v8, v[4:5], off
	global_load_ubyte v9, v[6:7], off
	s_andn2_b64 s[38:39], s[0:1], exec
	s_andn2_b64 s[30:31], s[30:31], exec
	s_or_b64 s[28:29], s[28:29], exec
	s_waitcnt vmcnt(1)
	v_cmp_eq_u16_e32 vcc, 0, v8
	s_waitcnt vmcnt(0)
	v_cmp_ne_u16_e64 s[0:1], 0, v9
	s_or_b64 s[42:43], vcc, s[0:1]
	s_and_b64 s[40:41], vcc, s[0:1]
	s_xor_b64 s[44:45], vcc, s[0:1]
	s_and_b64 s[0:1], s[42:43], s[36:37]
	s_or_b64 s[40:41], s[40:41], s[0:1]
	s_and_b64 s[0:1], s[40:41], exec
	s_or_b64 s[0:1], s[38:39], s[0:1]
	s_and_saveexec_b64 s[38:39], s[44:45]
	s_cbranch_execz .LBB1020_42
; %bb.44:                               ;   in Loop: Header=BB1020_43 Depth=1
	s_add_u32 s34, s34, -1
	s_addc_u32 s35, s35, -1
	s_cmp_eq_u64 s[34:35], 0
	s_cselect_b64 s[36:37], -1, 0
	s_andn2_b64 s[30:31], s[30:31], exec
	s_and_b64 s[40:41], s[40:41], exec
	s_andn2_b64 s[28:29], s[28:29], exec
	s_and_b64 s[36:37], s[36:37], exec
	v_lshl_add_u64 v[4:5], v[4:5], 0, 1
	v_lshl_add_u64 v[6:7], v[6:7], 0, 1
	s_andn2_b64 s[0:1], s[0:1], exec
	s_or_b64 s[30:31], s[30:31], s[40:41]
	s_or_b64 s[28:29], s[28:29], s[36:37]
                                        ; implicit-def: $sgpr36_sgpr37
	s_branch .LBB1020_42
.LBB1020_45:
	s_or_b64 exec, exec, s[26:27]
.LBB1020_46:
	s_xor_b64 s[0:1], s[22:23], -1
	s_andn2_b64 s[12:13], s[12:13], exec
	s_and_b64 s[0:1], s[0:1], exec
	s_or_b64 s[12:13], s[12:13], s[0:1]
.LBB1020_47:
	s_or_b64 exec, exec, s[18:19]
	v_cndmask_b32_e64 v4, v23, v25, s[12:13]
	v_cndmask_b32_e64 v5, v24, v1, s[12:13]
	v_add_u32_e32 v6, 1, v4
	v_add_u32_e32 v4, -1, v5
	v_min_u32_e32 v4, v6, v4
	v_lshlrev_b32_e32 v4, 3, v4
	ds_read_b64 v[4:5], v4
	v_cndmask_b32_e64 v8, v6, v23, s[12:13]
	v_cndmask_b32_e64 v9, v25, v6, s[12:13]
	v_cmp_lt_u32_e32 vcc, v8, v24
	s_mov_b64 s[18:19], -1
	s_waitcnt lgkmcnt(0)
	v_cndmask_b32_e64 v19, v5, v17, s[12:13]
	v_cndmask_b32_e64 v20, v4, v16, s[12:13]
	;; [unrolled: 1-line block ×4, first 2 shown]
	s_mov_b64 s[22:23], -1
	s_and_saveexec_b64 s[26:27], vcc
	s_cbranch_execz .LBB1020_57
; %bb.48:
	v_cmp_lt_u32_e32 vcc, v9, v1
	s_mov_b64 s[0:1], 0
	s_and_saveexec_b64 s[22:23], vcc
	s_cbranch_execz .LBB1020_56
; %bb.49:
	s_andn2_b64 vcc, exec, s[24:25]
	s_mov_b64 s[24:25], 0
	s_cbranch_vccnz .LBB1020_55
; %bb.50:
	v_mov_b64_e32 v[6:7], s[6:7]
	v_mad_u64_u32 v[4:5], s[0:1], v20, s4, v[6:7]
	v_mul_lo_u32 v10, v20, s5
	v_mul_lo_u32 v11, v19, s4
	v_add3_u32 v5, v11, v5, v10
	v_mad_u64_u32 v[6:7], s[0:1], v22, s4, v[6:7]
	v_mul_lo_u32 v10, v22, s5
	v_mul_lo_u32 v11, v21, s4
	v_add3_u32 v7, v11, v7, v10
	s_mov_b64 s[28:29], 0
	s_mov_b64 s[36:37], s[4:5]
                                        ; implicit-def: $sgpr24_sgpr25
                                        ; implicit-def: $sgpr30_sgpr31
                                        ; implicit-def: $sgpr34_sgpr35
                                        ; implicit-def: $sgpr0_sgpr1
                                        ; implicit-def: $sgpr38_sgpr39
	s_branch .LBB1020_52
.LBB1020_51:                            ;   in Loop: Header=BB1020_52 Depth=1
	s_or_b64 exec, exec, s[40:41]
	s_and_b64 s[40:41], exec, s[30:31]
	s_or_b64 s[28:29], s[40:41], s[28:29]
	s_andn2_b64 s[38:39], s[38:39], exec
	s_and_b64 s[40:41], s[34:35], exec
	s_or_b64 s[38:39], s[38:39], s[40:41]
	s_andn2_b64 s[24:25], s[24:25], exec
	s_and_b64 s[40:41], s[0:1], exec
	s_or_b64 s[24:25], s[24:25], s[40:41]
	s_andn2_b64 exec, exec, s[28:29]
	s_cbranch_execz .LBB1020_54
.LBB1020_52:                            ; =>This Inner Loop Header: Depth=1
	global_load_ubyte v10, v[4:5], off
	global_load_ubyte v11, v[6:7], off
	s_andn2_b64 s[40:41], s[0:1], exec
	s_andn2_b64 s[34:35], s[34:35], exec
	s_or_b64 s[30:31], s[30:31], exec
	s_waitcnt vmcnt(1)
	v_cmp_eq_u16_e32 vcc, 0, v10
	s_waitcnt vmcnt(0)
	v_cmp_ne_u16_e64 s[0:1], 0, v11
	s_or_b64 s[44:45], vcc, s[0:1]
	s_and_b64 s[42:43], vcc, s[0:1]
	s_xor_b64 s[46:47], vcc, s[0:1]
	s_and_b64 s[0:1], s[44:45], s[38:39]
	s_or_b64 s[42:43], s[42:43], s[0:1]
	s_and_b64 s[0:1], s[42:43], exec
	s_or_b64 s[0:1], s[40:41], s[0:1]
	s_and_saveexec_b64 s[40:41], s[46:47]
	s_cbranch_execz .LBB1020_51
; %bb.53:                               ;   in Loop: Header=BB1020_52 Depth=1
	s_add_u32 s36, s36, -1
	s_addc_u32 s37, s37, -1
	s_cmp_eq_u64 s[36:37], 0
	s_cselect_b64 s[38:39], -1, 0
	s_andn2_b64 s[34:35], s[34:35], exec
	s_and_b64 s[42:43], s[42:43], exec
	s_andn2_b64 s[30:31], s[30:31], exec
	s_and_b64 s[38:39], s[38:39], exec
	v_lshl_add_u64 v[4:5], v[4:5], 0, 1
	v_lshl_add_u64 v[6:7], v[6:7], 0, 1
	s_andn2_b64 s[0:1], s[0:1], exec
	s_or_b64 s[34:35], s[34:35], s[42:43]
	s_or_b64 s[30:31], s[30:31], s[38:39]
                                        ; implicit-def: $sgpr38_sgpr39
	s_branch .LBB1020_51
.LBB1020_54:
	s_or_b64 exec, exec, s[28:29]
.LBB1020_55:
	s_xor_b64 s[0:1], s[24:25], -1
	s_and_b64 s[0:1], s[0:1], exec
.LBB1020_56:
	s_or_b64 exec, exec, s[22:23]
	s_orn2_b64 s[22:23], s[0:1], exec
.LBB1020_57:
	s_or_b64 exec, exec, s[26:27]
	v_cndmask_b32_e64 v4, v8, v9, s[22:23]
	v_cndmask_b32_e64 v5, v24, v1, s[22:23]
	v_add_u32_e32 v6, 1, v4
	v_add_u32_e32 v4, -1, v5
	v_min_u32_e32 v4, v6, v4
	v_lshlrev_b32_e32 v4, 3, v4
	ds_read_b64 v[4:5], v4
	v_cndmask_b32_e64 v10, v6, v8, s[22:23]
	v_cndmask_b32_e64 v11, v9, v6, s[22:23]
	v_cmp_lt_u32_e32 vcc, v10, v24
	s_waitcnt lgkmcnt(0)
	v_cndmask_b32_e64 v23, v5, v19, s[22:23]
	v_cndmask_b32_e64 v25, v4, v20, s[22:23]
	;; [unrolled: 1-line block ×4, first 2 shown]
	s_and_saveexec_b64 s[24:25], vcc
	s_cbranch_execz .LBB1020_65
; %bb.58:
	v_cmp_lt_u32_e64 s[18:19], v11, v1
	s_xor_b64 s[0:1], s[16:17], -1
	s_and_b64 s[0:1], s[18:19], s[0:1]
	s_and_saveexec_b64 s[26:27], s[0:1]
	s_cbranch_execz .LBB1020_64
; %bb.59:
	v_mov_b64_e32 v[6:7], s[6:7]
	v_mad_u64_u32 v[4:5], s[0:1], v25, s4, v[6:7]
	v_mul_lo_u32 v8, v25, s5
	v_mul_lo_u32 v9, v23, s4
	v_add3_u32 v5, v9, v5, v8
	v_mad_u64_u32 v[6:7], s[0:1], v27, s4, v[6:7]
	v_mul_lo_u32 v8, v27, s5
	v_mul_lo_u32 v9, v26, s4
	v_add3_u32 v7, v9, v7, v8
	s_mov_b64 s[28:29], 0
	s_mov_b64 s[38:39], s[4:5]
                                        ; implicit-def: $sgpr30_sgpr31
                                        ; implicit-def: $sgpr34_sgpr35
                                        ; implicit-def: $sgpr0_sgpr1
                                        ; implicit-def: $sgpr36_sgpr37
                                        ; implicit-def: $sgpr40_sgpr41
	s_branch .LBB1020_61
.LBB1020_60:                            ;   in Loop: Header=BB1020_61 Depth=1
	s_or_b64 exec, exec, s[42:43]
	s_and_b64 s[42:43], exec, s[34:35]
	s_or_b64 s[28:29], s[42:43], s[28:29]
	s_andn2_b64 s[40:41], s[40:41], exec
	s_and_b64 s[42:43], s[36:37], exec
	s_or_b64 s[40:41], s[40:41], s[42:43]
	s_andn2_b64 s[30:31], s[30:31], exec
	s_and_b64 s[42:43], s[0:1], exec
	s_or_b64 s[30:31], s[30:31], s[42:43]
	s_andn2_b64 exec, exec, s[28:29]
	s_cbranch_execz .LBB1020_63
.LBB1020_61:                            ; =>This Inner Loop Header: Depth=1
	global_load_ubyte v8, v[4:5], off
	global_load_ubyte v9, v[6:7], off
	s_andn2_b64 s[42:43], s[0:1], exec
	s_andn2_b64 s[36:37], s[36:37], exec
	s_or_b64 s[34:35], s[34:35], exec
	s_waitcnt vmcnt(1)
	v_cmp_eq_u16_e32 vcc, 0, v8
	s_waitcnt vmcnt(0)
	v_cmp_ne_u16_e64 s[0:1], 0, v9
	s_or_b64 s[46:47], vcc, s[0:1]
	s_and_b64 s[44:45], vcc, s[0:1]
	s_xor_b64 s[48:49], vcc, s[0:1]
	s_and_b64 s[0:1], s[46:47], s[40:41]
	s_or_b64 s[44:45], s[44:45], s[0:1]
	s_and_b64 s[0:1], s[44:45], exec
	s_or_b64 s[0:1], s[42:43], s[0:1]
	s_and_saveexec_b64 s[42:43], s[48:49]
	s_cbranch_execz .LBB1020_60
; %bb.62:                               ;   in Loop: Header=BB1020_61 Depth=1
	s_add_u32 s38, s38, -1
	s_addc_u32 s39, s39, -1
	s_cmp_eq_u64 s[38:39], 0
	s_cselect_b64 s[40:41], -1, 0
	s_andn2_b64 s[36:37], s[36:37], exec
	s_and_b64 s[44:45], s[44:45], exec
	s_andn2_b64 s[34:35], s[34:35], exec
	s_and_b64 s[40:41], s[40:41], exec
	v_lshl_add_u64 v[4:5], v[4:5], 0, 1
	v_lshl_add_u64 v[6:7], v[6:7], 0, 1
	s_or_b64 s[36:37], s[36:37], s[44:45]
	s_andn2_b64 s[0:1], s[0:1], exec
	s_or_b64 s[34:35], s[34:35], s[40:41]
                                        ; implicit-def: $sgpr40_sgpr41
	s_branch .LBB1020_60
.LBB1020_63:
	s_or_b64 exec, exec, s[28:29]
	s_xor_b64 s[0:1], s[30:31], -1
	s_andn2_b64 s[18:19], s[18:19], exec
	s_and_b64 s[0:1], s[0:1], exec
	s_or_b64 s[18:19], s[18:19], s[0:1]
.LBB1020_64:
	s_or_b64 exec, exec, s[26:27]
	s_orn2_b64 s[18:19], s[18:19], exec
.LBB1020_65:
	s_or_b64 exec, exec, s[24:25]
	v_cndmask_b32_e64 v4, v10, v11, s[18:19]
	v_cndmask_b32_e64 v5, v24, v1, s[18:19]
	v_add_u32_e32 v6, 1, v4
	v_add_u32_e32 v4, -1, v5
	v_min_u32_e32 v4, v6, v4
	v_lshlrev_b32_e32 v4, 3, v4
	ds_read_b64 v[4:5], v4
	v_cndmask_b32_e64 v12, v6, v10, s[18:19]
	v_cndmask_b32_e64 v13, v11, v6, s[18:19]
	v_cmp_lt_u32_e32 vcc, v12, v24
	s_mov_b64 s[26:27], -1
	s_waitcnt lgkmcnt(0)
	v_cndmask_b32_e64 v8, v5, v23, s[18:19]
	v_cndmask_b32_e64 v28, v4, v25, s[18:19]
	;; [unrolled: 1-line block ×4, first 2 shown]
	s_mov_b64 s[24:25], -1
	s_and_saveexec_b64 s[28:29], vcc
	s_cbranch_execz .LBB1020_73
; %bb.66:
	v_cmp_lt_u32_e64 s[24:25], v13, v1
	s_xor_b64 s[0:1], s[16:17], -1
	s_and_b64 s[0:1], s[24:25], s[0:1]
	s_and_saveexec_b64 s[30:31], s[0:1]
	s_cbranch_execz .LBB1020_72
; %bb.67:
	v_mov_b64_e32 v[6:7], s[6:7]
	v_mad_u64_u32 v[4:5], s[0:1], v28, s4, v[6:7]
	v_mul_lo_u32 v10, v28, s5
	v_mul_lo_u32 v11, v8, s4
	v_add3_u32 v5, v11, v5, v10
	v_mad_u64_u32 v[6:7], s[0:1], v29, s4, v[6:7]
	v_mul_lo_u32 v10, v29, s5
	v_mul_lo_u32 v11, v9, s4
	v_add3_u32 v7, v11, v7, v10
	s_mov_b64 s[34:35], 0
	s_mov_b64 s[42:43], s[4:5]
                                        ; implicit-def: $sgpr36_sgpr37
                                        ; implicit-def: $sgpr38_sgpr39
                                        ; implicit-def: $sgpr0_sgpr1
                                        ; implicit-def: $sgpr40_sgpr41
                                        ; implicit-def: $sgpr44_sgpr45
	s_branch .LBB1020_69
.LBB1020_68:                            ;   in Loop: Header=BB1020_69 Depth=1
	s_or_b64 exec, exec, s[46:47]
	s_and_b64 s[46:47], exec, s[38:39]
	s_or_b64 s[34:35], s[46:47], s[34:35]
	s_andn2_b64 s[44:45], s[44:45], exec
	s_and_b64 s[46:47], s[40:41], exec
	s_or_b64 s[44:45], s[44:45], s[46:47]
	s_andn2_b64 s[36:37], s[36:37], exec
	s_and_b64 s[46:47], s[0:1], exec
	s_or_b64 s[36:37], s[36:37], s[46:47]
	s_andn2_b64 exec, exec, s[34:35]
	s_cbranch_execz .LBB1020_71
.LBB1020_69:                            ; =>This Inner Loop Header: Depth=1
	global_load_ubyte v10, v[4:5], off
	global_load_ubyte v11, v[6:7], off
	s_andn2_b64 s[46:47], s[0:1], exec
	s_andn2_b64 s[40:41], s[40:41], exec
	s_or_b64 s[38:39], s[38:39], exec
	s_waitcnt vmcnt(1)
	v_cmp_eq_u16_e32 vcc, 0, v10
	s_waitcnt vmcnt(0)
	v_cmp_ne_u16_e64 s[0:1], 0, v11
	s_or_b64 s[50:51], vcc, s[0:1]
	s_and_b64 s[48:49], vcc, s[0:1]
	s_xor_b64 s[52:53], vcc, s[0:1]
	s_and_b64 s[0:1], s[50:51], s[44:45]
	s_or_b64 s[48:49], s[48:49], s[0:1]
	s_and_b64 s[0:1], s[48:49], exec
	s_or_b64 s[0:1], s[46:47], s[0:1]
	s_and_saveexec_b64 s[46:47], s[52:53]
	s_cbranch_execz .LBB1020_68
; %bb.70:                               ;   in Loop: Header=BB1020_69 Depth=1
	s_add_u32 s42, s42, -1
	s_addc_u32 s43, s43, -1
	s_cmp_eq_u64 s[42:43], 0
	s_cselect_b64 s[44:45], -1, 0
	s_andn2_b64 s[40:41], s[40:41], exec
	s_and_b64 s[48:49], s[48:49], exec
	s_andn2_b64 s[38:39], s[38:39], exec
	s_and_b64 s[44:45], s[44:45], exec
	v_lshl_add_u64 v[4:5], v[4:5], 0, 1
	v_lshl_add_u64 v[6:7], v[6:7], 0, 1
	s_or_b64 s[40:41], s[40:41], s[48:49]
	s_andn2_b64 s[0:1], s[0:1], exec
	s_or_b64 s[38:39], s[38:39], s[44:45]
                                        ; implicit-def: $sgpr44_sgpr45
	s_branch .LBB1020_68
.LBB1020_71:
	s_or_b64 exec, exec, s[34:35]
	s_xor_b64 s[0:1], s[36:37], -1
	s_andn2_b64 s[24:25], s[24:25], exec
	s_and_b64 s[0:1], s[0:1], exec
	s_or_b64 s[24:25], s[24:25], s[0:1]
.LBB1020_72:
	s_or_b64 exec, exec, s[30:31]
	s_orn2_b64 s[24:25], s[24:25], exec
.LBB1020_73:
	s_or_b64 exec, exec, s[28:29]
	v_cndmask_b32_e64 v4, v12, v13, s[24:25]
	v_cndmask_b32_e64 v5, v24, v1, s[24:25]
	v_add_u32_e32 v6, 1, v4
	v_add_u32_e32 v4, -1, v5
	v_min_u32_e32 v4, v6, v4
	v_lshlrev_b32_e32 v4, 3, v4
	ds_read_b64 v[4:5], v4
	v_cndmask_b32_e64 v14, v6, v12, s[24:25]
	v_cndmask_b32_e64 v15, v13, v6, s[24:25]
	v_cmp_lt_u32_e32 vcc, v14, v24
	s_waitcnt lgkmcnt(0)
	v_cndmask_b32_e64 v10, v5, v8, s[24:25]
	v_cndmask_b32_e64 v30, v4, v28, s[24:25]
	;; [unrolled: 1-line block ×4, first 2 shown]
	s_and_saveexec_b64 s[28:29], vcc
	s_cbranch_execz .LBB1020_81
; %bb.74:
	v_cmp_lt_u32_e64 s[26:27], v15, v1
	s_xor_b64 s[0:1], s[16:17], -1
	s_and_b64 s[0:1], s[26:27], s[0:1]
	s_and_saveexec_b64 s[30:31], s[0:1]
	s_cbranch_execz .LBB1020_80
; %bb.75:
	v_mov_b64_e32 v[6:7], s[6:7]
	v_mad_u64_u32 v[4:5], s[0:1], v30, s4, v[6:7]
	v_mul_lo_u32 v12, v30, s5
	v_mul_lo_u32 v13, v10, s4
	v_add3_u32 v5, v13, v5, v12
	v_mad_u64_u32 v[6:7], s[0:1], v31, s4, v[6:7]
	v_mul_lo_u32 v12, v31, s5
	v_mul_lo_u32 v13, v11, s4
	v_add3_u32 v7, v13, v7, v12
	s_mov_b64 s[34:35], 0
	s_mov_b64 s[42:43], s[4:5]
                                        ; implicit-def: $sgpr36_sgpr37
                                        ; implicit-def: $sgpr38_sgpr39
                                        ; implicit-def: $sgpr0_sgpr1
                                        ; implicit-def: $sgpr40_sgpr41
                                        ; implicit-def: $sgpr44_sgpr45
	s_branch .LBB1020_77
.LBB1020_76:                            ;   in Loop: Header=BB1020_77 Depth=1
	s_or_b64 exec, exec, s[46:47]
	s_and_b64 s[46:47], exec, s[38:39]
	s_or_b64 s[34:35], s[46:47], s[34:35]
	s_andn2_b64 s[44:45], s[44:45], exec
	s_and_b64 s[46:47], s[40:41], exec
	s_or_b64 s[44:45], s[44:45], s[46:47]
	s_andn2_b64 s[36:37], s[36:37], exec
	s_and_b64 s[46:47], s[0:1], exec
	s_or_b64 s[36:37], s[36:37], s[46:47]
	s_andn2_b64 exec, exec, s[34:35]
	s_cbranch_execz .LBB1020_79
.LBB1020_77:                            ; =>This Inner Loop Header: Depth=1
	global_load_ubyte v12, v[4:5], off
	global_load_ubyte v13, v[6:7], off
	s_andn2_b64 s[46:47], s[0:1], exec
	s_andn2_b64 s[40:41], s[40:41], exec
	s_or_b64 s[38:39], s[38:39], exec
	s_waitcnt vmcnt(1)
	v_cmp_eq_u16_e32 vcc, 0, v12
	s_waitcnt vmcnt(0)
	v_cmp_ne_u16_e64 s[0:1], 0, v13
	s_or_b64 s[50:51], vcc, s[0:1]
	s_and_b64 s[48:49], vcc, s[0:1]
	s_xor_b64 s[52:53], vcc, s[0:1]
	s_and_b64 s[0:1], s[50:51], s[44:45]
	s_or_b64 s[48:49], s[48:49], s[0:1]
	s_and_b64 s[0:1], s[48:49], exec
	s_or_b64 s[0:1], s[46:47], s[0:1]
	s_and_saveexec_b64 s[46:47], s[52:53]
	s_cbranch_execz .LBB1020_76
; %bb.78:                               ;   in Loop: Header=BB1020_77 Depth=1
	s_add_u32 s42, s42, -1
	s_addc_u32 s43, s43, -1
	s_cmp_eq_u64 s[42:43], 0
	s_cselect_b64 s[44:45], -1, 0
	s_andn2_b64 s[40:41], s[40:41], exec
	s_and_b64 s[48:49], s[48:49], exec
	s_andn2_b64 s[38:39], s[38:39], exec
	s_and_b64 s[44:45], s[44:45], exec
	v_lshl_add_u64 v[4:5], v[4:5], 0, 1
	v_lshl_add_u64 v[6:7], v[6:7], 0, 1
	s_or_b64 s[40:41], s[40:41], s[48:49]
	s_andn2_b64 s[0:1], s[0:1], exec
	s_or_b64 s[38:39], s[38:39], s[44:45]
                                        ; implicit-def: $sgpr44_sgpr45
	s_branch .LBB1020_76
.LBB1020_79:
	s_or_b64 exec, exec, s[34:35]
	s_xor_b64 s[0:1], s[36:37], -1
	s_andn2_b64 s[26:27], s[26:27], exec
	s_and_b64 s[0:1], s[0:1], exec
	s_or_b64 s[26:27], s[26:27], s[0:1]
.LBB1020_80:
	s_or_b64 exec, exec, s[30:31]
	s_orn2_b64 s[26:27], s[26:27], exec
.LBB1020_81:
	s_or_b64 exec, exec, s[28:29]
	v_cndmask_b32_e64 v4, v14, v15, s[26:27]
	v_cndmask_b32_e64 v5, v24, v1, s[26:27]
	v_add_u32_e32 v6, 1, v4
	v_add_u32_e32 v4, -1, v5
	v_min_u32_e32 v4, v6, v4
	v_lshlrev_b32_e32 v4, 3, v4
	ds_read_b64 v[4:5], v4
	v_cndmask_b32_e64 v36, v6, v14, s[26:27]
	v_cndmask_b32_e64 v37, v15, v6, s[26:27]
	v_cmp_lt_u32_e32 vcc, v36, v24
	s_mov_b64 s[30:31], -1
	s_waitcnt lgkmcnt(0)
	v_cndmask_b32_e64 v12, v5, v10, s[26:27]
	v_cndmask_b32_e64 v32, v4, v30, s[26:27]
	;; [unrolled: 1-line block ×4, first 2 shown]
	s_mov_b64 s[28:29], -1
	s_and_saveexec_b64 s[34:35], vcc
	s_cbranch_execz .LBB1020_89
; %bb.82:
	v_cmp_lt_u32_e64 s[28:29], v37, v1
	s_xor_b64 s[0:1], s[16:17], -1
	s_and_b64 s[0:1], s[28:29], s[0:1]
	s_and_saveexec_b64 s[36:37], s[0:1]
	s_cbranch_execz .LBB1020_88
; %bb.83:
	v_mov_b64_e32 v[6:7], s[6:7]
	v_mad_u64_u32 v[4:5], s[0:1], v32, s4, v[6:7]
	v_mul_lo_u32 v14, v32, s5
	v_mul_lo_u32 v15, v12, s4
	v_add3_u32 v5, v15, v5, v14
	v_mad_u64_u32 v[6:7], s[0:1], v33, s4, v[6:7]
	v_mul_lo_u32 v14, v33, s5
	v_mul_lo_u32 v15, v13, s4
	v_add3_u32 v7, v15, v7, v14
	s_mov_b64 s[38:39], 0
	s_mov_b64 s[46:47], s[4:5]
                                        ; implicit-def: $sgpr40_sgpr41
                                        ; implicit-def: $sgpr42_sgpr43
                                        ; implicit-def: $sgpr0_sgpr1
                                        ; implicit-def: $sgpr44_sgpr45
                                        ; implicit-def: $sgpr48_sgpr49
	s_branch .LBB1020_85
.LBB1020_84:                            ;   in Loop: Header=BB1020_85 Depth=1
	s_or_b64 exec, exec, s[50:51]
	s_and_b64 s[50:51], exec, s[42:43]
	s_or_b64 s[38:39], s[50:51], s[38:39]
	s_andn2_b64 s[48:49], s[48:49], exec
	s_and_b64 s[50:51], s[44:45], exec
	s_or_b64 s[48:49], s[48:49], s[50:51]
	s_andn2_b64 s[40:41], s[40:41], exec
	s_and_b64 s[50:51], s[0:1], exec
	s_or_b64 s[40:41], s[40:41], s[50:51]
	s_andn2_b64 exec, exec, s[38:39]
	s_cbranch_execz .LBB1020_87
.LBB1020_85:                            ; =>This Inner Loop Header: Depth=1
	global_load_ubyte v14, v[4:5], off
	global_load_ubyte v15, v[6:7], off
	s_andn2_b64 s[50:51], s[0:1], exec
	s_andn2_b64 s[44:45], s[44:45], exec
	s_or_b64 s[42:43], s[42:43], exec
	s_waitcnt vmcnt(1)
	v_cmp_eq_u16_e32 vcc, 0, v14
	s_waitcnt vmcnt(0)
	v_cmp_ne_u16_e64 s[0:1], 0, v15
	s_or_b64 s[54:55], vcc, s[0:1]
	s_and_b64 s[52:53], vcc, s[0:1]
	s_xor_b64 s[56:57], vcc, s[0:1]
	s_and_b64 s[0:1], s[54:55], s[48:49]
	s_or_b64 s[52:53], s[52:53], s[0:1]
	s_and_b64 s[0:1], s[52:53], exec
	s_or_b64 s[0:1], s[50:51], s[0:1]
	s_and_saveexec_b64 s[50:51], s[56:57]
	s_cbranch_execz .LBB1020_84
; %bb.86:                               ;   in Loop: Header=BB1020_85 Depth=1
	s_add_u32 s46, s46, -1
	s_addc_u32 s47, s47, -1
	s_cmp_eq_u64 s[46:47], 0
	s_cselect_b64 s[48:49], -1, 0
	s_andn2_b64 s[44:45], s[44:45], exec
	s_and_b64 s[52:53], s[52:53], exec
	s_andn2_b64 s[42:43], s[42:43], exec
	s_and_b64 s[48:49], s[48:49], exec
	v_lshl_add_u64 v[4:5], v[4:5], 0, 1
	v_lshl_add_u64 v[6:7], v[6:7], 0, 1
	s_or_b64 s[44:45], s[44:45], s[52:53]
	s_andn2_b64 s[0:1], s[0:1], exec
	s_or_b64 s[42:43], s[42:43], s[48:49]
                                        ; implicit-def: $sgpr48_sgpr49
	s_branch .LBB1020_84
.LBB1020_87:
	s_or_b64 exec, exec, s[38:39]
	s_xor_b64 s[0:1], s[40:41], -1
	s_andn2_b64 s[28:29], s[28:29], exec
	s_and_b64 s[0:1], s[0:1], exec
	s_or_b64 s[28:29], s[28:29], s[0:1]
.LBB1020_88:
	s_or_b64 exec, exec, s[36:37]
	s_orn2_b64 s[28:29], s[28:29], exec
.LBB1020_89:
	s_or_b64 exec, exec, s[34:35]
	v_cndmask_b32_e64 v4, v36, v37, s[28:29]
	v_cndmask_b32_e64 v5, v24, v1, s[28:29]
	v_add_u32_e32 v6, 1, v4
	v_add_u32_e32 v4, -1, v5
	v_min_u32_e32 v4, v6, v4
	v_lshlrev_b32_e32 v4, 3, v4
	ds_read_b64 v[4:5], v4
	v_cndmask_b32_e64 v41, v6, v36, s[28:29]
	v_cndmask_b32_e64 v40, v37, v6, s[28:29]
	v_cmp_lt_u32_e32 vcc, v41, v24
	s_waitcnt lgkmcnt(0)
	v_cndmask_b32_e64 v14, v5, v12, s[28:29]
	v_cndmask_b32_e64 v34, v4, v32, s[28:29]
	;; [unrolled: 1-line block ×4, first 2 shown]
	s_and_saveexec_b64 s[34:35], vcc
	s_cbranch_execz .LBB1020_97
; %bb.90:
	v_cmp_lt_u32_e64 s[30:31], v40, v1
	s_xor_b64 s[0:1], s[16:17], -1
	s_and_b64 s[0:1], s[30:31], s[0:1]
	s_and_saveexec_b64 s[36:37], s[0:1]
	s_cbranch_execz .LBB1020_96
; %bb.91:
	v_mov_b64_e32 v[6:7], s[6:7]
	v_mad_u64_u32 v[4:5], s[0:1], v34, s4, v[6:7]
	v_mul_lo_u32 v36, v34, s5
	v_mul_lo_u32 v37, v14, s4
	v_add3_u32 v5, v37, v5, v36
	v_mad_u64_u32 v[6:7], s[0:1], v35, s4, v[6:7]
	v_mul_lo_u32 v36, v35, s5
	v_mul_lo_u32 v37, v15, s4
	v_add3_u32 v7, v37, v7, v36
	s_mov_b64 s[38:39], 0
	s_mov_b64 s[46:47], s[4:5]
                                        ; implicit-def: $sgpr40_sgpr41
                                        ; implicit-def: $sgpr42_sgpr43
                                        ; implicit-def: $sgpr0_sgpr1
                                        ; implicit-def: $sgpr44_sgpr45
                                        ; implicit-def: $sgpr48_sgpr49
	s_branch .LBB1020_93
.LBB1020_92:                            ;   in Loop: Header=BB1020_93 Depth=1
	s_or_b64 exec, exec, s[50:51]
	s_and_b64 s[50:51], exec, s[42:43]
	s_or_b64 s[38:39], s[50:51], s[38:39]
	s_andn2_b64 s[48:49], s[48:49], exec
	s_and_b64 s[50:51], s[44:45], exec
	s_or_b64 s[48:49], s[48:49], s[50:51]
	s_andn2_b64 s[40:41], s[40:41], exec
	s_and_b64 s[50:51], s[0:1], exec
	s_or_b64 s[40:41], s[40:41], s[50:51]
	s_andn2_b64 exec, exec, s[38:39]
	s_cbranch_execz .LBB1020_95
.LBB1020_93:                            ; =>This Inner Loop Header: Depth=1
	global_load_ubyte v36, v[4:5], off
	global_load_ubyte v37, v[6:7], off
	s_andn2_b64 s[50:51], s[0:1], exec
	s_andn2_b64 s[44:45], s[44:45], exec
	s_or_b64 s[42:43], s[42:43], exec
	s_waitcnt vmcnt(1)
	v_cmp_eq_u16_e32 vcc, 0, v36
	s_waitcnt vmcnt(0)
	v_cmp_ne_u16_e64 s[0:1], 0, v37
	s_or_b64 s[54:55], vcc, s[0:1]
	s_and_b64 s[52:53], vcc, s[0:1]
	s_xor_b64 s[56:57], vcc, s[0:1]
	s_and_b64 s[0:1], s[54:55], s[48:49]
	s_or_b64 s[52:53], s[52:53], s[0:1]
	s_and_b64 s[0:1], s[52:53], exec
	s_or_b64 s[0:1], s[50:51], s[0:1]
	s_and_saveexec_b64 s[50:51], s[56:57]
	s_cbranch_execz .LBB1020_92
; %bb.94:                               ;   in Loop: Header=BB1020_93 Depth=1
	s_add_u32 s46, s46, -1
	s_addc_u32 s47, s47, -1
	s_cmp_eq_u64 s[46:47], 0
	s_cselect_b64 s[48:49], -1, 0
	s_andn2_b64 s[44:45], s[44:45], exec
	s_and_b64 s[52:53], s[52:53], exec
	s_andn2_b64 s[42:43], s[42:43], exec
	s_and_b64 s[48:49], s[48:49], exec
	v_lshl_add_u64 v[4:5], v[4:5], 0, 1
	v_lshl_add_u64 v[6:7], v[6:7], 0, 1
	s_or_b64 s[44:45], s[44:45], s[52:53]
	s_andn2_b64 s[0:1], s[0:1], exec
	s_or_b64 s[42:43], s[42:43], s[48:49]
                                        ; implicit-def: $sgpr48_sgpr49
	s_branch .LBB1020_92
.LBB1020_95:
	s_or_b64 exec, exec, s[38:39]
	s_xor_b64 s[0:1], s[40:41], -1
	s_andn2_b64 s[30:31], s[30:31], exec
	s_and_b64 s[0:1], s[0:1], exec
	s_or_b64 s[30:31], s[30:31], s[0:1]
.LBB1020_96:
	s_or_b64 exec, exec, s[36:37]
	s_orn2_b64 s[30:31], s[30:31], exec
.LBB1020_97:
	s_or_b64 exec, exec, s[34:35]
	v_cndmask_b32_e64 v4, v41, v40, s[30:31]
	v_cndmask_b32_e64 v5, v24, v1, s[30:31]
	v_add_u32_e32 v4, 1, v4
	v_add_u32_e32 v5, -1, v5
	v_min_u32_e32 v5, v4, v5
	v_lshlrev_b32_e32 v5, 3, v5
	ds_read_b64 v[6:7], v5
	v_cndmask_b32_e64 v5, v4, v41, s[30:31]
	v_cmp_lt_u32_e32 vcc, v5, v24
	s_mov_b64 s[0:1], -1
	s_waitcnt lgkmcnt(0)
	v_cndmask_b32_e64 v36, v7, v14, s[30:31]
	v_cndmask_b32_e64 v37, v6, v34, s[30:31]
	;; [unrolled: 1-line block ×4, first 2 shown]
	s_and_saveexec_b64 s[34:35], vcc
	s_cbranch_execz .LBB1020_105
; %bb.98:
	v_cndmask_b32_e64 v4, v40, v4, s[30:31]
	v_cmp_lt_u32_e64 s[36:37], v4, v1
	s_xor_b64 s[0:1], s[16:17], -1
	s_and_b64 s[0:1], s[36:37], s[0:1]
	s_and_saveexec_b64 s[16:17], s[0:1]
	s_cbranch_execz .LBB1020_104
; %bb.99:
	v_mov_b64_e32 v[6:7], s[6:7]
	v_mad_u64_u32 v[4:5], s[0:1], v37, s4, v[6:7]
	v_mul_lo_u32 v1, v37, s5
	v_mul_lo_u32 v24, v36, s4
	v_add3_u32 v5, v24, v5, v1
	v_mad_u64_u32 v[6:7], s[0:1], v39, s4, v[6:7]
	v_mul_lo_u32 v1, v39, s5
	v_mul_lo_u32 v24, v38, s4
	v_add3_u32 v7, v24, v7, v1
	s_mov_b64 s[6:7], 0
                                        ; implicit-def: $sgpr38_sgpr39
                                        ; implicit-def: $sgpr40_sgpr41
                                        ; implicit-def: $sgpr0_sgpr1
                                        ; implicit-def: $sgpr42_sgpr43
                                        ; implicit-def: $sgpr44_sgpr45
	s_branch .LBB1020_101
.LBB1020_100:                           ;   in Loop: Header=BB1020_101 Depth=1
	s_or_b64 exec, exec, s[46:47]
	s_and_b64 s[46:47], exec, s[40:41]
	s_or_b64 s[6:7], s[46:47], s[6:7]
	s_andn2_b64 s[44:45], s[44:45], exec
	s_and_b64 s[46:47], s[42:43], exec
	s_or_b64 s[44:45], s[44:45], s[46:47]
	s_andn2_b64 s[38:39], s[38:39], exec
	s_and_b64 s[46:47], s[0:1], exec
	s_or_b64 s[38:39], s[38:39], s[46:47]
	s_andn2_b64 exec, exec, s[6:7]
	s_cbranch_execz .LBB1020_103
.LBB1020_101:                           ; =>This Inner Loop Header: Depth=1
	global_load_ubyte v1, v[4:5], off
	global_load_ubyte v24, v[6:7], off
	s_andn2_b64 s[46:47], s[0:1], exec
	s_andn2_b64 s[42:43], s[42:43], exec
	s_or_b64 s[40:41], s[40:41], exec
	s_waitcnt vmcnt(1)
	v_cmp_eq_u16_e32 vcc, 0, v1
	s_waitcnt vmcnt(0)
	v_cmp_ne_u16_e64 s[0:1], 0, v24
	s_or_b64 s[50:51], vcc, s[0:1]
	s_and_b64 s[48:49], vcc, s[0:1]
	s_xor_b64 s[52:53], vcc, s[0:1]
	s_and_b64 s[0:1], s[50:51], s[44:45]
	s_or_b64 s[48:49], s[48:49], s[0:1]
	s_and_b64 s[0:1], s[48:49], exec
	s_or_b64 s[0:1], s[46:47], s[0:1]
	s_and_saveexec_b64 s[46:47], s[52:53]
	s_cbranch_execz .LBB1020_100
; %bb.102:                              ;   in Loop: Header=BB1020_101 Depth=1
	s_add_u32 s4, s4, -1
	s_addc_u32 s5, s5, -1
	s_cmp_eq_u64 s[4:5], 0
	s_cselect_b64 s[44:45], -1, 0
	s_andn2_b64 s[42:43], s[42:43], exec
	s_and_b64 s[48:49], s[48:49], exec
	s_andn2_b64 s[40:41], s[40:41], exec
	s_and_b64 s[44:45], s[44:45], exec
	v_lshl_add_u64 v[4:5], v[4:5], 0, 1
	v_lshl_add_u64 v[6:7], v[6:7], 0, 1
	s_or_b64 s[42:43], s[42:43], s[48:49]
	s_andn2_b64 s[0:1], s[0:1], exec
	s_or_b64 s[40:41], s[40:41], s[44:45]
                                        ; implicit-def: $sgpr44_sgpr45
	s_branch .LBB1020_100
.LBB1020_103:
	s_or_b64 exec, exec, s[6:7]
	s_xor_b64 s[0:1], s[38:39], -1
	s_andn2_b64 s[4:5], s[36:37], exec
	s_and_b64 s[0:1], s[0:1], exec
	s_or_b64 s[36:37], s[4:5], s[0:1]
.LBB1020_104:
	s_or_b64 exec, exec, s[16:17]
	s_orn2_b64 s[0:1], s[36:37], exec
.LBB1020_105:
	s_or_b64 exec, exec, s[34:35]
	v_cndmask_b32_e64 v15, v14, v15, s[30:31]
	v_cndmask_b32_e64 v14, v34, v35, s[30:31]
	;; [unrolled: 1-line block ×16, first 2 shown]
.LBB1020_106:
	s_or_b64 exec, exec, s[2:3]
	v_lshrrev_b32_e32 v1, 2, v0
	v_lshlrev_b32_e32 v19, 3, v18
	v_lshl_add_u32 v19, v1, 3, v19
	v_and_b32_e32 v1, 24, v1
	v_or_b32_e32 v25, 0x80, v0
	v_add_u32_e32 v26, v18, v1
	v_lshrrev_b32_e32 v1, 2, v25
	v_and_b32_e32 v1, 56, v1
	v_or_b32_e32 v24, 0x100, v0
	s_barrier
	s_barrier
	ds_write2_b64 v19, v[2:3], v[4:5] offset1:1
	ds_write2_b64 v19, v[6:7], v[8:9] offset0:2 offset1:3
	ds_write2_b64 v19, v[10:11], v[12:13] offset0:4 offset1:5
	;; [unrolled: 1-line block ×3, first 2 shown]
	v_add_u32_e32 v6, v18, v1
	v_lshrrev_b32_e32 v1, 2, v24
	v_and_b32_e32 v1, 0x58, v1
	v_or_b32_e32 v23, 0x180, v0
	v_add_u32_e32 v7, v18, v1
	v_lshrrev_b32_e32 v1, 2, v23
	v_and_b32_e32 v1, 0x78, v1
	v_or_b32_e32 v22, 0x200, v0
	;; [unrolled: 4-line block ×4, first 2 shown]
	v_add_u32_e32 v27, v18, v1
	v_lshrrev_b32_e32 v1, 2, v20
	v_and_b32_e32 v1, 0xd8, v1
	s_lshl_b64 s[0:1], s[20:21], 3
	v_add_u32_e32 v28, v18, v1
	v_or_b32_e32 v1, 0x380, v0
	s_add_u32 s0, s14, s0
	v_lshrrev_b32_e32 v2, 2, v1
	s_addc_u32 s1, s15, s1
	v_and_b32_e32 v2, 0xf8, v2
	v_mov_b32_e32 v19, 0
	v_add_u32_e32 v29, v18, v2
	v_lshl_add_u64 v[2:3], s[0:1], 0, v[18:19]
	s_and_b64 vcc, exec, s[10:11]
	s_waitcnt lgkmcnt(0)
	s_cbranch_vccz .LBB1020_108
; %bb.107:
	s_barrier
	ds_read_b64 v[10:11], v26
	ds_read_b64 v[12:13], v6 offset:1024
	ds_read_b64 v[14:15], v7 offset:2048
	;; [unrolled: 1-line block ×7, first 2 shown]
	s_waitcnt lgkmcnt(7)
	global_store_dwordx2 v[2:3], v[10:11], off
	s_waitcnt lgkmcnt(6)
	global_store_dwordx2 v[2:3], v[12:13], off offset:1024
	s_waitcnt lgkmcnt(5)
	global_store_dwordx2 v[2:3], v[14:15], off offset:2048
	;; [unrolled: 2-line block ×3, first 2 shown]
	v_add_co_u32_e32 v10, vcc, 0x1000, v2
	s_nop 1
	v_addc_co_u32_e32 v11, vcc, 0, v3, vcc
	s_waitcnt lgkmcnt(3)
	global_store_dwordx2 v[10:11], v[18:19], off
	s_waitcnt lgkmcnt(2)
	global_store_dwordx2 v[10:11], v[30:31], off offset:1024
	s_waitcnt lgkmcnt(1)
	global_store_dwordx2 v[10:11], v[32:33], off offset:2048
	s_mov_b64 s[0:1], -1
	s_cbranch_execz .LBB1020_109
	s_branch .LBB1020_118
.LBB1020_108:
	s_mov_b64 s[0:1], 0
                                        ; implicit-def: $vgpr4_vgpr5
.LBB1020_109:
	s_barrier
	s_waitcnt lgkmcnt(0)
	ds_read_b64 v[16:17], v6 offset:1024
	ds_read_b64 v[14:15], v7 offset:2048
	;; [unrolled: 1-line block ×7, first 2 shown]
	s_sub_i32 s2, s8, s20
	v_cmp_gt_u32_e32 vcc, s2, v0
	s_and_saveexec_b64 s[0:1], vcc
	s_cbranch_execnz .LBB1020_121
; %bb.110:
	s_or_b64 exec, exec, s[0:1]
	v_cmp_gt_u32_e32 vcc, s2, v25
	s_and_saveexec_b64 s[0:1], vcc
	s_cbranch_execnz .LBB1020_122
.LBB1020_111:
	s_or_b64 exec, exec, s[0:1]
	v_cmp_gt_u32_e32 vcc, s2, v24
	s_and_saveexec_b64 s[0:1], vcc
	s_cbranch_execnz .LBB1020_123
.LBB1020_112:
	s_or_b64 exec, exec, s[0:1]
	v_cmp_gt_u32_e32 vcc, s2, v23
	s_and_saveexec_b64 s[0:1], vcc
	s_cbranch_execnz .LBB1020_124
.LBB1020_113:
	s_or_b64 exec, exec, s[0:1]
	v_cmp_gt_u32_e32 vcc, s2, v22
	s_and_saveexec_b64 s[0:1], vcc
	s_cbranch_execnz .LBB1020_125
.LBB1020_114:
	s_or_b64 exec, exec, s[0:1]
	v_cmp_gt_u32_e32 vcc, s2, v21
	s_and_saveexec_b64 s[0:1], vcc
	s_cbranch_execnz .LBB1020_126
.LBB1020_115:
	s_or_b64 exec, exec, s[0:1]
	v_cmp_gt_u32_e32 vcc, s2, v20
	s_and_saveexec_b64 s[0:1], vcc
	s_cbranch_execz .LBB1020_117
.LBB1020_116:
	s_waitcnt lgkmcnt(2)
	v_add_co_u32_e32 v8, vcc, 0x1000, v2
	s_nop 1
	v_addc_co_u32_e32 v9, vcc, 0, v3, vcc
	s_waitcnt lgkmcnt(1)
	global_store_dwordx2 v[8:9], v[6:7], off offset:2048
.LBB1020_117:
	s_or_b64 exec, exec, s[0:1]
	v_cmp_gt_u32_e64 s[0:1], s2, v1
.LBB1020_118:
	s_and_saveexec_b64 s[2:3], s[0:1]
	s_cbranch_execz .LBB1020_120
; %bb.119:
	v_add_co_u32_e32 v0, vcc, 0x1000, v2
	s_nop 1
	v_addc_co_u32_e32 v1, vcc, 0, v3, vcc
	s_waitcnt lgkmcnt(0)
	global_store_dwordx2 v[0:1], v[4:5], off offset:3072
.LBB1020_120:
	s_endpgm
.LBB1020_121:
	ds_read_b64 v[18:19], v26
	s_waitcnt lgkmcnt(0)
	global_store_dwordx2 v[2:3], v[18:19], off
	s_or_b64 exec, exec, s[0:1]
	v_cmp_gt_u32_e32 vcc, s2, v25
	s_and_saveexec_b64 s[0:1], vcc
	s_cbranch_execz .LBB1020_111
.LBB1020_122:
	s_waitcnt lgkmcnt(6)
	global_store_dwordx2 v[2:3], v[16:17], off offset:1024
	s_or_b64 exec, exec, s[0:1]
	v_cmp_gt_u32_e32 vcc, s2, v24
	s_and_saveexec_b64 s[0:1], vcc
	s_cbranch_execz .LBB1020_112
.LBB1020_123:
	s_waitcnt lgkmcnt(5)
	global_store_dwordx2 v[2:3], v[14:15], off offset:2048
	s_or_b64 exec, exec, s[0:1]
	v_cmp_gt_u32_e32 vcc, s2, v23
	s_and_saveexec_b64 s[0:1], vcc
	s_cbranch_execz .LBB1020_113
.LBB1020_124:
	s_waitcnt lgkmcnt(4)
	global_store_dwordx2 v[2:3], v[12:13], off offset:3072
	s_or_b64 exec, exec, s[0:1]
	v_cmp_gt_u32_e32 vcc, s2, v22
	s_and_saveexec_b64 s[0:1], vcc
	s_cbranch_execz .LBB1020_114
.LBB1020_125:
	s_waitcnt lgkmcnt(4)
	v_add_co_u32_e32 v12, vcc, 0x1000, v2
	s_nop 1
	v_addc_co_u32_e32 v13, vcc, 0, v3, vcc
	s_waitcnt lgkmcnt(3)
	global_store_dwordx2 v[12:13], v[10:11], off
	s_or_b64 exec, exec, s[0:1]
	v_cmp_gt_u32_e32 vcc, s2, v21
	s_and_saveexec_b64 s[0:1], vcc
	s_cbranch_execz .LBB1020_115
.LBB1020_126:
	s_waitcnt lgkmcnt(3)
	v_add_co_u32_e32 v10, vcc, 0x1000, v2
	s_nop 1
	v_addc_co_u32_e32 v11, vcc, 0, v3, vcc
	s_waitcnt lgkmcnt(2)
	global_store_dwordx2 v[10:11], v[8:9], off offset:1024
	s_or_b64 exec, exec, s[0:1]
	v_cmp_gt_u32_e32 vcc, s2, v20
	s_and_saveexec_b64 s[0:1], vcc
	s_cbranch_execnz .LBB1020_116
	s_branch .LBB1020_117
	.section	.rodata,"a",@progbits
	.p2align	6, 0x0
	.amdhsa_kernel _ZN7rocprim17ROCPRIM_400000_NS6detail17trampoline_kernelINS0_14default_configENS1_38merge_sort_block_merge_config_selectorIlNS0_10empty_typeEEEZZNS1_27merge_sort_block_merge_implIS3_PlPS5_mZN2at6native12_GLOBAL__N_124unique_dim_cuda_templateIbEESt5tupleIJNSA_6TensorESF_SF_EERKSF_lbbbEUlllE_EE10hipError_tT0_T1_T2_jT3_P12ihipStream_tbPNSt15iterator_traitsISL_E10value_typeEPNSR_ISM_E10value_typeEPSN_NS1_7vsmem_tEENKUlT_SL_SM_SN_E_clIS8_S8_S9_S9_EESK_S10_SL_SM_SN_EUlS10_E0_NS1_11comp_targetILNS1_3genE5ELNS1_11target_archE942ELNS1_3gpuE9ELNS1_3repE0EEENS1_38merge_mergepath_config_static_selectorELNS0_4arch9wavefront6targetE1EEEvSM_
		.amdhsa_group_segment_fixed_size 8448
		.amdhsa_private_segment_fixed_size 0
		.amdhsa_kernarg_size 344
		.amdhsa_user_sgpr_count 2
		.amdhsa_user_sgpr_dispatch_ptr 0
		.amdhsa_user_sgpr_queue_ptr 0
		.amdhsa_user_sgpr_kernarg_segment_ptr 1
		.amdhsa_user_sgpr_dispatch_id 0
		.amdhsa_user_sgpr_kernarg_preload_length 0
		.amdhsa_user_sgpr_kernarg_preload_offset 0
		.amdhsa_user_sgpr_private_segment_size 0
		.amdhsa_uses_dynamic_stack 0
		.amdhsa_enable_private_segment 0
		.amdhsa_system_sgpr_workgroup_id_x 1
		.amdhsa_system_sgpr_workgroup_id_y 1
		.amdhsa_system_sgpr_workgroup_id_z 1
		.amdhsa_system_sgpr_workgroup_info 0
		.amdhsa_system_vgpr_workitem_id 0
		.amdhsa_next_free_vgpr 42
		.amdhsa_next_free_sgpr 58
		.amdhsa_accum_offset 44
		.amdhsa_reserve_vcc 1
		.amdhsa_float_round_mode_32 0
		.amdhsa_float_round_mode_16_64 0
		.amdhsa_float_denorm_mode_32 3
		.amdhsa_float_denorm_mode_16_64 3
		.amdhsa_dx10_clamp 1
		.amdhsa_ieee_mode 1
		.amdhsa_fp16_overflow 0
		.amdhsa_tg_split 0
		.amdhsa_exception_fp_ieee_invalid_op 0
		.amdhsa_exception_fp_denorm_src 0
		.amdhsa_exception_fp_ieee_div_zero 0
		.amdhsa_exception_fp_ieee_overflow 0
		.amdhsa_exception_fp_ieee_underflow 0
		.amdhsa_exception_fp_ieee_inexact 0
		.amdhsa_exception_int_div_zero 0
	.end_amdhsa_kernel
	.section	.text._ZN7rocprim17ROCPRIM_400000_NS6detail17trampoline_kernelINS0_14default_configENS1_38merge_sort_block_merge_config_selectorIlNS0_10empty_typeEEEZZNS1_27merge_sort_block_merge_implIS3_PlPS5_mZN2at6native12_GLOBAL__N_124unique_dim_cuda_templateIbEESt5tupleIJNSA_6TensorESF_SF_EERKSF_lbbbEUlllE_EE10hipError_tT0_T1_T2_jT3_P12ihipStream_tbPNSt15iterator_traitsISL_E10value_typeEPNSR_ISM_E10value_typeEPSN_NS1_7vsmem_tEENKUlT_SL_SM_SN_E_clIS8_S8_S9_S9_EESK_S10_SL_SM_SN_EUlS10_E0_NS1_11comp_targetILNS1_3genE5ELNS1_11target_archE942ELNS1_3gpuE9ELNS1_3repE0EEENS1_38merge_mergepath_config_static_selectorELNS0_4arch9wavefront6targetE1EEEvSM_,"axG",@progbits,_ZN7rocprim17ROCPRIM_400000_NS6detail17trampoline_kernelINS0_14default_configENS1_38merge_sort_block_merge_config_selectorIlNS0_10empty_typeEEEZZNS1_27merge_sort_block_merge_implIS3_PlPS5_mZN2at6native12_GLOBAL__N_124unique_dim_cuda_templateIbEESt5tupleIJNSA_6TensorESF_SF_EERKSF_lbbbEUlllE_EE10hipError_tT0_T1_T2_jT3_P12ihipStream_tbPNSt15iterator_traitsISL_E10value_typeEPNSR_ISM_E10value_typeEPSN_NS1_7vsmem_tEENKUlT_SL_SM_SN_E_clIS8_S8_S9_S9_EESK_S10_SL_SM_SN_EUlS10_E0_NS1_11comp_targetILNS1_3genE5ELNS1_11target_archE942ELNS1_3gpuE9ELNS1_3repE0EEENS1_38merge_mergepath_config_static_selectorELNS0_4arch9wavefront6targetE1EEEvSM_,comdat
.Lfunc_end1020:
	.size	_ZN7rocprim17ROCPRIM_400000_NS6detail17trampoline_kernelINS0_14default_configENS1_38merge_sort_block_merge_config_selectorIlNS0_10empty_typeEEEZZNS1_27merge_sort_block_merge_implIS3_PlPS5_mZN2at6native12_GLOBAL__N_124unique_dim_cuda_templateIbEESt5tupleIJNSA_6TensorESF_SF_EERKSF_lbbbEUlllE_EE10hipError_tT0_T1_T2_jT3_P12ihipStream_tbPNSt15iterator_traitsISL_E10value_typeEPNSR_ISM_E10value_typeEPSN_NS1_7vsmem_tEENKUlT_SL_SM_SN_E_clIS8_S8_S9_S9_EESK_S10_SL_SM_SN_EUlS10_E0_NS1_11comp_targetILNS1_3genE5ELNS1_11target_archE942ELNS1_3gpuE9ELNS1_3repE0EEENS1_38merge_mergepath_config_static_selectorELNS0_4arch9wavefront6targetE1EEEvSM_, .Lfunc_end1020-_ZN7rocprim17ROCPRIM_400000_NS6detail17trampoline_kernelINS0_14default_configENS1_38merge_sort_block_merge_config_selectorIlNS0_10empty_typeEEEZZNS1_27merge_sort_block_merge_implIS3_PlPS5_mZN2at6native12_GLOBAL__N_124unique_dim_cuda_templateIbEESt5tupleIJNSA_6TensorESF_SF_EERKSF_lbbbEUlllE_EE10hipError_tT0_T1_T2_jT3_P12ihipStream_tbPNSt15iterator_traitsISL_E10value_typeEPNSR_ISM_E10value_typeEPSN_NS1_7vsmem_tEENKUlT_SL_SM_SN_E_clIS8_S8_S9_S9_EESK_S10_SL_SM_SN_EUlS10_E0_NS1_11comp_targetILNS1_3genE5ELNS1_11target_archE942ELNS1_3gpuE9ELNS1_3repE0EEENS1_38merge_mergepath_config_static_selectorELNS0_4arch9wavefront6targetE1EEEvSM_
                                        ; -- End function
	.section	.AMDGPU.csdata,"",@progbits
; Kernel info:
; codeLenInByte = 6580
; NumSgprs: 64
; NumVgprs: 42
; NumAgprs: 0
; TotalNumVgprs: 42
; ScratchSize: 0
; MemoryBound: 0
; FloatMode: 240
; IeeeMode: 1
; LDSByteSize: 8448 bytes/workgroup (compile time only)
; SGPRBlocks: 7
; VGPRBlocks: 5
; NumSGPRsForWavesPerEU: 64
; NumVGPRsForWavesPerEU: 42
; AccumOffset: 44
; Occupancy: 4
; WaveLimiterHint : 1
; COMPUTE_PGM_RSRC2:SCRATCH_EN: 0
; COMPUTE_PGM_RSRC2:USER_SGPR: 2
; COMPUTE_PGM_RSRC2:TRAP_HANDLER: 0
; COMPUTE_PGM_RSRC2:TGID_X_EN: 1
; COMPUTE_PGM_RSRC2:TGID_Y_EN: 1
; COMPUTE_PGM_RSRC2:TGID_Z_EN: 1
; COMPUTE_PGM_RSRC2:TIDIG_COMP_CNT: 0
; COMPUTE_PGM_RSRC3_GFX90A:ACCUM_OFFSET: 10
; COMPUTE_PGM_RSRC3_GFX90A:TG_SPLIT: 0
	.section	.text._ZN7rocprim17ROCPRIM_400000_NS6detail17trampoline_kernelINS0_14default_configENS1_38merge_sort_block_merge_config_selectorIlNS0_10empty_typeEEEZZNS1_27merge_sort_block_merge_implIS3_PlPS5_mZN2at6native12_GLOBAL__N_124unique_dim_cuda_templateIbEESt5tupleIJNSA_6TensorESF_SF_EERKSF_lbbbEUlllE_EE10hipError_tT0_T1_T2_jT3_P12ihipStream_tbPNSt15iterator_traitsISL_E10value_typeEPNSR_ISM_E10value_typeEPSN_NS1_7vsmem_tEENKUlT_SL_SM_SN_E_clIS8_S8_S9_S9_EESK_S10_SL_SM_SN_EUlS10_E0_NS1_11comp_targetILNS1_3genE4ELNS1_11target_archE910ELNS1_3gpuE8ELNS1_3repE0EEENS1_38merge_mergepath_config_static_selectorELNS0_4arch9wavefront6targetE1EEEvSM_,"axG",@progbits,_ZN7rocprim17ROCPRIM_400000_NS6detail17trampoline_kernelINS0_14default_configENS1_38merge_sort_block_merge_config_selectorIlNS0_10empty_typeEEEZZNS1_27merge_sort_block_merge_implIS3_PlPS5_mZN2at6native12_GLOBAL__N_124unique_dim_cuda_templateIbEESt5tupleIJNSA_6TensorESF_SF_EERKSF_lbbbEUlllE_EE10hipError_tT0_T1_T2_jT3_P12ihipStream_tbPNSt15iterator_traitsISL_E10value_typeEPNSR_ISM_E10value_typeEPSN_NS1_7vsmem_tEENKUlT_SL_SM_SN_E_clIS8_S8_S9_S9_EESK_S10_SL_SM_SN_EUlS10_E0_NS1_11comp_targetILNS1_3genE4ELNS1_11target_archE910ELNS1_3gpuE8ELNS1_3repE0EEENS1_38merge_mergepath_config_static_selectorELNS0_4arch9wavefront6targetE1EEEvSM_,comdat
	.globl	_ZN7rocprim17ROCPRIM_400000_NS6detail17trampoline_kernelINS0_14default_configENS1_38merge_sort_block_merge_config_selectorIlNS0_10empty_typeEEEZZNS1_27merge_sort_block_merge_implIS3_PlPS5_mZN2at6native12_GLOBAL__N_124unique_dim_cuda_templateIbEESt5tupleIJNSA_6TensorESF_SF_EERKSF_lbbbEUlllE_EE10hipError_tT0_T1_T2_jT3_P12ihipStream_tbPNSt15iterator_traitsISL_E10value_typeEPNSR_ISM_E10value_typeEPSN_NS1_7vsmem_tEENKUlT_SL_SM_SN_E_clIS8_S8_S9_S9_EESK_S10_SL_SM_SN_EUlS10_E0_NS1_11comp_targetILNS1_3genE4ELNS1_11target_archE910ELNS1_3gpuE8ELNS1_3repE0EEENS1_38merge_mergepath_config_static_selectorELNS0_4arch9wavefront6targetE1EEEvSM_ ; -- Begin function _ZN7rocprim17ROCPRIM_400000_NS6detail17trampoline_kernelINS0_14default_configENS1_38merge_sort_block_merge_config_selectorIlNS0_10empty_typeEEEZZNS1_27merge_sort_block_merge_implIS3_PlPS5_mZN2at6native12_GLOBAL__N_124unique_dim_cuda_templateIbEESt5tupleIJNSA_6TensorESF_SF_EERKSF_lbbbEUlllE_EE10hipError_tT0_T1_T2_jT3_P12ihipStream_tbPNSt15iterator_traitsISL_E10value_typeEPNSR_ISM_E10value_typeEPSN_NS1_7vsmem_tEENKUlT_SL_SM_SN_E_clIS8_S8_S9_S9_EESK_S10_SL_SM_SN_EUlS10_E0_NS1_11comp_targetILNS1_3genE4ELNS1_11target_archE910ELNS1_3gpuE8ELNS1_3repE0EEENS1_38merge_mergepath_config_static_selectorELNS0_4arch9wavefront6targetE1EEEvSM_
	.p2align	8
	.type	_ZN7rocprim17ROCPRIM_400000_NS6detail17trampoline_kernelINS0_14default_configENS1_38merge_sort_block_merge_config_selectorIlNS0_10empty_typeEEEZZNS1_27merge_sort_block_merge_implIS3_PlPS5_mZN2at6native12_GLOBAL__N_124unique_dim_cuda_templateIbEESt5tupleIJNSA_6TensorESF_SF_EERKSF_lbbbEUlllE_EE10hipError_tT0_T1_T2_jT3_P12ihipStream_tbPNSt15iterator_traitsISL_E10value_typeEPNSR_ISM_E10value_typeEPSN_NS1_7vsmem_tEENKUlT_SL_SM_SN_E_clIS8_S8_S9_S9_EESK_S10_SL_SM_SN_EUlS10_E0_NS1_11comp_targetILNS1_3genE4ELNS1_11target_archE910ELNS1_3gpuE8ELNS1_3repE0EEENS1_38merge_mergepath_config_static_selectorELNS0_4arch9wavefront6targetE1EEEvSM_,@function
_ZN7rocprim17ROCPRIM_400000_NS6detail17trampoline_kernelINS0_14default_configENS1_38merge_sort_block_merge_config_selectorIlNS0_10empty_typeEEEZZNS1_27merge_sort_block_merge_implIS3_PlPS5_mZN2at6native12_GLOBAL__N_124unique_dim_cuda_templateIbEESt5tupleIJNSA_6TensorESF_SF_EERKSF_lbbbEUlllE_EE10hipError_tT0_T1_T2_jT3_P12ihipStream_tbPNSt15iterator_traitsISL_E10value_typeEPNSR_ISM_E10value_typeEPSN_NS1_7vsmem_tEENKUlT_SL_SM_SN_E_clIS8_S8_S9_S9_EESK_S10_SL_SM_SN_EUlS10_E0_NS1_11comp_targetILNS1_3genE4ELNS1_11target_archE910ELNS1_3gpuE8ELNS1_3repE0EEENS1_38merge_mergepath_config_static_selectorELNS0_4arch9wavefront6targetE1EEEvSM_: ; @_ZN7rocprim17ROCPRIM_400000_NS6detail17trampoline_kernelINS0_14default_configENS1_38merge_sort_block_merge_config_selectorIlNS0_10empty_typeEEEZZNS1_27merge_sort_block_merge_implIS3_PlPS5_mZN2at6native12_GLOBAL__N_124unique_dim_cuda_templateIbEESt5tupleIJNSA_6TensorESF_SF_EERKSF_lbbbEUlllE_EE10hipError_tT0_T1_T2_jT3_P12ihipStream_tbPNSt15iterator_traitsISL_E10value_typeEPNSR_ISM_E10value_typeEPSN_NS1_7vsmem_tEENKUlT_SL_SM_SN_E_clIS8_S8_S9_S9_EESK_S10_SL_SM_SN_EUlS10_E0_NS1_11comp_targetILNS1_3genE4ELNS1_11target_archE910ELNS1_3gpuE8ELNS1_3repE0EEENS1_38merge_mergepath_config_static_selectorELNS0_4arch9wavefront6targetE1EEEvSM_
; %bb.0:
	.section	.rodata,"a",@progbits
	.p2align	6, 0x0
	.amdhsa_kernel _ZN7rocprim17ROCPRIM_400000_NS6detail17trampoline_kernelINS0_14default_configENS1_38merge_sort_block_merge_config_selectorIlNS0_10empty_typeEEEZZNS1_27merge_sort_block_merge_implIS3_PlPS5_mZN2at6native12_GLOBAL__N_124unique_dim_cuda_templateIbEESt5tupleIJNSA_6TensorESF_SF_EERKSF_lbbbEUlllE_EE10hipError_tT0_T1_T2_jT3_P12ihipStream_tbPNSt15iterator_traitsISL_E10value_typeEPNSR_ISM_E10value_typeEPSN_NS1_7vsmem_tEENKUlT_SL_SM_SN_E_clIS8_S8_S9_S9_EESK_S10_SL_SM_SN_EUlS10_E0_NS1_11comp_targetILNS1_3genE4ELNS1_11target_archE910ELNS1_3gpuE8ELNS1_3repE0EEENS1_38merge_mergepath_config_static_selectorELNS0_4arch9wavefront6targetE1EEEvSM_
		.amdhsa_group_segment_fixed_size 0
		.amdhsa_private_segment_fixed_size 0
		.amdhsa_kernarg_size 88
		.amdhsa_user_sgpr_count 2
		.amdhsa_user_sgpr_dispatch_ptr 0
		.amdhsa_user_sgpr_queue_ptr 0
		.amdhsa_user_sgpr_kernarg_segment_ptr 1
		.amdhsa_user_sgpr_dispatch_id 0
		.amdhsa_user_sgpr_kernarg_preload_length 0
		.amdhsa_user_sgpr_kernarg_preload_offset 0
		.amdhsa_user_sgpr_private_segment_size 0
		.amdhsa_uses_dynamic_stack 0
		.amdhsa_enable_private_segment 0
		.amdhsa_system_sgpr_workgroup_id_x 1
		.amdhsa_system_sgpr_workgroup_id_y 0
		.amdhsa_system_sgpr_workgroup_id_z 0
		.amdhsa_system_sgpr_workgroup_info 0
		.amdhsa_system_vgpr_workitem_id 0
		.amdhsa_next_free_vgpr 1
		.amdhsa_next_free_sgpr 0
		.amdhsa_accum_offset 4
		.amdhsa_reserve_vcc 0
		.amdhsa_float_round_mode_32 0
		.amdhsa_float_round_mode_16_64 0
		.amdhsa_float_denorm_mode_32 3
		.amdhsa_float_denorm_mode_16_64 3
		.amdhsa_dx10_clamp 1
		.amdhsa_ieee_mode 1
		.amdhsa_fp16_overflow 0
		.amdhsa_tg_split 0
		.amdhsa_exception_fp_ieee_invalid_op 0
		.amdhsa_exception_fp_denorm_src 0
		.amdhsa_exception_fp_ieee_div_zero 0
		.amdhsa_exception_fp_ieee_overflow 0
		.amdhsa_exception_fp_ieee_underflow 0
		.amdhsa_exception_fp_ieee_inexact 0
		.amdhsa_exception_int_div_zero 0
	.end_amdhsa_kernel
	.section	.text._ZN7rocprim17ROCPRIM_400000_NS6detail17trampoline_kernelINS0_14default_configENS1_38merge_sort_block_merge_config_selectorIlNS0_10empty_typeEEEZZNS1_27merge_sort_block_merge_implIS3_PlPS5_mZN2at6native12_GLOBAL__N_124unique_dim_cuda_templateIbEESt5tupleIJNSA_6TensorESF_SF_EERKSF_lbbbEUlllE_EE10hipError_tT0_T1_T2_jT3_P12ihipStream_tbPNSt15iterator_traitsISL_E10value_typeEPNSR_ISM_E10value_typeEPSN_NS1_7vsmem_tEENKUlT_SL_SM_SN_E_clIS8_S8_S9_S9_EESK_S10_SL_SM_SN_EUlS10_E0_NS1_11comp_targetILNS1_3genE4ELNS1_11target_archE910ELNS1_3gpuE8ELNS1_3repE0EEENS1_38merge_mergepath_config_static_selectorELNS0_4arch9wavefront6targetE1EEEvSM_,"axG",@progbits,_ZN7rocprim17ROCPRIM_400000_NS6detail17trampoline_kernelINS0_14default_configENS1_38merge_sort_block_merge_config_selectorIlNS0_10empty_typeEEEZZNS1_27merge_sort_block_merge_implIS3_PlPS5_mZN2at6native12_GLOBAL__N_124unique_dim_cuda_templateIbEESt5tupleIJNSA_6TensorESF_SF_EERKSF_lbbbEUlllE_EE10hipError_tT0_T1_T2_jT3_P12ihipStream_tbPNSt15iterator_traitsISL_E10value_typeEPNSR_ISM_E10value_typeEPSN_NS1_7vsmem_tEENKUlT_SL_SM_SN_E_clIS8_S8_S9_S9_EESK_S10_SL_SM_SN_EUlS10_E0_NS1_11comp_targetILNS1_3genE4ELNS1_11target_archE910ELNS1_3gpuE8ELNS1_3repE0EEENS1_38merge_mergepath_config_static_selectorELNS0_4arch9wavefront6targetE1EEEvSM_,comdat
.Lfunc_end1021:
	.size	_ZN7rocprim17ROCPRIM_400000_NS6detail17trampoline_kernelINS0_14default_configENS1_38merge_sort_block_merge_config_selectorIlNS0_10empty_typeEEEZZNS1_27merge_sort_block_merge_implIS3_PlPS5_mZN2at6native12_GLOBAL__N_124unique_dim_cuda_templateIbEESt5tupleIJNSA_6TensorESF_SF_EERKSF_lbbbEUlllE_EE10hipError_tT0_T1_T2_jT3_P12ihipStream_tbPNSt15iterator_traitsISL_E10value_typeEPNSR_ISM_E10value_typeEPSN_NS1_7vsmem_tEENKUlT_SL_SM_SN_E_clIS8_S8_S9_S9_EESK_S10_SL_SM_SN_EUlS10_E0_NS1_11comp_targetILNS1_3genE4ELNS1_11target_archE910ELNS1_3gpuE8ELNS1_3repE0EEENS1_38merge_mergepath_config_static_selectorELNS0_4arch9wavefront6targetE1EEEvSM_, .Lfunc_end1021-_ZN7rocprim17ROCPRIM_400000_NS6detail17trampoline_kernelINS0_14default_configENS1_38merge_sort_block_merge_config_selectorIlNS0_10empty_typeEEEZZNS1_27merge_sort_block_merge_implIS3_PlPS5_mZN2at6native12_GLOBAL__N_124unique_dim_cuda_templateIbEESt5tupleIJNSA_6TensorESF_SF_EERKSF_lbbbEUlllE_EE10hipError_tT0_T1_T2_jT3_P12ihipStream_tbPNSt15iterator_traitsISL_E10value_typeEPNSR_ISM_E10value_typeEPSN_NS1_7vsmem_tEENKUlT_SL_SM_SN_E_clIS8_S8_S9_S9_EESK_S10_SL_SM_SN_EUlS10_E0_NS1_11comp_targetILNS1_3genE4ELNS1_11target_archE910ELNS1_3gpuE8ELNS1_3repE0EEENS1_38merge_mergepath_config_static_selectorELNS0_4arch9wavefront6targetE1EEEvSM_
                                        ; -- End function
	.section	.AMDGPU.csdata,"",@progbits
; Kernel info:
; codeLenInByte = 0
; NumSgprs: 6
; NumVgprs: 0
; NumAgprs: 0
; TotalNumVgprs: 0
; ScratchSize: 0
; MemoryBound: 0
; FloatMode: 240
; IeeeMode: 1
; LDSByteSize: 0 bytes/workgroup (compile time only)
; SGPRBlocks: 0
; VGPRBlocks: 0
; NumSGPRsForWavesPerEU: 6
; NumVGPRsForWavesPerEU: 1
; AccumOffset: 4
; Occupancy: 8
; WaveLimiterHint : 0
; COMPUTE_PGM_RSRC2:SCRATCH_EN: 0
; COMPUTE_PGM_RSRC2:USER_SGPR: 2
; COMPUTE_PGM_RSRC2:TRAP_HANDLER: 0
; COMPUTE_PGM_RSRC2:TGID_X_EN: 1
; COMPUTE_PGM_RSRC2:TGID_Y_EN: 0
; COMPUTE_PGM_RSRC2:TGID_Z_EN: 0
; COMPUTE_PGM_RSRC2:TIDIG_COMP_CNT: 0
; COMPUTE_PGM_RSRC3_GFX90A:ACCUM_OFFSET: 0
; COMPUTE_PGM_RSRC3_GFX90A:TG_SPLIT: 0
	.section	.text._ZN7rocprim17ROCPRIM_400000_NS6detail17trampoline_kernelINS0_14default_configENS1_38merge_sort_block_merge_config_selectorIlNS0_10empty_typeEEEZZNS1_27merge_sort_block_merge_implIS3_PlPS5_mZN2at6native12_GLOBAL__N_124unique_dim_cuda_templateIbEESt5tupleIJNSA_6TensorESF_SF_EERKSF_lbbbEUlllE_EE10hipError_tT0_T1_T2_jT3_P12ihipStream_tbPNSt15iterator_traitsISL_E10value_typeEPNSR_ISM_E10value_typeEPSN_NS1_7vsmem_tEENKUlT_SL_SM_SN_E_clIS8_S8_S9_S9_EESK_S10_SL_SM_SN_EUlS10_E0_NS1_11comp_targetILNS1_3genE3ELNS1_11target_archE908ELNS1_3gpuE7ELNS1_3repE0EEENS1_38merge_mergepath_config_static_selectorELNS0_4arch9wavefront6targetE1EEEvSM_,"axG",@progbits,_ZN7rocprim17ROCPRIM_400000_NS6detail17trampoline_kernelINS0_14default_configENS1_38merge_sort_block_merge_config_selectorIlNS0_10empty_typeEEEZZNS1_27merge_sort_block_merge_implIS3_PlPS5_mZN2at6native12_GLOBAL__N_124unique_dim_cuda_templateIbEESt5tupleIJNSA_6TensorESF_SF_EERKSF_lbbbEUlllE_EE10hipError_tT0_T1_T2_jT3_P12ihipStream_tbPNSt15iterator_traitsISL_E10value_typeEPNSR_ISM_E10value_typeEPSN_NS1_7vsmem_tEENKUlT_SL_SM_SN_E_clIS8_S8_S9_S9_EESK_S10_SL_SM_SN_EUlS10_E0_NS1_11comp_targetILNS1_3genE3ELNS1_11target_archE908ELNS1_3gpuE7ELNS1_3repE0EEENS1_38merge_mergepath_config_static_selectorELNS0_4arch9wavefront6targetE1EEEvSM_,comdat
	.globl	_ZN7rocprim17ROCPRIM_400000_NS6detail17trampoline_kernelINS0_14default_configENS1_38merge_sort_block_merge_config_selectorIlNS0_10empty_typeEEEZZNS1_27merge_sort_block_merge_implIS3_PlPS5_mZN2at6native12_GLOBAL__N_124unique_dim_cuda_templateIbEESt5tupleIJNSA_6TensorESF_SF_EERKSF_lbbbEUlllE_EE10hipError_tT0_T1_T2_jT3_P12ihipStream_tbPNSt15iterator_traitsISL_E10value_typeEPNSR_ISM_E10value_typeEPSN_NS1_7vsmem_tEENKUlT_SL_SM_SN_E_clIS8_S8_S9_S9_EESK_S10_SL_SM_SN_EUlS10_E0_NS1_11comp_targetILNS1_3genE3ELNS1_11target_archE908ELNS1_3gpuE7ELNS1_3repE0EEENS1_38merge_mergepath_config_static_selectorELNS0_4arch9wavefront6targetE1EEEvSM_ ; -- Begin function _ZN7rocprim17ROCPRIM_400000_NS6detail17trampoline_kernelINS0_14default_configENS1_38merge_sort_block_merge_config_selectorIlNS0_10empty_typeEEEZZNS1_27merge_sort_block_merge_implIS3_PlPS5_mZN2at6native12_GLOBAL__N_124unique_dim_cuda_templateIbEESt5tupleIJNSA_6TensorESF_SF_EERKSF_lbbbEUlllE_EE10hipError_tT0_T1_T2_jT3_P12ihipStream_tbPNSt15iterator_traitsISL_E10value_typeEPNSR_ISM_E10value_typeEPSN_NS1_7vsmem_tEENKUlT_SL_SM_SN_E_clIS8_S8_S9_S9_EESK_S10_SL_SM_SN_EUlS10_E0_NS1_11comp_targetILNS1_3genE3ELNS1_11target_archE908ELNS1_3gpuE7ELNS1_3repE0EEENS1_38merge_mergepath_config_static_selectorELNS0_4arch9wavefront6targetE1EEEvSM_
	.p2align	8
	.type	_ZN7rocprim17ROCPRIM_400000_NS6detail17trampoline_kernelINS0_14default_configENS1_38merge_sort_block_merge_config_selectorIlNS0_10empty_typeEEEZZNS1_27merge_sort_block_merge_implIS3_PlPS5_mZN2at6native12_GLOBAL__N_124unique_dim_cuda_templateIbEESt5tupleIJNSA_6TensorESF_SF_EERKSF_lbbbEUlllE_EE10hipError_tT0_T1_T2_jT3_P12ihipStream_tbPNSt15iterator_traitsISL_E10value_typeEPNSR_ISM_E10value_typeEPSN_NS1_7vsmem_tEENKUlT_SL_SM_SN_E_clIS8_S8_S9_S9_EESK_S10_SL_SM_SN_EUlS10_E0_NS1_11comp_targetILNS1_3genE3ELNS1_11target_archE908ELNS1_3gpuE7ELNS1_3repE0EEENS1_38merge_mergepath_config_static_selectorELNS0_4arch9wavefront6targetE1EEEvSM_,@function
_ZN7rocprim17ROCPRIM_400000_NS6detail17trampoline_kernelINS0_14default_configENS1_38merge_sort_block_merge_config_selectorIlNS0_10empty_typeEEEZZNS1_27merge_sort_block_merge_implIS3_PlPS5_mZN2at6native12_GLOBAL__N_124unique_dim_cuda_templateIbEESt5tupleIJNSA_6TensorESF_SF_EERKSF_lbbbEUlllE_EE10hipError_tT0_T1_T2_jT3_P12ihipStream_tbPNSt15iterator_traitsISL_E10value_typeEPNSR_ISM_E10value_typeEPSN_NS1_7vsmem_tEENKUlT_SL_SM_SN_E_clIS8_S8_S9_S9_EESK_S10_SL_SM_SN_EUlS10_E0_NS1_11comp_targetILNS1_3genE3ELNS1_11target_archE908ELNS1_3gpuE7ELNS1_3repE0EEENS1_38merge_mergepath_config_static_selectorELNS0_4arch9wavefront6targetE1EEEvSM_: ; @_ZN7rocprim17ROCPRIM_400000_NS6detail17trampoline_kernelINS0_14default_configENS1_38merge_sort_block_merge_config_selectorIlNS0_10empty_typeEEEZZNS1_27merge_sort_block_merge_implIS3_PlPS5_mZN2at6native12_GLOBAL__N_124unique_dim_cuda_templateIbEESt5tupleIJNSA_6TensorESF_SF_EERKSF_lbbbEUlllE_EE10hipError_tT0_T1_T2_jT3_P12ihipStream_tbPNSt15iterator_traitsISL_E10value_typeEPNSR_ISM_E10value_typeEPSN_NS1_7vsmem_tEENKUlT_SL_SM_SN_E_clIS8_S8_S9_S9_EESK_S10_SL_SM_SN_EUlS10_E0_NS1_11comp_targetILNS1_3genE3ELNS1_11target_archE908ELNS1_3gpuE7ELNS1_3repE0EEENS1_38merge_mergepath_config_static_selectorELNS0_4arch9wavefront6targetE1EEEvSM_
; %bb.0:
	.section	.rodata,"a",@progbits
	.p2align	6, 0x0
	.amdhsa_kernel _ZN7rocprim17ROCPRIM_400000_NS6detail17trampoline_kernelINS0_14default_configENS1_38merge_sort_block_merge_config_selectorIlNS0_10empty_typeEEEZZNS1_27merge_sort_block_merge_implIS3_PlPS5_mZN2at6native12_GLOBAL__N_124unique_dim_cuda_templateIbEESt5tupleIJNSA_6TensorESF_SF_EERKSF_lbbbEUlllE_EE10hipError_tT0_T1_T2_jT3_P12ihipStream_tbPNSt15iterator_traitsISL_E10value_typeEPNSR_ISM_E10value_typeEPSN_NS1_7vsmem_tEENKUlT_SL_SM_SN_E_clIS8_S8_S9_S9_EESK_S10_SL_SM_SN_EUlS10_E0_NS1_11comp_targetILNS1_3genE3ELNS1_11target_archE908ELNS1_3gpuE7ELNS1_3repE0EEENS1_38merge_mergepath_config_static_selectorELNS0_4arch9wavefront6targetE1EEEvSM_
		.amdhsa_group_segment_fixed_size 0
		.amdhsa_private_segment_fixed_size 0
		.amdhsa_kernarg_size 88
		.amdhsa_user_sgpr_count 2
		.amdhsa_user_sgpr_dispatch_ptr 0
		.amdhsa_user_sgpr_queue_ptr 0
		.amdhsa_user_sgpr_kernarg_segment_ptr 1
		.amdhsa_user_sgpr_dispatch_id 0
		.amdhsa_user_sgpr_kernarg_preload_length 0
		.amdhsa_user_sgpr_kernarg_preload_offset 0
		.amdhsa_user_sgpr_private_segment_size 0
		.amdhsa_uses_dynamic_stack 0
		.amdhsa_enable_private_segment 0
		.amdhsa_system_sgpr_workgroup_id_x 1
		.amdhsa_system_sgpr_workgroup_id_y 0
		.amdhsa_system_sgpr_workgroup_id_z 0
		.amdhsa_system_sgpr_workgroup_info 0
		.amdhsa_system_vgpr_workitem_id 0
		.amdhsa_next_free_vgpr 1
		.amdhsa_next_free_sgpr 0
		.amdhsa_accum_offset 4
		.amdhsa_reserve_vcc 0
		.amdhsa_float_round_mode_32 0
		.amdhsa_float_round_mode_16_64 0
		.amdhsa_float_denorm_mode_32 3
		.amdhsa_float_denorm_mode_16_64 3
		.amdhsa_dx10_clamp 1
		.amdhsa_ieee_mode 1
		.amdhsa_fp16_overflow 0
		.amdhsa_tg_split 0
		.amdhsa_exception_fp_ieee_invalid_op 0
		.amdhsa_exception_fp_denorm_src 0
		.amdhsa_exception_fp_ieee_div_zero 0
		.amdhsa_exception_fp_ieee_overflow 0
		.amdhsa_exception_fp_ieee_underflow 0
		.amdhsa_exception_fp_ieee_inexact 0
		.amdhsa_exception_int_div_zero 0
	.end_amdhsa_kernel
	.section	.text._ZN7rocprim17ROCPRIM_400000_NS6detail17trampoline_kernelINS0_14default_configENS1_38merge_sort_block_merge_config_selectorIlNS0_10empty_typeEEEZZNS1_27merge_sort_block_merge_implIS3_PlPS5_mZN2at6native12_GLOBAL__N_124unique_dim_cuda_templateIbEESt5tupleIJNSA_6TensorESF_SF_EERKSF_lbbbEUlllE_EE10hipError_tT0_T1_T2_jT3_P12ihipStream_tbPNSt15iterator_traitsISL_E10value_typeEPNSR_ISM_E10value_typeEPSN_NS1_7vsmem_tEENKUlT_SL_SM_SN_E_clIS8_S8_S9_S9_EESK_S10_SL_SM_SN_EUlS10_E0_NS1_11comp_targetILNS1_3genE3ELNS1_11target_archE908ELNS1_3gpuE7ELNS1_3repE0EEENS1_38merge_mergepath_config_static_selectorELNS0_4arch9wavefront6targetE1EEEvSM_,"axG",@progbits,_ZN7rocprim17ROCPRIM_400000_NS6detail17trampoline_kernelINS0_14default_configENS1_38merge_sort_block_merge_config_selectorIlNS0_10empty_typeEEEZZNS1_27merge_sort_block_merge_implIS3_PlPS5_mZN2at6native12_GLOBAL__N_124unique_dim_cuda_templateIbEESt5tupleIJNSA_6TensorESF_SF_EERKSF_lbbbEUlllE_EE10hipError_tT0_T1_T2_jT3_P12ihipStream_tbPNSt15iterator_traitsISL_E10value_typeEPNSR_ISM_E10value_typeEPSN_NS1_7vsmem_tEENKUlT_SL_SM_SN_E_clIS8_S8_S9_S9_EESK_S10_SL_SM_SN_EUlS10_E0_NS1_11comp_targetILNS1_3genE3ELNS1_11target_archE908ELNS1_3gpuE7ELNS1_3repE0EEENS1_38merge_mergepath_config_static_selectorELNS0_4arch9wavefront6targetE1EEEvSM_,comdat
.Lfunc_end1022:
	.size	_ZN7rocprim17ROCPRIM_400000_NS6detail17trampoline_kernelINS0_14default_configENS1_38merge_sort_block_merge_config_selectorIlNS0_10empty_typeEEEZZNS1_27merge_sort_block_merge_implIS3_PlPS5_mZN2at6native12_GLOBAL__N_124unique_dim_cuda_templateIbEESt5tupleIJNSA_6TensorESF_SF_EERKSF_lbbbEUlllE_EE10hipError_tT0_T1_T2_jT3_P12ihipStream_tbPNSt15iterator_traitsISL_E10value_typeEPNSR_ISM_E10value_typeEPSN_NS1_7vsmem_tEENKUlT_SL_SM_SN_E_clIS8_S8_S9_S9_EESK_S10_SL_SM_SN_EUlS10_E0_NS1_11comp_targetILNS1_3genE3ELNS1_11target_archE908ELNS1_3gpuE7ELNS1_3repE0EEENS1_38merge_mergepath_config_static_selectorELNS0_4arch9wavefront6targetE1EEEvSM_, .Lfunc_end1022-_ZN7rocprim17ROCPRIM_400000_NS6detail17trampoline_kernelINS0_14default_configENS1_38merge_sort_block_merge_config_selectorIlNS0_10empty_typeEEEZZNS1_27merge_sort_block_merge_implIS3_PlPS5_mZN2at6native12_GLOBAL__N_124unique_dim_cuda_templateIbEESt5tupleIJNSA_6TensorESF_SF_EERKSF_lbbbEUlllE_EE10hipError_tT0_T1_T2_jT3_P12ihipStream_tbPNSt15iterator_traitsISL_E10value_typeEPNSR_ISM_E10value_typeEPSN_NS1_7vsmem_tEENKUlT_SL_SM_SN_E_clIS8_S8_S9_S9_EESK_S10_SL_SM_SN_EUlS10_E0_NS1_11comp_targetILNS1_3genE3ELNS1_11target_archE908ELNS1_3gpuE7ELNS1_3repE0EEENS1_38merge_mergepath_config_static_selectorELNS0_4arch9wavefront6targetE1EEEvSM_
                                        ; -- End function
	.section	.AMDGPU.csdata,"",@progbits
; Kernel info:
; codeLenInByte = 0
; NumSgprs: 6
; NumVgprs: 0
; NumAgprs: 0
; TotalNumVgprs: 0
; ScratchSize: 0
; MemoryBound: 0
; FloatMode: 240
; IeeeMode: 1
; LDSByteSize: 0 bytes/workgroup (compile time only)
; SGPRBlocks: 0
; VGPRBlocks: 0
; NumSGPRsForWavesPerEU: 6
; NumVGPRsForWavesPerEU: 1
; AccumOffset: 4
; Occupancy: 8
; WaveLimiterHint : 0
; COMPUTE_PGM_RSRC2:SCRATCH_EN: 0
; COMPUTE_PGM_RSRC2:USER_SGPR: 2
; COMPUTE_PGM_RSRC2:TRAP_HANDLER: 0
; COMPUTE_PGM_RSRC2:TGID_X_EN: 1
; COMPUTE_PGM_RSRC2:TGID_Y_EN: 0
; COMPUTE_PGM_RSRC2:TGID_Z_EN: 0
; COMPUTE_PGM_RSRC2:TIDIG_COMP_CNT: 0
; COMPUTE_PGM_RSRC3_GFX90A:ACCUM_OFFSET: 0
; COMPUTE_PGM_RSRC3_GFX90A:TG_SPLIT: 0
	.section	.text._ZN7rocprim17ROCPRIM_400000_NS6detail17trampoline_kernelINS0_14default_configENS1_38merge_sort_block_merge_config_selectorIlNS0_10empty_typeEEEZZNS1_27merge_sort_block_merge_implIS3_PlPS5_mZN2at6native12_GLOBAL__N_124unique_dim_cuda_templateIbEESt5tupleIJNSA_6TensorESF_SF_EERKSF_lbbbEUlllE_EE10hipError_tT0_T1_T2_jT3_P12ihipStream_tbPNSt15iterator_traitsISL_E10value_typeEPNSR_ISM_E10value_typeEPSN_NS1_7vsmem_tEENKUlT_SL_SM_SN_E_clIS8_S8_S9_S9_EESK_S10_SL_SM_SN_EUlS10_E0_NS1_11comp_targetILNS1_3genE2ELNS1_11target_archE906ELNS1_3gpuE6ELNS1_3repE0EEENS1_38merge_mergepath_config_static_selectorELNS0_4arch9wavefront6targetE1EEEvSM_,"axG",@progbits,_ZN7rocprim17ROCPRIM_400000_NS6detail17trampoline_kernelINS0_14default_configENS1_38merge_sort_block_merge_config_selectorIlNS0_10empty_typeEEEZZNS1_27merge_sort_block_merge_implIS3_PlPS5_mZN2at6native12_GLOBAL__N_124unique_dim_cuda_templateIbEESt5tupleIJNSA_6TensorESF_SF_EERKSF_lbbbEUlllE_EE10hipError_tT0_T1_T2_jT3_P12ihipStream_tbPNSt15iterator_traitsISL_E10value_typeEPNSR_ISM_E10value_typeEPSN_NS1_7vsmem_tEENKUlT_SL_SM_SN_E_clIS8_S8_S9_S9_EESK_S10_SL_SM_SN_EUlS10_E0_NS1_11comp_targetILNS1_3genE2ELNS1_11target_archE906ELNS1_3gpuE6ELNS1_3repE0EEENS1_38merge_mergepath_config_static_selectorELNS0_4arch9wavefront6targetE1EEEvSM_,comdat
	.globl	_ZN7rocprim17ROCPRIM_400000_NS6detail17trampoline_kernelINS0_14default_configENS1_38merge_sort_block_merge_config_selectorIlNS0_10empty_typeEEEZZNS1_27merge_sort_block_merge_implIS3_PlPS5_mZN2at6native12_GLOBAL__N_124unique_dim_cuda_templateIbEESt5tupleIJNSA_6TensorESF_SF_EERKSF_lbbbEUlllE_EE10hipError_tT0_T1_T2_jT3_P12ihipStream_tbPNSt15iterator_traitsISL_E10value_typeEPNSR_ISM_E10value_typeEPSN_NS1_7vsmem_tEENKUlT_SL_SM_SN_E_clIS8_S8_S9_S9_EESK_S10_SL_SM_SN_EUlS10_E0_NS1_11comp_targetILNS1_3genE2ELNS1_11target_archE906ELNS1_3gpuE6ELNS1_3repE0EEENS1_38merge_mergepath_config_static_selectorELNS0_4arch9wavefront6targetE1EEEvSM_ ; -- Begin function _ZN7rocprim17ROCPRIM_400000_NS6detail17trampoline_kernelINS0_14default_configENS1_38merge_sort_block_merge_config_selectorIlNS0_10empty_typeEEEZZNS1_27merge_sort_block_merge_implIS3_PlPS5_mZN2at6native12_GLOBAL__N_124unique_dim_cuda_templateIbEESt5tupleIJNSA_6TensorESF_SF_EERKSF_lbbbEUlllE_EE10hipError_tT0_T1_T2_jT3_P12ihipStream_tbPNSt15iterator_traitsISL_E10value_typeEPNSR_ISM_E10value_typeEPSN_NS1_7vsmem_tEENKUlT_SL_SM_SN_E_clIS8_S8_S9_S9_EESK_S10_SL_SM_SN_EUlS10_E0_NS1_11comp_targetILNS1_3genE2ELNS1_11target_archE906ELNS1_3gpuE6ELNS1_3repE0EEENS1_38merge_mergepath_config_static_selectorELNS0_4arch9wavefront6targetE1EEEvSM_
	.p2align	8
	.type	_ZN7rocprim17ROCPRIM_400000_NS6detail17trampoline_kernelINS0_14default_configENS1_38merge_sort_block_merge_config_selectorIlNS0_10empty_typeEEEZZNS1_27merge_sort_block_merge_implIS3_PlPS5_mZN2at6native12_GLOBAL__N_124unique_dim_cuda_templateIbEESt5tupleIJNSA_6TensorESF_SF_EERKSF_lbbbEUlllE_EE10hipError_tT0_T1_T2_jT3_P12ihipStream_tbPNSt15iterator_traitsISL_E10value_typeEPNSR_ISM_E10value_typeEPSN_NS1_7vsmem_tEENKUlT_SL_SM_SN_E_clIS8_S8_S9_S9_EESK_S10_SL_SM_SN_EUlS10_E0_NS1_11comp_targetILNS1_3genE2ELNS1_11target_archE906ELNS1_3gpuE6ELNS1_3repE0EEENS1_38merge_mergepath_config_static_selectorELNS0_4arch9wavefront6targetE1EEEvSM_,@function
_ZN7rocprim17ROCPRIM_400000_NS6detail17trampoline_kernelINS0_14default_configENS1_38merge_sort_block_merge_config_selectorIlNS0_10empty_typeEEEZZNS1_27merge_sort_block_merge_implIS3_PlPS5_mZN2at6native12_GLOBAL__N_124unique_dim_cuda_templateIbEESt5tupleIJNSA_6TensorESF_SF_EERKSF_lbbbEUlllE_EE10hipError_tT0_T1_T2_jT3_P12ihipStream_tbPNSt15iterator_traitsISL_E10value_typeEPNSR_ISM_E10value_typeEPSN_NS1_7vsmem_tEENKUlT_SL_SM_SN_E_clIS8_S8_S9_S9_EESK_S10_SL_SM_SN_EUlS10_E0_NS1_11comp_targetILNS1_3genE2ELNS1_11target_archE906ELNS1_3gpuE6ELNS1_3repE0EEENS1_38merge_mergepath_config_static_selectorELNS0_4arch9wavefront6targetE1EEEvSM_: ; @_ZN7rocprim17ROCPRIM_400000_NS6detail17trampoline_kernelINS0_14default_configENS1_38merge_sort_block_merge_config_selectorIlNS0_10empty_typeEEEZZNS1_27merge_sort_block_merge_implIS3_PlPS5_mZN2at6native12_GLOBAL__N_124unique_dim_cuda_templateIbEESt5tupleIJNSA_6TensorESF_SF_EERKSF_lbbbEUlllE_EE10hipError_tT0_T1_T2_jT3_P12ihipStream_tbPNSt15iterator_traitsISL_E10value_typeEPNSR_ISM_E10value_typeEPSN_NS1_7vsmem_tEENKUlT_SL_SM_SN_E_clIS8_S8_S9_S9_EESK_S10_SL_SM_SN_EUlS10_E0_NS1_11comp_targetILNS1_3genE2ELNS1_11target_archE906ELNS1_3gpuE6ELNS1_3repE0EEENS1_38merge_mergepath_config_static_selectorELNS0_4arch9wavefront6targetE1EEEvSM_
; %bb.0:
	.section	.rodata,"a",@progbits
	.p2align	6, 0x0
	.amdhsa_kernel _ZN7rocprim17ROCPRIM_400000_NS6detail17trampoline_kernelINS0_14default_configENS1_38merge_sort_block_merge_config_selectorIlNS0_10empty_typeEEEZZNS1_27merge_sort_block_merge_implIS3_PlPS5_mZN2at6native12_GLOBAL__N_124unique_dim_cuda_templateIbEESt5tupleIJNSA_6TensorESF_SF_EERKSF_lbbbEUlllE_EE10hipError_tT0_T1_T2_jT3_P12ihipStream_tbPNSt15iterator_traitsISL_E10value_typeEPNSR_ISM_E10value_typeEPSN_NS1_7vsmem_tEENKUlT_SL_SM_SN_E_clIS8_S8_S9_S9_EESK_S10_SL_SM_SN_EUlS10_E0_NS1_11comp_targetILNS1_3genE2ELNS1_11target_archE906ELNS1_3gpuE6ELNS1_3repE0EEENS1_38merge_mergepath_config_static_selectorELNS0_4arch9wavefront6targetE1EEEvSM_
		.amdhsa_group_segment_fixed_size 0
		.amdhsa_private_segment_fixed_size 0
		.amdhsa_kernarg_size 88
		.amdhsa_user_sgpr_count 2
		.amdhsa_user_sgpr_dispatch_ptr 0
		.amdhsa_user_sgpr_queue_ptr 0
		.amdhsa_user_sgpr_kernarg_segment_ptr 1
		.amdhsa_user_sgpr_dispatch_id 0
		.amdhsa_user_sgpr_kernarg_preload_length 0
		.amdhsa_user_sgpr_kernarg_preload_offset 0
		.amdhsa_user_sgpr_private_segment_size 0
		.amdhsa_uses_dynamic_stack 0
		.amdhsa_enable_private_segment 0
		.amdhsa_system_sgpr_workgroup_id_x 1
		.amdhsa_system_sgpr_workgroup_id_y 0
		.amdhsa_system_sgpr_workgroup_id_z 0
		.amdhsa_system_sgpr_workgroup_info 0
		.amdhsa_system_vgpr_workitem_id 0
		.amdhsa_next_free_vgpr 1
		.amdhsa_next_free_sgpr 0
		.amdhsa_accum_offset 4
		.amdhsa_reserve_vcc 0
		.amdhsa_float_round_mode_32 0
		.amdhsa_float_round_mode_16_64 0
		.amdhsa_float_denorm_mode_32 3
		.amdhsa_float_denorm_mode_16_64 3
		.amdhsa_dx10_clamp 1
		.amdhsa_ieee_mode 1
		.amdhsa_fp16_overflow 0
		.amdhsa_tg_split 0
		.amdhsa_exception_fp_ieee_invalid_op 0
		.amdhsa_exception_fp_denorm_src 0
		.amdhsa_exception_fp_ieee_div_zero 0
		.amdhsa_exception_fp_ieee_overflow 0
		.amdhsa_exception_fp_ieee_underflow 0
		.amdhsa_exception_fp_ieee_inexact 0
		.amdhsa_exception_int_div_zero 0
	.end_amdhsa_kernel
	.section	.text._ZN7rocprim17ROCPRIM_400000_NS6detail17trampoline_kernelINS0_14default_configENS1_38merge_sort_block_merge_config_selectorIlNS0_10empty_typeEEEZZNS1_27merge_sort_block_merge_implIS3_PlPS5_mZN2at6native12_GLOBAL__N_124unique_dim_cuda_templateIbEESt5tupleIJNSA_6TensorESF_SF_EERKSF_lbbbEUlllE_EE10hipError_tT0_T1_T2_jT3_P12ihipStream_tbPNSt15iterator_traitsISL_E10value_typeEPNSR_ISM_E10value_typeEPSN_NS1_7vsmem_tEENKUlT_SL_SM_SN_E_clIS8_S8_S9_S9_EESK_S10_SL_SM_SN_EUlS10_E0_NS1_11comp_targetILNS1_3genE2ELNS1_11target_archE906ELNS1_3gpuE6ELNS1_3repE0EEENS1_38merge_mergepath_config_static_selectorELNS0_4arch9wavefront6targetE1EEEvSM_,"axG",@progbits,_ZN7rocprim17ROCPRIM_400000_NS6detail17trampoline_kernelINS0_14default_configENS1_38merge_sort_block_merge_config_selectorIlNS0_10empty_typeEEEZZNS1_27merge_sort_block_merge_implIS3_PlPS5_mZN2at6native12_GLOBAL__N_124unique_dim_cuda_templateIbEESt5tupleIJNSA_6TensorESF_SF_EERKSF_lbbbEUlllE_EE10hipError_tT0_T1_T2_jT3_P12ihipStream_tbPNSt15iterator_traitsISL_E10value_typeEPNSR_ISM_E10value_typeEPSN_NS1_7vsmem_tEENKUlT_SL_SM_SN_E_clIS8_S8_S9_S9_EESK_S10_SL_SM_SN_EUlS10_E0_NS1_11comp_targetILNS1_3genE2ELNS1_11target_archE906ELNS1_3gpuE6ELNS1_3repE0EEENS1_38merge_mergepath_config_static_selectorELNS0_4arch9wavefront6targetE1EEEvSM_,comdat
.Lfunc_end1023:
	.size	_ZN7rocprim17ROCPRIM_400000_NS6detail17trampoline_kernelINS0_14default_configENS1_38merge_sort_block_merge_config_selectorIlNS0_10empty_typeEEEZZNS1_27merge_sort_block_merge_implIS3_PlPS5_mZN2at6native12_GLOBAL__N_124unique_dim_cuda_templateIbEESt5tupleIJNSA_6TensorESF_SF_EERKSF_lbbbEUlllE_EE10hipError_tT0_T1_T2_jT3_P12ihipStream_tbPNSt15iterator_traitsISL_E10value_typeEPNSR_ISM_E10value_typeEPSN_NS1_7vsmem_tEENKUlT_SL_SM_SN_E_clIS8_S8_S9_S9_EESK_S10_SL_SM_SN_EUlS10_E0_NS1_11comp_targetILNS1_3genE2ELNS1_11target_archE906ELNS1_3gpuE6ELNS1_3repE0EEENS1_38merge_mergepath_config_static_selectorELNS0_4arch9wavefront6targetE1EEEvSM_, .Lfunc_end1023-_ZN7rocprim17ROCPRIM_400000_NS6detail17trampoline_kernelINS0_14default_configENS1_38merge_sort_block_merge_config_selectorIlNS0_10empty_typeEEEZZNS1_27merge_sort_block_merge_implIS3_PlPS5_mZN2at6native12_GLOBAL__N_124unique_dim_cuda_templateIbEESt5tupleIJNSA_6TensorESF_SF_EERKSF_lbbbEUlllE_EE10hipError_tT0_T1_T2_jT3_P12ihipStream_tbPNSt15iterator_traitsISL_E10value_typeEPNSR_ISM_E10value_typeEPSN_NS1_7vsmem_tEENKUlT_SL_SM_SN_E_clIS8_S8_S9_S9_EESK_S10_SL_SM_SN_EUlS10_E0_NS1_11comp_targetILNS1_3genE2ELNS1_11target_archE906ELNS1_3gpuE6ELNS1_3repE0EEENS1_38merge_mergepath_config_static_selectorELNS0_4arch9wavefront6targetE1EEEvSM_
                                        ; -- End function
	.section	.AMDGPU.csdata,"",@progbits
; Kernel info:
; codeLenInByte = 0
; NumSgprs: 6
; NumVgprs: 0
; NumAgprs: 0
; TotalNumVgprs: 0
; ScratchSize: 0
; MemoryBound: 0
; FloatMode: 240
; IeeeMode: 1
; LDSByteSize: 0 bytes/workgroup (compile time only)
; SGPRBlocks: 0
; VGPRBlocks: 0
; NumSGPRsForWavesPerEU: 6
; NumVGPRsForWavesPerEU: 1
; AccumOffset: 4
; Occupancy: 8
; WaveLimiterHint : 0
; COMPUTE_PGM_RSRC2:SCRATCH_EN: 0
; COMPUTE_PGM_RSRC2:USER_SGPR: 2
; COMPUTE_PGM_RSRC2:TRAP_HANDLER: 0
; COMPUTE_PGM_RSRC2:TGID_X_EN: 1
; COMPUTE_PGM_RSRC2:TGID_Y_EN: 0
; COMPUTE_PGM_RSRC2:TGID_Z_EN: 0
; COMPUTE_PGM_RSRC2:TIDIG_COMP_CNT: 0
; COMPUTE_PGM_RSRC3_GFX90A:ACCUM_OFFSET: 0
; COMPUTE_PGM_RSRC3_GFX90A:TG_SPLIT: 0
	.section	.text._ZN7rocprim17ROCPRIM_400000_NS6detail17trampoline_kernelINS0_14default_configENS1_38merge_sort_block_merge_config_selectorIlNS0_10empty_typeEEEZZNS1_27merge_sort_block_merge_implIS3_PlPS5_mZN2at6native12_GLOBAL__N_124unique_dim_cuda_templateIbEESt5tupleIJNSA_6TensorESF_SF_EERKSF_lbbbEUlllE_EE10hipError_tT0_T1_T2_jT3_P12ihipStream_tbPNSt15iterator_traitsISL_E10value_typeEPNSR_ISM_E10value_typeEPSN_NS1_7vsmem_tEENKUlT_SL_SM_SN_E_clIS8_S8_S9_S9_EESK_S10_SL_SM_SN_EUlS10_E0_NS1_11comp_targetILNS1_3genE9ELNS1_11target_archE1100ELNS1_3gpuE3ELNS1_3repE0EEENS1_38merge_mergepath_config_static_selectorELNS0_4arch9wavefront6targetE1EEEvSM_,"axG",@progbits,_ZN7rocprim17ROCPRIM_400000_NS6detail17trampoline_kernelINS0_14default_configENS1_38merge_sort_block_merge_config_selectorIlNS0_10empty_typeEEEZZNS1_27merge_sort_block_merge_implIS3_PlPS5_mZN2at6native12_GLOBAL__N_124unique_dim_cuda_templateIbEESt5tupleIJNSA_6TensorESF_SF_EERKSF_lbbbEUlllE_EE10hipError_tT0_T1_T2_jT3_P12ihipStream_tbPNSt15iterator_traitsISL_E10value_typeEPNSR_ISM_E10value_typeEPSN_NS1_7vsmem_tEENKUlT_SL_SM_SN_E_clIS8_S8_S9_S9_EESK_S10_SL_SM_SN_EUlS10_E0_NS1_11comp_targetILNS1_3genE9ELNS1_11target_archE1100ELNS1_3gpuE3ELNS1_3repE0EEENS1_38merge_mergepath_config_static_selectorELNS0_4arch9wavefront6targetE1EEEvSM_,comdat
	.globl	_ZN7rocprim17ROCPRIM_400000_NS6detail17trampoline_kernelINS0_14default_configENS1_38merge_sort_block_merge_config_selectorIlNS0_10empty_typeEEEZZNS1_27merge_sort_block_merge_implIS3_PlPS5_mZN2at6native12_GLOBAL__N_124unique_dim_cuda_templateIbEESt5tupleIJNSA_6TensorESF_SF_EERKSF_lbbbEUlllE_EE10hipError_tT0_T1_T2_jT3_P12ihipStream_tbPNSt15iterator_traitsISL_E10value_typeEPNSR_ISM_E10value_typeEPSN_NS1_7vsmem_tEENKUlT_SL_SM_SN_E_clIS8_S8_S9_S9_EESK_S10_SL_SM_SN_EUlS10_E0_NS1_11comp_targetILNS1_3genE9ELNS1_11target_archE1100ELNS1_3gpuE3ELNS1_3repE0EEENS1_38merge_mergepath_config_static_selectorELNS0_4arch9wavefront6targetE1EEEvSM_ ; -- Begin function _ZN7rocprim17ROCPRIM_400000_NS6detail17trampoline_kernelINS0_14default_configENS1_38merge_sort_block_merge_config_selectorIlNS0_10empty_typeEEEZZNS1_27merge_sort_block_merge_implIS3_PlPS5_mZN2at6native12_GLOBAL__N_124unique_dim_cuda_templateIbEESt5tupleIJNSA_6TensorESF_SF_EERKSF_lbbbEUlllE_EE10hipError_tT0_T1_T2_jT3_P12ihipStream_tbPNSt15iterator_traitsISL_E10value_typeEPNSR_ISM_E10value_typeEPSN_NS1_7vsmem_tEENKUlT_SL_SM_SN_E_clIS8_S8_S9_S9_EESK_S10_SL_SM_SN_EUlS10_E0_NS1_11comp_targetILNS1_3genE9ELNS1_11target_archE1100ELNS1_3gpuE3ELNS1_3repE0EEENS1_38merge_mergepath_config_static_selectorELNS0_4arch9wavefront6targetE1EEEvSM_
	.p2align	8
	.type	_ZN7rocprim17ROCPRIM_400000_NS6detail17trampoline_kernelINS0_14default_configENS1_38merge_sort_block_merge_config_selectorIlNS0_10empty_typeEEEZZNS1_27merge_sort_block_merge_implIS3_PlPS5_mZN2at6native12_GLOBAL__N_124unique_dim_cuda_templateIbEESt5tupleIJNSA_6TensorESF_SF_EERKSF_lbbbEUlllE_EE10hipError_tT0_T1_T2_jT3_P12ihipStream_tbPNSt15iterator_traitsISL_E10value_typeEPNSR_ISM_E10value_typeEPSN_NS1_7vsmem_tEENKUlT_SL_SM_SN_E_clIS8_S8_S9_S9_EESK_S10_SL_SM_SN_EUlS10_E0_NS1_11comp_targetILNS1_3genE9ELNS1_11target_archE1100ELNS1_3gpuE3ELNS1_3repE0EEENS1_38merge_mergepath_config_static_selectorELNS0_4arch9wavefront6targetE1EEEvSM_,@function
_ZN7rocprim17ROCPRIM_400000_NS6detail17trampoline_kernelINS0_14default_configENS1_38merge_sort_block_merge_config_selectorIlNS0_10empty_typeEEEZZNS1_27merge_sort_block_merge_implIS3_PlPS5_mZN2at6native12_GLOBAL__N_124unique_dim_cuda_templateIbEESt5tupleIJNSA_6TensorESF_SF_EERKSF_lbbbEUlllE_EE10hipError_tT0_T1_T2_jT3_P12ihipStream_tbPNSt15iterator_traitsISL_E10value_typeEPNSR_ISM_E10value_typeEPSN_NS1_7vsmem_tEENKUlT_SL_SM_SN_E_clIS8_S8_S9_S9_EESK_S10_SL_SM_SN_EUlS10_E0_NS1_11comp_targetILNS1_3genE9ELNS1_11target_archE1100ELNS1_3gpuE3ELNS1_3repE0EEENS1_38merge_mergepath_config_static_selectorELNS0_4arch9wavefront6targetE1EEEvSM_: ; @_ZN7rocprim17ROCPRIM_400000_NS6detail17trampoline_kernelINS0_14default_configENS1_38merge_sort_block_merge_config_selectorIlNS0_10empty_typeEEEZZNS1_27merge_sort_block_merge_implIS3_PlPS5_mZN2at6native12_GLOBAL__N_124unique_dim_cuda_templateIbEESt5tupleIJNSA_6TensorESF_SF_EERKSF_lbbbEUlllE_EE10hipError_tT0_T1_T2_jT3_P12ihipStream_tbPNSt15iterator_traitsISL_E10value_typeEPNSR_ISM_E10value_typeEPSN_NS1_7vsmem_tEENKUlT_SL_SM_SN_E_clIS8_S8_S9_S9_EESK_S10_SL_SM_SN_EUlS10_E0_NS1_11comp_targetILNS1_3genE9ELNS1_11target_archE1100ELNS1_3gpuE3ELNS1_3repE0EEENS1_38merge_mergepath_config_static_selectorELNS0_4arch9wavefront6targetE1EEEvSM_
; %bb.0:
	.section	.rodata,"a",@progbits
	.p2align	6, 0x0
	.amdhsa_kernel _ZN7rocprim17ROCPRIM_400000_NS6detail17trampoline_kernelINS0_14default_configENS1_38merge_sort_block_merge_config_selectorIlNS0_10empty_typeEEEZZNS1_27merge_sort_block_merge_implIS3_PlPS5_mZN2at6native12_GLOBAL__N_124unique_dim_cuda_templateIbEESt5tupleIJNSA_6TensorESF_SF_EERKSF_lbbbEUlllE_EE10hipError_tT0_T1_T2_jT3_P12ihipStream_tbPNSt15iterator_traitsISL_E10value_typeEPNSR_ISM_E10value_typeEPSN_NS1_7vsmem_tEENKUlT_SL_SM_SN_E_clIS8_S8_S9_S9_EESK_S10_SL_SM_SN_EUlS10_E0_NS1_11comp_targetILNS1_3genE9ELNS1_11target_archE1100ELNS1_3gpuE3ELNS1_3repE0EEENS1_38merge_mergepath_config_static_selectorELNS0_4arch9wavefront6targetE1EEEvSM_
		.amdhsa_group_segment_fixed_size 0
		.amdhsa_private_segment_fixed_size 0
		.amdhsa_kernarg_size 88
		.amdhsa_user_sgpr_count 2
		.amdhsa_user_sgpr_dispatch_ptr 0
		.amdhsa_user_sgpr_queue_ptr 0
		.amdhsa_user_sgpr_kernarg_segment_ptr 1
		.amdhsa_user_sgpr_dispatch_id 0
		.amdhsa_user_sgpr_kernarg_preload_length 0
		.amdhsa_user_sgpr_kernarg_preload_offset 0
		.amdhsa_user_sgpr_private_segment_size 0
		.amdhsa_uses_dynamic_stack 0
		.amdhsa_enable_private_segment 0
		.amdhsa_system_sgpr_workgroup_id_x 1
		.amdhsa_system_sgpr_workgroup_id_y 0
		.amdhsa_system_sgpr_workgroup_id_z 0
		.amdhsa_system_sgpr_workgroup_info 0
		.amdhsa_system_vgpr_workitem_id 0
		.amdhsa_next_free_vgpr 1
		.amdhsa_next_free_sgpr 0
		.amdhsa_accum_offset 4
		.amdhsa_reserve_vcc 0
		.amdhsa_float_round_mode_32 0
		.amdhsa_float_round_mode_16_64 0
		.amdhsa_float_denorm_mode_32 3
		.amdhsa_float_denorm_mode_16_64 3
		.amdhsa_dx10_clamp 1
		.amdhsa_ieee_mode 1
		.amdhsa_fp16_overflow 0
		.amdhsa_tg_split 0
		.amdhsa_exception_fp_ieee_invalid_op 0
		.amdhsa_exception_fp_denorm_src 0
		.amdhsa_exception_fp_ieee_div_zero 0
		.amdhsa_exception_fp_ieee_overflow 0
		.amdhsa_exception_fp_ieee_underflow 0
		.amdhsa_exception_fp_ieee_inexact 0
		.amdhsa_exception_int_div_zero 0
	.end_amdhsa_kernel
	.section	.text._ZN7rocprim17ROCPRIM_400000_NS6detail17trampoline_kernelINS0_14default_configENS1_38merge_sort_block_merge_config_selectorIlNS0_10empty_typeEEEZZNS1_27merge_sort_block_merge_implIS3_PlPS5_mZN2at6native12_GLOBAL__N_124unique_dim_cuda_templateIbEESt5tupleIJNSA_6TensorESF_SF_EERKSF_lbbbEUlllE_EE10hipError_tT0_T1_T2_jT3_P12ihipStream_tbPNSt15iterator_traitsISL_E10value_typeEPNSR_ISM_E10value_typeEPSN_NS1_7vsmem_tEENKUlT_SL_SM_SN_E_clIS8_S8_S9_S9_EESK_S10_SL_SM_SN_EUlS10_E0_NS1_11comp_targetILNS1_3genE9ELNS1_11target_archE1100ELNS1_3gpuE3ELNS1_3repE0EEENS1_38merge_mergepath_config_static_selectorELNS0_4arch9wavefront6targetE1EEEvSM_,"axG",@progbits,_ZN7rocprim17ROCPRIM_400000_NS6detail17trampoline_kernelINS0_14default_configENS1_38merge_sort_block_merge_config_selectorIlNS0_10empty_typeEEEZZNS1_27merge_sort_block_merge_implIS3_PlPS5_mZN2at6native12_GLOBAL__N_124unique_dim_cuda_templateIbEESt5tupleIJNSA_6TensorESF_SF_EERKSF_lbbbEUlllE_EE10hipError_tT0_T1_T2_jT3_P12ihipStream_tbPNSt15iterator_traitsISL_E10value_typeEPNSR_ISM_E10value_typeEPSN_NS1_7vsmem_tEENKUlT_SL_SM_SN_E_clIS8_S8_S9_S9_EESK_S10_SL_SM_SN_EUlS10_E0_NS1_11comp_targetILNS1_3genE9ELNS1_11target_archE1100ELNS1_3gpuE3ELNS1_3repE0EEENS1_38merge_mergepath_config_static_selectorELNS0_4arch9wavefront6targetE1EEEvSM_,comdat
.Lfunc_end1024:
	.size	_ZN7rocprim17ROCPRIM_400000_NS6detail17trampoline_kernelINS0_14default_configENS1_38merge_sort_block_merge_config_selectorIlNS0_10empty_typeEEEZZNS1_27merge_sort_block_merge_implIS3_PlPS5_mZN2at6native12_GLOBAL__N_124unique_dim_cuda_templateIbEESt5tupleIJNSA_6TensorESF_SF_EERKSF_lbbbEUlllE_EE10hipError_tT0_T1_T2_jT3_P12ihipStream_tbPNSt15iterator_traitsISL_E10value_typeEPNSR_ISM_E10value_typeEPSN_NS1_7vsmem_tEENKUlT_SL_SM_SN_E_clIS8_S8_S9_S9_EESK_S10_SL_SM_SN_EUlS10_E0_NS1_11comp_targetILNS1_3genE9ELNS1_11target_archE1100ELNS1_3gpuE3ELNS1_3repE0EEENS1_38merge_mergepath_config_static_selectorELNS0_4arch9wavefront6targetE1EEEvSM_, .Lfunc_end1024-_ZN7rocprim17ROCPRIM_400000_NS6detail17trampoline_kernelINS0_14default_configENS1_38merge_sort_block_merge_config_selectorIlNS0_10empty_typeEEEZZNS1_27merge_sort_block_merge_implIS3_PlPS5_mZN2at6native12_GLOBAL__N_124unique_dim_cuda_templateIbEESt5tupleIJNSA_6TensorESF_SF_EERKSF_lbbbEUlllE_EE10hipError_tT0_T1_T2_jT3_P12ihipStream_tbPNSt15iterator_traitsISL_E10value_typeEPNSR_ISM_E10value_typeEPSN_NS1_7vsmem_tEENKUlT_SL_SM_SN_E_clIS8_S8_S9_S9_EESK_S10_SL_SM_SN_EUlS10_E0_NS1_11comp_targetILNS1_3genE9ELNS1_11target_archE1100ELNS1_3gpuE3ELNS1_3repE0EEENS1_38merge_mergepath_config_static_selectorELNS0_4arch9wavefront6targetE1EEEvSM_
                                        ; -- End function
	.section	.AMDGPU.csdata,"",@progbits
; Kernel info:
; codeLenInByte = 0
; NumSgprs: 6
; NumVgprs: 0
; NumAgprs: 0
; TotalNumVgprs: 0
; ScratchSize: 0
; MemoryBound: 0
; FloatMode: 240
; IeeeMode: 1
; LDSByteSize: 0 bytes/workgroup (compile time only)
; SGPRBlocks: 0
; VGPRBlocks: 0
; NumSGPRsForWavesPerEU: 6
; NumVGPRsForWavesPerEU: 1
; AccumOffset: 4
; Occupancy: 8
; WaveLimiterHint : 0
; COMPUTE_PGM_RSRC2:SCRATCH_EN: 0
; COMPUTE_PGM_RSRC2:USER_SGPR: 2
; COMPUTE_PGM_RSRC2:TRAP_HANDLER: 0
; COMPUTE_PGM_RSRC2:TGID_X_EN: 1
; COMPUTE_PGM_RSRC2:TGID_Y_EN: 0
; COMPUTE_PGM_RSRC2:TGID_Z_EN: 0
; COMPUTE_PGM_RSRC2:TIDIG_COMP_CNT: 0
; COMPUTE_PGM_RSRC3_GFX90A:ACCUM_OFFSET: 0
; COMPUTE_PGM_RSRC3_GFX90A:TG_SPLIT: 0
	.section	.text._ZN7rocprim17ROCPRIM_400000_NS6detail17trampoline_kernelINS0_14default_configENS1_38merge_sort_block_merge_config_selectorIlNS0_10empty_typeEEEZZNS1_27merge_sort_block_merge_implIS3_PlPS5_mZN2at6native12_GLOBAL__N_124unique_dim_cuda_templateIbEESt5tupleIJNSA_6TensorESF_SF_EERKSF_lbbbEUlllE_EE10hipError_tT0_T1_T2_jT3_P12ihipStream_tbPNSt15iterator_traitsISL_E10value_typeEPNSR_ISM_E10value_typeEPSN_NS1_7vsmem_tEENKUlT_SL_SM_SN_E_clIS8_S8_S9_S9_EESK_S10_SL_SM_SN_EUlS10_E0_NS1_11comp_targetILNS1_3genE8ELNS1_11target_archE1030ELNS1_3gpuE2ELNS1_3repE0EEENS1_38merge_mergepath_config_static_selectorELNS0_4arch9wavefront6targetE1EEEvSM_,"axG",@progbits,_ZN7rocprim17ROCPRIM_400000_NS6detail17trampoline_kernelINS0_14default_configENS1_38merge_sort_block_merge_config_selectorIlNS0_10empty_typeEEEZZNS1_27merge_sort_block_merge_implIS3_PlPS5_mZN2at6native12_GLOBAL__N_124unique_dim_cuda_templateIbEESt5tupleIJNSA_6TensorESF_SF_EERKSF_lbbbEUlllE_EE10hipError_tT0_T1_T2_jT3_P12ihipStream_tbPNSt15iterator_traitsISL_E10value_typeEPNSR_ISM_E10value_typeEPSN_NS1_7vsmem_tEENKUlT_SL_SM_SN_E_clIS8_S8_S9_S9_EESK_S10_SL_SM_SN_EUlS10_E0_NS1_11comp_targetILNS1_3genE8ELNS1_11target_archE1030ELNS1_3gpuE2ELNS1_3repE0EEENS1_38merge_mergepath_config_static_selectorELNS0_4arch9wavefront6targetE1EEEvSM_,comdat
	.globl	_ZN7rocprim17ROCPRIM_400000_NS6detail17trampoline_kernelINS0_14default_configENS1_38merge_sort_block_merge_config_selectorIlNS0_10empty_typeEEEZZNS1_27merge_sort_block_merge_implIS3_PlPS5_mZN2at6native12_GLOBAL__N_124unique_dim_cuda_templateIbEESt5tupleIJNSA_6TensorESF_SF_EERKSF_lbbbEUlllE_EE10hipError_tT0_T1_T2_jT3_P12ihipStream_tbPNSt15iterator_traitsISL_E10value_typeEPNSR_ISM_E10value_typeEPSN_NS1_7vsmem_tEENKUlT_SL_SM_SN_E_clIS8_S8_S9_S9_EESK_S10_SL_SM_SN_EUlS10_E0_NS1_11comp_targetILNS1_3genE8ELNS1_11target_archE1030ELNS1_3gpuE2ELNS1_3repE0EEENS1_38merge_mergepath_config_static_selectorELNS0_4arch9wavefront6targetE1EEEvSM_ ; -- Begin function _ZN7rocprim17ROCPRIM_400000_NS6detail17trampoline_kernelINS0_14default_configENS1_38merge_sort_block_merge_config_selectorIlNS0_10empty_typeEEEZZNS1_27merge_sort_block_merge_implIS3_PlPS5_mZN2at6native12_GLOBAL__N_124unique_dim_cuda_templateIbEESt5tupleIJNSA_6TensorESF_SF_EERKSF_lbbbEUlllE_EE10hipError_tT0_T1_T2_jT3_P12ihipStream_tbPNSt15iterator_traitsISL_E10value_typeEPNSR_ISM_E10value_typeEPSN_NS1_7vsmem_tEENKUlT_SL_SM_SN_E_clIS8_S8_S9_S9_EESK_S10_SL_SM_SN_EUlS10_E0_NS1_11comp_targetILNS1_3genE8ELNS1_11target_archE1030ELNS1_3gpuE2ELNS1_3repE0EEENS1_38merge_mergepath_config_static_selectorELNS0_4arch9wavefront6targetE1EEEvSM_
	.p2align	8
	.type	_ZN7rocprim17ROCPRIM_400000_NS6detail17trampoline_kernelINS0_14default_configENS1_38merge_sort_block_merge_config_selectorIlNS0_10empty_typeEEEZZNS1_27merge_sort_block_merge_implIS3_PlPS5_mZN2at6native12_GLOBAL__N_124unique_dim_cuda_templateIbEESt5tupleIJNSA_6TensorESF_SF_EERKSF_lbbbEUlllE_EE10hipError_tT0_T1_T2_jT3_P12ihipStream_tbPNSt15iterator_traitsISL_E10value_typeEPNSR_ISM_E10value_typeEPSN_NS1_7vsmem_tEENKUlT_SL_SM_SN_E_clIS8_S8_S9_S9_EESK_S10_SL_SM_SN_EUlS10_E0_NS1_11comp_targetILNS1_3genE8ELNS1_11target_archE1030ELNS1_3gpuE2ELNS1_3repE0EEENS1_38merge_mergepath_config_static_selectorELNS0_4arch9wavefront6targetE1EEEvSM_,@function
_ZN7rocprim17ROCPRIM_400000_NS6detail17trampoline_kernelINS0_14default_configENS1_38merge_sort_block_merge_config_selectorIlNS0_10empty_typeEEEZZNS1_27merge_sort_block_merge_implIS3_PlPS5_mZN2at6native12_GLOBAL__N_124unique_dim_cuda_templateIbEESt5tupleIJNSA_6TensorESF_SF_EERKSF_lbbbEUlllE_EE10hipError_tT0_T1_T2_jT3_P12ihipStream_tbPNSt15iterator_traitsISL_E10value_typeEPNSR_ISM_E10value_typeEPSN_NS1_7vsmem_tEENKUlT_SL_SM_SN_E_clIS8_S8_S9_S9_EESK_S10_SL_SM_SN_EUlS10_E0_NS1_11comp_targetILNS1_3genE8ELNS1_11target_archE1030ELNS1_3gpuE2ELNS1_3repE0EEENS1_38merge_mergepath_config_static_selectorELNS0_4arch9wavefront6targetE1EEEvSM_: ; @_ZN7rocprim17ROCPRIM_400000_NS6detail17trampoline_kernelINS0_14default_configENS1_38merge_sort_block_merge_config_selectorIlNS0_10empty_typeEEEZZNS1_27merge_sort_block_merge_implIS3_PlPS5_mZN2at6native12_GLOBAL__N_124unique_dim_cuda_templateIbEESt5tupleIJNSA_6TensorESF_SF_EERKSF_lbbbEUlllE_EE10hipError_tT0_T1_T2_jT3_P12ihipStream_tbPNSt15iterator_traitsISL_E10value_typeEPNSR_ISM_E10value_typeEPSN_NS1_7vsmem_tEENKUlT_SL_SM_SN_E_clIS8_S8_S9_S9_EESK_S10_SL_SM_SN_EUlS10_E0_NS1_11comp_targetILNS1_3genE8ELNS1_11target_archE1030ELNS1_3gpuE2ELNS1_3repE0EEENS1_38merge_mergepath_config_static_selectorELNS0_4arch9wavefront6targetE1EEEvSM_
; %bb.0:
	.section	.rodata,"a",@progbits
	.p2align	6, 0x0
	.amdhsa_kernel _ZN7rocprim17ROCPRIM_400000_NS6detail17trampoline_kernelINS0_14default_configENS1_38merge_sort_block_merge_config_selectorIlNS0_10empty_typeEEEZZNS1_27merge_sort_block_merge_implIS3_PlPS5_mZN2at6native12_GLOBAL__N_124unique_dim_cuda_templateIbEESt5tupleIJNSA_6TensorESF_SF_EERKSF_lbbbEUlllE_EE10hipError_tT0_T1_T2_jT3_P12ihipStream_tbPNSt15iterator_traitsISL_E10value_typeEPNSR_ISM_E10value_typeEPSN_NS1_7vsmem_tEENKUlT_SL_SM_SN_E_clIS8_S8_S9_S9_EESK_S10_SL_SM_SN_EUlS10_E0_NS1_11comp_targetILNS1_3genE8ELNS1_11target_archE1030ELNS1_3gpuE2ELNS1_3repE0EEENS1_38merge_mergepath_config_static_selectorELNS0_4arch9wavefront6targetE1EEEvSM_
		.amdhsa_group_segment_fixed_size 0
		.amdhsa_private_segment_fixed_size 0
		.amdhsa_kernarg_size 88
		.amdhsa_user_sgpr_count 2
		.amdhsa_user_sgpr_dispatch_ptr 0
		.amdhsa_user_sgpr_queue_ptr 0
		.amdhsa_user_sgpr_kernarg_segment_ptr 1
		.amdhsa_user_sgpr_dispatch_id 0
		.amdhsa_user_sgpr_kernarg_preload_length 0
		.amdhsa_user_sgpr_kernarg_preload_offset 0
		.amdhsa_user_sgpr_private_segment_size 0
		.amdhsa_uses_dynamic_stack 0
		.amdhsa_enable_private_segment 0
		.amdhsa_system_sgpr_workgroup_id_x 1
		.amdhsa_system_sgpr_workgroup_id_y 0
		.amdhsa_system_sgpr_workgroup_id_z 0
		.amdhsa_system_sgpr_workgroup_info 0
		.amdhsa_system_vgpr_workitem_id 0
		.amdhsa_next_free_vgpr 1
		.amdhsa_next_free_sgpr 0
		.amdhsa_accum_offset 4
		.amdhsa_reserve_vcc 0
		.amdhsa_float_round_mode_32 0
		.amdhsa_float_round_mode_16_64 0
		.amdhsa_float_denorm_mode_32 3
		.amdhsa_float_denorm_mode_16_64 3
		.amdhsa_dx10_clamp 1
		.amdhsa_ieee_mode 1
		.amdhsa_fp16_overflow 0
		.amdhsa_tg_split 0
		.amdhsa_exception_fp_ieee_invalid_op 0
		.amdhsa_exception_fp_denorm_src 0
		.amdhsa_exception_fp_ieee_div_zero 0
		.amdhsa_exception_fp_ieee_overflow 0
		.amdhsa_exception_fp_ieee_underflow 0
		.amdhsa_exception_fp_ieee_inexact 0
		.amdhsa_exception_int_div_zero 0
	.end_amdhsa_kernel
	.section	.text._ZN7rocprim17ROCPRIM_400000_NS6detail17trampoline_kernelINS0_14default_configENS1_38merge_sort_block_merge_config_selectorIlNS0_10empty_typeEEEZZNS1_27merge_sort_block_merge_implIS3_PlPS5_mZN2at6native12_GLOBAL__N_124unique_dim_cuda_templateIbEESt5tupleIJNSA_6TensorESF_SF_EERKSF_lbbbEUlllE_EE10hipError_tT0_T1_T2_jT3_P12ihipStream_tbPNSt15iterator_traitsISL_E10value_typeEPNSR_ISM_E10value_typeEPSN_NS1_7vsmem_tEENKUlT_SL_SM_SN_E_clIS8_S8_S9_S9_EESK_S10_SL_SM_SN_EUlS10_E0_NS1_11comp_targetILNS1_3genE8ELNS1_11target_archE1030ELNS1_3gpuE2ELNS1_3repE0EEENS1_38merge_mergepath_config_static_selectorELNS0_4arch9wavefront6targetE1EEEvSM_,"axG",@progbits,_ZN7rocprim17ROCPRIM_400000_NS6detail17trampoline_kernelINS0_14default_configENS1_38merge_sort_block_merge_config_selectorIlNS0_10empty_typeEEEZZNS1_27merge_sort_block_merge_implIS3_PlPS5_mZN2at6native12_GLOBAL__N_124unique_dim_cuda_templateIbEESt5tupleIJNSA_6TensorESF_SF_EERKSF_lbbbEUlllE_EE10hipError_tT0_T1_T2_jT3_P12ihipStream_tbPNSt15iterator_traitsISL_E10value_typeEPNSR_ISM_E10value_typeEPSN_NS1_7vsmem_tEENKUlT_SL_SM_SN_E_clIS8_S8_S9_S9_EESK_S10_SL_SM_SN_EUlS10_E0_NS1_11comp_targetILNS1_3genE8ELNS1_11target_archE1030ELNS1_3gpuE2ELNS1_3repE0EEENS1_38merge_mergepath_config_static_selectorELNS0_4arch9wavefront6targetE1EEEvSM_,comdat
.Lfunc_end1025:
	.size	_ZN7rocprim17ROCPRIM_400000_NS6detail17trampoline_kernelINS0_14default_configENS1_38merge_sort_block_merge_config_selectorIlNS0_10empty_typeEEEZZNS1_27merge_sort_block_merge_implIS3_PlPS5_mZN2at6native12_GLOBAL__N_124unique_dim_cuda_templateIbEESt5tupleIJNSA_6TensorESF_SF_EERKSF_lbbbEUlllE_EE10hipError_tT0_T1_T2_jT3_P12ihipStream_tbPNSt15iterator_traitsISL_E10value_typeEPNSR_ISM_E10value_typeEPSN_NS1_7vsmem_tEENKUlT_SL_SM_SN_E_clIS8_S8_S9_S9_EESK_S10_SL_SM_SN_EUlS10_E0_NS1_11comp_targetILNS1_3genE8ELNS1_11target_archE1030ELNS1_3gpuE2ELNS1_3repE0EEENS1_38merge_mergepath_config_static_selectorELNS0_4arch9wavefront6targetE1EEEvSM_, .Lfunc_end1025-_ZN7rocprim17ROCPRIM_400000_NS6detail17trampoline_kernelINS0_14default_configENS1_38merge_sort_block_merge_config_selectorIlNS0_10empty_typeEEEZZNS1_27merge_sort_block_merge_implIS3_PlPS5_mZN2at6native12_GLOBAL__N_124unique_dim_cuda_templateIbEESt5tupleIJNSA_6TensorESF_SF_EERKSF_lbbbEUlllE_EE10hipError_tT0_T1_T2_jT3_P12ihipStream_tbPNSt15iterator_traitsISL_E10value_typeEPNSR_ISM_E10value_typeEPSN_NS1_7vsmem_tEENKUlT_SL_SM_SN_E_clIS8_S8_S9_S9_EESK_S10_SL_SM_SN_EUlS10_E0_NS1_11comp_targetILNS1_3genE8ELNS1_11target_archE1030ELNS1_3gpuE2ELNS1_3repE0EEENS1_38merge_mergepath_config_static_selectorELNS0_4arch9wavefront6targetE1EEEvSM_
                                        ; -- End function
	.section	.AMDGPU.csdata,"",@progbits
; Kernel info:
; codeLenInByte = 0
; NumSgprs: 6
; NumVgprs: 0
; NumAgprs: 0
; TotalNumVgprs: 0
; ScratchSize: 0
; MemoryBound: 0
; FloatMode: 240
; IeeeMode: 1
; LDSByteSize: 0 bytes/workgroup (compile time only)
; SGPRBlocks: 0
; VGPRBlocks: 0
; NumSGPRsForWavesPerEU: 6
; NumVGPRsForWavesPerEU: 1
; AccumOffset: 4
; Occupancy: 8
; WaveLimiterHint : 0
; COMPUTE_PGM_RSRC2:SCRATCH_EN: 0
; COMPUTE_PGM_RSRC2:USER_SGPR: 2
; COMPUTE_PGM_RSRC2:TRAP_HANDLER: 0
; COMPUTE_PGM_RSRC2:TGID_X_EN: 1
; COMPUTE_PGM_RSRC2:TGID_Y_EN: 0
; COMPUTE_PGM_RSRC2:TGID_Z_EN: 0
; COMPUTE_PGM_RSRC2:TIDIG_COMP_CNT: 0
; COMPUTE_PGM_RSRC3_GFX90A:ACCUM_OFFSET: 0
; COMPUTE_PGM_RSRC3_GFX90A:TG_SPLIT: 0
	.section	.text._ZN7rocprim17ROCPRIM_400000_NS6detail17trampoline_kernelINS0_14default_configENS1_38merge_sort_block_merge_config_selectorIlNS0_10empty_typeEEEZZNS1_27merge_sort_block_merge_implIS3_PlPS5_mZN2at6native12_GLOBAL__N_124unique_dim_cuda_templateIbEESt5tupleIJNSA_6TensorESF_SF_EERKSF_lbbbEUlllE_EE10hipError_tT0_T1_T2_jT3_P12ihipStream_tbPNSt15iterator_traitsISL_E10value_typeEPNSR_ISM_E10value_typeEPSN_NS1_7vsmem_tEENKUlT_SL_SM_SN_E_clIS8_S8_S9_S9_EESK_S10_SL_SM_SN_EUlS10_E1_NS1_11comp_targetILNS1_3genE0ELNS1_11target_archE4294967295ELNS1_3gpuE0ELNS1_3repE0EEENS1_36merge_oddeven_config_static_selectorELNS0_4arch9wavefront6targetE1EEEvSM_,"axG",@progbits,_ZN7rocprim17ROCPRIM_400000_NS6detail17trampoline_kernelINS0_14default_configENS1_38merge_sort_block_merge_config_selectorIlNS0_10empty_typeEEEZZNS1_27merge_sort_block_merge_implIS3_PlPS5_mZN2at6native12_GLOBAL__N_124unique_dim_cuda_templateIbEESt5tupleIJNSA_6TensorESF_SF_EERKSF_lbbbEUlllE_EE10hipError_tT0_T1_T2_jT3_P12ihipStream_tbPNSt15iterator_traitsISL_E10value_typeEPNSR_ISM_E10value_typeEPSN_NS1_7vsmem_tEENKUlT_SL_SM_SN_E_clIS8_S8_S9_S9_EESK_S10_SL_SM_SN_EUlS10_E1_NS1_11comp_targetILNS1_3genE0ELNS1_11target_archE4294967295ELNS1_3gpuE0ELNS1_3repE0EEENS1_36merge_oddeven_config_static_selectorELNS0_4arch9wavefront6targetE1EEEvSM_,comdat
	.globl	_ZN7rocprim17ROCPRIM_400000_NS6detail17trampoline_kernelINS0_14default_configENS1_38merge_sort_block_merge_config_selectorIlNS0_10empty_typeEEEZZNS1_27merge_sort_block_merge_implIS3_PlPS5_mZN2at6native12_GLOBAL__N_124unique_dim_cuda_templateIbEESt5tupleIJNSA_6TensorESF_SF_EERKSF_lbbbEUlllE_EE10hipError_tT0_T1_T2_jT3_P12ihipStream_tbPNSt15iterator_traitsISL_E10value_typeEPNSR_ISM_E10value_typeEPSN_NS1_7vsmem_tEENKUlT_SL_SM_SN_E_clIS8_S8_S9_S9_EESK_S10_SL_SM_SN_EUlS10_E1_NS1_11comp_targetILNS1_3genE0ELNS1_11target_archE4294967295ELNS1_3gpuE0ELNS1_3repE0EEENS1_36merge_oddeven_config_static_selectorELNS0_4arch9wavefront6targetE1EEEvSM_ ; -- Begin function _ZN7rocprim17ROCPRIM_400000_NS6detail17trampoline_kernelINS0_14default_configENS1_38merge_sort_block_merge_config_selectorIlNS0_10empty_typeEEEZZNS1_27merge_sort_block_merge_implIS3_PlPS5_mZN2at6native12_GLOBAL__N_124unique_dim_cuda_templateIbEESt5tupleIJNSA_6TensorESF_SF_EERKSF_lbbbEUlllE_EE10hipError_tT0_T1_T2_jT3_P12ihipStream_tbPNSt15iterator_traitsISL_E10value_typeEPNSR_ISM_E10value_typeEPSN_NS1_7vsmem_tEENKUlT_SL_SM_SN_E_clIS8_S8_S9_S9_EESK_S10_SL_SM_SN_EUlS10_E1_NS1_11comp_targetILNS1_3genE0ELNS1_11target_archE4294967295ELNS1_3gpuE0ELNS1_3repE0EEENS1_36merge_oddeven_config_static_selectorELNS0_4arch9wavefront6targetE1EEEvSM_
	.p2align	8
	.type	_ZN7rocprim17ROCPRIM_400000_NS6detail17trampoline_kernelINS0_14default_configENS1_38merge_sort_block_merge_config_selectorIlNS0_10empty_typeEEEZZNS1_27merge_sort_block_merge_implIS3_PlPS5_mZN2at6native12_GLOBAL__N_124unique_dim_cuda_templateIbEESt5tupleIJNSA_6TensorESF_SF_EERKSF_lbbbEUlllE_EE10hipError_tT0_T1_T2_jT3_P12ihipStream_tbPNSt15iterator_traitsISL_E10value_typeEPNSR_ISM_E10value_typeEPSN_NS1_7vsmem_tEENKUlT_SL_SM_SN_E_clIS8_S8_S9_S9_EESK_S10_SL_SM_SN_EUlS10_E1_NS1_11comp_targetILNS1_3genE0ELNS1_11target_archE4294967295ELNS1_3gpuE0ELNS1_3repE0EEENS1_36merge_oddeven_config_static_selectorELNS0_4arch9wavefront6targetE1EEEvSM_,@function
_ZN7rocprim17ROCPRIM_400000_NS6detail17trampoline_kernelINS0_14default_configENS1_38merge_sort_block_merge_config_selectorIlNS0_10empty_typeEEEZZNS1_27merge_sort_block_merge_implIS3_PlPS5_mZN2at6native12_GLOBAL__N_124unique_dim_cuda_templateIbEESt5tupleIJNSA_6TensorESF_SF_EERKSF_lbbbEUlllE_EE10hipError_tT0_T1_T2_jT3_P12ihipStream_tbPNSt15iterator_traitsISL_E10value_typeEPNSR_ISM_E10value_typeEPSN_NS1_7vsmem_tEENKUlT_SL_SM_SN_E_clIS8_S8_S9_S9_EESK_S10_SL_SM_SN_EUlS10_E1_NS1_11comp_targetILNS1_3genE0ELNS1_11target_archE4294967295ELNS1_3gpuE0ELNS1_3repE0EEENS1_36merge_oddeven_config_static_selectorELNS0_4arch9wavefront6targetE1EEEvSM_: ; @_ZN7rocprim17ROCPRIM_400000_NS6detail17trampoline_kernelINS0_14default_configENS1_38merge_sort_block_merge_config_selectorIlNS0_10empty_typeEEEZZNS1_27merge_sort_block_merge_implIS3_PlPS5_mZN2at6native12_GLOBAL__N_124unique_dim_cuda_templateIbEESt5tupleIJNSA_6TensorESF_SF_EERKSF_lbbbEUlllE_EE10hipError_tT0_T1_T2_jT3_P12ihipStream_tbPNSt15iterator_traitsISL_E10value_typeEPNSR_ISM_E10value_typeEPSN_NS1_7vsmem_tEENKUlT_SL_SM_SN_E_clIS8_S8_S9_S9_EESK_S10_SL_SM_SN_EUlS10_E1_NS1_11comp_targetILNS1_3genE0ELNS1_11target_archE4294967295ELNS1_3gpuE0ELNS1_3repE0EEENS1_36merge_oddeven_config_static_selectorELNS0_4arch9wavefront6targetE1EEEvSM_
; %bb.0:
	.section	.rodata,"a",@progbits
	.p2align	6, 0x0
	.amdhsa_kernel _ZN7rocprim17ROCPRIM_400000_NS6detail17trampoline_kernelINS0_14default_configENS1_38merge_sort_block_merge_config_selectorIlNS0_10empty_typeEEEZZNS1_27merge_sort_block_merge_implIS3_PlPS5_mZN2at6native12_GLOBAL__N_124unique_dim_cuda_templateIbEESt5tupleIJNSA_6TensorESF_SF_EERKSF_lbbbEUlllE_EE10hipError_tT0_T1_T2_jT3_P12ihipStream_tbPNSt15iterator_traitsISL_E10value_typeEPNSR_ISM_E10value_typeEPSN_NS1_7vsmem_tEENKUlT_SL_SM_SN_E_clIS8_S8_S9_S9_EESK_S10_SL_SM_SN_EUlS10_E1_NS1_11comp_targetILNS1_3genE0ELNS1_11target_archE4294967295ELNS1_3gpuE0ELNS1_3repE0EEENS1_36merge_oddeven_config_static_selectorELNS0_4arch9wavefront6targetE1EEEvSM_
		.amdhsa_group_segment_fixed_size 0
		.amdhsa_private_segment_fixed_size 0
		.amdhsa_kernarg_size 64
		.amdhsa_user_sgpr_count 2
		.amdhsa_user_sgpr_dispatch_ptr 0
		.amdhsa_user_sgpr_queue_ptr 0
		.amdhsa_user_sgpr_kernarg_segment_ptr 1
		.amdhsa_user_sgpr_dispatch_id 0
		.amdhsa_user_sgpr_kernarg_preload_length 0
		.amdhsa_user_sgpr_kernarg_preload_offset 0
		.amdhsa_user_sgpr_private_segment_size 0
		.amdhsa_uses_dynamic_stack 0
		.amdhsa_enable_private_segment 0
		.amdhsa_system_sgpr_workgroup_id_x 1
		.amdhsa_system_sgpr_workgroup_id_y 0
		.amdhsa_system_sgpr_workgroup_id_z 0
		.amdhsa_system_sgpr_workgroup_info 0
		.amdhsa_system_vgpr_workitem_id 0
		.amdhsa_next_free_vgpr 1
		.amdhsa_next_free_sgpr 0
		.amdhsa_accum_offset 4
		.amdhsa_reserve_vcc 0
		.amdhsa_float_round_mode_32 0
		.amdhsa_float_round_mode_16_64 0
		.amdhsa_float_denorm_mode_32 3
		.amdhsa_float_denorm_mode_16_64 3
		.amdhsa_dx10_clamp 1
		.amdhsa_ieee_mode 1
		.amdhsa_fp16_overflow 0
		.amdhsa_tg_split 0
		.amdhsa_exception_fp_ieee_invalid_op 0
		.amdhsa_exception_fp_denorm_src 0
		.amdhsa_exception_fp_ieee_div_zero 0
		.amdhsa_exception_fp_ieee_overflow 0
		.amdhsa_exception_fp_ieee_underflow 0
		.amdhsa_exception_fp_ieee_inexact 0
		.amdhsa_exception_int_div_zero 0
	.end_amdhsa_kernel
	.section	.text._ZN7rocprim17ROCPRIM_400000_NS6detail17trampoline_kernelINS0_14default_configENS1_38merge_sort_block_merge_config_selectorIlNS0_10empty_typeEEEZZNS1_27merge_sort_block_merge_implIS3_PlPS5_mZN2at6native12_GLOBAL__N_124unique_dim_cuda_templateIbEESt5tupleIJNSA_6TensorESF_SF_EERKSF_lbbbEUlllE_EE10hipError_tT0_T1_T2_jT3_P12ihipStream_tbPNSt15iterator_traitsISL_E10value_typeEPNSR_ISM_E10value_typeEPSN_NS1_7vsmem_tEENKUlT_SL_SM_SN_E_clIS8_S8_S9_S9_EESK_S10_SL_SM_SN_EUlS10_E1_NS1_11comp_targetILNS1_3genE0ELNS1_11target_archE4294967295ELNS1_3gpuE0ELNS1_3repE0EEENS1_36merge_oddeven_config_static_selectorELNS0_4arch9wavefront6targetE1EEEvSM_,"axG",@progbits,_ZN7rocprim17ROCPRIM_400000_NS6detail17trampoline_kernelINS0_14default_configENS1_38merge_sort_block_merge_config_selectorIlNS0_10empty_typeEEEZZNS1_27merge_sort_block_merge_implIS3_PlPS5_mZN2at6native12_GLOBAL__N_124unique_dim_cuda_templateIbEESt5tupleIJNSA_6TensorESF_SF_EERKSF_lbbbEUlllE_EE10hipError_tT0_T1_T2_jT3_P12ihipStream_tbPNSt15iterator_traitsISL_E10value_typeEPNSR_ISM_E10value_typeEPSN_NS1_7vsmem_tEENKUlT_SL_SM_SN_E_clIS8_S8_S9_S9_EESK_S10_SL_SM_SN_EUlS10_E1_NS1_11comp_targetILNS1_3genE0ELNS1_11target_archE4294967295ELNS1_3gpuE0ELNS1_3repE0EEENS1_36merge_oddeven_config_static_selectorELNS0_4arch9wavefront6targetE1EEEvSM_,comdat
.Lfunc_end1026:
	.size	_ZN7rocprim17ROCPRIM_400000_NS6detail17trampoline_kernelINS0_14default_configENS1_38merge_sort_block_merge_config_selectorIlNS0_10empty_typeEEEZZNS1_27merge_sort_block_merge_implIS3_PlPS5_mZN2at6native12_GLOBAL__N_124unique_dim_cuda_templateIbEESt5tupleIJNSA_6TensorESF_SF_EERKSF_lbbbEUlllE_EE10hipError_tT0_T1_T2_jT3_P12ihipStream_tbPNSt15iterator_traitsISL_E10value_typeEPNSR_ISM_E10value_typeEPSN_NS1_7vsmem_tEENKUlT_SL_SM_SN_E_clIS8_S8_S9_S9_EESK_S10_SL_SM_SN_EUlS10_E1_NS1_11comp_targetILNS1_3genE0ELNS1_11target_archE4294967295ELNS1_3gpuE0ELNS1_3repE0EEENS1_36merge_oddeven_config_static_selectorELNS0_4arch9wavefront6targetE1EEEvSM_, .Lfunc_end1026-_ZN7rocprim17ROCPRIM_400000_NS6detail17trampoline_kernelINS0_14default_configENS1_38merge_sort_block_merge_config_selectorIlNS0_10empty_typeEEEZZNS1_27merge_sort_block_merge_implIS3_PlPS5_mZN2at6native12_GLOBAL__N_124unique_dim_cuda_templateIbEESt5tupleIJNSA_6TensorESF_SF_EERKSF_lbbbEUlllE_EE10hipError_tT0_T1_T2_jT3_P12ihipStream_tbPNSt15iterator_traitsISL_E10value_typeEPNSR_ISM_E10value_typeEPSN_NS1_7vsmem_tEENKUlT_SL_SM_SN_E_clIS8_S8_S9_S9_EESK_S10_SL_SM_SN_EUlS10_E1_NS1_11comp_targetILNS1_3genE0ELNS1_11target_archE4294967295ELNS1_3gpuE0ELNS1_3repE0EEENS1_36merge_oddeven_config_static_selectorELNS0_4arch9wavefront6targetE1EEEvSM_
                                        ; -- End function
	.section	.AMDGPU.csdata,"",@progbits
; Kernel info:
; codeLenInByte = 0
; NumSgprs: 6
; NumVgprs: 0
; NumAgprs: 0
; TotalNumVgprs: 0
; ScratchSize: 0
; MemoryBound: 0
; FloatMode: 240
; IeeeMode: 1
; LDSByteSize: 0 bytes/workgroup (compile time only)
; SGPRBlocks: 0
; VGPRBlocks: 0
; NumSGPRsForWavesPerEU: 6
; NumVGPRsForWavesPerEU: 1
; AccumOffset: 4
; Occupancy: 8
; WaveLimiterHint : 0
; COMPUTE_PGM_RSRC2:SCRATCH_EN: 0
; COMPUTE_PGM_RSRC2:USER_SGPR: 2
; COMPUTE_PGM_RSRC2:TRAP_HANDLER: 0
; COMPUTE_PGM_RSRC2:TGID_X_EN: 1
; COMPUTE_PGM_RSRC2:TGID_Y_EN: 0
; COMPUTE_PGM_RSRC2:TGID_Z_EN: 0
; COMPUTE_PGM_RSRC2:TIDIG_COMP_CNT: 0
; COMPUTE_PGM_RSRC3_GFX90A:ACCUM_OFFSET: 0
; COMPUTE_PGM_RSRC3_GFX90A:TG_SPLIT: 0
	.section	.text._ZN7rocprim17ROCPRIM_400000_NS6detail17trampoline_kernelINS0_14default_configENS1_38merge_sort_block_merge_config_selectorIlNS0_10empty_typeEEEZZNS1_27merge_sort_block_merge_implIS3_PlPS5_mZN2at6native12_GLOBAL__N_124unique_dim_cuda_templateIbEESt5tupleIJNSA_6TensorESF_SF_EERKSF_lbbbEUlllE_EE10hipError_tT0_T1_T2_jT3_P12ihipStream_tbPNSt15iterator_traitsISL_E10value_typeEPNSR_ISM_E10value_typeEPSN_NS1_7vsmem_tEENKUlT_SL_SM_SN_E_clIS8_S8_S9_S9_EESK_S10_SL_SM_SN_EUlS10_E1_NS1_11comp_targetILNS1_3genE10ELNS1_11target_archE1201ELNS1_3gpuE5ELNS1_3repE0EEENS1_36merge_oddeven_config_static_selectorELNS0_4arch9wavefront6targetE1EEEvSM_,"axG",@progbits,_ZN7rocprim17ROCPRIM_400000_NS6detail17trampoline_kernelINS0_14default_configENS1_38merge_sort_block_merge_config_selectorIlNS0_10empty_typeEEEZZNS1_27merge_sort_block_merge_implIS3_PlPS5_mZN2at6native12_GLOBAL__N_124unique_dim_cuda_templateIbEESt5tupleIJNSA_6TensorESF_SF_EERKSF_lbbbEUlllE_EE10hipError_tT0_T1_T2_jT3_P12ihipStream_tbPNSt15iterator_traitsISL_E10value_typeEPNSR_ISM_E10value_typeEPSN_NS1_7vsmem_tEENKUlT_SL_SM_SN_E_clIS8_S8_S9_S9_EESK_S10_SL_SM_SN_EUlS10_E1_NS1_11comp_targetILNS1_3genE10ELNS1_11target_archE1201ELNS1_3gpuE5ELNS1_3repE0EEENS1_36merge_oddeven_config_static_selectorELNS0_4arch9wavefront6targetE1EEEvSM_,comdat
	.globl	_ZN7rocprim17ROCPRIM_400000_NS6detail17trampoline_kernelINS0_14default_configENS1_38merge_sort_block_merge_config_selectorIlNS0_10empty_typeEEEZZNS1_27merge_sort_block_merge_implIS3_PlPS5_mZN2at6native12_GLOBAL__N_124unique_dim_cuda_templateIbEESt5tupleIJNSA_6TensorESF_SF_EERKSF_lbbbEUlllE_EE10hipError_tT0_T1_T2_jT3_P12ihipStream_tbPNSt15iterator_traitsISL_E10value_typeEPNSR_ISM_E10value_typeEPSN_NS1_7vsmem_tEENKUlT_SL_SM_SN_E_clIS8_S8_S9_S9_EESK_S10_SL_SM_SN_EUlS10_E1_NS1_11comp_targetILNS1_3genE10ELNS1_11target_archE1201ELNS1_3gpuE5ELNS1_3repE0EEENS1_36merge_oddeven_config_static_selectorELNS0_4arch9wavefront6targetE1EEEvSM_ ; -- Begin function _ZN7rocprim17ROCPRIM_400000_NS6detail17trampoline_kernelINS0_14default_configENS1_38merge_sort_block_merge_config_selectorIlNS0_10empty_typeEEEZZNS1_27merge_sort_block_merge_implIS3_PlPS5_mZN2at6native12_GLOBAL__N_124unique_dim_cuda_templateIbEESt5tupleIJNSA_6TensorESF_SF_EERKSF_lbbbEUlllE_EE10hipError_tT0_T1_T2_jT3_P12ihipStream_tbPNSt15iterator_traitsISL_E10value_typeEPNSR_ISM_E10value_typeEPSN_NS1_7vsmem_tEENKUlT_SL_SM_SN_E_clIS8_S8_S9_S9_EESK_S10_SL_SM_SN_EUlS10_E1_NS1_11comp_targetILNS1_3genE10ELNS1_11target_archE1201ELNS1_3gpuE5ELNS1_3repE0EEENS1_36merge_oddeven_config_static_selectorELNS0_4arch9wavefront6targetE1EEEvSM_
	.p2align	8
	.type	_ZN7rocprim17ROCPRIM_400000_NS6detail17trampoline_kernelINS0_14default_configENS1_38merge_sort_block_merge_config_selectorIlNS0_10empty_typeEEEZZNS1_27merge_sort_block_merge_implIS3_PlPS5_mZN2at6native12_GLOBAL__N_124unique_dim_cuda_templateIbEESt5tupleIJNSA_6TensorESF_SF_EERKSF_lbbbEUlllE_EE10hipError_tT0_T1_T2_jT3_P12ihipStream_tbPNSt15iterator_traitsISL_E10value_typeEPNSR_ISM_E10value_typeEPSN_NS1_7vsmem_tEENKUlT_SL_SM_SN_E_clIS8_S8_S9_S9_EESK_S10_SL_SM_SN_EUlS10_E1_NS1_11comp_targetILNS1_3genE10ELNS1_11target_archE1201ELNS1_3gpuE5ELNS1_3repE0EEENS1_36merge_oddeven_config_static_selectorELNS0_4arch9wavefront6targetE1EEEvSM_,@function
_ZN7rocprim17ROCPRIM_400000_NS6detail17trampoline_kernelINS0_14default_configENS1_38merge_sort_block_merge_config_selectorIlNS0_10empty_typeEEEZZNS1_27merge_sort_block_merge_implIS3_PlPS5_mZN2at6native12_GLOBAL__N_124unique_dim_cuda_templateIbEESt5tupleIJNSA_6TensorESF_SF_EERKSF_lbbbEUlllE_EE10hipError_tT0_T1_T2_jT3_P12ihipStream_tbPNSt15iterator_traitsISL_E10value_typeEPNSR_ISM_E10value_typeEPSN_NS1_7vsmem_tEENKUlT_SL_SM_SN_E_clIS8_S8_S9_S9_EESK_S10_SL_SM_SN_EUlS10_E1_NS1_11comp_targetILNS1_3genE10ELNS1_11target_archE1201ELNS1_3gpuE5ELNS1_3repE0EEENS1_36merge_oddeven_config_static_selectorELNS0_4arch9wavefront6targetE1EEEvSM_: ; @_ZN7rocprim17ROCPRIM_400000_NS6detail17trampoline_kernelINS0_14default_configENS1_38merge_sort_block_merge_config_selectorIlNS0_10empty_typeEEEZZNS1_27merge_sort_block_merge_implIS3_PlPS5_mZN2at6native12_GLOBAL__N_124unique_dim_cuda_templateIbEESt5tupleIJNSA_6TensorESF_SF_EERKSF_lbbbEUlllE_EE10hipError_tT0_T1_T2_jT3_P12ihipStream_tbPNSt15iterator_traitsISL_E10value_typeEPNSR_ISM_E10value_typeEPSN_NS1_7vsmem_tEENKUlT_SL_SM_SN_E_clIS8_S8_S9_S9_EESK_S10_SL_SM_SN_EUlS10_E1_NS1_11comp_targetILNS1_3genE10ELNS1_11target_archE1201ELNS1_3gpuE5ELNS1_3repE0EEENS1_36merge_oddeven_config_static_selectorELNS0_4arch9wavefront6targetE1EEEvSM_
; %bb.0:
	.section	.rodata,"a",@progbits
	.p2align	6, 0x0
	.amdhsa_kernel _ZN7rocprim17ROCPRIM_400000_NS6detail17trampoline_kernelINS0_14default_configENS1_38merge_sort_block_merge_config_selectorIlNS0_10empty_typeEEEZZNS1_27merge_sort_block_merge_implIS3_PlPS5_mZN2at6native12_GLOBAL__N_124unique_dim_cuda_templateIbEESt5tupleIJNSA_6TensorESF_SF_EERKSF_lbbbEUlllE_EE10hipError_tT0_T1_T2_jT3_P12ihipStream_tbPNSt15iterator_traitsISL_E10value_typeEPNSR_ISM_E10value_typeEPSN_NS1_7vsmem_tEENKUlT_SL_SM_SN_E_clIS8_S8_S9_S9_EESK_S10_SL_SM_SN_EUlS10_E1_NS1_11comp_targetILNS1_3genE10ELNS1_11target_archE1201ELNS1_3gpuE5ELNS1_3repE0EEENS1_36merge_oddeven_config_static_selectorELNS0_4arch9wavefront6targetE1EEEvSM_
		.amdhsa_group_segment_fixed_size 0
		.amdhsa_private_segment_fixed_size 0
		.amdhsa_kernarg_size 64
		.amdhsa_user_sgpr_count 2
		.amdhsa_user_sgpr_dispatch_ptr 0
		.amdhsa_user_sgpr_queue_ptr 0
		.amdhsa_user_sgpr_kernarg_segment_ptr 1
		.amdhsa_user_sgpr_dispatch_id 0
		.amdhsa_user_sgpr_kernarg_preload_length 0
		.amdhsa_user_sgpr_kernarg_preload_offset 0
		.amdhsa_user_sgpr_private_segment_size 0
		.amdhsa_uses_dynamic_stack 0
		.amdhsa_enable_private_segment 0
		.amdhsa_system_sgpr_workgroup_id_x 1
		.amdhsa_system_sgpr_workgroup_id_y 0
		.amdhsa_system_sgpr_workgroup_id_z 0
		.amdhsa_system_sgpr_workgroup_info 0
		.amdhsa_system_vgpr_workitem_id 0
		.amdhsa_next_free_vgpr 1
		.amdhsa_next_free_sgpr 0
		.amdhsa_accum_offset 4
		.amdhsa_reserve_vcc 0
		.amdhsa_float_round_mode_32 0
		.amdhsa_float_round_mode_16_64 0
		.amdhsa_float_denorm_mode_32 3
		.amdhsa_float_denorm_mode_16_64 3
		.amdhsa_dx10_clamp 1
		.amdhsa_ieee_mode 1
		.amdhsa_fp16_overflow 0
		.amdhsa_tg_split 0
		.amdhsa_exception_fp_ieee_invalid_op 0
		.amdhsa_exception_fp_denorm_src 0
		.amdhsa_exception_fp_ieee_div_zero 0
		.amdhsa_exception_fp_ieee_overflow 0
		.amdhsa_exception_fp_ieee_underflow 0
		.amdhsa_exception_fp_ieee_inexact 0
		.amdhsa_exception_int_div_zero 0
	.end_amdhsa_kernel
	.section	.text._ZN7rocprim17ROCPRIM_400000_NS6detail17trampoline_kernelINS0_14default_configENS1_38merge_sort_block_merge_config_selectorIlNS0_10empty_typeEEEZZNS1_27merge_sort_block_merge_implIS3_PlPS5_mZN2at6native12_GLOBAL__N_124unique_dim_cuda_templateIbEESt5tupleIJNSA_6TensorESF_SF_EERKSF_lbbbEUlllE_EE10hipError_tT0_T1_T2_jT3_P12ihipStream_tbPNSt15iterator_traitsISL_E10value_typeEPNSR_ISM_E10value_typeEPSN_NS1_7vsmem_tEENKUlT_SL_SM_SN_E_clIS8_S8_S9_S9_EESK_S10_SL_SM_SN_EUlS10_E1_NS1_11comp_targetILNS1_3genE10ELNS1_11target_archE1201ELNS1_3gpuE5ELNS1_3repE0EEENS1_36merge_oddeven_config_static_selectorELNS0_4arch9wavefront6targetE1EEEvSM_,"axG",@progbits,_ZN7rocprim17ROCPRIM_400000_NS6detail17trampoline_kernelINS0_14default_configENS1_38merge_sort_block_merge_config_selectorIlNS0_10empty_typeEEEZZNS1_27merge_sort_block_merge_implIS3_PlPS5_mZN2at6native12_GLOBAL__N_124unique_dim_cuda_templateIbEESt5tupleIJNSA_6TensorESF_SF_EERKSF_lbbbEUlllE_EE10hipError_tT0_T1_T2_jT3_P12ihipStream_tbPNSt15iterator_traitsISL_E10value_typeEPNSR_ISM_E10value_typeEPSN_NS1_7vsmem_tEENKUlT_SL_SM_SN_E_clIS8_S8_S9_S9_EESK_S10_SL_SM_SN_EUlS10_E1_NS1_11comp_targetILNS1_3genE10ELNS1_11target_archE1201ELNS1_3gpuE5ELNS1_3repE0EEENS1_36merge_oddeven_config_static_selectorELNS0_4arch9wavefront6targetE1EEEvSM_,comdat
.Lfunc_end1027:
	.size	_ZN7rocprim17ROCPRIM_400000_NS6detail17trampoline_kernelINS0_14default_configENS1_38merge_sort_block_merge_config_selectorIlNS0_10empty_typeEEEZZNS1_27merge_sort_block_merge_implIS3_PlPS5_mZN2at6native12_GLOBAL__N_124unique_dim_cuda_templateIbEESt5tupleIJNSA_6TensorESF_SF_EERKSF_lbbbEUlllE_EE10hipError_tT0_T1_T2_jT3_P12ihipStream_tbPNSt15iterator_traitsISL_E10value_typeEPNSR_ISM_E10value_typeEPSN_NS1_7vsmem_tEENKUlT_SL_SM_SN_E_clIS8_S8_S9_S9_EESK_S10_SL_SM_SN_EUlS10_E1_NS1_11comp_targetILNS1_3genE10ELNS1_11target_archE1201ELNS1_3gpuE5ELNS1_3repE0EEENS1_36merge_oddeven_config_static_selectorELNS0_4arch9wavefront6targetE1EEEvSM_, .Lfunc_end1027-_ZN7rocprim17ROCPRIM_400000_NS6detail17trampoline_kernelINS0_14default_configENS1_38merge_sort_block_merge_config_selectorIlNS0_10empty_typeEEEZZNS1_27merge_sort_block_merge_implIS3_PlPS5_mZN2at6native12_GLOBAL__N_124unique_dim_cuda_templateIbEESt5tupleIJNSA_6TensorESF_SF_EERKSF_lbbbEUlllE_EE10hipError_tT0_T1_T2_jT3_P12ihipStream_tbPNSt15iterator_traitsISL_E10value_typeEPNSR_ISM_E10value_typeEPSN_NS1_7vsmem_tEENKUlT_SL_SM_SN_E_clIS8_S8_S9_S9_EESK_S10_SL_SM_SN_EUlS10_E1_NS1_11comp_targetILNS1_3genE10ELNS1_11target_archE1201ELNS1_3gpuE5ELNS1_3repE0EEENS1_36merge_oddeven_config_static_selectorELNS0_4arch9wavefront6targetE1EEEvSM_
                                        ; -- End function
	.section	.AMDGPU.csdata,"",@progbits
; Kernel info:
; codeLenInByte = 0
; NumSgprs: 6
; NumVgprs: 0
; NumAgprs: 0
; TotalNumVgprs: 0
; ScratchSize: 0
; MemoryBound: 0
; FloatMode: 240
; IeeeMode: 1
; LDSByteSize: 0 bytes/workgroup (compile time only)
; SGPRBlocks: 0
; VGPRBlocks: 0
; NumSGPRsForWavesPerEU: 6
; NumVGPRsForWavesPerEU: 1
; AccumOffset: 4
; Occupancy: 8
; WaveLimiterHint : 0
; COMPUTE_PGM_RSRC2:SCRATCH_EN: 0
; COMPUTE_PGM_RSRC2:USER_SGPR: 2
; COMPUTE_PGM_RSRC2:TRAP_HANDLER: 0
; COMPUTE_PGM_RSRC2:TGID_X_EN: 1
; COMPUTE_PGM_RSRC2:TGID_Y_EN: 0
; COMPUTE_PGM_RSRC2:TGID_Z_EN: 0
; COMPUTE_PGM_RSRC2:TIDIG_COMP_CNT: 0
; COMPUTE_PGM_RSRC3_GFX90A:ACCUM_OFFSET: 0
; COMPUTE_PGM_RSRC3_GFX90A:TG_SPLIT: 0
	.section	.text._ZN7rocprim17ROCPRIM_400000_NS6detail17trampoline_kernelINS0_14default_configENS1_38merge_sort_block_merge_config_selectorIlNS0_10empty_typeEEEZZNS1_27merge_sort_block_merge_implIS3_PlPS5_mZN2at6native12_GLOBAL__N_124unique_dim_cuda_templateIbEESt5tupleIJNSA_6TensorESF_SF_EERKSF_lbbbEUlllE_EE10hipError_tT0_T1_T2_jT3_P12ihipStream_tbPNSt15iterator_traitsISL_E10value_typeEPNSR_ISM_E10value_typeEPSN_NS1_7vsmem_tEENKUlT_SL_SM_SN_E_clIS8_S8_S9_S9_EESK_S10_SL_SM_SN_EUlS10_E1_NS1_11comp_targetILNS1_3genE5ELNS1_11target_archE942ELNS1_3gpuE9ELNS1_3repE0EEENS1_36merge_oddeven_config_static_selectorELNS0_4arch9wavefront6targetE1EEEvSM_,"axG",@progbits,_ZN7rocprim17ROCPRIM_400000_NS6detail17trampoline_kernelINS0_14default_configENS1_38merge_sort_block_merge_config_selectorIlNS0_10empty_typeEEEZZNS1_27merge_sort_block_merge_implIS3_PlPS5_mZN2at6native12_GLOBAL__N_124unique_dim_cuda_templateIbEESt5tupleIJNSA_6TensorESF_SF_EERKSF_lbbbEUlllE_EE10hipError_tT0_T1_T2_jT3_P12ihipStream_tbPNSt15iterator_traitsISL_E10value_typeEPNSR_ISM_E10value_typeEPSN_NS1_7vsmem_tEENKUlT_SL_SM_SN_E_clIS8_S8_S9_S9_EESK_S10_SL_SM_SN_EUlS10_E1_NS1_11comp_targetILNS1_3genE5ELNS1_11target_archE942ELNS1_3gpuE9ELNS1_3repE0EEENS1_36merge_oddeven_config_static_selectorELNS0_4arch9wavefront6targetE1EEEvSM_,comdat
	.globl	_ZN7rocprim17ROCPRIM_400000_NS6detail17trampoline_kernelINS0_14default_configENS1_38merge_sort_block_merge_config_selectorIlNS0_10empty_typeEEEZZNS1_27merge_sort_block_merge_implIS3_PlPS5_mZN2at6native12_GLOBAL__N_124unique_dim_cuda_templateIbEESt5tupleIJNSA_6TensorESF_SF_EERKSF_lbbbEUlllE_EE10hipError_tT0_T1_T2_jT3_P12ihipStream_tbPNSt15iterator_traitsISL_E10value_typeEPNSR_ISM_E10value_typeEPSN_NS1_7vsmem_tEENKUlT_SL_SM_SN_E_clIS8_S8_S9_S9_EESK_S10_SL_SM_SN_EUlS10_E1_NS1_11comp_targetILNS1_3genE5ELNS1_11target_archE942ELNS1_3gpuE9ELNS1_3repE0EEENS1_36merge_oddeven_config_static_selectorELNS0_4arch9wavefront6targetE1EEEvSM_ ; -- Begin function _ZN7rocprim17ROCPRIM_400000_NS6detail17trampoline_kernelINS0_14default_configENS1_38merge_sort_block_merge_config_selectorIlNS0_10empty_typeEEEZZNS1_27merge_sort_block_merge_implIS3_PlPS5_mZN2at6native12_GLOBAL__N_124unique_dim_cuda_templateIbEESt5tupleIJNSA_6TensorESF_SF_EERKSF_lbbbEUlllE_EE10hipError_tT0_T1_T2_jT3_P12ihipStream_tbPNSt15iterator_traitsISL_E10value_typeEPNSR_ISM_E10value_typeEPSN_NS1_7vsmem_tEENKUlT_SL_SM_SN_E_clIS8_S8_S9_S9_EESK_S10_SL_SM_SN_EUlS10_E1_NS1_11comp_targetILNS1_3genE5ELNS1_11target_archE942ELNS1_3gpuE9ELNS1_3repE0EEENS1_36merge_oddeven_config_static_selectorELNS0_4arch9wavefront6targetE1EEEvSM_
	.p2align	8
	.type	_ZN7rocprim17ROCPRIM_400000_NS6detail17trampoline_kernelINS0_14default_configENS1_38merge_sort_block_merge_config_selectorIlNS0_10empty_typeEEEZZNS1_27merge_sort_block_merge_implIS3_PlPS5_mZN2at6native12_GLOBAL__N_124unique_dim_cuda_templateIbEESt5tupleIJNSA_6TensorESF_SF_EERKSF_lbbbEUlllE_EE10hipError_tT0_T1_T2_jT3_P12ihipStream_tbPNSt15iterator_traitsISL_E10value_typeEPNSR_ISM_E10value_typeEPSN_NS1_7vsmem_tEENKUlT_SL_SM_SN_E_clIS8_S8_S9_S9_EESK_S10_SL_SM_SN_EUlS10_E1_NS1_11comp_targetILNS1_3genE5ELNS1_11target_archE942ELNS1_3gpuE9ELNS1_3repE0EEENS1_36merge_oddeven_config_static_selectorELNS0_4arch9wavefront6targetE1EEEvSM_,@function
_ZN7rocprim17ROCPRIM_400000_NS6detail17trampoline_kernelINS0_14default_configENS1_38merge_sort_block_merge_config_selectorIlNS0_10empty_typeEEEZZNS1_27merge_sort_block_merge_implIS3_PlPS5_mZN2at6native12_GLOBAL__N_124unique_dim_cuda_templateIbEESt5tupleIJNSA_6TensorESF_SF_EERKSF_lbbbEUlllE_EE10hipError_tT0_T1_T2_jT3_P12ihipStream_tbPNSt15iterator_traitsISL_E10value_typeEPNSR_ISM_E10value_typeEPSN_NS1_7vsmem_tEENKUlT_SL_SM_SN_E_clIS8_S8_S9_S9_EESK_S10_SL_SM_SN_EUlS10_E1_NS1_11comp_targetILNS1_3genE5ELNS1_11target_archE942ELNS1_3gpuE9ELNS1_3repE0EEENS1_36merge_oddeven_config_static_selectorELNS0_4arch9wavefront6targetE1EEEvSM_: ; @_ZN7rocprim17ROCPRIM_400000_NS6detail17trampoline_kernelINS0_14default_configENS1_38merge_sort_block_merge_config_selectorIlNS0_10empty_typeEEEZZNS1_27merge_sort_block_merge_implIS3_PlPS5_mZN2at6native12_GLOBAL__N_124unique_dim_cuda_templateIbEESt5tupleIJNSA_6TensorESF_SF_EERKSF_lbbbEUlllE_EE10hipError_tT0_T1_T2_jT3_P12ihipStream_tbPNSt15iterator_traitsISL_E10value_typeEPNSR_ISM_E10value_typeEPSN_NS1_7vsmem_tEENKUlT_SL_SM_SN_E_clIS8_S8_S9_S9_EESK_S10_SL_SM_SN_EUlS10_E1_NS1_11comp_targetILNS1_3genE5ELNS1_11target_archE942ELNS1_3gpuE9ELNS1_3repE0EEENS1_36merge_oddeven_config_static_selectorELNS0_4arch9wavefront6targetE1EEEvSM_
; %bb.0:
	s_load_dword s22, s[0:1], 0x20
	s_waitcnt lgkmcnt(0)
	s_lshr_b32 s3, s22, 8
	s_cmp_lg_u32 s2, s3
	s_cselect_b64 s[12:13], -1, 0
	s_cmp_eq_u32 s2, s3
	s_cselect_b64 s[18:19], -1, 0
	s_lshl_b32 s20, s2, 8
	s_sub_i32 s3, s22, s20
	v_cmp_gt_u32_e64 s[4:5], s3, v0
	s_or_b64 s[6:7], s[12:13], s[4:5]
	s_and_saveexec_b64 s[8:9], s[6:7]
	s_cbranch_execz .LBB1028_54
; %bb.1:
	s_load_dwordx4 s[8:11], s[0:1], 0x0
	s_load_dword s23, s[0:1], 0x28
	s_mov_b32 s21, 0
	s_lshl_b64 s[6:7], s[20:21], 3
	v_lshlrev_b32_e32 v1, 3, v0
	s_waitcnt lgkmcnt(0)
	s_add_u32 s6, s8, s6
	s_addc_u32 s7, s9, s7
	global_load_dwordx2 v[2:3], v1, s[6:7]
	s_lshr_b32 s3, s23, 8
	s_sub_i32 s6, 0, s3
	s_and_b32 s2, s2, s6
	s_and_b32 s3, s2, s3
	s_cmp_lg_u32 s3, 0
	s_cselect_b64 s[6:7], -1, 0
	s_lshl_b32 s21, s2, 8
	s_sub_i32 s2, 0, s23
	s_cmp_eq_u32 s3, 0
	s_cselect_b32 s33, s23, s2
	s_add_i32 s33, s33, s21
	s_cmp_lt_u32 s33, s22
	s_cbranch_scc1 .LBB1028_3
; %bb.2:
	v_add_u32_e32 v4, s20, v0
	v_cmp_gt_u32_e32 vcc, s22, v4
	s_or_b64 s[12:13], vcc, s[12:13]
	s_and_b64 s[16:17], s[12:13], exec
	s_cbranch_execz .LBB1028_4
	s_branch .LBB1028_52
.LBB1028_3:
	s_mov_b64 s[16:17], 0
                                        ; implicit-def: $vgpr4
.LBB1028_4:
	s_load_dwordx4 s[12:15], s[0:1], 0x30
	s_min_u32 s40, s33, s22
	s_add_i32 s0, s40, s23
	s_min_u32 s41, s0, s22
	s_min_u32 s0, s21, s40
	v_add_u32_e32 v0, s20, v0
	s_add_i32 s21, s21, s40
	v_subrev_u32_e32 v0, s21, v0
	v_add_u32_e32 v14, s0, v0
	s_and_b64 vcc, exec, s[18:19]
	s_cbranch_vccz .LBB1028_26
; %bb.5:
                                        ; implicit-def: $vgpr4
	s_and_saveexec_b64 s[18:19], s[4:5]
	s_cbranch_execz .LBB1028_29
; %bb.6:
	s_cmp_ge_u32 s33, s41
	v_mov_b32_e32 v15, s40
	s_cbranch_scc1 .LBB1028_28
; %bb.7:
	s_waitcnt lgkmcnt(0)
	v_mov_b64_e32 v[0:1], s[14:15]
	s_waitcnt vmcnt(0)
	v_mad_u64_u32 v[4:5], s[0:1], v2, s12, v[0:1]
	v_mul_lo_u32 v6, v2, s13
	v_mul_lo_u32 v7, v3, s12
	v_add3_u32 v5, v7, v5, v6
	v_cndmask_b32_e64 v6, 0, 1, s[6:7]
	v_cmp_gt_i64_e64 s[2:3], s[12:13], 0
	v_cmp_ne_u32_e64 s[0:1], 1, v6
	s_mov_b64 s[20:21], 0
	v_cndmask_b32_e64 v6, 0, 1, s[2:3]
	v_mov_b32_e32 v16, s41
	v_mov_b32_e32 v15, s40
	;; [unrolled: 1-line block ×3, first 2 shown]
	v_cmp_ne_u32_e64 s[2:3], 1, v6
	s_branch .LBB1028_10
.LBB1028_8:                             ;   in Loop: Header=BB1028_10 Depth=1
	s_or_b64 exec, exec, s[24:25]
.LBB1028_9:                             ;   in Loop: Header=BB1028_10 Depth=1
	s_waitcnt vmcnt(0)
	v_add_u32_e32 v8, 1, v6
	v_cndmask_b32_e64 v16, v6, v16, s[22:23]
	v_cndmask_b32_e64 v15, v15, v8, s[22:23]
	v_cmp_ge_u32_e32 vcc, v15, v16
	s_or_b64 s[20:21], vcc, s[20:21]
	s_andn2_b64 exec, exec, s[20:21]
	s_cbranch_execz .LBB1028_27
.LBB1028_10:                            ; =>This Loop Header: Depth=1
                                        ;     Child Loop BB1028_14 Depth 2
                                        ;     Child Loop BB1028_23 Depth 2
	v_add_u32_e32 v6, v15, v16
	v_lshrrev_b32_e32 v6, 1, v6
	v_lshl_add_u64 v[8:9], v[6:7], 3, s[8:9]
	global_load_dwordx2 v[8:9], v[8:9], off
	s_and_b64 vcc, exec, s[0:1]
	s_mov_b64 s[4:5], -1
                                        ; implicit-def: $sgpr22_sgpr23
	s_cbranch_vccnz .LBB1028_19
; %bb.11:                               ;   in Loop: Header=BB1028_10 Depth=1
	s_and_b64 vcc, exec, s[2:3]
	s_cbranch_vccnz .LBB1028_17
; %bb.12:                               ;   in Loop: Header=BB1028_10 Depth=1
	s_waitcnt vmcnt(0)
	v_mad_u64_u32 v[10:11], s[4:5], v8, s12, v[0:1]
	v_mul_lo_u32 v12, v8, s13
	v_mul_lo_u32 v13, v9, s12
	v_add3_u32 v11, v13, v11, v12
	s_mov_b64 s[24:25], 0
	s_mov_b64 s[30:31], s[12:13]
	v_mov_b64_e32 v[12:13], v[4:5]
                                        ; implicit-def: $sgpr22_sgpr23
                                        ; implicit-def: $sgpr26_sgpr27
                                        ; implicit-def: $sgpr28_sgpr29
                                        ; implicit-def: $sgpr4_sgpr5
                                        ; implicit-def: $sgpr34_sgpr35
	s_branch .LBB1028_14
.LBB1028_13:                            ;   in Loop: Header=BB1028_14 Depth=2
	s_or_b64 exec, exec, s[36:37]
	s_and_b64 s[36:37], exec, s[26:27]
	s_or_b64 s[24:25], s[36:37], s[24:25]
	s_andn2_b64 s[34:35], s[34:35], exec
	s_and_b64 s[36:37], s[28:29], exec
	s_or_b64 s[34:35], s[34:35], s[36:37]
	s_andn2_b64 s[22:23], s[22:23], exec
	s_and_b64 s[36:37], s[4:5], exec
	s_or_b64 s[22:23], s[22:23], s[36:37]
	s_andn2_b64 exec, exec, s[24:25]
	s_cbranch_execz .LBB1028_16
.LBB1028_14:                            ;   Parent Loop BB1028_10 Depth=1
                                        ; =>  This Inner Loop Header: Depth=2
	global_load_ubyte v17, v[12:13], off
	global_load_ubyte v18, v[10:11], off
	s_andn2_b64 s[36:37], s[4:5], exec
	s_andn2_b64 s[28:29], s[28:29], exec
	s_or_b64 s[26:27], s[26:27], exec
	s_waitcnt vmcnt(1)
	v_cmp_eq_u16_e32 vcc, 0, v17
	s_waitcnt vmcnt(0)
	v_cmp_ne_u16_e64 s[4:5], 0, v18
	s_or_b64 s[42:43], vcc, s[4:5]
	s_and_b64 s[38:39], vcc, s[4:5]
	s_xor_b64 s[44:45], vcc, s[4:5]
	s_and_b64 s[4:5], s[42:43], s[34:35]
	s_or_b64 s[38:39], s[38:39], s[4:5]
	s_and_b64 s[4:5], s[38:39], exec
	s_or_b64 s[4:5], s[36:37], s[4:5]
	s_and_saveexec_b64 s[36:37], s[44:45]
	s_cbranch_execz .LBB1028_13
; %bb.15:                               ;   in Loop: Header=BB1028_14 Depth=2
	s_add_u32 s30, s30, -1
	s_addc_u32 s31, s31, -1
	s_cmp_eq_u64 s[30:31], 0
	s_cselect_b64 s[34:35], -1, 0
	s_andn2_b64 s[28:29], s[28:29], exec
	s_and_b64 s[38:39], s[38:39], exec
	s_andn2_b64 s[26:27], s[26:27], exec
	s_and_b64 s[34:35], s[34:35], exec
	v_lshl_add_u64 v[12:13], v[12:13], 0, 1
	v_lshl_add_u64 v[10:11], v[10:11], 0, 1
	s_andn2_b64 s[4:5], s[4:5], exec
	s_or_b64 s[28:29], s[28:29], s[38:39]
	s_or_b64 s[26:27], s[26:27], s[34:35]
                                        ; implicit-def: $sgpr34_sgpr35
	s_branch .LBB1028_13
.LBB1028_16:                            ;   in Loop: Header=BB1028_10 Depth=1
	s_or_b64 exec, exec, s[24:25]
	s_branch .LBB1028_18
.LBB1028_17:                            ;   in Loop: Header=BB1028_10 Depth=1
	s_mov_b64 s[22:23], 0
.LBB1028_18:                            ;   in Loop: Header=BB1028_10 Depth=1
	s_xor_b64 s[22:23], s[22:23], -1
	s_mov_b64 s[4:5], 0
.LBB1028_19:                            ;   in Loop: Header=BB1028_10 Depth=1
	s_and_b64 vcc, exec, s[4:5]
	s_cbranch_vccz .LBB1028_9
; %bb.20:                               ;   in Loop: Header=BB1028_10 Depth=1
	s_and_b64 vcc, exec, s[2:3]
	s_cbranch_vccnz .LBB1028_25
; %bb.21:                               ;   in Loop: Header=BB1028_10 Depth=1
	s_waitcnt vmcnt(0)
	v_mad_u64_u32 v[10:11], s[4:5], v8, s12, v[0:1]
	v_mul_lo_u32 v8, v8, s13
	v_mul_lo_u32 v9, v9, s12
	v_add3_u32 v11, v9, v11, v8
	s_mov_b64 s[24:25], 0
	s_mov_b64 s[30:31], s[12:13]
	v_mov_b64_e32 v[8:9], v[4:5]
                                        ; implicit-def: $sgpr22_sgpr23
                                        ; implicit-def: $sgpr26_sgpr27
                                        ; implicit-def: $sgpr28_sgpr29
                                        ; implicit-def: $sgpr4_sgpr5
                                        ; implicit-def: $sgpr34_sgpr35
	s_branch .LBB1028_23
.LBB1028_22:                            ;   in Loop: Header=BB1028_23 Depth=2
	s_or_b64 exec, exec, s[36:37]
	s_and_b64 s[36:37], exec, s[26:27]
	s_or_b64 s[24:25], s[36:37], s[24:25]
	s_andn2_b64 s[34:35], s[34:35], exec
	s_and_b64 s[36:37], s[28:29], exec
	s_or_b64 s[34:35], s[34:35], s[36:37]
	s_andn2_b64 s[22:23], s[22:23], exec
	s_and_b64 s[36:37], s[4:5], exec
	s_or_b64 s[22:23], s[22:23], s[36:37]
	s_andn2_b64 exec, exec, s[24:25]
	s_cbranch_execz .LBB1028_8
.LBB1028_23:                            ;   Parent Loop BB1028_10 Depth=1
                                        ; =>  This Inner Loop Header: Depth=2
	global_load_ubyte v12, v[10:11], off
	global_load_ubyte v13, v[8:9], off
	s_andn2_b64 s[36:37], s[4:5], exec
	s_andn2_b64 s[28:29], s[28:29], exec
	s_or_b64 s[26:27], s[26:27], exec
	s_waitcnt vmcnt(1)
	v_cmp_eq_u16_e32 vcc, 0, v12
	s_waitcnt vmcnt(0)
	v_cmp_ne_u16_e64 s[4:5], 0, v13
	s_or_b64 s[42:43], vcc, s[4:5]
	s_and_b64 s[38:39], vcc, s[4:5]
	s_xor_b64 s[44:45], vcc, s[4:5]
	s_and_b64 s[4:5], s[42:43], s[34:35]
	s_or_b64 s[38:39], s[38:39], s[4:5]
	s_and_b64 s[4:5], s[38:39], exec
	s_or_b64 s[4:5], s[36:37], s[4:5]
	s_and_saveexec_b64 s[36:37], s[44:45]
	s_cbranch_execz .LBB1028_22
; %bb.24:                               ;   in Loop: Header=BB1028_23 Depth=2
	s_add_u32 s30, s30, -1
	s_addc_u32 s31, s31, -1
	s_cmp_eq_u64 s[30:31], 0
	s_cselect_b64 s[34:35], -1, 0
	s_andn2_b64 s[28:29], s[28:29], exec
	s_and_b64 s[38:39], s[38:39], exec
	s_andn2_b64 s[26:27], s[26:27], exec
	s_and_b64 s[34:35], s[34:35], exec
	v_lshl_add_u64 v[10:11], v[10:11], 0, 1
	v_lshl_add_u64 v[8:9], v[8:9], 0, 1
	s_andn2_b64 s[4:5], s[4:5], exec
	s_or_b64 s[28:29], s[28:29], s[38:39]
	s_or_b64 s[26:27], s[26:27], s[34:35]
                                        ; implicit-def: $sgpr34_sgpr35
	s_branch .LBB1028_22
.LBB1028_25:                            ;   in Loop: Header=BB1028_10 Depth=1
	s_mov_b64 s[22:23], 0
	s_branch .LBB1028_9
.LBB1028_26:
                                        ; implicit-def: $vgpr4
	s_cbranch_execnz .LBB1028_30
	s_branch .LBB1028_52
.LBB1028_27:
	s_or_b64 exec, exec, s[20:21]
.LBB1028_28:
	v_add_u32_e32 v4, v15, v14
	s_or_b64 s[16:17], s[16:17], exec
.LBB1028_29:
	s_or_b64 exec, exec, s[18:19]
	s_branch .LBB1028_52
.LBB1028_30:
	s_cmp_ge_u32 s33, s41
	v_mov_b32_e32 v15, s40
	s_cbranch_scc1 .LBB1028_51
; %bb.31:
	s_waitcnt lgkmcnt(0)
	v_mov_b64_e32 v[0:1], s[14:15]
	s_waitcnt vmcnt(0)
	v_mad_u64_u32 v[4:5], s[0:1], v2, s12, v[0:1]
	v_mul_lo_u32 v6, v2, s13
	v_mul_lo_u32 v7, v3, s12
	v_add3_u32 v5, v7, v5, v6
	v_cndmask_b32_e64 v6, 0, 1, s[6:7]
	v_cmp_gt_i64_e64 s[2:3], s[12:13], 0
	v_cmp_ne_u32_e64 s[0:1], 1, v6
	s_mov_b64 s[16:17], 0
	v_cndmask_b32_e64 v6, 0, 1, s[2:3]
	v_mov_b32_e32 v16, s41
	v_mov_b32_e32 v15, s40
	v_mov_b32_e32 v7, 0
	v_cmp_ne_u32_e64 s[2:3], 1, v6
	s_branch .LBB1028_34
.LBB1028_32:                            ;   in Loop: Header=BB1028_34 Depth=1
	s_or_b64 exec, exec, s[14:15]
.LBB1028_33:                            ;   in Loop: Header=BB1028_34 Depth=1
	s_waitcnt vmcnt(0)
	v_add_u32_e32 v8, 1, v6
	v_cndmask_b32_e64 v16, v6, v16, s[6:7]
	v_cndmask_b32_e64 v15, v15, v8, s[6:7]
	v_cmp_ge_u32_e32 vcc, v15, v16
	s_or_b64 s[16:17], vcc, s[16:17]
	s_andn2_b64 exec, exec, s[16:17]
	s_cbranch_execz .LBB1028_50
.LBB1028_34:                            ; =>This Loop Header: Depth=1
                                        ;     Child Loop BB1028_38 Depth 2
                                        ;     Child Loop BB1028_47 Depth 2
	v_add_u32_e32 v6, v15, v16
	v_lshrrev_b32_e32 v6, 1, v6
	v_lshl_add_u64 v[8:9], v[6:7], 3, s[8:9]
	global_load_dwordx2 v[8:9], v[8:9], off
	s_and_b64 vcc, exec, s[0:1]
	s_mov_b64 s[4:5], -1
                                        ; implicit-def: $sgpr6_sgpr7
	s_cbranch_vccnz .LBB1028_43
; %bb.35:                               ;   in Loop: Header=BB1028_34 Depth=1
	s_and_b64 vcc, exec, s[2:3]
	s_cbranch_vccnz .LBB1028_41
; %bb.36:                               ;   in Loop: Header=BB1028_34 Depth=1
	s_waitcnt vmcnt(0)
	v_mad_u64_u32 v[10:11], s[4:5], v8, s12, v[0:1]
	v_mul_lo_u32 v12, v8, s13
	v_mul_lo_u32 v13, v9, s12
	v_add3_u32 v11, v13, v11, v12
	s_mov_b64 s[14:15], 0
	s_mov_b64 s[22:23], s[12:13]
	v_mov_b64_e32 v[12:13], v[4:5]
                                        ; implicit-def: $sgpr6_sgpr7
                                        ; implicit-def: $sgpr18_sgpr19
                                        ; implicit-def: $sgpr20_sgpr21
                                        ; implicit-def: $sgpr4_sgpr5
                                        ; implicit-def: $sgpr24_sgpr25
	s_branch .LBB1028_38
.LBB1028_37:                            ;   in Loop: Header=BB1028_38 Depth=2
	s_or_b64 exec, exec, s[26:27]
	s_and_b64 s[26:27], exec, s[18:19]
	s_or_b64 s[14:15], s[26:27], s[14:15]
	s_andn2_b64 s[24:25], s[24:25], exec
	s_and_b64 s[26:27], s[20:21], exec
	s_or_b64 s[24:25], s[24:25], s[26:27]
	s_andn2_b64 s[6:7], s[6:7], exec
	s_and_b64 s[26:27], s[4:5], exec
	s_or_b64 s[6:7], s[6:7], s[26:27]
	s_andn2_b64 exec, exec, s[14:15]
	s_cbranch_execz .LBB1028_40
.LBB1028_38:                            ;   Parent Loop BB1028_34 Depth=1
                                        ; =>  This Inner Loop Header: Depth=2
	global_load_ubyte v17, v[12:13], off
	global_load_ubyte v18, v[10:11], off
	s_andn2_b64 s[26:27], s[4:5], exec
	s_andn2_b64 s[20:21], s[20:21], exec
	s_or_b64 s[18:19], s[18:19], exec
	s_waitcnt vmcnt(1)
	v_cmp_eq_u16_e32 vcc, 0, v17
	s_waitcnt vmcnt(0)
	v_cmp_ne_u16_e64 s[4:5], 0, v18
	s_or_b64 s[30:31], vcc, s[4:5]
	s_and_b64 s[28:29], vcc, s[4:5]
	s_xor_b64 s[34:35], vcc, s[4:5]
	s_and_b64 s[4:5], s[30:31], s[24:25]
	s_or_b64 s[28:29], s[28:29], s[4:5]
	s_and_b64 s[4:5], s[28:29], exec
	s_or_b64 s[4:5], s[26:27], s[4:5]
	s_and_saveexec_b64 s[26:27], s[34:35]
	s_cbranch_execz .LBB1028_37
; %bb.39:                               ;   in Loop: Header=BB1028_38 Depth=2
	s_add_u32 s22, s22, -1
	s_addc_u32 s23, s23, -1
	s_cmp_eq_u64 s[22:23], 0
	s_cselect_b64 s[24:25], -1, 0
	s_andn2_b64 s[20:21], s[20:21], exec
	s_and_b64 s[28:29], s[28:29], exec
	s_andn2_b64 s[18:19], s[18:19], exec
	s_and_b64 s[24:25], s[24:25], exec
	v_lshl_add_u64 v[12:13], v[12:13], 0, 1
	v_lshl_add_u64 v[10:11], v[10:11], 0, 1
	s_andn2_b64 s[4:5], s[4:5], exec
	s_or_b64 s[20:21], s[20:21], s[28:29]
	s_or_b64 s[18:19], s[18:19], s[24:25]
                                        ; implicit-def: $sgpr24_sgpr25
	s_branch .LBB1028_37
.LBB1028_40:                            ;   in Loop: Header=BB1028_34 Depth=1
	s_or_b64 exec, exec, s[14:15]
	s_branch .LBB1028_42
.LBB1028_41:                            ;   in Loop: Header=BB1028_34 Depth=1
	s_mov_b64 s[6:7], 0
.LBB1028_42:                            ;   in Loop: Header=BB1028_34 Depth=1
	s_xor_b64 s[6:7], s[6:7], -1
	s_mov_b64 s[4:5], 0
.LBB1028_43:                            ;   in Loop: Header=BB1028_34 Depth=1
	s_and_b64 vcc, exec, s[4:5]
	s_cbranch_vccz .LBB1028_33
; %bb.44:                               ;   in Loop: Header=BB1028_34 Depth=1
	s_and_b64 vcc, exec, s[2:3]
	s_cbranch_vccnz .LBB1028_49
; %bb.45:                               ;   in Loop: Header=BB1028_34 Depth=1
	s_waitcnt vmcnt(0)
	v_mad_u64_u32 v[10:11], s[4:5], v8, s12, v[0:1]
	v_mul_lo_u32 v8, v8, s13
	v_mul_lo_u32 v9, v9, s12
	v_add3_u32 v11, v9, v11, v8
	s_mov_b64 s[14:15], 0
	s_mov_b64 s[22:23], s[12:13]
	v_mov_b64_e32 v[8:9], v[4:5]
                                        ; implicit-def: $sgpr6_sgpr7
                                        ; implicit-def: $sgpr18_sgpr19
                                        ; implicit-def: $sgpr20_sgpr21
                                        ; implicit-def: $sgpr4_sgpr5
                                        ; implicit-def: $sgpr24_sgpr25
	s_branch .LBB1028_47
.LBB1028_46:                            ;   in Loop: Header=BB1028_47 Depth=2
	s_or_b64 exec, exec, s[26:27]
	s_and_b64 s[26:27], exec, s[18:19]
	s_or_b64 s[14:15], s[26:27], s[14:15]
	s_andn2_b64 s[24:25], s[24:25], exec
	s_and_b64 s[26:27], s[20:21], exec
	s_or_b64 s[24:25], s[24:25], s[26:27]
	s_andn2_b64 s[6:7], s[6:7], exec
	s_and_b64 s[26:27], s[4:5], exec
	s_or_b64 s[6:7], s[6:7], s[26:27]
	s_andn2_b64 exec, exec, s[14:15]
	s_cbranch_execz .LBB1028_32
.LBB1028_47:                            ;   Parent Loop BB1028_34 Depth=1
                                        ; =>  This Inner Loop Header: Depth=2
	global_load_ubyte v12, v[10:11], off
	global_load_ubyte v13, v[8:9], off
	s_andn2_b64 s[26:27], s[4:5], exec
	s_andn2_b64 s[20:21], s[20:21], exec
	s_or_b64 s[18:19], s[18:19], exec
	s_waitcnt vmcnt(1)
	v_cmp_eq_u16_e32 vcc, 0, v12
	s_waitcnt vmcnt(0)
	v_cmp_ne_u16_e64 s[4:5], 0, v13
	s_or_b64 s[30:31], vcc, s[4:5]
	s_and_b64 s[28:29], vcc, s[4:5]
	s_xor_b64 s[34:35], vcc, s[4:5]
	s_and_b64 s[4:5], s[30:31], s[24:25]
	s_or_b64 s[28:29], s[28:29], s[4:5]
	s_and_b64 s[4:5], s[28:29], exec
	s_or_b64 s[4:5], s[26:27], s[4:5]
	s_and_saveexec_b64 s[26:27], s[34:35]
	s_cbranch_execz .LBB1028_46
; %bb.48:                               ;   in Loop: Header=BB1028_47 Depth=2
	s_add_u32 s22, s22, -1
	s_addc_u32 s23, s23, -1
	s_cmp_eq_u64 s[22:23], 0
	s_cselect_b64 s[24:25], -1, 0
	s_andn2_b64 s[20:21], s[20:21], exec
	s_and_b64 s[28:29], s[28:29], exec
	s_andn2_b64 s[18:19], s[18:19], exec
	s_and_b64 s[24:25], s[24:25], exec
	v_lshl_add_u64 v[10:11], v[10:11], 0, 1
	v_lshl_add_u64 v[8:9], v[8:9], 0, 1
	s_andn2_b64 s[4:5], s[4:5], exec
	s_or_b64 s[20:21], s[20:21], s[28:29]
	s_or_b64 s[18:19], s[18:19], s[24:25]
                                        ; implicit-def: $sgpr24_sgpr25
	s_branch .LBB1028_46
.LBB1028_49:                            ;   in Loop: Header=BB1028_34 Depth=1
	s_mov_b64 s[6:7], 0
	s_branch .LBB1028_33
.LBB1028_50:
	s_or_b64 exec, exec, s[16:17]
.LBB1028_51:
	v_add_u32_e32 v4, v15, v14
	s_mov_b64 s[16:17], -1
.LBB1028_52:
	s_and_b64 exec, exec, s[16:17]
	s_cbranch_execz .LBB1028_54
; %bb.53:
	v_mov_b32_e32 v0, s10
	v_mov_b32_e32 v1, s11
	v_mov_b32_e32 v5, 0
	v_lshl_add_u64 v[0:1], v[4:5], 3, v[0:1]
	s_waitcnt vmcnt(0)
	global_store_dwordx2 v[0:1], v[2:3], off
.LBB1028_54:
	s_endpgm
	.section	.rodata,"a",@progbits
	.p2align	6, 0x0
	.amdhsa_kernel _ZN7rocprim17ROCPRIM_400000_NS6detail17trampoline_kernelINS0_14default_configENS1_38merge_sort_block_merge_config_selectorIlNS0_10empty_typeEEEZZNS1_27merge_sort_block_merge_implIS3_PlPS5_mZN2at6native12_GLOBAL__N_124unique_dim_cuda_templateIbEESt5tupleIJNSA_6TensorESF_SF_EERKSF_lbbbEUlllE_EE10hipError_tT0_T1_T2_jT3_P12ihipStream_tbPNSt15iterator_traitsISL_E10value_typeEPNSR_ISM_E10value_typeEPSN_NS1_7vsmem_tEENKUlT_SL_SM_SN_E_clIS8_S8_S9_S9_EESK_S10_SL_SM_SN_EUlS10_E1_NS1_11comp_targetILNS1_3genE5ELNS1_11target_archE942ELNS1_3gpuE9ELNS1_3repE0EEENS1_36merge_oddeven_config_static_selectorELNS0_4arch9wavefront6targetE1EEEvSM_
		.amdhsa_group_segment_fixed_size 0
		.amdhsa_private_segment_fixed_size 0
		.amdhsa_kernarg_size 64
		.amdhsa_user_sgpr_count 2
		.amdhsa_user_sgpr_dispatch_ptr 0
		.amdhsa_user_sgpr_queue_ptr 0
		.amdhsa_user_sgpr_kernarg_segment_ptr 1
		.amdhsa_user_sgpr_dispatch_id 0
		.amdhsa_user_sgpr_kernarg_preload_length 0
		.amdhsa_user_sgpr_kernarg_preload_offset 0
		.amdhsa_user_sgpr_private_segment_size 0
		.amdhsa_uses_dynamic_stack 0
		.amdhsa_enable_private_segment 0
		.amdhsa_system_sgpr_workgroup_id_x 1
		.amdhsa_system_sgpr_workgroup_id_y 0
		.amdhsa_system_sgpr_workgroup_id_z 0
		.amdhsa_system_sgpr_workgroup_info 0
		.amdhsa_system_vgpr_workitem_id 0
		.amdhsa_next_free_vgpr 19
		.amdhsa_next_free_sgpr 46
		.amdhsa_accum_offset 20
		.amdhsa_reserve_vcc 1
		.amdhsa_float_round_mode_32 0
		.amdhsa_float_round_mode_16_64 0
		.amdhsa_float_denorm_mode_32 3
		.amdhsa_float_denorm_mode_16_64 3
		.amdhsa_dx10_clamp 1
		.amdhsa_ieee_mode 1
		.amdhsa_fp16_overflow 0
		.amdhsa_tg_split 0
		.amdhsa_exception_fp_ieee_invalid_op 0
		.amdhsa_exception_fp_denorm_src 0
		.amdhsa_exception_fp_ieee_div_zero 0
		.amdhsa_exception_fp_ieee_overflow 0
		.amdhsa_exception_fp_ieee_underflow 0
		.amdhsa_exception_fp_ieee_inexact 0
		.amdhsa_exception_int_div_zero 0
	.end_amdhsa_kernel
	.section	.text._ZN7rocprim17ROCPRIM_400000_NS6detail17trampoline_kernelINS0_14default_configENS1_38merge_sort_block_merge_config_selectorIlNS0_10empty_typeEEEZZNS1_27merge_sort_block_merge_implIS3_PlPS5_mZN2at6native12_GLOBAL__N_124unique_dim_cuda_templateIbEESt5tupleIJNSA_6TensorESF_SF_EERKSF_lbbbEUlllE_EE10hipError_tT0_T1_T2_jT3_P12ihipStream_tbPNSt15iterator_traitsISL_E10value_typeEPNSR_ISM_E10value_typeEPSN_NS1_7vsmem_tEENKUlT_SL_SM_SN_E_clIS8_S8_S9_S9_EESK_S10_SL_SM_SN_EUlS10_E1_NS1_11comp_targetILNS1_3genE5ELNS1_11target_archE942ELNS1_3gpuE9ELNS1_3repE0EEENS1_36merge_oddeven_config_static_selectorELNS0_4arch9wavefront6targetE1EEEvSM_,"axG",@progbits,_ZN7rocprim17ROCPRIM_400000_NS6detail17trampoline_kernelINS0_14default_configENS1_38merge_sort_block_merge_config_selectorIlNS0_10empty_typeEEEZZNS1_27merge_sort_block_merge_implIS3_PlPS5_mZN2at6native12_GLOBAL__N_124unique_dim_cuda_templateIbEESt5tupleIJNSA_6TensorESF_SF_EERKSF_lbbbEUlllE_EE10hipError_tT0_T1_T2_jT3_P12ihipStream_tbPNSt15iterator_traitsISL_E10value_typeEPNSR_ISM_E10value_typeEPSN_NS1_7vsmem_tEENKUlT_SL_SM_SN_E_clIS8_S8_S9_S9_EESK_S10_SL_SM_SN_EUlS10_E1_NS1_11comp_targetILNS1_3genE5ELNS1_11target_archE942ELNS1_3gpuE9ELNS1_3repE0EEENS1_36merge_oddeven_config_static_selectorELNS0_4arch9wavefront6targetE1EEEvSM_,comdat
.Lfunc_end1028:
	.size	_ZN7rocprim17ROCPRIM_400000_NS6detail17trampoline_kernelINS0_14default_configENS1_38merge_sort_block_merge_config_selectorIlNS0_10empty_typeEEEZZNS1_27merge_sort_block_merge_implIS3_PlPS5_mZN2at6native12_GLOBAL__N_124unique_dim_cuda_templateIbEESt5tupleIJNSA_6TensorESF_SF_EERKSF_lbbbEUlllE_EE10hipError_tT0_T1_T2_jT3_P12ihipStream_tbPNSt15iterator_traitsISL_E10value_typeEPNSR_ISM_E10value_typeEPSN_NS1_7vsmem_tEENKUlT_SL_SM_SN_E_clIS8_S8_S9_S9_EESK_S10_SL_SM_SN_EUlS10_E1_NS1_11comp_targetILNS1_3genE5ELNS1_11target_archE942ELNS1_3gpuE9ELNS1_3repE0EEENS1_36merge_oddeven_config_static_selectorELNS0_4arch9wavefront6targetE1EEEvSM_, .Lfunc_end1028-_ZN7rocprim17ROCPRIM_400000_NS6detail17trampoline_kernelINS0_14default_configENS1_38merge_sort_block_merge_config_selectorIlNS0_10empty_typeEEEZZNS1_27merge_sort_block_merge_implIS3_PlPS5_mZN2at6native12_GLOBAL__N_124unique_dim_cuda_templateIbEESt5tupleIJNSA_6TensorESF_SF_EERKSF_lbbbEUlllE_EE10hipError_tT0_T1_T2_jT3_P12ihipStream_tbPNSt15iterator_traitsISL_E10value_typeEPNSR_ISM_E10value_typeEPSN_NS1_7vsmem_tEENKUlT_SL_SM_SN_E_clIS8_S8_S9_S9_EESK_S10_SL_SM_SN_EUlS10_E1_NS1_11comp_targetILNS1_3genE5ELNS1_11target_archE942ELNS1_3gpuE9ELNS1_3repE0EEENS1_36merge_oddeven_config_static_selectorELNS0_4arch9wavefront6targetE1EEEvSM_
                                        ; -- End function
	.section	.AMDGPU.csdata,"",@progbits
; Kernel info:
; codeLenInByte = 1800
; NumSgprs: 52
; NumVgprs: 19
; NumAgprs: 0
; TotalNumVgprs: 19
; ScratchSize: 0
; MemoryBound: 0
; FloatMode: 240
; IeeeMode: 1
; LDSByteSize: 0 bytes/workgroup (compile time only)
; SGPRBlocks: 6
; VGPRBlocks: 2
; NumSGPRsForWavesPerEU: 52
; NumVGPRsForWavesPerEU: 19
; AccumOffset: 20
; Occupancy: 8
; WaveLimiterHint : 0
; COMPUTE_PGM_RSRC2:SCRATCH_EN: 0
; COMPUTE_PGM_RSRC2:USER_SGPR: 2
; COMPUTE_PGM_RSRC2:TRAP_HANDLER: 0
; COMPUTE_PGM_RSRC2:TGID_X_EN: 1
; COMPUTE_PGM_RSRC2:TGID_Y_EN: 0
; COMPUTE_PGM_RSRC2:TGID_Z_EN: 0
; COMPUTE_PGM_RSRC2:TIDIG_COMP_CNT: 0
; COMPUTE_PGM_RSRC3_GFX90A:ACCUM_OFFSET: 4
; COMPUTE_PGM_RSRC3_GFX90A:TG_SPLIT: 0
	.section	.text._ZN7rocprim17ROCPRIM_400000_NS6detail17trampoline_kernelINS0_14default_configENS1_38merge_sort_block_merge_config_selectorIlNS0_10empty_typeEEEZZNS1_27merge_sort_block_merge_implIS3_PlPS5_mZN2at6native12_GLOBAL__N_124unique_dim_cuda_templateIbEESt5tupleIJNSA_6TensorESF_SF_EERKSF_lbbbEUlllE_EE10hipError_tT0_T1_T2_jT3_P12ihipStream_tbPNSt15iterator_traitsISL_E10value_typeEPNSR_ISM_E10value_typeEPSN_NS1_7vsmem_tEENKUlT_SL_SM_SN_E_clIS8_S8_S9_S9_EESK_S10_SL_SM_SN_EUlS10_E1_NS1_11comp_targetILNS1_3genE4ELNS1_11target_archE910ELNS1_3gpuE8ELNS1_3repE0EEENS1_36merge_oddeven_config_static_selectorELNS0_4arch9wavefront6targetE1EEEvSM_,"axG",@progbits,_ZN7rocprim17ROCPRIM_400000_NS6detail17trampoline_kernelINS0_14default_configENS1_38merge_sort_block_merge_config_selectorIlNS0_10empty_typeEEEZZNS1_27merge_sort_block_merge_implIS3_PlPS5_mZN2at6native12_GLOBAL__N_124unique_dim_cuda_templateIbEESt5tupleIJNSA_6TensorESF_SF_EERKSF_lbbbEUlllE_EE10hipError_tT0_T1_T2_jT3_P12ihipStream_tbPNSt15iterator_traitsISL_E10value_typeEPNSR_ISM_E10value_typeEPSN_NS1_7vsmem_tEENKUlT_SL_SM_SN_E_clIS8_S8_S9_S9_EESK_S10_SL_SM_SN_EUlS10_E1_NS1_11comp_targetILNS1_3genE4ELNS1_11target_archE910ELNS1_3gpuE8ELNS1_3repE0EEENS1_36merge_oddeven_config_static_selectorELNS0_4arch9wavefront6targetE1EEEvSM_,comdat
	.globl	_ZN7rocprim17ROCPRIM_400000_NS6detail17trampoline_kernelINS0_14default_configENS1_38merge_sort_block_merge_config_selectorIlNS0_10empty_typeEEEZZNS1_27merge_sort_block_merge_implIS3_PlPS5_mZN2at6native12_GLOBAL__N_124unique_dim_cuda_templateIbEESt5tupleIJNSA_6TensorESF_SF_EERKSF_lbbbEUlllE_EE10hipError_tT0_T1_T2_jT3_P12ihipStream_tbPNSt15iterator_traitsISL_E10value_typeEPNSR_ISM_E10value_typeEPSN_NS1_7vsmem_tEENKUlT_SL_SM_SN_E_clIS8_S8_S9_S9_EESK_S10_SL_SM_SN_EUlS10_E1_NS1_11comp_targetILNS1_3genE4ELNS1_11target_archE910ELNS1_3gpuE8ELNS1_3repE0EEENS1_36merge_oddeven_config_static_selectorELNS0_4arch9wavefront6targetE1EEEvSM_ ; -- Begin function _ZN7rocprim17ROCPRIM_400000_NS6detail17trampoline_kernelINS0_14default_configENS1_38merge_sort_block_merge_config_selectorIlNS0_10empty_typeEEEZZNS1_27merge_sort_block_merge_implIS3_PlPS5_mZN2at6native12_GLOBAL__N_124unique_dim_cuda_templateIbEESt5tupleIJNSA_6TensorESF_SF_EERKSF_lbbbEUlllE_EE10hipError_tT0_T1_T2_jT3_P12ihipStream_tbPNSt15iterator_traitsISL_E10value_typeEPNSR_ISM_E10value_typeEPSN_NS1_7vsmem_tEENKUlT_SL_SM_SN_E_clIS8_S8_S9_S9_EESK_S10_SL_SM_SN_EUlS10_E1_NS1_11comp_targetILNS1_3genE4ELNS1_11target_archE910ELNS1_3gpuE8ELNS1_3repE0EEENS1_36merge_oddeven_config_static_selectorELNS0_4arch9wavefront6targetE1EEEvSM_
	.p2align	8
	.type	_ZN7rocprim17ROCPRIM_400000_NS6detail17trampoline_kernelINS0_14default_configENS1_38merge_sort_block_merge_config_selectorIlNS0_10empty_typeEEEZZNS1_27merge_sort_block_merge_implIS3_PlPS5_mZN2at6native12_GLOBAL__N_124unique_dim_cuda_templateIbEESt5tupleIJNSA_6TensorESF_SF_EERKSF_lbbbEUlllE_EE10hipError_tT0_T1_T2_jT3_P12ihipStream_tbPNSt15iterator_traitsISL_E10value_typeEPNSR_ISM_E10value_typeEPSN_NS1_7vsmem_tEENKUlT_SL_SM_SN_E_clIS8_S8_S9_S9_EESK_S10_SL_SM_SN_EUlS10_E1_NS1_11comp_targetILNS1_3genE4ELNS1_11target_archE910ELNS1_3gpuE8ELNS1_3repE0EEENS1_36merge_oddeven_config_static_selectorELNS0_4arch9wavefront6targetE1EEEvSM_,@function
_ZN7rocprim17ROCPRIM_400000_NS6detail17trampoline_kernelINS0_14default_configENS1_38merge_sort_block_merge_config_selectorIlNS0_10empty_typeEEEZZNS1_27merge_sort_block_merge_implIS3_PlPS5_mZN2at6native12_GLOBAL__N_124unique_dim_cuda_templateIbEESt5tupleIJNSA_6TensorESF_SF_EERKSF_lbbbEUlllE_EE10hipError_tT0_T1_T2_jT3_P12ihipStream_tbPNSt15iterator_traitsISL_E10value_typeEPNSR_ISM_E10value_typeEPSN_NS1_7vsmem_tEENKUlT_SL_SM_SN_E_clIS8_S8_S9_S9_EESK_S10_SL_SM_SN_EUlS10_E1_NS1_11comp_targetILNS1_3genE4ELNS1_11target_archE910ELNS1_3gpuE8ELNS1_3repE0EEENS1_36merge_oddeven_config_static_selectorELNS0_4arch9wavefront6targetE1EEEvSM_: ; @_ZN7rocprim17ROCPRIM_400000_NS6detail17trampoline_kernelINS0_14default_configENS1_38merge_sort_block_merge_config_selectorIlNS0_10empty_typeEEEZZNS1_27merge_sort_block_merge_implIS3_PlPS5_mZN2at6native12_GLOBAL__N_124unique_dim_cuda_templateIbEESt5tupleIJNSA_6TensorESF_SF_EERKSF_lbbbEUlllE_EE10hipError_tT0_T1_T2_jT3_P12ihipStream_tbPNSt15iterator_traitsISL_E10value_typeEPNSR_ISM_E10value_typeEPSN_NS1_7vsmem_tEENKUlT_SL_SM_SN_E_clIS8_S8_S9_S9_EESK_S10_SL_SM_SN_EUlS10_E1_NS1_11comp_targetILNS1_3genE4ELNS1_11target_archE910ELNS1_3gpuE8ELNS1_3repE0EEENS1_36merge_oddeven_config_static_selectorELNS0_4arch9wavefront6targetE1EEEvSM_
; %bb.0:
	.section	.rodata,"a",@progbits
	.p2align	6, 0x0
	.amdhsa_kernel _ZN7rocprim17ROCPRIM_400000_NS6detail17trampoline_kernelINS0_14default_configENS1_38merge_sort_block_merge_config_selectorIlNS0_10empty_typeEEEZZNS1_27merge_sort_block_merge_implIS3_PlPS5_mZN2at6native12_GLOBAL__N_124unique_dim_cuda_templateIbEESt5tupleIJNSA_6TensorESF_SF_EERKSF_lbbbEUlllE_EE10hipError_tT0_T1_T2_jT3_P12ihipStream_tbPNSt15iterator_traitsISL_E10value_typeEPNSR_ISM_E10value_typeEPSN_NS1_7vsmem_tEENKUlT_SL_SM_SN_E_clIS8_S8_S9_S9_EESK_S10_SL_SM_SN_EUlS10_E1_NS1_11comp_targetILNS1_3genE4ELNS1_11target_archE910ELNS1_3gpuE8ELNS1_3repE0EEENS1_36merge_oddeven_config_static_selectorELNS0_4arch9wavefront6targetE1EEEvSM_
		.amdhsa_group_segment_fixed_size 0
		.amdhsa_private_segment_fixed_size 0
		.amdhsa_kernarg_size 64
		.amdhsa_user_sgpr_count 2
		.amdhsa_user_sgpr_dispatch_ptr 0
		.amdhsa_user_sgpr_queue_ptr 0
		.amdhsa_user_sgpr_kernarg_segment_ptr 1
		.amdhsa_user_sgpr_dispatch_id 0
		.amdhsa_user_sgpr_kernarg_preload_length 0
		.amdhsa_user_sgpr_kernarg_preload_offset 0
		.amdhsa_user_sgpr_private_segment_size 0
		.amdhsa_uses_dynamic_stack 0
		.amdhsa_enable_private_segment 0
		.amdhsa_system_sgpr_workgroup_id_x 1
		.amdhsa_system_sgpr_workgroup_id_y 0
		.amdhsa_system_sgpr_workgroup_id_z 0
		.amdhsa_system_sgpr_workgroup_info 0
		.amdhsa_system_vgpr_workitem_id 0
		.amdhsa_next_free_vgpr 1
		.amdhsa_next_free_sgpr 0
		.amdhsa_accum_offset 4
		.amdhsa_reserve_vcc 0
		.amdhsa_float_round_mode_32 0
		.amdhsa_float_round_mode_16_64 0
		.amdhsa_float_denorm_mode_32 3
		.amdhsa_float_denorm_mode_16_64 3
		.amdhsa_dx10_clamp 1
		.amdhsa_ieee_mode 1
		.amdhsa_fp16_overflow 0
		.amdhsa_tg_split 0
		.amdhsa_exception_fp_ieee_invalid_op 0
		.amdhsa_exception_fp_denorm_src 0
		.amdhsa_exception_fp_ieee_div_zero 0
		.amdhsa_exception_fp_ieee_overflow 0
		.amdhsa_exception_fp_ieee_underflow 0
		.amdhsa_exception_fp_ieee_inexact 0
		.amdhsa_exception_int_div_zero 0
	.end_amdhsa_kernel
	.section	.text._ZN7rocprim17ROCPRIM_400000_NS6detail17trampoline_kernelINS0_14default_configENS1_38merge_sort_block_merge_config_selectorIlNS0_10empty_typeEEEZZNS1_27merge_sort_block_merge_implIS3_PlPS5_mZN2at6native12_GLOBAL__N_124unique_dim_cuda_templateIbEESt5tupleIJNSA_6TensorESF_SF_EERKSF_lbbbEUlllE_EE10hipError_tT0_T1_T2_jT3_P12ihipStream_tbPNSt15iterator_traitsISL_E10value_typeEPNSR_ISM_E10value_typeEPSN_NS1_7vsmem_tEENKUlT_SL_SM_SN_E_clIS8_S8_S9_S9_EESK_S10_SL_SM_SN_EUlS10_E1_NS1_11comp_targetILNS1_3genE4ELNS1_11target_archE910ELNS1_3gpuE8ELNS1_3repE0EEENS1_36merge_oddeven_config_static_selectorELNS0_4arch9wavefront6targetE1EEEvSM_,"axG",@progbits,_ZN7rocprim17ROCPRIM_400000_NS6detail17trampoline_kernelINS0_14default_configENS1_38merge_sort_block_merge_config_selectorIlNS0_10empty_typeEEEZZNS1_27merge_sort_block_merge_implIS3_PlPS5_mZN2at6native12_GLOBAL__N_124unique_dim_cuda_templateIbEESt5tupleIJNSA_6TensorESF_SF_EERKSF_lbbbEUlllE_EE10hipError_tT0_T1_T2_jT3_P12ihipStream_tbPNSt15iterator_traitsISL_E10value_typeEPNSR_ISM_E10value_typeEPSN_NS1_7vsmem_tEENKUlT_SL_SM_SN_E_clIS8_S8_S9_S9_EESK_S10_SL_SM_SN_EUlS10_E1_NS1_11comp_targetILNS1_3genE4ELNS1_11target_archE910ELNS1_3gpuE8ELNS1_3repE0EEENS1_36merge_oddeven_config_static_selectorELNS0_4arch9wavefront6targetE1EEEvSM_,comdat
.Lfunc_end1029:
	.size	_ZN7rocprim17ROCPRIM_400000_NS6detail17trampoline_kernelINS0_14default_configENS1_38merge_sort_block_merge_config_selectorIlNS0_10empty_typeEEEZZNS1_27merge_sort_block_merge_implIS3_PlPS5_mZN2at6native12_GLOBAL__N_124unique_dim_cuda_templateIbEESt5tupleIJNSA_6TensorESF_SF_EERKSF_lbbbEUlllE_EE10hipError_tT0_T1_T2_jT3_P12ihipStream_tbPNSt15iterator_traitsISL_E10value_typeEPNSR_ISM_E10value_typeEPSN_NS1_7vsmem_tEENKUlT_SL_SM_SN_E_clIS8_S8_S9_S9_EESK_S10_SL_SM_SN_EUlS10_E1_NS1_11comp_targetILNS1_3genE4ELNS1_11target_archE910ELNS1_3gpuE8ELNS1_3repE0EEENS1_36merge_oddeven_config_static_selectorELNS0_4arch9wavefront6targetE1EEEvSM_, .Lfunc_end1029-_ZN7rocprim17ROCPRIM_400000_NS6detail17trampoline_kernelINS0_14default_configENS1_38merge_sort_block_merge_config_selectorIlNS0_10empty_typeEEEZZNS1_27merge_sort_block_merge_implIS3_PlPS5_mZN2at6native12_GLOBAL__N_124unique_dim_cuda_templateIbEESt5tupleIJNSA_6TensorESF_SF_EERKSF_lbbbEUlllE_EE10hipError_tT0_T1_T2_jT3_P12ihipStream_tbPNSt15iterator_traitsISL_E10value_typeEPNSR_ISM_E10value_typeEPSN_NS1_7vsmem_tEENKUlT_SL_SM_SN_E_clIS8_S8_S9_S9_EESK_S10_SL_SM_SN_EUlS10_E1_NS1_11comp_targetILNS1_3genE4ELNS1_11target_archE910ELNS1_3gpuE8ELNS1_3repE0EEENS1_36merge_oddeven_config_static_selectorELNS0_4arch9wavefront6targetE1EEEvSM_
                                        ; -- End function
	.section	.AMDGPU.csdata,"",@progbits
; Kernel info:
; codeLenInByte = 0
; NumSgprs: 6
; NumVgprs: 0
; NumAgprs: 0
; TotalNumVgprs: 0
; ScratchSize: 0
; MemoryBound: 0
; FloatMode: 240
; IeeeMode: 1
; LDSByteSize: 0 bytes/workgroup (compile time only)
; SGPRBlocks: 0
; VGPRBlocks: 0
; NumSGPRsForWavesPerEU: 6
; NumVGPRsForWavesPerEU: 1
; AccumOffset: 4
; Occupancy: 8
; WaveLimiterHint : 0
; COMPUTE_PGM_RSRC2:SCRATCH_EN: 0
; COMPUTE_PGM_RSRC2:USER_SGPR: 2
; COMPUTE_PGM_RSRC2:TRAP_HANDLER: 0
; COMPUTE_PGM_RSRC2:TGID_X_EN: 1
; COMPUTE_PGM_RSRC2:TGID_Y_EN: 0
; COMPUTE_PGM_RSRC2:TGID_Z_EN: 0
; COMPUTE_PGM_RSRC2:TIDIG_COMP_CNT: 0
; COMPUTE_PGM_RSRC3_GFX90A:ACCUM_OFFSET: 0
; COMPUTE_PGM_RSRC3_GFX90A:TG_SPLIT: 0
	.section	.text._ZN7rocprim17ROCPRIM_400000_NS6detail17trampoline_kernelINS0_14default_configENS1_38merge_sort_block_merge_config_selectorIlNS0_10empty_typeEEEZZNS1_27merge_sort_block_merge_implIS3_PlPS5_mZN2at6native12_GLOBAL__N_124unique_dim_cuda_templateIbEESt5tupleIJNSA_6TensorESF_SF_EERKSF_lbbbEUlllE_EE10hipError_tT0_T1_T2_jT3_P12ihipStream_tbPNSt15iterator_traitsISL_E10value_typeEPNSR_ISM_E10value_typeEPSN_NS1_7vsmem_tEENKUlT_SL_SM_SN_E_clIS8_S8_S9_S9_EESK_S10_SL_SM_SN_EUlS10_E1_NS1_11comp_targetILNS1_3genE3ELNS1_11target_archE908ELNS1_3gpuE7ELNS1_3repE0EEENS1_36merge_oddeven_config_static_selectorELNS0_4arch9wavefront6targetE1EEEvSM_,"axG",@progbits,_ZN7rocprim17ROCPRIM_400000_NS6detail17trampoline_kernelINS0_14default_configENS1_38merge_sort_block_merge_config_selectorIlNS0_10empty_typeEEEZZNS1_27merge_sort_block_merge_implIS3_PlPS5_mZN2at6native12_GLOBAL__N_124unique_dim_cuda_templateIbEESt5tupleIJNSA_6TensorESF_SF_EERKSF_lbbbEUlllE_EE10hipError_tT0_T1_T2_jT3_P12ihipStream_tbPNSt15iterator_traitsISL_E10value_typeEPNSR_ISM_E10value_typeEPSN_NS1_7vsmem_tEENKUlT_SL_SM_SN_E_clIS8_S8_S9_S9_EESK_S10_SL_SM_SN_EUlS10_E1_NS1_11comp_targetILNS1_3genE3ELNS1_11target_archE908ELNS1_3gpuE7ELNS1_3repE0EEENS1_36merge_oddeven_config_static_selectorELNS0_4arch9wavefront6targetE1EEEvSM_,comdat
	.globl	_ZN7rocprim17ROCPRIM_400000_NS6detail17trampoline_kernelINS0_14default_configENS1_38merge_sort_block_merge_config_selectorIlNS0_10empty_typeEEEZZNS1_27merge_sort_block_merge_implIS3_PlPS5_mZN2at6native12_GLOBAL__N_124unique_dim_cuda_templateIbEESt5tupleIJNSA_6TensorESF_SF_EERKSF_lbbbEUlllE_EE10hipError_tT0_T1_T2_jT3_P12ihipStream_tbPNSt15iterator_traitsISL_E10value_typeEPNSR_ISM_E10value_typeEPSN_NS1_7vsmem_tEENKUlT_SL_SM_SN_E_clIS8_S8_S9_S9_EESK_S10_SL_SM_SN_EUlS10_E1_NS1_11comp_targetILNS1_3genE3ELNS1_11target_archE908ELNS1_3gpuE7ELNS1_3repE0EEENS1_36merge_oddeven_config_static_selectorELNS0_4arch9wavefront6targetE1EEEvSM_ ; -- Begin function _ZN7rocprim17ROCPRIM_400000_NS6detail17trampoline_kernelINS0_14default_configENS1_38merge_sort_block_merge_config_selectorIlNS0_10empty_typeEEEZZNS1_27merge_sort_block_merge_implIS3_PlPS5_mZN2at6native12_GLOBAL__N_124unique_dim_cuda_templateIbEESt5tupleIJNSA_6TensorESF_SF_EERKSF_lbbbEUlllE_EE10hipError_tT0_T1_T2_jT3_P12ihipStream_tbPNSt15iterator_traitsISL_E10value_typeEPNSR_ISM_E10value_typeEPSN_NS1_7vsmem_tEENKUlT_SL_SM_SN_E_clIS8_S8_S9_S9_EESK_S10_SL_SM_SN_EUlS10_E1_NS1_11comp_targetILNS1_3genE3ELNS1_11target_archE908ELNS1_3gpuE7ELNS1_3repE0EEENS1_36merge_oddeven_config_static_selectorELNS0_4arch9wavefront6targetE1EEEvSM_
	.p2align	8
	.type	_ZN7rocprim17ROCPRIM_400000_NS6detail17trampoline_kernelINS0_14default_configENS1_38merge_sort_block_merge_config_selectorIlNS0_10empty_typeEEEZZNS1_27merge_sort_block_merge_implIS3_PlPS5_mZN2at6native12_GLOBAL__N_124unique_dim_cuda_templateIbEESt5tupleIJNSA_6TensorESF_SF_EERKSF_lbbbEUlllE_EE10hipError_tT0_T1_T2_jT3_P12ihipStream_tbPNSt15iterator_traitsISL_E10value_typeEPNSR_ISM_E10value_typeEPSN_NS1_7vsmem_tEENKUlT_SL_SM_SN_E_clIS8_S8_S9_S9_EESK_S10_SL_SM_SN_EUlS10_E1_NS1_11comp_targetILNS1_3genE3ELNS1_11target_archE908ELNS1_3gpuE7ELNS1_3repE0EEENS1_36merge_oddeven_config_static_selectorELNS0_4arch9wavefront6targetE1EEEvSM_,@function
_ZN7rocprim17ROCPRIM_400000_NS6detail17trampoline_kernelINS0_14default_configENS1_38merge_sort_block_merge_config_selectorIlNS0_10empty_typeEEEZZNS1_27merge_sort_block_merge_implIS3_PlPS5_mZN2at6native12_GLOBAL__N_124unique_dim_cuda_templateIbEESt5tupleIJNSA_6TensorESF_SF_EERKSF_lbbbEUlllE_EE10hipError_tT0_T1_T2_jT3_P12ihipStream_tbPNSt15iterator_traitsISL_E10value_typeEPNSR_ISM_E10value_typeEPSN_NS1_7vsmem_tEENKUlT_SL_SM_SN_E_clIS8_S8_S9_S9_EESK_S10_SL_SM_SN_EUlS10_E1_NS1_11comp_targetILNS1_3genE3ELNS1_11target_archE908ELNS1_3gpuE7ELNS1_3repE0EEENS1_36merge_oddeven_config_static_selectorELNS0_4arch9wavefront6targetE1EEEvSM_: ; @_ZN7rocprim17ROCPRIM_400000_NS6detail17trampoline_kernelINS0_14default_configENS1_38merge_sort_block_merge_config_selectorIlNS0_10empty_typeEEEZZNS1_27merge_sort_block_merge_implIS3_PlPS5_mZN2at6native12_GLOBAL__N_124unique_dim_cuda_templateIbEESt5tupleIJNSA_6TensorESF_SF_EERKSF_lbbbEUlllE_EE10hipError_tT0_T1_T2_jT3_P12ihipStream_tbPNSt15iterator_traitsISL_E10value_typeEPNSR_ISM_E10value_typeEPSN_NS1_7vsmem_tEENKUlT_SL_SM_SN_E_clIS8_S8_S9_S9_EESK_S10_SL_SM_SN_EUlS10_E1_NS1_11comp_targetILNS1_3genE3ELNS1_11target_archE908ELNS1_3gpuE7ELNS1_3repE0EEENS1_36merge_oddeven_config_static_selectorELNS0_4arch9wavefront6targetE1EEEvSM_
; %bb.0:
	.section	.rodata,"a",@progbits
	.p2align	6, 0x0
	.amdhsa_kernel _ZN7rocprim17ROCPRIM_400000_NS6detail17trampoline_kernelINS0_14default_configENS1_38merge_sort_block_merge_config_selectorIlNS0_10empty_typeEEEZZNS1_27merge_sort_block_merge_implIS3_PlPS5_mZN2at6native12_GLOBAL__N_124unique_dim_cuda_templateIbEESt5tupleIJNSA_6TensorESF_SF_EERKSF_lbbbEUlllE_EE10hipError_tT0_T1_T2_jT3_P12ihipStream_tbPNSt15iterator_traitsISL_E10value_typeEPNSR_ISM_E10value_typeEPSN_NS1_7vsmem_tEENKUlT_SL_SM_SN_E_clIS8_S8_S9_S9_EESK_S10_SL_SM_SN_EUlS10_E1_NS1_11comp_targetILNS1_3genE3ELNS1_11target_archE908ELNS1_3gpuE7ELNS1_3repE0EEENS1_36merge_oddeven_config_static_selectorELNS0_4arch9wavefront6targetE1EEEvSM_
		.amdhsa_group_segment_fixed_size 0
		.amdhsa_private_segment_fixed_size 0
		.amdhsa_kernarg_size 64
		.amdhsa_user_sgpr_count 2
		.amdhsa_user_sgpr_dispatch_ptr 0
		.amdhsa_user_sgpr_queue_ptr 0
		.amdhsa_user_sgpr_kernarg_segment_ptr 1
		.amdhsa_user_sgpr_dispatch_id 0
		.amdhsa_user_sgpr_kernarg_preload_length 0
		.amdhsa_user_sgpr_kernarg_preload_offset 0
		.amdhsa_user_sgpr_private_segment_size 0
		.amdhsa_uses_dynamic_stack 0
		.amdhsa_enable_private_segment 0
		.amdhsa_system_sgpr_workgroup_id_x 1
		.amdhsa_system_sgpr_workgroup_id_y 0
		.amdhsa_system_sgpr_workgroup_id_z 0
		.amdhsa_system_sgpr_workgroup_info 0
		.amdhsa_system_vgpr_workitem_id 0
		.amdhsa_next_free_vgpr 1
		.amdhsa_next_free_sgpr 0
		.amdhsa_accum_offset 4
		.amdhsa_reserve_vcc 0
		.amdhsa_float_round_mode_32 0
		.amdhsa_float_round_mode_16_64 0
		.amdhsa_float_denorm_mode_32 3
		.amdhsa_float_denorm_mode_16_64 3
		.amdhsa_dx10_clamp 1
		.amdhsa_ieee_mode 1
		.amdhsa_fp16_overflow 0
		.amdhsa_tg_split 0
		.amdhsa_exception_fp_ieee_invalid_op 0
		.amdhsa_exception_fp_denorm_src 0
		.amdhsa_exception_fp_ieee_div_zero 0
		.amdhsa_exception_fp_ieee_overflow 0
		.amdhsa_exception_fp_ieee_underflow 0
		.amdhsa_exception_fp_ieee_inexact 0
		.amdhsa_exception_int_div_zero 0
	.end_amdhsa_kernel
	.section	.text._ZN7rocprim17ROCPRIM_400000_NS6detail17trampoline_kernelINS0_14default_configENS1_38merge_sort_block_merge_config_selectorIlNS0_10empty_typeEEEZZNS1_27merge_sort_block_merge_implIS3_PlPS5_mZN2at6native12_GLOBAL__N_124unique_dim_cuda_templateIbEESt5tupleIJNSA_6TensorESF_SF_EERKSF_lbbbEUlllE_EE10hipError_tT0_T1_T2_jT3_P12ihipStream_tbPNSt15iterator_traitsISL_E10value_typeEPNSR_ISM_E10value_typeEPSN_NS1_7vsmem_tEENKUlT_SL_SM_SN_E_clIS8_S8_S9_S9_EESK_S10_SL_SM_SN_EUlS10_E1_NS1_11comp_targetILNS1_3genE3ELNS1_11target_archE908ELNS1_3gpuE7ELNS1_3repE0EEENS1_36merge_oddeven_config_static_selectorELNS0_4arch9wavefront6targetE1EEEvSM_,"axG",@progbits,_ZN7rocprim17ROCPRIM_400000_NS6detail17trampoline_kernelINS0_14default_configENS1_38merge_sort_block_merge_config_selectorIlNS0_10empty_typeEEEZZNS1_27merge_sort_block_merge_implIS3_PlPS5_mZN2at6native12_GLOBAL__N_124unique_dim_cuda_templateIbEESt5tupleIJNSA_6TensorESF_SF_EERKSF_lbbbEUlllE_EE10hipError_tT0_T1_T2_jT3_P12ihipStream_tbPNSt15iterator_traitsISL_E10value_typeEPNSR_ISM_E10value_typeEPSN_NS1_7vsmem_tEENKUlT_SL_SM_SN_E_clIS8_S8_S9_S9_EESK_S10_SL_SM_SN_EUlS10_E1_NS1_11comp_targetILNS1_3genE3ELNS1_11target_archE908ELNS1_3gpuE7ELNS1_3repE0EEENS1_36merge_oddeven_config_static_selectorELNS0_4arch9wavefront6targetE1EEEvSM_,comdat
.Lfunc_end1030:
	.size	_ZN7rocprim17ROCPRIM_400000_NS6detail17trampoline_kernelINS0_14default_configENS1_38merge_sort_block_merge_config_selectorIlNS0_10empty_typeEEEZZNS1_27merge_sort_block_merge_implIS3_PlPS5_mZN2at6native12_GLOBAL__N_124unique_dim_cuda_templateIbEESt5tupleIJNSA_6TensorESF_SF_EERKSF_lbbbEUlllE_EE10hipError_tT0_T1_T2_jT3_P12ihipStream_tbPNSt15iterator_traitsISL_E10value_typeEPNSR_ISM_E10value_typeEPSN_NS1_7vsmem_tEENKUlT_SL_SM_SN_E_clIS8_S8_S9_S9_EESK_S10_SL_SM_SN_EUlS10_E1_NS1_11comp_targetILNS1_3genE3ELNS1_11target_archE908ELNS1_3gpuE7ELNS1_3repE0EEENS1_36merge_oddeven_config_static_selectorELNS0_4arch9wavefront6targetE1EEEvSM_, .Lfunc_end1030-_ZN7rocprim17ROCPRIM_400000_NS6detail17trampoline_kernelINS0_14default_configENS1_38merge_sort_block_merge_config_selectorIlNS0_10empty_typeEEEZZNS1_27merge_sort_block_merge_implIS3_PlPS5_mZN2at6native12_GLOBAL__N_124unique_dim_cuda_templateIbEESt5tupleIJNSA_6TensorESF_SF_EERKSF_lbbbEUlllE_EE10hipError_tT0_T1_T2_jT3_P12ihipStream_tbPNSt15iterator_traitsISL_E10value_typeEPNSR_ISM_E10value_typeEPSN_NS1_7vsmem_tEENKUlT_SL_SM_SN_E_clIS8_S8_S9_S9_EESK_S10_SL_SM_SN_EUlS10_E1_NS1_11comp_targetILNS1_3genE3ELNS1_11target_archE908ELNS1_3gpuE7ELNS1_3repE0EEENS1_36merge_oddeven_config_static_selectorELNS0_4arch9wavefront6targetE1EEEvSM_
                                        ; -- End function
	.section	.AMDGPU.csdata,"",@progbits
; Kernel info:
; codeLenInByte = 0
; NumSgprs: 6
; NumVgprs: 0
; NumAgprs: 0
; TotalNumVgprs: 0
; ScratchSize: 0
; MemoryBound: 0
; FloatMode: 240
; IeeeMode: 1
; LDSByteSize: 0 bytes/workgroup (compile time only)
; SGPRBlocks: 0
; VGPRBlocks: 0
; NumSGPRsForWavesPerEU: 6
; NumVGPRsForWavesPerEU: 1
; AccumOffset: 4
; Occupancy: 8
; WaveLimiterHint : 0
; COMPUTE_PGM_RSRC2:SCRATCH_EN: 0
; COMPUTE_PGM_RSRC2:USER_SGPR: 2
; COMPUTE_PGM_RSRC2:TRAP_HANDLER: 0
; COMPUTE_PGM_RSRC2:TGID_X_EN: 1
; COMPUTE_PGM_RSRC2:TGID_Y_EN: 0
; COMPUTE_PGM_RSRC2:TGID_Z_EN: 0
; COMPUTE_PGM_RSRC2:TIDIG_COMP_CNT: 0
; COMPUTE_PGM_RSRC3_GFX90A:ACCUM_OFFSET: 0
; COMPUTE_PGM_RSRC3_GFX90A:TG_SPLIT: 0
	.section	.text._ZN7rocprim17ROCPRIM_400000_NS6detail17trampoline_kernelINS0_14default_configENS1_38merge_sort_block_merge_config_selectorIlNS0_10empty_typeEEEZZNS1_27merge_sort_block_merge_implIS3_PlPS5_mZN2at6native12_GLOBAL__N_124unique_dim_cuda_templateIbEESt5tupleIJNSA_6TensorESF_SF_EERKSF_lbbbEUlllE_EE10hipError_tT0_T1_T2_jT3_P12ihipStream_tbPNSt15iterator_traitsISL_E10value_typeEPNSR_ISM_E10value_typeEPSN_NS1_7vsmem_tEENKUlT_SL_SM_SN_E_clIS8_S8_S9_S9_EESK_S10_SL_SM_SN_EUlS10_E1_NS1_11comp_targetILNS1_3genE2ELNS1_11target_archE906ELNS1_3gpuE6ELNS1_3repE0EEENS1_36merge_oddeven_config_static_selectorELNS0_4arch9wavefront6targetE1EEEvSM_,"axG",@progbits,_ZN7rocprim17ROCPRIM_400000_NS6detail17trampoline_kernelINS0_14default_configENS1_38merge_sort_block_merge_config_selectorIlNS0_10empty_typeEEEZZNS1_27merge_sort_block_merge_implIS3_PlPS5_mZN2at6native12_GLOBAL__N_124unique_dim_cuda_templateIbEESt5tupleIJNSA_6TensorESF_SF_EERKSF_lbbbEUlllE_EE10hipError_tT0_T1_T2_jT3_P12ihipStream_tbPNSt15iterator_traitsISL_E10value_typeEPNSR_ISM_E10value_typeEPSN_NS1_7vsmem_tEENKUlT_SL_SM_SN_E_clIS8_S8_S9_S9_EESK_S10_SL_SM_SN_EUlS10_E1_NS1_11comp_targetILNS1_3genE2ELNS1_11target_archE906ELNS1_3gpuE6ELNS1_3repE0EEENS1_36merge_oddeven_config_static_selectorELNS0_4arch9wavefront6targetE1EEEvSM_,comdat
	.globl	_ZN7rocprim17ROCPRIM_400000_NS6detail17trampoline_kernelINS0_14default_configENS1_38merge_sort_block_merge_config_selectorIlNS0_10empty_typeEEEZZNS1_27merge_sort_block_merge_implIS3_PlPS5_mZN2at6native12_GLOBAL__N_124unique_dim_cuda_templateIbEESt5tupleIJNSA_6TensorESF_SF_EERKSF_lbbbEUlllE_EE10hipError_tT0_T1_T2_jT3_P12ihipStream_tbPNSt15iterator_traitsISL_E10value_typeEPNSR_ISM_E10value_typeEPSN_NS1_7vsmem_tEENKUlT_SL_SM_SN_E_clIS8_S8_S9_S9_EESK_S10_SL_SM_SN_EUlS10_E1_NS1_11comp_targetILNS1_3genE2ELNS1_11target_archE906ELNS1_3gpuE6ELNS1_3repE0EEENS1_36merge_oddeven_config_static_selectorELNS0_4arch9wavefront6targetE1EEEvSM_ ; -- Begin function _ZN7rocprim17ROCPRIM_400000_NS6detail17trampoline_kernelINS0_14default_configENS1_38merge_sort_block_merge_config_selectorIlNS0_10empty_typeEEEZZNS1_27merge_sort_block_merge_implIS3_PlPS5_mZN2at6native12_GLOBAL__N_124unique_dim_cuda_templateIbEESt5tupleIJNSA_6TensorESF_SF_EERKSF_lbbbEUlllE_EE10hipError_tT0_T1_T2_jT3_P12ihipStream_tbPNSt15iterator_traitsISL_E10value_typeEPNSR_ISM_E10value_typeEPSN_NS1_7vsmem_tEENKUlT_SL_SM_SN_E_clIS8_S8_S9_S9_EESK_S10_SL_SM_SN_EUlS10_E1_NS1_11comp_targetILNS1_3genE2ELNS1_11target_archE906ELNS1_3gpuE6ELNS1_3repE0EEENS1_36merge_oddeven_config_static_selectorELNS0_4arch9wavefront6targetE1EEEvSM_
	.p2align	8
	.type	_ZN7rocprim17ROCPRIM_400000_NS6detail17trampoline_kernelINS0_14default_configENS1_38merge_sort_block_merge_config_selectorIlNS0_10empty_typeEEEZZNS1_27merge_sort_block_merge_implIS3_PlPS5_mZN2at6native12_GLOBAL__N_124unique_dim_cuda_templateIbEESt5tupleIJNSA_6TensorESF_SF_EERKSF_lbbbEUlllE_EE10hipError_tT0_T1_T2_jT3_P12ihipStream_tbPNSt15iterator_traitsISL_E10value_typeEPNSR_ISM_E10value_typeEPSN_NS1_7vsmem_tEENKUlT_SL_SM_SN_E_clIS8_S8_S9_S9_EESK_S10_SL_SM_SN_EUlS10_E1_NS1_11comp_targetILNS1_3genE2ELNS1_11target_archE906ELNS1_3gpuE6ELNS1_3repE0EEENS1_36merge_oddeven_config_static_selectorELNS0_4arch9wavefront6targetE1EEEvSM_,@function
_ZN7rocprim17ROCPRIM_400000_NS6detail17trampoline_kernelINS0_14default_configENS1_38merge_sort_block_merge_config_selectorIlNS0_10empty_typeEEEZZNS1_27merge_sort_block_merge_implIS3_PlPS5_mZN2at6native12_GLOBAL__N_124unique_dim_cuda_templateIbEESt5tupleIJNSA_6TensorESF_SF_EERKSF_lbbbEUlllE_EE10hipError_tT0_T1_T2_jT3_P12ihipStream_tbPNSt15iterator_traitsISL_E10value_typeEPNSR_ISM_E10value_typeEPSN_NS1_7vsmem_tEENKUlT_SL_SM_SN_E_clIS8_S8_S9_S9_EESK_S10_SL_SM_SN_EUlS10_E1_NS1_11comp_targetILNS1_3genE2ELNS1_11target_archE906ELNS1_3gpuE6ELNS1_3repE0EEENS1_36merge_oddeven_config_static_selectorELNS0_4arch9wavefront6targetE1EEEvSM_: ; @_ZN7rocprim17ROCPRIM_400000_NS6detail17trampoline_kernelINS0_14default_configENS1_38merge_sort_block_merge_config_selectorIlNS0_10empty_typeEEEZZNS1_27merge_sort_block_merge_implIS3_PlPS5_mZN2at6native12_GLOBAL__N_124unique_dim_cuda_templateIbEESt5tupleIJNSA_6TensorESF_SF_EERKSF_lbbbEUlllE_EE10hipError_tT0_T1_T2_jT3_P12ihipStream_tbPNSt15iterator_traitsISL_E10value_typeEPNSR_ISM_E10value_typeEPSN_NS1_7vsmem_tEENKUlT_SL_SM_SN_E_clIS8_S8_S9_S9_EESK_S10_SL_SM_SN_EUlS10_E1_NS1_11comp_targetILNS1_3genE2ELNS1_11target_archE906ELNS1_3gpuE6ELNS1_3repE0EEENS1_36merge_oddeven_config_static_selectorELNS0_4arch9wavefront6targetE1EEEvSM_
; %bb.0:
	.section	.rodata,"a",@progbits
	.p2align	6, 0x0
	.amdhsa_kernel _ZN7rocprim17ROCPRIM_400000_NS6detail17trampoline_kernelINS0_14default_configENS1_38merge_sort_block_merge_config_selectorIlNS0_10empty_typeEEEZZNS1_27merge_sort_block_merge_implIS3_PlPS5_mZN2at6native12_GLOBAL__N_124unique_dim_cuda_templateIbEESt5tupleIJNSA_6TensorESF_SF_EERKSF_lbbbEUlllE_EE10hipError_tT0_T1_T2_jT3_P12ihipStream_tbPNSt15iterator_traitsISL_E10value_typeEPNSR_ISM_E10value_typeEPSN_NS1_7vsmem_tEENKUlT_SL_SM_SN_E_clIS8_S8_S9_S9_EESK_S10_SL_SM_SN_EUlS10_E1_NS1_11comp_targetILNS1_3genE2ELNS1_11target_archE906ELNS1_3gpuE6ELNS1_3repE0EEENS1_36merge_oddeven_config_static_selectorELNS0_4arch9wavefront6targetE1EEEvSM_
		.amdhsa_group_segment_fixed_size 0
		.amdhsa_private_segment_fixed_size 0
		.amdhsa_kernarg_size 64
		.amdhsa_user_sgpr_count 2
		.amdhsa_user_sgpr_dispatch_ptr 0
		.amdhsa_user_sgpr_queue_ptr 0
		.amdhsa_user_sgpr_kernarg_segment_ptr 1
		.amdhsa_user_sgpr_dispatch_id 0
		.amdhsa_user_sgpr_kernarg_preload_length 0
		.amdhsa_user_sgpr_kernarg_preload_offset 0
		.amdhsa_user_sgpr_private_segment_size 0
		.amdhsa_uses_dynamic_stack 0
		.amdhsa_enable_private_segment 0
		.amdhsa_system_sgpr_workgroup_id_x 1
		.amdhsa_system_sgpr_workgroup_id_y 0
		.amdhsa_system_sgpr_workgroup_id_z 0
		.amdhsa_system_sgpr_workgroup_info 0
		.amdhsa_system_vgpr_workitem_id 0
		.amdhsa_next_free_vgpr 1
		.amdhsa_next_free_sgpr 0
		.amdhsa_accum_offset 4
		.amdhsa_reserve_vcc 0
		.amdhsa_float_round_mode_32 0
		.amdhsa_float_round_mode_16_64 0
		.amdhsa_float_denorm_mode_32 3
		.amdhsa_float_denorm_mode_16_64 3
		.amdhsa_dx10_clamp 1
		.amdhsa_ieee_mode 1
		.amdhsa_fp16_overflow 0
		.amdhsa_tg_split 0
		.amdhsa_exception_fp_ieee_invalid_op 0
		.amdhsa_exception_fp_denorm_src 0
		.amdhsa_exception_fp_ieee_div_zero 0
		.amdhsa_exception_fp_ieee_overflow 0
		.amdhsa_exception_fp_ieee_underflow 0
		.amdhsa_exception_fp_ieee_inexact 0
		.amdhsa_exception_int_div_zero 0
	.end_amdhsa_kernel
	.section	.text._ZN7rocprim17ROCPRIM_400000_NS6detail17trampoline_kernelINS0_14default_configENS1_38merge_sort_block_merge_config_selectorIlNS0_10empty_typeEEEZZNS1_27merge_sort_block_merge_implIS3_PlPS5_mZN2at6native12_GLOBAL__N_124unique_dim_cuda_templateIbEESt5tupleIJNSA_6TensorESF_SF_EERKSF_lbbbEUlllE_EE10hipError_tT0_T1_T2_jT3_P12ihipStream_tbPNSt15iterator_traitsISL_E10value_typeEPNSR_ISM_E10value_typeEPSN_NS1_7vsmem_tEENKUlT_SL_SM_SN_E_clIS8_S8_S9_S9_EESK_S10_SL_SM_SN_EUlS10_E1_NS1_11comp_targetILNS1_3genE2ELNS1_11target_archE906ELNS1_3gpuE6ELNS1_3repE0EEENS1_36merge_oddeven_config_static_selectorELNS0_4arch9wavefront6targetE1EEEvSM_,"axG",@progbits,_ZN7rocprim17ROCPRIM_400000_NS6detail17trampoline_kernelINS0_14default_configENS1_38merge_sort_block_merge_config_selectorIlNS0_10empty_typeEEEZZNS1_27merge_sort_block_merge_implIS3_PlPS5_mZN2at6native12_GLOBAL__N_124unique_dim_cuda_templateIbEESt5tupleIJNSA_6TensorESF_SF_EERKSF_lbbbEUlllE_EE10hipError_tT0_T1_T2_jT3_P12ihipStream_tbPNSt15iterator_traitsISL_E10value_typeEPNSR_ISM_E10value_typeEPSN_NS1_7vsmem_tEENKUlT_SL_SM_SN_E_clIS8_S8_S9_S9_EESK_S10_SL_SM_SN_EUlS10_E1_NS1_11comp_targetILNS1_3genE2ELNS1_11target_archE906ELNS1_3gpuE6ELNS1_3repE0EEENS1_36merge_oddeven_config_static_selectorELNS0_4arch9wavefront6targetE1EEEvSM_,comdat
.Lfunc_end1031:
	.size	_ZN7rocprim17ROCPRIM_400000_NS6detail17trampoline_kernelINS0_14default_configENS1_38merge_sort_block_merge_config_selectorIlNS0_10empty_typeEEEZZNS1_27merge_sort_block_merge_implIS3_PlPS5_mZN2at6native12_GLOBAL__N_124unique_dim_cuda_templateIbEESt5tupleIJNSA_6TensorESF_SF_EERKSF_lbbbEUlllE_EE10hipError_tT0_T1_T2_jT3_P12ihipStream_tbPNSt15iterator_traitsISL_E10value_typeEPNSR_ISM_E10value_typeEPSN_NS1_7vsmem_tEENKUlT_SL_SM_SN_E_clIS8_S8_S9_S9_EESK_S10_SL_SM_SN_EUlS10_E1_NS1_11comp_targetILNS1_3genE2ELNS1_11target_archE906ELNS1_3gpuE6ELNS1_3repE0EEENS1_36merge_oddeven_config_static_selectorELNS0_4arch9wavefront6targetE1EEEvSM_, .Lfunc_end1031-_ZN7rocprim17ROCPRIM_400000_NS6detail17trampoline_kernelINS0_14default_configENS1_38merge_sort_block_merge_config_selectorIlNS0_10empty_typeEEEZZNS1_27merge_sort_block_merge_implIS3_PlPS5_mZN2at6native12_GLOBAL__N_124unique_dim_cuda_templateIbEESt5tupleIJNSA_6TensorESF_SF_EERKSF_lbbbEUlllE_EE10hipError_tT0_T1_T2_jT3_P12ihipStream_tbPNSt15iterator_traitsISL_E10value_typeEPNSR_ISM_E10value_typeEPSN_NS1_7vsmem_tEENKUlT_SL_SM_SN_E_clIS8_S8_S9_S9_EESK_S10_SL_SM_SN_EUlS10_E1_NS1_11comp_targetILNS1_3genE2ELNS1_11target_archE906ELNS1_3gpuE6ELNS1_3repE0EEENS1_36merge_oddeven_config_static_selectorELNS0_4arch9wavefront6targetE1EEEvSM_
                                        ; -- End function
	.section	.AMDGPU.csdata,"",@progbits
; Kernel info:
; codeLenInByte = 0
; NumSgprs: 6
; NumVgprs: 0
; NumAgprs: 0
; TotalNumVgprs: 0
; ScratchSize: 0
; MemoryBound: 0
; FloatMode: 240
; IeeeMode: 1
; LDSByteSize: 0 bytes/workgroup (compile time only)
; SGPRBlocks: 0
; VGPRBlocks: 0
; NumSGPRsForWavesPerEU: 6
; NumVGPRsForWavesPerEU: 1
; AccumOffset: 4
; Occupancy: 8
; WaveLimiterHint : 0
; COMPUTE_PGM_RSRC2:SCRATCH_EN: 0
; COMPUTE_PGM_RSRC2:USER_SGPR: 2
; COMPUTE_PGM_RSRC2:TRAP_HANDLER: 0
; COMPUTE_PGM_RSRC2:TGID_X_EN: 1
; COMPUTE_PGM_RSRC2:TGID_Y_EN: 0
; COMPUTE_PGM_RSRC2:TGID_Z_EN: 0
; COMPUTE_PGM_RSRC2:TIDIG_COMP_CNT: 0
; COMPUTE_PGM_RSRC3_GFX90A:ACCUM_OFFSET: 0
; COMPUTE_PGM_RSRC3_GFX90A:TG_SPLIT: 0
	.section	.text._ZN7rocprim17ROCPRIM_400000_NS6detail17trampoline_kernelINS0_14default_configENS1_38merge_sort_block_merge_config_selectorIlNS0_10empty_typeEEEZZNS1_27merge_sort_block_merge_implIS3_PlPS5_mZN2at6native12_GLOBAL__N_124unique_dim_cuda_templateIbEESt5tupleIJNSA_6TensorESF_SF_EERKSF_lbbbEUlllE_EE10hipError_tT0_T1_T2_jT3_P12ihipStream_tbPNSt15iterator_traitsISL_E10value_typeEPNSR_ISM_E10value_typeEPSN_NS1_7vsmem_tEENKUlT_SL_SM_SN_E_clIS8_S8_S9_S9_EESK_S10_SL_SM_SN_EUlS10_E1_NS1_11comp_targetILNS1_3genE9ELNS1_11target_archE1100ELNS1_3gpuE3ELNS1_3repE0EEENS1_36merge_oddeven_config_static_selectorELNS0_4arch9wavefront6targetE1EEEvSM_,"axG",@progbits,_ZN7rocprim17ROCPRIM_400000_NS6detail17trampoline_kernelINS0_14default_configENS1_38merge_sort_block_merge_config_selectorIlNS0_10empty_typeEEEZZNS1_27merge_sort_block_merge_implIS3_PlPS5_mZN2at6native12_GLOBAL__N_124unique_dim_cuda_templateIbEESt5tupleIJNSA_6TensorESF_SF_EERKSF_lbbbEUlllE_EE10hipError_tT0_T1_T2_jT3_P12ihipStream_tbPNSt15iterator_traitsISL_E10value_typeEPNSR_ISM_E10value_typeEPSN_NS1_7vsmem_tEENKUlT_SL_SM_SN_E_clIS8_S8_S9_S9_EESK_S10_SL_SM_SN_EUlS10_E1_NS1_11comp_targetILNS1_3genE9ELNS1_11target_archE1100ELNS1_3gpuE3ELNS1_3repE0EEENS1_36merge_oddeven_config_static_selectorELNS0_4arch9wavefront6targetE1EEEvSM_,comdat
	.globl	_ZN7rocprim17ROCPRIM_400000_NS6detail17trampoline_kernelINS0_14default_configENS1_38merge_sort_block_merge_config_selectorIlNS0_10empty_typeEEEZZNS1_27merge_sort_block_merge_implIS3_PlPS5_mZN2at6native12_GLOBAL__N_124unique_dim_cuda_templateIbEESt5tupleIJNSA_6TensorESF_SF_EERKSF_lbbbEUlllE_EE10hipError_tT0_T1_T2_jT3_P12ihipStream_tbPNSt15iterator_traitsISL_E10value_typeEPNSR_ISM_E10value_typeEPSN_NS1_7vsmem_tEENKUlT_SL_SM_SN_E_clIS8_S8_S9_S9_EESK_S10_SL_SM_SN_EUlS10_E1_NS1_11comp_targetILNS1_3genE9ELNS1_11target_archE1100ELNS1_3gpuE3ELNS1_3repE0EEENS1_36merge_oddeven_config_static_selectorELNS0_4arch9wavefront6targetE1EEEvSM_ ; -- Begin function _ZN7rocprim17ROCPRIM_400000_NS6detail17trampoline_kernelINS0_14default_configENS1_38merge_sort_block_merge_config_selectorIlNS0_10empty_typeEEEZZNS1_27merge_sort_block_merge_implIS3_PlPS5_mZN2at6native12_GLOBAL__N_124unique_dim_cuda_templateIbEESt5tupleIJNSA_6TensorESF_SF_EERKSF_lbbbEUlllE_EE10hipError_tT0_T1_T2_jT3_P12ihipStream_tbPNSt15iterator_traitsISL_E10value_typeEPNSR_ISM_E10value_typeEPSN_NS1_7vsmem_tEENKUlT_SL_SM_SN_E_clIS8_S8_S9_S9_EESK_S10_SL_SM_SN_EUlS10_E1_NS1_11comp_targetILNS1_3genE9ELNS1_11target_archE1100ELNS1_3gpuE3ELNS1_3repE0EEENS1_36merge_oddeven_config_static_selectorELNS0_4arch9wavefront6targetE1EEEvSM_
	.p2align	8
	.type	_ZN7rocprim17ROCPRIM_400000_NS6detail17trampoline_kernelINS0_14default_configENS1_38merge_sort_block_merge_config_selectorIlNS0_10empty_typeEEEZZNS1_27merge_sort_block_merge_implIS3_PlPS5_mZN2at6native12_GLOBAL__N_124unique_dim_cuda_templateIbEESt5tupleIJNSA_6TensorESF_SF_EERKSF_lbbbEUlllE_EE10hipError_tT0_T1_T2_jT3_P12ihipStream_tbPNSt15iterator_traitsISL_E10value_typeEPNSR_ISM_E10value_typeEPSN_NS1_7vsmem_tEENKUlT_SL_SM_SN_E_clIS8_S8_S9_S9_EESK_S10_SL_SM_SN_EUlS10_E1_NS1_11comp_targetILNS1_3genE9ELNS1_11target_archE1100ELNS1_3gpuE3ELNS1_3repE0EEENS1_36merge_oddeven_config_static_selectorELNS0_4arch9wavefront6targetE1EEEvSM_,@function
_ZN7rocprim17ROCPRIM_400000_NS6detail17trampoline_kernelINS0_14default_configENS1_38merge_sort_block_merge_config_selectorIlNS0_10empty_typeEEEZZNS1_27merge_sort_block_merge_implIS3_PlPS5_mZN2at6native12_GLOBAL__N_124unique_dim_cuda_templateIbEESt5tupleIJNSA_6TensorESF_SF_EERKSF_lbbbEUlllE_EE10hipError_tT0_T1_T2_jT3_P12ihipStream_tbPNSt15iterator_traitsISL_E10value_typeEPNSR_ISM_E10value_typeEPSN_NS1_7vsmem_tEENKUlT_SL_SM_SN_E_clIS8_S8_S9_S9_EESK_S10_SL_SM_SN_EUlS10_E1_NS1_11comp_targetILNS1_3genE9ELNS1_11target_archE1100ELNS1_3gpuE3ELNS1_3repE0EEENS1_36merge_oddeven_config_static_selectorELNS0_4arch9wavefront6targetE1EEEvSM_: ; @_ZN7rocprim17ROCPRIM_400000_NS6detail17trampoline_kernelINS0_14default_configENS1_38merge_sort_block_merge_config_selectorIlNS0_10empty_typeEEEZZNS1_27merge_sort_block_merge_implIS3_PlPS5_mZN2at6native12_GLOBAL__N_124unique_dim_cuda_templateIbEESt5tupleIJNSA_6TensorESF_SF_EERKSF_lbbbEUlllE_EE10hipError_tT0_T1_T2_jT3_P12ihipStream_tbPNSt15iterator_traitsISL_E10value_typeEPNSR_ISM_E10value_typeEPSN_NS1_7vsmem_tEENKUlT_SL_SM_SN_E_clIS8_S8_S9_S9_EESK_S10_SL_SM_SN_EUlS10_E1_NS1_11comp_targetILNS1_3genE9ELNS1_11target_archE1100ELNS1_3gpuE3ELNS1_3repE0EEENS1_36merge_oddeven_config_static_selectorELNS0_4arch9wavefront6targetE1EEEvSM_
; %bb.0:
	.section	.rodata,"a",@progbits
	.p2align	6, 0x0
	.amdhsa_kernel _ZN7rocprim17ROCPRIM_400000_NS6detail17trampoline_kernelINS0_14default_configENS1_38merge_sort_block_merge_config_selectorIlNS0_10empty_typeEEEZZNS1_27merge_sort_block_merge_implIS3_PlPS5_mZN2at6native12_GLOBAL__N_124unique_dim_cuda_templateIbEESt5tupleIJNSA_6TensorESF_SF_EERKSF_lbbbEUlllE_EE10hipError_tT0_T1_T2_jT3_P12ihipStream_tbPNSt15iterator_traitsISL_E10value_typeEPNSR_ISM_E10value_typeEPSN_NS1_7vsmem_tEENKUlT_SL_SM_SN_E_clIS8_S8_S9_S9_EESK_S10_SL_SM_SN_EUlS10_E1_NS1_11comp_targetILNS1_3genE9ELNS1_11target_archE1100ELNS1_3gpuE3ELNS1_3repE0EEENS1_36merge_oddeven_config_static_selectorELNS0_4arch9wavefront6targetE1EEEvSM_
		.amdhsa_group_segment_fixed_size 0
		.amdhsa_private_segment_fixed_size 0
		.amdhsa_kernarg_size 64
		.amdhsa_user_sgpr_count 2
		.amdhsa_user_sgpr_dispatch_ptr 0
		.amdhsa_user_sgpr_queue_ptr 0
		.amdhsa_user_sgpr_kernarg_segment_ptr 1
		.amdhsa_user_sgpr_dispatch_id 0
		.amdhsa_user_sgpr_kernarg_preload_length 0
		.amdhsa_user_sgpr_kernarg_preload_offset 0
		.amdhsa_user_sgpr_private_segment_size 0
		.amdhsa_uses_dynamic_stack 0
		.amdhsa_enable_private_segment 0
		.amdhsa_system_sgpr_workgroup_id_x 1
		.amdhsa_system_sgpr_workgroup_id_y 0
		.amdhsa_system_sgpr_workgroup_id_z 0
		.amdhsa_system_sgpr_workgroup_info 0
		.amdhsa_system_vgpr_workitem_id 0
		.amdhsa_next_free_vgpr 1
		.amdhsa_next_free_sgpr 0
		.amdhsa_accum_offset 4
		.amdhsa_reserve_vcc 0
		.amdhsa_float_round_mode_32 0
		.amdhsa_float_round_mode_16_64 0
		.amdhsa_float_denorm_mode_32 3
		.amdhsa_float_denorm_mode_16_64 3
		.amdhsa_dx10_clamp 1
		.amdhsa_ieee_mode 1
		.amdhsa_fp16_overflow 0
		.amdhsa_tg_split 0
		.amdhsa_exception_fp_ieee_invalid_op 0
		.amdhsa_exception_fp_denorm_src 0
		.amdhsa_exception_fp_ieee_div_zero 0
		.amdhsa_exception_fp_ieee_overflow 0
		.amdhsa_exception_fp_ieee_underflow 0
		.amdhsa_exception_fp_ieee_inexact 0
		.amdhsa_exception_int_div_zero 0
	.end_amdhsa_kernel
	.section	.text._ZN7rocprim17ROCPRIM_400000_NS6detail17trampoline_kernelINS0_14default_configENS1_38merge_sort_block_merge_config_selectorIlNS0_10empty_typeEEEZZNS1_27merge_sort_block_merge_implIS3_PlPS5_mZN2at6native12_GLOBAL__N_124unique_dim_cuda_templateIbEESt5tupleIJNSA_6TensorESF_SF_EERKSF_lbbbEUlllE_EE10hipError_tT0_T1_T2_jT3_P12ihipStream_tbPNSt15iterator_traitsISL_E10value_typeEPNSR_ISM_E10value_typeEPSN_NS1_7vsmem_tEENKUlT_SL_SM_SN_E_clIS8_S8_S9_S9_EESK_S10_SL_SM_SN_EUlS10_E1_NS1_11comp_targetILNS1_3genE9ELNS1_11target_archE1100ELNS1_3gpuE3ELNS1_3repE0EEENS1_36merge_oddeven_config_static_selectorELNS0_4arch9wavefront6targetE1EEEvSM_,"axG",@progbits,_ZN7rocprim17ROCPRIM_400000_NS6detail17trampoline_kernelINS0_14default_configENS1_38merge_sort_block_merge_config_selectorIlNS0_10empty_typeEEEZZNS1_27merge_sort_block_merge_implIS3_PlPS5_mZN2at6native12_GLOBAL__N_124unique_dim_cuda_templateIbEESt5tupleIJNSA_6TensorESF_SF_EERKSF_lbbbEUlllE_EE10hipError_tT0_T1_T2_jT3_P12ihipStream_tbPNSt15iterator_traitsISL_E10value_typeEPNSR_ISM_E10value_typeEPSN_NS1_7vsmem_tEENKUlT_SL_SM_SN_E_clIS8_S8_S9_S9_EESK_S10_SL_SM_SN_EUlS10_E1_NS1_11comp_targetILNS1_3genE9ELNS1_11target_archE1100ELNS1_3gpuE3ELNS1_3repE0EEENS1_36merge_oddeven_config_static_selectorELNS0_4arch9wavefront6targetE1EEEvSM_,comdat
.Lfunc_end1032:
	.size	_ZN7rocprim17ROCPRIM_400000_NS6detail17trampoline_kernelINS0_14default_configENS1_38merge_sort_block_merge_config_selectorIlNS0_10empty_typeEEEZZNS1_27merge_sort_block_merge_implIS3_PlPS5_mZN2at6native12_GLOBAL__N_124unique_dim_cuda_templateIbEESt5tupleIJNSA_6TensorESF_SF_EERKSF_lbbbEUlllE_EE10hipError_tT0_T1_T2_jT3_P12ihipStream_tbPNSt15iterator_traitsISL_E10value_typeEPNSR_ISM_E10value_typeEPSN_NS1_7vsmem_tEENKUlT_SL_SM_SN_E_clIS8_S8_S9_S9_EESK_S10_SL_SM_SN_EUlS10_E1_NS1_11comp_targetILNS1_3genE9ELNS1_11target_archE1100ELNS1_3gpuE3ELNS1_3repE0EEENS1_36merge_oddeven_config_static_selectorELNS0_4arch9wavefront6targetE1EEEvSM_, .Lfunc_end1032-_ZN7rocprim17ROCPRIM_400000_NS6detail17trampoline_kernelINS0_14default_configENS1_38merge_sort_block_merge_config_selectorIlNS0_10empty_typeEEEZZNS1_27merge_sort_block_merge_implIS3_PlPS5_mZN2at6native12_GLOBAL__N_124unique_dim_cuda_templateIbEESt5tupleIJNSA_6TensorESF_SF_EERKSF_lbbbEUlllE_EE10hipError_tT0_T1_T2_jT3_P12ihipStream_tbPNSt15iterator_traitsISL_E10value_typeEPNSR_ISM_E10value_typeEPSN_NS1_7vsmem_tEENKUlT_SL_SM_SN_E_clIS8_S8_S9_S9_EESK_S10_SL_SM_SN_EUlS10_E1_NS1_11comp_targetILNS1_3genE9ELNS1_11target_archE1100ELNS1_3gpuE3ELNS1_3repE0EEENS1_36merge_oddeven_config_static_selectorELNS0_4arch9wavefront6targetE1EEEvSM_
                                        ; -- End function
	.section	.AMDGPU.csdata,"",@progbits
; Kernel info:
; codeLenInByte = 0
; NumSgprs: 6
; NumVgprs: 0
; NumAgprs: 0
; TotalNumVgprs: 0
; ScratchSize: 0
; MemoryBound: 0
; FloatMode: 240
; IeeeMode: 1
; LDSByteSize: 0 bytes/workgroup (compile time only)
; SGPRBlocks: 0
; VGPRBlocks: 0
; NumSGPRsForWavesPerEU: 6
; NumVGPRsForWavesPerEU: 1
; AccumOffset: 4
; Occupancy: 8
; WaveLimiterHint : 0
; COMPUTE_PGM_RSRC2:SCRATCH_EN: 0
; COMPUTE_PGM_RSRC2:USER_SGPR: 2
; COMPUTE_PGM_RSRC2:TRAP_HANDLER: 0
; COMPUTE_PGM_RSRC2:TGID_X_EN: 1
; COMPUTE_PGM_RSRC2:TGID_Y_EN: 0
; COMPUTE_PGM_RSRC2:TGID_Z_EN: 0
; COMPUTE_PGM_RSRC2:TIDIG_COMP_CNT: 0
; COMPUTE_PGM_RSRC3_GFX90A:ACCUM_OFFSET: 0
; COMPUTE_PGM_RSRC3_GFX90A:TG_SPLIT: 0
	.section	.text._ZN7rocprim17ROCPRIM_400000_NS6detail17trampoline_kernelINS0_14default_configENS1_38merge_sort_block_merge_config_selectorIlNS0_10empty_typeEEEZZNS1_27merge_sort_block_merge_implIS3_PlPS5_mZN2at6native12_GLOBAL__N_124unique_dim_cuda_templateIbEESt5tupleIJNSA_6TensorESF_SF_EERKSF_lbbbEUlllE_EE10hipError_tT0_T1_T2_jT3_P12ihipStream_tbPNSt15iterator_traitsISL_E10value_typeEPNSR_ISM_E10value_typeEPSN_NS1_7vsmem_tEENKUlT_SL_SM_SN_E_clIS8_S8_S9_S9_EESK_S10_SL_SM_SN_EUlS10_E1_NS1_11comp_targetILNS1_3genE8ELNS1_11target_archE1030ELNS1_3gpuE2ELNS1_3repE0EEENS1_36merge_oddeven_config_static_selectorELNS0_4arch9wavefront6targetE1EEEvSM_,"axG",@progbits,_ZN7rocprim17ROCPRIM_400000_NS6detail17trampoline_kernelINS0_14default_configENS1_38merge_sort_block_merge_config_selectorIlNS0_10empty_typeEEEZZNS1_27merge_sort_block_merge_implIS3_PlPS5_mZN2at6native12_GLOBAL__N_124unique_dim_cuda_templateIbEESt5tupleIJNSA_6TensorESF_SF_EERKSF_lbbbEUlllE_EE10hipError_tT0_T1_T2_jT3_P12ihipStream_tbPNSt15iterator_traitsISL_E10value_typeEPNSR_ISM_E10value_typeEPSN_NS1_7vsmem_tEENKUlT_SL_SM_SN_E_clIS8_S8_S9_S9_EESK_S10_SL_SM_SN_EUlS10_E1_NS1_11comp_targetILNS1_3genE8ELNS1_11target_archE1030ELNS1_3gpuE2ELNS1_3repE0EEENS1_36merge_oddeven_config_static_selectorELNS0_4arch9wavefront6targetE1EEEvSM_,comdat
	.globl	_ZN7rocprim17ROCPRIM_400000_NS6detail17trampoline_kernelINS0_14default_configENS1_38merge_sort_block_merge_config_selectorIlNS0_10empty_typeEEEZZNS1_27merge_sort_block_merge_implIS3_PlPS5_mZN2at6native12_GLOBAL__N_124unique_dim_cuda_templateIbEESt5tupleIJNSA_6TensorESF_SF_EERKSF_lbbbEUlllE_EE10hipError_tT0_T1_T2_jT3_P12ihipStream_tbPNSt15iterator_traitsISL_E10value_typeEPNSR_ISM_E10value_typeEPSN_NS1_7vsmem_tEENKUlT_SL_SM_SN_E_clIS8_S8_S9_S9_EESK_S10_SL_SM_SN_EUlS10_E1_NS1_11comp_targetILNS1_3genE8ELNS1_11target_archE1030ELNS1_3gpuE2ELNS1_3repE0EEENS1_36merge_oddeven_config_static_selectorELNS0_4arch9wavefront6targetE1EEEvSM_ ; -- Begin function _ZN7rocprim17ROCPRIM_400000_NS6detail17trampoline_kernelINS0_14default_configENS1_38merge_sort_block_merge_config_selectorIlNS0_10empty_typeEEEZZNS1_27merge_sort_block_merge_implIS3_PlPS5_mZN2at6native12_GLOBAL__N_124unique_dim_cuda_templateIbEESt5tupleIJNSA_6TensorESF_SF_EERKSF_lbbbEUlllE_EE10hipError_tT0_T1_T2_jT3_P12ihipStream_tbPNSt15iterator_traitsISL_E10value_typeEPNSR_ISM_E10value_typeEPSN_NS1_7vsmem_tEENKUlT_SL_SM_SN_E_clIS8_S8_S9_S9_EESK_S10_SL_SM_SN_EUlS10_E1_NS1_11comp_targetILNS1_3genE8ELNS1_11target_archE1030ELNS1_3gpuE2ELNS1_3repE0EEENS1_36merge_oddeven_config_static_selectorELNS0_4arch9wavefront6targetE1EEEvSM_
	.p2align	8
	.type	_ZN7rocprim17ROCPRIM_400000_NS6detail17trampoline_kernelINS0_14default_configENS1_38merge_sort_block_merge_config_selectorIlNS0_10empty_typeEEEZZNS1_27merge_sort_block_merge_implIS3_PlPS5_mZN2at6native12_GLOBAL__N_124unique_dim_cuda_templateIbEESt5tupleIJNSA_6TensorESF_SF_EERKSF_lbbbEUlllE_EE10hipError_tT0_T1_T2_jT3_P12ihipStream_tbPNSt15iterator_traitsISL_E10value_typeEPNSR_ISM_E10value_typeEPSN_NS1_7vsmem_tEENKUlT_SL_SM_SN_E_clIS8_S8_S9_S9_EESK_S10_SL_SM_SN_EUlS10_E1_NS1_11comp_targetILNS1_3genE8ELNS1_11target_archE1030ELNS1_3gpuE2ELNS1_3repE0EEENS1_36merge_oddeven_config_static_selectorELNS0_4arch9wavefront6targetE1EEEvSM_,@function
_ZN7rocprim17ROCPRIM_400000_NS6detail17trampoline_kernelINS0_14default_configENS1_38merge_sort_block_merge_config_selectorIlNS0_10empty_typeEEEZZNS1_27merge_sort_block_merge_implIS3_PlPS5_mZN2at6native12_GLOBAL__N_124unique_dim_cuda_templateIbEESt5tupleIJNSA_6TensorESF_SF_EERKSF_lbbbEUlllE_EE10hipError_tT0_T1_T2_jT3_P12ihipStream_tbPNSt15iterator_traitsISL_E10value_typeEPNSR_ISM_E10value_typeEPSN_NS1_7vsmem_tEENKUlT_SL_SM_SN_E_clIS8_S8_S9_S9_EESK_S10_SL_SM_SN_EUlS10_E1_NS1_11comp_targetILNS1_3genE8ELNS1_11target_archE1030ELNS1_3gpuE2ELNS1_3repE0EEENS1_36merge_oddeven_config_static_selectorELNS0_4arch9wavefront6targetE1EEEvSM_: ; @_ZN7rocprim17ROCPRIM_400000_NS6detail17trampoline_kernelINS0_14default_configENS1_38merge_sort_block_merge_config_selectorIlNS0_10empty_typeEEEZZNS1_27merge_sort_block_merge_implIS3_PlPS5_mZN2at6native12_GLOBAL__N_124unique_dim_cuda_templateIbEESt5tupleIJNSA_6TensorESF_SF_EERKSF_lbbbEUlllE_EE10hipError_tT0_T1_T2_jT3_P12ihipStream_tbPNSt15iterator_traitsISL_E10value_typeEPNSR_ISM_E10value_typeEPSN_NS1_7vsmem_tEENKUlT_SL_SM_SN_E_clIS8_S8_S9_S9_EESK_S10_SL_SM_SN_EUlS10_E1_NS1_11comp_targetILNS1_3genE8ELNS1_11target_archE1030ELNS1_3gpuE2ELNS1_3repE0EEENS1_36merge_oddeven_config_static_selectorELNS0_4arch9wavefront6targetE1EEEvSM_
; %bb.0:
	.section	.rodata,"a",@progbits
	.p2align	6, 0x0
	.amdhsa_kernel _ZN7rocprim17ROCPRIM_400000_NS6detail17trampoline_kernelINS0_14default_configENS1_38merge_sort_block_merge_config_selectorIlNS0_10empty_typeEEEZZNS1_27merge_sort_block_merge_implIS3_PlPS5_mZN2at6native12_GLOBAL__N_124unique_dim_cuda_templateIbEESt5tupleIJNSA_6TensorESF_SF_EERKSF_lbbbEUlllE_EE10hipError_tT0_T1_T2_jT3_P12ihipStream_tbPNSt15iterator_traitsISL_E10value_typeEPNSR_ISM_E10value_typeEPSN_NS1_7vsmem_tEENKUlT_SL_SM_SN_E_clIS8_S8_S9_S9_EESK_S10_SL_SM_SN_EUlS10_E1_NS1_11comp_targetILNS1_3genE8ELNS1_11target_archE1030ELNS1_3gpuE2ELNS1_3repE0EEENS1_36merge_oddeven_config_static_selectorELNS0_4arch9wavefront6targetE1EEEvSM_
		.amdhsa_group_segment_fixed_size 0
		.amdhsa_private_segment_fixed_size 0
		.amdhsa_kernarg_size 64
		.amdhsa_user_sgpr_count 2
		.amdhsa_user_sgpr_dispatch_ptr 0
		.amdhsa_user_sgpr_queue_ptr 0
		.amdhsa_user_sgpr_kernarg_segment_ptr 1
		.amdhsa_user_sgpr_dispatch_id 0
		.amdhsa_user_sgpr_kernarg_preload_length 0
		.amdhsa_user_sgpr_kernarg_preload_offset 0
		.amdhsa_user_sgpr_private_segment_size 0
		.amdhsa_uses_dynamic_stack 0
		.amdhsa_enable_private_segment 0
		.amdhsa_system_sgpr_workgroup_id_x 1
		.amdhsa_system_sgpr_workgroup_id_y 0
		.amdhsa_system_sgpr_workgroup_id_z 0
		.amdhsa_system_sgpr_workgroup_info 0
		.amdhsa_system_vgpr_workitem_id 0
		.amdhsa_next_free_vgpr 1
		.amdhsa_next_free_sgpr 0
		.amdhsa_accum_offset 4
		.amdhsa_reserve_vcc 0
		.amdhsa_float_round_mode_32 0
		.amdhsa_float_round_mode_16_64 0
		.amdhsa_float_denorm_mode_32 3
		.amdhsa_float_denorm_mode_16_64 3
		.amdhsa_dx10_clamp 1
		.amdhsa_ieee_mode 1
		.amdhsa_fp16_overflow 0
		.amdhsa_tg_split 0
		.amdhsa_exception_fp_ieee_invalid_op 0
		.amdhsa_exception_fp_denorm_src 0
		.amdhsa_exception_fp_ieee_div_zero 0
		.amdhsa_exception_fp_ieee_overflow 0
		.amdhsa_exception_fp_ieee_underflow 0
		.amdhsa_exception_fp_ieee_inexact 0
		.amdhsa_exception_int_div_zero 0
	.end_amdhsa_kernel
	.section	.text._ZN7rocprim17ROCPRIM_400000_NS6detail17trampoline_kernelINS0_14default_configENS1_38merge_sort_block_merge_config_selectorIlNS0_10empty_typeEEEZZNS1_27merge_sort_block_merge_implIS3_PlPS5_mZN2at6native12_GLOBAL__N_124unique_dim_cuda_templateIbEESt5tupleIJNSA_6TensorESF_SF_EERKSF_lbbbEUlllE_EE10hipError_tT0_T1_T2_jT3_P12ihipStream_tbPNSt15iterator_traitsISL_E10value_typeEPNSR_ISM_E10value_typeEPSN_NS1_7vsmem_tEENKUlT_SL_SM_SN_E_clIS8_S8_S9_S9_EESK_S10_SL_SM_SN_EUlS10_E1_NS1_11comp_targetILNS1_3genE8ELNS1_11target_archE1030ELNS1_3gpuE2ELNS1_3repE0EEENS1_36merge_oddeven_config_static_selectorELNS0_4arch9wavefront6targetE1EEEvSM_,"axG",@progbits,_ZN7rocprim17ROCPRIM_400000_NS6detail17trampoline_kernelINS0_14default_configENS1_38merge_sort_block_merge_config_selectorIlNS0_10empty_typeEEEZZNS1_27merge_sort_block_merge_implIS3_PlPS5_mZN2at6native12_GLOBAL__N_124unique_dim_cuda_templateIbEESt5tupleIJNSA_6TensorESF_SF_EERKSF_lbbbEUlllE_EE10hipError_tT0_T1_T2_jT3_P12ihipStream_tbPNSt15iterator_traitsISL_E10value_typeEPNSR_ISM_E10value_typeEPSN_NS1_7vsmem_tEENKUlT_SL_SM_SN_E_clIS8_S8_S9_S9_EESK_S10_SL_SM_SN_EUlS10_E1_NS1_11comp_targetILNS1_3genE8ELNS1_11target_archE1030ELNS1_3gpuE2ELNS1_3repE0EEENS1_36merge_oddeven_config_static_selectorELNS0_4arch9wavefront6targetE1EEEvSM_,comdat
.Lfunc_end1033:
	.size	_ZN7rocprim17ROCPRIM_400000_NS6detail17trampoline_kernelINS0_14default_configENS1_38merge_sort_block_merge_config_selectorIlNS0_10empty_typeEEEZZNS1_27merge_sort_block_merge_implIS3_PlPS5_mZN2at6native12_GLOBAL__N_124unique_dim_cuda_templateIbEESt5tupleIJNSA_6TensorESF_SF_EERKSF_lbbbEUlllE_EE10hipError_tT0_T1_T2_jT3_P12ihipStream_tbPNSt15iterator_traitsISL_E10value_typeEPNSR_ISM_E10value_typeEPSN_NS1_7vsmem_tEENKUlT_SL_SM_SN_E_clIS8_S8_S9_S9_EESK_S10_SL_SM_SN_EUlS10_E1_NS1_11comp_targetILNS1_3genE8ELNS1_11target_archE1030ELNS1_3gpuE2ELNS1_3repE0EEENS1_36merge_oddeven_config_static_selectorELNS0_4arch9wavefront6targetE1EEEvSM_, .Lfunc_end1033-_ZN7rocprim17ROCPRIM_400000_NS6detail17trampoline_kernelINS0_14default_configENS1_38merge_sort_block_merge_config_selectorIlNS0_10empty_typeEEEZZNS1_27merge_sort_block_merge_implIS3_PlPS5_mZN2at6native12_GLOBAL__N_124unique_dim_cuda_templateIbEESt5tupleIJNSA_6TensorESF_SF_EERKSF_lbbbEUlllE_EE10hipError_tT0_T1_T2_jT3_P12ihipStream_tbPNSt15iterator_traitsISL_E10value_typeEPNSR_ISM_E10value_typeEPSN_NS1_7vsmem_tEENKUlT_SL_SM_SN_E_clIS8_S8_S9_S9_EESK_S10_SL_SM_SN_EUlS10_E1_NS1_11comp_targetILNS1_3genE8ELNS1_11target_archE1030ELNS1_3gpuE2ELNS1_3repE0EEENS1_36merge_oddeven_config_static_selectorELNS0_4arch9wavefront6targetE1EEEvSM_
                                        ; -- End function
	.section	.AMDGPU.csdata,"",@progbits
; Kernel info:
; codeLenInByte = 0
; NumSgprs: 6
; NumVgprs: 0
; NumAgprs: 0
; TotalNumVgprs: 0
; ScratchSize: 0
; MemoryBound: 0
; FloatMode: 240
; IeeeMode: 1
; LDSByteSize: 0 bytes/workgroup (compile time only)
; SGPRBlocks: 0
; VGPRBlocks: 0
; NumSGPRsForWavesPerEU: 6
; NumVGPRsForWavesPerEU: 1
; AccumOffset: 4
; Occupancy: 8
; WaveLimiterHint : 0
; COMPUTE_PGM_RSRC2:SCRATCH_EN: 0
; COMPUTE_PGM_RSRC2:USER_SGPR: 2
; COMPUTE_PGM_RSRC2:TRAP_HANDLER: 0
; COMPUTE_PGM_RSRC2:TGID_X_EN: 1
; COMPUTE_PGM_RSRC2:TGID_Y_EN: 0
; COMPUTE_PGM_RSRC2:TGID_Z_EN: 0
; COMPUTE_PGM_RSRC2:TIDIG_COMP_CNT: 0
; COMPUTE_PGM_RSRC3_GFX90A:ACCUM_OFFSET: 0
; COMPUTE_PGM_RSRC3_GFX90A:TG_SPLIT: 0
	.section	.text._ZN7rocprim17ROCPRIM_400000_NS6detail17trampoline_kernelINS0_14default_configENS1_35adjacent_difference_config_selectorILb0ElEEZNS1_24adjacent_difference_implIS3_Lb0ELb0EPlS7_ZN2at6native12_GLOBAL__N_124unique_dim_cuda_templateIbEESt5tupleIJNS8_6TensorESD_SD_EERKSD_lbbbEUlllE1_EE10hipError_tPvRmT2_T3_mT4_P12ihipStream_tbEUlT_E_NS1_11comp_targetILNS1_3genE0ELNS1_11target_archE4294967295ELNS1_3gpuE0ELNS1_3repE0EEENS1_30default_config_static_selectorELNS0_4arch9wavefront6targetE1EEEvT1_,"axG",@progbits,_ZN7rocprim17ROCPRIM_400000_NS6detail17trampoline_kernelINS0_14default_configENS1_35adjacent_difference_config_selectorILb0ElEEZNS1_24adjacent_difference_implIS3_Lb0ELb0EPlS7_ZN2at6native12_GLOBAL__N_124unique_dim_cuda_templateIbEESt5tupleIJNS8_6TensorESD_SD_EERKSD_lbbbEUlllE1_EE10hipError_tPvRmT2_T3_mT4_P12ihipStream_tbEUlT_E_NS1_11comp_targetILNS1_3genE0ELNS1_11target_archE4294967295ELNS1_3gpuE0ELNS1_3repE0EEENS1_30default_config_static_selectorELNS0_4arch9wavefront6targetE1EEEvT1_,comdat
	.globl	_ZN7rocprim17ROCPRIM_400000_NS6detail17trampoline_kernelINS0_14default_configENS1_35adjacent_difference_config_selectorILb0ElEEZNS1_24adjacent_difference_implIS3_Lb0ELb0EPlS7_ZN2at6native12_GLOBAL__N_124unique_dim_cuda_templateIbEESt5tupleIJNS8_6TensorESD_SD_EERKSD_lbbbEUlllE1_EE10hipError_tPvRmT2_T3_mT4_P12ihipStream_tbEUlT_E_NS1_11comp_targetILNS1_3genE0ELNS1_11target_archE4294967295ELNS1_3gpuE0ELNS1_3repE0EEENS1_30default_config_static_selectorELNS0_4arch9wavefront6targetE1EEEvT1_ ; -- Begin function _ZN7rocprim17ROCPRIM_400000_NS6detail17trampoline_kernelINS0_14default_configENS1_35adjacent_difference_config_selectorILb0ElEEZNS1_24adjacent_difference_implIS3_Lb0ELb0EPlS7_ZN2at6native12_GLOBAL__N_124unique_dim_cuda_templateIbEESt5tupleIJNS8_6TensorESD_SD_EERKSD_lbbbEUlllE1_EE10hipError_tPvRmT2_T3_mT4_P12ihipStream_tbEUlT_E_NS1_11comp_targetILNS1_3genE0ELNS1_11target_archE4294967295ELNS1_3gpuE0ELNS1_3repE0EEENS1_30default_config_static_selectorELNS0_4arch9wavefront6targetE1EEEvT1_
	.p2align	8
	.type	_ZN7rocprim17ROCPRIM_400000_NS6detail17trampoline_kernelINS0_14default_configENS1_35adjacent_difference_config_selectorILb0ElEEZNS1_24adjacent_difference_implIS3_Lb0ELb0EPlS7_ZN2at6native12_GLOBAL__N_124unique_dim_cuda_templateIbEESt5tupleIJNS8_6TensorESD_SD_EERKSD_lbbbEUlllE1_EE10hipError_tPvRmT2_T3_mT4_P12ihipStream_tbEUlT_E_NS1_11comp_targetILNS1_3genE0ELNS1_11target_archE4294967295ELNS1_3gpuE0ELNS1_3repE0EEENS1_30default_config_static_selectorELNS0_4arch9wavefront6targetE1EEEvT1_,@function
_ZN7rocprim17ROCPRIM_400000_NS6detail17trampoline_kernelINS0_14default_configENS1_35adjacent_difference_config_selectorILb0ElEEZNS1_24adjacent_difference_implIS3_Lb0ELb0EPlS7_ZN2at6native12_GLOBAL__N_124unique_dim_cuda_templateIbEESt5tupleIJNS8_6TensorESD_SD_EERKSD_lbbbEUlllE1_EE10hipError_tPvRmT2_T3_mT4_P12ihipStream_tbEUlT_E_NS1_11comp_targetILNS1_3genE0ELNS1_11target_archE4294967295ELNS1_3gpuE0ELNS1_3repE0EEENS1_30default_config_static_selectorELNS0_4arch9wavefront6targetE1EEEvT1_: ; @_ZN7rocprim17ROCPRIM_400000_NS6detail17trampoline_kernelINS0_14default_configENS1_35adjacent_difference_config_selectorILb0ElEEZNS1_24adjacent_difference_implIS3_Lb0ELb0EPlS7_ZN2at6native12_GLOBAL__N_124unique_dim_cuda_templateIbEESt5tupleIJNS8_6TensorESD_SD_EERKSD_lbbbEUlllE1_EE10hipError_tPvRmT2_T3_mT4_P12ihipStream_tbEUlT_E_NS1_11comp_targetILNS1_3genE0ELNS1_11target_archE4294967295ELNS1_3gpuE0ELNS1_3repE0EEENS1_30default_config_static_selectorELNS0_4arch9wavefront6targetE1EEEvT1_
; %bb.0:
	.section	.rodata,"a",@progbits
	.p2align	6, 0x0
	.amdhsa_kernel _ZN7rocprim17ROCPRIM_400000_NS6detail17trampoline_kernelINS0_14default_configENS1_35adjacent_difference_config_selectorILb0ElEEZNS1_24adjacent_difference_implIS3_Lb0ELb0EPlS7_ZN2at6native12_GLOBAL__N_124unique_dim_cuda_templateIbEESt5tupleIJNS8_6TensorESD_SD_EERKSD_lbbbEUlllE1_EE10hipError_tPvRmT2_T3_mT4_P12ihipStream_tbEUlT_E_NS1_11comp_targetILNS1_3genE0ELNS1_11target_archE4294967295ELNS1_3gpuE0ELNS1_3repE0EEENS1_30default_config_static_selectorELNS0_4arch9wavefront6targetE1EEEvT1_
		.amdhsa_group_segment_fixed_size 0
		.amdhsa_private_segment_fixed_size 0
		.amdhsa_kernarg_size 64
		.amdhsa_user_sgpr_count 2
		.amdhsa_user_sgpr_dispatch_ptr 0
		.amdhsa_user_sgpr_queue_ptr 0
		.amdhsa_user_sgpr_kernarg_segment_ptr 1
		.amdhsa_user_sgpr_dispatch_id 0
		.amdhsa_user_sgpr_kernarg_preload_length 0
		.amdhsa_user_sgpr_kernarg_preload_offset 0
		.amdhsa_user_sgpr_private_segment_size 0
		.amdhsa_uses_dynamic_stack 0
		.amdhsa_enable_private_segment 0
		.amdhsa_system_sgpr_workgroup_id_x 1
		.amdhsa_system_sgpr_workgroup_id_y 0
		.amdhsa_system_sgpr_workgroup_id_z 0
		.amdhsa_system_sgpr_workgroup_info 0
		.amdhsa_system_vgpr_workitem_id 0
		.amdhsa_next_free_vgpr 1
		.amdhsa_next_free_sgpr 0
		.amdhsa_accum_offset 4
		.amdhsa_reserve_vcc 0
		.amdhsa_float_round_mode_32 0
		.amdhsa_float_round_mode_16_64 0
		.amdhsa_float_denorm_mode_32 3
		.amdhsa_float_denorm_mode_16_64 3
		.amdhsa_dx10_clamp 1
		.amdhsa_ieee_mode 1
		.amdhsa_fp16_overflow 0
		.amdhsa_tg_split 0
		.amdhsa_exception_fp_ieee_invalid_op 0
		.amdhsa_exception_fp_denorm_src 0
		.amdhsa_exception_fp_ieee_div_zero 0
		.amdhsa_exception_fp_ieee_overflow 0
		.amdhsa_exception_fp_ieee_underflow 0
		.amdhsa_exception_fp_ieee_inexact 0
		.amdhsa_exception_int_div_zero 0
	.end_amdhsa_kernel
	.section	.text._ZN7rocprim17ROCPRIM_400000_NS6detail17trampoline_kernelINS0_14default_configENS1_35adjacent_difference_config_selectorILb0ElEEZNS1_24adjacent_difference_implIS3_Lb0ELb0EPlS7_ZN2at6native12_GLOBAL__N_124unique_dim_cuda_templateIbEESt5tupleIJNS8_6TensorESD_SD_EERKSD_lbbbEUlllE1_EE10hipError_tPvRmT2_T3_mT4_P12ihipStream_tbEUlT_E_NS1_11comp_targetILNS1_3genE0ELNS1_11target_archE4294967295ELNS1_3gpuE0ELNS1_3repE0EEENS1_30default_config_static_selectorELNS0_4arch9wavefront6targetE1EEEvT1_,"axG",@progbits,_ZN7rocprim17ROCPRIM_400000_NS6detail17trampoline_kernelINS0_14default_configENS1_35adjacent_difference_config_selectorILb0ElEEZNS1_24adjacent_difference_implIS3_Lb0ELb0EPlS7_ZN2at6native12_GLOBAL__N_124unique_dim_cuda_templateIbEESt5tupleIJNS8_6TensorESD_SD_EERKSD_lbbbEUlllE1_EE10hipError_tPvRmT2_T3_mT4_P12ihipStream_tbEUlT_E_NS1_11comp_targetILNS1_3genE0ELNS1_11target_archE4294967295ELNS1_3gpuE0ELNS1_3repE0EEENS1_30default_config_static_selectorELNS0_4arch9wavefront6targetE1EEEvT1_,comdat
.Lfunc_end1034:
	.size	_ZN7rocprim17ROCPRIM_400000_NS6detail17trampoline_kernelINS0_14default_configENS1_35adjacent_difference_config_selectorILb0ElEEZNS1_24adjacent_difference_implIS3_Lb0ELb0EPlS7_ZN2at6native12_GLOBAL__N_124unique_dim_cuda_templateIbEESt5tupleIJNS8_6TensorESD_SD_EERKSD_lbbbEUlllE1_EE10hipError_tPvRmT2_T3_mT4_P12ihipStream_tbEUlT_E_NS1_11comp_targetILNS1_3genE0ELNS1_11target_archE4294967295ELNS1_3gpuE0ELNS1_3repE0EEENS1_30default_config_static_selectorELNS0_4arch9wavefront6targetE1EEEvT1_, .Lfunc_end1034-_ZN7rocprim17ROCPRIM_400000_NS6detail17trampoline_kernelINS0_14default_configENS1_35adjacent_difference_config_selectorILb0ElEEZNS1_24adjacent_difference_implIS3_Lb0ELb0EPlS7_ZN2at6native12_GLOBAL__N_124unique_dim_cuda_templateIbEESt5tupleIJNS8_6TensorESD_SD_EERKSD_lbbbEUlllE1_EE10hipError_tPvRmT2_T3_mT4_P12ihipStream_tbEUlT_E_NS1_11comp_targetILNS1_3genE0ELNS1_11target_archE4294967295ELNS1_3gpuE0ELNS1_3repE0EEENS1_30default_config_static_selectorELNS0_4arch9wavefront6targetE1EEEvT1_
                                        ; -- End function
	.section	.AMDGPU.csdata,"",@progbits
; Kernel info:
; codeLenInByte = 0
; NumSgprs: 6
; NumVgprs: 0
; NumAgprs: 0
; TotalNumVgprs: 0
; ScratchSize: 0
; MemoryBound: 0
; FloatMode: 240
; IeeeMode: 1
; LDSByteSize: 0 bytes/workgroup (compile time only)
; SGPRBlocks: 0
; VGPRBlocks: 0
; NumSGPRsForWavesPerEU: 6
; NumVGPRsForWavesPerEU: 1
; AccumOffset: 4
; Occupancy: 8
; WaveLimiterHint : 0
; COMPUTE_PGM_RSRC2:SCRATCH_EN: 0
; COMPUTE_PGM_RSRC2:USER_SGPR: 2
; COMPUTE_PGM_RSRC2:TRAP_HANDLER: 0
; COMPUTE_PGM_RSRC2:TGID_X_EN: 1
; COMPUTE_PGM_RSRC2:TGID_Y_EN: 0
; COMPUTE_PGM_RSRC2:TGID_Z_EN: 0
; COMPUTE_PGM_RSRC2:TIDIG_COMP_CNT: 0
; COMPUTE_PGM_RSRC3_GFX90A:ACCUM_OFFSET: 0
; COMPUTE_PGM_RSRC3_GFX90A:TG_SPLIT: 0
	.section	.text._ZN7rocprim17ROCPRIM_400000_NS6detail17trampoline_kernelINS0_14default_configENS1_35adjacent_difference_config_selectorILb0ElEEZNS1_24adjacent_difference_implIS3_Lb0ELb0EPlS7_ZN2at6native12_GLOBAL__N_124unique_dim_cuda_templateIbEESt5tupleIJNS8_6TensorESD_SD_EERKSD_lbbbEUlllE1_EE10hipError_tPvRmT2_T3_mT4_P12ihipStream_tbEUlT_E_NS1_11comp_targetILNS1_3genE10ELNS1_11target_archE1201ELNS1_3gpuE5ELNS1_3repE0EEENS1_30default_config_static_selectorELNS0_4arch9wavefront6targetE1EEEvT1_,"axG",@progbits,_ZN7rocprim17ROCPRIM_400000_NS6detail17trampoline_kernelINS0_14default_configENS1_35adjacent_difference_config_selectorILb0ElEEZNS1_24adjacent_difference_implIS3_Lb0ELb0EPlS7_ZN2at6native12_GLOBAL__N_124unique_dim_cuda_templateIbEESt5tupleIJNS8_6TensorESD_SD_EERKSD_lbbbEUlllE1_EE10hipError_tPvRmT2_T3_mT4_P12ihipStream_tbEUlT_E_NS1_11comp_targetILNS1_3genE10ELNS1_11target_archE1201ELNS1_3gpuE5ELNS1_3repE0EEENS1_30default_config_static_selectorELNS0_4arch9wavefront6targetE1EEEvT1_,comdat
	.globl	_ZN7rocprim17ROCPRIM_400000_NS6detail17trampoline_kernelINS0_14default_configENS1_35adjacent_difference_config_selectorILb0ElEEZNS1_24adjacent_difference_implIS3_Lb0ELb0EPlS7_ZN2at6native12_GLOBAL__N_124unique_dim_cuda_templateIbEESt5tupleIJNS8_6TensorESD_SD_EERKSD_lbbbEUlllE1_EE10hipError_tPvRmT2_T3_mT4_P12ihipStream_tbEUlT_E_NS1_11comp_targetILNS1_3genE10ELNS1_11target_archE1201ELNS1_3gpuE5ELNS1_3repE0EEENS1_30default_config_static_selectorELNS0_4arch9wavefront6targetE1EEEvT1_ ; -- Begin function _ZN7rocprim17ROCPRIM_400000_NS6detail17trampoline_kernelINS0_14default_configENS1_35adjacent_difference_config_selectorILb0ElEEZNS1_24adjacent_difference_implIS3_Lb0ELb0EPlS7_ZN2at6native12_GLOBAL__N_124unique_dim_cuda_templateIbEESt5tupleIJNS8_6TensorESD_SD_EERKSD_lbbbEUlllE1_EE10hipError_tPvRmT2_T3_mT4_P12ihipStream_tbEUlT_E_NS1_11comp_targetILNS1_3genE10ELNS1_11target_archE1201ELNS1_3gpuE5ELNS1_3repE0EEENS1_30default_config_static_selectorELNS0_4arch9wavefront6targetE1EEEvT1_
	.p2align	8
	.type	_ZN7rocprim17ROCPRIM_400000_NS6detail17trampoline_kernelINS0_14default_configENS1_35adjacent_difference_config_selectorILb0ElEEZNS1_24adjacent_difference_implIS3_Lb0ELb0EPlS7_ZN2at6native12_GLOBAL__N_124unique_dim_cuda_templateIbEESt5tupleIJNS8_6TensorESD_SD_EERKSD_lbbbEUlllE1_EE10hipError_tPvRmT2_T3_mT4_P12ihipStream_tbEUlT_E_NS1_11comp_targetILNS1_3genE10ELNS1_11target_archE1201ELNS1_3gpuE5ELNS1_3repE0EEENS1_30default_config_static_selectorELNS0_4arch9wavefront6targetE1EEEvT1_,@function
_ZN7rocprim17ROCPRIM_400000_NS6detail17trampoline_kernelINS0_14default_configENS1_35adjacent_difference_config_selectorILb0ElEEZNS1_24adjacent_difference_implIS3_Lb0ELb0EPlS7_ZN2at6native12_GLOBAL__N_124unique_dim_cuda_templateIbEESt5tupleIJNS8_6TensorESD_SD_EERKSD_lbbbEUlllE1_EE10hipError_tPvRmT2_T3_mT4_P12ihipStream_tbEUlT_E_NS1_11comp_targetILNS1_3genE10ELNS1_11target_archE1201ELNS1_3gpuE5ELNS1_3repE0EEENS1_30default_config_static_selectorELNS0_4arch9wavefront6targetE1EEEvT1_: ; @_ZN7rocprim17ROCPRIM_400000_NS6detail17trampoline_kernelINS0_14default_configENS1_35adjacent_difference_config_selectorILb0ElEEZNS1_24adjacent_difference_implIS3_Lb0ELb0EPlS7_ZN2at6native12_GLOBAL__N_124unique_dim_cuda_templateIbEESt5tupleIJNS8_6TensorESD_SD_EERKSD_lbbbEUlllE1_EE10hipError_tPvRmT2_T3_mT4_P12ihipStream_tbEUlT_E_NS1_11comp_targetILNS1_3genE10ELNS1_11target_archE1201ELNS1_3gpuE5ELNS1_3repE0EEENS1_30default_config_static_selectorELNS0_4arch9wavefront6targetE1EEEvT1_
; %bb.0:
	.section	.rodata,"a",@progbits
	.p2align	6, 0x0
	.amdhsa_kernel _ZN7rocprim17ROCPRIM_400000_NS6detail17trampoline_kernelINS0_14default_configENS1_35adjacent_difference_config_selectorILb0ElEEZNS1_24adjacent_difference_implIS3_Lb0ELb0EPlS7_ZN2at6native12_GLOBAL__N_124unique_dim_cuda_templateIbEESt5tupleIJNS8_6TensorESD_SD_EERKSD_lbbbEUlllE1_EE10hipError_tPvRmT2_T3_mT4_P12ihipStream_tbEUlT_E_NS1_11comp_targetILNS1_3genE10ELNS1_11target_archE1201ELNS1_3gpuE5ELNS1_3repE0EEENS1_30default_config_static_selectorELNS0_4arch9wavefront6targetE1EEEvT1_
		.amdhsa_group_segment_fixed_size 0
		.amdhsa_private_segment_fixed_size 0
		.amdhsa_kernarg_size 64
		.amdhsa_user_sgpr_count 2
		.amdhsa_user_sgpr_dispatch_ptr 0
		.amdhsa_user_sgpr_queue_ptr 0
		.amdhsa_user_sgpr_kernarg_segment_ptr 1
		.amdhsa_user_sgpr_dispatch_id 0
		.amdhsa_user_sgpr_kernarg_preload_length 0
		.amdhsa_user_sgpr_kernarg_preload_offset 0
		.amdhsa_user_sgpr_private_segment_size 0
		.amdhsa_uses_dynamic_stack 0
		.amdhsa_enable_private_segment 0
		.amdhsa_system_sgpr_workgroup_id_x 1
		.amdhsa_system_sgpr_workgroup_id_y 0
		.amdhsa_system_sgpr_workgroup_id_z 0
		.amdhsa_system_sgpr_workgroup_info 0
		.amdhsa_system_vgpr_workitem_id 0
		.amdhsa_next_free_vgpr 1
		.amdhsa_next_free_sgpr 0
		.amdhsa_accum_offset 4
		.amdhsa_reserve_vcc 0
		.amdhsa_float_round_mode_32 0
		.amdhsa_float_round_mode_16_64 0
		.amdhsa_float_denorm_mode_32 3
		.amdhsa_float_denorm_mode_16_64 3
		.amdhsa_dx10_clamp 1
		.amdhsa_ieee_mode 1
		.amdhsa_fp16_overflow 0
		.amdhsa_tg_split 0
		.amdhsa_exception_fp_ieee_invalid_op 0
		.amdhsa_exception_fp_denorm_src 0
		.amdhsa_exception_fp_ieee_div_zero 0
		.amdhsa_exception_fp_ieee_overflow 0
		.amdhsa_exception_fp_ieee_underflow 0
		.amdhsa_exception_fp_ieee_inexact 0
		.amdhsa_exception_int_div_zero 0
	.end_amdhsa_kernel
	.section	.text._ZN7rocprim17ROCPRIM_400000_NS6detail17trampoline_kernelINS0_14default_configENS1_35adjacent_difference_config_selectorILb0ElEEZNS1_24adjacent_difference_implIS3_Lb0ELb0EPlS7_ZN2at6native12_GLOBAL__N_124unique_dim_cuda_templateIbEESt5tupleIJNS8_6TensorESD_SD_EERKSD_lbbbEUlllE1_EE10hipError_tPvRmT2_T3_mT4_P12ihipStream_tbEUlT_E_NS1_11comp_targetILNS1_3genE10ELNS1_11target_archE1201ELNS1_3gpuE5ELNS1_3repE0EEENS1_30default_config_static_selectorELNS0_4arch9wavefront6targetE1EEEvT1_,"axG",@progbits,_ZN7rocprim17ROCPRIM_400000_NS6detail17trampoline_kernelINS0_14default_configENS1_35adjacent_difference_config_selectorILb0ElEEZNS1_24adjacent_difference_implIS3_Lb0ELb0EPlS7_ZN2at6native12_GLOBAL__N_124unique_dim_cuda_templateIbEESt5tupleIJNS8_6TensorESD_SD_EERKSD_lbbbEUlllE1_EE10hipError_tPvRmT2_T3_mT4_P12ihipStream_tbEUlT_E_NS1_11comp_targetILNS1_3genE10ELNS1_11target_archE1201ELNS1_3gpuE5ELNS1_3repE0EEENS1_30default_config_static_selectorELNS0_4arch9wavefront6targetE1EEEvT1_,comdat
.Lfunc_end1035:
	.size	_ZN7rocprim17ROCPRIM_400000_NS6detail17trampoline_kernelINS0_14default_configENS1_35adjacent_difference_config_selectorILb0ElEEZNS1_24adjacent_difference_implIS3_Lb0ELb0EPlS7_ZN2at6native12_GLOBAL__N_124unique_dim_cuda_templateIbEESt5tupleIJNS8_6TensorESD_SD_EERKSD_lbbbEUlllE1_EE10hipError_tPvRmT2_T3_mT4_P12ihipStream_tbEUlT_E_NS1_11comp_targetILNS1_3genE10ELNS1_11target_archE1201ELNS1_3gpuE5ELNS1_3repE0EEENS1_30default_config_static_selectorELNS0_4arch9wavefront6targetE1EEEvT1_, .Lfunc_end1035-_ZN7rocprim17ROCPRIM_400000_NS6detail17trampoline_kernelINS0_14default_configENS1_35adjacent_difference_config_selectorILb0ElEEZNS1_24adjacent_difference_implIS3_Lb0ELb0EPlS7_ZN2at6native12_GLOBAL__N_124unique_dim_cuda_templateIbEESt5tupleIJNS8_6TensorESD_SD_EERKSD_lbbbEUlllE1_EE10hipError_tPvRmT2_T3_mT4_P12ihipStream_tbEUlT_E_NS1_11comp_targetILNS1_3genE10ELNS1_11target_archE1201ELNS1_3gpuE5ELNS1_3repE0EEENS1_30default_config_static_selectorELNS0_4arch9wavefront6targetE1EEEvT1_
                                        ; -- End function
	.section	.AMDGPU.csdata,"",@progbits
; Kernel info:
; codeLenInByte = 0
; NumSgprs: 6
; NumVgprs: 0
; NumAgprs: 0
; TotalNumVgprs: 0
; ScratchSize: 0
; MemoryBound: 0
; FloatMode: 240
; IeeeMode: 1
; LDSByteSize: 0 bytes/workgroup (compile time only)
; SGPRBlocks: 0
; VGPRBlocks: 0
; NumSGPRsForWavesPerEU: 6
; NumVGPRsForWavesPerEU: 1
; AccumOffset: 4
; Occupancy: 8
; WaveLimiterHint : 0
; COMPUTE_PGM_RSRC2:SCRATCH_EN: 0
; COMPUTE_PGM_RSRC2:USER_SGPR: 2
; COMPUTE_PGM_RSRC2:TRAP_HANDLER: 0
; COMPUTE_PGM_RSRC2:TGID_X_EN: 1
; COMPUTE_PGM_RSRC2:TGID_Y_EN: 0
; COMPUTE_PGM_RSRC2:TGID_Z_EN: 0
; COMPUTE_PGM_RSRC2:TIDIG_COMP_CNT: 0
; COMPUTE_PGM_RSRC3_GFX90A:ACCUM_OFFSET: 0
; COMPUTE_PGM_RSRC3_GFX90A:TG_SPLIT: 0
	.section	.text._ZN7rocprim17ROCPRIM_400000_NS6detail17trampoline_kernelINS0_14default_configENS1_35adjacent_difference_config_selectorILb0ElEEZNS1_24adjacent_difference_implIS3_Lb0ELb0EPlS7_ZN2at6native12_GLOBAL__N_124unique_dim_cuda_templateIbEESt5tupleIJNS8_6TensorESD_SD_EERKSD_lbbbEUlllE1_EE10hipError_tPvRmT2_T3_mT4_P12ihipStream_tbEUlT_E_NS1_11comp_targetILNS1_3genE5ELNS1_11target_archE942ELNS1_3gpuE9ELNS1_3repE0EEENS1_30default_config_static_selectorELNS0_4arch9wavefront6targetE1EEEvT1_,"axG",@progbits,_ZN7rocprim17ROCPRIM_400000_NS6detail17trampoline_kernelINS0_14default_configENS1_35adjacent_difference_config_selectorILb0ElEEZNS1_24adjacent_difference_implIS3_Lb0ELb0EPlS7_ZN2at6native12_GLOBAL__N_124unique_dim_cuda_templateIbEESt5tupleIJNS8_6TensorESD_SD_EERKSD_lbbbEUlllE1_EE10hipError_tPvRmT2_T3_mT4_P12ihipStream_tbEUlT_E_NS1_11comp_targetILNS1_3genE5ELNS1_11target_archE942ELNS1_3gpuE9ELNS1_3repE0EEENS1_30default_config_static_selectorELNS0_4arch9wavefront6targetE1EEEvT1_,comdat
	.globl	_ZN7rocprim17ROCPRIM_400000_NS6detail17trampoline_kernelINS0_14default_configENS1_35adjacent_difference_config_selectorILb0ElEEZNS1_24adjacent_difference_implIS3_Lb0ELb0EPlS7_ZN2at6native12_GLOBAL__N_124unique_dim_cuda_templateIbEESt5tupleIJNS8_6TensorESD_SD_EERKSD_lbbbEUlllE1_EE10hipError_tPvRmT2_T3_mT4_P12ihipStream_tbEUlT_E_NS1_11comp_targetILNS1_3genE5ELNS1_11target_archE942ELNS1_3gpuE9ELNS1_3repE0EEENS1_30default_config_static_selectorELNS0_4arch9wavefront6targetE1EEEvT1_ ; -- Begin function _ZN7rocprim17ROCPRIM_400000_NS6detail17trampoline_kernelINS0_14default_configENS1_35adjacent_difference_config_selectorILb0ElEEZNS1_24adjacent_difference_implIS3_Lb0ELb0EPlS7_ZN2at6native12_GLOBAL__N_124unique_dim_cuda_templateIbEESt5tupleIJNS8_6TensorESD_SD_EERKSD_lbbbEUlllE1_EE10hipError_tPvRmT2_T3_mT4_P12ihipStream_tbEUlT_E_NS1_11comp_targetILNS1_3genE5ELNS1_11target_archE942ELNS1_3gpuE9ELNS1_3repE0EEENS1_30default_config_static_selectorELNS0_4arch9wavefront6targetE1EEEvT1_
	.p2align	8
	.type	_ZN7rocprim17ROCPRIM_400000_NS6detail17trampoline_kernelINS0_14default_configENS1_35adjacent_difference_config_selectorILb0ElEEZNS1_24adjacent_difference_implIS3_Lb0ELb0EPlS7_ZN2at6native12_GLOBAL__N_124unique_dim_cuda_templateIbEESt5tupleIJNS8_6TensorESD_SD_EERKSD_lbbbEUlllE1_EE10hipError_tPvRmT2_T3_mT4_P12ihipStream_tbEUlT_E_NS1_11comp_targetILNS1_3genE5ELNS1_11target_archE942ELNS1_3gpuE9ELNS1_3repE0EEENS1_30default_config_static_selectorELNS0_4arch9wavefront6targetE1EEEvT1_,@function
_ZN7rocprim17ROCPRIM_400000_NS6detail17trampoline_kernelINS0_14default_configENS1_35adjacent_difference_config_selectorILb0ElEEZNS1_24adjacent_difference_implIS3_Lb0ELb0EPlS7_ZN2at6native12_GLOBAL__N_124unique_dim_cuda_templateIbEESt5tupleIJNS8_6TensorESD_SD_EERKSD_lbbbEUlllE1_EE10hipError_tPvRmT2_T3_mT4_P12ihipStream_tbEUlT_E_NS1_11comp_targetILNS1_3genE5ELNS1_11target_archE942ELNS1_3gpuE9ELNS1_3repE0EEENS1_30default_config_static_selectorELNS0_4arch9wavefront6targetE1EEEvT1_: ; @_ZN7rocprim17ROCPRIM_400000_NS6detail17trampoline_kernelINS0_14default_configENS1_35adjacent_difference_config_selectorILb0ElEEZNS1_24adjacent_difference_implIS3_Lb0ELb0EPlS7_ZN2at6native12_GLOBAL__N_124unique_dim_cuda_templateIbEESt5tupleIJNS8_6TensorESD_SD_EERKSD_lbbbEUlllE1_EE10hipError_tPvRmT2_T3_mT4_P12ihipStream_tbEUlT_E_NS1_11comp_targetILNS1_3genE5ELNS1_11target_archE942ELNS1_3gpuE9ELNS1_3repE0EEENS1_30default_config_static_selectorELNS0_4arch9wavefront6targetE1EEEvT1_
; %bb.0:
	s_load_dwordx8 s[4:11], s[0:1], 0x0
	s_load_dwordx4 s[12:15], s[0:1], 0x20
	s_load_dwordx2 s[20:21], s[0:1], 0x38
	s_mov_b32 s1, 0xcec4e8e0
	v_bfrev_b32_e32 v1, 1
	s_waitcnt lgkmcnt(0)
	s_lshl_b64 s[18:19], s[6:7], 3
	s_add_u32 s24, s4, s18
	s_addc_u32 s25, s5, s19
	s_add_u32 s1, 0x150, s1
	s_addc_u32 s3, 0, 0
	v_add_co_u32_e32 v1, vcc, s1, v1
	s_cmp_lg_u64 vcc, 0
	v_readfirstlane_b32 s4, v1
	s_addc_u32 s1, s3, 0x4ec4eb
	s_mul_hi_u32 s5, s4, 0xfffffcc0
	s_mul_i32 s3, s1, 0xfffffcc0
	s_sub_i32 s5, s5, s4
	s_add_i32 s5, s5, s3
	s_mul_i32 s7, s4, 0xfffffcc0
	s_mul_hi_u32 s3, s4, s5
	s_mul_i32 s6, s4, s5
	s_mul_hi_u32 s4, s4, s7
	s_add_u32 s4, s4, s6
	s_addc_u32 s3, 0, s3
	s_mul_hi_u32 s22, s1, s7
	s_mul_i32 s7, s1, s7
	s_add_u32 s4, s4, s7
	s_mul_hi_u32 s6, s1, s5
	s_addc_u32 s3, s3, s22
	s_addc_u32 s4, s6, 0
	s_mul_i32 s5, s1, s5
	s_add_u32 s3, s3, s5
	s_addc_u32 s4, 0, s4
	v_add_co_u32_e32 v1, vcc, s3, v1
	s_cmp_lg_u64 vcc, 0
	s_addc_u32 s1, s1, s4
	v_readfirstlane_b32 s5, v1
	s_mul_i32 s4, s10, s1
	s_mul_hi_u32 s6, s10, s5
	s_mul_hi_u32 s3, s10, s1
	s_add_u32 s4, s6, s4
	s_addc_u32 s3, 0, s3
	s_mul_hi_u32 s7, s11, s5
	s_mul_i32 s5, s11, s5
	s_add_u32 s4, s4, s5
	s_mul_hi_u32 s6, s11, s1
	s_addc_u32 s3, s3, s7
	s_addc_u32 s4, s6, 0
	s_mul_i32 s1, s11, s1
	s_add_u32 s1, s3, s1
	s_addc_u32 s3, 0, s4
	s_add_u32 s4, s1, 1
	s_addc_u32 s5, s3, 0
	s_add_u32 s6, s1, 2
	s_mul_i32 s22, s3, 0x340
	s_mul_hi_u32 s23, s1, 0x340
	s_addc_u32 s7, s3, 0
	s_add_i32 s23, s23, s22
	s_mul_i32 s22, s1, 0x340
	v_mov_b32_e32 v1, s22
	v_sub_co_u32_e32 v1, vcc, s10, v1
	s_movk_i32 s0, 0x340
	s_cmp_lg_u64 vcc, 0
	s_subb_u32 s22, s11, s23
	v_subrev_co_u32_e32 v2, vcc, s0, v1
	s_cmp_lg_u64 vcc, 0
	s_subb_u32 s0, s22, 0
	v_readfirstlane_b32 s23, v2
	s_cmpk_gt_u32 s23, 0x33f
	s_cselect_b32 s23, -1, 0
	s_cmp_eq_u32 s0, 0
	s_cselect_b32 s0, s23, -1
	s_cmp_lg_u32 s0, 0
	s_cselect_b32 s0, s6, s4
	s_cselect_b32 s4, s7, s5
	v_readfirstlane_b32 s5, v1
	s_cmpk_gt_u32 s5, 0x33f
	s_cselect_b32 s5, -1, 0
	s_cmp_eq_u32 s22, 0
	s_cselect_b32 s5, s5, -1
	s_cmp_lg_u32 s5, 0
	s_cselect_b32 s3, s4, s3
	s_cselect_b32 s4, s0, s1
	s_mul_i32 s0, s3, 0x340
	s_mul_hi_u32 s1, s4, 0x340
	s_add_i32 s1, s1, s0
	s_mul_i32 s0, s4, 0x340
	s_sub_u32 s0, s10, s0
	s_subb_u32 s1, s11, s1
	s_cmp_lg_u64 s[0:1], 0
	s_cselect_b64 s[0:1], -1, 0
	v_cndmask_b32_e64 v1, 0, 1, s[0:1]
	s_mul_i32 s16, s2, 0x340
	v_readfirstlane_b32 s0, v1
	s_add_u32 s22, s4, s0
	s_addc_u32 s23, s3, 0
	s_add_u32 s26, s20, s2
	s_addc_u32 s27, s21, 0
	s_add_u32 s2, s22, -1
	s_addc_u32 s3, s23, -1
	v_mov_b64_e32 v[2:3], s[2:3]
	v_cmp_ge_u64_e64 s[0:1], s[26:27], v[2:3]
	s_mov_b32 s17, 0
	s_mov_b64 s[4:5], -1
	s_and_b64 vcc, exec, s[0:1]
	s_mul_i32 s11, s2, 0xfffffcc0
	s_cbranch_vccz .LBB1036_28
; %bb.1:
	s_add_i32 s20, s11, s10
	s_lshl_b64 s[4:5], s[16:17], 3
	s_add_u32 s4, s24, s4
	s_addc_u32 s5, s25, s5
	v_cmp_gt_u32_e32 vcc, s20, v0
                                        ; implicit-def: $vgpr2_vgpr3_vgpr4_vgpr5_vgpr6_vgpr7_vgpr8_vgpr9_vgpr10_vgpr11_vgpr12_vgpr13_vgpr14_vgpr15_vgpr16_vgpr17_vgpr18_vgpr19_vgpr20_vgpr21_vgpr22_vgpr23_vgpr24_vgpr25_vgpr26_vgpr27_vgpr28_vgpr29_vgpr30_vgpr31_vgpr32_vgpr33
	s_and_saveexec_b64 s[6:7], vcc
	s_cbranch_execz .LBB1036_3
; %bb.2:
	v_lshlrev_b32_e32 v1, 3, v0
	global_load_dwordx2 v[2:3], v1, s[4:5]
.LBB1036_3:
	s_or_b64 exec, exec, s[6:7]
	v_or_b32_e32 v1, 64, v0
	v_cmp_gt_u32_e32 vcc, s20, v1
	s_and_saveexec_b64 s[6:7], vcc
	s_cbranch_execz .LBB1036_5
; %bb.4:
	v_lshlrev_b32_e32 v1, 3, v0
	global_load_dwordx2 v[4:5], v1, s[4:5] offset:512
.LBB1036_5:
	s_or_b64 exec, exec, s[6:7]
	v_or_b32_e32 v1, 0x80, v0
	v_cmp_gt_u32_e32 vcc, s20, v1
	s_and_saveexec_b64 s[6:7], vcc
	s_cbranch_execz .LBB1036_7
; %bb.6:
	v_lshlrev_b32_e32 v1, 3, v0
	global_load_dwordx2 v[6:7], v1, s[4:5] offset:1024
.LBB1036_7:
	;; [unrolled: 9-line block ×7, first 2 shown]
	s_or_b64 exec, exec, s[6:7]
	v_or_b32_e32 v1, 0x200, v0
	v_cmp_gt_u32_e32 vcc, s20, v1
	s_and_saveexec_b64 s[6:7], vcc
	s_cbranch_execz .LBB1036_19
; %bb.18:
	v_lshlrev_b32_e32 v1, 3, v1
	global_load_dwordx2 v[18:19], v1, s[4:5]
.LBB1036_19:
	s_or_b64 exec, exec, s[6:7]
	v_or_b32_e32 v1, 0x240, v0
	v_cmp_gt_u32_e32 vcc, s20, v1
	s_and_saveexec_b64 s[6:7], vcc
	s_cbranch_execz .LBB1036_21
; %bb.20:
	v_lshlrev_b32_e32 v1, 3, v1
	global_load_dwordx2 v[20:21], v1, s[4:5]
.LBB1036_21:
	;; [unrolled: 9-line block ×5, first 2 shown]
	s_or_b64 exec, exec, s[6:7]
	v_lshlrev_b32_e32 v1, 3, v0
	s_mov_b64 s[4:5], 0
	s_waitcnt vmcnt(0)
	ds_write2st64_b64 v1, v[2:3], v[4:5] offset1:1
	ds_write2st64_b64 v1, v[6:7], v[8:9] offset0:2 offset1:3
	ds_write2st64_b64 v1, v[10:11], v[12:13] offset0:4 offset1:5
	;; [unrolled: 1-line block ×5, first 2 shown]
	ds_write_b64 v1, v[26:27] offset:6144
	s_waitcnt lgkmcnt(0)
	; wave barrier
.LBB1036_28:
	s_and_b64 vcc, exec, s[4:5]
	v_lshlrev_b32_e32 v56, 3, v0
	s_cbranch_vccz .LBB1036_30
; %bb.29:
	s_lshl_b64 s[4:5], s[16:17], 3
	s_add_u32 s4, s24, s4
	s_addc_u32 s5, s25, s5
	v_mov_b32_e32 v57, 0
	v_lshl_add_u64 v[2:3], s[4:5], 0, v[56:57]
	global_load_dwordx2 v[4:5], v56, s[4:5]
	global_load_dwordx2 v[6:7], v56, s[4:5] offset:512
	global_load_dwordx2 v[8:9], v56, s[4:5] offset:1024
	;; [unrolled: 1-line block ×7, first 2 shown]
	s_movk_i32 s4, 0x1000
	v_add_co_u32_e32 v2, vcc, s4, v2
	s_nop 1
	v_addc_co_u32_e32 v3, vcc, 0, v3, vcc
	global_load_dwordx2 v[20:21], v[2:3], off
	global_load_dwordx2 v[22:23], v[2:3], off offset:512
	global_load_dwordx2 v[24:25], v[2:3], off offset:1024
	;; [unrolled: 1-line block ×4, first 2 shown]
	s_waitcnt vmcnt(11)
	ds_write2st64_b64 v56, v[4:5], v[6:7] offset1:1
	s_waitcnt vmcnt(9)
	ds_write2st64_b64 v56, v[8:9], v[10:11] offset0:2 offset1:3
	s_waitcnt vmcnt(7)
	ds_write2st64_b64 v56, v[12:13], v[14:15] offset0:4 offset1:5
	;; [unrolled: 2-line block ×5, first 2 shown]
	s_waitcnt vmcnt(0)
	ds_write_b64 v56, v[28:29] offset:6144
	s_waitcnt lgkmcnt(0)
	; wave barrier
.LBB1036_30:
	v_mul_u32_u24_e32 v1, 13, v0
	v_lshlrev_b32_e32 v1, 3, v1
	s_waitcnt lgkmcnt(0)
	ds_read2_b64 v[2:5], v1 offset1:1
	ds_read2_b64 v[6:9], v1 offset0:2 offset1:3
	ds_read2_b64 v[10:13], v1 offset0:4 offset1:5
	;; [unrolled: 1-line block ×5, first 2 shown]
	ds_read_b64 v[62:63], v1 offset:96
	s_cmp_eq_u64 s[26:27], 0
	s_mov_b64 s[20:21], 0
	s_waitcnt lgkmcnt(0)
	; wave barrier
	s_waitcnt lgkmcnt(0)
	s_cbranch_scc1 .LBB1036_39
; %bb.31:
	s_lshl_b64 s[4:5], s[16:17], 3
	s_add_u32 s4, s24, s4
	s_addc_u32 s5, s25, s5
	s_add_u32 s4, s4, -8
	s_addc_u32 s5, s5, -1
	s_load_dwordx2 s[24:25], s[4:5], 0x0
	s_cmp_lg_u64 s[26:27], s[2:3]
	s_cbranch_scc0 .LBB1036_40
; %bb.32:
	v_mov_b64_e32 v[60:61], 0
	v_cmp_lt_i64_e64 s[2:3], s[12:13], 1
	v_cmp_gt_i64_e64 s[6:7], s[12:13], 0
	s_and_b64 vcc, exec, s[2:3]
	v_mov_b64_e32 v[58:59], v[60:61]
	ds_write_b64 v56, v[62:63]
	s_cbranch_vccnz .LBB1036_50
; %bb.33:
	v_mov_b64_e32 v[14:15], s[14:15]
	v_mad_u64_u32 v[16:17], s[2:3], v62, s12, v[14:15]
	v_mul_lo_u32 v1, v62, s13
	v_mul_lo_u32 v26, v63, s12
	v_add3_u32 v17, v26, v17, v1
	v_mad_u64_u32 v[14:15], s[2:3], v32, s12, v[14:15]
	v_mul_lo_u32 v1, v32, s13
	v_mul_lo_u32 v26, v33, s12
	v_add3_u32 v15, v26, v15, v1
	global_load_ubyte v1, v[16:17], off
	global_load_ubyte v26, v[14:15], off
	v_mov_b64_e32 v[58:59], 1
	s_waitcnt vmcnt(1)
	v_cmp_ne_u16_e64 s[2:3], 0, v1
	s_waitcnt vmcnt(0)
	v_cmp_ne_u16_e32 vcc, 0, v26
	s_xor_b64 s[2:3], s[2:3], vcc
	s_xor_b64 s[2:3], s[2:3], -1
	s_and_saveexec_b64 s[20:21], s[2:3]
	s_cbranch_execz .LBB1036_42
; %bb.34:
	s_mov_b64 s[34:35], 1
	s_mov_b64 s[28:29], 0
                                        ; implicit-def: $sgpr30_sgpr31
	s_branch .LBB1036_37
.LBB1036_35:                            ;   in Loop: Header=BB1036_37 Depth=1
	v_lshl_add_u64 v[26:27], v[16:17], 0, s[34:35]
	v_lshl_add_u64 v[28:29], v[14:15], 0, s[34:35]
	global_load_ubyte v1, v[26:27], off
	global_load_ubyte v34, v[28:29], off
	s_waitcnt vmcnt(1)
	v_cmp_ne_u16_e64 s[2:3], 0, v1
	s_waitcnt vmcnt(0)
	v_cmp_ne_u16_e64 s[4:5], 0, v34
	s_xor_b64 s[4:5], s[2:3], s[4:5]
	s_add_u32 s2, s34, 1
	s_addc_u32 s3, s35, 0
	s_andn2_b64 s[30:31], s[30:31], exec
	s_and_b64 s[4:5], s[4:5], exec
	s_or_b64 s[30:31], s[30:31], s[4:5]
.LBB1036_36:                            ;   in Loop: Header=BB1036_37 Depth=1
	s_and_b64 s[4:5], exec, s[30:31]
	s_or_b64 s[28:29], s[4:5], s[28:29]
	v_mov_b64_e32 v[26:27], s[34:35]
	s_mov_b64 s[34:35], s[2:3]
	s_andn2_b64 exec, exec, s[28:29]
	s_cbranch_execz .LBB1036_41
.LBB1036_37:                            ; =>This Inner Loop Header: Depth=1
	s_or_b64 s[30:31], s[30:31], exec
	s_cmp_eq_u64 s[12:13], s[34:35]
	s_cbranch_scc0 .LBB1036_35
; %bb.38:                               ;   in Loop: Header=BB1036_37 Depth=1
                                        ; implicit-def: $sgpr2_sgpr3
	s_mov_b64 s[34:35], s[12:13]
	s_branch .LBB1036_36
.LBB1036_39:
                                        ; implicit-def: $sgpr4_sgpr5
                                        ; implicit-def: $vgpr58_vgpr59
                                        ; implicit-def: $vgpr60_vgpr61
                                        ; implicit-def: $vgpr54_vgpr55
                                        ; implicit-def: $vgpr52_vgpr53
                                        ; implicit-def: $vgpr46_vgpr47
                                        ; implicit-def: $vgpr40_vgpr41
                                        ; implicit-def: $vgpr34_vgpr35
                                        ; implicit-def: $vgpr14_vgpr15_vgpr16_vgpr17
                                        ; implicit-def: $vgpr26_vgpr27_vgpr28_vgpr29
                                        ; implicit-def: $vgpr36_vgpr37_vgpr38_vgpr39
                                        ; implicit-def: $vgpr42_vgpr43_vgpr44_vgpr45
                                        ; implicit-def: $vgpr48_vgpr49_vgpr50_vgpr51
	s_cbranch_execnz .LBB1036_287
	s_branch .LBB1036_542
.LBB1036_40:
                                        ; implicit-def: $sgpr4_sgpr5
                                        ; implicit-def: $vgpr58_vgpr59
                                        ; implicit-def: $vgpr60_vgpr61
                                        ; implicit-def: $vgpr54_vgpr55
                                        ; implicit-def: $vgpr52_vgpr53
                                        ; implicit-def: $vgpr46_vgpr47
                                        ; implicit-def: $vgpr40_vgpr41
                                        ; implicit-def: $vgpr34_vgpr35
                                        ; implicit-def: $vgpr14_vgpr15_vgpr16_vgpr17
                                        ; implicit-def: $vgpr26_vgpr27_vgpr28_vgpr29
                                        ; implicit-def: $vgpr36_vgpr37_vgpr38_vgpr39
                                        ; implicit-def: $vgpr42_vgpr43_vgpr44_vgpr45
                                        ; implicit-def: $vgpr48_vgpr49_vgpr50_vgpr51
	s_cbranch_execnz .LBB1036_142
	s_branch .LBB1036_286
.LBB1036_41:
	s_or_b64 exec, exec, s[28:29]
	v_cmp_gt_i64_e64 s[2:3], s[12:13], v[26:27]
	s_nop 1
	v_cndmask_b32_e64 v58, 0, 1, s[2:3]
	s_mov_b32 s2, 0
	v_mov_b32_e32 v59, s2
.LBB1036_42:
	s_or_b64 exec, exec, s[20:21]
	v_mov_b64_e32 v[16:17], s[14:15]
	v_mad_u64_u32 v[16:17], s[2:3], v30, s12, v[16:17]
	v_mul_lo_u32 v1, v30, s13
	v_mul_lo_u32 v26, v31, s12
	v_add3_u32 v17, v26, v17, v1
	global_load_ubyte v1, v[16:17], off
	v_mov_b64_e32 v[60:61], 1
	s_waitcnt vmcnt(0)
	v_cmp_ne_u16_e64 s[2:3], 0, v1
	s_xor_b64 s[2:3], vcc, s[2:3]
	s_xor_b64 s[2:3], s[2:3], -1
	s_and_saveexec_b64 s[4:5], s[2:3]
	s_cbranch_execz .LBB1036_49
; %bb.43:
	s_mov_b64 s[30:31], 1
	s_mov_b64 s[20:21], 0
                                        ; implicit-def: $sgpr28_sgpr29
	s_branch .LBB1036_46
.LBB1036_44:                            ;   in Loop: Header=BB1036_46 Depth=1
	v_lshl_add_u64 v[26:27], v[14:15], 0, s[30:31]
	v_lshl_add_u64 v[28:29], v[16:17], 0, s[30:31]
	global_load_ubyte v1, v[26:27], off
	global_load_ubyte v34, v[28:29], off
	s_waitcnt vmcnt(1)
	v_cmp_ne_u16_e32 vcc, 0, v1
	s_waitcnt vmcnt(0)
	v_cmp_ne_u16_e64 s[2:3], 0, v34
	s_xor_b64 s[34:35], vcc, s[2:3]
	s_add_u32 s2, s30, 1
	s_addc_u32 s3, s31, 0
	s_andn2_b64 s[28:29], s[28:29], exec
	s_and_b64 s[34:35], s[34:35], exec
	s_or_b64 s[28:29], s[28:29], s[34:35]
.LBB1036_45:                            ;   in Loop: Header=BB1036_46 Depth=1
	s_and_b64 s[34:35], exec, s[28:29]
	s_or_b64 s[20:21], s[34:35], s[20:21]
	v_mov_b64_e32 v[26:27], s[30:31]
	s_mov_b64 s[30:31], s[2:3]
	s_andn2_b64 exec, exec, s[20:21]
	s_cbranch_execz .LBB1036_48
.LBB1036_46:                            ; =>This Inner Loop Header: Depth=1
	s_or_b64 s[28:29], s[28:29], exec
	s_cmp_eq_u64 s[12:13], s[30:31]
	s_cbranch_scc0 .LBB1036_44
; %bb.47:                               ;   in Loop: Header=BB1036_46 Depth=1
                                        ; implicit-def: $sgpr2_sgpr3
	s_mov_b64 s[30:31], s[12:13]
	s_branch .LBB1036_45
.LBB1036_48:
	s_or_b64 exec, exec, s[20:21]
	v_cmp_gt_i64_e32 vcc, s[12:13], v[26:27]
	s_mov_b32 s2, 0
	v_mov_b32_e32 v61, s2
	v_cndmask_b32_e64 v60, 0, 1, vcc
.LBB1036_49:
	s_or_b64 exec, exec, s[4:5]
.LBB1036_50:
	v_cndmask_b32_e64 v1, 0, 1, s[6:7]
	v_mov_b64_e32 v[28:29], 0
	v_cmp_ne_u32_e64 s[2:3], 1, v1
	s_andn2_b64 vcc, exec, s[6:7]
	v_mov_b64_e32 v[14:15], v[28:29]
	s_cbranch_vccnz .LBB1036_66
; %bb.51:
	v_mov_b64_e32 v[14:15], s[14:15]
	v_mad_u64_u32 v[26:27], s[4:5], v30, s12, v[14:15]
	v_mul_lo_u32 v1, v30, s13
	v_mul_lo_u32 v16, v31, s12
	v_add3_u32 v27, v16, v27, v1
	v_mad_u64_u32 v[16:17], s[4:5], v24, s12, v[14:15]
	v_mul_lo_u32 v1, v24, s13
	v_mul_lo_u32 v14, v25, s12
	v_add3_u32 v17, v14, v17, v1
	global_load_ubyte v1, v[26:27], off
	global_load_ubyte v14, v[16:17], off
	s_waitcnt vmcnt(1)
	v_cmp_ne_u16_e64 s[4:5], 0, v1
	s_waitcnt vmcnt(0)
	v_cmp_ne_u16_e32 vcc, 0, v14
	s_xor_b64 s[4:5], s[4:5], vcc
	s_xor_b64 s[4:5], s[4:5], -1
	v_mov_b64_e32 v[14:15], 1
	s_and_saveexec_b64 s[20:21], s[4:5]
	s_cbranch_execz .LBB1036_58
; %bb.52:
	s_mov_b64 s[34:35], 1
	s_mov_b64 s[28:29], 0
                                        ; implicit-def: $sgpr30_sgpr31
	s_branch .LBB1036_55
.LBB1036_53:                            ;   in Loop: Header=BB1036_55 Depth=1
	v_lshl_add_u64 v[14:15], v[26:27], 0, s[34:35]
	v_lshl_add_u64 v[28:29], v[16:17], 0, s[34:35]
	global_load_ubyte v1, v[14:15], off
	global_load_ubyte v34, v[28:29], off
	s_waitcnt vmcnt(1)
	v_cmp_ne_u16_e64 s[4:5], 0, v1
	s_waitcnt vmcnt(0)
	v_cmp_ne_u16_e64 s[6:7], 0, v34
	s_xor_b64 s[6:7], s[4:5], s[6:7]
	s_add_u32 s4, s34, 1
	s_addc_u32 s5, s35, 0
	s_andn2_b64 s[30:31], s[30:31], exec
	s_and_b64 s[6:7], s[6:7], exec
	s_or_b64 s[30:31], s[30:31], s[6:7]
.LBB1036_54:                            ;   in Loop: Header=BB1036_55 Depth=1
	s_and_b64 s[6:7], exec, s[30:31]
	s_or_b64 s[28:29], s[6:7], s[28:29]
	v_mov_b64_e32 v[14:15], s[34:35]
	s_mov_b64 s[34:35], s[4:5]
	s_andn2_b64 exec, exec, s[28:29]
	s_cbranch_execz .LBB1036_57
.LBB1036_55:                            ; =>This Inner Loop Header: Depth=1
	s_or_b64 s[30:31], s[30:31], exec
	s_cmp_eq_u64 s[12:13], s[34:35]
	s_cbranch_scc0 .LBB1036_53
; %bb.56:                               ;   in Loop: Header=BB1036_55 Depth=1
                                        ; implicit-def: $sgpr4_sgpr5
	s_mov_b64 s[34:35], s[12:13]
	s_branch .LBB1036_54
.LBB1036_57:
	s_or_b64 exec, exec, s[28:29]
	v_cmp_gt_i64_e64 s[4:5], s[12:13], v[14:15]
	s_nop 1
	v_cndmask_b32_e64 v14, 0, 1, s[4:5]
	s_mov_b32 s4, 0
	v_mov_b32_e32 v15, s4
.LBB1036_58:
	s_or_b64 exec, exec, s[20:21]
	v_mov_b64_e32 v[26:27], s[14:15]
	v_mad_u64_u32 v[26:27], s[4:5], v22, s12, v[26:27]
	v_mul_lo_u32 v1, v22, s13
	v_mul_lo_u32 v28, v23, s12
	v_add3_u32 v27, v28, v27, v1
	global_load_ubyte v1, v[26:27], off
	v_mov_b64_e32 v[28:29], 1
	s_waitcnt vmcnt(0)
	v_cmp_ne_u16_e64 s[4:5], 0, v1
	s_xor_b64 s[4:5], vcc, s[4:5]
	s_xor_b64 s[4:5], s[4:5], -1
	s_and_saveexec_b64 s[6:7], s[4:5]
	s_cbranch_execz .LBB1036_65
; %bb.59:
	s_mov_b64 s[30:31], 1
	s_mov_b64 s[20:21], 0
                                        ; implicit-def: $sgpr28_sgpr29
	s_branch .LBB1036_62
.LBB1036_60:                            ;   in Loop: Header=BB1036_62 Depth=1
	v_lshl_add_u64 v[28:29], v[16:17], 0, s[30:31]
	v_lshl_add_u64 v[34:35], v[26:27], 0, s[30:31]
	global_load_ubyte v1, v[28:29], off
	global_load_ubyte v36, v[34:35], off
	s_waitcnt vmcnt(1)
	v_cmp_ne_u16_e32 vcc, 0, v1
	s_waitcnt vmcnt(0)
	v_cmp_ne_u16_e64 s[4:5], 0, v36
	s_xor_b64 s[34:35], vcc, s[4:5]
	s_add_u32 s4, s30, 1
	s_addc_u32 s5, s31, 0
	s_andn2_b64 s[28:29], s[28:29], exec
	s_and_b64 s[34:35], s[34:35], exec
	s_or_b64 s[28:29], s[28:29], s[34:35]
.LBB1036_61:                            ;   in Loop: Header=BB1036_62 Depth=1
	s_and_b64 s[34:35], exec, s[28:29]
	s_or_b64 s[20:21], s[34:35], s[20:21]
	v_mov_b64_e32 v[28:29], s[30:31]
	s_mov_b64 s[30:31], s[4:5]
	s_andn2_b64 exec, exec, s[20:21]
	s_cbranch_execz .LBB1036_64
.LBB1036_62:                            ; =>This Inner Loop Header: Depth=1
	s_or_b64 s[28:29], s[28:29], exec
	s_cmp_eq_u64 s[12:13], s[30:31]
	s_cbranch_scc0 .LBB1036_60
; %bb.63:                               ;   in Loop: Header=BB1036_62 Depth=1
                                        ; implicit-def: $sgpr4_sgpr5
	s_mov_b64 s[30:31], s[12:13]
	s_branch .LBB1036_61
.LBB1036_64:
	s_or_b64 exec, exec, s[20:21]
	v_cmp_gt_i64_e32 vcc, s[12:13], v[28:29]
	s_mov_b32 s4, 0
	v_mov_b32_e32 v29, s4
	v_cndmask_b32_e64 v28, 0, 1, vcc
.LBB1036_65:
	s_or_b64 exec, exec, s[6:7]
.LBB1036_66:
	v_mov_b64_e32 v[38:39], 0
	s_and_b64 vcc, exec, s[2:3]
	v_mov_b64_e32 v[34:35], v[38:39]
	s_cbranch_vccnz .LBB1036_82
; %bb.67:
	v_mov_b64_e32 v[16:17], s[14:15]
	v_mad_u64_u32 v[26:27], s[4:5], v22, s12, v[16:17]
	v_mul_lo_u32 v1, v22, s13
	v_mul_lo_u32 v34, v23, s12
	v_add3_u32 v27, v34, v27, v1
	v_mad_u64_u32 v[16:17], s[4:5], v20, s12, v[16:17]
	v_mul_lo_u32 v1, v20, s13
	v_mul_lo_u32 v34, v21, s12
	v_add3_u32 v17, v34, v17, v1
	global_load_ubyte v1, v[26:27], off
	global_load_ubyte v34, v[16:17], off
	s_waitcnt vmcnt(1)
	v_cmp_ne_u16_e64 s[4:5], 0, v1
	s_waitcnt vmcnt(0)
	v_cmp_ne_u16_e32 vcc, 0, v34
	s_xor_b64 s[4:5], s[4:5], vcc
	s_xor_b64 s[4:5], s[4:5], -1
	v_mov_b64_e32 v[34:35], 1
	s_and_saveexec_b64 s[20:21], s[4:5]
	s_cbranch_execz .LBB1036_74
; %bb.68:
	s_mov_b64 s[34:35], 1
	s_mov_b64 s[28:29], 0
                                        ; implicit-def: $sgpr30_sgpr31
	s_branch .LBB1036_71
.LBB1036_69:                            ;   in Loop: Header=BB1036_71 Depth=1
	v_lshl_add_u64 v[34:35], v[26:27], 0, s[34:35]
	v_lshl_add_u64 v[36:37], v[16:17], 0, s[34:35]
	global_load_ubyte v1, v[34:35], off
	global_load_ubyte v38, v[36:37], off
	s_waitcnt vmcnt(1)
	v_cmp_ne_u16_e64 s[4:5], 0, v1
	s_waitcnt vmcnt(0)
	v_cmp_ne_u16_e64 s[6:7], 0, v38
	s_xor_b64 s[6:7], s[4:5], s[6:7]
	s_add_u32 s4, s34, 1
	s_addc_u32 s5, s35, 0
	s_andn2_b64 s[30:31], s[30:31], exec
	s_and_b64 s[6:7], s[6:7], exec
	s_or_b64 s[30:31], s[30:31], s[6:7]
.LBB1036_70:                            ;   in Loop: Header=BB1036_71 Depth=1
	s_and_b64 s[6:7], exec, s[30:31]
	s_or_b64 s[28:29], s[6:7], s[28:29]
	v_mov_b64_e32 v[34:35], s[34:35]
	s_mov_b64 s[34:35], s[4:5]
	s_andn2_b64 exec, exec, s[28:29]
	s_cbranch_execz .LBB1036_73
.LBB1036_71:                            ; =>This Inner Loop Header: Depth=1
	s_or_b64 s[30:31], s[30:31], exec
	s_cmp_eq_u64 s[12:13], s[34:35]
	s_cbranch_scc0 .LBB1036_69
; %bb.72:                               ;   in Loop: Header=BB1036_71 Depth=1
                                        ; implicit-def: $sgpr4_sgpr5
	s_mov_b64 s[34:35], s[12:13]
	s_branch .LBB1036_70
.LBB1036_73:
	s_or_b64 exec, exec, s[28:29]
	v_cmp_gt_i64_e64 s[4:5], s[12:13], v[34:35]
	s_nop 1
	v_cndmask_b32_e64 v34, 0, 1, s[4:5]
	s_mov_b32 s4, 0
	v_mov_b32_e32 v35, s4
.LBB1036_74:
	s_or_b64 exec, exec, s[20:21]
	v_mov_b64_e32 v[26:27], s[14:15]
	v_mad_u64_u32 v[26:27], s[4:5], v18, s12, v[26:27]
	v_mul_lo_u32 v1, v18, s13
	v_mul_lo_u32 v36, v19, s12
	v_add3_u32 v27, v36, v27, v1
	global_load_ubyte v1, v[26:27], off
	v_mov_b64_e32 v[38:39], 1
	s_waitcnt vmcnt(0)
	v_cmp_ne_u16_e64 s[4:5], 0, v1
	s_xor_b64 s[4:5], vcc, s[4:5]
	s_xor_b64 s[4:5], s[4:5], -1
	s_and_saveexec_b64 s[6:7], s[4:5]
	s_cbranch_execz .LBB1036_81
; %bb.75:
	s_mov_b64 s[30:31], 1
	s_mov_b64 s[20:21], 0
                                        ; implicit-def: $sgpr28_sgpr29
	s_branch .LBB1036_78
.LBB1036_76:                            ;   in Loop: Header=BB1036_78 Depth=1
	v_lshl_add_u64 v[36:37], v[16:17], 0, s[30:31]
	v_lshl_add_u64 v[38:39], v[26:27], 0, s[30:31]
	global_load_ubyte v1, v[36:37], off
	global_load_ubyte v40, v[38:39], off
	s_waitcnt vmcnt(1)
	v_cmp_ne_u16_e32 vcc, 0, v1
	s_waitcnt vmcnt(0)
	v_cmp_ne_u16_e64 s[4:5], 0, v40
	s_xor_b64 s[34:35], vcc, s[4:5]
	s_add_u32 s4, s30, 1
	s_addc_u32 s5, s31, 0
	s_andn2_b64 s[28:29], s[28:29], exec
	s_and_b64 s[34:35], s[34:35], exec
	s_or_b64 s[28:29], s[28:29], s[34:35]
.LBB1036_77:                            ;   in Loop: Header=BB1036_78 Depth=1
	s_and_b64 s[34:35], exec, s[28:29]
	s_or_b64 s[20:21], s[34:35], s[20:21]
	v_mov_b64_e32 v[36:37], s[30:31]
	s_mov_b64 s[30:31], s[4:5]
	s_andn2_b64 exec, exec, s[20:21]
	s_cbranch_execz .LBB1036_80
.LBB1036_78:                            ; =>This Inner Loop Header: Depth=1
	s_or_b64 s[28:29], s[28:29], exec
	s_cmp_eq_u64 s[12:13], s[30:31]
	s_cbranch_scc0 .LBB1036_76
; %bb.79:                               ;   in Loop: Header=BB1036_78 Depth=1
                                        ; implicit-def: $sgpr4_sgpr5
	s_mov_b64 s[30:31], s[12:13]
	s_branch .LBB1036_77
.LBB1036_80:
	s_or_b64 exec, exec, s[20:21]
	v_cmp_gt_i64_e32 vcc, s[12:13], v[36:37]
	s_mov_b32 s4, 0
	v_mov_b32_e32 v39, s4
	v_cndmask_b32_e64 v38, 0, 1, vcc
.LBB1036_81:
	s_or_b64 exec, exec, s[6:7]
.LBB1036_82:
	v_mov_b64_e32 v[44:45], 0
	s_and_b64 vcc, exec, s[2:3]
	v_mov_b64_e32 v[40:41], v[44:45]
	s_cbranch_vccnz .LBB1036_98
; %bb.83:
	v_mov_b64_e32 v[16:17], s[14:15]
	v_mad_u64_u32 v[26:27], s[4:5], v18, s12, v[16:17]
	v_mul_lo_u32 v1, v18, s13
	v_mul_lo_u32 v36, v19, s12
	v_add3_u32 v27, v36, v27, v1
	v_mad_u64_u32 v[16:17], s[4:5], v12, s12, v[16:17]
	v_mul_lo_u32 v1, v12, s13
	v_mul_lo_u32 v36, v13, s12
	v_add3_u32 v17, v36, v17, v1
	global_load_ubyte v1, v[26:27], off
	global_load_ubyte v36, v[16:17], off
	v_mov_b64_e32 v[40:41], 1
	s_waitcnt vmcnt(1)
	v_cmp_ne_u16_e64 s[4:5], 0, v1
	s_waitcnt vmcnt(0)
	v_cmp_ne_u16_e32 vcc, 0, v36
	s_xor_b64 s[4:5], s[4:5], vcc
	s_xor_b64 s[4:5], s[4:5], -1
	s_and_saveexec_b64 s[20:21], s[4:5]
	s_cbranch_execz .LBB1036_90
; %bb.84:
	s_mov_b64 s[34:35], 1
	s_mov_b64 s[28:29], 0
                                        ; implicit-def: $sgpr30_sgpr31
	s_branch .LBB1036_87
.LBB1036_85:                            ;   in Loop: Header=BB1036_87 Depth=1
	v_lshl_add_u64 v[36:37], v[26:27], 0, s[34:35]
	v_lshl_add_u64 v[40:41], v[16:17], 0, s[34:35]
	global_load_ubyte v1, v[36:37], off
	global_load_ubyte v42, v[40:41], off
	s_waitcnt vmcnt(1)
	v_cmp_ne_u16_e64 s[4:5], 0, v1
	s_waitcnt vmcnt(0)
	v_cmp_ne_u16_e64 s[6:7], 0, v42
	s_xor_b64 s[6:7], s[4:5], s[6:7]
	s_add_u32 s4, s34, 1
	s_addc_u32 s5, s35, 0
	s_andn2_b64 s[30:31], s[30:31], exec
	s_and_b64 s[6:7], s[6:7], exec
	s_or_b64 s[30:31], s[30:31], s[6:7]
.LBB1036_86:                            ;   in Loop: Header=BB1036_87 Depth=1
	s_and_b64 s[6:7], exec, s[30:31]
	s_or_b64 s[28:29], s[6:7], s[28:29]
	v_mov_b64_e32 v[36:37], s[34:35]
	s_mov_b64 s[34:35], s[4:5]
	s_andn2_b64 exec, exec, s[28:29]
	s_cbranch_execz .LBB1036_89
.LBB1036_87:                            ; =>This Inner Loop Header: Depth=1
	s_or_b64 s[30:31], s[30:31], exec
	s_cmp_eq_u64 s[12:13], s[34:35]
	s_cbranch_scc0 .LBB1036_85
; %bb.88:                               ;   in Loop: Header=BB1036_87 Depth=1
                                        ; implicit-def: $sgpr4_sgpr5
	s_mov_b64 s[34:35], s[12:13]
	s_branch .LBB1036_86
.LBB1036_89:
	s_or_b64 exec, exec, s[28:29]
	v_cmp_gt_i64_e64 s[4:5], s[12:13], v[36:37]
	s_nop 1
	v_cndmask_b32_e64 v40, 0, 1, s[4:5]
	s_mov_b32 s4, 0
	v_mov_b32_e32 v41, s4
.LBB1036_90:
	s_or_b64 exec, exec, s[20:21]
	v_mov_b64_e32 v[26:27], s[14:15]
	v_mad_u64_u32 v[26:27], s[4:5], v10, s12, v[26:27]
	v_mul_lo_u32 v1, v10, s13
	v_mul_lo_u32 v36, v11, s12
	v_add3_u32 v27, v36, v27, v1
	global_load_ubyte v1, v[26:27], off
	v_mov_b64_e32 v[44:45], 1
	s_waitcnt vmcnt(0)
	v_cmp_ne_u16_e64 s[4:5], 0, v1
	s_xor_b64 s[4:5], vcc, s[4:5]
	s_xor_b64 s[4:5], s[4:5], -1
	s_and_saveexec_b64 s[6:7], s[4:5]
	s_cbranch_execz .LBB1036_97
; %bb.91:
	s_mov_b64 s[30:31], 1
	s_mov_b64 s[20:21], 0
                                        ; implicit-def: $sgpr28_sgpr29
	s_branch .LBB1036_94
.LBB1036_92:                            ;   in Loop: Header=BB1036_94 Depth=1
	v_lshl_add_u64 v[36:37], v[16:17], 0, s[30:31]
	v_lshl_add_u64 v[42:43], v[26:27], 0, s[30:31]
	global_load_ubyte v1, v[36:37], off
	global_load_ubyte v44, v[42:43], off
	s_waitcnt vmcnt(1)
	v_cmp_ne_u16_e32 vcc, 0, v1
	s_waitcnt vmcnt(0)
	v_cmp_ne_u16_e64 s[4:5], 0, v44
	s_xor_b64 s[34:35], vcc, s[4:5]
	s_add_u32 s4, s30, 1
	s_addc_u32 s5, s31, 0
	s_andn2_b64 s[28:29], s[28:29], exec
	s_and_b64 s[34:35], s[34:35], exec
	s_or_b64 s[28:29], s[28:29], s[34:35]
.LBB1036_93:                            ;   in Loop: Header=BB1036_94 Depth=1
	s_and_b64 s[34:35], exec, s[28:29]
	s_or_b64 s[20:21], s[34:35], s[20:21]
	v_mov_b64_e32 v[36:37], s[30:31]
	s_mov_b64 s[30:31], s[4:5]
	s_andn2_b64 exec, exec, s[20:21]
	s_cbranch_execz .LBB1036_96
.LBB1036_94:                            ; =>This Inner Loop Header: Depth=1
	s_or_b64 s[28:29], s[28:29], exec
	s_cmp_eq_u64 s[12:13], s[30:31]
	s_cbranch_scc0 .LBB1036_92
; %bb.95:                               ;   in Loop: Header=BB1036_94 Depth=1
                                        ; implicit-def: $sgpr4_sgpr5
	s_mov_b64 s[30:31], s[12:13]
	s_branch .LBB1036_93
.LBB1036_96:
	s_or_b64 exec, exec, s[20:21]
	v_cmp_gt_i64_e32 vcc, s[12:13], v[36:37]
	s_mov_b32 s4, 0
	v_mov_b32_e32 v45, s4
	v_cndmask_b32_e64 v44, 0, 1, vcc
.LBB1036_97:
	s_or_b64 exec, exec, s[6:7]
.LBB1036_98:
	v_mov_b64_e32 v[50:51], 0
	s_and_b64 vcc, exec, s[2:3]
	v_mov_b64_e32 v[46:47], v[50:51]
	s_cbranch_vccnz .LBB1036_114
; %bb.99:
	v_mov_b64_e32 v[16:17], s[14:15]
	v_mad_u64_u32 v[26:27], s[4:5], v10, s12, v[16:17]
	v_mul_lo_u32 v1, v10, s13
	v_mul_lo_u32 v36, v11, s12
	v_add3_u32 v27, v36, v27, v1
	v_mad_u64_u32 v[16:17], s[4:5], v8, s12, v[16:17]
	v_mul_lo_u32 v1, v8, s13
	v_mul_lo_u32 v36, v9, s12
	v_add3_u32 v17, v36, v17, v1
	global_load_ubyte v1, v[26:27], off
	global_load_ubyte v36, v[16:17], off
	v_mov_b64_e32 v[46:47], 1
	s_waitcnt vmcnt(1)
	v_cmp_ne_u16_e64 s[4:5], 0, v1
	s_waitcnt vmcnt(0)
	v_cmp_ne_u16_e32 vcc, 0, v36
	s_xor_b64 s[4:5], s[4:5], vcc
	s_xor_b64 s[4:5], s[4:5], -1
	s_and_saveexec_b64 s[20:21], s[4:5]
	s_cbranch_execz .LBB1036_106
; %bb.100:
	s_mov_b64 s[34:35], 1
	s_mov_b64 s[28:29], 0
                                        ; implicit-def: $sgpr30_sgpr31
	s_branch .LBB1036_103
.LBB1036_101:                           ;   in Loop: Header=BB1036_103 Depth=1
	v_lshl_add_u64 v[36:37], v[26:27], 0, s[34:35]
	v_lshl_add_u64 v[42:43], v[16:17], 0, s[34:35]
	global_load_ubyte v1, v[36:37], off
	global_load_ubyte v46, v[42:43], off
	s_waitcnt vmcnt(1)
	v_cmp_ne_u16_e64 s[4:5], 0, v1
	s_waitcnt vmcnt(0)
	v_cmp_ne_u16_e64 s[6:7], 0, v46
	s_xor_b64 s[6:7], s[4:5], s[6:7]
	s_add_u32 s4, s34, 1
	s_addc_u32 s5, s35, 0
	s_andn2_b64 s[30:31], s[30:31], exec
	s_and_b64 s[6:7], s[6:7], exec
	s_or_b64 s[30:31], s[30:31], s[6:7]
.LBB1036_102:                           ;   in Loop: Header=BB1036_103 Depth=1
	s_and_b64 s[6:7], exec, s[30:31]
	s_or_b64 s[28:29], s[6:7], s[28:29]
	v_mov_b64_e32 v[36:37], s[34:35]
	s_mov_b64 s[34:35], s[4:5]
	s_andn2_b64 exec, exec, s[28:29]
	s_cbranch_execz .LBB1036_105
.LBB1036_103:                           ; =>This Inner Loop Header: Depth=1
	s_or_b64 s[30:31], s[30:31], exec
	s_cmp_eq_u64 s[12:13], s[34:35]
	s_cbranch_scc0 .LBB1036_101
; %bb.104:                              ;   in Loop: Header=BB1036_103 Depth=1
                                        ; implicit-def: $sgpr4_sgpr5
	s_mov_b64 s[34:35], s[12:13]
	s_branch .LBB1036_102
.LBB1036_105:
	s_or_b64 exec, exec, s[28:29]
	v_cmp_gt_i64_e64 s[4:5], s[12:13], v[36:37]
	s_nop 1
	v_cndmask_b32_e64 v46, 0, 1, s[4:5]
	s_mov_b32 s4, 0
	v_mov_b32_e32 v47, s4
.LBB1036_106:
	s_or_b64 exec, exec, s[20:21]
	v_mov_b64_e32 v[26:27], s[14:15]
	v_mad_u64_u32 v[26:27], s[4:5], v6, s12, v[26:27]
	v_mul_lo_u32 v1, v6, s13
	v_mul_lo_u32 v36, v7, s12
	v_add3_u32 v27, v36, v27, v1
	global_load_ubyte v1, v[26:27], off
	v_mov_b64_e32 v[50:51], 1
	s_waitcnt vmcnt(0)
	v_cmp_ne_u16_e64 s[4:5], 0, v1
	s_xor_b64 s[4:5], vcc, s[4:5]
	s_xor_b64 s[4:5], s[4:5], -1
	s_and_saveexec_b64 s[6:7], s[4:5]
	s_cbranch_execz .LBB1036_113
; %bb.107:
	s_mov_b64 s[30:31], 1
	s_mov_b64 s[20:21], 0
                                        ; implicit-def: $sgpr28_sgpr29
	s_branch .LBB1036_110
.LBB1036_108:                           ;   in Loop: Header=BB1036_110 Depth=1
	v_lshl_add_u64 v[36:37], v[16:17], 0, s[30:31]
	v_lshl_add_u64 v[42:43], v[26:27], 0, s[30:31]
	global_load_ubyte v1, v[36:37], off
	global_load_ubyte v48, v[42:43], off
	s_waitcnt vmcnt(1)
	v_cmp_ne_u16_e32 vcc, 0, v1
	s_waitcnt vmcnt(0)
	v_cmp_ne_u16_e64 s[4:5], 0, v48
	s_xor_b64 s[34:35], vcc, s[4:5]
	s_add_u32 s4, s30, 1
	s_addc_u32 s5, s31, 0
	s_andn2_b64 s[28:29], s[28:29], exec
	s_and_b64 s[34:35], s[34:35], exec
	s_or_b64 s[28:29], s[28:29], s[34:35]
.LBB1036_109:                           ;   in Loop: Header=BB1036_110 Depth=1
	s_and_b64 s[34:35], exec, s[28:29]
	s_or_b64 s[20:21], s[34:35], s[20:21]
	v_mov_b64_e32 v[36:37], s[30:31]
	s_mov_b64 s[30:31], s[4:5]
	s_andn2_b64 exec, exec, s[20:21]
	s_cbranch_execz .LBB1036_112
.LBB1036_110:                           ; =>This Inner Loop Header: Depth=1
	s_or_b64 s[28:29], s[28:29], exec
	s_cmp_eq_u64 s[12:13], s[30:31]
	s_cbranch_scc0 .LBB1036_108
; %bb.111:                              ;   in Loop: Header=BB1036_110 Depth=1
                                        ; implicit-def: $sgpr4_sgpr5
	s_mov_b64 s[30:31], s[12:13]
	s_branch .LBB1036_109
.LBB1036_112:
	s_or_b64 exec, exec, s[20:21]
	v_cmp_gt_i64_e32 vcc, s[12:13], v[36:37]
	s_mov_b32 s4, 0
	v_mov_b32_e32 v51, s4
	v_cndmask_b32_e64 v50, 0, 1, vcc
.LBB1036_113:
	s_or_b64 exec, exec, s[6:7]
.LBB1036_114:
	v_mov_b64_e32 v[54:55], 0
	s_and_b64 vcc, exec, s[2:3]
	v_mov_b64_e32 v[52:53], v[54:55]
	s_cbranch_vccnz .LBB1036_130
; %bb.115:
	v_mov_b64_e32 v[16:17], s[14:15]
	v_mad_u64_u32 v[26:27], s[4:5], v6, s12, v[16:17]
	v_mul_lo_u32 v1, v6, s13
	v_mul_lo_u32 v36, v7, s12
	v_add3_u32 v27, v36, v27, v1
	v_mad_u64_u32 v[16:17], s[4:5], v4, s12, v[16:17]
	v_mul_lo_u32 v1, v4, s13
	v_mul_lo_u32 v36, v5, s12
	v_add3_u32 v17, v36, v17, v1
	global_load_ubyte v1, v[26:27], off
	global_load_ubyte v36, v[16:17], off
	v_mov_b64_e32 v[52:53], 1
	s_waitcnt vmcnt(1)
	v_cmp_ne_u16_e64 s[4:5], 0, v1
	s_waitcnt vmcnt(0)
	v_cmp_ne_u16_e32 vcc, 0, v36
	s_xor_b64 s[4:5], s[4:5], vcc
	s_xor_b64 s[4:5], s[4:5], -1
	s_and_saveexec_b64 s[20:21], s[4:5]
	s_cbranch_execz .LBB1036_122
; %bb.116:
	s_mov_b64 s[34:35], 1
	s_mov_b64 s[28:29], 0
                                        ; implicit-def: $sgpr30_sgpr31
	s_branch .LBB1036_119
.LBB1036_117:                           ;   in Loop: Header=BB1036_119 Depth=1
	v_lshl_add_u64 v[36:37], v[26:27], 0, s[34:35]
	v_lshl_add_u64 v[42:43], v[16:17], 0, s[34:35]
	global_load_ubyte v1, v[36:37], off
	global_load_ubyte v48, v[42:43], off
	s_waitcnt vmcnt(1)
	v_cmp_ne_u16_e64 s[4:5], 0, v1
	s_waitcnt vmcnt(0)
	v_cmp_ne_u16_e64 s[6:7], 0, v48
	s_xor_b64 s[6:7], s[4:5], s[6:7]
	s_add_u32 s4, s34, 1
	s_addc_u32 s5, s35, 0
	s_andn2_b64 s[30:31], s[30:31], exec
	s_and_b64 s[6:7], s[6:7], exec
	s_or_b64 s[30:31], s[30:31], s[6:7]
.LBB1036_118:                           ;   in Loop: Header=BB1036_119 Depth=1
	s_and_b64 s[6:7], exec, s[30:31]
	s_or_b64 s[28:29], s[6:7], s[28:29]
	v_mov_b64_e32 v[36:37], s[34:35]
	s_mov_b64 s[34:35], s[4:5]
	s_andn2_b64 exec, exec, s[28:29]
	s_cbranch_execz .LBB1036_121
.LBB1036_119:                           ; =>This Inner Loop Header: Depth=1
	s_or_b64 s[30:31], s[30:31], exec
	s_cmp_eq_u64 s[12:13], s[34:35]
	s_cbranch_scc0 .LBB1036_117
; %bb.120:                              ;   in Loop: Header=BB1036_119 Depth=1
                                        ; implicit-def: $sgpr4_sgpr5
	s_mov_b64 s[34:35], s[12:13]
	s_branch .LBB1036_118
.LBB1036_121:
	s_or_b64 exec, exec, s[28:29]
	v_cmp_gt_i64_e64 s[4:5], s[12:13], v[36:37]
	s_nop 1
	v_cndmask_b32_e64 v52, 0, 1, s[4:5]
	s_mov_b32 s4, 0
	v_mov_b32_e32 v53, s4
.LBB1036_122:
	s_or_b64 exec, exec, s[20:21]
	v_mov_b64_e32 v[26:27], s[14:15]
	v_mad_u64_u32 v[26:27], s[4:5], v2, s12, v[26:27]
	v_mul_lo_u32 v1, v2, s13
	v_mul_lo_u32 v36, v3, s12
	v_add3_u32 v27, v36, v27, v1
	global_load_ubyte v1, v[26:27], off
	v_mov_b64_e32 v[54:55], 1
	s_waitcnt vmcnt(0)
	v_cmp_ne_u16_e64 s[4:5], 0, v1
	s_xor_b64 s[4:5], vcc, s[4:5]
	s_xor_b64 s[4:5], s[4:5], -1
	s_and_saveexec_b64 s[6:7], s[4:5]
	s_cbranch_execz .LBB1036_129
; %bb.123:
	s_mov_b64 s[30:31], 1
	s_mov_b64 s[20:21], 0
                                        ; implicit-def: $sgpr28_sgpr29
	s_branch .LBB1036_126
.LBB1036_124:                           ;   in Loop: Header=BB1036_126 Depth=1
	v_lshl_add_u64 v[36:37], v[16:17], 0, s[30:31]
	v_lshl_add_u64 v[42:43], v[26:27], 0, s[30:31]
	global_load_ubyte v1, v[36:37], off
	global_load_ubyte v48, v[42:43], off
	s_waitcnt vmcnt(1)
	v_cmp_ne_u16_e32 vcc, 0, v1
	s_waitcnt vmcnt(0)
	v_cmp_ne_u16_e64 s[4:5], 0, v48
	s_xor_b64 s[34:35], vcc, s[4:5]
	s_add_u32 s4, s30, 1
	s_addc_u32 s5, s31, 0
	s_andn2_b64 s[28:29], s[28:29], exec
	s_and_b64 s[34:35], s[34:35], exec
	s_or_b64 s[28:29], s[28:29], s[34:35]
.LBB1036_125:                           ;   in Loop: Header=BB1036_126 Depth=1
	s_and_b64 s[34:35], exec, s[28:29]
	s_or_b64 s[20:21], s[34:35], s[20:21]
	v_mov_b64_e32 v[36:37], s[30:31]
	s_mov_b64 s[30:31], s[4:5]
	s_andn2_b64 exec, exec, s[20:21]
	s_cbranch_execz .LBB1036_128
.LBB1036_126:                           ; =>This Inner Loop Header: Depth=1
	s_or_b64 s[28:29], s[28:29], exec
	s_cmp_eq_u64 s[12:13], s[30:31]
	s_cbranch_scc0 .LBB1036_124
; %bb.127:                              ;   in Loop: Header=BB1036_126 Depth=1
                                        ; implicit-def: $sgpr4_sgpr5
	s_mov_b64 s[30:31], s[12:13]
	s_branch .LBB1036_125
.LBB1036_128:
	s_or_b64 exec, exec, s[20:21]
	v_cmp_gt_i64_e32 vcc, s[12:13], v[36:37]
	s_mov_b32 s4, 0
	v_mov_b32_e32 v55, s4
	v_cndmask_b32_e64 v54, 0, 1, vcc
.LBB1036_129:
	s_or_b64 exec, exec, s[6:7]
.LBB1036_130:
	v_cmp_ne_u32_e32 vcc, 0, v0
	s_waitcnt lgkmcnt(0)
	v_mov_b64_e32 v[36:37], s[24:25]
	s_waitcnt lgkmcnt(0)
	; wave barrier
	s_and_saveexec_b64 s[4:5], vcc
	s_cbranch_execz .LBB1036_132
; %bb.131:
	v_add_u32_e32 v1, -8, v56
	ds_read_b64 v[36:37], v1
.LBB1036_132:
	s_or_b64 exec, exec, s[4:5]
	s_mov_b64 s[6:7], 0
	s_and_b64 vcc, exec, s[2:3]
	s_mov_b64 s[4:5], 0
	s_cbranch_vccnz .LBB1036_141
; %bb.133:
	v_mov_b64_e32 v[26:27], s[14:15]
	v_mad_u64_u32 v[16:17], s[2:3], v2, s12, v[26:27]
	v_mul_lo_u32 v1, v2, s13
	v_mul_lo_u32 v42, v3, s12
	v_add3_u32 v17, v42, v17, v1
	s_waitcnt lgkmcnt(0)
	v_mad_u64_u32 v[26:27], s[2:3], v36, s12, v[26:27]
	v_mul_lo_u32 v1, v36, s13
	v_mul_lo_u32 v36, v37, s12
	v_add3_u32 v27, v36, v27, v1
	global_load_ubyte v1, v[16:17], off
	global_load_ubyte v36, v[26:27], off
	s_mov_b64 s[4:5], -1
	s_waitcnt vmcnt(1)
	v_cmp_ne_u16_e32 vcc, 0, v1
	s_waitcnt vmcnt(0)
	v_cmp_ne_u16_e64 s[2:3], 0, v36
	s_xor_b64 s[2:3], vcc, s[2:3]
	s_xor_b64 s[2:3], s[2:3], -1
	s_and_saveexec_b64 s[20:21], s[2:3]
	s_cbranch_execz .LBB1036_140
; %bb.134:
	s_mov_b64 s[30:31], 1
	s_mov_b64 s[4:5], 0
                                        ; implicit-def: $sgpr28_sgpr29
	s_branch .LBB1036_137
.LBB1036_135:                           ;   in Loop: Header=BB1036_137 Depth=1
	v_lshl_add_u64 v[36:37], v[16:17], 0, s[30:31]
	v_lshl_add_u64 v[42:43], v[26:27], 0, s[30:31]
	global_load_ubyte v1, v[36:37], off
	global_load_ubyte v48, v[42:43], off
	s_waitcnt vmcnt(1)
	v_cmp_ne_u16_e32 vcc, 0, v1
	s_waitcnt vmcnt(0)
	v_cmp_ne_u16_e64 s[2:3], 0, v48
	s_xor_b64 s[34:35], vcc, s[2:3]
	s_add_u32 s2, s30, 1
	s_addc_u32 s3, s31, 0
	s_andn2_b64 s[28:29], s[28:29], exec
	s_and_b64 s[34:35], s[34:35], exec
	s_or_b64 s[28:29], s[28:29], s[34:35]
.LBB1036_136:                           ;   in Loop: Header=BB1036_137 Depth=1
	s_and_b64 s[34:35], exec, s[28:29]
	s_or_b64 s[4:5], s[34:35], s[4:5]
	v_mov_b64_e32 v[36:37], s[30:31]
	s_mov_b64 s[30:31], s[2:3]
	s_andn2_b64 exec, exec, s[4:5]
	s_cbranch_execz .LBB1036_139
.LBB1036_137:                           ; =>This Inner Loop Header: Depth=1
	s_or_b64 s[28:29], s[28:29], exec
	s_cmp_eq_u64 s[12:13], s[30:31]
	s_cbranch_scc0 .LBB1036_135
; %bb.138:                              ;   in Loop: Header=BB1036_137 Depth=1
                                        ; implicit-def: $sgpr2_sgpr3
	s_mov_b64 s[30:31], s[12:13]
	s_branch .LBB1036_136
.LBB1036_139:
	s_or_b64 exec, exec, s[4:5]
	v_cmp_gt_i64_e32 vcc, s[12:13], v[36:37]
	s_orn2_b64 s[4:5], vcc, exec
.LBB1036_140:
	s_or_b64 exec, exec, s[20:21]
.LBB1036_141:
	s_mov_b64 s[20:21], -1
	s_and_b64 vcc, exec, s[6:7]
	s_cbranch_vccz .LBB1036_286
.LBB1036_142:
	s_mul_i32 s17, s26, 0xfffffcc0
	s_add_i32 s17, s17, s10
	v_mad_u32_u24 v1, v0, 13, 12
	v_cmp_lt_i64_e64 s[26:27], s[12:13], 1
	v_cmp_le_u32_e32 vcc, s17, v1
	s_or_b64 s[2:3], vcc, s[26:27]
	v_cmp_gt_i64_e64 s[6:7], s[12:13], 0
	s_xor_b64 s[2:3], s[2:3], -1
	ds_write_b64 v56, v[62:63]
                                        ; implicit-def: $vgpr58_vgpr59
	s_and_saveexec_b64 s[4:5], s[2:3]
	s_xor_b64 s[28:29], exec, s[4:5]
	s_cbranch_execz .LBB1036_151
; %bb.143:
	v_mov_b64_e32 v[16:17], s[14:15]
	v_mad_u64_u32 v[14:15], s[2:3], v62, s12, v[16:17]
	v_mul_lo_u32 v1, v62, s13
	v_mul_lo_u32 v26, v63, s12
	v_add3_u32 v15, v26, v15, v1
	v_mad_u64_u32 v[16:17], s[2:3], v32, s12, v[16:17]
	v_mul_lo_u32 v1, v32, s13
	v_mul_lo_u32 v26, v33, s12
	v_add3_u32 v17, v26, v17, v1
	global_load_ubyte v1, v[14:15], off
	global_load_ubyte v26, v[16:17], off
	v_mov_b64_e32 v[58:59], 1
	s_waitcnt vmcnt(1)
	v_cmp_ne_u16_e64 s[2:3], 0, v1
	s_waitcnt vmcnt(0)
	v_cmp_ne_u16_e64 s[4:5], 0, v26
	s_xor_b64 s[2:3], s[2:3], s[4:5]
	s_xor_b64 s[2:3], s[2:3], -1
	s_and_saveexec_b64 s[30:31], s[2:3]
	s_cbranch_execz .LBB1036_150
; %bb.144:
	s_mov_b64 s[38:39], 1
	s_mov_b64 s[34:35], 0
                                        ; implicit-def: $sgpr36_sgpr37
	s_branch .LBB1036_147
.LBB1036_145:                           ;   in Loop: Header=BB1036_147 Depth=1
	v_lshl_add_u64 v[26:27], v[14:15], 0, s[38:39]
	v_lshl_add_u64 v[28:29], v[16:17], 0, s[38:39]
	global_load_ubyte v1, v[26:27], off
	global_load_ubyte v34, v[28:29], off
	s_waitcnt vmcnt(1)
	v_cmp_ne_u16_e64 s[2:3], 0, v1
	s_waitcnt vmcnt(0)
	v_cmp_ne_u16_e64 s[4:5], 0, v34
	s_xor_b64 s[4:5], s[2:3], s[4:5]
	s_add_u32 s2, s38, 1
	s_addc_u32 s3, s39, 0
	s_andn2_b64 s[36:37], s[36:37], exec
	s_and_b64 s[4:5], s[4:5], exec
	s_or_b64 s[36:37], s[36:37], s[4:5]
.LBB1036_146:                           ;   in Loop: Header=BB1036_147 Depth=1
	s_and_b64 s[4:5], exec, s[36:37]
	s_or_b64 s[34:35], s[4:5], s[34:35]
	v_mov_b64_e32 v[26:27], s[38:39]
	s_mov_b64 s[38:39], s[2:3]
	s_andn2_b64 exec, exec, s[34:35]
	s_cbranch_execz .LBB1036_149
.LBB1036_147:                           ; =>This Inner Loop Header: Depth=1
	s_or_b64 s[36:37], s[36:37], exec
	s_cmp_eq_u64 s[12:13], s[38:39]
	s_cbranch_scc0 .LBB1036_145
; %bb.148:                              ;   in Loop: Header=BB1036_147 Depth=1
                                        ; implicit-def: $sgpr2_sgpr3
	s_mov_b64 s[38:39], s[12:13]
	s_branch .LBB1036_146
.LBB1036_149:
	s_or_b64 exec, exec, s[34:35]
	v_cmp_gt_i64_e64 s[2:3], s[12:13], v[26:27]
	s_nop 1
	v_cndmask_b32_e64 v58, 0, 1, s[2:3]
	s_mov_b32 s2, 0
	v_mov_b32_e32 v59, s2
.LBB1036_150:
	s_or_b64 exec, exec, s[30:31]
.LBB1036_151:
	s_or_saveexec_b64 s[2:3], s[28:29]
	v_mul_u32_u24_e32 v1, 13, v0
	s_xor_b64 exec, exec, s[2:3]
; %bb.152:
	v_cndmask_b32_e32 v59, 0, v63, vcc
	v_cndmask_b32_e32 v58, 0, v62, vcc
; %bb.153:
	s_or_b64 exec, exec, s[2:3]
	v_add_u32_e32 v14, 11, v1
	v_cmp_le_u32_e32 vcc, s17, v14
	s_or_b64 s[2:3], vcc, s[26:27]
	s_xor_b64 s[2:3], s[2:3], -1
                                        ; implicit-def: $vgpr60_vgpr61
	s_and_saveexec_b64 s[4:5], s[2:3]
	s_xor_b64 s[28:29], exec, s[4:5]
	s_cbranch_execz .LBB1036_162
; %bb.154:
	v_mov_b64_e32 v[16:17], s[14:15]
	v_mad_u64_u32 v[14:15], s[2:3], v32, s12, v[16:17]
	v_mul_lo_u32 v26, v32, s13
	v_mul_lo_u32 v27, v33, s12
	v_add3_u32 v15, v27, v15, v26
	v_mad_u64_u32 v[16:17], s[2:3], v30, s12, v[16:17]
	v_mul_lo_u32 v26, v30, s13
	v_mul_lo_u32 v27, v31, s12
	v_add3_u32 v17, v27, v17, v26
	global_load_ubyte v26, v[14:15], off
	global_load_ubyte v27, v[16:17], off
	v_mov_b64_e32 v[60:61], 1
	s_waitcnt vmcnt(1)
	v_cmp_ne_u16_e64 s[2:3], 0, v26
	s_waitcnt vmcnt(0)
	v_cmp_ne_u16_e64 s[4:5], 0, v27
	s_xor_b64 s[2:3], s[2:3], s[4:5]
	s_xor_b64 s[2:3], s[2:3], -1
	s_and_saveexec_b64 s[30:31], s[2:3]
	s_cbranch_execz .LBB1036_161
; %bb.155:
	s_mov_b64 s[38:39], 1
	s_mov_b64 s[34:35], 0
                                        ; implicit-def: $sgpr36_sgpr37
	s_branch .LBB1036_158
.LBB1036_156:                           ;   in Loop: Header=BB1036_158 Depth=1
	v_lshl_add_u64 v[26:27], v[14:15], 0, s[38:39]
	v_lshl_add_u64 v[28:29], v[16:17], 0, s[38:39]
	global_load_ubyte v34, v[26:27], off
	global_load_ubyte v35, v[28:29], off
	s_waitcnt vmcnt(1)
	v_cmp_ne_u16_e64 s[2:3], 0, v34
	s_waitcnt vmcnt(0)
	v_cmp_ne_u16_e64 s[4:5], 0, v35
	s_xor_b64 s[4:5], s[2:3], s[4:5]
	s_add_u32 s2, s38, 1
	s_addc_u32 s3, s39, 0
	s_andn2_b64 s[36:37], s[36:37], exec
	s_and_b64 s[4:5], s[4:5], exec
	s_or_b64 s[36:37], s[36:37], s[4:5]
.LBB1036_157:                           ;   in Loop: Header=BB1036_158 Depth=1
	s_and_b64 s[4:5], exec, s[36:37]
	s_or_b64 s[34:35], s[4:5], s[34:35]
	v_mov_b64_e32 v[26:27], s[38:39]
	s_mov_b64 s[38:39], s[2:3]
	s_andn2_b64 exec, exec, s[34:35]
	s_cbranch_execz .LBB1036_160
.LBB1036_158:                           ; =>This Inner Loop Header: Depth=1
	s_or_b64 s[36:37], s[36:37], exec
	s_cmp_eq_u64 s[12:13], s[38:39]
	s_cbranch_scc0 .LBB1036_156
; %bb.159:                              ;   in Loop: Header=BB1036_158 Depth=1
                                        ; implicit-def: $sgpr2_sgpr3
	s_mov_b64 s[38:39], s[12:13]
	s_branch .LBB1036_157
.LBB1036_160:
	s_or_b64 exec, exec, s[34:35]
	v_cmp_gt_i64_e64 s[2:3], s[12:13], v[26:27]
	s_nop 1
	v_cndmask_b32_e64 v60, 0, 1, s[2:3]
	s_mov_b32 s2, 0
	v_mov_b32_e32 v61, s2
.LBB1036_161:
	s_or_b64 exec, exec, s[30:31]
.LBB1036_162:
	s_andn2_saveexec_b64 s[2:3], s[28:29]
; %bb.163:
	v_cndmask_b32_e32 v61, 0, v33, vcc
	v_cndmask_b32_e32 v60, 0, v32, vcc
; %bb.164:
	s_or_b64 exec, exec, s[2:3]
	v_add_u32_e32 v14, 10, v1
	v_cmp_le_u32_e32 vcc, s17, v14
	s_or_b64 s[2:3], vcc, s[26:27]
	s_xor_b64 s[2:3], s[2:3], -1
	s_and_saveexec_b64 s[4:5], s[2:3]
	s_xor_b64 s[28:29], exec, s[4:5]
                                        ; implicit-def: $vgpr14_vgpr15_vgpr16_vgpr17
	s_cbranch_execz .LBB1036_173
; %bb.165:
	v_mov_b64_e32 v[14:15], s[14:15]
	v_mad_u64_u32 v[16:17], s[2:3], v30, s12, v[14:15]
	v_mul_lo_u32 v26, v30, s13
	v_mul_lo_u32 v27, v31, s12
	v_add3_u32 v17, v27, v17, v26
	v_mad_u64_u32 v[26:27], s[2:3], v24, s12, v[14:15]
	v_mul_lo_u32 v14, v24, s13
	v_mul_lo_u32 v15, v25, s12
	v_add3_u32 v27, v15, v27, v14
	global_load_ubyte v14, v[16:17], off
	global_load_ubyte v15, v[26:27], off
	s_waitcnt vmcnt(1)
	v_cmp_ne_u16_e64 s[2:3], 0, v14
	s_waitcnt vmcnt(0)
	v_cmp_ne_u16_e64 s[4:5], 0, v15
	s_xor_b64 s[2:3], s[2:3], s[4:5]
	s_xor_b64 s[2:3], s[2:3], -1
	v_mov_b64_e32 v[14:15], 1
	s_and_saveexec_b64 s[30:31], s[2:3]
	s_cbranch_execz .LBB1036_172
; %bb.166:
	s_mov_b64 s[38:39], 1
	s_mov_b64 s[34:35], 0
                                        ; implicit-def: $sgpr36_sgpr37
	s_branch .LBB1036_169
.LBB1036_167:                           ;   in Loop: Header=BB1036_169 Depth=1
	v_lshl_add_u64 v[14:15], v[16:17], 0, s[38:39]
	v_lshl_add_u64 v[28:29], v[26:27], 0, s[38:39]
	global_load_ubyte v34, v[14:15], off
	global_load_ubyte v35, v[28:29], off
	s_waitcnt vmcnt(1)
	v_cmp_ne_u16_e64 s[2:3], 0, v34
	s_waitcnt vmcnt(0)
	v_cmp_ne_u16_e64 s[4:5], 0, v35
	s_xor_b64 s[4:5], s[2:3], s[4:5]
	s_add_u32 s2, s38, 1
	s_addc_u32 s3, s39, 0
	s_andn2_b64 s[36:37], s[36:37], exec
	s_and_b64 s[4:5], s[4:5], exec
	s_or_b64 s[36:37], s[36:37], s[4:5]
.LBB1036_168:                           ;   in Loop: Header=BB1036_169 Depth=1
	s_and_b64 s[4:5], exec, s[36:37]
	s_or_b64 s[34:35], s[4:5], s[34:35]
	v_mov_b64_e32 v[14:15], s[38:39]
	s_mov_b64 s[38:39], s[2:3]
	s_andn2_b64 exec, exec, s[34:35]
	s_cbranch_execz .LBB1036_171
.LBB1036_169:                           ; =>This Inner Loop Header: Depth=1
	s_or_b64 s[36:37], s[36:37], exec
	s_cmp_eq_u64 s[12:13], s[38:39]
	s_cbranch_scc0 .LBB1036_167
; %bb.170:                              ;   in Loop: Header=BB1036_169 Depth=1
                                        ; implicit-def: $sgpr2_sgpr3
	s_mov_b64 s[38:39], s[12:13]
	s_branch .LBB1036_168
.LBB1036_171:
	s_or_b64 exec, exec, s[34:35]
	v_cmp_gt_i64_e64 s[2:3], s[12:13], v[14:15]
	s_nop 1
	v_cndmask_b32_e64 v14, 0, 1, s[2:3]
	s_mov_b32 s2, 0
	v_mov_b32_e32 v15, s2
.LBB1036_172:
	s_or_b64 exec, exec, s[30:31]
.LBB1036_173:
	s_andn2_saveexec_b64 s[2:3], s[28:29]
; %bb.174:
	v_cndmask_b32_e32 v15, 0, v31, vcc
	v_cndmask_b32_e32 v14, 0, v30, vcc
; %bb.175:
	s_or_b64 exec, exec, s[2:3]
	v_add_u32_e32 v16, 9, v1
	v_cmp_le_u32_e32 vcc, s17, v16
	s_or_b64 s[2:3], vcc, s[26:27]
	s_xor_b64 s[2:3], s[2:3], -1
                                        ; implicit-def: $vgpr28_vgpr29
	s_and_saveexec_b64 s[4:5], s[2:3]
	s_xor_b64 s[28:29], exec, s[4:5]
	s_cbranch_execz .LBB1036_184
; %bb.176:
	v_mov_b64_e32 v[26:27], s[14:15]
	v_mad_u64_u32 v[16:17], s[2:3], v24, s12, v[26:27]
	v_mul_lo_u32 v28, v24, s13
	v_mul_lo_u32 v29, v25, s12
	v_add3_u32 v17, v29, v17, v28
	v_mad_u64_u32 v[26:27], s[2:3], v22, s12, v[26:27]
	v_mul_lo_u32 v28, v22, s13
	v_mul_lo_u32 v29, v23, s12
	v_add3_u32 v27, v29, v27, v28
	global_load_ubyte v28, v[16:17], off
	global_load_ubyte v29, v[26:27], off
	s_waitcnt vmcnt(1)
	v_cmp_ne_u16_e64 s[2:3], 0, v28
	s_waitcnt vmcnt(0)
	v_cmp_ne_u16_e64 s[4:5], 0, v29
	s_xor_b64 s[2:3], s[2:3], s[4:5]
	s_xor_b64 s[2:3], s[2:3], -1
	v_mov_b64_e32 v[28:29], 1
	s_and_saveexec_b64 s[30:31], s[2:3]
	s_cbranch_execz .LBB1036_183
; %bb.177:
	s_mov_b64 s[38:39], 1
	s_mov_b64 s[34:35], 0
                                        ; implicit-def: $sgpr36_sgpr37
	s_branch .LBB1036_180
.LBB1036_178:                           ;   in Loop: Header=BB1036_180 Depth=1
	v_lshl_add_u64 v[28:29], v[16:17], 0, s[38:39]
	v_lshl_add_u64 v[34:35], v[26:27], 0, s[38:39]
	s_waitcnt lgkmcnt(0)
	global_load_ubyte v36, v[28:29], off
	global_load_ubyte v37, v[34:35], off
	s_waitcnt vmcnt(1)
	v_cmp_ne_u16_e64 s[2:3], 0, v36
	s_waitcnt vmcnt(0)
	v_cmp_ne_u16_e64 s[4:5], 0, v37
	s_xor_b64 s[4:5], s[2:3], s[4:5]
	s_add_u32 s2, s38, 1
	s_addc_u32 s3, s39, 0
	s_andn2_b64 s[36:37], s[36:37], exec
	s_and_b64 s[4:5], s[4:5], exec
	s_or_b64 s[36:37], s[36:37], s[4:5]
.LBB1036_179:                           ;   in Loop: Header=BB1036_180 Depth=1
	s_and_b64 s[4:5], exec, s[36:37]
	s_or_b64 s[34:35], s[4:5], s[34:35]
	v_mov_b64_e32 v[28:29], s[38:39]
	s_mov_b64 s[38:39], s[2:3]
	s_andn2_b64 exec, exec, s[34:35]
	s_cbranch_execz .LBB1036_182
.LBB1036_180:                           ; =>This Inner Loop Header: Depth=1
	s_or_b64 s[36:37], s[36:37], exec
	s_cmp_eq_u64 s[12:13], s[38:39]
	s_cbranch_scc0 .LBB1036_178
; %bb.181:                              ;   in Loop: Header=BB1036_180 Depth=1
                                        ; implicit-def: $sgpr2_sgpr3
	s_mov_b64 s[38:39], s[12:13]
	s_branch .LBB1036_179
.LBB1036_182:
	s_or_b64 exec, exec, s[34:35]
	v_cmp_gt_i64_e64 s[2:3], s[12:13], v[28:29]
	s_nop 1
	v_cndmask_b32_e64 v28, 0, 1, s[2:3]
	s_mov_b32 s2, 0
	v_mov_b32_e32 v29, s2
.LBB1036_183:
	s_or_b64 exec, exec, s[30:31]
.LBB1036_184:
	s_andn2_saveexec_b64 s[2:3], s[28:29]
; %bb.185:
	v_cndmask_b32_e32 v29, 0, v25, vcc
	v_cndmask_b32_e32 v28, 0, v24, vcc
; %bb.186:
	s_or_b64 exec, exec, s[2:3]
	v_add_u32_e32 v16, 8, v1
	v_cmp_le_u32_e32 vcc, s17, v16
	s_or_b64 s[2:3], vcc, s[26:27]
	s_xor_b64 s[2:3], s[2:3], -1
	s_and_saveexec_b64 s[4:5], s[2:3]
	s_xor_b64 s[28:29], exec, s[4:5]
                                        ; implicit-def: $vgpr34_vgpr35_vgpr36_vgpr37
	s_cbranch_execz .LBB1036_195
; %bb.187:
	v_mov_b64_e32 v[26:27], s[14:15]
	v_mad_u64_u32 v[16:17], s[2:3], v22, s12, v[26:27]
	v_mul_lo_u32 v34, v22, s13
	v_mul_lo_u32 v35, v23, s12
	v_add3_u32 v17, v35, v17, v34
	v_mad_u64_u32 v[26:27], s[2:3], v20, s12, v[26:27]
	v_mul_lo_u32 v34, v20, s13
	v_mul_lo_u32 v35, v21, s12
	v_add3_u32 v27, v35, v27, v34
	global_load_ubyte v34, v[16:17], off
	global_load_ubyte v35, v[26:27], off
	s_waitcnt vmcnt(1)
	v_cmp_ne_u16_e64 s[2:3], 0, v34
	s_waitcnt vmcnt(0)
	v_cmp_ne_u16_e64 s[4:5], 0, v35
	s_xor_b64 s[2:3], s[2:3], s[4:5]
	s_xor_b64 s[2:3], s[2:3], -1
	v_mov_b64_e32 v[34:35], 1
	s_and_saveexec_b64 s[30:31], s[2:3]
	s_cbranch_execz .LBB1036_194
; %bb.188:
	s_mov_b64 s[38:39], 1
	s_mov_b64 s[34:35], 0
                                        ; implicit-def: $sgpr36_sgpr37
	s_branch .LBB1036_191
.LBB1036_189:                           ;   in Loop: Header=BB1036_191 Depth=1
	v_lshl_add_u64 v[34:35], v[16:17], 0, s[38:39]
	s_waitcnt lgkmcnt(0)
	v_lshl_add_u64 v[36:37], v[26:27], 0, s[38:39]
	global_load_ubyte v38, v[34:35], off
	global_load_ubyte v39, v[36:37], off
	s_waitcnt vmcnt(1)
	v_cmp_ne_u16_e64 s[2:3], 0, v38
	s_waitcnt vmcnt(0)
	v_cmp_ne_u16_e64 s[4:5], 0, v39
	s_xor_b64 s[4:5], s[2:3], s[4:5]
	s_add_u32 s2, s38, 1
	s_addc_u32 s3, s39, 0
	s_andn2_b64 s[36:37], s[36:37], exec
	s_and_b64 s[4:5], s[4:5], exec
	s_or_b64 s[36:37], s[36:37], s[4:5]
.LBB1036_190:                           ;   in Loop: Header=BB1036_191 Depth=1
	s_and_b64 s[4:5], exec, s[36:37]
	s_or_b64 s[34:35], s[4:5], s[34:35]
	v_mov_b64_e32 v[34:35], s[38:39]
	s_mov_b64 s[38:39], s[2:3]
	s_andn2_b64 exec, exec, s[34:35]
	s_cbranch_execz .LBB1036_193
.LBB1036_191:                           ; =>This Inner Loop Header: Depth=1
	s_or_b64 s[36:37], s[36:37], exec
	s_cmp_eq_u64 s[12:13], s[38:39]
	s_cbranch_scc0 .LBB1036_189
; %bb.192:                              ;   in Loop: Header=BB1036_191 Depth=1
                                        ; implicit-def: $sgpr2_sgpr3
	s_mov_b64 s[38:39], s[12:13]
	s_branch .LBB1036_190
.LBB1036_193:
	s_or_b64 exec, exec, s[34:35]
	v_cmp_gt_i64_e64 s[2:3], s[12:13], v[34:35]
	s_nop 1
	v_cndmask_b32_e64 v34, 0, 1, s[2:3]
	s_mov_b32 s2, 0
	v_mov_b32_e32 v35, s2
.LBB1036_194:
	s_or_b64 exec, exec, s[30:31]
.LBB1036_195:
	s_andn2_saveexec_b64 s[2:3], s[28:29]
; %bb.196:
	v_cndmask_b32_e32 v35, 0, v23, vcc
	v_cndmask_b32_e32 v34, 0, v22, vcc
; %bb.197:
	s_or_b64 exec, exec, s[2:3]
	v_add_u32_e32 v16, 7, v1
	v_cmp_le_u32_e32 vcc, s17, v16
	s_or_b64 s[2:3], vcc, s[26:27]
	s_xor_b64 s[2:3], s[2:3], -1
                                        ; implicit-def: $vgpr38_vgpr39
	s_and_saveexec_b64 s[4:5], s[2:3]
	s_xor_b64 s[28:29], exec, s[4:5]
	s_cbranch_execz .LBB1036_206
; %bb.198:
	v_mov_b64_e32 v[26:27], s[14:15]
	v_mad_u64_u32 v[16:17], s[2:3], v20, s12, v[26:27]
	s_waitcnt lgkmcnt(0)
	v_mul_lo_u32 v36, v20, s13
	v_mul_lo_u32 v37, v21, s12
	v_add3_u32 v17, v37, v17, v36
	v_mad_u64_u32 v[26:27], s[2:3], v18, s12, v[26:27]
	v_mul_lo_u32 v36, v18, s13
	v_mul_lo_u32 v37, v19, s12
	v_add3_u32 v27, v37, v27, v36
	global_load_ubyte v36, v[16:17], off
	global_load_ubyte v37, v[26:27], off
	v_mov_b64_e32 v[38:39], 1
	s_waitcnt vmcnt(1)
	v_cmp_ne_u16_e64 s[2:3], 0, v36
	s_waitcnt vmcnt(0)
	v_cmp_ne_u16_e64 s[4:5], 0, v37
	s_xor_b64 s[2:3], s[2:3], s[4:5]
	s_xor_b64 s[2:3], s[2:3], -1
	s_and_saveexec_b64 s[30:31], s[2:3]
	s_cbranch_execz .LBB1036_205
; %bb.199:
	s_mov_b64 s[38:39], 1
	s_mov_b64 s[34:35], 0
                                        ; implicit-def: $sgpr36_sgpr37
	s_branch .LBB1036_202
.LBB1036_200:                           ;   in Loop: Header=BB1036_202 Depth=1
	v_lshl_add_u64 v[36:37], v[16:17], 0, s[38:39]
	v_lshl_add_u64 v[38:39], v[26:27], 0, s[38:39]
	global_load_ubyte v40, v[36:37], off
	global_load_ubyte v41, v[38:39], off
	s_waitcnt vmcnt(1)
	v_cmp_ne_u16_e64 s[2:3], 0, v40
	s_waitcnt vmcnt(0)
	v_cmp_ne_u16_e64 s[4:5], 0, v41
	s_xor_b64 s[4:5], s[2:3], s[4:5]
	s_add_u32 s2, s38, 1
	s_addc_u32 s3, s39, 0
	s_andn2_b64 s[36:37], s[36:37], exec
	s_and_b64 s[4:5], s[4:5], exec
	s_or_b64 s[36:37], s[36:37], s[4:5]
.LBB1036_201:                           ;   in Loop: Header=BB1036_202 Depth=1
	s_and_b64 s[4:5], exec, s[36:37]
	s_or_b64 s[34:35], s[4:5], s[34:35]
	v_mov_b64_e32 v[36:37], s[38:39]
	s_mov_b64 s[38:39], s[2:3]
	s_andn2_b64 exec, exec, s[34:35]
	s_cbranch_execz .LBB1036_204
.LBB1036_202:                           ; =>This Inner Loop Header: Depth=1
	s_or_b64 s[36:37], s[36:37], exec
	s_cmp_eq_u64 s[12:13], s[38:39]
	s_cbranch_scc0 .LBB1036_200
; %bb.203:                              ;   in Loop: Header=BB1036_202 Depth=1
                                        ; implicit-def: $sgpr2_sgpr3
	s_mov_b64 s[38:39], s[12:13]
	s_branch .LBB1036_201
.LBB1036_204:
	s_or_b64 exec, exec, s[34:35]
	v_cmp_gt_i64_e64 s[2:3], s[12:13], v[36:37]
	s_nop 1
	v_cndmask_b32_e64 v38, 0, 1, s[2:3]
	s_mov_b32 s2, 0
	v_mov_b32_e32 v39, s2
.LBB1036_205:
	s_or_b64 exec, exec, s[30:31]
.LBB1036_206:
	s_andn2_saveexec_b64 s[2:3], s[28:29]
; %bb.207:
	v_cndmask_b32_e32 v39, 0, v21, vcc
	v_cndmask_b32_e32 v38, 0, v20, vcc
; %bb.208:
	s_or_b64 exec, exec, s[2:3]
	v_add_u32_e32 v16, 6, v1
	v_cmp_le_u32_e32 vcc, s17, v16
	s_or_b64 s[2:3], vcc, s[26:27]
	s_xor_b64 s[2:3], s[2:3], -1
	s_and_saveexec_b64 s[4:5], s[2:3]
	s_xor_b64 s[28:29], exec, s[4:5]
                                        ; implicit-def: $vgpr40_vgpr41_vgpr42_vgpr43
	s_cbranch_execz .LBB1036_217
; %bb.209:
	v_mov_b64_e32 v[26:27], s[14:15]
	v_mad_u64_u32 v[16:17], s[2:3], v18, s12, v[26:27]
	s_waitcnt lgkmcnt(0)
	v_mul_lo_u32 v36, v18, s13
	v_mul_lo_u32 v37, v19, s12
	v_add3_u32 v17, v37, v17, v36
	v_mad_u64_u32 v[26:27], s[2:3], v12, s12, v[26:27]
	v_mul_lo_u32 v36, v12, s13
	v_mul_lo_u32 v37, v13, s12
	v_add3_u32 v27, v37, v27, v36
	global_load_ubyte v36, v[16:17], off
	global_load_ubyte v37, v[26:27], off
	v_mov_b64_e32 v[40:41], 1
	s_waitcnt vmcnt(1)
	v_cmp_ne_u16_e64 s[2:3], 0, v36
	s_waitcnt vmcnt(0)
	v_cmp_ne_u16_e64 s[4:5], 0, v37
	s_xor_b64 s[2:3], s[2:3], s[4:5]
	s_xor_b64 s[2:3], s[2:3], -1
	s_and_saveexec_b64 s[30:31], s[2:3]
	s_cbranch_execz .LBB1036_216
; %bb.210:
	s_mov_b64 s[38:39], 1
	s_mov_b64 s[34:35], 0
                                        ; implicit-def: $sgpr36_sgpr37
	s_branch .LBB1036_213
.LBB1036_211:                           ;   in Loop: Header=BB1036_213 Depth=1
	v_lshl_add_u64 v[36:37], v[16:17], 0, s[38:39]
	v_lshl_add_u64 v[40:41], v[26:27], 0, s[38:39]
	global_load_ubyte v42, v[36:37], off
	global_load_ubyte v43, v[40:41], off
	s_waitcnt vmcnt(1)
	v_cmp_ne_u16_e64 s[2:3], 0, v42
	s_waitcnt vmcnt(0)
	v_cmp_ne_u16_e64 s[4:5], 0, v43
	s_xor_b64 s[4:5], s[2:3], s[4:5]
	s_add_u32 s2, s38, 1
	s_addc_u32 s3, s39, 0
	s_andn2_b64 s[36:37], s[36:37], exec
	s_and_b64 s[4:5], s[4:5], exec
	s_or_b64 s[36:37], s[36:37], s[4:5]
.LBB1036_212:                           ;   in Loop: Header=BB1036_213 Depth=1
	s_and_b64 s[4:5], exec, s[36:37]
	s_or_b64 s[34:35], s[4:5], s[34:35]
	v_mov_b64_e32 v[36:37], s[38:39]
	s_mov_b64 s[38:39], s[2:3]
	s_andn2_b64 exec, exec, s[34:35]
	s_cbranch_execz .LBB1036_215
.LBB1036_213:                           ; =>This Inner Loop Header: Depth=1
	s_or_b64 s[36:37], s[36:37], exec
	s_cmp_eq_u64 s[12:13], s[38:39]
	s_cbranch_scc0 .LBB1036_211
; %bb.214:                              ;   in Loop: Header=BB1036_213 Depth=1
                                        ; implicit-def: $sgpr2_sgpr3
	s_mov_b64 s[38:39], s[12:13]
	s_branch .LBB1036_212
.LBB1036_215:
	s_or_b64 exec, exec, s[34:35]
	v_cmp_gt_i64_e64 s[2:3], s[12:13], v[36:37]
	s_nop 1
	v_cndmask_b32_e64 v40, 0, 1, s[2:3]
	s_mov_b32 s2, 0
	v_mov_b32_e32 v41, s2
.LBB1036_216:
	s_or_b64 exec, exec, s[30:31]
.LBB1036_217:
	s_andn2_saveexec_b64 s[2:3], s[28:29]
; %bb.218:
	v_cndmask_b32_e32 v41, 0, v19, vcc
	v_cndmask_b32_e32 v40, 0, v18, vcc
; %bb.219:
	s_or_b64 exec, exec, s[2:3]
	v_add_u32_e32 v16, 5, v1
	v_cmp_le_u32_e32 vcc, s17, v16
	s_or_b64 s[2:3], vcc, s[26:27]
	s_xor_b64 s[2:3], s[2:3], -1
                                        ; implicit-def: $vgpr44_vgpr45
	s_and_saveexec_b64 s[4:5], s[2:3]
	s_xor_b64 s[28:29], exec, s[4:5]
	s_cbranch_execz .LBB1036_228
; %bb.220:
	v_mov_b64_e32 v[26:27], s[14:15]
	v_mad_u64_u32 v[16:17], s[2:3], v12, s12, v[26:27]
	s_waitcnt lgkmcnt(0)
	v_mul_lo_u32 v36, v12, s13
	v_mul_lo_u32 v37, v13, s12
	v_add3_u32 v17, v37, v17, v36
	v_mad_u64_u32 v[26:27], s[2:3], v10, s12, v[26:27]
	v_mul_lo_u32 v36, v10, s13
	v_mul_lo_u32 v37, v11, s12
	v_add3_u32 v27, v37, v27, v36
	global_load_ubyte v36, v[16:17], off
	global_load_ubyte v37, v[26:27], off
	v_mov_b64_e32 v[44:45], 1
	s_waitcnt vmcnt(1)
	v_cmp_ne_u16_e64 s[2:3], 0, v36
	s_waitcnt vmcnt(0)
	v_cmp_ne_u16_e64 s[4:5], 0, v37
	s_xor_b64 s[2:3], s[2:3], s[4:5]
	s_xor_b64 s[2:3], s[2:3], -1
	s_and_saveexec_b64 s[30:31], s[2:3]
	s_cbranch_execz .LBB1036_227
; %bb.221:
	s_mov_b64 s[38:39], 1
	s_mov_b64 s[34:35], 0
                                        ; implicit-def: $sgpr36_sgpr37
	s_branch .LBB1036_224
.LBB1036_222:                           ;   in Loop: Header=BB1036_224 Depth=1
	v_lshl_add_u64 v[36:37], v[16:17], 0, s[38:39]
	v_lshl_add_u64 v[42:43], v[26:27], 0, s[38:39]
	global_load_ubyte v44, v[36:37], off
	global_load_ubyte v45, v[42:43], off
	s_waitcnt vmcnt(1)
	v_cmp_ne_u16_e64 s[2:3], 0, v44
	s_waitcnt vmcnt(0)
	v_cmp_ne_u16_e64 s[4:5], 0, v45
	s_xor_b64 s[4:5], s[2:3], s[4:5]
	s_add_u32 s2, s38, 1
	s_addc_u32 s3, s39, 0
	s_andn2_b64 s[36:37], s[36:37], exec
	s_and_b64 s[4:5], s[4:5], exec
	s_or_b64 s[36:37], s[36:37], s[4:5]
.LBB1036_223:                           ;   in Loop: Header=BB1036_224 Depth=1
	s_and_b64 s[4:5], exec, s[36:37]
	s_or_b64 s[34:35], s[4:5], s[34:35]
	v_mov_b64_e32 v[36:37], s[38:39]
	s_mov_b64 s[38:39], s[2:3]
	s_andn2_b64 exec, exec, s[34:35]
	s_cbranch_execz .LBB1036_226
.LBB1036_224:                           ; =>This Inner Loop Header: Depth=1
	s_or_b64 s[36:37], s[36:37], exec
	s_cmp_eq_u64 s[12:13], s[38:39]
	s_cbranch_scc0 .LBB1036_222
; %bb.225:                              ;   in Loop: Header=BB1036_224 Depth=1
                                        ; implicit-def: $sgpr2_sgpr3
	s_mov_b64 s[38:39], s[12:13]
	s_branch .LBB1036_223
.LBB1036_226:
	s_or_b64 exec, exec, s[34:35]
	v_cmp_gt_i64_e64 s[2:3], s[12:13], v[36:37]
	s_nop 1
	v_cndmask_b32_e64 v44, 0, 1, s[2:3]
	s_mov_b32 s2, 0
	v_mov_b32_e32 v45, s2
.LBB1036_227:
	s_or_b64 exec, exec, s[30:31]
.LBB1036_228:
	s_andn2_saveexec_b64 s[2:3], s[28:29]
; %bb.229:
	v_cndmask_b32_e32 v45, 0, v13, vcc
	v_cndmask_b32_e32 v44, 0, v12, vcc
; %bb.230:
	s_or_b64 exec, exec, s[2:3]
	v_add_u32_e32 v16, 4, v1
	v_cmp_le_u32_e32 vcc, s17, v16
	s_or_b64 s[2:3], vcc, s[26:27]
	s_xor_b64 s[2:3], s[2:3], -1
	s_and_saveexec_b64 s[4:5], s[2:3]
	s_xor_b64 s[28:29], exec, s[4:5]
                                        ; implicit-def: $vgpr46_vgpr47_vgpr48_vgpr49
	s_cbranch_execz .LBB1036_239
; %bb.231:
	v_mov_b64_e32 v[26:27], s[14:15]
	v_mad_u64_u32 v[16:17], s[2:3], v10, s12, v[26:27]
	s_waitcnt lgkmcnt(0)
	v_mul_lo_u32 v36, v10, s13
	v_mul_lo_u32 v37, v11, s12
	v_add3_u32 v17, v37, v17, v36
	v_mad_u64_u32 v[26:27], s[2:3], v8, s12, v[26:27]
	v_mul_lo_u32 v36, v8, s13
	v_mul_lo_u32 v37, v9, s12
	v_add3_u32 v27, v37, v27, v36
	global_load_ubyte v36, v[16:17], off
	global_load_ubyte v37, v[26:27], off
	v_mov_b64_e32 v[46:47], 1
	s_waitcnt vmcnt(1)
	v_cmp_ne_u16_e64 s[2:3], 0, v36
	s_waitcnt vmcnt(0)
	v_cmp_ne_u16_e64 s[4:5], 0, v37
	s_xor_b64 s[2:3], s[2:3], s[4:5]
	s_xor_b64 s[2:3], s[2:3], -1
	s_and_saveexec_b64 s[30:31], s[2:3]
	s_cbranch_execz .LBB1036_238
; %bb.232:
	s_mov_b64 s[38:39], 1
	s_mov_b64 s[34:35], 0
                                        ; implicit-def: $sgpr36_sgpr37
	s_branch .LBB1036_235
.LBB1036_233:                           ;   in Loop: Header=BB1036_235 Depth=1
	v_lshl_add_u64 v[36:37], v[16:17], 0, s[38:39]
	v_lshl_add_u64 v[42:43], v[26:27], 0, s[38:39]
	global_load_ubyte v46, v[36:37], off
	global_load_ubyte v47, v[42:43], off
	s_waitcnt vmcnt(1)
	v_cmp_ne_u16_e64 s[2:3], 0, v46
	s_waitcnt vmcnt(0)
	v_cmp_ne_u16_e64 s[4:5], 0, v47
	s_xor_b64 s[4:5], s[2:3], s[4:5]
	s_add_u32 s2, s38, 1
	s_addc_u32 s3, s39, 0
	s_andn2_b64 s[36:37], s[36:37], exec
	s_and_b64 s[4:5], s[4:5], exec
	s_or_b64 s[36:37], s[36:37], s[4:5]
.LBB1036_234:                           ;   in Loop: Header=BB1036_235 Depth=1
	s_and_b64 s[4:5], exec, s[36:37]
	s_or_b64 s[34:35], s[4:5], s[34:35]
	v_mov_b64_e32 v[36:37], s[38:39]
	s_mov_b64 s[38:39], s[2:3]
	s_andn2_b64 exec, exec, s[34:35]
	s_cbranch_execz .LBB1036_237
.LBB1036_235:                           ; =>This Inner Loop Header: Depth=1
	s_or_b64 s[36:37], s[36:37], exec
	s_cmp_eq_u64 s[12:13], s[38:39]
	s_cbranch_scc0 .LBB1036_233
; %bb.236:                              ;   in Loop: Header=BB1036_235 Depth=1
                                        ; implicit-def: $sgpr2_sgpr3
	s_mov_b64 s[38:39], s[12:13]
	s_branch .LBB1036_234
.LBB1036_237:
	s_or_b64 exec, exec, s[34:35]
	v_cmp_gt_i64_e64 s[2:3], s[12:13], v[36:37]
	s_nop 1
	v_cndmask_b32_e64 v46, 0, 1, s[2:3]
	s_mov_b32 s2, 0
	v_mov_b32_e32 v47, s2
.LBB1036_238:
	s_or_b64 exec, exec, s[30:31]
.LBB1036_239:
	s_andn2_saveexec_b64 s[2:3], s[28:29]
; %bb.240:
	v_cndmask_b32_e32 v47, 0, v11, vcc
	v_cndmask_b32_e32 v46, 0, v10, vcc
; %bb.241:
	s_or_b64 exec, exec, s[2:3]
	v_add_u32_e32 v16, 3, v1
	v_cmp_le_u32_e32 vcc, s17, v16
	s_or_b64 s[2:3], vcc, s[26:27]
	s_xor_b64 s[2:3], s[2:3], -1
                                        ; implicit-def: $vgpr50_vgpr51
	s_and_saveexec_b64 s[4:5], s[2:3]
	s_xor_b64 s[28:29], exec, s[4:5]
	s_cbranch_execz .LBB1036_250
; %bb.242:
	v_mov_b64_e32 v[26:27], s[14:15]
	v_mad_u64_u32 v[16:17], s[2:3], v8, s12, v[26:27]
	s_waitcnt lgkmcnt(0)
	v_mul_lo_u32 v36, v8, s13
	v_mul_lo_u32 v37, v9, s12
	v_add3_u32 v17, v37, v17, v36
	v_mad_u64_u32 v[26:27], s[2:3], v6, s12, v[26:27]
	v_mul_lo_u32 v36, v6, s13
	v_mul_lo_u32 v37, v7, s12
	v_add3_u32 v27, v37, v27, v36
	global_load_ubyte v36, v[16:17], off
	global_load_ubyte v37, v[26:27], off
	v_mov_b64_e32 v[50:51], 1
	s_waitcnt vmcnt(1)
	v_cmp_ne_u16_e64 s[2:3], 0, v36
	s_waitcnt vmcnt(0)
	v_cmp_ne_u16_e64 s[4:5], 0, v37
	s_xor_b64 s[2:3], s[2:3], s[4:5]
	s_xor_b64 s[2:3], s[2:3], -1
	s_and_saveexec_b64 s[30:31], s[2:3]
	s_cbranch_execz .LBB1036_249
; %bb.243:
	s_mov_b64 s[38:39], 1
	s_mov_b64 s[34:35], 0
                                        ; implicit-def: $sgpr36_sgpr37
	s_branch .LBB1036_246
.LBB1036_244:                           ;   in Loop: Header=BB1036_246 Depth=1
	v_lshl_add_u64 v[36:37], v[16:17], 0, s[38:39]
	v_lshl_add_u64 v[42:43], v[26:27], 0, s[38:39]
	global_load_ubyte v48, v[36:37], off
	global_load_ubyte v49, v[42:43], off
	s_waitcnt vmcnt(1)
	v_cmp_ne_u16_e64 s[2:3], 0, v48
	s_waitcnt vmcnt(0)
	v_cmp_ne_u16_e64 s[4:5], 0, v49
	s_xor_b64 s[4:5], s[2:3], s[4:5]
	s_add_u32 s2, s38, 1
	s_addc_u32 s3, s39, 0
	s_andn2_b64 s[36:37], s[36:37], exec
	s_and_b64 s[4:5], s[4:5], exec
	s_or_b64 s[36:37], s[36:37], s[4:5]
.LBB1036_245:                           ;   in Loop: Header=BB1036_246 Depth=1
	s_and_b64 s[4:5], exec, s[36:37]
	s_or_b64 s[34:35], s[4:5], s[34:35]
	v_mov_b64_e32 v[36:37], s[38:39]
	s_mov_b64 s[38:39], s[2:3]
	s_andn2_b64 exec, exec, s[34:35]
	s_cbranch_execz .LBB1036_248
.LBB1036_246:                           ; =>This Inner Loop Header: Depth=1
	s_or_b64 s[36:37], s[36:37], exec
	s_cmp_eq_u64 s[12:13], s[38:39]
	s_cbranch_scc0 .LBB1036_244
; %bb.247:                              ;   in Loop: Header=BB1036_246 Depth=1
                                        ; implicit-def: $sgpr2_sgpr3
	s_mov_b64 s[38:39], s[12:13]
	s_branch .LBB1036_245
.LBB1036_248:
	s_or_b64 exec, exec, s[34:35]
	v_cmp_gt_i64_e64 s[2:3], s[12:13], v[36:37]
	s_nop 1
	v_cndmask_b32_e64 v50, 0, 1, s[2:3]
	s_mov_b32 s2, 0
	v_mov_b32_e32 v51, s2
.LBB1036_249:
	s_or_b64 exec, exec, s[30:31]
.LBB1036_250:
	s_andn2_saveexec_b64 s[2:3], s[28:29]
; %bb.251:
	v_cndmask_b32_e32 v51, 0, v9, vcc
	v_cndmask_b32_e32 v50, 0, v8, vcc
; %bb.252:
	s_or_b64 exec, exec, s[2:3]
	v_add_u32_e32 v16, 2, v1
	v_cmp_le_u32_e32 vcc, s17, v16
	s_or_b64 s[2:3], vcc, s[26:27]
	s_xor_b64 s[2:3], s[2:3], -1
	s_and_saveexec_b64 s[4:5], s[2:3]
	s_xor_b64 s[28:29], exec, s[4:5]
                                        ; implicit-def: $vgpr52_vgpr53_vgpr54_vgpr55
	s_cbranch_execz .LBB1036_261
; %bb.253:
	v_mov_b64_e32 v[26:27], s[14:15]
	v_mad_u64_u32 v[16:17], s[2:3], v6, s12, v[26:27]
	s_waitcnt lgkmcnt(0)
	v_mul_lo_u32 v36, v6, s13
	v_mul_lo_u32 v37, v7, s12
	v_add3_u32 v17, v37, v17, v36
	v_mad_u64_u32 v[26:27], s[2:3], v4, s12, v[26:27]
	v_mul_lo_u32 v36, v4, s13
	v_mul_lo_u32 v37, v5, s12
	v_add3_u32 v27, v37, v27, v36
	global_load_ubyte v36, v[16:17], off
	global_load_ubyte v37, v[26:27], off
	v_mov_b64_e32 v[52:53], 1
	s_waitcnt vmcnt(1)
	v_cmp_ne_u16_e64 s[2:3], 0, v36
	s_waitcnt vmcnt(0)
	v_cmp_ne_u16_e64 s[4:5], 0, v37
	s_xor_b64 s[2:3], s[2:3], s[4:5]
	s_xor_b64 s[2:3], s[2:3], -1
	s_and_saveexec_b64 s[30:31], s[2:3]
	s_cbranch_execz .LBB1036_260
; %bb.254:
	s_mov_b64 s[38:39], 1
	s_mov_b64 s[34:35], 0
                                        ; implicit-def: $sgpr36_sgpr37
	s_branch .LBB1036_257
.LBB1036_255:                           ;   in Loop: Header=BB1036_257 Depth=1
	v_lshl_add_u64 v[36:37], v[16:17], 0, s[38:39]
	v_lshl_add_u64 v[42:43], v[26:27], 0, s[38:39]
	global_load_ubyte v48, v[36:37], off
	global_load_ubyte v49, v[42:43], off
	s_waitcnt vmcnt(1)
	v_cmp_ne_u16_e64 s[2:3], 0, v48
	s_waitcnt vmcnt(0)
	v_cmp_ne_u16_e64 s[4:5], 0, v49
	s_xor_b64 s[4:5], s[2:3], s[4:5]
	s_add_u32 s2, s38, 1
	s_addc_u32 s3, s39, 0
	s_andn2_b64 s[36:37], s[36:37], exec
	s_and_b64 s[4:5], s[4:5], exec
	s_or_b64 s[36:37], s[36:37], s[4:5]
.LBB1036_256:                           ;   in Loop: Header=BB1036_257 Depth=1
	s_and_b64 s[4:5], exec, s[36:37]
	s_or_b64 s[34:35], s[4:5], s[34:35]
	v_mov_b64_e32 v[36:37], s[38:39]
	s_mov_b64 s[38:39], s[2:3]
	s_andn2_b64 exec, exec, s[34:35]
	s_cbranch_execz .LBB1036_259
.LBB1036_257:                           ; =>This Inner Loop Header: Depth=1
	s_or_b64 s[36:37], s[36:37], exec
	s_cmp_eq_u64 s[12:13], s[38:39]
	s_cbranch_scc0 .LBB1036_255
; %bb.258:                              ;   in Loop: Header=BB1036_257 Depth=1
                                        ; implicit-def: $sgpr2_sgpr3
	s_mov_b64 s[38:39], s[12:13]
	s_branch .LBB1036_256
.LBB1036_259:
	s_or_b64 exec, exec, s[34:35]
	v_cmp_gt_i64_e64 s[2:3], s[12:13], v[36:37]
	s_nop 1
	v_cndmask_b32_e64 v52, 0, 1, s[2:3]
	s_mov_b32 s2, 0
	v_mov_b32_e32 v53, s2
.LBB1036_260:
	s_or_b64 exec, exec, s[30:31]
.LBB1036_261:
	s_andn2_saveexec_b64 s[2:3], s[28:29]
; %bb.262:
	v_cndmask_b32_e32 v53, 0, v7, vcc
	v_cndmask_b32_e32 v52, 0, v6, vcc
; %bb.263:
	s_or_b64 exec, exec, s[2:3]
	v_add_u32_e32 v16, 1, v1
	v_cmp_le_u32_e32 vcc, s17, v16
	s_or_b64 s[2:3], vcc, s[26:27]
	s_xor_b64 s[2:3], s[2:3], -1
	v_cndmask_b32_e32 v55, 0, v5, vcc
	v_cndmask_b32_e32 v54, 0, v4, vcc
	s_and_saveexec_b64 s[4:5], s[2:3]
	s_cbranch_execz .LBB1036_272
; %bb.264:
	v_mov_b64_e32 v[26:27], s[14:15]
	v_mad_u64_u32 v[16:17], s[2:3], v4, s12, v[26:27]
	s_waitcnt lgkmcnt(0)
	v_mul_lo_u32 v36, v4, s13
	v_mul_lo_u32 v37, v5, s12
	v_add3_u32 v17, v37, v17, v36
	v_mad_u64_u32 v[26:27], s[2:3], v2, s12, v[26:27]
	v_mul_lo_u32 v36, v2, s13
	v_mul_lo_u32 v37, v3, s12
	v_add3_u32 v27, v37, v27, v36
	global_load_ubyte v36, v[16:17], off
	global_load_ubyte v37, v[26:27], off
	v_mov_b64_e32 v[54:55], 1
	s_waitcnt vmcnt(1)
	v_cmp_ne_u16_e32 vcc, 0, v36
	s_waitcnt vmcnt(0)
	v_cmp_ne_u16_e64 s[2:3], 0, v37
	s_xor_b64 s[2:3], vcc, s[2:3]
	s_xor_b64 s[2:3], s[2:3], -1
	s_and_saveexec_b64 s[26:27], s[2:3]
	s_cbranch_execz .LBB1036_271
; %bb.265:
	s_mov_b64 s[34:35], 1
	s_mov_b64 s[28:29], 0
                                        ; implicit-def: $sgpr30_sgpr31
	s_branch .LBB1036_268
.LBB1036_266:                           ;   in Loop: Header=BB1036_268 Depth=1
	v_lshl_add_u64 v[36:37], v[16:17], 0, s[34:35]
	v_lshl_add_u64 v[42:43], v[26:27], 0, s[34:35]
	global_load_ubyte v48, v[36:37], off
	global_load_ubyte v49, v[42:43], off
	s_waitcnt vmcnt(1)
	v_cmp_ne_u16_e32 vcc, 0, v48
	s_waitcnt vmcnt(0)
	v_cmp_ne_u16_e64 s[2:3], 0, v49
	s_xor_b64 s[36:37], vcc, s[2:3]
	s_add_u32 s2, s34, 1
	s_addc_u32 s3, s35, 0
	s_andn2_b64 s[30:31], s[30:31], exec
	s_and_b64 s[36:37], s[36:37], exec
	s_or_b64 s[30:31], s[30:31], s[36:37]
.LBB1036_267:                           ;   in Loop: Header=BB1036_268 Depth=1
	s_and_b64 s[36:37], exec, s[30:31]
	s_or_b64 s[28:29], s[36:37], s[28:29]
	v_mov_b64_e32 v[36:37], s[34:35]
	s_mov_b64 s[34:35], s[2:3]
	s_andn2_b64 exec, exec, s[28:29]
	s_cbranch_execz .LBB1036_270
.LBB1036_268:                           ; =>This Inner Loop Header: Depth=1
	s_or_b64 s[30:31], s[30:31], exec
	s_cmp_eq_u64 s[12:13], s[34:35]
	s_cbranch_scc0 .LBB1036_266
; %bb.269:                              ;   in Loop: Header=BB1036_268 Depth=1
                                        ; implicit-def: $sgpr2_sgpr3
	s_mov_b64 s[34:35], s[12:13]
	s_branch .LBB1036_267
.LBB1036_270:
	s_or_b64 exec, exec, s[28:29]
	v_cmp_gt_i64_e32 vcc, s[12:13], v[36:37]
	s_mov_b32 s2, 0
	v_mov_b32_e32 v55, s2
	v_cndmask_b32_e64 v54, 0, 1, vcc
.LBB1036_271:
	s_or_b64 exec, exec, s[26:27]
.LBB1036_272:
	s_or_b64 exec, exec, s[4:5]
	v_cmp_ne_u32_e32 vcc, 0, v0
	s_waitcnt lgkmcnt(0)
	v_mov_b64_e32 v[36:37], s[24:25]
	s_waitcnt lgkmcnt(0)
	; wave barrier
	s_and_saveexec_b64 s[2:3], vcc
	s_cbranch_execz .LBB1036_274
; %bb.273:
	v_add_u32_e32 v16, -8, v56
	ds_read_b64 v[36:37], v16
.LBB1036_274:
	s_or_b64 exec, exec, s[2:3]
	v_cmp_gt_u32_e32 vcc, s17, v1
                                        ; implicit-def: $sgpr4_sgpr5
	s_and_saveexec_b64 s[24:25], vcc
	s_cbranch_execz .LBB1036_285
; %bb.275:
	s_andn2_b64 vcc, exec, s[6:7]
	s_mov_b64 s[2:3], 0
	s_cbranch_vccnz .LBB1036_284
; %bb.276:
	v_mov_b64_e32 v[26:27], s[14:15]
	v_mad_u64_u32 v[16:17], s[2:3], v2, s12, v[26:27]
	v_mul_lo_u32 v1, v2, s13
	v_mul_lo_u32 v42, v3, s12
	v_add3_u32 v17, v42, v17, v1
	s_waitcnt lgkmcnt(0)
	v_mad_u64_u32 v[26:27], s[2:3], v36, s12, v[26:27]
	v_mul_lo_u32 v1, v36, s13
	v_mul_lo_u32 v36, v37, s12
	v_add3_u32 v27, v36, v27, v1
	global_load_ubyte v1, v[16:17], off
	global_load_ubyte v36, v[26:27], off
	s_waitcnt vmcnt(1)
	v_cmp_ne_u16_e32 vcc, 0, v1
	s_waitcnt vmcnt(0)
	v_cmp_ne_u16_e64 s[2:3], 0, v36
	s_xor_b64 s[4:5], vcc, s[2:3]
	s_mov_b64 s[2:3], -1
	s_xor_b64 s[6:7], s[4:5], -1
	s_and_saveexec_b64 s[4:5], s[6:7]
	s_cbranch_execz .LBB1036_283
; %bb.277:
	s_mov_b64 s[28:29], 1
	s_mov_b64 s[6:7], 0
                                        ; implicit-def: $sgpr26_sgpr27
	s_branch .LBB1036_280
.LBB1036_278:                           ;   in Loop: Header=BB1036_280 Depth=1
	v_lshl_add_u64 v[36:37], v[16:17], 0, s[28:29]
	v_lshl_add_u64 v[42:43], v[26:27], 0, s[28:29]
	global_load_ubyte v1, v[36:37], off
	global_load_ubyte v48, v[42:43], off
	s_waitcnt vmcnt(1)
	v_cmp_ne_u16_e32 vcc, 0, v1
	s_waitcnt vmcnt(0)
	v_cmp_ne_u16_e64 s[2:3], 0, v48
	s_xor_b64 s[30:31], vcc, s[2:3]
	s_add_u32 s2, s28, 1
	s_addc_u32 s3, s29, 0
	s_andn2_b64 s[26:27], s[26:27], exec
	s_and_b64 s[30:31], s[30:31], exec
	s_or_b64 s[26:27], s[26:27], s[30:31]
.LBB1036_279:                           ;   in Loop: Header=BB1036_280 Depth=1
	s_and_b64 s[30:31], exec, s[26:27]
	s_or_b64 s[6:7], s[30:31], s[6:7]
	v_mov_b64_e32 v[36:37], s[28:29]
	s_mov_b64 s[28:29], s[2:3]
	s_andn2_b64 exec, exec, s[6:7]
	s_cbranch_execz .LBB1036_282
.LBB1036_280:                           ; =>This Inner Loop Header: Depth=1
	s_or_b64 s[26:27], s[26:27], exec
	s_cmp_eq_u64 s[12:13], s[28:29]
	s_cbranch_scc0 .LBB1036_278
; %bb.281:                              ;   in Loop: Header=BB1036_280 Depth=1
                                        ; implicit-def: $sgpr2_sgpr3
	s_mov_b64 s[28:29], s[12:13]
	s_branch .LBB1036_279
.LBB1036_282:
	s_or_b64 exec, exec, s[6:7]
	v_cmp_gt_i64_e32 vcc, s[12:13], v[36:37]
	s_orn2_b64 s[2:3], vcc, exec
.LBB1036_283:
	s_or_b64 exec, exec, s[4:5]
.LBB1036_284:
	s_and_b64 s[4:5], s[2:3], exec
	s_or_b64 s[20:21], s[20:21], exec
.LBB1036_285:
	s_or_b64 exec, exec, s[24:25]
.LBB1036_286:
	s_branch .LBB1036_542
.LBB1036_287:
	s_cmp_lg_u64 s[22:23], 1
	s_cbranch_scc0 .LBB1036_295
; %bb.288:
	v_mov_b64_e32 v[60:61], 0
	v_cmp_lt_i64_e64 s[2:3], s[12:13], 1
	v_cmp_gt_i64_e64 s[6:7], s[12:13], 0
	s_and_b64 vcc, exec, s[2:3]
	v_mov_b64_e32 v[58:59], v[60:61]
	ds_write_b64 v56, v[62:63]
	s_cbranch_vccnz .LBB1036_305
; %bb.289:
	v_mov_b64_e32 v[14:15], s[14:15]
	v_mad_u64_u32 v[16:17], s[2:3], v62, s12, v[14:15]
	v_mul_lo_u32 v1, v62, s13
	v_mul_lo_u32 v26, v63, s12
	v_add3_u32 v17, v26, v17, v1
	v_mad_u64_u32 v[14:15], s[2:3], v32, s12, v[14:15]
	v_mul_lo_u32 v1, v32, s13
	v_mul_lo_u32 v26, v33, s12
	v_add3_u32 v15, v26, v15, v1
	global_load_ubyte v1, v[16:17], off
	global_load_ubyte v26, v[14:15], off
	v_mov_b64_e32 v[58:59], 1
	s_waitcnt vmcnt(1)
	v_cmp_ne_u16_e64 s[2:3], 0, v1
	s_waitcnt vmcnt(0)
	v_cmp_ne_u16_e32 vcc, 0, v26
	s_xor_b64 s[2:3], s[2:3], vcc
	s_xor_b64 s[2:3], s[2:3], -1
	s_and_saveexec_b64 s[22:23], s[2:3]
	s_cbranch_execz .LBB1036_297
; %bb.290:
	s_mov_b64 s[28:29], 1
	s_waitcnt lgkmcnt(0)
	s_mov_b64 s[24:25], 0
                                        ; implicit-def: $sgpr26_sgpr27
	s_branch .LBB1036_293
.LBB1036_291:                           ;   in Loop: Header=BB1036_293 Depth=1
	v_lshl_add_u64 v[26:27], v[16:17], 0, s[28:29]
	v_lshl_add_u64 v[28:29], v[14:15], 0, s[28:29]
	global_load_ubyte v1, v[26:27], off
	global_load_ubyte v34, v[28:29], off
	s_waitcnt vmcnt(1)
	v_cmp_ne_u16_e64 s[2:3], 0, v1
	s_waitcnt vmcnt(0)
	v_cmp_ne_u16_e64 s[4:5], 0, v34
	s_xor_b64 s[4:5], s[2:3], s[4:5]
	s_add_u32 s2, s28, 1
	s_addc_u32 s3, s29, 0
	s_andn2_b64 s[26:27], s[26:27], exec
	s_and_b64 s[4:5], s[4:5], exec
	s_or_b64 s[26:27], s[26:27], s[4:5]
.LBB1036_292:                           ;   in Loop: Header=BB1036_293 Depth=1
	s_and_b64 s[4:5], exec, s[26:27]
	s_or_b64 s[24:25], s[4:5], s[24:25]
	v_mov_b64_e32 v[26:27], s[28:29]
	s_mov_b64 s[28:29], s[2:3]
	s_andn2_b64 exec, exec, s[24:25]
	s_cbranch_execz .LBB1036_296
.LBB1036_293:                           ; =>This Inner Loop Header: Depth=1
	s_or_b64 s[26:27], s[26:27], exec
	s_cmp_eq_u64 s[12:13], s[28:29]
	s_cbranch_scc0 .LBB1036_291
; %bb.294:                              ;   in Loop: Header=BB1036_293 Depth=1
                                        ; implicit-def: $sgpr2_sgpr3
	s_mov_b64 s[28:29], s[12:13]
	s_branch .LBB1036_292
.LBB1036_295:
                                        ; implicit-def: $sgpr4_sgpr5
                                        ; implicit-def: $vgpr58_vgpr59
                                        ; implicit-def: $vgpr60_vgpr61
                                        ; implicit-def: $vgpr54_vgpr55
                                        ; implicit-def: $vgpr52_vgpr53
                                        ; implicit-def: $vgpr46_vgpr47
                                        ; implicit-def: $vgpr40_vgpr41
                                        ; implicit-def: $vgpr34_vgpr35
                                        ; implicit-def: $vgpr14_vgpr15_vgpr16_vgpr17
                                        ; implicit-def: $vgpr26_vgpr27_vgpr28_vgpr29
                                        ; implicit-def: $vgpr36_vgpr37_vgpr38_vgpr39
                                        ; implicit-def: $vgpr42_vgpr43_vgpr44_vgpr45
                                        ; implicit-def: $vgpr48_vgpr49_vgpr50_vgpr51
	s_cbranch_execnz .LBB1036_398
	s_branch .LBB1036_542
.LBB1036_296:
	s_or_b64 exec, exec, s[24:25]
	v_cmp_gt_i64_e64 s[2:3], s[12:13], v[26:27]
	s_nop 1
	v_cndmask_b32_e64 v58, 0, 1, s[2:3]
	s_mov_b32 s2, 0
	v_mov_b32_e32 v59, s2
.LBB1036_297:
	s_or_b64 exec, exec, s[22:23]
	v_mov_b64_e32 v[16:17], s[14:15]
	v_mad_u64_u32 v[16:17], s[2:3], v30, s12, v[16:17]
	v_mul_lo_u32 v1, v30, s13
	v_mul_lo_u32 v26, v31, s12
	v_add3_u32 v17, v26, v17, v1
	global_load_ubyte v1, v[16:17], off
	v_mov_b64_e32 v[60:61], 1
	s_waitcnt vmcnt(0)
	v_cmp_ne_u16_e64 s[2:3], 0, v1
	s_xor_b64 s[2:3], vcc, s[2:3]
	s_xor_b64 s[2:3], s[2:3], -1
	s_and_saveexec_b64 s[4:5], s[2:3]
	s_cbranch_execz .LBB1036_304
; %bb.298:
	s_mov_b64 s[26:27], 1
	s_mov_b64 s[22:23], 0
                                        ; implicit-def: $sgpr24_sgpr25
	s_branch .LBB1036_301
.LBB1036_299:                           ;   in Loop: Header=BB1036_301 Depth=1
	v_lshl_add_u64 v[26:27], v[14:15], 0, s[26:27]
	v_lshl_add_u64 v[28:29], v[16:17], 0, s[26:27]
	global_load_ubyte v1, v[26:27], off
	global_load_ubyte v34, v[28:29], off
	s_waitcnt vmcnt(1)
	v_cmp_ne_u16_e32 vcc, 0, v1
	s_waitcnt vmcnt(0)
	v_cmp_ne_u16_e64 s[2:3], 0, v34
	s_xor_b64 s[28:29], vcc, s[2:3]
	s_add_u32 s2, s26, 1
	s_addc_u32 s3, s27, 0
	s_andn2_b64 s[24:25], s[24:25], exec
	s_and_b64 s[28:29], s[28:29], exec
	s_or_b64 s[24:25], s[24:25], s[28:29]
.LBB1036_300:                           ;   in Loop: Header=BB1036_301 Depth=1
	s_and_b64 s[28:29], exec, s[24:25]
	s_or_b64 s[22:23], s[28:29], s[22:23]
	v_mov_b64_e32 v[26:27], s[26:27]
	s_mov_b64 s[26:27], s[2:3]
	s_andn2_b64 exec, exec, s[22:23]
	s_cbranch_execz .LBB1036_303
.LBB1036_301:                           ; =>This Inner Loop Header: Depth=1
	s_waitcnt lgkmcnt(0)
	s_or_b64 s[24:25], s[24:25], exec
	s_cmp_eq_u64 s[12:13], s[26:27]
	s_cbranch_scc0 .LBB1036_299
; %bb.302:                              ;   in Loop: Header=BB1036_301 Depth=1
                                        ; implicit-def: $sgpr2_sgpr3
	s_mov_b64 s[26:27], s[12:13]
	s_branch .LBB1036_300
.LBB1036_303:
	s_or_b64 exec, exec, s[22:23]
	v_cmp_gt_i64_e32 vcc, s[12:13], v[26:27]
	s_mov_b32 s2, 0
	v_mov_b32_e32 v61, s2
	v_cndmask_b32_e64 v60, 0, 1, vcc
.LBB1036_304:
	s_or_b64 exec, exec, s[4:5]
.LBB1036_305:
	v_cndmask_b32_e64 v1, 0, 1, s[6:7]
	v_mov_b64_e32 v[28:29], 0
	v_cmp_ne_u32_e64 s[2:3], 1, v1
	s_andn2_b64 vcc, exec, s[6:7]
	v_mov_b64_e32 v[14:15], v[28:29]
	s_cbranch_vccnz .LBB1036_321
; %bb.306:
	v_mov_b64_e32 v[14:15], s[14:15]
	v_mad_u64_u32 v[26:27], s[4:5], v30, s12, v[14:15]
	v_mul_lo_u32 v1, v30, s13
	v_mul_lo_u32 v16, v31, s12
	v_add3_u32 v27, v16, v27, v1
	v_mad_u64_u32 v[16:17], s[4:5], v24, s12, v[14:15]
	v_mul_lo_u32 v1, v24, s13
	v_mul_lo_u32 v14, v25, s12
	v_add3_u32 v17, v14, v17, v1
	global_load_ubyte v1, v[26:27], off
	global_load_ubyte v14, v[16:17], off
	s_waitcnt vmcnt(1)
	v_cmp_ne_u16_e64 s[4:5], 0, v1
	s_waitcnt vmcnt(0)
	v_cmp_ne_u16_e32 vcc, 0, v14
	s_xor_b64 s[4:5], s[4:5], vcc
	s_xor_b64 s[4:5], s[4:5], -1
	v_mov_b64_e32 v[14:15], 1
	s_and_saveexec_b64 s[22:23], s[4:5]
	s_cbranch_execz .LBB1036_313
; %bb.307:
	s_mov_b64 s[28:29], 1
	s_waitcnt lgkmcnt(0)
	s_mov_b64 s[24:25], 0
                                        ; implicit-def: $sgpr26_sgpr27
	s_branch .LBB1036_310
.LBB1036_308:                           ;   in Loop: Header=BB1036_310 Depth=1
	v_lshl_add_u64 v[14:15], v[26:27], 0, s[28:29]
	v_lshl_add_u64 v[28:29], v[16:17], 0, s[28:29]
	global_load_ubyte v1, v[14:15], off
	global_load_ubyte v34, v[28:29], off
	s_waitcnt vmcnt(1)
	v_cmp_ne_u16_e64 s[4:5], 0, v1
	s_waitcnt vmcnt(0)
	v_cmp_ne_u16_e64 s[6:7], 0, v34
	s_xor_b64 s[6:7], s[4:5], s[6:7]
	s_add_u32 s4, s28, 1
	s_addc_u32 s5, s29, 0
	s_andn2_b64 s[26:27], s[26:27], exec
	s_and_b64 s[6:7], s[6:7], exec
	s_or_b64 s[26:27], s[26:27], s[6:7]
.LBB1036_309:                           ;   in Loop: Header=BB1036_310 Depth=1
	s_and_b64 s[6:7], exec, s[26:27]
	s_or_b64 s[24:25], s[6:7], s[24:25]
	v_mov_b64_e32 v[14:15], s[28:29]
	s_mov_b64 s[28:29], s[4:5]
	s_andn2_b64 exec, exec, s[24:25]
	s_cbranch_execz .LBB1036_312
.LBB1036_310:                           ; =>This Inner Loop Header: Depth=1
	s_or_b64 s[26:27], s[26:27], exec
	s_cmp_eq_u64 s[12:13], s[28:29]
	s_cbranch_scc0 .LBB1036_308
; %bb.311:                              ;   in Loop: Header=BB1036_310 Depth=1
                                        ; implicit-def: $sgpr4_sgpr5
	s_mov_b64 s[28:29], s[12:13]
	s_branch .LBB1036_309
.LBB1036_312:
	s_or_b64 exec, exec, s[24:25]
	v_cmp_gt_i64_e64 s[4:5], s[12:13], v[14:15]
	s_nop 1
	v_cndmask_b32_e64 v14, 0, 1, s[4:5]
	s_mov_b32 s4, 0
	v_mov_b32_e32 v15, s4
.LBB1036_313:
	s_or_b64 exec, exec, s[22:23]
	v_mov_b64_e32 v[26:27], s[14:15]
	v_mad_u64_u32 v[26:27], s[4:5], v22, s12, v[26:27]
	v_mul_lo_u32 v1, v22, s13
	v_mul_lo_u32 v28, v23, s12
	v_add3_u32 v27, v28, v27, v1
	global_load_ubyte v1, v[26:27], off
	v_mov_b64_e32 v[28:29], 1
	s_waitcnt vmcnt(0)
	v_cmp_ne_u16_e64 s[4:5], 0, v1
	s_xor_b64 s[4:5], vcc, s[4:5]
	s_xor_b64 s[4:5], s[4:5], -1
	s_and_saveexec_b64 s[6:7], s[4:5]
	s_cbranch_execz .LBB1036_320
; %bb.314:
	s_mov_b64 s[26:27], 1
	s_mov_b64 s[22:23], 0
                                        ; implicit-def: $sgpr24_sgpr25
	s_branch .LBB1036_317
.LBB1036_315:                           ;   in Loop: Header=BB1036_317 Depth=1
	v_lshl_add_u64 v[28:29], v[16:17], 0, s[26:27]
	v_lshl_add_u64 v[34:35], v[26:27], 0, s[26:27]
	global_load_ubyte v1, v[28:29], off
	global_load_ubyte v36, v[34:35], off
	s_waitcnt vmcnt(1)
	v_cmp_ne_u16_e32 vcc, 0, v1
	s_waitcnt vmcnt(0)
	v_cmp_ne_u16_e64 s[4:5], 0, v36
	s_xor_b64 s[28:29], vcc, s[4:5]
	s_add_u32 s4, s26, 1
	s_addc_u32 s5, s27, 0
	s_andn2_b64 s[24:25], s[24:25], exec
	s_and_b64 s[28:29], s[28:29], exec
	s_or_b64 s[24:25], s[24:25], s[28:29]
.LBB1036_316:                           ;   in Loop: Header=BB1036_317 Depth=1
	s_and_b64 s[28:29], exec, s[24:25]
	s_or_b64 s[22:23], s[28:29], s[22:23]
	v_mov_b64_e32 v[28:29], s[26:27]
	s_mov_b64 s[26:27], s[4:5]
	s_andn2_b64 exec, exec, s[22:23]
	s_cbranch_execz .LBB1036_319
.LBB1036_317:                           ; =>This Inner Loop Header: Depth=1
	s_waitcnt lgkmcnt(0)
	s_or_b64 s[24:25], s[24:25], exec
	s_cmp_eq_u64 s[12:13], s[26:27]
	s_cbranch_scc0 .LBB1036_315
; %bb.318:                              ;   in Loop: Header=BB1036_317 Depth=1
                                        ; implicit-def: $sgpr4_sgpr5
	s_mov_b64 s[26:27], s[12:13]
	s_branch .LBB1036_316
.LBB1036_319:
	s_or_b64 exec, exec, s[22:23]
	v_cmp_gt_i64_e32 vcc, s[12:13], v[28:29]
	s_mov_b32 s4, 0
	v_mov_b32_e32 v29, s4
	v_cndmask_b32_e64 v28, 0, 1, vcc
.LBB1036_320:
	s_or_b64 exec, exec, s[6:7]
.LBB1036_321:
	v_mov_b64_e32 v[38:39], 0
	s_and_b64 vcc, exec, s[2:3]
	v_mov_b64_e32 v[34:35], v[38:39]
	s_cbranch_vccnz .LBB1036_337
; %bb.322:
	v_mov_b64_e32 v[16:17], s[14:15]
	v_mad_u64_u32 v[26:27], s[4:5], v22, s12, v[16:17]
	v_mul_lo_u32 v1, v22, s13
	v_mul_lo_u32 v34, v23, s12
	v_add3_u32 v27, v34, v27, v1
	v_mad_u64_u32 v[16:17], s[4:5], v20, s12, v[16:17]
	v_mul_lo_u32 v1, v20, s13
	v_mul_lo_u32 v34, v21, s12
	v_add3_u32 v17, v34, v17, v1
	global_load_ubyte v1, v[26:27], off
	global_load_ubyte v34, v[16:17], off
	s_waitcnt vmcnt(1)
	v_cmp_ne_u16_e64 s[4:5], 0, v1
	s_waitcnt vmcnt(0)
	v_cmp_ne_u16_e32 vcc, 0, v34
	s_xor_b64 s[4:5], s[4:5], vcc
	s_xor_b64 s[4:5], s[4:5], -1
	v_mov_b64_e32 v[34:35], 1
	s_and_saveexec_b64 s[22:23], s[4:5]
	s_cbranch_execz .LBB1036_329
; %bb.323:
	s_mov_b64 s[28:29], 1
	s_waitcnt lgkmcnt(0)
	s_mov_b64 s[24:25], 0
                                        ; implicit-def: $sgpr26_sgpr27
	s_branch .LBB1036_326
.LBB1036_324:                           ;   in Loop: Header=BB1036_326 Depth=1
	v_lshl_add_u64 v[34:35], v[26:27], 0, s[28:29]
	v_lshl_add_u64 v[36:37], v[16:17], 0, s[28:29]
	global_load_ubyte v1, v[34:35], off
	global_load_ubyte v38, v[36:37], off
	s_waitcnt vmcnt(1)
	v_cmp_ne_u16_e64 s[4:5], 0, v1
	s_waitcnt vmcnt(0)
	v_cmp_ne_u16_e64 s[6:7], 0, v38
	s_xor_b64 s[6:7], s[4:5], s[6:7]
	s_add_u32 s4, s28, 1
	s_addc_u32 s5, s29, 0
	s_andn2_b64 s[26:27], s[26:27], exec
	s_and_b64 s[6:7], s[6:7], exec
	s_or_b64 s[26:27], s[26:27], s[6:7]
.LBB1036_325:                           ;   in Loop: Header=BB1036_326 Depth=1
	s_and_b64 s[6:7], exec, s[26:27]
	s_or_b64 s[24:25], s[6:7], s[24:25]
	v_mov_b64_e32 v[34:35], s[28:29]
	s_mov_b64 s[28:29], s[4:5]
	s_andn2_b64 exec, exec, s[24:25]
	s_cbranch_execz .LBB1036_328
.LBB1036_326:                           ; =>This Inner Loop Header: Depth=1
	s_or_b64 s[26:27], s[26:27], exec
	s_cmp_eq_u64 s[12:13], s[28:29]
	s_cbranch_scc0 .LBB1036_324
; %bb.327:                              ;   in Loop: Header=BB1036_326 Depth=1
                                        ; implicit-def: $sgpr4_sgpr5
	s_mov_b64 s[28:29], s[12:13]
	s_branch .LBB1036_325
.LBB1036_328:
	s_or_b64 exec, exec, s[24:25]
	v_cmp_gt_i64_e64 s[4:5], s[12:13], v[34:35]
	s_nop 1
	v_cndmask_b32_e64 v34, 0, 1, s[4:5]
	s_mov_b32 s4, 0
	v_mov_b32_e32 v35, s4
.LBB1036_329:
	s_or_b64 exec, exec, s[22:23]
	v_mov_b64_e32 v[26:27], s[14:15]
	v_mad_u64_u32 v[26:27], s[4:5], v18, s12, v[26:27]
	v_mul_lo_u32 v1, v18, s13
	s_waitcnt lgkmcnt(0)
	v_mul_lo_u32 v36, v19, s12
	v_add3_u32 v27, v36, v27, v1
	global_load_ubyte v1, v[26:27], off
	v_mov_b64_e32 v[38:39], 1
	s_waitcnt vmcnt(0)
	v_cmp_ne_u16_e64 s[4:5], 0, v1
	s_xor_b64 s[4:5], vcc, s[4:5]
	s_xor_b64 s[4:5], s[4:5], -1
	s_and_saveexec_b64 s[6:7], s[4:5]
	s_cbranch_execz .LBB1036_336
; %bb.330:
	s_mov_b64 s[26:27], 1
	s_mov_b64 s[22:23], 0
                                        ; implicit-def: $sgpr24_sgpr25
	s_branch .LBB1036_333
.LBB1036_331:                           ;   in Loop: Header=BB1036_333 Depth=1
	v_lshl_add_u64 v[36:37], v[16:17], 0, s[26:27]
	v_lshl_add_u64 v[38:39], v[26:27], 0, s[26:27]
	global_load_ubyte v1, v[36:37], off
	global_load_ubyte v40, v[38:39], off
	s_waitcnt vmcnt(1)
	v_cmp_ne_u16_e32 vcc, 0, v1
	s_waitcnt vmcnt(0)
	v_cmp_ne_u16_e64 s[4:5], 0, v40
	s_xor_b64 s[28:29], vcc, s[4:5]
	s_add_u32 s4, s26, 1
	s_addc_u32 s5, s27, 0
	s_andn2_b64 s[24:25], s[24:25], exec
	s_and_b64 s[28:29], s[28:29], exec
	s_or_b64 s[24:25], s[24:25], s[28:29]
.LBB1036_332:                           ;   in Loop: Header=BB1036_333 Depth=1
	s_and_b64 s[28:29], exec, s[24:25]
	s_or_b64 s[22:23], s[28:29], s[22:23]
	v_mov_b64_e32 v[36:37], s[26:27]
	s_mov_b64 s[26:27], s[4:5]
	s_andn2_b64 exec, exec, s[22:23]
	s_cbranch_execz .LBB1036_335
.LBB1036_333:                           ; =>This Inner Loop Header: Depth=1
	s_or_b64 s[24:25], s[24:25], exec
	s_cmp_eq_u64 s[12:13], s[26:27]
	s_cbranch_scc0 .LBB1036_331
; %bb.334:                              ;   in Loop: Header=BB1036_333 Depth=1
                                        ; implicit-def: $sgpr4_sgpr5
	s_mov_b64 s[26:27], s[12:13]
	s_branch .LBB1036_332
.LBB1036_335:
	s_or_b64 exec, exec, s[22:23]
	v_cmp_gt_i64_e32 vcc, s[12:13], v[36:37]
	s_mov_b32 s4, 0
	v_mov_b32_e32 v39, s4
	v_cndmask_b32_e64 v38, 0, 1, vcc
.LBB1036_336:
	s_or_b64 exec, exec, s[6:7]
.LBB1036_337:
	v_mov_b64_e32 v[44:45], 0
	s_and_b64 vcc, exec, s[2:3]
	v_mov_b64_e32 v[40:41], v[44:45]
	s_cbranch_vccnz .LBB1036_353
; %bb.338:
	v_mov_b64_e32 v[16:17], s[14:15]
	v_mad_u64_u32 v[26:27], s[4:5], v18, s12, v[16:17]
	v_mul_lo_u32 v1, v18, s13
	s_waitcnt lgkmcnt(0)
	v_mul_lo_u32 v36, v19, s12
	v_add3_u32 v27, v36, v27, v1
	v_mad_u64_u32 v[16:17], s[4:5], v12, s12, v[16:17]
	v_mul_lo_u32 v1, v12, s13
	v_mul_lo_u32 v36, v13, s12
	v_add3_u32 v17, v36, v17, v1
	global_load_ubyte v1, v[26:27], off
	global_load_ubyte v36, v[16:17], off
	v_mov_b64_e32 v[40:41], 1
	s_waitcnt vmcnt(1)
	v_cmp_ne_u16_e64 s[4:5], 0, v1
	s_waitcnt vmcnt(0)
	v_cmp_ne_u16_e32 vcc, 0, v36
	s_xor_b64 s[4:5], s[4:5], vcc
	s_xor_b64 s[4:5], s[4:5], -1
	s_and_saveexec_b64 s[22:23], s[4:5]
	s_cbranch_execz .LBB1036_345
; %bb.339:
	s_mov_b64 s[28:29], 1
	s_mov_b64 s[24:25], 0
                                        ; implicit-def: $sgpr26_sgpr27
	s_branch .LBB1036_342
.LBB1036_340:                           ;   in Loop: Header=BB1036_342 Depth=1
	v_lshl_add_u64 v[36:37], v[26:27], 0, s[28:29]
	v_lshl_add_u64 v[40:41], v[16:17], 0, s[28:29]
	global_load_ubyte v1, v[36:37], off
	global_load_ubyte v42, v[40:41], off
	s_waitcnt vmcnt(1)
	v_cmp_ne_u16_e64 s[4:5], 0, v1
	s_waitcnt vmcnt(0)
	v_cmp_ne_u16_e64 s[6:7], 0, v42
	s_xor_b64 s[6:7], s[4:5], s[6:7]
	s_add_u32 s4, s28, 1
	s_addc_u32 s5, s29, 0
	s_andn2_b64 s[26:27], s[26:27], exec
	s_and_b64 s[6:7], s[6:7], exec
	s_or_b64 s[26:27], s[26:27], s[6:7]
.LBB1036_341:                           ;   in Loop: Header=BB1036_342 Depth=1
	s_and_b64 s[6:7], exec, s[26:27]
	s_or_b64 s[24:25], s[6:7], s[24:25]
	v_mov_b64_e32 v[36:37], s[28:29]
	s_mov_b64 s[28:29], s[4:5]
	s_andn2_b64 exec, exec, s[24:25]
	s_cbranch_execz .LBB1036_344
.LBB1036_342:                           ; =>This Inner Loop Header: Depth=1
	s_or_b64 s[26:27], s[26:27], exec
	s_cmp_eq_u64 s[12:13], s[28:29]
	s_cbranch_scc0 .LBB1036_340
; %bb.343:                              ;   in Loop: Header=BB1036_342 Depth=1
                                        ; implicit-def: $sgpr4_sgpr5
	s_mov_b64 s[28:29], s[12:13]
	s_branch .LBB1036_341
.LBB1036_344:
	s_or_b64 exec, exec, s[24:25]
	v_cmp_gt_i64_e64 s[4:5], s[12:13], v[36:37]
	s_nop 1
	v_cndmask_b32_e64 v40, 0, 1, s[4:5]
	s_mov_b32 s4, 0
	v_mov_b32_e32 v41, s4
.LBB1036_345:
	s_or_b64 exec, exec, s[22:23]
	v_mov_b64_e32 v[26:27], s[14:15]
	v_mad_u64_u32 v[26:27], s[4:5], v10, s12, v[26:27]
	v_mul_lo_u32 v1, v10, s13
	v_mul_lo_u32 v36, v11, s12
	v_add3_u32 v27, v36, v27, v1
	global_load_ubyte v1, v[26:27], off
	v_mov_b64_e32 v[44:45], 1
	s_waitcnt vmcnt(0)
	v_cmp_ne_u16_e64 s[4:5], 0, v1
	s_xor_b64 s[4:5], vcc, s[4:5]
	s_xor_b64 s[4:5], s[4:5], -1
	s_and_saveexec_b64 s[6:7], s[4:5]
	s_cbranch_execz .LBB1036_352
; %bb.346:
	s_mov_b64 s[26:27], 1
	s_mov_b64 s[22:23], 0
                                        ; implicit-def: $sgpr24_sgpr25
	s_branch .LBB1036_349
.LBB1036_347:                           ;   in Loop: Header=BB1036_349 Depth=1
	v_lshl_add_u64 v[36:37], v[16:17], 0, s[26:27]
	v_lshl_add_u64 v[42:43], v[26:27], 0, s[26:27]
	global_load_ubyte v1, v[36:37], off
	global_load_ubyte v44, v[42:43], off
	s_waitcnt vmcnt(1)
	v_cmp_ne_u16_e32 vcc, 0, v1
	s_waitcnt vmcnt(0)
	v_cmp_ne_u16_e64 s[4:5], 0, v44
	s_xor_b64 s[28:29], vcc, s[4:5]
	s_add_u32 s4, s26, 1
	s_addc_u32 s5, s27, 0
	s_andn2_b64 s[24:25], s[24:25], exec
	s_and_b64 s[28:29], s[28:29], exec
	s_or_b64 s[24:25], s[24:25], s[28:29]
.LBB1036_348:                           ;   in Loop: Header=BB1036_349 Depth=1
	s_and_b64 s[28:29], exec, s[24:25]
	s_or_b64 s[22:23], s[28:29], s[22:23]
	v_mov_b64_e32 v[36:37], s[26:27]
	s_mov_b64 s[26:27], s[4:5]
	s_andn2_b64 exec, exec, s[22:23]
	s_cbranch_execz .LBB1036_351
.LBB1036_349:                           ; =>This Inner Loop Header: Depth=1
	s_or_b64 s[24:25], s[24:25], exec
	s_cmp_eq_u64 s[12:13], s[26:27]
	s_cbranch_scc0 .LBB1036_347
; %bb.350:                              ;   in Loop: Header=BB1036_349 Depth=1
                                        ; implicit-def: $sgpr4_sgpr5
	s_mov_b64 s[26:27], s[12:13]
	s_branch .LBB1036_348
.LBB1036_351:
	s_or_b64 exec, exec, s[22:23]
	v_cmp_gt_i64_e32 vcc, s[12:13], v[36:37]
	s_mov_b32 s4, 0
	v_mov_b32_e32 v45, s4
	v_cndmask_b32_e64 v44, 0, 1, vcc
.LBB1036_352:
	s_or_b64 exec, exec, s[6:7]
.LBB1036_353:
	v_mov_b64_e32 v[50:51], 0
	s_and_b64 vcc, exec, s[2:3]
	v_mov_b64_e32 v[46:47], v[50:51]
	s_cbranch_vccnz .LBB1036_369
; %bb.354:
	v_mov_b64_e32 v[16:17], s[14:15]
	v_mad_u64_u32 v[26:27], s[4:5], v10, s12, v[16:17]
	v_mul_lo_u32 v1, v10, s13
	s_waitcnt lgkmcnt(0)
	v_mul_lo_u32 v36, v11, s12
	v_add3_u32 v27, v36, v27, v1
	v_mad_u64_u32 v[16:17], s[4:5], v8, s12, v[16:17]
	v_mul_lo_u32 v1, v8, s13
	v_mul_lo_u32 v36, v9, s12
	v_add3_u32 v17, v36, v17, v1
	global_load_ubyte v1, v[26:27], off
	global_load_ubyte v36, v[16:17], off
	v_mov_b64_e32 v[46:47], 1
	s_waitcnt vmcnt(1)
	v_cmp_ne_u16_e64 s[4:5], 0, v1
	s_waitcnt vmcnt(0)
	v_cmp_ne_u16_e32 vcc, 0, v36
	s_xor_b64 s[4:5], s[4:5], vcc
	s_xor_b64 s[4:5], s[4:5], -1
	s_and_saveexec_b64 s[22:23], s[4:5]
	s_cbranch_execz .LBB1036_361
; %bb.355:
	s_mov_b64 s[28:29], 1
	s_mov_b64 s[24:25], 0
                                        ; implicit-def: $sgpr26_sgpr27
	s_branch .LBB1036_358
.LBB1036_356:                           ;   in Loop: Header=BB1036_358 Depth=1
	v_lshl_add_u64 v[36:37], v[26:27], 0, s[28:29]
	v_lshl_add_u64 v[42:43], v[16:17], 0, s[28:29]
	global_load_ubyte v1, v[36:37], off
	global_load_ubyte v46, v[42:43], off
	s_waitcnt vmcnt(1)
	v_cmp_ne_u16_e64 s[4:5], 0, v1
	s_waitcnt vmcnt(0)
	v_cmp_ne_u16_e64 s[6:7], 0, v46
	s_xor_b64 s[6:7], s[4:5], s[6:7]
	s_add_u32 s4, s28, 1
	s_addc_u32 s5, s29, 0
	s_andn2_b64 s[26:27], s[26:27], exec
	s_and_b64 s[6:7], s[6:7], exec
	s_or_b64 s[26:27], s[26:27], s[6:7]
.LBB1036_357:                           ;   in Loop: Header=BB1036_358 Depth=1
	s_and_b64 s[6:7], exec, s[26:27]
	s_or_b64 s[24:25], s[6:7], s[24:25]
	v_mov_b64_e32 v[36:37], s[28:29]
	s_mov_b64 s[28:29], s[4:5]
	s_andn2_b64 exec, exec, s[24:25]
	s_cbranch_execz .LBB1036_360
.LBB1036_358:                           ; =>This Inner Loop Header: Depth=1
	s_or_b64 s[26:27], s[26:27], exec
	s_cmp_eq_u64 s[12:13], s[28:29]
	s_cbranch_scc0 .LBB1036_356
; %bb.359:                              ;   in Loop: Header=BB1036_358 Depth=1
                                        ; implicit-def: $sgpr4_sgpr5
	s_mov_b64 s[28:29], s[12:13]
	s_branch .LBB1036_357
.LBB1036_360:
	s_or_b64 exec, exec, s[24:25]
	v_cmp_gt_i64_e64 s[4:5], s[12:13], v[36:37]
	s_nop 1
	v_cndmask_b32_e64 v46, 0, 1, s[4:5]
	s_mov_b32 s4, 0
	v_mov_b32_e32 v47, s4
.LBB1036_361:
	s_or_b64 exec, exec, s[22:23]
	v_mov_b64_e32 v[26:27], s[14:15]
	v_mad_u64_u32 v[26:27], s[4:5], v6, s12, v[26:27]
	v_mul_lo_u32 v1, v6, s13
	v_mul_lo_u32 v36, v7, s12
	v_add3_u32 v27, v36, v27, v1
	global_load_ubyte v1, v[26:27], off
	v_mov_b64_e32 v[50:51], 1
	s_waitcnt vmcnt(0)
	v_cmp_ne_u16_e64 s[4:5], 0, v1
	s_xor_b64 s[4:5], vcc, s[4:5]
	s_xor_b64 s[4:5], s[4:5], -1
	s_and_saveexec_b64 s[6:7], s[4:5]
	s_cbranch_execz .LBB1036_368
; %bb.362:
	s_mov_b64 s[26:27], 1
	s_mov_b64 s[22:23], 0
                                        ; implicit-def: $sgpr24_sgpr25
	s_branch .LBB1036_365
.LBB1036_363:                           ;   in Loop: Header=BB1036_365 Depth=1
	v_lshl_add_u64 v[36:37], v[16:17], 0, s[26:27]
	v_lshl_add_u64 v[42:43], v[26:27], 0, s[26:27]
	global_load_ubyte v1, v[36:37], off
	global_load_ubyte v48, v[42:43], off
	s_waitcnt vmcnt(1)
	v_cmp_ne_u16_e32 vcc, 0, v1
	s_waitcnt vmcnt(0)
	v_cmp_ne_u16_e64 s[4:5], 0, v48
	s_xor_b64 s[28:29], vcc, s[4:5]
	s_add_u32 s4, s26, 1
	s_addc_u32 s5, s27, 0
	s_andn2_b64 s[24:25], s[24:25], exec
	s_and_b64 s[28:29], s[28:29], exec
	s_or_b64 s[24:25], s[24:25], s[28:29]
.LBB1036_364:                           ;   in Loop: Header=BB1036_365 Depth=1
	s_and_b64 s[28:29], exec, s[24:25]
	s_or_b64 s[22:23], s[28:29], s[22:23]
	v_mov_b64_e32 v[36:37], s[26:27]
	s_mov_b64 s[26:27], s[4:5]
	s_andn2_b64 exec, exec, s[22:23]
	s_cbranch_execz .LBB1036_367
.LBB1036_365:                           ; =>This Inner Loop Header: Depth=1
	s_or_b64 s[24:25], s[24:25], exec
	s_cmp_eq_u64 s[12:13], s[26:27]
	s_cbranch_scc0 .LBB1036_363
; %bb.366:                              ;   in Loop: Header=BB1036_365 Depth=1
                                        ; implicit-def: $sgpr4_sgpr5
	s_mov_b64 s[26:27], s[12:13]
	s_branch .LBB1036_364
.LBB1036_367:
	s_or_b64 exec, exec, s[22:23]
	v_cmp_gt_i64_e32 vcc, s[12:13], v[36:37]
	s_mov_b32 s4, 0
	v_mov_b32_e32 v51, s4
	v_cndmask_b32_e64 v50, 0, 1, vcc
.LBB1036_368:
	s_or_b64 exec, exec, s[6:7]
.LBB1036_369:
	v_mov_b64_e32 v[54:55], 0
	s_and_b64 vcc, exec, s[2:3]
	v_mov_b64_e32 v[52:53], v[54:55]
	s_cbranch_vccnz .LBB1036_385
; %bb.370:
	v_mov_b64_e32 v[16:17], s[14:15]
	v_mad_u64_u32 v[26:27], s[4:5], v6, s12, v[16:17]
	v_mul_lo_u32 v1, v6, s13
	s_waitcnt lgkmcnt(0)
	v_mul_lo_u32 v36, v7, s12
	v_add3_u32 v27, v36, v27, v1
	v_mad_u64_u32 v[16:17], s[4:5], v4, s12, v[16:17]
	v_mul_lo_u32 v1, v4, s13
	v_mul_lo_u32 v36, v5, s12
	v_add3_u32 v17, v36, v17, v1
	global_load_ubyte v1, v[26:27], off
	global_load_ubyte v36, v[16:17], off
	v_mov_b64_e32 v[52:53], 1
	s_waitcnt vmcnt(1)
	v_cmp_ne_u16_e64 s[4:5], 0, v1
	s_waitcnt vmcnt(0)
	v_cmp_ne_u16_e32 vcc, 0, v36
	s_xor_b64 s[4:5], s[4:5], vcc
	s_xor_b64 s[4:5], s[4:5], -1
	s_and_saveexec_b64 s[22:23], s[4:5]
	s_cbranch_execz .LBB1036_377
; %bb.371:
	s_mov_b64 s[28:29], 1
	s_mov_b64 s[24:25], 0
                                        ; implicit-def: $sgpr26_sgpr27
	s_branch .LBB1036_374
.LBB1036_372:                           ;   in Loop: Header=BB1036_374 Depth=1
	v_lshl_add_u64 v[36:37], v[26:27], 0, s[28:29]
	v_lshl_add_u64 v[42:43], v[16:17], 0, s[28:29]
	global_load_ubyte v1, v[36:37], off
	global_load_ubyte v48, v[42:43], off
	s_waitcnt vmcnt(1)
	v_cmp_ne_u16_e64 s[4:5], 0, v1
	s_waitcnt vmcnt(0)
	v_cmp_ne_u16_e64 s[6:7], 0, v48
	s_xor_b64 s[6:7], s[4:5], s[6:7]
	s_add_u32 s4, s28, 1
	s_addc_u32 s5, s29, 0
	s_andn2_b64 s[26:27], s[26:27], exec
	s_and_b64 s[6:7], s[6:7], exec
	s_or_b64 s[26:27], s[26:27], s[6:7]
.LBB1036_373:                           ;   in Loop: Header=BB1036_374 Depth=1
	s_and_b64 s[6:7], exec, s[26:27]
	s_or_b64 s[24:25], s[6:7], s[24:25]
	v_mov_b64_e32 v[36:37], s[28:29]
	s_mov_b64 s[28:29], s[4:5]
	s_andn2_b64 exec, exec, s[24:25]
	s_cbranch_execz .LBB1036_376
.LBB1036_374:                           ; =>This Inner Loop Header: Depth=1
	s_or_b64 s[26:27], s[26:27], exec
	s_cmp_eq_u64 s[12:13], s[28:29]
	s_cbranch_scc0 .LBB1036_372
; %bb.375:                              ;   in Loop: Header=BB1036_374 Depth=1
                                        ; implicit-def: $sgpr4_sgpr5
	s_mov_b64 s[28:29], s[12:13]
	s_branch .LBB1036_373
.LBB1036_376:
	s_or_b64 exec, exec, s[24:25]
	v_cmp_gt_i64_e64 s[4:5], s[12:13], v[36:37]
	s_nop 1
	v_cndmask_b32_e64 v52, 0, 1, s[4:5]
	s_mov_b32 s4, 0
	v_mov_b32_e32 v53, s4
.LBB1036_377:
	s_or_b64 exec, exec, s[22:23]
	v_mov_b64_e32 v[26:27], s[14:15]
	v_mad_u64_u32 v[26:27], s[4:5], v2, s12, v[26:27]
	v_mul_lo_u32 v1, v2, s13
	v_mul_lo_u32 v36, v3, s12
	v_add3_u32 v27, v36, v27, v1
	global_load_ubyte v1, v[26:27], off
	v_mov_b64_e32 v[54:55], 1
	s_waitcnt vmcnt(0)
	v_cmp_ne_u16_e64 s[4:5], 0, v1
	s_xor_b64 s[4:5], vcc, s[4:5]
	s_xor_b64 s[4:5], s[4:5], -1
	s_and_saveexec_b64 s[6:7], s[4:5]
	s_cbranch_execz .LBB1036_384
; %bb.378:
	s_mov_b64 s[26:27], 1
	s_mov_b64 s[22:23], 0
                                        ; implicit-def: $sgpr24_sgpr25
	s_branch .LBB1036_381
.LBB1036_379:                           ;   in Loop: Header=BB1036_381 Depth=1
	v_lshl_add_u64 v[36:37], v[16:17], 0, s[26:27]
	v_lshl_add_u64 v[42:43], v[26:27], 0, s[26:27]
	global_load_ubyte v1, v[36:37], off
	global_load_ubyte v48, v[42:43], off
	s_waitcnt vmcnt(1)
	v_cmp_ne_u16_e32 vcc, 0, v1
	s_waitcnt vmcnt(0)
	v_cmp_ne_u16_e64 s[4:5], 0, v48
	s_xor_b64 s[28:29], vcc, s[4:5]
	s_add_u32 s4, s26, 1
	s_addc_u32 s5, s27, 0
	s_andn2_b64 s[24:25], s[24:25], exec
	s_and_b64 s[28:29], s[28:29], exec
	s_or_b64 s[24:25], s[24:25], s[28:29]
.LBB1036_380:                           ;   in Loop: Header=BB1036_381 Depth=1
	s_and_b64 s[28:29], exec, s[24:25]
	s_or_b64 s[22:23], s[28:29], s[22:23]
	v_mov_b64_e32 v[36:37], s[26:27]
	s_mov_b64 s[26:27], s[4:5]
	s_andn2_b64 exec, exec, s[22:23]
	s_cbranch_execz .LBB1036_383
.LBB1036_381:                           ; =>This Inner Loop Header: Depth=1
	s_or_b64 s[24:25], s[24:25], exec
	s_cmp_eq_u64 s[12:13], s[26:27]
	s_cbranch_scc0 .LBB1036_379
; %bb.382:                              ;   in Loop: Header=BB1036_381 Depth=1
                                        ; implicit-def: $sgpr4_sgpr5
	s_mov_b64 s[26:27], s[12:13]
	s_branch .LBB1036_380
.LBB1036_383:
	s_or_b64 exec, exec, s[22:23]
	v_cmp_gt_i64_e32 vcc, s[12:13], v[36:37]
	s_mov_b32 s4, 0
	v_mov_b32_e32 v55, s4
	v_cndmask_b32_e64 v54, 0, 1, vcc
.LBB1036_384:
	s_or_b64 exec, exec, s[6:7]
.LBB1036_385:
	v_cmp_ne_u32_e32 vcc, 0, v0
	s_waitcnt lgkmcnt(0)
	; wave barrier
	s_waitcnt lgkmcnt(0)
                                        ; implicit-def: $sgpr4_sgpr5
	s_and_saveexec_b64 s[6:7], vcc
	s_cbranch_execz .LBB1036_397
; %bb.386:
	s_and_b64 vcc, exec, s[2:3]
	s_cbranch_vccnz .LBB1036_393
; %bb.387:
	v_add_u32_e32 v1, -8, v56
	ds_read_b64 v[26:27], v1
	s_waitcnt lgkmcnt(0)
	v_mov_b64_e32 v[36:37], s[14:15]
	v_mad_u64_u32 v[16:17], s[2:3], v2, s12, v[36:37]
	v_mul_lo_u32 v1, v2, s13
	v_mul_lo_u32 v42, v3, s12
	v_add3_u32 v17, v42, v17, v1
	v_mul_lo_u32 v1, v26, s13
	v_mul_lo_u32 v42, v27, s12
	v_mad_u64_u32 v[26:27], s[2:3], v26, s12, v[36:37]
	v_add3_u32 v27, v42, v27, v1
	global_load_ubyte v1, v[16:17], off
	global_load_ubyte v36, v[26:27], off
	s_waitcnt vmcnt(1)
	v_cmp_ne_u16_e32 vcc, 0, v1
	s_waitcnt vmcnt(0)
	v_cmp_ne_u16_e64 s[2:3], 0, v36
	s_xor_b64 s[4:5], vcc, s[2:3]
	s_mov_b64 s[2:3], -1
	s_xor_b64 s[22:23], s[4:5], -1
	s_and_saveexec_b64 s[4:5], s[22:23]
	s_cbranch_execz .LBB1036_395
; %bb.388:
	s_mov_b64 s[26:27], 1
	s_mov_b64 s[22:23], 0
                                        ; implicit-def: $sgpr24_sgpr25
	s_branch .LBB1036_391
.LBB1036_389:                           ;   in Loop: Header=BB1036_391 Depth=1
	v_lshl_add_u64 v[36:37], v[16:17], 0, s[26:27]
	v_lshl_add_u64 v[42:43], v[26:27], 0, s[26:27]
	global_load_ubyte v1, v[36:37], off
	global_load_ubyte v48, v[42:43], off
	s_waitcnt vmcnt(1)
	v_cmp_ne_u16_e32 vcc, 0, v1
	s_waitcnt vmcnt(0)
	v_cmp_ne_u16_e64 s[2:3], 0, v48
	s_xor_b64 s[28:29], vcc, s[2:3]
	s_add_u32 s2, s26, 1
	s_addc_u32 s3, s27, 0
	s_andn2_b64 s[24:25], s[24:25], exec
	s_and_b64 s[28:29], s[28:29], exec
	s_or_b64 s[24:25], s[24:25], s[28:29]
.LBB1036_390:                           ;   in Loop: Header=BB1036_391 Depth=1
	s_and_b64 s[28:29], exec, s[24:25]
	s_or_b64 s[22:23], s[28:29], s[22:23]
	v_mov_b64_e32 v[36:37], s[26:27]
	s_mov_b64 s[26:27], s[2:3]
	s_andn2_b64 exec, exec, s[22:23]
	s_cbranch_execz .LBB1036_394
.LBB1036_391:                           ; =>This Inner Loop Header: Depth=1
	s_or_b64 s[24:25], s[24:25], exec
	s_cmp_eq_u64 s[12:13], s[26:27]
	s_cbranch_scc0 .LBB1036_389
; %bb.392:                              ;   in Loop: Header=BB1036_391 Depth=1
                                        ; implicit-def: $sgpr2_sgpr3
	s_mov_b64 s[26:27], s[12:13]
	s_branch .LBB1036_390
.LBB1036_393:
	s_mov_b64 s[2:3], 0
	s_branch .LBB1036_396
.LBB1036_394:
	s_or_b64 exec, exec, s[22:23]
	v_cmp_gt_i64_e32 vcc, s[12:13], v[36:37]
	s_orn2_b64 s[2:3], vcc, exec
.LBB1036_395:
	s_or_b64 exec, exec, s[4:5]
.LBB1036_396:
	s_and_b64 s[4:5], s[2:3], exec
	s_or_b64 s[20:21], s[20:21], exec
.LBB1036_397:
	s_or_b64 exec, exec, s[6:7]
	s_branch .LBB1036_542
.LBB1036_398:
	v_mad_u32_u24 v1, v0, 13, 12
	v_cmp_lt_i64_e64 s[22:23], s[12:13], 1
	v_cmp_le_u32_e32 vcc, s10, v1
	s_or_b64 s[2:3], vcc, s[22:23]
	v_cmp_gt_i64_e64 s[6:7], s[12:13], 0
	s_xor_b64 s[2:3], s[2:3], -1
	v_mul_lo_u32 v28, v32, s13
	v_mul_lo_u32 v29, v33, s12
	ds_write_b64 v56, v[62:63]
                                        ; implicit-def: $vgpr58_vgpr59
	s_and_saveexec_b64 s[4:5], s[2:3]
	s_waitcnt lgkmcnt(0)
	s_xor_b64 s[24:25], exec, s[4:5]
	s_cbranch_execz .LBB1036_407
; %bb.399:
	v_mov_b64_e32 v[16:17], s[14:15]
	v_mad_u64_u32 v[14:15], s[2:3], v62, s12, v[16:17]
	v_mul_lo_u32 v1, v62, s13
	v_mul_lo_u32 v26, v63, s12
	v_add3_u32 v15, v26, v15, v1
	v_mad_u64_u32 v[16:17], s[2:3], v32, s12, v[16:17]
	v_add3_u32 v17, v29, v17, v28
	global_load_ubyte v1, v[14:15], off
	global_load_ubyte v26, v[16:17], off
	v_mov_b64_e32 v[58:59], 1
	s_waitcnt vmcnt(1)
	v_cmp_ne_u16_e64 s[2:3], 0, v1
	s_waitcnt vmcnt(0)
	v_cmp_ne_u16_e64 s[4:5], 0, v26
	s_xor_b64 s[2:3], s[2:3], s[4:5]
	s_xor_b64 s[2:3], s[2:3], -1
	s_and_saveexec_b64 s[26:27], s[2:3]
	s_cbranch_execz .LBB1036_406
; %bb.400:
	s_mov_b64 s[34:35], 1
	s_mov_b64 s[28:29], 0
                                        ; implicit-def: $sgpr30_sgpr31
	s_branch .LBB1036_403
.LBB1036_401:                           ;   in Loop: Header=BB1036_403 Depth=1
	v_lshl_add_u64 v[26:27], v[14:15], 0, s[34:35]
	v_lshl_add_u64 v[34:35], v[16:17], 0, s[34:35]
	global_load_ubyte v1, v[26:27], off
	global_load_ubyte v36, v[34:35], off
	s_waitcnt vmcnt(1)
	v_cmp_ne_u16_e64 s[2:3], 0, v1
	s_waitcnt vmcnt(0)
	v_cmp_ne_u16_e64 s[4:5], 0, v36
	s_xor_b64 s[4:5], s[2:3], s[4:5]
	s_add_u32 s2, s34, 1
	s_addc_u32 s3, s35, 0
	s_andn2_b64 s[30:31], s[30:31], exec
	s_and_b64 s[4:5], s[4:5], exec
	s_or_b64 s[30:31], s[30:31], s[4:5]
.LBB1036_402:                           ;   in Loop: Header=BB1036_403 Depth=1
	s_and_b64 s[4:5], exec, s[30:31]
	s_or_b64 s[28:29], s[4:5], s[28:29]
	v_mov_b64_e32 v[26:27], s[34:35]
	s_mov_b64 s[34:35], s[2:3]
	s_andn2_b64 exec, exec, s[28:29]
	s_cbranch_execz .LBB1036_405
.LBB1036_403:                           ; =>This Inner Loop Header: Depth=1
	s_or_b64 s[30:31], s[30:31], exec
	s_cmp_eq_u64 s[12:13], s[34:35]
	s_cbranch_scc0 .LBB1036_401
; %bb.404:                              ;   in Loop: Header=BB1036_403 Depth=1
                                        ; implicit-def: $sgpr2_sgpr3
	s_mov_b64 s[34:35], s[12:13]
	s_branch .LBB1036_402
.LBB1036_405:
	s_or_b64 exec, exec, s[28:29]
	v_cmp_gt_i64_e64 s[2:3], s[12:13], v[26:27]
	s_nop 1
	v_cndmask_b32_e64 v58, 0, 1, s[2:3]
	s_mov_b32 s2, 0
	v_mov_b32_e32 v59, s2
.LBB1036_406:
	s_or_b64 exec, exec, s[26:27]
                                        ; implicit-def: $vgpr62_vgpr63
.LBB1036_407:
	s_or_saveexec_b64 s[2:3], s[24:25]
	v_mul_u32_u24_e32 v1, 13, v0
	s_xor_b64 exec, exec, s[2:3]
; %bb.408:
	v_cndmask_b32_e32 v59, 0, v63, vcc
	v_cndmask_b32_e32 v58, 0, v62, vcc
; %bb.409:
	s_or_b64 exec, exec, s[2:3]
	v_add_u32_e32 v14, 11, v1
	v_cmp_le_u32_e32 vcc, s10, v14
	s_or_b64 s[2:3], vcc, s[22:23]
	s_xor_b64 s[2:3], s[2:3], -1
	v_mul_lo_u32 v36, v30, s13
	v_mul_lo_u32 v37, v31, s12
                                        ; implicit-def: $vgpr60_vgpr61
	s_and_saveexec_b64 s[4:5], s[2:3]
	s_xor_b64 s[24:25], exec, s[4:5]
	s_cbranch_execz .LBB1036_418
; %bb.410:
	v_mov_b64_e32 v[16:17], s[14:15]
	v_mad_u64_u32 v[14:15], s[2:3], v32, s12, v[16:17]
	v_add3_u32 v15, v29, v15, v28
	v_mad_u64_u32 v[16:17], s[2:3], v30, s12, v[16:17]
	v_add3_u32 v17, v37, v17, v36
	global_load_ubyte v26, v[14:15], off
	global_load_ubyte v27, v[16:17], off
	v_mov_b64_e32 v[60:61], 1
	s_waitcnt vmcnt(1)
	v_cmp_ne_u16_e64 s[2:3], 0, v26
	s_waitcnt vmcnt(0)
	v_cmp_ne_u16_e64 s[4:5], 0, v27
	s_xor_b64 s[2:3], s[2:3], s[4:5]
	s_xor_b64 s[2:3], s[2:3], -1
	s_and_saveexec_b64 s[26:27], s[2:3]
	s_cbranch_execz .LBB1036_417
; %bb.411:
	s_mov_b64 s[34:35], 1
	s_mov_b64 s[28:29], 0
                                        ; implicit-def: $sgpr30_sgpr31
	s_branch .LBB1036_414
.LBB1036_412:                           ;   in Loop: Header=BB1036_414 Depth=1
	v_lshl_add_u64 v[26:27], v[14:15], 0, s[34:35]
	v_lshl_add_u64 v[28:29], v[16:17], 0, s[34:35]
	global_load_ubyte v34, v[26:27], off
	global_load_ubyte v35, v[28:29], off
	s_waitcnt vmcnt(1)
	v_cmp_ne_u16_e64 s[2:3], 0, v34
	s_waitcnt vmcnt(0)
	v_cmp_ne_u16_e64 s[4:5], 0, v35
	s_xor_b64 s[4:5], s[2:3], s[4:5]
	s_add_u32 s2, s34, 1
	s_addc_u32 s3, s35, 0
	s_andn2_b64 s[30:31], s[30:31], exec
	s_and_b64 s[4:5], s[4:5], exec
	s_or_b64 s[30:31], s[30:31], s[4:5]
.LBB1036_413:                           ;   in Loop: Header=BB1036_414 Depth=1
	s_and_b64 s[4:5], exec, s[30:31]
	s_or_b64 s[28:29], s[4:5], s[28:29]
	v_mov_b64_e32 v[26:27], s[34:35]
	s_mov_b64 s[34:35], s[2:3]
	s_andn2_b64 exec, exec, s[28:29]
	s_cbranch_execz .LBB1036_416
.LBB1036_414:                           ; =>This Inner Loop Header: Depth=1
	s_or_b64 s[30:31], s[30:31], exec
	s_cmp_eq_u64 s[12:13], s[34:35]
	s_cbranch_scc0 .LBB1036_412
; %bb.415:                              ;   in Loop: Header=BB1036_414 Depth=1
                                        ; implicit-def: $sgpr2_sgpr3
	s_mov_b64 s[34:35], s[12:13]
	s_branch .LBB1036_413
.LBB1036_416:
	s_or_b64 exec, exec, s[28:29]
	v_cmp_gt_i64_e64 s[2:3], s[12:13], v[26:27]
	s_nop 1
	v_cndmask_b32_e64 v60, 0, 1, s[2:3]
	s_mov_b32 s2, 0
	v_mov_b32_e32 v61, s2
.LBB1036_417:
	s_or_b64 exec, exec, s[26:27]
.LBB1036_418:
	s_andn2_saveexec_b64 s[2:3], s[24:25]
; %bb.419:
	v_cndmask_b32_e32 v61, 0, v33, vcc
	v_cndmask_b32_e32 v60, 0, v32, vcc
; %bb.420:
	s_or_b64 exec, exec, s[2:3]
	v_add_u32_e32 v14, 10, v1
	v_cmp_le_u32_e32 vcc, s10, v14
	s_or_b64 s[2:3], vcc, s[22:23]
	s_xor_b64 s[2:3], s[2:3], -1
	v_mul_lo_u32 v34, v24, s13
	v_mul_lo_u32 v35, v25, s12
	s_and_saveexec_b64 s[4:5], s[2:3]
	s_xor_b64 s[24:25], exec, s[4:5]
                                        ; implicit-def: $vgpr14_vgpr15_vgpr16_vgpr17
	s_cbranch_execz .LBB1036_429
; %bb.421:
	v_mov_b64_e32 v[14:15], s[14:15]
	v_mad_u64_u32 v[16:17], s[2:3], v30, s12, v[14:15]
	v_add3_u32 v17, v37, v17, v36
	v_mad_u64_u32 v[26:27], s[2:3], v24, s12, v[14:15]
	v_add3_u32 v27, v35, v27, v34
	global_load_ubyte v14, v[16:17], off
	global_load_ubyte v15, v[26:27], off
	s_waitcnt vmcnt(1)
	v_cmp_ne_u16_e64 s[2:3], 0, v14
	s_waitcnt vmcnt(0)
	v_cmp_ne_u16_e64 s[4:5], 0, v15
	s_xor_b64 s[2:3], s[2:3], s[4:5]
	s_xor_b64 s[2:3], s[2:3], -1
	v_mov_b64_e32 v[14:15], 1
	s_and_saveexec_b64 s[26:27], s[2:3]
	s_cbranch_execz .LBB1036_428
; %bb.422:
	s_mov_b64 s[34:35], 1
	s_mov_b64 s[28:29], 0
                                        ; implicit-def: $sgpr30_sgpr31
	s_branch .LBB1036_425
.LBB1036_423:                           ;   in Loop: Header=BB1036_425 Depth=1
	v_lshl_add_u64 v[14:15], v[16:17], 0, s[34:35]
	v_lshl_add_u64 v[28:29], v[26:27], 0, s[34:35]
	global_load_ubyte v30, v[14:15], off
	global_load_ubyte v31, v[28:29], off
	s_waitcnt vmcnt(1)
	v_cmp_ne_u16_e64 s[2:3], 0, v30
	s_waitcnt vmcnt(0)
	v_cmp_ne_u16_e64 s[4:5], 0, v31
	s_xor_b64 s[4:5], s[2:3], s[4:5]
	s_add_u32 s2, s34, 1
	s_addc_u32 s3, s35, 0
	s_andn2_b64 s[30:31], s[30:31], exec
	s_and_b64 s[4:5], s[4:5], exec
	s_or_b64 s[30:31], s[30:31], s[4:5]
.LBB1036_424:                           ;   in Loop: Header=BB1036_425 Depth=1
	s_and_b64 s[4:5], exec, s[30:31]
	s_or_b64 s[28:29], s[4:5], s[28:29]
	v_mov_b64_e32 v[14:15], s[34:35]
	s_mov_b64 s[34:35], s[2:3]
	s_andn2_b64 exec, exec, s[28:29]
	s_cbranch_execz .LBB1036_427
.LBB1036_425:                           ; =>This Inner Loop Header: Depth=1
	s_or_b64 s[30:31], s[30:31], exec
	s_cmp_eq_u64 s[12:13], s[34:35]
	s_cbranch_scc0 .LBB1036_423
; %bb.426:                              ;   in Loop: Header=BB1036_425 Depth=1
                                        ; implicit-def: $sgpr2_sgpr3
	s_mov_b64 s[34:35], s[12:13]
	s_branch .LBB1036_424
.LBB1036_427:
	s_or_b64 exec, exec, s[28:29]
	v_cmp_gt_i64_e64 s[2:3], s[12:13], v[14:15]
	s_nop 1
	v_cndmask_b32_e64 v14, 0, 1, s[2:3]
	s_mov_b32 s2, 0
	v_mov_b32_e32 v15, s2
.LBB1036_428:
	s_or_b64 exec, exec, s[26:27]
                                        ; implicit-def: $vgpr30_vgpr31_vgpr32_vgpr33
.LBB1036_429:
	s_andn2_saveexec_b64 s[2:3], s[24:25]
; %bb.430:
	v_cndmask_b32_e32 v15, 0, v31, vcc
	v_cndmask_b32_e32 v14, 0, v30, vcc
; %bb.431:
	s_or_b64 exec, exec, s[2:3]
	v_add_u32_e32 v16, 9, v1
	v_cmp_le_u32_e32 vcc, s10, v16
	s_or_b64 s[2:3], vcc, s[22:23]
	s_xor_b64 s[2:3], s[2:3], -1
	v_mul_lo_u32 v30, v22, s13
	v_mul_lo_u32 v31, v23, s12
                                        ; implicit-def: $vgpr28_vgpr29
	s_and_saveexec_b64 s[4:5], s[2:3]
	s_xor_b64 s[24:25], exec, s[4:5]
	s_cbranch_execz .LBB1036_440
; %bb.432:
	v_mov_b64_e32 v[26:27], s[14:15]
	v_mad_u64_u32 v[16:17], s[2:3], v24, s12, v[26:27]
	v_add3_u32 v17, v35, v17, v34
	v_mad_u64_u32 v[26:27], s[2:3], v22, s12, v[26:27]
	v_add3_u32 v27, v31, v27, v30
	global_load_ubyte v28, v[16:17], off
	global_load_ubyte v29, v[26:27], off
	s_waitcnt vmcnt(1)
	v_cmp_ne_u16_e64 s[2:3], 0, v28
	s_waitcnt vmcnt(0)
	v_cmp_ne_u16_e64 s[4:5], 0, v29
	s_xor_b64 s[2:3], s[2:3], s[4:5]
	s_xor_b64 s[2:3], s[2:3], -1
	v_mov_b64_e32 v[28:29], 1
	s_and_saveexec_b64 s[26:27], s[2:3]
	s_cbranch_execz .LBB1036_439
; %bb.433:
	s_mov_b64 s[34:35], 1
	s_mov_b64 s[28:29], 0
                                        ; implicit-def: $sgpr30_sgpr31
	s_branch .LBB1036_436
.LBB1036_434:                           ;   in Loop: Header=BB1036_436 Depth=1
	v_lshl_add_u64 v[28:29], v[16:17], 0, s[34:35]
	v_lshl_add_u64 v[32:33], v[26:27], 0, s[34:35]
	global_load_ubyte v34, v[28:29], off
	global_load_ubyte v35, v[32:33], off
	s_waitcnt vmcnt(1)
	v_cmp_ne_u16_e64 s[2:3], 0, v34
	s_waitcnt vmcnt(0)
	v_cmp_ne_u16_e64 s[4:5], 0, v35
	s_xor_b64 s[4:5], s[2:3], s[4:5]
	s_add_u32 s2, s34, 1
	s_addc_u32 s3, s35, 0
	s_andn2_b64 s[30:31], s[30:31], exec
	s_and_b64 s[4:5], s[4:5], exec
	s_or_b64 s[30:31], s[30:31], s[4:5]
.LBB1036_435:                           ;   in Loop: Header=BB1036_436 Depth=1
	s_and_b64 s[4:5], exec, s[30:31]
	s_or_b64 s[28:29], s[4:5], s[28:29]
	v_mov_b64_e32 v[28:29], s[34:35]
	s_mov_b64 s[34:35], s[2:3]
	s_andn2_b64 exec, exec, s[28:29]
	s_cbranch_execz .LBB1036_438
.LBB1036_436:                           ; =>This Inner Loop Header: Depth=1
	s_or_b64 s[30:31], s[30:31], exec
	s_cmp_eq_u64 s[12:13], s[34:35]
	s_cbranch_scc0 .LBB1036_434
; %bb.437:                              ;   in Loop: Header=BB1036_436 Depth=1
                                        ; implicit-def: $sgpr2_sgpr3
	s_mov_b64 s[34:35], s[12:13]
	s_branch .LBB1036_435
.LBB1036_438:
	s_or_b64 exec, exec, s[28:29]
	v_cmp_gt_i64_e64 s[2:3], s[12:13], v[28:29]
	s_nop 1
	v_cndmask_b32_e64 v28, 0, 1, s[2:3]
	s_mov_b32 s2, 0
	v_mov_b32_e32 v29, s2
.LBB1036_439:
	s_or_b64 exec, exec, s[26:27]
.LBB1036_440:
	s_andn2_saveexec_b64 s[2:3], s[24:25]
; %bb.441:
	v_cndmask_b32_e32 v29, 0, v25, vcc
	v_cndmask_b32_e32 v28, 0, v24, vcc
; %bb.442:
	s_or_b64 exec, exec, s[2:3]
	v_add_u32_e32 v16, 8, v1
	v_cmp_le_u32_e32 vcc, s10, v16
	s_or_b64 s[2:3], vcc, s[22:23]
	s_xor_b64 s[2:3], s[2:3], -1
	v_mul_lo_u32 v26, v20, s13
	v_mul_lo_u32 v27, v21, s12
	s_and_saveexec_b64 s[4:5], s[2:3]
	s_xor_b64 s[24:25], exec, s[4:5]
                                        ; implicit-def: $vgpr34_vgpr35_vgpr36_vgpr37
	s_cbranch_execz .LBB1036_451
; %bb.443:
	v_mov_b64_e32 v[24:25], s[14:15]
	v_mad_u64_u32 v[16:17], s[2:3], v22, s12, v[24:25]
	v_add3_u32 v17, v31, v17, v30
	v_mad_u64_u32 v[22:23], s[2:3], v20, s12, v[24:25]
	v_add3_u32 v23, v27, v23, v26
	global_load_ubyte v24, v[16:17], off
	global_load_ubyte v25, v[22:23], off
	v_mov_b64_e32 v[34:35], 1
	s_waitcnt vmcnt(1)
	v_cmp_ne_u16_e64 s[2:3], 0, v24
	s_waitcnt vmcnt(0)
	v_cmp_ne_u16_e64 s[4:5], 0, v25
	s_xor_b64 s[2:3], s[2:3], s[4:5]
	s_xor_b64 s[2:3], s[2:3], -1
	s_and_saveexec_b64 s[26:27], s[2:3]
	s_cbranch_execz .LBB1036_450
; %bb.444:
	s_mov_b64 s[34:35], 1
	s_mov_b64 s[28:29], 0
                                        ; implicit-def: $sgpr30_sgpr31
	s_branch .LBB1036_447
.LBB1036_445:                           ;   in Loop: Header=BB1036_447 Depth=1
	v_lshl_add_u64 v[24:25], v[16:17], 0, s[34:35]
	v_lshl_add_u64 v[30:31], v[22:23], 0, s[34:35]
	global_load_ubyte v32, v[24:25], off
	global_load_ubyte v33, v[30:31], off
	s_waitcnt vmcnt(1)
	v_cmp_ne_u16_e64 s[2:3], 0, v32
	s_waitcnt vmcnt(0)
	v_cmp_ne_u16_e64 s[4:5], 0, v33
	s_xor_b64 s[4:5], s[2:3], s[4:5]
	s_add_u32 s2, s34, 1
	s_addc_u32 s3, s35, 0
	s_andn2_b64 s[30:31], s[30:31], exec
	s_and_b64 s[4:5], s[4:5], exec
	s_or_b64 s[30:31], s[30:31], s[4:5]
.LBB1036_446:                           ;   in Loop: Header=BB1036_447 Depth=1
	s_and_b64 s[4:5], exec, s[30:31]
	s_or_b64 s[28:29], s[4:5], s[28:29]
	v_mov_b64_e32 v[24:25], s[34:35]
	s_mov_b64 s[34:35], s[2:3]
	s_andn2_b64 exec, exec, s[28:29]
	s_cbranch_execz .LBB1036_449
.LBB1036_447:                           ; =>This Inner Loop Header: Depth=1
	s_or_b64 s[30:31], s[30:31], exec
	s_cmp_eq_u64 s[12:13], s[34:35]
	s_cbranch_scc0 .LBB1036_445
; %bb.448:                              ;   in Loop: Header=BB1036_447 Depth=1
                                        ; implicit-def: $sgpr2_sgpr3
	s_mov_b64 s[34:35], s[12:13]
	s_branch .LBB1036_446
.LBB1036_449:
	s_or_b64 exec, exec, s[28:29]
	v_cmp_gt_i64_e64 s[2:3], s[12:13], v[24:25]
	s_nop 1
	v_cndmask_b32_e64 v34, 0, 1, s[2:3]
	s_mov_b32 s2, 0
	v_mov_b32_e32 v35, s2
.LBB1036_450:
	s_or_b64 exec, exec, s[26:27]
                                        ; implicit-def: $vgpr22_vgpr23_vgpr24_vgpr25
.LBB1036_451:
	s_andn2_saveexec_b64 s[2:3], s[24:25]
; %bb.452:
	v_cndmask_b32_e32 v35, 0, v23, vcc
	v_cndmask_b32_e32 v34, 0, v22, vcc
; %bb.453:
	s_or_b64 exec, exec, s[2:3]
	v_add_u32_e32 v16, 7, v1
	v_cmp_le_u32_e32 vcc, s10, v16
	s_or_b64 s[2:3], vcc, s[22:23]
	s_xor_b64 s[2:3], s[2:3], -1
	v_mul_lo_u32 v30, v18, s13
	v_mul_lo_u32 v31, v19, s12
                                        ; implicit-def: $vgpr38_vgpr39
	s_and_saveexec_b64 s[4:5], s[2:3]
	s_xor_b64 s[24:25], exec, s[4:5]
	s_cbranch_execz .LBB1036_462
; %bb.454:
	v_mov_b64_e32 v[22:23], s[14:15]
	v_mad_u64_u32 v[16:17], s[2:3], v20, s12, v[22:23]
	v_add3_u32 v17, v27, v17, v26
	v_mad_u64_u32 v[22:23], s[2:3], v18, s12, v[22:23]
	v_add3_u32 v23, v31, v23, v30
	global_load_ubyte v24, v[16:17], off
	global_load_ubyte v25, v[22:23], off
	v_mov_b64_e32 v[38:39], 1
	s_waitcnt vmcnt(1)
	v_cmp_ne_u16_e64 s[2:3], 0, v24
	s_waitcnt vmcnt(0)
	v_cmp_ne_u16_e64 s[4:5], 0, v25
	s_xor_b64 s[2:3], s[2:3], s[4:5]
	s_xor_b64 s[2:3], s[2:3], -1
	s_and_saveexec_b64 s[26:27], s[2:3]
	s_cbranch_execz .LBB1036_461
; %bb.455:
	s_mov_b64 s[34:35], 1
	s_mov_b64 s[28:29], 0
                                        ; implicit-def: $sgpr30_sgpr31
	s_branch .LBB1036_458
.LBB1036_456:                           ;   in Loop: Header=BB1036_458 Depth=1
	v_lshl_add_u64 v[24:25], v[16:17], 0, s[34:35]
	v_lshl_add_u64 v[26:27], v[22:23], 0, s[34:35]
	global_load_ubyte v32, v[24:25], off
	global_load_ubyte v33, v[26:27], off
	s_waitcnt vmcnt(1)
	v_cmp_ne_u16_e64 s[2:3], 0, v32
	s_waitcnt vmcnt(0)
	v_cmp_ne_u16_e64 s[4:5], 0, v33
	s_xor_b64 s[4:5], s[2:3], s[4:5]
	s_add_u32 s2, s34, 1
	s_addc_u32 s3, s35, 0
	s_andn2_b64 s[30:31], s[30:31], exec
	s_and_b64 s[4:5], s[4:5], exec
	s_or_b64 s[30:31], s[30:31], s[4:5]
.LBB1036_457:                           ;   in Loop: Header=BB1036_458 Depth=1
	s_and_b64 s[4:5], exec, s[30:31]
	s_or_b64 s[28:29], s[4:5], s[28:29]
	v_mov_b64_e32 v[24:25], s[34:35]
	s_mov_b64 s[34:35], s[2:3]
	s_andn2_b64 exec, exec, s[28:29]
	s_cbranch_execz .LBB1036_460
.LBB1036_458:                           ; =>This Inner Loop Header: Depth=1
	s_or_b64 s[30:31], s[30:31], exec
	s_cmp_eq_u64 s[12:13], s[34:35]
	s_cbranch_scc0 .LBB1036_456
; %bb.459:                              ;   in Loop: Header=BB1036_458 Depth=1
                                        ; implicit-def: $sgpr2_sgpr3
	s_mov_b64 s[34:35], s[12:13]
	s_branch .LBB1036_457
.LBB1036_460:
	s_or_b64 exec, exec, s[28:29]
	v_cmp_gt_i64_e64 s[2:3], s[12:13], v[24:25]
	s_nop 1
	v_cndmask_b32_e64 v38, 0, 1, s[2:3]
	s_mov_b32 s2, 0
	v_mov_b32_e32 v39, s2
.LBB1036_461:
	s_or_b64 exec, exec, s[26:27]
.LBB1036_462:
	s_andn2_saveexec_b64 s[2:3], s[24:25]
; %bb.463:
	v_cndmask_b32_e32 v39, 0, v21, vcc
	v_cndmask_b32_e32 v38, 0, v20, vcc
; %bb.464:
	s_or_b64 exec, exec, s[2:3]
	v_add_u32_e32 v16, 6, v1
	v_cmp_le_u32_e32 vcc, s10, v16
	s_or_b64 s[2:3], vcc, s[22:23]
	s_xor_b64 s[2:3], s[2:3], -1
	v_mul_lo_u32 v22, v12, s13
	v_mul_lo_u32 v23, v13, s12
	s_and_saveexec_b64 s[4:5], s[2:3]
	s_xor_b64 s[24:25], exec, s[4:5]
                                        ; implicit-def: $vgpr40_vgpr41_vgpr42_vgpr43
	s_cbranch_execz .LBB1036_473
; %bb.465:
	v_mov_b64_e32 v[20:21], s[14:15]
	v_mad_u64_u32 v[16:17], s[2:3], v18, s12, v[20:21]
	v_add3_u32 v17, v31, v17, v30
	v_mad_u64_u32 v[18:19], s[2:3], v12, s12, v[20:21]
	v_add3_u32 v19, v23, v19, v22
	global_load_ubyte v20, v[16:17], off
	global_load_ubyte v21, v[18:19], off
	v_mov_b64_e32 v[40:41], 1
	s_waitcnt vmcnt(1)
	v_cmp_ne_u16_e64 s[2:3], 0, v20
	s_waitcnt vmcnt(0)
	v_cmp_ne_u16_e64 s[4:5], 0, v21
	s_xor_b64 s[2:3], s[2:3], s[4:5]
	s_xor_b64 s[2:3], s[2:3], -1
	s_and_saveexec_b64 s[26:27], s[2:3]
	s_cbranch_execz .LBB1036_472
; %bb.466:
	s_mov_b64 s[34:35], 1
	s_mov_b64 s[28:29], 0
                                        ; implicit-def: $sgpr30_sgpr31
	s_branch .LBB1036_469
.LBB1036_467:                           ;   in Loop: Header=BB1036_469 Depth=1
	v_lshl_add_u64 v[20:21], v[16:17], 0, s[34:35]
	v_lshl_add_u64 v[24:25], v[18:19], 0, s[34:35]
	global_load_ubyte v26, v[20:21], off
	global_load_ubyte v27, v[24:25], off
	s_waitcnt vmcnt(1)
	v_cmp_ne_u16_e64 s[2:3], 0, v26
	s_waitcnt vmcnt(0)
	v_cmp_ne_u16_e64 s[4:5], 0, v27
	s_xor_b64 s[4:5], s[2:3], s[4:5]
	s_add_u32 s2, s34, 1
	s_addc_u32 s3, s35, 0
	s_andn2_b64 s[30:31], s[30:31], exec
	s_and_b64 s[4:5], s[4:5], exec
	s_or_b64 s[30:31], s[30:31], s[4:5]
.LBB1036_468:                           ;   in Loop: Header=BB1036_469 Depth=1
	s_and_b64 s[4:5], exec, s[30:31]
	s_or_b64 s[28:29], s[4:5], s[28:29]
	v_mov_b64_e32 v[20:21], s[34:35]
	s_mov_b64 s[34:35], s[2:3]
	s_andn2_b64 exec, exec, s[28:29]
	s_cbranch_execz .LBB1036_471
.LBB1036_469:                           ; =>This Inner Loop Header: Depth=1
	s_or_b64 s[30:31], s[30:31], exec
	s_cmp_eq_u64 s[12:13], s[34:35]
	s_cbranch_scc0 .LBB1036_467
; %bb.470:                              ;   in Loop: Header=BB1036_469 Depth=1
                                        ; implicit-def: $sgpr2_sgpr3
	s_mov_b64 s[34:35], s[12:13]
	s_branch .LBB1036_468
.LBB1036_471:
	s_or_b64 exec, exec, s[28:29]
	v_cmp_gt_i64_e64 s[2:3], s[12:13], v[20:21]
	s_nop 1
	v_cndmask_b32_e64 v40, 0, 1, s[2:3]
	s_mov_b32 s2, 0
	v_mov_b32_e32 v41, s2
.LBB1036_472:
	s_or_b64 exec, exec, s[26:27]
                                        ; implicit-def: $vgpr18_vgpr19_vgpr20_vgpr21
.LBB1036_473:
	s_andn2_saveexec_b64 s[2:3], s[24:25]
; %bb.474:
	v_cndmask_b32_e32 v41, 0, v19, vcc
	v_cndmask_b32_e32 v40, 0, v18, vcc
; %bb.475:
	s_or_b64 exec, exec, s[2:3]
	v_add_u32_e32 v16, 5, v1
	v_cmp_le_u32_e32 vcc, s10, v16
	s_or_b64 s[2:3], vcc, s[22:23]
	s_xor_b64 s[2:3], s[2:3], -1
	v_mul_lo_u32 v24, v10, s13
	v_mul_lo_u32 v25, v11, s12
                                        ; implicit-def: $vgpr44_vgpr45
	s_and_saveexec_b64 s[4:5], s[2:3]
	s_xor_b64 s[24:25], exec, s[4:5]
	s_cbranch_execz .LBB1036_484
; %bb.476:
	v_mov_b64_e32 v[18:19], s[14:15]
	v_mad_u64_u32 v[16:17], s[2:3], v12, s12, v[18:19]
	v_add3_u32 v17, v23, v17, v22
	v_mad_u64_u32 v[18:19], s[2:3], v10, s12, v[18:19]
	v_add3_u32 v19, v25, v19, v24
	global_load_ubyte v20, v[16:17], off
	global_load_ubyte v21, v[18:19], off
	v_mov_b64_e32 v[44:45], 1
	s_waitcnt vmcnt(1)
	v_cmp_ne_u16_e64 s[2:3], 0, v20
	s_waitcnt vmcnt(0)
	v_cmp_ne_u16_e64 s[4:5], 0, v21
	s_xor_b64 s[2:3], s[2:3], s[4:5]
	s_xor_b64 s[2:3], s[2:3], -1
	s_and_saveexec_b64 s[26:27], s[2:3]
	s_cbranch_execz .LBB1036_483
; %bb.477:
	s_mov_b64 s[34:35], 1
	s_mov_b64 s[28:29], 0
                                        ; implicit-def: $sgpr30_sgpr31
	s_branch .LBB1036_480
.LBB1036_478:                           ;   in Loop: Header=BB1036_480 Depth=1
	v_lshl_add_u64 v[20:21], v[16:17], 0, s[34:35]
	v_lshl_add_u64 v[22:23], v[18:19], 0, s[34:35]
	global_load_ubyte v26, v[20:21], off
	global_load_ubyte v27, v[22:23], off
	s_waitcnt vmcnt(1)
	v_cmp_ne_u16_e64 s[2:3], 0, v26
	s_waitcnt vmcnt(0)
	v_cmp_ne_u16_e64 s[4:5], 0, v27
	s_xor_b64 s[4:5], s[2:3], s[4:5]
	s_add_u32 s2, s34, 1
	s_addc_u32 s3, s35, 0
	s_andn2_b64 s[30:31], s[30:31], exec
	s_and_b64 s[4:5], s[4:5], exec
	s_or_b64 s[30:31], s[30:31], s[4:5]
.LBB1036_479:                           ;   in Loop: Header=BB1036_480 Depth=1
	s_and_b64 s[4:5], exec, s[30:31]
	s_or_b64 s[28:29], s[4:5], s[28:29]
	v_mov_b64_e32 v[20:21], s[34:35]
	s_mov_b64 s[34:35], s[2:3]
	s_andn2_b64 exec, exec, s[28:29]
	s_cbranch_execz .LBB1036_482
.LBB1036_480:                           ; =>This Inner Loop Header: Depth=1
	s_or_b64 s[30:31], s[30:31], exec
	s_cmp_eq_u64 s[12:13], s[34:35]
	s_cbranch_scc0 .LBB1036_478
; %bb.481:                              ;   in Loop: Header=BB1036_480 Depth=1
                                        ; implicit-def: $sgpr2_sgpr3
	s_mov_b64 s[34:35], s[12:13]
	s_branch .LBB1036_479
.LBB1036_482:
	s_or_b64 exec, exec, s[28:29]
	v_cmp_gt_i64_e64 s[2:3], s[12:13], v[20:21]
	s_nop 1
	v_cndmask_b32_e64 v44, 0, 1, s[2:3]
	s_mov_b32 s2, 0
	v_mov_b32_e32 v45, s2
.LBB1036_483:
	s_or_b64 exec, exec, s[26:27]
.LBB1036_484:
	s_andn2_saveexec_b64 s[2:3], s[24:25]
; %bb.485:
	v_cndmask_b32_e32 v45, 0, v13, vcc
	v_cndmask_b32_e32 v44, 0, v12, vcc
; %bb.486:
	s_or_b64 exec, exec, s[2:3]
	v_add_u32_e32 v12, 4, v1
	v_cmp_le_u32_e32 vcc, s10, v12
	s_or_b64 s[2:3], vcc, s[22:23]
	s_xor_b64 s[2:3], s[2:3], -1
	v_mul_lo_u32 v18, v8, s13
	v_mul_lo_u32 v19, v9, s12
	s_and_saveexec_b64 s[4:5], s[2:3]
	s_xor_b64 s[24:25], exec, s[4:5]
                                        ; implicit-def: $vgpr46_vgpr47_vgpr48_vgpr49
	s_cbranch_execz .LBB1036_495
; %bb.487:
	v_mov_b64_e32 v[12:13], s[14:15]
	v_mad_u64_u32 v[10:11], s[2:3], v10, s12, v[12:13]
	v_add3_u32 v11, v25, v11, v24
	v_mad_u64_u32 v[12:13], s[2:3], v8, s12, v[12:13]
	v_add3_u32 v13, v19, v13, v18
	global_load_ubyte v16, v[10:11], off
	global_load_ubyte v17, v[12:13], off
	v_mov_b64_e32 v[46:47], 1
	s_waitcnt vmcnt(1)
	v_cmp_ne_u16_e64 s[2:3], 0, v16
	s_waitcnt vmcnt(0)
	v_cmp_ne_u16_e64 s[4:5], 0, v17
	s_xor_b64 s[2:3], s[2:3], s[4:5]
	s_xor_b64 s[2:3], s[2:3], -1
	s_and_saveexec_b64 s[26:27], s[2:3]
	s_cbranch_execz .LBB1036_494
; %bb.488:
	s_mov_b64 s[34:35], 1
	s_mov_b64 s[28:29], 0
                                        ; implicit-def: $sgpr30_sgpr31
	s_branch .LBB1036_491
.LBB1036_489:                           ;   in Loop: Header=BB1036_491 Depth=1
	v_lshl_add_u64 v[16:17], v[10:11], 0, s[34:35]
	v_lshl_add_u64 v[20:21], v[12:13], 0, s[34:35]
	global_load_ubyte v22, v[16:17], off
	global_load_ubyte v23, v[20:21], off
	s_waitcnt vmcnt(1)
	v_cmp_ne_u16_e64 s[2:3], 0, v22
	s_waitcnt vmcnt(0)
	v_cmp_ne_u16_e64 s[4:5], 0, v23
	s_xor_b64 s[4:5], s[2:3], s[4:5]
	s_add_u32 s2, s34, 1
	s_addc_u32 s3, s35, 0
	s_andn2_b64 s[30:31], s[30:31], exec
	s_and_b64 s[4:5], s[4:5], exec
	s_or_b64 s[30:31], s[30:31], s[4:5]
.LBB1036_490:                           ;   in Loop: Header=BB1036_491 Depth=1
	s_and_b64 s[4:5], exec, s[30:31]
	s_or_b64 s[28:29], s[4:5], s[28:29]
	v_mov_b64_e32 v[16:17], s[34:35]
	s_mov_b64 s[34:35], s[2:3]
	s_andn2_b64 exec, exec, s[28:29]
	s_cbranch_execz .LBB1036_493
.LBB1036_491:                           ; =>This Inner Loop Header: Depth=1
	s_or_b64 s[30:31], s[30:31], exec
	s_cmp_eq_u64 s[12:13], s[34:35]
	s_cbranch_scc0 .LBB1036_489
; %bb.492:                              ;   in Loop: Header=BB1036_491 Depth=1
                                        ; implicit-def: $sgpr2_sgpr3
	s_mov_b64 s[34:35], s[12:13]
	s_branch .LBB1036_490
.LBB1036_493:
	s_or_b64 exec, exec, s[28:29]
	v_cmp_gt_i64_e64 s[2:3], s[12:13], v[16:17]
	s_nop 1
	v_cndmask_b32_e64 v46, 0, 1, s[2:3]
	s_mov_b32 s2, 0
	v_mov_b32_e32 v47, s2
.LBB1036_494:
	s_or_b64 exec, exec, s[26:27]
                                        ; implicit-def: $vgpr10_vgpr11_vgpr12_vgpr13
.LBB1036_495:
	s_andn2_saveexec_b64 s[2:3], s[24:25]
; %bb.496:
	v_cndmask_b32_e32 v47, 0, v11, vcc
	v_cndmask_b32_e32 v46, 0, v10, vcc
; %bb.497:
	s_or_b64 exec, exec, s[2:3]
	v_add_u32_e32 v10, 3, v1
	v_cmp_le_u32_e32 vcc, s10, v10
	s_or_b64 s[2:3], vcc, s[22:23]
	s_xor_b64 s[2:3], s[2:3], -1
	v_mul_lo_u32 v20, v6, s13
	v_mul_lo_u32 v21, v7, s12
                                        ; implicit-def: $vgpr50_vgpr51
	s_and_saveexec_b64 s[4:5], s[2:3]
	s_xor_b64 s[24:25], exec, s[4:5]
	s_cbranch_execz .LBB1036_506
; %bb.498:
	v_mov_b64_e32 v[12:13], s[14:15]
	v_mad_u64_u32 v[10:11], s[2:3], v8, s12, v[12:13]
	v_add3_u32 v11, v19, v11, v18
	v_mad_u64_u32 v[12:13], s[2:3], v6, s12, v[12:13]
	v_add3_u32 v13, v21, v13, v20
	global_load_ubyte v16, v[10:11], off
	global_load_ubyte v17, v[12:13], off
	v_mov_b64_e32 v[50:51], 1
	s_waitcnt vmcnt(1)
	v_cmp_ne_u16_e64 s[2:3], 0, v16
	s_waitcnt vmcnt(0)
	v_cmp_ne_u16_e64 s[4:5], 0, v17
	s_xor_b64 s[2:3], s[2:3], s[4:5]
	s_xor_b64 s[2:3], s[2:3], -1
	s_and_saveexec_b64 s[26:27], s[2:3]
	s_cbranch_execz .LBB1036_505
; %bb.499:
	s_mov_b64 s[34:35], 1
	s_mov_b64 s[28:29], 0
                                        ; implicit-def: $sgpr30_sgpr31
	s_branch .LBB1036_502
.LBB1036_500:                           ;   in Loop: Header=BB1036_502 Depth=1
	v_lshl_add_u64 v[16:17], v[10:11], 0, s[34:35]
	v_lshl_add_u64 v[18:19], v[12:13], 0, s[34:35]
	global_load_ubyte v22, v[16:17], off
	global_load_ubyte v23, v[18:19], off
	s_waitcnt vmcnt(1)
	v_cmp_ne_u16_e64 s[2:3], 0, v22
	s_waitcnt vmcnt(0)
	v_cmp_ne_u16_e64 s[4:5], 0, v23
	s_xor_b64 s[4:5], s[2:3], s[4:5]
	s_add_u32 s2, s34, 1
	s_addc_u32 s3, s35, 0
	s_andn2_b64 s[30:31], s[30:31], exec
	s_and_b64 s[4:5], s[4:5], exec
	s_or_b64 s[30:31], s[30:31], s[4:5]
.LBB1036_501:                           ;   in Loop: Header=BB1036_502 Depth=1
	s_and_b64 s[4:5], exec, s[30:31]
	s_or_b64 s[28:29], s[4:5], s[28:29]
	v_mov_b64_e32 v[16:17], s[34:35]
	s_mov_b64 s[34:35], s[2:3]
	s_andn2_b64 exec, exec, s[28:29]
	s_cbranch_execz .LBB1036_504
.LBB1036_502:                           ; =>This Inner Loop Header: Depth=1
	s_or_b64 s[30:31], s[30:31], exec
	s_cmp_eq_u64 s[12:13], s[34:35]
	s_cbranch_scc0 .LBB1036_500
; %bb.503:                              ;   in Loop: Header=BB1036_502 Depth=1
                                        ; implicit-def: $sgpr2_sgpr3
	s_mov_b64 s[34:35], s[12:13]
	s_branch .LBB1036_501
.LBB1036_504:
	s_or_b64 exec, exec, s[28:29]
	v_cmp_gt_i64_e64 s[2:3], s[12:13], v[16:17]
	s_nop 1
	v_cndmask_b32_e64 v50, 0, 1, s[2:3]
	s_mov_b32 s2, 0
	v_mov_b32_e32 v51, s2
.LBB1036_505:
	s_or_b64 exec, exec, s[26:27]
.LBB1036_506:
	s_andn2_saveexec_b64 s[2:3], s[24:25]
; %bb.507:
	v_cndmask_b32_e32 v51, 0, v9, vcc
	v_cndmask_b32_e32 v50, 0, v8, vcc
; %bb.508:
	s_or_b64 exec, exec, s[2:3]
	v_add_u32_e32 v8, 2, v1
	v_cmp_le_u32_e32 vcc, s10, v8
	s_or_b64 s[2:3], vcc, s[22:23]
	s_xor_b64 s[2:3], s[2:3], -1
	v_mul_lo_u32 v12, v4, s13
	v_mul_lo_u32 v13, v5, s12
	s_and_saveexec_b64 s[4:5], s[2:3]
	s_xor_b64 s[24:25], exec, s[4:5]
                                        ; implicit-def: $vgpr52_vgpr53_vgpr54_vgpr55
	s_cbranch_execz .LBB1036_517
; %bb.509:
	v_mov_b64_e32 v[8:9], s[14:15]
	v_mad_u64_u32 v[6:7], s[2:3], v6, s12, v[8:9]
	v_add3_u32 v7, v21, v7, v20
	v_mad_u64_u32 v[8:9], s[2:3], v4, s12, v[8:9]
	v_add3_u32 v9, v13, v9, v12
	global_load_ubyte v10, v[6:7], off
	global_load_ubyte v11, v[8:9], off
	v_mov_b64_e32 v[52:53], 1
	s_waitcnt vmcnt(1)
	v_cmp_ne_u16_e64 s[2:3], 0, v10
	s_waitcnt vmcnt(0)
	v_cmp_ne_u16_e64 s[4:5], 0, v11
	s_xor_b64 s[2:3], s[2:3], s[4:5]
	s_xor_b64 s[2:3], s[2:3], -1
	s_and_saveexec_b64 s[26:27], s[2:3]
	s_cbranch_execz .LBB1036_516
; %bb.510:
	s_mov_b64 s[34:35], 1
	s_mov_b64 s[28:29], 0
                                        ; implicit-def: $sgpr30_sgpr31
	s_branch .LBB1036_513
.LBB1036_511:                           ;   in Loop: Header=BB1036_513 Depth=1
	v_lshl_add_u64 v[10:11], v[6:7], 0, s[34:35]
	v_lshl_add_u64 v[16:17], v[8:9], 0, s[34:35]
	global_load_ubyte v18, v[10:11], off
	global_load_ubyte v19, v[16:17], off
	s_waitcnt vmcnt(1)
	v_cmp_ne_u16_e64 s[2:3], 0, v18
	s_waitcnt vmcnt(0)
	v_cmp_ne_u16_e64 s[4:5], 0, v19
	s_xor_b64 s[4:5], s[2:3], s[4:5]
	s_add_u32 s2, s34, 1
	s_addc_u32 s3, s35, 0
	s_andn2_b64 s[30:31], s[30:31], exec
	s_and_b64 s[4:5], s[4:5], exec
	s_or_b64 s[30:31], s[30:31], s[4:5]
.LBB1036_512:                           ;   in Loop: Header=BB1036_513 Depth=1
	s_and_b64 s[4:5], exec, s[30:31]
	s_or_b64 s[28:29], s[4:5], s[28:29]
	v_mov_b64_e32 v[10:11], s[34:35]
	s_mov_b64 s[34:35], s[2:3]
	s_andn2_b64 exec, exec, s[28:29]
	s_cbranch_execz .LBB1036_515
.LBB1036_513:                           ; =>This Inner Loop Header: Depth=1
	s_or_b64 s[30:31], s[30:31], exec
	s_cmp_eq_u64 s[12:13], s[34:35]
	s_cbranch_scc0 .LBB1036_511
; %bb.514:                              ;   in Loop: Header=BB1036_513 Depth=1
                                        ; implicit-def: $sgpr2_sgpr3
	s_mov_b64 s[34:35], s[12:13]
	s_branch .LBB1036_512
.LBB1036_515:
	s_or_b64 exec, exec, s[28:29]
	v_cmp_gt_i64_e64 s[2:3], s[12:13], v[10:11]
	s_nop 1
	v_cndmask_b32_e64 v52, 0, 1, s[2:3]
	s_mov_b32 s2, 0
	v_mov_b32_e32 v53, s2
.LBB1036_516:
	s_or_b64 exec, exec, s[26:27]
                                        ; implicit-def: $vgpr6_vgpr7_vgpr8_vgpr9
.LBB1036_517:
	s_andn2_saveexec_b64 s[2:3], s[24:25]
; %bb.518:
	v_cndmask_b32_e32 v53, 0, v7, vcc
	v_cndmask_b32_e32 v52, 0, v6, vcc
; %bb.519:
	s_or_b64 exec, exec, s[2:3]
	v_add_u32_e32 v6, 1, v1
	v_cmp_le_u32_e32 vcc, s10, v6
	s_or_b64 s[2:3], vcc, s[22:23]
	s_xor_b64 s[2:3], s[2:3], -1
                                        ; implicit-def: $vgpr54_vgpr55
	s_and_saveexec_b64 s[4:5], s[2:3]
	s_xor_b64 s[22:23], exec, s[4:5]
	s_cbranch_execz .LBB1036_528
; %bb.520:
	v_mov_b64_e32 v[8:9], s[14:15]
	v_mad_u64_u32 v[6:7], s[2:3], v4, s12, v[8:9]
	v_add3_u32 v7, v13, v7, v12
	v_mad_u64_u32 v[8:9], s[2:3], v2, s12, v[8:9]
	v_mul_lo_u32 v10, v2, s13
	v_mul_lo_u32 v11, v3, s12
	v_add3_u32 v9, v11, v9, v10
	global_load_ubyte v10, v[6:7], off
	global_load_ubyte v11, v[8:9], off
	v_mov_b64_e32 v[54:55], 1
	s_waitcnt vmcnt(1)
	v_cmp_ne_u16_e64 s[2:3], 0, v10
	s_waitcnt vmcnt(0)
	v_cmp_ne_u16_e64 s[4:5], 0, v11
	s_xor_b64 s[2:3], s[2:3], s[4:5]
	s_xor_b64 s[2:3], s[2:3], -1
	s_and_saveexec_b64 s[24:25], s[2:3]
	s_cbranch_execz .LBB1036_527
; %bb.521:
	s_mov_b64 s[30:31], 1
	s_mov_b64 s[26:27], 0
                                        ; implicit-def: $sgpr28_sgpr29
	s_branch .LBB1036_524
.LBB1036_522:                           ;   in Loop: Header=BB1036_524 Depth=1
	v_lshl_add_u64 v[10:11], v[6:7], 0, s[30:31]
	v_lshl_add_u64 v[12:13], v[8:9], 0, s[30:31]
	global_load_ubyte v16, v[10:11], off
	global_load_ubyte v17, v[12:13], off
	s_waitcnt vmcnt(1)
	v_cmp_ne_u16_e64 s[2:3], 0, v16
	s_waitcnt vmcnt(0)
	v_cmp_ne_u16_e64 s[4:5], 0, v17
	s_xor_b64 s[4:5], s[2:3], s[4:5]
	s_add_u32 s2, s30, 1
	s_addc_u32 s3, s31, 0
	s_andn2_b64 s[28:29], s[28:29], exec
	s_and_b64 s[4:5], s[4:5], exec
	s_or_b64 s[28:29], s[28:29], s[4:5]
.LBB1036_523:                           ;   in Loop: Header=BB1036_524 Depth=1
	s_and_b64 s[4:5], exec, s[28:29]
	s_or_b64 s[26:27], s[4:5], s[26:27]
	v_mov_b64_e32 v[10:11], s[30:31]
	s_mov_b64 s[30:31], s[2:3]
	s_andn2_b64 exec, exec, s[26:27]
	s_cbranch_execz .LBB1036_526
.LBB1036_524:                           ; =>This Inner Loop Header: Depth=1
	s_or_b64 s[28:29], s[28:29], exec
	s_cmp_eq_u64 s[12:13], s[30:31]
	s_cbranch_scc0 .LBB1036_522
; %bb.525:                              ;   in Loop: Header=BB1036_524 Depth=1
                                        ; implicit-def: $sgpr2_sgpr3
	s_mov_b64 s[30:31], s[12:13]
	s_branch .LBB1036_523
.LBB1036_526:
	s_or_b64 exec, exec, s[26:27]
	v_cmp_gt_i64_e64 s[2:3], s[12:13], v[10:11]
	s_nop 1
	v_cndmask_b32_e64 v54, 0, 1, s[2:3]
	s_mov_b32 s2, 0
	v_mov_b32_e32 v55, s2
.LBB1036_527:
	s_or_b64 exec, exec, s[24:25]
.LBB1036_528:
	s_andn2_saveexec_b64 s[2:3], s[22:23]
; %bb.529:
	v_cndmask_b32_e32 v55, 0, v5, vcc
	v_cndmask_b32_e32 v54, 0, v4, vcc
; %bb.530:
	s_or_b64 exec, exec, s[2:3]
	v_cmp_ne_u32_e32 vcc, 0, v0
	v_cmp_gt_u32_e64 s[2:3], s10, v1
	s_and_b64 s[2:3], vcc, s[2:3]
	s_waitcnt lgkmcnt(0)
	; wave barrier
	s_waitcnt lgkmcnt(0)
                                        ; implicit-def: $sgpr4_sgpr5
	s_and_saveexec_b64 s[22:23], s[2:3]
	s_cbranch_execz .LBB1036_541
; %bb.531:
	s_andn2_b64 vcc, exec, s[6:7]
	s_mov_b64 s[2:3], 0
	s_cbranch_vccnz .LBB1036_540
; %bb.532:
	v_add_u32_e32 v1, -8, v56
	ds_read_b64 v[6:7], v1
	v_mov_b64_e32 v[8:9], s[14:15]
	v_mad_u64_u32 v[4:5], s[2:3], v2, s12, v[8:9]
	v_mul_lo_u32 v1, v2, s13
	v_mul_lo_u32 v2, v3, s12
	v_add3_u32 v5, v2, v5, v1
	s_waitcnt lgkmcnt(0)
	v_mul_lo_u32 v1, v6, s13
	v_mul_lo_u32 v7, v7, s12
	v_mad_u64_u32 v[2:3], s[2:3], v6, s12, v[8:9]
	v_add3_u32 v3, v7, v3, v1
	global_load_ubyte v1, v[4:5], off
	global_load_ubyte v6, v[2:3], off
	s_waitcnt vmcnt(1)
	v_cmp_ne_u16_e32 vcc, 0, v1
	s_waitcnt vmcnt(0)
	v_cmp_ne_u16_e64 s[2:3], 0, v6
	s_xor_b64 s[4:5], vcc, s[2:3]
	s_mov_b64 s[2:3], -1
	s_xor_b64 s[6:7], s[4:5], -1
	s_and_saveexec_b64 s[4:5], s[6:7]
	s_cbranch_execz .LBB1036_539
; %bb.533:
	s_mov_b64 s[24:25], 1
	s_mov_b64 s[6:7], 0
                                        ; implicit-def: $sgpr14_sgpr15
	s_branch .LBB1036_536
.LBB1036_534:                           ;   in Loop: Header=BB1036_536 Depth=1
	v_lshl_add_u64 v[6:7], v[4:5], 0, s[24:25]
	v_lshl_add_u64 v[8:9], v[2:3], 0, s[24:25]
	global_load_ubyte v1, v[6:7], off
	global_load_ubyte v10, v[8:9], off
	s_waitcnt vmcnt(1)
	v_cmp_ne_u16_e32 vcc, 0, v1
	s_waitcnt vmcnt(0)
	v_cmp_ne_u16_e64 s[2:3], 0, v10
	s_xor_b64 s[26:27], vcc, s[2:3]
	s_add_u32 s2, s24, 1
	s_addc_u32 s3, s25, 0
	s_andn2_b64 s[14:15], s[14:15], exec
	s_and_b64 s[26:27], s[26:27], exec
	s_or_b64 s[14:15], s[14:15], s[26:27]
.LBB1036_535:                           ;   in Loop: Header=BB1036_536 Depth=1
	s_and_b64 s[26:27], exec, s[14:15]
	s_or_b64 s[6:7], s[26:27], s[6:7]
	v_mov_b64_e32 v[6:7], s[24:25]
	s_mov_b64 s[24:25], s[2:3]
	s_andn2_b64 exec, exec, s[6:7]
	s_cbranch_execz .LBB1036_538
.LBB1036_536:                           ; =>This Inner Loop Header: Depth=1
	s_or_b64 s[14:15], s[14:15], exec
	s_cmp_eq_u64 s[12:13], s[24:25]
	s_cbranch_scc0 .LBB1036_534
; %bb.537:                              ;   in Loop: Header=BB1036_536 Depth=1
                                        ; implicit-def: $sgpr2_sgpr3
	s_mov_b64 s[24:25], s[12:13]
	s_branch .LBB1036_535
.LBB1036_538:
	s_or_b64 exec, exec, s[6:7]
	v_cmp_gt_i64_e32 vcc, s[12:13], v[6:7]
	s_orn2_b64 s[2:3], vcc, exec
.LBB1036_539:
	s_or_b64 exec, exec, s[4:5]
.LBB1036_540:
	s_and_b64 s[4:5], s[2:3], exec
	s_or_b64 s[20:21], s[20:21], exec
                                        ; implicit-def: $vgpr2_vgpr3
.LBB1036_541:
	s_or_b64 exec, exec, s[22:23]
.LBB1036_542:
	s_and_saveexec_b64 s[2:3], s[20:21]
; %bb.543:
	v_cndmask_b32_e64 v2, 0, 1, s[4:5]
	s_mov_b32 s4, 0
	v_mov_b32_e32 v3, s4
; %bb.544:
	s_or_b64 exec, exec, s[2:3]
	s_add_u32 s4, s8, s18
	s_addc_u32 s5, s9, s19
	s_and_b64 vcc, exec, s[0:1]
	s_waitcnt lgkmcnt(0)
	; wave barrier
	s_waitcnt lgkmcnt(0)
	s_cbranch_vccz .LBB1036_570
; %bb.545:
	s_movk_i32 s2, 0x68
	v_mul_u32_u24_e32 v1, 0x68, v0
	v_mov_b32_e32 v4, v54
	v_mov_b32_e32 v5, v55
	v_mul_i32_i24_e32 v36, 0xffffffa0, v0
	ds_write2_b64 v1, v[2:3], v[4:5] offset1:1
	ds_write2_b64 v1, v[52:53], v[50:51] offset0:2 offset1:3
	ds_write2_b64 v1, v[46:47], v[44:45] offset0:4 offset1:5
	;; [unrolled: 1-line block ×5, first 2 shown]
	ds_write_b64 v1, v[58:59] offset:96
	v_mad_u32_u24 v4, v0, s2, v36
	s_waitcnt lgkmcnt(0)
	; wave barrier
	s_waitcnt lgkmcnt(0)
	ds_read2st64_b64 v[30:33], v4 offset0:1 offset1:2
	ds_read2st64_b64 v[24:27], v4 offset0:3 offset1:4
	;; [unrolled: 1-line block ×6, first 2 shown]
	s_mov_b32 s17, 0
	s_add_i32 s11, s11, s10
	s_lshl_b64 s[0:1], s[16:17], 3
	s_add_u32 s0, s4, s0
	s_addc_u32 s1, s5, s1
	v_mov_b32_e32 v57, 0
	v_lshl_add_u64 v[12:13], s[0:1], 0, v[56:57]
	v_cmp_gt_u32_e32 vcc, s11, v0
	s_and_saveexec_b64 s[0:1], vcc
	s_cbranch_execz .LBB1036_547
; %bb.546:
	v_add_u32_e32 v1, v1, v36
	ds_read_b64 v[36:37], v1
	s_waitcnt lgkmcnt(0)
	global_store_dwordx2 v[12:13], v[36:37], off
.LBB1036_547:
	s_or_b64 exec, exec, s[0:1]
	v_or_b32_e32 v1, 64, v0
	v_cmp_gt_u32_e32 vcc, s11, v1
	s_and_saveexec_b64 s[0:1], vcc
	s_cbranch_execz .LBB1036_549
; %bb.548:
	s_waitcnt lgkmcnt(5)
	global_store_dwordx2 v[12:13], v[30:31], off offset:512
.LBB1036_549:
	s_or_b64 exec, exec, s[0:1]
	v_or_b32_e32 v1, 0x80, v0
	v_cmp_gt_u32_e32 vcc, s11, v1
	s_and_saveexec_b64 s[0:1], vcc
	s_cbranch_execz .LBB1036_551
; %bb.550:
	s_waitcnt lgkmcnt(5)
	global_store_dwordx2 v[12:13], v[32:33], off offset:1024
.LBB1036_551:
	s_or_b64 exec, exec, s[0:1]
	v_or_b32_e32 v1, 0xc0, v0
	v_cmp_gt_u32_e32 vcc, s11, v1
	s_and_saveexec_b64 s[0:1], vcc
	s_cbranch_execz .LBB1036_553
; %bb.552:
	s_waitcnt lgkmcnt(4)
	global_store_dwordx2 v[12:13], v[24:25], off offset:1536
.LBB1036_553:
	s_or_b64 exec, exec, s[0:1]
	v_or_b32_e32 v1, 0x100, v0
	v_cmp_gt_u32_e32 vcc, s11, v1
	s_and_saveexec_b64 s[0:1], vcc
	s_cbranch_execz .LBB1036_555
; %bb.554:
	s_waitcnt lgkmcnt(4)
	global_store_dwordx2 v[12:13], v[26:27], off offset:2048
.LBB1036_555:
	s_or_b64 exec, exec, s[0:1]
	v_or_b32_e32 v1, 0x140, v0
	v_cmp_gt_u32_e32 vcc, s11, v1
	s_and_saveexec_b64 s[0:1], vcc
	s_cbranch_execz .LBB1036_557
; %bb.556:
	s_waitcnt lgkmcnt(3)
	global_store_dwordx2 v[12:13], v[20:21], off offset:2560
.LBB1036_557:
	s_or_b64 exec, exec, s[0:1]
	v_or_b32_e32 v1, 0x180, v0
	v_cmp_gt_u32_e32 vcc, s11, v1
	s_and_saveexec_b64 s[0:1], vcc
	s_cbranch_execz .LBB1036_559
; %bb.558:
	s_waitcnt lgkmcnt(3)
	global_store_dwordx2 v[12:13], v[22:23], off offset:3072
.LBB1036_559:
	s_or_b64 exec, exec, s[0:1]
	v_or_b32_e32 v1, 0x1c0, v0
	v_cmp_gt_u32_e32 vcc, s11, v1
	s_and_saveexec_b64 s[0:1], vcc
	s_cbranch_execz .LBB1036_561
; %bb.560:
	s_waitcnt lgkmcnt(2)
	global_store_dwordx2 v[12:13], v[16:17], off offset:3584
.LBB1036_561:
	s_or_b64 exec, exec, s[0:1]
	v_or_b32_e32 v1, 0x200, v0
	v_cmp_gt_u32_e32 vcc, s11, v1
	s_and_saveexec_b64 s[0:1], vcc
	s_cbranch_execz .LBB1036_563
; %bb.562:
	s_waitcnt lgkmcnt(2)
	v_add_co_u32_e32 v16, vcc, 0x1000, v12
	s_nop 1
	v_addc_co_u32_e32 v17, vcc, 0, v13, vcc
	global_store_dwordx2 v[16:17], v[18:19], off
.LBB1036_563:
	s_or_b64 exec, exec, s[0:1]
	v_or_b32_e32 v1, 0x240, v0
	v_cmp_gt_u32_e32 vcc, s11, v1
	s_and_saveexec_b64 s[0:1], vcc
	s_cbranch_execz .LBB1036_565
; %bb.564:
	s_waitcnt lgkmcnt(2)
	v_add_co_u32_e32 v16, vcc, 0x1000, v12
	s_nop 1
	v_addc_co_u32_e32 v17, vcc, 0, v13, vcc
	s_waitcnt lgkmcnt(1)
	global_store_dwordx2 v[16:17], v[8:9], off offset:512
.LBB1036_565:
	s_or_b64 exec, exec, s[0:1]
	v_or_b32_e32 v1, 0x280, v0
	v_cmp_gt_u32_e32 vcc, s11, v1
	s_and_saveexec_b64 s[0:1], vcc
	s_cbranch_execz .LBB1036_567
; %bb.566:
	s_waitcnt lgkmcnt(1)
	v_add_co_u32_e32 v8, vcc, 0x1000, v12
	s_nop 1
	v_addc_co_u32_e32 v9, vcc, 0, v13, vcc
	global_store_dwordx2 v[8:9], v[10:11], off offset:1024
.LBB1036_567:
	s_or_b64 exec, exec, s[0:1]
	v_or_b32_e32 v1, 0x2c0, v0
	v_cmp_gt_u32_e32 vcc, s11, v1
	s_and_saveexec_b64 s[0:1], vcc
	s_cbranch_execz .LBB1036_569
; %bb.568:
	s_waitcnt lgkmcnt(1)
	v_add_co_u32_e32 v8, vcc, 0x1000, v12
	s_nop 1
	v_addc_co_u32_e32 v9, vcc, 0, v13, vcc
	s_waitcnt lgkmcnt(0)
	global_store_dwordx2 v[8:9], v[4:5], off offset:1536
.LBB1036_569:
	s_or_b64 exec, exec, s[0:1]
	v_or_b32_e32 v1, 0x300, v0
	v_cmp_gt_u32_e64 s[0:1], s11, v1
	s_branch .LBB1036_572
.LBB1036_570:
	s_mov_b64 s[0:1], 0
                                        ; implicit-def: $vgpr6_vgpr7
                                        ; implicit-def: $vgpr12_vgpr13
	s_cbranch_execz .LBB1036_572
; %bb.571:
	s_mov_b32 s17, 0
	s_lshl_b64 s[2:3], s[16:17], 3
	v_mul_u32_u24_e32 v1, 0x68, v0
	s_add_u32 s2, s4, s2
	s_movk_i32 s4, 0x68
	ds_write2_b64 v1, v[2:3], v[54:55] offset1:1
	ds_write2_b64 v1, v[52:53], v[50:51] offset0:2 offset1:3
	ds_write2_b64 v1, v[46:47], v[44:45] offset0:4 offset1:5
	;; [unrolled: 1-line block ×5, first 2 shown]
	ds_write_b64 v1, v[58:59] offset:96
	v_mul_i32_i24_e32 v1, 0xffffffa0, v0
	s_waitcnt lgkmcnt(7)
	v_mad_u32_u24 v4, v0, s4, v1
	s_addc_u32 s3, s5, s3
	s_waitcnt lgkmcnt(0)
	; wave barrier
	s_waitcnt lgkmcnt(0)
	ds_read2st64_b64 v[0:3], v4 offset1:1
	ds_read2st64_b64 v[8:11], v4 offset0:2 offset1:3
	ds_read2st64_b64 v[14:17], v4 offset0:4 offset1:5
	;; [unrolled: 1-line block ×5, first 2 shown]
	ds_read_b64 v[6:7], v4 offset:6144
	v_mov_b32_e32 v57, 0
	v_lshl_add_u64 v[12:13], s[2:3], 0, v[56:57]
	s_waitcnt lgkmcnt(6)
	global_store_dwordx2 v56, v[0:1], s[2:3]
	global_store_dwordx2 v56, v[2:3], s[2:3] offset:512
	s_waitcnt lgkmcnt(5)
	global_store_dwordx2 v56, v[8:9], s[2:3] offset:1024
	global_store_dwordx2 v56, v[10:11], s[2:3] offset:1536
	s_waitcnt lgkmcnt(4)
	global_store_dwordx2 v56, v[14:15], s[2:3] offset:2048
	;; [unrolled: 3-line block ×3, first 2 shown]
	global_store_dwordx2 v56, v[20:21], s[2:3] offset:3584
	v_add_co_u32_e32 v0, vcc, 0x1000, v12
	s_or_b64 s[0:1], s[0:1], exec
	s_nop 0
	v_addc_co_u32_e32 v1, vcc, 0, v13, vcc
	s_waitcnt lgkmcnt(2)
	global_store_dwordx2 v[0:1], v[22:23], off
	global_store_dwordx2 v[0:1], v[24:25], off offset:512
	s_waitcnt lgkmcnt(1)
	global_store_dwordx2 v[0:1], v[26:27], off offset:1024
	global_store_dwordx2 v[0:1], v[28:29], off offset:1536
.LBB1036_572:
	s_and_saveexec_b64 s[2:3], s[0:1]
	s_cbranch_execnz .LBB1036_574
; %bb.573:
	s_endpgm
.LBB1036_574:
	v_add_co_u32_e32 v0, vcc, 0x1000, v12
	s_nop 1
	v_addc_co_u32_e32 v1, vcc, 0, v13, vcc
	s_waitcnt lgkmcnt(0)
	global_store_dwordx2 v[0:1], v[6:7], off offset:2048
	s_endpgm
	.section	.rodata,"a",@progbits
	.p2align	6, 0x0
	.amdhsa_kernel _ZN7rocprim17ROCPRIM_400000_NS6detail17trampoline_kernelINS0_14default_configENS1_35adjacent_difference_config_selectorILb0ElEEZNS1_24adjacent_difference_implIS3_Lb0ELb0EPlS7_ZN2at6native12_GLOBAL__N_124unique_dim_cuda_templateIbEESt5tupleIJNS8_6TensorESD_SD_EERKSD_lbbbEUlllE1_EE10hipError_tPvRmT2_T3_mT4_P12ihipStream_tbEUlT_E_NS1_11comp_targetILNS1_3genE5ELNS1_11target_archE942ELNS1_3gpuE9ELNS1_3repE0EEENS1_30default_config_static_selectorELNS0_4arch9wavefront6targetE1EEEvT1_
		.amdhsa_group_segment_fixed_size 6656
		.amdhsa_private_segment_fixed_size 0
		.amdhsa_kernarg_size 64
		.amdhsa_user_sgpr_count 2
		.amdhsa_user_sgpr_dispatch_ptr 0
		.amdhsa_user_sgpr_queue_ptr 0
		.amdhsa_user_sgpr_kernarg_segment_ptr 1
		.amdhsa_user_sgpr_dispatch_id 0
		.amdhsa_user_sgpr_kernarg_preload_length 0
		.amdhsa_user_sgpr_kernarg_preload_offset 0
		.amdhsa_user_sgpr_private_segment_size 0
		.amdhsa_uses_dynamic_stack 0
		.amdhsa_enable_private_segment 0
		.amdhsa_system_sgpr_workgroup_id_x 1
		.amdhsa_system_sgpr_workgroup_id_y 0
		.amdhsa_system_sgpr_workgroup_id_z 0
		.amdhsa_system_sgpr_workgroup_info 0
		.amdhsa_system_vgpr_workitem_id 0
		.amdhsa_next_free_vgpr 64
		.amdhsa_next_free_sgpr 40
		.amdhsa_accum_offset 64
		.amdhsa_reserve_vcc 1
		.amdhsa_float_round_mode_32 0
		.amdhsa_float_round_mode_16_64 0
		.amdhsa_float_denorm_mode_32 3
		.amdhsa_float_denorm_mode_16_64 3
		.amdhsa_dx10_clamp 1
		.amdhsa_ieee_mode 1
		.amdhsa_fp16_overflow 0
		.amdhsa_tg_split 0
		.amdhsa_exception_fp_ieee_invalid_op 0
		.amdhsa_exception_fp_denorm_src 0
		.amdhsa_exception_fp_ieee_div_zero 0
		.amdhsa_exception_fp_ieee_overflow 0
		.amdhsa_exception_fp_ieee_underflow 0
		.amdhsa_exception_fp_ieee_inexact 0
		.amdhsa_exception_int_div_zero 0
	.end_amdhsa_kernel
	.section	.text._ZN7rocprim17ROCPRIM_400000_NS6detail17trampoline_kernelINS0_14default_configENS1_35adjacent_difference_config_selectorILb0ElEEZNS1_24adjacent_difference_implIS3_Lb0ELb0EPlS7_ZN2at6native12_GLOBAL__N_124unique_dim_cuda_templateIbEESt5tupleIJNS8_6TensorESD_SD_EERKSD_lbbbEUlllE1_EE10hipError_tPvRmT2_T3_mT4_P12ihipStream_tbEUlT_E_NS1_11comp_targetILNS1_3genE5ELNS1_11target_archE942ELNS1_3gpuE9ELNS1_3repE0EEENS1_30default_config_static_selectorELNS0_4arch9wavefront6targetE1EEEvT1_,"axG",@progbits,_ZN7rocprim17ROCPRIM_400000_NS6detail17trampoline_kernelINS0_14default_configENS1_35adjacent_difference_config_selectorILb0ElEEZNS1_24adjacent_difference_implIS3_Lb0ELb0EPlS7_ZN2at6native12_GLOBAL__N_124unique_dim_cuda_templateIbEESt5tupleIJNS8_6TensorESD_SD_EERKSD_lbbbEUlllE1_EE10hipError_tPvRmT2_T3_mT4_P12ihipStream_tbEUlT_E_NS1_11comp_targetILNS1_3genE5ELNS1_11target_archE942ELNS1_3gpuE9ELNS1_3repE0EEENS1_30default_config_static_selectorELNS0_4arch9wavefront6targetE1EEEvT1_,comdat
.Lfunc_end1036:
	.size	_ZN7rocprim17ROCPRIM_400000_NS6detail17trampoline_kernelINS0_14default_configENS1_35adjacent_difference_config_selectorILb0ElEEZNS1_24adjacent_difference_implIS3_Lb0ELb0EPlS7_ZN2at6native12_GLOBAL__N_124unique_dim_cuda_templateIbEESt5tupleIJNS8_6TensorESD_SD_EERKSD_lbbbEUlllE1_EE10hipError_tPvRmT2_T3_mT4_P12ihipStream_tbEUlT_E_NS1_11comp_targetILNS1_3genE5ELNS1_11target_archE942ELNS1_3gpuE9ELNS1_3repE0EEENS1_30default_config_static_selectorELNS0_4arch9wavefront6targetE1EEEvT1_, .Lfunc_end1036-_ZN7rocprim17ROCPRIM_400000_NS6detail17trampoline_kernelINS0_14default_configENS1_35adjacent_difference_config_selectorILb0ElEEZNS1_24adjacent_difference_implIS3_Lb0ELb0EPlS7_ZN2at6native12_GLOBAL__N_124unique_dim_cuda_templateIbEESt5tupleIJNS8_6TensorESD_SD_EERKSD_lbbbEUlllE1_EE10hipError_tPvRmT2_T3_mT4_P12ihipStream_tbEUlT_E_NS1_11comp_targetILNS1_3genE5ELNS1_11target_archE942ELNS1_3gpuE9ELNS1_3repE0EEENS1_30default_config_static_selectorELNS0_4arch9wavefront6targetE1EEEvT1_
                                        ; -- End function
	.section	.AMDGPU.csdata,"",@progbits
; Kernel info:
; codeLenInByte = 18832
; NumSgprs: 46
; NumVgprs: 64
; NumAgprs: 0
; TotalNumVgprs: 64
; ScratchSize: 0
; MemoryBound: 0
; FloatMode: 240
; IeeeMode: 1
; LDSByteSize: 6656 bytes/workgroup (compile time only)
; SGPRBlocks: 5
; VGPRBlocks: 7
; NumSGPRsForWavesPerEU: 46
; NumVGPRsForWavesPerEU: 64
; AccumOffset: 64
; Occupancy: 3
; WaveLimiterHint : 1
; COMPUTE_PGM_RSRC2:SCRATCH_EN: 0
; COMPUTE_PGM_RSRC2:USER_SGPR: 2
; COMPUTE_PGM_RSRC2:TRAP_HANDLER: 0
; COMPUTE_PGM_RSRC2:TGID_X_EN: 1
; COMPUTE_PGM_RSRC2:TGID_Y_EN: 0
; COMPUTE_PGM_RSRC2:TGID_Z_EN: 0
; COMPUTE_PGM_RSRC2:TIDIG_COMP_CNT: 0
; COMPUTE_PGM_RSRC3_GFX90A:ACCUM_OFFSET: 15
; COMPUTE_PGM_RSRC3_GFX90A:TG_SPLIT: 0
	.section	.text._ZN7rocprim17ROCPRIM_400000_NS6detail17trampoline_kernelINS0_14default_configENS1_35adjacent_difference_config_selectorILb0ElEEZNS1_24adjacent_difference_implIS3_Lb0ELb0EPlS7_ZN2at6native12_GLOBAL__N_124unique_dim_cuda_templateIbEESt5tupleIJNS8_6TensorESD_SD_EERKSD_lbbbEUlllE1_EE10hipError_tPvRmT2_T3_mT4_P12ihipStream_tbEUlT_E_NS1_11comp_targetILNS1_3genE4ELNS1_11target_archE910ELNS1_3gpuE8ELNS1_3repE0EEENS1_30default_config_static_selectorELNS0_4arch9wavefront6targetE1EEEvT1_,"axG",@progbits,_ZN7rocprim17ROCPRIM_400000_NS6detail17trampoline_kernelINS0_14default_configENS1_35adjacent_difference_config_selectorILb0ElEEZNS1_24adjacent_difference_implIS3_Lb0ELb0EPlS7_ZN2at6native12_GLOBAL__N_124unique_dim_cuda_templateIbEESt5tupleIJNS8_6TensorESD_SD_EERKSD_lbbbEUlllE1_EE10hipError_tPvRmT2_T3_mT4_P12ihipStream_tbEUlT_E_NS1_11comp_targetILNS1_3genE4ELNS1_11target_archE910ELNS1_3gpuE8ELNS1_3repE0EEENS1_30default_config_static_selectorELNS0_4arch9wavefront6targetE1EEEvT1_,comdat
	.globl	_ZN7rocprim17ROCPRIM_400000_NS6detail17trampoline_kernelINS0_14default_configENS1_35adjacent_difference_config_selectorILb0ElEEZNS1_24adjacent_difference_implIS3_Lb0ELb0EPlS7_ZN2at6native12_GLOBAL__N_124unique_dim_cuda_templateIbEESt5tupleIJNS8_6TensorESD_SD_EERKSD_lbbbEUlllE1_EE10hipError_tPvRmT2_T3_mT4_P12ihipStream_tbEUlT_E_NS1_11comp_targetILNS1_3genE4ELNS1_11target_archE910ELNS1_3gpuE8ELNS1_3repE0EEENS1_30default_config_static_selectorELNS0_4arch9wavefront6targetE1EEEvT1_ ; -- Begin function _ZN7rocprim17ROCPRIM_400000_NS6detail17trampoline_kernelINS0_14default_configENS1_35adjacent_difference_config_selectorILb0ElEEZNS1_24adjacent_difference_implIS3_Lb0ELb0EPlS7_ZN2at6native12_GLOBAL__N_124unique_dim_cuda_templateIbEESt5tupleIJNS8_6TensorESD_SD_EERKSD_lbbbEUlllE1_EE10hipError_tPvRmT2_T3_mT4_P12ihipStream_tbEUlT_E_NS1_11comp_targetILNS1_3genE4ELNS1_11target_archE910ELNS1_3gpuE8ELNS1_3repE0EEENS1_30default_config_static_selectorELNS0_4arch9wavefront6targetE1EEEvT1_
	.p2align	8
	.type	_ZN7rocprim17ROCPRIM_400000_NS6detail17trampoline_kernelINS0_14default_configENS1_35adjacent_difference_config_selectorILb0ElEEZNS1_24adjacent_difference_implIS3_Lb0ELb0EPlS7_ZN2at6native12_GLOBAL__N_124unique_dim_cuda_templateIbEESt5tupleIJNS8_6TensorESD_SD_EERKSD_lbbbEUlllE1_EE10hipError_tPvRmT2_T3_mT4_P12ihipStream_tbEUlT_E_NS1_11comp_targetILNS1_3genE4ELNS1_11target_archE910ELNS1_3gpuE8ELNS1_3repE0EEENS1_30default_config_static_selectorELNS0_4arch9wavefront6targetE1EEEvT1_,@function
_ZN7rocprim17ROCPRIM_400000_NS6detail17trampoline_kernelINS0_14default_configENS1_35adjacent_difference_config_selectorILb0ElEEZNS1_24adjacent_difference_implIS3_Lb0ELb0EPlS7_ZN2at6native12_GLOBAL__N_124unique_dim_cuda_templateIbEESt5tupleIJNS8_6TensorESD_SD_EERKSD_lbbbEUlllE1_EE10hipError_tPvRmT2_T3_mT4_P12ihipStream_tbEUlT_E_NS1_11comp_targetILNS1_3genE4ELNS1_11target_archE910ELNS1_3gpuE8ELNS1_3repE0EEENS1_30default_config_static_selectorELNS0_4arch9wavefront6targetE1EEEvT1_: ; @_ZN7rocprim17ROCPRIM_400000_NS6detail17trampoline_kernelINS0_14default_configENS1_35adjacent_difference_config_selectorILb0ElEEZNS1_24adjacent_difference_implIS3_Lb0ELb0EPlS7_ZN2at6native12_GLOBAL__N_124unique_dim_cuda_templateIbEESt5tupleIJNS8_6TensorESD_SD_EERKSD_lbbbEUlllE1_EE10hipError_tPvRmT2_T3_mT4_P12ihipStream_tbEUlT_E_NS1_11comp_targetILNS1_3genE4ELNS1_11target_archE910ELNS1_3gpuE8ELNS1_3repE0EEENS1_30default_config_static_selectorELNS0_4arch9wavefront6targetE1EEEvT1_
; %bb.0:
	.section	.rodata,"a",@progbits
	.p2align	6, 0x0
	.amdhsa_kernel _ZN7rocprim17ROCPRIM_400000_NS6detail17trampoline_kernelINS0_14default_configENS1_35adjacent_difference_config_selectorILb0ElEEZNS1_24adjacent_difference_implIS3_Lb0ELb0EPlS7_ZN2at6native12_GLOBAL__N_124unique_dim_cuda_templateIbEESt5tupleIJNS8_6TensorESD_SD_EERKSD_lbbbEUlllE1_EE10hipError_tPvRmT2_T3_mT4_P12ihipStream_tbEUlT_E_NS1_11comp_targetILNS1_3genE4ELNS1_11target_archE910ELNS1_3gpuE8ELNS1_3repE0EEENS1_30default_config_static_selectorELNS0_4arch9wavefront6targetE1EEEvT1_
		.amdhsa_group_segment_fixed_size 0
		.amdhsa_private_segment_fixed_size 0
		.amdhsa_kernarg_size 64
		.amdhsa_user_sgpr_count 2
		.amdhsa_user_sgpr_dispatch_ptr 0
		.amdhsa_user_sgpr_queue_ptr 0
		.amdhsa_user_sgpr_kernarg_segment_ptr 1
		.amdhsa_user_sgpr_dispatch_id 0
		.amdhsa_user_sgpr_kernarg_preload_length 0
		.amdhsa_user_sgpr_kernarg_preload_offset 0
		.amdhsa_user_sgpr_private_segment_size 0
		.amdhsa_uses_dynamic_stack 0
		.amdhsa_enable_private_segment 0
		.amdhsa_system_sgpr_workgroup_id_x 1
		.amdhsa_system_sgpr_workgroup_id_y 0
		.amdhsa_system_sgpr_workgroup_id_z 0
		.amdhsa_system_sgpr_workgroup_info 0
		.amdhsa_system_vgpr_workitem_id 0
		.amdhsa_next_free_vgpr 1
		.amdhsa_next_free_sgpr 0
		.amdhsa_accum_offset 4
		.amdhsa_reserve_vcc 0
		.amdhsa_float_round_mode_32 0
		.amdhsa_float_round_mode_16_64 0
		.amdhsa_float_denorm_mode_32 3
		.amdhsa_float_denorm_mode_16_64 3
		.amdhsa_dx10_clamp 1
		.amdhsa_ieee_mode 1
		.amdhsa_fp16_overflow 0
		.amdhsa_tg_split 0
		.amdhsa_exception_fp_ieee_invalid_op 0
		.amdhsa_exception_fp_denorm_src 0
		.amdhsa_exception_fp_ieee_div_zero 0
		.amdhsa_exception_fp_ieee_overflow 0
		.amdhsa_exception_fp_ieee_underflow 0
		.amdhsa_exception_fp_ieee_inexact 0
		.amdhsa_exception_int_div_zero 0
	.end_amdhsa_kernel
	.section	.text._ZN7rocprim17ROCPRIM_400000_NS6detail17trampoline_kernelINS0_14default_configENS1_35adjacent_difference_config_selectorILb0ElEEZNS1_24adjacent_difference_implIS3_Lb0ELb0EPlS7_ZN2at6native12_GLOBAL__N_124unique_dim_cuda_templateIbEESt5tupleIJNS8_6TensorESD_SD_EERKSD_lbbbEUlllE1_EE10hipError_tPvRmT2_T3_mT4_P12ihipStream_tbEUlT_E_NS1_11comp_targetILNS1_3genE4ELNS1_11target_archE910ELNS1_3gpuE8ELNS1_3repE0EEENS1_30default_config_static_selectorELNS0_4arch9wavefront6targetE1EEEvT1_,"axG",@progbits,_ZN7rocprim17ROCPRIM_400000_NS6detail17trampoline_kernelINS0_14default_configENS1_35adjacent_difference_config_selectorILb0ElEEZNS1_24adjacent_difference_implIS3_Lb0ELb0EPlS7_ZN2at6native12_GLOBAL__N_124unique_dim_cuda_templateIbEESt5tupleIJNS8_6TensorESD_SD_EERKSD_lbbbEUlllE1_EE10hipError_tPvRmT2_T3_mT4_P12ihipStream_tbEUlT_E_NS1_11comp_targetILNS1_3genE4ELNS1_11target_archE910ELNS1_3gpuE8ELNS1_3repE0EEENS1_30default_config_static_selectorELNS0_4arch9wavefront6targetE1EEEvT1_,comdat
.Lfunc_end1037:
	.size	_ZN7rocprim17ROCPRIM_400000_NS6detail17trampoline_kernelINS0_14default_configENS1_35adjacent_difference_config_selectorILb0ElEEZNS1_24adjacent_difference_implIS3_Lb0ELb0EPlS7_ZN2at6native12_GLOBAL__N_124unique_dim_cuda_templateIbEESt5tupleIJNS8_6TensorESD_SD_EERKSD_lbbbEUlllE1_EE10hipError_tPvRmT2_T3_mT4_P12ihipStream_tbEUlT_E_NS1_11comp_targetILNS1_3genE4ELNS1_11target_archE910ELNS1_3gpuE8ELNS1_3repE0EEENS1_30default_config_static_selectorELNS0_4arch9wavefront6targetE1EEEvT1_, .Lfunc_end1037-_ZN7rocprim17ROCPRIM_400000_NS6detail17trampoline_kernelINS0_14default_configENS1_35adjacent_difference_config_selectorILb0ElEEZNS1_24adjacent_difference_implIS3_Lb0ELb0EPlS7_ZN2at6native12_GLOBAL__N_124unique_dim_cuda_templateIbEESt5tupleIJNS8_6TensorESD_SD_EERKSD_lbbbEUlllE1_EE10hipError_tPvRmT2_T3_mT4_P12ihipStream_tbEUlT_E_NS1_11comp_targetILNS1_3genE4ELNS1_11target_archE910ELNS1_3gpuE8ELNS1_3repE0EEENS1_30default_config_static_selectorELNS0_4arch9wavefront6targetE1EEEvT1_
                                        ; -- End function
	.section	.AMDGPU.csdata,"",@progbits
; Kernel info:
; codeLenInByte = 0
; NumSgprs: 6
; NumVgprs: 0
; NumAgprs: 0
; TotalNumVgprs: 0
; ScratchSize: 0
; MemoryBound: 0
; FloatMode: 240
; IeeeMode: 1
; LDSByteSize: 0 bytes/workgroup (compile time only)
; SGPRBlocks: 0
; VGPRBlocks: 0
; NumSGPRsForWavesPerEU: 6
; NumVGPRsForWavesPerEU: 1
; AccumOffset: 4
; Occupancy: 8
; WaveLimiterHint : 0
; COMPUTE_PGM_RSRC2:SCRATCH_EN: 0
; COMPUTE_PGM_RSRC2:USER_SGPR: 2
; COMPUTE_PGM_RSRC2:TRAP_HANDLER: 0
; COMPUTE_PGM_RSRC2:TGID_X_EN: 1
; COMPUTE_PGM_RSRC2:TGID_Y_EN: 0
; COMPUTE_PGM_RSRC2:TGID_Z_EN: 0
; COMPUTE_PGM_RSRC2:TIDIG_COMP_CNT: 0
; COMPUTE_PGM_RSRC3_GFX90A:ACCUM_OFFSET: 0
; COMPUTE_PGM_RSRC3_GFX90A:TG_SPLIT: 0
	.section	.text._ZN7rocprim17ROCPRIM_400000_NS6detail17trampoline_kernelINS0_14default_configENS1_35adjacent_difference_config_selectorILb0ElEEZNS1_24adjacent_difference_implIS3_Lb0ELb0EPlS7_ZN2at6native12_GLOBAL__N_124unique_dim_cuda_templateIbEESt5tupleIJNS8_6TensorESD_SD_EERKSD_lbbbEUlllE1_EE10hipError_tPvRmT2_T3_mT4_P12ihipStream_tbEUlT_E_NS1_11comp_targetILNS1_3genE3ELNS1_11target_archE908ELNS1_3gpuE7ELNS1_3repE0EEENS1_30default_config_static_selectorELNS0_4arch9wavefront6targetE1EEEvT1_,"axG",@progbits,_ZN7rocprim17ROCPRIM_400000_NS6detail17trampoline_kernelINS0_14default_configENS1_35adjacent_difference_config_selectorILb0ElEEZNS1_24adjacent_difference_implIS3_Lb0ELb0EPlS7_ZN2at6native12_GLOBAL__N_124unique_dim_cuda_templateIbEESt5tupleIJNS8_6TensorESD_SD_EERKSD_lbbbEUlllE1_EE10hipError_tPvRmT2_T3_mT4_P12ihipStream_tbEUlT_E_NS1_11comp_targetILNS1_3genE3ELNS1_11target_archE908ELNS1_3gpuE7ELNS1_3repE0EEENS1_30default_config_static_selectorELNS0_4arch9wavefront6targetE1EEEvT1_,comdat
	.globl	_ZN7rocprim17ROCPRIM_400000_NS6detail17trampoline_kernelINS0_14default_configENS1_35adjacent_difference_config_selectorILb0ElEEZNS1_24adjacent_difference_implIS3_Lb0ELb0EPlS7_ZN2at6native12_GLOBAL__N_124unique_dim_cuda_templateIbEESt5tupleIJNS8_6TensorESD_SD_EERKSD_lbbbEUlllE1_EE10hipError_tPvRmT2_T3_mT4_P12ihipStream_tbEUlT_E_NS1_11comp_targetILNS1_3genE3ELNS1_11target_archE908ELNS1_3gpuE7ELNS1_3repE0EEENS1_30default_config_static_selectorELNS0_4arch9wavefront6targetE1EEEvT1_ ; -- Begin function _ZN7rocprim17ROCPRIM_400000_NS6detail17trampoline_kernelINS0_14default_configENS1_35adjacent_difference_config_selectorILb0ElEEZNS1_24adjacent_difference_implIS3_Lb0ELb0EPlS7_ZN2at6native12_GLOBAL__N_124unique_dim_cuda_templateIbEESt5tupleIJNS8_6TensorESD_SD_EERKSD_lbbbEUlllE1_EE10hipError_tPvRmT2_T3_mT4_P12ihipStream_tbEUlT_E_NS1_11comp_targetILNS1_3genE3ELNS1_11target_archE908ELNS1_3gpuE7ELNS1_3repE0EEENS1_30default_config_static_selectorELNS0_4arch9wavefront6targetE1EEEvT1_
	.p2align	8
	.type	_ZN7rocprim17ROCPRIM_400000_NS6detail17trampoline_kernelINS0_14default_configENS1_35adjacent_difference_config_selectorILb0ElEEZNS1_24adjacent_difference_implIS3_Lb0ELb0EPlS7_ZN2at6native12_GLOBAL__N_124unique_dim_cuda_templateIbEESt5tupleIJNS8_6TensorESD_SD_EERKSD_lbbbEUlllE1_EE10hipError_tPvRmT2_T3_mT4_P12ihipStream_tbEUlT_E_NS1_11comp_targetILNS1_3genE3ELNS1_11target_archE908ELNS1_3gpuE7ELNS1_3repE0EEENS1_30default_config_static_selectorELNS0_4arch9wavefront6targetE1EEEvT1_,@function
_ZN7rocprim17ROCPRIM_400000_NS6detail17trampoline_kernelINS0_14default_configENS1_35adjacent_difference_config_selectorILb0ElEEZNS1_24adjacent_difference_implIS3_Lb0ELb0EPlS7_ZN2at6native12_GLOBAL__N_124unique_dim_cuda_templateIbEESt5tupleIJNS8_6TensorESD_SD_EERKSD_lbbbEUlllE1_EE10hipError_tPvRmT2_T3_mT4_P12ihipStream_tbEUlT_E_NS1_11comp_targetILNS1_3genE3ELNS1_11target_archE908ELNS1_3gpuE7ELNS1_3repE0EEENS1_30default_config_static_selectorELNS0_4arch9wavefront6targetE1EEEvT1_: ; @_ZN7rocprim17ROCPRIM_400000_NS6detail17trampoline_kernelINS0_14default_configENS1_35adjacent_difference_config_selectorILb0ElEEZNS1_24adjacent_difference_implIS3_Lb0ELb0EPlS7_ZN2at6native12_GLOBAL__N_124unique_dim_cuda_templateIbEESt5tupleIJNS8_6TensorESD_SD_EERKSD_lbbbEUlllE1_EE10hipError_tPvRmT2_T3_mT4_P12ihipStream_tbEUlT_E_NS1_11comp_targetILNS1_3genE3ELNS1_11target_archE908ELNS1_3gpuE7ELNS1_3repE0EEENS1_30default_config_static_selectorELNS0_4arch9wavefront6targetE1EEEvT1_
; %bb.0:
	.section	.rodata,"a",@progbits
	.p2align	6, 0x0
	.amdhsa_kernel _ZN7rocprim17ROCPRIM_400000_NS6detail17trampoline_kernelINS0_14default_configENS1_35adjacent_difference_config_selectorILb0ElEEZNS1_24adjacent_difference_implIS3_Lb0ELb0EPlS7_ZN2at6native12_GLOBAL__N_124unique_dim_cuda_templateIbEESt5tupleIJNS8_6TensorESD_SD_EERKSD_lbbbEUlllE1_EE10hipError_tPvRmT2_T3_mT4_P12ihipStream_tbEUlT_E_NS1_11comp_targetILNS1_3genE3ELNS1_11target_archE908ELNS1_3gpuE7ELNS1_3repE0EEENS1_30default_config_static_selectorELNS0_4arch9wavefront6targetE1EEEvT1_
		.amdhsa_group_segment_fixed_size 0
		.amdhsa_private_segment_fixed_size 0
		.amdhsa_kernarg_size 64
		.amdhsa_user_sgpr_count 2
		.amdhsa_user_sgpr_dispatch_ptr 0
		.amdhsa_user_sgpr_queue_ptr 0
		.amdhsa_user_sgpr_kernarg_segment_ptr 1
		.amdhsa_user_sgpr_dispatch_id 0
		.amdhsa_user_sgpr_kernarg_preload_length 0
		.amdhsa_user_sgpr_kernarg_preload_offset 0
		.amdhsa_user_sgpr_private_segment_size 0
		.amdhsa_uses_dynamic_stack 0
		.amdhsa_enable_private_segment 0
		.amdhsa_system_sgpr_workgroup_id_x 1
		.amdhsa_system_sgpr_workgroup_id_y 0
		.amdhsa_system_sgpr_workgroup_id_z 0
		.amdhsa_system_sgpr_workgroup_info 0
		.amdhsa_system_vgpr_workitem_id 0
		.amdhsa_next_free_vgpr 1
		.amdhsa_next_free_sgpr 0
		.amdhsa_accum_offset 4
		.amdhsa_reserve_vcc 0
		.amdhsa_float_round_mode_32 0
		.amdhsa_float_round_mode_16_64 0
		.amdhsa_float_denorm_mode_32 3
		.amdhsa_float_denorm_mode_16_64 3
		.amdhsa_dx10_clamp 1
		.amdhsa_ieee_mode 1
		.amdhsa_fp16_overflow 0
		.amdhsa_tg_split 0
		.amdhsa_exception_fp_ieee_invalid_op 0
		.amdhsa_exception_fp_denorm_src 0
		.amdhsa_exception_fp_ieee_div_zero 0
		.amdhsa_exception_fp_ieee_overflow 0
		.amdhsa_exception_fp_ieee_underflow 0
		.amdhsa_exception_fp_ieee_inexact 0
		.amdhsa_exception_int_div_zero 0
	.end_amdhsa_kernel
	.section	.text._ZN7rocprim17ROCPRIM_400000_NS6detail17trampoline_kernelINS0_14default_configENS1_35adjacent_difference_config_selectorILb0ElEEZNS1_24adjacent_difference_implIS3_Lb0ELb0EPlS7_ZN2at6native12_GLOBAL__N_124unique_dim_cuda_templateIbEESt5tupleIJNS8_6TensorESD_SD_EERKSD_lbbbEUlllE1_EE10hipError_tPvRmT2_T3_mT4_P12ihipStream_tbEUlT_E_NS1_11comp_targetILNS1_3genE3ELNS1_11target_archE908ELNS1_3gpuE7ELNS1_3repE0EEENS1_30default_config_static_selectorELNS0_4arch9wavefront6targetE1EEEvT1_,"axG",@progbits,_ZN7rocprim17ROCPRIM_400000_NS6detail17trampoline_kernelINS0_14default_configENS1_35adjacent_difference_config_selectorILb0ElEEZNS1_24adjacent_difference_implIS3_Lb0ELb0EPlS7_ZN2at6native12_GLOBAL__N_124unique_dim_cuda_templateIbEESt5tupleIJNS8_6TensorESD_SD_EERKSD_lbbbEUlllE1_EE10hipError_tPvRmT2_T3_mT4_P12ihipStream_tbEUlT_E_NS1_11comp_targetILNS1_3genE3ELNS1_11target_archE908ELNS1_3gpuE7ELNS1_3repE0EEENS1_30default_config_static_selectorELNS0_4arch9wavefront6targetE1EEEvT1_,comdat
.Lfunc_end1038:
	.size	_ZN7rocprim17ROCPRIM_400000_NS6detail17trampoline_kernelINS0_14default_configENS1_35adjacent_difference_config_selectorILb0ElEEZNS1_24adjacent_difference_implIS3_Lb0ELb0EPlS7_ZN2at6native12_GLOBAL__N_124unique_dim_cuda_templateIbEESt5tupleIJNS8_6TensorESD_SD_EERKSD_lbbbEUlllE1_EE10hipError_tPvRmT2_T3_mT4_P12ihipStream_tbEUlT_E_NS1_11comp_targetILNS1_3genE3ELNS1_11target_archE908ELNS1_3gpuE7ELNS1_3repE0EEENS1_30default_config_static_selectorELNS0_4arch9wavefront6targetE1EEEvT1_, .Lfunc_end1038-_ZN7rocprim17ROCPRIM_400000_NS6detail17trampoline_kernelINS0_14default_configENS1_35adjacent_difference_config_selectorILb0ElEEZNS1_24adjacent_difference_implIS3_Lb0ELb0EPlS7_ZN2at6native12_GLOBAL__N_124unique_dim_cuda_templateIbEESt5tupleIJNS8_6TensorESD_SD_EERKSD_lbbbEUlllE1_EE10hipError_tPvRmT2_T3_mT4_P12ihipStream_tbEUlT_E_NS1_11comp_targetILNS1_3genE3ELNS1_11target_archE908ELNS1_3gpuE7ELNS1_3repE0EEENS1_30default_config_static_selectorELNS0_4arch9wavefront6targetE1EEEvT1_
                                        ; -- End function
	.section	.AMDGPU.csdata,"",@progbits
; Kernel info:
; codeLenInByte = 0
; NumSgprs: 6
; NumVgprs: 0
; NumAgprs: 0
; TotalNumVgprs: 0
; ScratchSize: 0
; MemoryBound: 0
; FloatMode: 240
; IeeeMode: 1
; LDSByteSize: 0 bytes/workgroup (compile time only)
; SGPRBlocks: 0
; VGPRBlocks: 0
; NumSGPRsForWavesPerEU: 6
; NumVGPRsForWavesPerEU: 1
; AccumOffset: 4
; Occupancy: 8
; WaveLimiterHint : 0
; COMPUTE_PGM_RSRC2:SCRATCH_EN: 0
; COMPUTE_PGM_RSRC2:USER_SGPR: 2
; COMPUTE_PGM_RSRC2:TRAP_HANDLER: 0
; COMPUTE_PGM_RSRC2:TGID_X_EN: 1
; COMPUTE_PGM_RSRC2:TGID_Y_EN: 0
; COMPUTE_PGM_RSRC2:TGID_Z_EN: 0
; COMPUTE_PGM_RSRC2:TIDIG_COMP_CNT: 0
; COMPUTE_PGM_RSRC3_GFX90A:ACCUM_OFFSET: 0
; COMPUTE_PGM_RSRC3_GFX90A:TG_SPLIT: 0
	.section	.text._ZN7rocprim17ROCPRIM_400000_NS6detail17trampoline_kernelINS0_14default_configENS1_35adjacent_difference_config_selectorILb0ElEEZNS1_24adjacent_difference_implIS3_Lb0ELb0EPlS7_ZN2at6native12_GLOBAL__N_124unique_dim_cuda_templateIbEESt5tupleIJNS8_6TensorESD_SD_EERKSD_lbbbEUlllE1_EE10hipError_tPvRmT2_T3_mT4_P12ihipStream_tbEUlT_E_NS1_11comp_targetILNS1_3genE2ELNS1_11target_archE906ELNS1_3gpuE6ELNS1_3repE0EEENS1_30default_config_static_selectorELNS0_4arch9wavefront6targetE1EEEvT1_,"axG",@progbits,_ZN7rocprim17ROCPRIM_400000_NS6detail17trampoline_kernelINS0_14default_configENS1_35adjacent_difference_config_selectorILb0ElEEZNS1_24adjacent_difference_implIS3_Lb0ELb0EPlS7_ZN2at6native12_GLOBAL__N_124unique_dim_cuda_templateIbEESt5tupleIJNS8_6TensorESD_SD_EERKSD_lbbbEUlllE1_EE10hipError_tPvRmT2_T3_mT4_P12ihipStream_tbEUlT_E_NS1_11comp_targetILNS1_3genE2ELNS1_11target_archE906ELNS1_3gpuE6ELNS1_3repE0EEENS1_30default_config_static_selectorELNS0_4arch9wavefront6targetE1EEEvT1_,comdat
	.globl	_ZN7rocprim17ROCPRIM_400000_NS6detail17trampoline_kernelINS0_14default_configENS1_35adjacent_difference_config_selectorILb0ElEEZNS1_24adjacent_difference_implIS3_Lb0ELb0EPlS7_ZN2at6native12_GLOBAL__N_124unique_dim_cuda_templateIbEESt5tupleIJNS8_6TensorESD_SD_EERKSD_lbbbEUlllE1_EE10hipError_tPvRmT2_T3_mT4_P12ihipStream_tbEUlT_E_NS1_11comp_targetILNS1_3genE2ELNS1_11target_archE906ELNS1_3gpuE6ELNS1_3repE0EEENS1_30default_config_static_selectorELNS0_4arch9wavefront6targetE1EEEvT1_ ; -- Begin function _ZN7rocprim17ROCPRIM_400000_NS6detail17trampoline_kernelINS0_14default_configENS1_35adjacent_difference_config_selectorILb0ElEEZNS1_24adjacent_difference_implIS3_Lb0ELb0EPlS7_ZN2at6native12_GLOBAL__N_124unique_dim_cuda_templateIbEESt5tupleIJNS8_6TensorESD_SD_EERKSD_lbbbEUlllE1_EE10hipError_tPvRmT2_T3_mT4_P12ihipStream_tbEUlT_E_NS1_11comp_targetILNS1_3genE2ELNS1_11target_archE906ELNS1_3gpuE6ELNS1_3repE0EEENS1_30default_config_static_selectorELNS0_4arch9wavefront6targetE1EEEvT1_
	.p2align	8
	.type	_ZN7rocprim17ROCPRIM_400000_NS6detail17trampoline_kernelINS0_14default_configENS1_35adjacent_difference_config_selectorILb0ElEEZNS1_24adjacent_difference_implIS3_Lb0ELb0EPlS7_ZN2at6native12_GLOBAL__N_124unique_dim_cuda_templateIbEESt5tupleIJNS8_6TensorESD_SD_EERKSD_lbbbEUlllE1_EE10hipError_tPvRmT2_T3_mT4_P12ihipStream_tbEUlT_E_NS1_11comp_targetILNS1_3genE2ELNS1_11target_archE906ELNS1_3gpuE6ELNS1_3repE0EEENS1_30default_config_static_selectorELNS0_4arch9wavefront6targetE1EEEvT1_,@function
_ZN7rocprim17ROCPRIM_400000_NS6detail17trampoline_kernelINS0_14default_configENS1_35adjacent_difference_config_selectorILb0ElEEZNS1_24adjacent_difference_implIS3_Lb0ELb0EPlS7_ZN2at6native12_GLOBAL__N_124unique_dim_cuda_templateIbEESt5tupleIJNS8_6TensorESD_SD_EERKSD_lbbbEUlllE1_EE10hipError_tPvRmT2_T3_mT4_P12ihipStream_tbEUlT_E_NS1_11comp_targetILNS1_3genE2ELNS1_11target_archE906ELNS1_3gpuE6ELNS1_3repE0EEENS1_30default_config_static_selectorELNS0_4arch9wavefront6targetE1EEEvT1_: ; @_ZN7rocprim17ROCPRIM_400000_NS6detail17trampoline_kernelINS0_14default_configENS1_35adjacent_difference_config_selectorILb0ElEEZNS1_24adjacent_difference_implIS3_Lb0ELb0EPlS7_ZN2at6native12_GLOBAL__N_124unique_dim_cuda_templateIbEESt5tupleIJNS8_6TensorESD_SD_EERKSD_lbbbEUlllE1_EE10hipError_tPvRmT2_T3_mT4_P12ihipStream_tbEUlT_E_NS1_11comp_targetILNS1_3genE2ELNS1_11target_archE906ELNS1_3gpuE6ELNS1_3repE0EEENS1_30default_config_static_selectorELNS0_4arch9wavefront6targetE1EEEvT1_
; %bb.0:
	.section	.rodata,"a",@progbits
	.p2align	6, 0x0
	.amdhsa_kernel _ZN7rocprim17ROCPRIM_400000_NS6detail17trampoline_kernelINS0_14default_configENS1_35adjacent_difference_config_selectorILb0ElEEZNS1_24adjacent_difference_implIS3_Lb0ELb0EPlS7_ZN2at6native12_GLOBAL__N_124unique_dim_cuda_templateIbEESt5tupleIJNS8_6TensorESD_SD_EERKSD_lbbbEUlllE1_EE10hipError_tPvRmT2_T3_mT4_P12ihipStream_tbEUlT_E_NS1_11comp_targetILNS1_3genE2ELNS1_11target_archE906ELNS1_3gpuE6ELNS1_3repE0EEENS1_30default_config_static_selectorELNS0_4arch9wavefront6targetE1EEEvT1_
		.amdhsa_group_segment_fixed_size 0
		.amdhsa_private_segment_fixed_size 0
		.amdhsa_kernarg_size 64
		.amdhsa_user_sgpr_count 2
		.amdhsa_user_sgpr_dispatch_ptr 0
		.amdhsa_user_sgpr_queue_ptr 0
		.amdhsa_user_sgpr_kernarg_segment_ptr 1
		.amdhsa_user_sgpr_dispatch_id 0
		.amdhsa_user_sgpr_kernarg_preload_length 0
		.amdhsa_user_sgpr_kernarg_preload_offset 0
		.amdhsa_user_sgpr_private_segment_size 0
		.amdhsa_uses_dynamic_stack 0
		.amdhsa_enable_private_segment 0
		.amdhsa_system_sgpr_workgroup_id_x 1
		.amdhsa_system_sgpr_workgroup_id_y 0
		.amdhsa_system_sgpr_workgroup_id_z 0
		.amdhsa_system_sgpr_workgroup_info 0
		.amdhsa_system_vgpr_workitem_id 0
		.amdhsa_next_free_vgpr 1
		.amdhsa_next_free_sgpr 0
		.amdhsa_accum_offset 4
		.amdhsa_reserve_vcc 0
		.amdhsa_float_round_mode_32 0
		.amdhsa_float_round_mode_16_64 0
		.amdhsa_float_denorm_mode_32 3
		.amdhsa_float_denorm_mode_16_64 3
		.amdhsa_dx10_clamp 1
		.amdhsa_ieee_mode 1
		.amdhsa_fp16_overflow 0
		.amdhsa_tg_split 0
		.amdhsa_exception_fp_ieee_invalid_op 0
		.amdhsa_exception_fp_denorm_src 0
		.amdhsa_exception_fp_ieee_div_zero 0
		.amdhsa_exception_fp_ieee_overflow 0
		.amdhsa_exception_fp_ieee_underflow 0
		.amdhsa_exception_fp_ieee_inexact 0
		.amdhsa_exception_int_div_zero 0
	.end_amdhsa_kernel
	.section	.text._ZN7rocprim17ROCPRIM_400000_NS6detail17trampoline_kernelINS0_14default_configENS1_35adjacent_difference_config_selectorILb0ElEEZNS1_24adjacent_difference_implIS3_Lb0ELb0EPlS7_ZN2at6native12_GLOBAL__N_124unique_dim_cuda_templateIbEESt5tupleIJNS8_6TensorESD_SD_EERKSD_lbbbEUlllE1_EE10hipError_tPvRmT2_T3_mT4_P12ihipStream_tbEUlT_E_NS1_11comp_targetILNS1_3genE2ELNS1_11target_archE906ELNS1_3gpuE6ELNS1_3repE0EEENS1_30default_config_static_selectorELNS0_4arch9wavefront6targetE1EEEvT1_,"axG",@progbits,_ZN7rocprim17ROCPRIM_400000_NS6detail17trampoline_kernelINS0_14default_configENS1_35adjacent_difference_config_selectorILb0ElEEZNS1_24adjacent_difference_implIS3_Lb0ELb0EPlS7_ZN2at6native12_GLOBAL__N_124unique_dim_cuda_templateIbEESt5tupleIJNS8_6TensorESD_SD_EERKSD_lbbbEUlllE1_EE10hipError_tPvRmT2_T3_mT4_P12ihipStream_tbEUlT_E_NS1_11comp_targetILNS1_3genE2ELNS1_11target_archE906ELNS1_3gpuE6ELNS1_3repE0EEENS1_30default_config_static_selectorELNS0_4arch9wavefront6targetE1EEEvT1_,comdat
.Lfunc_end1039:
	.size	_ZN7rocprim17ROCPRIM_400000_NS6detail17trampoline_kernelINS0_14default_configENS1_35adjacent_difference_config_selectorILb0ElEEZNS1_24adjacent_difference_implIS3_Lb0ELb0EPlS7_ZN2at6native12_GLOBAL__N_124unique_dim_cuda_templateIbEESt5tupleIJNS8_6TensorESD_SD_EERKSD_lbbbEUlllE1_EE10hipError_tPvRmT2_T3_mT4_P12ihipStream_tbEUlT_E_NS1_11comp_targetILNS1_3genE2ELNS1_11target_archE906ELNS1_3gpuE6ELNS1_3repE0EEENS1_30default_config_static_selectorELNS0_4arch9wavefront6targetE1EEEvT1_, .Lfunc_end1039-_ZN7rocprim17ROCPRIM_400000_NS6detail17trampoline_kernelINS0_14default_configENS1_35adjacent_difference_config_selectorILb0ElEEZNS1_24adjacent_difference_implIS3_Lb0ELb0EPlS7_ZN2at6native12_GLOBAL__N_124unique_dim_cuda_templateIbEESt5tupleIJNS8_6TensorESD_SD_EERKSD_lbbbEUlllE1_EE10hipError_tPvRmT2_T3_mT4_P12ihipStream_tbEUlT_E_NS1_11comp_targetILNS1_3genE2ELNS1_11target_archE906ELNS1_3gpuE6ELNS1_3repE0EEENS1_30default_config_static_selectorELNS0_4arch9wavefront6targetE1EEEvT1_
                                        ; -- End function
	.section	.AMDGPU.csdata,"",@progbits
; Kernel info:
; codeLenInByte = 0
; NumSgprs: 6
; NumVgprs: 0
; NumAgprs: 0
; TotalNumVgprs: 0
; ScratchSize: 0
; MemoryBound: 0
; FloatMode: 240
; IeeeMode: 1
; LDSByteSize: 0 bytes/workgroup (compile time only)
; SGPRBlocks: 0
; VGPRBlocks: 0
; NumSGPRsForWavesPerEU: 6
; NumVGPRsForWavesPerEU: 1
; AccumOffset: 4
; Occupancy: 8
; WaveLimiterHint : 0
; COMPUTE_PGM_RSRC2:SCRATCH_EN: 0
; COMPUTE_PGM_RSRC2:USER_SGPR: 2
; COMPUTE_PGM_RSRC2:TRAP_HANDLER: 0
; COMPUTE_PGM_RSRC2:TGID_X_EN: 1
; COMPUTE_PGM_RSRC2:TGID_Y_EN: 0
; COMPUTE_PGM_RSRC2:TGID_Z_EN: 0
; COMPUTE_PGM_RSRC2:TIDIG_COMP_CNT: 0
; COMPUTE_PGM_RSRC3_GFX90A:ACCUM_OFFSET: 0
; COMPUTE_PGM_RSRC3_GFX90A:TG_SPLIT: 0
	.section	.text._ZN7rocprim17ROCPRIM_400000_NS6detail17trampoline_kernelINS0_14default_configENS1_35adjacent_difference_config_selectorILb0ElEEZNS1_24adjacent_difference_implIS3_Lb0ELb0EPlS7_ZN2at6native12_GLOBAL__N_124unique_dim_cuda_templateIbEESt5tupleIJNS8_6TensorESD_SD_EERKSD_lbbbEUlllE1_EE10hipError_tPvRmT2_T3_mT4_P12ihipStream_tbEUlT_E_NS1_11comp_targetILNS1_3genE9ELNS1_11target_archE1100ELNS1_3gpuE3ELNS1_3repE0EEENS1_30default_config_static_selectorELNS0_4arch9wavefront6targetE1EEEvT1_,"axG",@progbits,_ZN7rocprim17ROCPRIM_400000_NS6detail17trampoline_kernelINS0_14default_configENS1_35adjacent_difference_config_selectorILb0ElEEZNS1_24adjacent_difference_implIS3_Lb0ELb0EPlS7_ZN2at6native12_GLOBAL__N_124unique_dim_cuda_templateIbEESt5tupleIJNS8_6TensorESD_SD_EERKSD_lbbbEUlllE1_EE10hipError_tPvRmT2_T3_mT4_P12ihipStream_tbEUlT_E_NS1_11comp_targetILNS1_3genE9ELNS1_11target_archE1100ELNS1_3gpuE3ELNS1_3repE0EEENS1_30default_config_static_selectorELNS0_4arch9wavefront6targetE1EEEvT1_,comdat
	.globl	_ZN7rocprim17ROCPRIM_400000_NS6detail17trampoline_kernelINS0_14default_configENS1_35adjacent_difference_config_selectorILb0ElEEZNS1_24adjacent_difference_implIS3_Lb0ELb0EPlS7_ZN2at6native12_GLOBAL__N_124unique_dim_cuda_templateIbEESt5tupleIJNS8_6TensorESD_SD_EERKSD_lbbbEUlllE1_EE10hipError_tPvRmT2_T3_mT4_P12ihipStream_tbEUlT_E_NS1_11comp_targetILNS1_3genE9ELNS1_11target_archE1100ELNS1_3gpuE3ELNS1_3repE0EEENS1_30default_config_static_selectorELNS0_4arch9wavefront6targetE1EEEvT1_ ; -- Begin function _ZN7rocprim17ROCPRIM_400000_NS6detail17trampoline_kernelINS0_14default_configENS1_35adjacent_difference_config_selectorILb0ElEEZNS1_24adjacent_difference_implIS3_Lb0ELb0EPlS7_ZN2at6native12_GLOBAL__N_124unique_dim_cuda_templateIbEESt5tupleIJNS8_6TensorESD_SD_EERKSD_lbbbEUlllE1_EE10hipError_tPvRmT2_T3_mT4_P12ihipStream_tbEUlT_E_NS1_11comp_targetILNS1_3genE9ELNS1_11target_archE1100ELNS1_3gpuE3ELNS1_3repE0EEENS1_30default_config_static_selectorELNS0_4arch9wavefront6targetE1EEEvT1_
	.p2align	8
	.type	_ZN7rocprim17ROCPRIM_400000_NS6detail17trampoline_kernelINS0_14default_configENS1_35adjacent_difference_config_selectorILb0ElEEZNS1_24adjacent_difference_implIS3_Lb0ELb0EPlS7_ZN2at6native12_GLOBAL__N_124unique_dim_cuda_templateIbEESt5tupleIJNS8_6TensorESD_SD_EERKSD_lbbbEUlllE1_EE10hipError_tPvRmT2_T3_mT4_P12ihipStream_tbEUlT_E_NS1_11comp_targetILNS1_3genE9ELNS1_11target_archE1100ELNS1_3gpuE3ELNS1_3repE0EEENS1_30default_config_static_selectorELNS0_4arch9wavefront6targetE1EEEvT1_,@function
_ZN7rocprim17ROCPRIM_400000_NS6detail17trampoline_kernelINS0_14default_configENS1_35adjacent_difference_config_selectorILb0ElEEZNS1_24adjacent_difference_implIS3_Lb0ELb0EPlS7_ZN2at6native12_GLOBAL__N_124unique_dim_cuda_templateIbEESt5tupleIJNS8_6TensorESD_SD_EERKSD_lbbbEUlllE1_EE10hipError_tPvRmT2_T3_mT4_P12ihipStream_tbEUlT_E_NS1_11comp_targetILNS1_3genE9ELNS1_11target_archE1100ELNS1_3gpuE3ELNS1_3repE0EEENS1_30default_config_static_selectorELNS0_4arch9wavefront6targetE1EEEvT1_: ; @_ZN7rocprim17ROCPRIM_400000_NS6detail17trampoline_kernelINS0_14default_configENS1_35adjacent_difference_config_selectorILb0ElEEZNS1_24adjacent_difference_implIS3_Lb0ELb0EPlS7_ZN2at6native12_GLOBAL__N_124unique_dim_cuda_templateIbEESt5tupleIJNS8_6TensorESD_SD_EERKSD_lbbbEUlllE1_EE10hipError_tPvRmT2_T3_mT4_P12ihipStream_tbEUlT_E_NS1_11comp_targetILNS1_3genE9ELNS1_11target_archE1100ELNS1_3gpuE3ELNS1_3repE0EEENS1_30default_config_static_selectorELNS0_4arch9wavefront6targetE1EEEvT1_
; %bb.0:
	.section	.rodata,"a",@progbits
	.p2align	6, 0x0
	.amdhsa_kernel _ZN7rocprim17ROCPRIM_400000_NS6detail17trampoline_kernelINS0_14default_configENS1_35adjacent_difference_config_selectorILb0ElEEZNS1_24adjacent_difference_implIS3_Lb0ELb0EPlS7_ZN2at6native12_GLOBAL__N_124unique_dim_cuda_templateIbEESt5tupleIJNS8_6TensorESD_SD_EERKSD_lbbbEUlllE1_EE10hipError_tPvRmT2_T3_mT4_P12ihipStream_tbEUlT_E_NS1_11comp_targetILNS1_3genE9ELNS1_11target_archE1100ELNS1_3gpuE3ELNS1_3repE0EEENS1_30default_config_static_selectorELNS0_4arch9wavefront6targetE1EEEvT1_
		.amdhsa_group_segment_fixed_size 0
		.amdhsa_private_segment_fixed_size 0
		.amdhsa_kernarg_size 64
		.amdhsa_user_sgpr_count 2
		.amdhsa_user_sgpr_dispatch_ptr 0
		.amdhsa_user_sgpr_queue_ptr 0
		.amdhsa_user_sgpr_kernarg_segment_ptr 1
		.amdhsa_user_sgpr_dispatch_id 0
		.amdhsa_user_sgpr_kernarg_preload_length 0
		.amdhsa_user_sgpr_kernarg_preload_offset 0
		.amdhsa_user_sgpr_private_segment_size 0
		.amdhsa_uses_dynamic_stack 0
		.amdhsa_enable_private_segment 0
		.amdhsa_system_sgpr_workgroup_id_x 1
		.amdhsa_system_sgpr_workgroup_id_y 0
		.amdhsa_system_sgpr_workgroup_id_z 0
		.amdhsa_system_sgpr_workgroup_info 0
		.amdhsa_system_vgpr_workitem_id 0
		.amdhsa_next_free_vgpr 1
		.amdhsa_next_free_sgpr 0
		.amdhsa_accum_offset 4
		.amdhsa_reserve_vcc 0
		.amdhsa_float_round_mode_32 0
		.amdhsa_float_round_mode_16_64 0
		.amdhsa_float_denorm_mode_32 3
		.amdhsa_float_denorm_mode_16_64 3
		.amdhsa_dx10_clamp 1
		.amdhsa_ieee_mode 1
		.amdhsa_fp16_overflow 0
		.amdhsa_tg_split 0
		.amdhsa_exception_fp_ieee_invalid_op 0
		.amdhsa_exception_fp_denorm_src 0
		.amdhsa_exception_fp_ieee_div_zero 0
		.amdhsa_exception_fp_ieee_overflow 0
		.amdhsa_exception_fp_ieee_underflow 0
		.amdhsa_exception_fp_ieee_inexact 0
		.amdhsa_exception_int_div_zero 0
	.end_amdhsa_kernel
	.section	.text._ZN7rocprim17ROCPRIM_400000_NS6detail17trampoline_kernelINS0_14default_configENS1_35adjacent_difference_config_selectorILb0ElEEZNS1_24adjacent_difference_implIS3_Lb0ELb0EPlS7_ZN2at6native12_GLOBAL__N_124unique_dim_cuda_templateIbEESt5tupleIJNS8_6TensorESD_SD_EERKSD_lbbbEUlllE1_EE10hipError_tPvRmT2_T3_mT4_P12ihipStream_tbEUlT_E_NS1_11comp_targetILNS1_3genE9ELNS1_11target_archE1100ELNS1_3gpuE3ELNS1_3repE0EEENS1_30default_config_static_selectorELNS0_4arch9wavefront6targetE1EEEvT1_,"axG",@progbits,_ZN7rocprim17ROCPRIM_400000_NS6detail17trampoline_kernelINS0_14default_configENS1_35adjacent_difference_config_selectorILb0ElEEZNS1_24adjacent_difference_implIS3_Lb0ELb0EPlS7_ZN2at6native12_GLOBAL__N_124unique_dim_cuda_templateIbEESt5tupleIJNS8_6TensorESD_SD_EERKSD_lbbbEUlllE1_EE10hipError_tPvRmT2_T3_mT4_P12ihipStream_tbEUlT_E_NS1_11comp_targetILNS1_3genE9ELNS1_11target_archE1100ELNS1_3gpuE3ELNS1_3repE0EEENS1_30default_config_static_selectorELNS0_4arch9wavefront6targetE1EEEvT1_,comdat
.Lfunc_end1040:
	.size	_ZN7rocprim17ROCPRIM_400000_NS6detail17trampoline_kernelINS0_14default_configENS1_35adjacent_difference_config_selectorILb0ElEEZNS1_24adjacent_difference_implIS3_Lb0ELb0EPlS7_ZN2at6native12_GLOBAL__N_124unique_dim_cuda_templateIbEESt5tupleIJNS8_6TensorESD_SD_EERKSD_lbbbEUlllE1_EE10hipError_tPvRmT2_T3_mT4_P12ihipStream_tbEUlT_E_NS1_11comp_targetILNS1_3genE9ELNS1_11target_archE1100ELNS1_3gpuE3ELNS1_3repE0EEENS1_30default_config_static_selectorELNS0_4arch9wavefront6targetE1EEEvT1_, .Lfunc_end1040-_ZN7rocprim17ROCPRIM_400000_NS6detail17trampoline_kernelINS0_14default_configENS1_35adjacent_difference_config_selectorILb0ElEEZNS1_24adjacent_difference_implIS3_Lb0ELb0EPlS7_ZN2at6native12_GLOBAL__N_124unique_dim_cuda_templateIbEESt5tupleIJNS8_6TensorESD_SD_EERKSD_lbbbEUlllE1_EE10hipError_tPvRmT2_T3_mT4_P12ihipStream_tbEUlT_E_NS1_11comp_targetILNS1_3genE9ELNS1_11target_archE1100ELNS1_3gpuE3ELNS1_3repE0EEENS1_30default_config_static_selectorELNS0_4arch9wavefront6targetE1EEEvT1_
                                        ; -- End function
	.section	.AMDGPU.csdata,"",@progbits
; Kernel info:
; codeLenInByte = 0
; NumSgprs: 6
; NumVgprs: 0
; NumAgprs: 0
; TotalNumVgprs: 0
; ScratchSize: 0
; MemoryBound: 0
; FloatMode: 240
; IeeeMode: 1
; LDSByteSize: 0 bytes/workgroup (compile time only)
; SGPRBlocks: 0
; VGPRBlocks: 0
; NumSGPRsForWavesPerEU: 6
; NumVGPRsForWavesPerEU: 1
; AccumOffset: 4
; Occupancy: 8
; WaveLimiterHint : 0
; COMPUTE_PGM_RSRC2:SCRATCH_EN: 0
; COMPUTE_PGM_RSRC2:USER_SGPR: 2
; COMPUTE_PGM_RSRC2:TRAP_HANDLER: 0
; COMPUTE_PGM_RSRC2:TGID_X_EN: 1
; COMPUTE_PGM_RSRC2:TGID_Y_EN: 0
; COMPUTE_PGM_RSRC2:TGID_Z_EN: 0
; COMPUTE_PGM_RSRC2:TIDIG_COMP_CNT: 0
; COMPUTE_PGM_RSRC3_GFX90A:ACCUM_OFFSET: 0
; COMPUTE_PGM_RSRC3_GFX90A:TG_SPLIT: 0
	.section	.text._ZN7rocprim17ROCPRIM_400000_NS6detail17trampoline_kernelINS0_14default_configENS1_35adjacent_difference_config_selectorILb0ElEEZNS1_24adjacent_difference_implIS3_Lb0ELb0EPlS7_ZN2at6native12_GLOBAL__N_124unique_dim_cuda_templateIbEESt5tupleIJNS8_6TensorESD_SD_EERKSD_lbbbEUlllE1_EE10hipError_tPvRmT2_T3_mT4_P12ihipStream_tbEUlT_E_NS1_11comp_targetILNS1_3genE8ELNS1_11target_archE1030ELNS1_3gpuE2ELNS1_3repE0EEENS1_30default_config_static_selectorELNS0_4arch9wavefront6targetE1EEEvT1_,"axG",@progbits,_ZN7rocprim17ROCPRIM_400000_NS6detail17trampoline_kernelINS0_14default_configENS1_35adjacent_difference_config_selectorILb0ElEEZNS1_24adjacent_difference_implIS3_Lb0ELb0EPlS7_ZN2at6native12_GLOBAL__N_124unique_dim_cuda_templateIbEESt5tupleIJNS8_6TensorESD_SD_EERKSD_lbbbEUlllE1_EE10hipError_tPvRmT2_T3_mT4_P12ihipStream_tbEUlT_E_NS1_11comp_targetILNS1_3genE8ELNS1_11target_archE1030ELNS1_3gpuE2ELNS1_3repE0EEENS1_30default_config_static_selectorELNS0_4arch9wavefront6targetE1EEEvT1_,comdat
	.globl	_ZN7rocprim17ROCPRIM_400000_NS6detail17trampoline_kernelINS0_14default_configENS1_35adjacent_difference_config_selectorILb0ElEEZNS1_24adjacent_difference_implIS3_Lb0ELb0EPlS7_ZN2at6native12_GLOBAL__N_124unique_dim_cuda_templateIbEESt5tupleIJNS8_6TensorESD_SD_EERKSD_lbbbEUlllE1_EE10hipError_tPvRmT2_T3_mT4_P12ihipStream_tbEUlT_E_NS1_11comp_targetILNS1_3genE8ELNS1_11target_archE1030ELNS1_3gpuE2ELNS1_3repE0EEENS1_30default_config_static_selectorELNS0_4arch9wavefront6targetE1EEEvT1_ ; -- Begin function _ZN7rocprim17ROCPRIM_400000_NS6detail17trampoline_kernelINS0_14default_configENS1_35adjacent_difference_config_selectorILb0ElEEZNS1_24adjacent_difference_implIS3_Lb0ELb0EPlS7_ZN2at6native12_GLOBAL__N_124unique_dim_cuda_templateIbEESt5tupleIJNS8_6TensorESD_SD_EERKSD_lbbbEUlllE1_EE10hipError_tPvRmT2_T3_mT4_P12ihipStream_tbEUlT_E_NS1_11comp_targetILNS1_3genE8ELNS1_11target_archE1030ELNS1_3gpuE2ELNS1_3repE0EEENS1_30default_config_static_selectorELNS0_4arch9wavefront6targetE1EEEvT1_
	.p2align	8
	.type	_ZN7rocprim17ROCPRIM_400000_NS6detail17trampoline_kernelINS0_14default_configENS1_35adjacent_difference_config_selectorILb0ElEEZNS1_24adjacent_difference_implIS3_Lb0ELb0EPlS7_ZN2at6native12_GLOBAL__N_124unique_dim_cuda_templateIbEESt5tupleIJNS8_6TensorESD_SD_EERKSD_lbbbEUlllE1_EE10hipError_tPvRmT2_T3_mT4_P12ihipStream_tbEUlT_E_NS1_11comp_targetILNS1_3genE8ELNS1_11target_archE1030ELNS1_3gpuE2ELNS1_3repE0EEENS1_30default_config_static_selectorELNS0_4arch9wavefront6targetE1EEEvT1_,@function
_ZN7rocprim17ROCPRIM_400000_NS6detail17trampoline_kernelINS0_14default_configENS1_35adjacent_difference_config_selectorILb0ElEEZNS1_24adjacent_difference_implIS3_Lb0ELb0EPlS7_ZN2at6native12_GLOBAL__N_124unique_dim_cuda_templateIbEESt5tupleIJNS8_6TensorESD_SD_EERKSD_lbbbEUlllE1_EE10hipError_tPvRmT2_T3_mT4_P12ihipStream_tbEUlT_E_NS1_11comp_targetILNS1_3genE8ELNS1_11target_archE1030ELNS1_3gpuE2ELNS1_3repE0EEENS1_30default_config_static_selectorELNS0_4arch9wavefront6targetE1EEEvT1_: ; @_ZN7rocprim17ROCPRIM_400000_NS6detail17trampoline_kernelINS0_14default_configENS1_35adjacent_difference_config_selectorILb0ElEEZNS1_24adjacent_difference_implIS3_Lb0ELb0EPlS7_ZN2at6native12_GLOBAL__N_124unique_dim_cuda_templateIbEESt5tupleIJNS8_6TensorESD_SD_EERKSD_lbbbEUlllE1_EE10hipError_tPvRmT2_T3_mT4_P12ihipStream_tbEUlT_E_NS1_11comp_targetILNS1_3genE8ELNS1_11target_archE1030ELNS1_3gpuE2ELNS1_3repE0EEENS1_30default_config_static_selectorELNS0_4arch9wavefront6targetE1EEEvT1_
; %bb.0:
	.section	.rodata,"a",@progbits
	.p2align	6, 0x0
	.amdhsa_kernel _ZN7rocprim17ROCPRIM_400000_NS6detail17trampoline_kernelINS0_14default_configENS1_35adjacent_difference_config_selectorILb0ElEEZNS1_24adjacent_difference_implIS3_Lb0ELb0EPlS7_ZN2at6native12_GLOBAL__N_124unique_dim_cuda_templateIbEESt5tupleIJNS8_6TensorESD_SD_EERKSD_lbbbEUlllE1_EE10hipError_tPvRmT2_T3_mT4_P12ihipStream_tbEUlT_E_NS1_11comp_targetILNS1_3genE8ELNS1_11target_archE1030ELNS1_3gpuE2ELNS1_3repE0EEENS1_30default_config_static_selectorELNS0_4arch9wavefront6targetE1EEEvT1_
		.amdhsa_group_segment_fixed_size 0
		.amdhsa_private_segment_fixed_size 0
		.amdhsa_kernarg_size 64
		.amdhsa_user_sgpr_count 2
		.amdhsa_user_sgpr_dispatch_ptr 0
		.amdhsa_user_sgpr_queue_ptr 0
		.amdhsa_user_sgpr_kernarg_segment_ptr 1
		.amdhsa_user_sgpr_dispatch_id 0
		.amdhsa_user_sgpr_kernarg_preload_length 0
		.amdhsa_user_sgpr_kernarg_preload_offset 0
		.amdhsa_user_sgpr_private_segment_size 0
		.amdhsa_uses_dynamic_stack 0
		.amdhsa_enable_private_segment 0
		.amdhsa_system_sgpr_workgroup_id_x 1
		.amdhsa_system_sgpr_workgroup_id_y 0
		.amdhsa_system_sgpr_workgroup_id_z 0
		.amdhsa_system_sgpr_workgroup_info 0
		.amdhsa_system_vgpr_workitem_id 0
		.amdhsa_next_free_vgpr 1
		.amdhsa_next_free_sgpr 0
		.amdhsa_accum_offset 4
		.amdhsa_reserve_vcc 0
		.amdhsa_float_round_mode_32 0
		.amdhsa_float_round_mode_16_64 0
		.amdhsa_float_denorm_mode_32 3
		.amdhsa_float_denorm_mode_16_64 3
		.amdhsa_dx10_clamp 1
		.amdhsa_ieee_mode 1
		.amdhsa_fp16_overflow 0
		.amdhsa_tg_split 0
		.amdhsa_exception_fp_ieee_invalid_op 0
		.amdhsa_exception_fp_denorm_src 0
		.amdhsa_exception_fp_ieee_div_zero 0
		.amdhsa_exception_fp_ieee_overflow 0
		.amdhsa_exception_fp_ieee_underflow 0
		.amdhsa_exception_fp_ieee_inexact 0
		.amdhsa_exception_int_div_zero 0
	.end_amdhsa_kernel
	.section	.text._ZN7rocprim17ROCPRIM_400000_NS6detail17trampoline_kernelINS0_14default_configENS1_35adjacent_difference_config_selectorILb0ElEEZNS1_24adjacent_difference_implIS3_Lb0ELb0EPlS7_ZN2at6native12_GLOBAL__N_124unique_dim_cuda_templateIbEESt5tupleIJNS8_6TensorESD_SD_EERKSD_lbbbEUlllE1_EE10hipError_tPvRmT2_T3_mT4_P12ihipStream_tbEUlT_E_NS1_11comp_targetILNS1_3genE8ELNS1_11target_archE1030ELNS1_3gpuE2ELNS1_3repE0EEENS1_30default_config_static_selectorELNS0_4arch9wavefront6targetE1EEEvT1_,"axG",@progbits,_ZN7rocprim17ROCPRIM_400000_NS6detail17trampoline_kernelINS0_14default_configENS1_35adjacent_difference_config_selectorILb0ElEEZNS1_24adjacent_difference_implIS3_Lb0ELb0EPlS7_ZN2at6native12_GLOBAL__N_124unique_dim_cuda_templateIbEESt5tupleIJNS8_6TensorESD_SD_EERKSD_lbbbEUlllE1_EE10hipError_tPvRmT2_T3_mT4_P12ihipStream_tbEUlT_E_NS1_11comp_targetILNS1_3genE8ELNS1_11target_archE1030ELNS1_3gpuE2ELNS1_3repE0EEENS1_30default_config_static_selectorELNS0_4arch9wavefront6targetE1EEEvT1_,comdat
.Lfunc_end1041:
	.size	_ZN7rocprim17ROCPRIM_400000_NS6detail17trampoline_kernelINS0_14default_configENS1_35adjacent_difference_config_selectorILb0ElEEZNS1_24adjacent_difference_implIS3_Lb0ELb0EPlS7_ZN2at6native12_GLOBAL__N_124unique_dim_cuda_templateIbEESt5tupleIJNS8_6TensorESD_SD_EERKSD_lbbbEUlllE1_EE10hipError_tPvRmT2_T3_mT4_P12ihipStream_tbEUlT_E_NS1_11comp_targetILNS1_3genE8ELNS1_11target_archE1030ELNS1_3gpuE2ELNS1_3repE0EEENS1_30default_config_static_selectorELNS0_4arch9wavefront6targetE1EEEvT1_, .Lfunc_end1041-_ZN7rocprim17ROCPRIM_400000_NS6detail17trampoline_kernelINS0_14default_configENS1_35adjacent_difference_config_selectorILb0ElEEZNS1_24adjacent_difference_implIS3_Lb0ELb0EPlS7_ZN2at6native12_GLOBAL__N_124unique_dim_cuda_templateIbEESt5tupleIJNS8_6TensorESD_SD_EERKSD_lbbbEUlllE1_EE10hipError_tPvRmT2_T3_mT4_P12ihipStream_tbEUlT_E_NS1_11comp_targetILNS1_3genE8ELNS1_11target_archE1030ELNS1_3gpuE2ELNS1_3repE0EEENS1_30default_config_static_selectorELNS0_4arch9wavefront6targetE1EEEvT1_
                                        ; -- End function
	.section	.AMDGPU.csdata,"",@progbits
; Kernel info:
; codeLenInByte = 0
; NumSgprs: 6
; NumVgprs: 0
; NumAgprs: 0
; TotalNumVgprs: 0
; ScratchSize: 0
; MemoryBound: 0
; FloatMode: 240
; IeeeMode: 1
; LDSByteSize: 0 bytes/workgroup (compile time only)
; SGPRBlocks: 0
; VGPRBlocks: 0
; NumSGPRsForWavesPerEU: 6
; NumVGPRsForWavesPerEU: 1
; AccumOffset: 4
; Occupancy: 8
; WaveLimiterHint : 0
; COMPUTE_PGM_RSRC2:SCRATCH_EN: 0
; COMPUTE_PGM_RSRC2:USER_SGPR: 2
; COMPUTE_PGM_RSRC2:TRAP_HANDLER: 0
; COMPUTE_PGM_RSRC2:TGID_X_EN: 1
; COMPUTE_PGM_RSRC2:TGID_Y_EN: 0
; COMPUTE_PGM_RSRC2:TGID_Z_EN: 0
; COMPUTE_PGM_RSRC2:TIDIG_COMP_CNT: 0
; COMPUTE_PGM_RSRC3_GFX90A:ACCUM_OFFSET: 0
; COMPUTE_PGM_RSRC3_GFX90A:TG_SPLIT: 0
	.section	.text._ZN7rocprim17ROCPRIM_400000_NS6detail17trampoline_kernelINS0_14default_configENS1_25transform_config_selectorIlLb0EEEZNS1_14transform_implILb0ES3_S5_NS0_18transform_iteratorINS0_17counting_iteratorImlEEZNS1_24adjacent_difference_implIS3_Lb1ELb0EPlSB_ZN2at6native12_GLOBAL__N_124unique_dim_cuda_templateIbEESt5tupleIJNSC_6TensorESH_SH_EERKSH_lbbbEUlllE1_EE10hipError_tPvRmT2_T3_mT4_P12ihipStream_tbEUlmE_lEESB_NS0_8identityIvEEEESM_SP_SQ_mSR_ST_bEUlT_E_NS1_11comp_targetILNS1_3genE0ELNS1_11target_archE4294967295ELNS1_3gpuE0ELNS1_3repE0EEENS1_30default_config_static_selectorELNS0_4arch9wavefront6targetE1EEEvT1_,"axG",@progbits,_ZN7rocprim17ROCPRIM_400000_NS6detail17trampoline_kernelINS0_14default_configENS1_25transform_config_selectorIlLb0EEEZNS1_14transform_implILb0ES3_S5_NS0_18transform_iteratorINS0_17counting_iteratorImlEEZNS1_24adjacent_difference_implIS3_Lb1ELb0EPlSB_ZN2at6native12_GLOBAL__N_124unique_dim_cuda_templateIbEESt5tupleIJNSC_6TensorESH_SH_EERKSH_lbbbEUlllE1_EE10hipError_tPvRmT2_T3_mT4_P12ihipStream_tbEUlmE_lEESB_NS0_8identityIvEEEESM_SP_SQ_mSR_ST_bEUlT_E_NS1_11comp_targetILNS1_3genE0ELNS1_11target_archE4294967295ELNS1_3gpuE0ELNS1_3repE0EEENS1_30default_config_static_selectorELNS0_4arch9wavefront6targetE1EEEvT1_,comdat
	.globl	_ZN7rocprim17ROCPRIM_400000_NS6detail17trampoline_kernelINS0_14default_configENS1_25transform_config_selectorIlLb0EEEZNS1_14transform_implILb0ES3_S5_NS0_18transform_iteratorINS0_17counting_iteratorImlEEZNS1_24adjacent_difference_implIS3_Lb1ELb0EPlSB_ZN2at6native12_GLOBAL__N_124unique_dim_cuda_templateIbEESt5tupleIJNSC_6TensorESH_SH_EERKSH_lbbbEUlllE1_EE10hipError_tPvRmT2_T3_mT4_P12ihipStream_tbEUlmE_lEESB_NS0_8identityIvEEEESM_SP_SQ_mSR_ST_bEUlT_E_NS1_11comp_targetILNS1_3genE0ELNS1_11target_archE4294967295ELNS1_3gpuE0ELNS1_3repE0EEENS1_30default_config_static_selectorELNS0_4arch9wavefront6targetE1EEEvT1_ ; -- Begin function _ZN7rocprim17ROCPRIM_400000_NS6detail17trampoline_kernelINS0_14default_configENS1_25transform_config_selectorIlLb0EEEZNS1_14transform_implILb0ES3_S5_NS0_18transform_iteratorINS0_17counting_iteratorImlEEZNS1_24adjacent_difference_implIS3_Lb1ELb0EPlSB_ZN2at6native12_GLOBAL__N_124unique_dim_cuda_templateIbEESt5tupleIJNSC_6TensorESH_SH_EERKSH_lbbbEUlllE1_EE10hipError_tPvRmT2_T3_mT4_P12ihipStream_tbEUlmE_lEESB_NS0_8identityIvEEEESM_SP_SQ_mSR_ST_bEUlT_E_NS1_11comp_targetILNS1_3genE0ELNS1_11target_archE4294967295ELNS1_3gpuE0ELNS1_3repE0EEENS1_30default_config_static_selectorELNS0_4arch9wavefront6targetE1EEEvT1_
	.p2align	8
	.type	_ZN7rocprim17ROCPRIM_400000_NS6detail17trampoline_kernelINS0_14default_configENS1_25transform_config_selectorIlLb0EEEZNS1_14transform_implILb0ES3_S5_NS0_18transform_iteratorINS0_17counting_iteratorImlEEZNS1_24adjacent_difference_implIS3_Lb1ELb0EPlSB_ZN2at6native12_GLOBAL__N_124unique_dim_cuda_templateIbEESt5tupleIJNSC_6TensorESH_SH_EERKSH_lbbbEUlllE1_EE10hipError_tPvRmT2_T3_mT4_P12ihipStream_tbEUlmE_lEESB_NS0_8identityIvEEEESM_SP_SQ_mSR_ST_bEUlT_E_NS1_11comp_targetILNS1_3genE0ELNS1_11target_archE4294967295ELNS1_3gpuE0ELNS1_3repE0EEENS1_30default_config_static_selectorELNS0_4arch9wavefront6targetE1EEEvT1_,@function
_ZN7rocprim17ROCPRIM_400000_NS6detail17trampoline_kernelINS0_14default_configENS1_25transform_config_selectorIlLb0EEEZNS1_14transform_implILb0ES3_S5_NS0_18transform_iteratorINS0_17counting_iteratorImlEEZNS1_24adjacent_difference_implIS3_Lb1ELb0EPlSB_ZN2at6native12_GLOBAL__N_124unique_dim_cuda_templateIbEESt5tupleIJNSC_6TensorESH_SH_EERKSH_lbbbEUlllE1_EE10hipError_tPvRmT2_T3_mT4_P12ihipStream_tbEUlmE_lEESB_NS0_8identityIvEEEESM_SP_SQ_mSR_ST_bEUlT_E_NS1_11comp_targetILNS1_3genE0ELNS1_11target_archE4294967295ELNS1_3gpuE0ELNS1_3repE0EEENS1_30default_config_static_selectorELNS0_4arch9wavefront6targetE1EEEvT1_: ; @_ZN7rocprim17ROCPRIM_400000_NS6detail17trampoline_kernelINS0_14default_configENS1_25transform_config_selectorIlLb0EEEZNS1_14transform_implILb0ES3_S5_NS0_18transform_iteratorINS0_17counting_iteratorImlEEZNS1_24adjacent_difference_implIS3_Lb1ELb0EPlSB_ZN2at6native12_GLOBAL__N_124unique_dim_cuda_templateIbEESt5tupleIJNSC_6TensorESH_SH_EERKSH_lbbbEUlllE1_EE10hipError_tPvRmT2_T3_mT4_P12ihipStream_tbEUlmE_lEESB_NS0_8identityIvEEEESM_SP_SQ_mSR_ST_bEUlT_E_NS1_11comp_targetILNS1_3genE0ELNS1_11target_archE4294967295ELNS1_3gpuE0ELNS1_3repE0EEENS1_30default_config_static_selectorELNS0_4arch9wavefront6targetE1EEEvT1_
; %bb.0:
	.section	.rodata,"a",@progbits
	.p2align	6, 0x0
	.amdhsa_kernel _ZN7rocprim17ROCPRIM_400000_NS6detail17trampoline_kernelINS0_14default_configENS1_25transform_config_selectorIlLb0EEEZNS1_14transform_implILb0ES3_S5_NS0_18transform_iteratorINS0_17counting_iteratorImlEEZNS1_24adjacent_difference_implIS3_Lb1ELb0EPlSB_ZN2at6native12_GLOBAL__N_124unique_dim_cuda_templateIbEESt5tupleIJNSC_6TensorESH_SH_EERKSH_lbbbEUlllE1_EE10hipError_tPvRmT2_T3_mT4_P12ihipStream_tbEUlmE_lEESB_NS0_8identityIvEEEESM_SP_SQ_mSR_ST_bEUlT_E_NS1_11comp_targetILNS1_3genE0ELNS1_11target_archE4294967295ELNS1_3gpuE0ELNS1_3repE0EEENS1_30default_config_static_selectorELNS0_4arch9wavefront6targetE1EEEvT1_
		.amdhsa_group_segment_fixed_size 0
		.amdhsa_private_segment_fixed_size 0
		.amdhsa_kernarg_size 56
		.amdhsa_user_sgpr_count 2
		.amdhsa_user_sgpr_dispatch_ptr 0
		.amdhsa_user_sgpr_queue_ptr 0
		.amdhsa_user_sgpr_kernarg_segment_ptr 1
		.amdhsa_user_sgpr_dispatch_id 0
		.amdhsa_user_sgpr_kernarg_preload_length 0
		.amdhsa_user_sgpr_kernarg_preload_offset 0
		.amdhsa_user_sgpr_private_segment_size 0
		.amdhsa_uses_dynamic_stack 0
		.amdhsa_enable_private_segment 0
		.amdhsa_system_sgpr_workgroup_id_x 1
		.amdhsa_system_sgpr_workgroup_id_y 0
		.amdhsa_system_sgpr_workgroup_id_z 0
		.amdhsa_system_sgpr_workgroup_info 0
		.amdhsa_system_vgpr_workitem_id 0
		.amdhsa_next_free_vgpr 1
		.amdhsa_next_free_sgpr 0
		.amdhsa_accum_offset 4
		.amdhsa_reserve_vcc 0
		.amdhsa_float_round_mode_32 0
		.amdhsa_float_round_mode_16_64 0
		.amdhsa_float_denorm_mode_32 3
		.amdhsa_float_denorm_mode_16_64 3
		.amdhsa_dx10_clamp 1
		.amdhsa_ieee_mode 1
		.amdhsa_fp16_overflow 0
		.amdhsa_tg_split 0
		.amdhsa_exception_fp_ieee_invalid_op 0
		.amdhsa_exception_fp_denorm_src 0
		.amdhsa_exception_fp_ieee_div_zero 0
		.amdhsa_exception_fp_ieee_overflow 0
		.amdhsa_exception_fp_ieee_underflow 0
		.amdhsa_exception_fp_ieee_inexact 0
		.amdhsa_exception_int_div_zero 0
	.end_amdhsa_kernel
	.section	.text._ZN7rocprim17ROCPRIM_400000_NS6detail17trampoline_kernelINS0_14default_configENS1_25transform_config_selectorIlLb0EEEZNS1_14transform_implILb0ES3_S5_NS0_18transform_iteratorINS0_17counting_iteratorImlEEZNS1_24adjacent_difference_implIS3_Lb1ELb0EPlSB_ZN2at6native12_GLOBAL__N_124unique_dim_cuda_templateIbEESt5tupleIJNSC_6TensorESH_SH_EERKSH_lbbbEUlllE1_EE10hipError_tPvRmT2_T3_mT4_P12ihipStream_tbEUlmE_lEESB_NS0_8identityIvEEEESM_SP_SQ_mSR_ST_bEUlT_E_NS1_11comp_targetILNS1_3genE0ELNS1_11target_archE4294967295ELNS1_3gpuE0ELNS1_3repE0EEENS1_30default_config_static_selectorELNS0_4arch9wavefront6targetE1EEEvT1_,"axG",@progbits,_ZN7rocprim17ROCPRIM_400000_NS6detail17trampoline_kernelINS0_14default_configENS1_25transform_config_selectorIlLb0EEEZNS1_14transform_implILb0ES3_S5_NS0_18transform_iteratorINS0_17counting_iteratorImlEEZNS1_24adjacent_difference_implIS3_Lb1ELb0EPlSB_ZN2at6native12_GLOBAL__N_124unique_dim_cuda_templateIbEESt5tupleIJNSC_6TensorESH_SH_EERKSH_lbbbEUlllE1_EE10hipError_tPvRmT2_T3_mT4_P12ihipStream_tbEUlmE_lEESB_NS0_8identityIvEEEESM_SP_SQ_mSR_ST_bEUlT_E_NS1_11comp_targetILNS1_3genE0ELNS1_11target_archE4294967295ELNS1_3gpuE0ELNS1_3repE0EEENS1_30default_config_static_selectorELNS0_4arch9wavefront6targetE1EEEvT1_,comdat
.Lfunc_end1042:
	.size	_ZN7rocprim17ROCPRIM_400000_NS6detail17trampoline_kernelINS0_14default_configENS1_25transform_config_selectorIlLb0EEEZNS1_14transform_implILb0ES3_S5_NS0_18transform_iteratorINS0_17counting_iteratorImlEEZNS1_24adjacent_difference_implIS3_Lb1ELb0EPlSB_ZN2at6native12_GLOBAL__N_124unique_dim_cuda_templateIbEESt5tupleIJNSC_6TensorESH_SH_EERKSH_lbbbEUlllE1_EE10hipError_tPvRmT2_T3_mT4_P12ihipStream_tbEUlmE_lEESB_NS0_8identityIvEEEESM_SP_SQ_mSR_ST_bEUlT_E_NS1_11comp_targetILNS1_3genE0ELNS1_11target_archE4294967295ELNS1_3gpuE0ELNS1_3repE0EEENS1_30default_config_static_selectorELNS0_4arch9wavefront6targetE1EEEvT1_, .Lfunc_end1042-_ZN7rocprim17ROCPRIM_400000_NS6detail17trampoline_kernelINS0_14default_configENS1_25transform_config_selectorIlLb0EEEZNS1_14transform_implILb0ES3_S5_NS0_18transform_iteratorINS0_17counting_iteratorImlEEZNS1_24adjacent_difference_implIS3_Lb1ELb0EPlSB_ZN2at6native12_GLOBAL__N_124unique_dim_cuda_templateIbEESt5tupleIJNSC_6TensorESH_SH_EERKSH_lbbbEUlllE1_EE10hipError_tPvRmT2_T3_mT4_P12ihipStream_tbEUlmE_lEESB_NS0_8identityIvEEEESM_SP_SQ_mSR_ST_bEUlT_E_NS1_11comp_targetILNS1_3genE0ELNS1_11target_archE4294967295ELNS1_3gpuE0ELNS1_3repE0EEENS1_30default_config_static_selectorELNS0_4arch9wavefront6targetE1EEEvT1_
                                        ; -- End function
	.section	.AMDGPU.csdata,"",@progbits
; Kernel info:
; codeLenInByte = 0
; NumSgprs: 6
; NumVgprs: 0
; NumAgprs: 0
; TotalNumVgprs: 0
; ScratchSize: 0
; MemoryBound: 0
; FloatMode: 240
; IeeeMode: 1
; LDSByteSize: 0 bytes/workgroup (compile time only)
; SGPRBlocks: 0
; VGPRBlocks: 0
; NumSGPRsForWavesPerEU: 6
; NumVGPRsForWavesPerEU: 1
; AccumOffset: 4
; Occupancy: 8
; WaveLimiterHint : 0
; COMPUTE_PGM_RSRC2:SCRATCH_EN: 0
; COMPUTE_PGM_RSRC2:USER_SGPR: 2
; COMPUTE_PGM_RSRC2:TRAP_HANDLER: 0
; COMPUTE_PGM_RSRC2:TGID_X_EN: 1
; COMPUTE_PGM_RSRC2:TGID_Y_EN: 0
; COMPUTE_PGM_RSRC2:TGID_Z_EN: 0
; COMPUTE_PGM_RSRC2:TIDIG_COMP_CNT: 0
; COMPUTE_PGM_RSRC3_GFX90A:ACCUM_OFFSET: 0
; COMPUTE_PGM_RSRC3_GFX90A:TG_SPLIT: 0
	.section	.text._ZN7rocprim17ROCPRIM_400000_NS6detail17trampoline_kernelINS0_14default_configENS1_25transform_config_selectorIlLb0EEEZNS1_14transform_implILb0ES3_S5_NS0_18transform_iteratorINS0_17counting_iteratorImlEEZNS1_24adjacent_difference_implIS3_Lb1ELb0EPlSB_ZN2at6native12_GLOBAL__N_124unique_dim_cuda_templateIbEESt5tupleIJNSC_6TensorESH_SH_EERKSH_lbbbEUlllE1_EE10hipError_tPvRmT2_T3_mT4_P12ihipStream_tbEUlmE_lEESB_NS0_8identityIvEEEESM_SP_SQ_mSR_ST_bEUlT_E_NS1_11comp_targetILNS1_3genE5ELNS1_11target_archE942ELNS1_3gpuE9ELNS1_3repE0EEENS1_30default_config_static_selectorELNS0_4arch9wavefront6targetE1EEEvT1_,"axG",@progbits,_ZN7rocprim17ROCPRIM_400000_NS6detail17trampoline_kernelINS0_14default_configENS1_25transform_config_selectorIlLb0EEEZNS1_14transform_implILb0ES3_S5_NS0_18transform_iteratorINS0_17counting_iteratorImlEEZNS1_24adjacent_difference_implIS3_Lb1ELb0EPlSB_ZN2at6native12_GLOBAL__N_124unique_dim_cuda_templateIbEESt5tupleIJNSC_6TensorESH_SH_EERKSH_lbbbEUlllE1_EE10hipError_tPvRmT2_T3_mT4_P12ihipStream_tbEUlmE_lEESB_NS0_8identityIvEEEESM_SP_SQ_mSR_ST_bEUlT_E_NS1_11comp_targetILNS1_3genE5ELNS1_11target_archE942ELNS1_3gpuE9ELNS1_3repE0EEENS1_30default_config_static_selectorELNS0_4arch9wavefront6targetE1EEEvT1_,comdat
	.globl	_ZN7rocprim17ROCPRIM_400000_NS6detail17trampoline_kernelINS0_14default_configENS1_25transform_config_selectorIlLb0EEEZNS1_14transform_implILb0ES3_S5_NS0_18transform_iteratorINS0_17counting_iteratorImlEEZNS1_24adjacent_difference_implIS3_Lb1ELb0EPlSB_ZN2at6native12_GLOBAL__N_124unique_dim_cuda_templateIbEESt5tupleIJNSC_6TensorESH_SH_EERKSH_lbbbEUlllE1_EE10hipError_tPvRmT2_T3_mT4_P12ihipStream_tbEUlmE_lEESB_NS0_8identityIvEEEESM_SP_SQ_mSR_ST_bEUlT_E_NS1_11comp_targetILNS1_3genE5ELNS1_11target_archE942ELNS1_3gpuE9ELNS1_3repE0EEENS1_30default_config_static_selectorELNS0_4arch9wavefront6targetE1EEEvT1_ ; -- Begin function _ZN7rocprim17ROCPRIM_400000_NS6detail17trampoline_kernelINS0_14default_configENS1_25transform_config_selectorIlLb0EEEZNS1_14transform_implILb0ES3_S5_NS0_18transform_iteratorINS0_17counting_iteratorImlEEZNS1_24adjacent_difference_implIS3_Lb1ELb0EPlSB_ZN2at6native12_GLOBAL__N_124unique_dim_cuda_templateIbEESt5tupleIJNSC_6TensorESH_SH_EERKSH_lbbbEUlllE1_EE10hipError_tPvRmT2_T3_mT4_P12ihipStream_tbEUlmE_lEESB_NS0_8identityIvEEEESM_SP_SQ_mSR_ST_bEUlT_E_NS1_11comp_targetILNS1_3genE5ELNS1_11target_archE942ELNS1_3gpuE9ELNS1_3repE0EEENS1_30default_config_static_selectorELNS0_4arch9wavefront6targetE1EEEvT1_
	.p2align	8
	.type	_ZN7rocprim17ROCPRIM_400000_NS6detail17trampoline_kernelINS0_14default_configENS1_25transform_config_selectorIlLb0EEEZNS1_14transform_implILb0ES3_S5_NS0_18transform_iteratorINS0_17counting_iteratorImlEEZNS1_24adjacent_difference_implIS3_Lb1ELb0EPlSB_ZN2at6native12_GLOBAL__N_124unique_dim_cuda_templateIbEESt5tupleIJNSC_6TensorESH_SH_EERKSH_lbbbEUlllE1_EE10hipError_tPvRmT2_T3_mT4_P12ihipStream_tbEUlmE_lEESB_NS0_8identityIvEEEESM_SP_SQ_mSR_ST_bEUlT_E_NS1_11comp_targetILNS1_3genE5ELNS1_11target_archE942ELNS1_3gpuE9ELNS1_3repE0EEENS1_30default_config_static_selectorELNS0_4arch9wavefront6targetE1EEEvT1_,@function
_ZN7rocprim17ROCPRIM_400000_NS6detail17trampoline_kernelINS0_14default_configENS1_25transform_config_selectorIlLb0EEEZNS1_14transform_implILb0ES3_S5_NS0_18transform_iteratorINS0_17counting_iteratorImlEEZNS1_24adjacent_difference_implIS3_Lb1ELb0EPlSB_ZN2at6native12_GLOBAL__N_124unique_dim_cuda_templateIbEESt5tupleIJNSC_6TensorESH_SH_EERKSH_lbbbEUlllE1_EE10hipError_tPvRmT2_T3_mT4_P12ihipStream_tbEUlmE_lEESB_NS0_8identityIvEEEESM_SP_SQ_mSR_ST_bEUlT_E_NS1_11comp_targetILNS1_3genE5ELNS1_11target_archE942ELNS1_3gpuE9ELNS1_3repE0EEENS1_30default_config_static_selectorELNS0_4arch9wavefront6targetE1EEEvT1_: ; @_ZN7rocprim17ROCPRIM_400000_NS6detail17trampoline_kernelINS0_14default_configENS1_25transform_config_selectorIlLb0EEEZNS1_14transform_implILb0ES3_S5_NS0_18transform_iteratorINS0_17counting_iteratorImlEEZNS1_24adjacent_difference_implIS3_Lb1ELb0EPlSB_ZN2at6native12_GLOBAL__N_124unique_dim_cuda_templateIbEESt5tupleIJNSC_6TensorESH_SH_EERKSH_lbbbEUlllE1_EE10hipError_tPvRmT2_T3_mT4_P12ihipStream_tbEUlmE_lEESB_NS0_8identityIvEEEESM_SP_SQ_mSR_ST_bEUlT_E_NS1_11comp_targetILNS1_3genE5ELNS1_11target_archE942ELNS1_3gpuE9ELNS1_3repE0EEENS1_30default_config_static_selectorELNS0_4arch9wavefront6targetE1EEEvT1_
; %bb.0:
	s_load_dwordx4 s[8:11], s[0:1], 0x18
	s_load_dwordx2 s[12:13], s[0:1], 0x28
	s_load_dwordx4 s[4:7], s[0:1], 0x0
	s_load_dword s14, s[0:1], 0x10
	s_load_dword s3, s[0:1], 0x38
	s_waitcnt lgkmcnt(0)
	s_lshl_b64 s[0:1], s[8:9], 3
	s_add_u32 s11, s12, s0
	s_addc_u32 s16, s13, s1
	s_lshl_b32 s12, s2, 10
	s_add_i32 s3, s3, -1
	s_add_u32 s0, s4, s12
	s_addc_u32 s1, s5, 0
	s_add_u32 s4, s0, s8
	s_addc_u32 s5, s1, s9
	s_mov_b32 s13, 0
	s_cmp_lg_u32 s2, s3
	v_lshlrev_b32_e32 v6, 3, v0
	s_cbranch_scc0 .LBB1043_2
; %bb.1:
	v_mov_b32_e32 v1, 0
	v_lshl_add_u64 v[2:3], s[4:5], 0, v[0:1]
	v_mad_u64_u32 v[4:5], s[0:1], v2, s14, 0
	v_mov_b32_e32 v2, v5
	v_mad_u64_u32 v[2:3], s[0:1], v3, s14, v[2:3]
	s_mov_b32 s15, s13
	v_mov_b32_e32 v5, v2
	v_lshl_add_u64 v[2:3], v[4:5], 3, s[6:7]
	s_lshl_b64 s[0:1], s[14:15], 12
	global_load_dwordx2 v[10:11], v[2:3], off
	v_lshl_add_u64 v[2:3], v[2:3], 0, s[0:1]
	global_load_dwordx2 v[4:5], v[2:3], off
	s_lshl_b64 s[2:3], s[12:13], 3
	s_add_u32 s2, s11, s2
	v_mov_b32_e32 v7, v1
	s_addc_u32 s3, s16, s3
	v_lshl_add_u64 v[8:9], s[2:3], 0, v[6:7]
	s_waitcnt vmcnt(1)
	global_store_dwordx2 v6, v[10:11], s[2:3]
	s_mov_b64 s[2:3], -1
	s_cbranch_execz .LBB1043_3
	s_branch .LBB1043_12
.LBB1043_2:
	s_mov_b64 s[2:3], 0
                                        ; implicit-def: $vgpr4_vgpr5
                                        ; implicit-def: $vgpr8_vgpr9
.LBB1043_3:
	s_sub_i32 s8, s10, s12
	v_cmp_gt_u32_e32 vcc, s8, v0
                                        ; implicit-def: $vgpr2_vgpr3_vgpr4_vgpr5
	s_and_saveexec_b64 s[0:1], vcc
	s_cbranch_execz .LBB1043_5
; %bb.4:
	v_mov_b32_e32 v1, 0
	v_lshl_add_u64 v[2:3], s[4:5], 0, v[0:1]
	s_waitcnt vmcnt(1)
	v_mad_u64_u32 v[4:5], s[18:19], v2, s14, 0
	v_mov_b32_e32 v2, v5
	v_mad_u64_u32 v[2:3], s[18:19], v3, s14, v[2:3]
	v_mov_b32_e32 v5, v2
	v_lshl_add_u64 v[2:3], v[4:5], 3, s[6:7]
	global_load_dwordx2 v[2:3], v[2:3], off
.LBB1043_5:
	s_or_b64 exec, exec, s[0:1]
	v_or_b32_e32 v0, 0x200, v0
	v_cmp_gt_u32_e64 s[0:1], s8, v0
	s_and_saveexec_b64 s[8:9], s[0:1]
	s_cbranch_execz .LBB1043_7
; %bb.6:
	v_mov_b32_e32 v1, 0
	v_lshl_add_u64 v[0:1], s[4:5], 0, v[0:1]
	s_waitcnt vmcnt(1)
	v_mad_u64_u32 v[4:5], s[4:5], v0, s14, 0
	v_mov_b32_e32 v0, v5
	v_mad_u64_u32 v[0:1], s[4:5], v1, s14, v[0:1]
	v_mov_b32_e32 v5, v0
	v_lshl_add_u64 v[0:1], v[4:5], 3, s[6:7]
	global_load_dwordx2 v[4:5], v[0:1], off
.LBB1043_7:
	s_or_b64 exec, exec, s[8:9]
	s_lshl_b64 s[4:5], s[12:13], 3
	s_add_u32 s4, s11, s4
	s_addc_u32 s5, s16, s5
	v_mov_b32_e32 v7, 0
	v_lshl_add_u64 v[8:9], s[4:5], 0, v[6:7]
	s_and_saveexec_b64 s[4:5], vcc
	s_cbranch_execz .LBB1043_9
; %bb.8:
	s_waitcnt vmcnt(0)
	global_store_dwordx2 v[8:9], v[2:3], off
.LBB1043_9:
	s_or_b64 exec, exec, s[4:5]
	s_and_saveexec_b64 s[4:5], s[0:1]
; %bb.10:
	s_or_b64 s[2:3], s[2:3], exec
; %bb.11:
	s_or_b64 exec, exec, s[4:5]
.LBB1043_12:
	s_and_saveexec_b64 s[0:1], s[2:3]
	s_cbranch_execnz .LBB1043_14
; %bb.13:
	s_endpgm
.LBB1043_14:
	v_add_co_u32_e32 v0, vcc, 0x1000, v8
	s_nop 1
	v_addc_co_u32_e32 v1, vcc, 0, v9, vcc
	s_waitcnt vmcnt(0)
	global_store_dwordx2 v[0:1], v[4:5], off
	s_endpgm
	.section	.rodata,"a",@progbits
	.p2align	6, 0x0
	.amdhsa_kernel _ZN7rocprim17ROCPRIM_400000_NS6detail17trampoline_kernelINS0_14default_configENS1_25transform_config_selectorIlLb0EEEZNS1_14transform_implILb0ES3_S5_NS0_18transform_iteratorINS0_17counting_iteratorImlEEZNS1_24adjacent_difference_implIS3_Lb1ELb0EPlSB_ZN2at6native12_GLOBAL__N_124unique_dim_cuda_templateIbEESt5tupleIJNSC_6TensorESH_SH_EERKSH_lbbbEUlllE1_EE10hipError_tPvRmT2_T3_mT4_P12ihipStream_tbEUlmE_lEESB_NS0_8identityIvEEEESM_SP_SQ_mSR_ST_bEUlT_E_NS1_11comp_targetILNS1_3genE5ELNS1_11target_archE942ELNS1_3gpuE9ELNS1_3repE0EEENS1_30default_config_static_selectorELNS0_4arch9wavefront6targetE1EEEvT1_
		.amdhsa_group_segment_fixed_size 0
		.amdhsa_private_segment_fixed_size 0
		.amdhsa_kernarg_size 312
		.amdhsa_user_sgpr_count 2
		.amdhsa_user_sgpr_dispatch_ptr 0
		.amdhsa_user_sgpr_queue_ptr 0
		.amdhsa_user_sgpr_kernarg_segment_ptr 1
		.amdhsa_user_sgpr_dispatch_id 0
		.amdhsa_user_sgpr_kernarg_preload_length 0
		.amdhsa_user_sgpr_kernarg_preload_offset 0
		.amdhsa_user_sgpr_private_segment_size 0
		.amdhsa_uses_dynamic_stack 0
		.amdhsa_enable_private_segment 0
		.amdhsa_system_sgpr_workgroup_id_x 1
		.amdhsa_system_sgpr_workgroup_id_y 0
		.amdhsa_system_sgpr_workgroup_id_z 0
		.amdhsa_system_sgpr_workgroup_info 0
		.amdhsa_system_vgpr_workitem_id 0
		.amdhsa_next_free_vgpr 12
		.amdhsa_next_free_sgpr 20
		.amdhsa_accum_offset 12
		.amdhsa_reserve_vcc 1
		.amdhsa_float_round_mode_32 0
		.amdhsa_float_round_mode_16_64 0
		.amdhsa_float_denorm_mode_32 3
		.amdhsa_float_denorm_mode_16_64 3
		.amdhsa_dx10_clamp 1
		.amdhsa_ieee_mode 1
		.amdhsa_fp16_overflow 0
		.amdhsa_tg_split 0
		.amdhsa_exception_fp_ieee_invalid_op 0
		.amdhsa_exception_fp_denorm_src 0
		.amdhsa_exception_fp_ieee_div_zero 0
		.amdhsa_exception_fp_ieee_overflow 0
		.amdhsa_exception_fp_ieee_underflow 0
		.amdhsa_exception_fp_ieee_inexact 0
		.amdhsa_exception_int_div_zero 0
	.end_amdhsa_kernel
	.section	.text._ZN7rocprim17ROCPRIM_400000_NS6detail17trampoline_kernelINS0_14default_configENS1_25transform_config_selectorIlLb0EEEZNS1_14transform_implILb0ES3_S5_NS0_18transform_iteratorINS0_17counting_iteratorImlEEZNS1_24adjacent_difference_implIS3_Lb1ELb0EPlSB_ZN2at6native12_GLOBAL__N_124unique_dim_cuda_templateIbEESt5tupleIJNSC_6TensorESH_SH_EERKSH_lbbbEUlllE1_EE10hipError_tPvRmT2_T3_mT4_P12ihipStream_tbEUlmE_lEESB_NS0_8identityIvEEEESM_SP_SQ_mSR_ST_bEUlT_E_NS1_11comp_targetILNS1_3genE5ELNS1_11target_archE942ELNS1_3gpuE9ELNS1_3repE0EEENS1_30default_config_static_selectorELNS0_4arch9wavefront6targetE1EEEvT1_,"axG",@progbits,_ZN7rocprim17ROCPRIM_400000_NS6detail17trampoline_kernelINS0_14default_configENS1_25transform_config_selectorIlLb0EEEZNS1_14transform_implILb0ES3_S5_NS0_18transform_iteratorINS0_17counting_iteratorImlEEZNS1_24adjacent_difference_implIS3_Lb1ELb0EPlSB_ZN2at6native12_GLOBAL__N_124unique_dim_cuda_templateIbEESt5tupleIJNSC_6TensorESH_SH_EERKSH_lbbbEUlllE1_EE10hipError_tPvRmT2_T3_mT4_P12ihipStream_tbEUlmE_lEESB_NS0_8identityIvEEEESM_SP_SQ_mSR_ST_bEUlT_E_NS1_11comp_targetILNS1_3genE5ELNS1_11target_archE942ELNS1_3gpuE9ELNS1_3repE0EEENS1_30default_config_static_selectorELNS0_4arch9wavefront6targetE1EEEvT1_,comdat
.Lfunc_end1043:
	.size	_ZN7rocprim17ROCPRIM_400000_NS6detail17trampoline_kernelINS0_14default_configENS1_25transform_config_selectorIlLb0EEEZNS1_14transform_implILb0ES3_S5_NS0_18transform_iteratorINS0_17counting_iteratorImlEEZNS1_24adjacent_difference_implIS3_Lb1ELb0EPlSB_ZN2at6native12_GLOBAL__N_124unique_dim_cuda_templateIbEESt5tupleIJNSC_6TensorESH_SH_EERKSH_lbbbEUlllE1_EE10hipError_tPvRmT2_T3_mT4_P12ihipStream_tbEUlmE_lEESB_NS0_8identityIvEEEESM_SP_SQ_mSR_ST_bEUlT_E_NS1_11comp_targetILNS1_3genE5ELNS1_11target_archE942ELNS1_3gpuE9ELNS1_3repE0EEENS1_30default_config_static_selectorELNS0_4arch9wavefront6targetE1EEEvT1_, .Lfunc_end1043-_ZN7rocprim17ROCPRIM_400000_NS6detail17trampoline_kernelINS0_14default_configENS1_25transform_config_selectorIlLb0EEEZNS1_14transform_implILb0ES3_S5_NS0_18transform_iteratorINS0_17counting_iteratorImlEEZNS1_24adjacent_difference_implIS3_Lb1ELb0EPlSB_ZN2at6native12_GLOBAL__N_124unique_dim_cuda_templateIbEESt5tupleIJNSC_6TensorESH_SH_EERKSH_lbbbEUlllE1_EE10hipError_tPvRmT2_T3_mT4_P12ihipStream_tbEUlmE_lEESB_NS0_8identityIvEEEESM_SP_SQ_mSR_ST_bEUlT_E_NS1_11comp_targetILNS1_3genE5ELNS1_11target_archE942ELNS1_3gpuE9ELNS1_3repE0EEENS1_30default_config_static_selectorELNS0_4arch9wavefront6targetE1EEEvT1_
                                        ; -- End function
	.section	.AMDGPU.csdata,"",@progbits
; Kernel info:
; codeLenInByte = 488
; NumSgprs: 26
; NumVgprs: 12
; NumAgprs: 0
; TotalNumVgprs: 12
; ScratchSize: 0
; MemoryBound: 0
; FloatMode: 240
; IeeeMode: 1
; LDSByteSize: 0 bytes/workgroup (compile time only)
; SGPRBlocks: 3
; VGPRBlocks: 1
; NumSGPRsForWavesPerEU: 26
; NumVGPRsForWavesPerEU: 12
; AccumOffset: 12
; Occupancy: 8
; WaveLimiterHint : 0
; COMPUTE_PGM_RSRC2:SCRATCH_EN: 0
; COMPUTE_PGM_RSRC2:USER_SGPR: 2
; COMPUTE_PGM_RSRC2:TRAP_HANDLER: 0
; COMPUTE_PGM_RSRC2:TGID_X_EN: 1
; COMPUTE_PGM_RSRC2:TGID_Y_EN: 0
; COMPUTE_PGM_RSRC2:TGID_Z_EN: 0
; COMPUTE_PGM_RSRC2:TIDIG_COMP_CNT: 0
; COMPUTE_PGM_RSRC3_GFX90A:ACCUM_OFFSET: 2
; COMPUTE_PGM_RSRC3_GFX90A:TG_SPLIT: 0
	.section	.text._ZN7rocprim17ROCPRIM_400000_NS6detail17trampoline_kernelINS0_14default_configENS1_25transform_config_selectorIlLb0EEEZNS1_14transform_implILb0ES3_S5_NS0_18transform_iteratorINS0_17counting_iteratorImlEEZNS1_24adjacent_difference_implIS3_Lb1ELb0EPlSB_ZN2at6native12_GLOBAL__N_124unique_dim_cuda_templateIbEESt5tupleIJNSC_6TensorESH_SH_EERKSH_lbbbEUlllE1_EE10hipError_tPvRmT2_T3_mT4_P12ihipStream_tbEUlmE_lEESB_NS0_8identityIvEEEESM_SP_SQ_mSR_ST_bEUlT_E_NS1_11comp_targetILNS1_3genE4ELNS1_11target_archE910ELNS1_3gpuE8ELNS1_3repE0EEENS1_30default_config_static_selectorELNS0_4arch9wavefront6targetE1EEEvT1_,"axG",@progbits,_ZN7rocprim17ROCPRIM_400000_NS6detail17trampoline_kernelINS0_14default_configENS1_25transform_config_selectorIlLb0EEEZNS1_14transform_implILb0ES3_S5_NS0_18transform_iteratorINS0_17counting_iteratorImlEEZNS1_24adjacent_difference_implIS3_Lb1ELb0EPlSB_ZN2at6native12_GLOBAL__N_124unique_dim_cuda_templateIbEESt5tupleIJNSC_6TensorESH_SH_EERKSH_lbbbEUlllE1_EE10hipError_tPvRmT2_T3_mT4_P12ihipStream_tbEUlmE_lEESB_NS0_8identityIvEEEESM_SP_SQ_mSR_ST_bEUlT_E_NS1_11comp_targetILNS1_3genE4ELNS1_11target_archE910ELNS1_3gpuE8ELNS1_3repE0EEENS1_30default_config_static_selectorELNS0_4arch9wavefront6targetE1EEEvT1_,comdat
	.globl	_ZN7rocprim17ROCPRIM_400000_NS6detail17trampoline_kernelINS0_14default_configENS1_25transform_config_selectorIlLb0EEEZNS1_14transform_implILb0ES3_S5_NS0_18transform_iteratorINS0_17counting_iteratorImlEEZNS1_24adjacent_difference_implIS3_Lb1ELb0EPlSB_ZN2at6native12_GLOBAL__N_124unique_dim_cuda_templateIbEESt5tupleIJNSC_6TensorESH_SH_EERKSH_lbbbEUlllE1_EE10hipError_tPvRmT2_T3_mT4_P12ihipStream_tbEUlmE_lEESB_NS0_8identityIvEEEESM_SP_SQ_mSR_ST_bEUlT_E_NS1_11comp_targetILNS1_3genE4ELNS1_11target_archE910ELNS1_3gpuE8ELNS1_3repE0EEENS1_30default_config_static_selectorELNS0_4arch9wavefront6targetE1EEEvT1_ ; -- Begin function _ZN7rocprim17ROCPRIM_400000_NS6detail17trampoline_kernelINS0_14default_configENS1_25transform_config_selectorIlLb0EEEZNS1_14transform_implILb0ES3_S5_NS0_18transform_iteratorINS0_17counting_iteratorImlEEZNS1_24adjacent_difference_implIS3_Lb1ELb0EPlSB_ZN2at6native12_GLOBAL__N_124unique_dim_cuda_templateIbEESt5tupleIJNSC_6TensorESH_SH_EERKSH_lbbbEUlllE1_EE10hipError_tPvRmT2_T3_mT4_P12ihipStream_tbEUlmE_lEESB_NS0_8identityIvEEEESM_SP_SQ_mSR_ST_bEUlT_E_NS1_11comp_targetILNS1_3genE4ELNS1_11target_archE910ELNS1_3gpuE8ELNS1_3repE0EEENS1_30default_config_static_selectorELNS0_4arch9wavefront6targetE1EEEvT1_
	.p2align	8
	.type	_ZN7rocprim17ROCPRIM_400000_NS6detail17trampoline_kernelINS0_14default_configENS1_25transform_config_selectorIlLb0EEEZNS1_14transform_implILb0ES3_S5_NS0_18transform_iteratorINS0_17counting_iteratorImlEEZNS1_24adjacent_difference_implIS3_Lb1ELb0EPlSB_ZN2at6native12_GLOBAL__N_124unique_dim_cuda_templateIbEESt5tupleIJNSC_6TensorESH_SH_EERKSH_lbbbEUlllE1_EE10hipError_tPvRmT2_T3_mT4_P12ihipStream_tbEUlmE_lEESB_NS0_8identityIvEEEESM_SP_SQ_mSR_ST_bEUlT_E_NS1_11comp_targetILNS1_3genE4ELNS1_11target_archE910ELNS1_3gpuE8ELNS1_3repE0EEENS1_30default_config_static_selectorELNS0_4arch9wavefront6targetE1EEEvT1_,@function
_ZN7rocprim17ROCPRIM_400000_NS6detail17trampoline_kernelINS0_14default_configENS1_25transform_config_selectorIlLb0EEEZNS1_14transform_implILb0ES3_S5_NS0_18transform_iteratorINS0_17counting_iteratorImlEEZNS1_24adjacent_difference_implIS3_Lb1ELb0EPlSB_ZN2at6native12_GLOBAL__N_124unique_dim_cuda_templateIbEESt5tupleIJNSC_6TensorESH_SH_EERKSH_lbbbEUlllE1_EE10hipError_tPvRmT2_T3_mT4_P12ihipStream_tbEUlmE_lEESB_NS0_8identityIvEEEESM_SP_SQ_mSR_ST_bEUlT_E_NS1_11comp_targetILNS1_3genE4ELNS1_11target_archE910ELNS1_3gpuE8ELNS1_3repE0EEENS1_30default_config_static_selectorELNS0_4arch9wavefront6targetE1EEEvT1_: ; @_ZN7rocprim17ROCPRIM_400000_NS6detail17trampoline_kernelINS0_14default_configENS1_25transform_config_selectorIlLb0EEEZNS1_14transform_implILb0ES3_S5_NS0_18transform_iteratorINS0_17counting_iteratorImlEEZNS1_24adjacent_difference_implIS3_Lb1ELb0EPlSB_ZN2at6native12_GLOBAL__N_124unique_dim_cuda_templateIbEESt5tupleIJNSC_6TensorESH_SH_EERKSH_lbbbEUlllE1_EE10hipError_tPvRmT2_T3_mT4_P12ihipStream_tbEUlmE_lEESB_NS0_8identityIvEEEESM_SP_SQ_mSR_ST_bEUlT_E_NS1_11comp_targetILNS1_3genE4ELNS1_11target_archE910ELNS1_3gpuE8ELNS1_3repE0EEENS1_30default_config_static_selectorELNS0_4arch9wavefront6targetE1EEEvT1_
; %bb.0:
	.section	.rodata,"a",@progbits
	.p2align	6, 0x0
	.amdhsa_kernel _ZN7rocprim17ROCPRIM_400000_NS6detail17trampoline_kernelINS0_14default_configENS1_25transform_config_selectorIlLb0EEEZNS1_14transform_implILb0ES3_S5_NS0_18transform_iteratorINS0_17counting_iteratorImlEEZNS1_24adjacent_difference_implIS3_Lb1ELb0EPlSB_ZN2at6native12_GLOBAL__N_124unique_dim_cuda_templateIbEESt5tupleIJNSC_6TensorESH_SH_EERKSH_lbbbEUlllE1_EE10hipError_tPvRmT2_T3_mT4_P12ihipStream_tbEUlmE_lEESB_NS0_8identityIvEEEESM_SP_SQ_mSR_ST_bEUlT_E_NS1_11comp_targetILNS1_3genE4ELNS1_11target_archE910ELNS1_3gpuE8ELNS1_3repE0EEENS1_30default_config_static_selectorELNS0_4arch9wavefront6targetE1EEEvT1_
		.amdhsa_group_segment_fixed_size 0
		.amdhsa_private_segment_fixed_size 0
		.amdhsa_kernarg_size 56
		.amdhsa_user_sgpr_count 2
		.amdhsa_user_sgpr_dispatch_ptr 0
		.amdhsa_user_sgpr_queue_ptr 0
		.amdhsa_user_sgpr_kernarg_segment_ptr 1
		.amdhsa_user_sgpr_dispatch_id 0
		.amdhsa_user_sgpr_kernarg_preload_length 0
		.amdhsa_user_sgpr_kernarg_preload_offset 0
		.amdhsa_user_sgpr_private_segment_size 0
		.amdhsa_uses_dynamic_stack 0
		.amdhsa_enable_private_segment 0
		.amdhsa_system_sgpr_workgroup_id_x 1
		.amdhsa_system_sgpr_workgroup_id_y 0
		.amdhsa_system_sgpr_workgroup_id_z 0
		.amdhsa_system_sgpr_workgroup_info 0
		.amdhsa_system_vgpr_workitem_id 0
		.amdhsa_next_free_vgpr 1
		.amdhsa_next_free_sgpr 0
		.amdhsa_accum_offset 4
		.amdhsa_reserve_vcc 0
		.amdhsa_float_round_mode_32 0
		.amdhsa_float_round_mode_16_64 0
		.amdhsa_float_denorm_mode_32 3
		.amdhsa_float_denorm_mode_16_64 3
		.amdhsa_dx10_clamp 1
		.amdhsa_ieee_mode 1
		.amdhsa_fp16_overflow 0
		.amdhsa_tg_split 0
		.amdhsa_exception_fp_ieee_invalid_op 0
		.amdhsa_exception_fp_denorm_src 0
		.amdhsa_exception_fp_ieee_div_zero 0
		.amdhsa_exception_fp_ieee_overflow 0
		.amdhsa_exception_fp_ieee_underflow 0
		.amdhsa_exception_fp_ieee_inexact 0
		.amdhsa_exception_int_div_zero 0
	.end_amdhsa_kernel
	.section	.text._ZN7rocprim17ROCPRIM_400000_NS6detail17trampoline_kernelINS0_14default_configENS1_25transform_config_selectorIlLb0EEEZNS1_14transform_implILb0ES3_S5_NS0_18transform_iteratorINS0_17counting_iteratorImlEEZNS1_24adjacent_difference_implIS3_Lb1ELb0EPlSB_ZN2at6native12_GLOBAL__N_124unique_dim_cuda_templateIbEESt5tupleIJNSC_6TensorESH_SH_EERKSH_lbbbEUlllE1_EE10hipError_tPvRmT2_T3_mT4_P12ihipStream_tbEUlmE_lEESB_NS0_8identityIvEEEESM_SP_SQ_mSR_ST_bEUlT_E_NS1_11comp_targetILNS1_3genE4ELNS1_11target_archE910ELNS1_3gpuE8ELNS1_3repE0EEENS1_30default_config_static_selectorELNS0_4arch9wavefront6targetE1EEEvT1_,"axG",@progbits,_ZN7rocprim17ROCPRIM_400000_NS6detail17trampoline_kernelINS0_14default_configENS1_25transform_config_selectorIlLb0EEEZNS1_14transform_implILb0ES3_S5_NS0_18transform_iteratorINS0_17counting_iteratorImlEEZNS1_24adjacent_difference_implIS3_Lb1ELb0EPlSB_ZN2at6native12_GLOBAL__N_124unique_dim_cuda_templateIbEESt5tupleIJNSC_6TensorESH_SH_EERKSH_lbbbEUlllE1_EE10hipError_tPvRmT2_T3_mT4_P12ihipStream_tbEUlmE_lEESB_NS0_8identityIvEEEESM_SP_SQ_mSR_ST_bEUlT_E_NS1_11comp_targetILNS1_3genE4ELNS1_11target_archE910ELNS1_3gpuE8ELNS1_3repE0EEENS1_30default_config_static_selectorELNS0_4arch9wavefront6targetE1EEEvT1_,comdat
.Lfunc_end1044:
	.size	_ZN7rocprim17ROCPRIM_400000_NS6detail17trampoline_kernelINS0_14default_configENS1_25transform_config_selectorIlLb0EEEZNS1_14transform_implILb0ES3_S5_NS0_18transform_iteratorINS0_17counting_iteratorImlEEZNS1_24adjacent_difference_implIS3_Lb1ELb0EPlSB_ZN2at6native12_GLOBAL__N_124unique_dim_cuda_templateIbEESt5tupleIJNSC_6TensorESH_SH_EERKSH_lbbbEUlllE1_EE10hipError_tPvRmT2_T3_mT4_P12ihipStream_tbEUlmE_lEESB_NS0_8identityIvEEEESM_SP_SQ_mSR_ST_bEUlT_E_NS1_11comp_targetILNS1_3genE4ELNS1_11target_archE910ELNS1_3gpuE8ELNS1_3repE0EEENS1_30default_config_static_selectorELNS0_4arch9wavefront6targetE1EEEvT1_, .Lfunc_end1044-_ZN7rocprim17ROCPRIM_400000_NS6detail17trampoline_kernelINS0_14default_configENS1_25transform_config_selectorIlLb0EEEZNS1_14transform_implILb0ES3_S5_NS0_18transform_iteratorINS0_17counting_iteratorImlEEZNS1_24adjacent_difference_implIS3_Lb1ELb0EPlSB_ZN2at6native12_GLOBAL__N_124unique_dim_cuda_templateIbEESt5tupleIJNSC_6TensorESH_SH_EERKSH_lbbbEUlllE1_EE10hipError_tPvRmT2_T3_mT4_P12ihipStream_tbEUlmE_lEESB_NS0_8identityIvEEEESM_SP_SQ_mSR_ST_bEUlT_E_NS1_11comp_targetILNS1_3genE4ELNS1_11target_archE910ELNS1_3gpuE8ELNS1_3repE0EEENS1_30default_config_static_selectorELNS0_4arch9wavefront6targetE1EEEvT1_
                                        ; -- End function
	.section	.AMDGPU.csdata,"",@progbits
; Kernel info:
; codeLenInByte = 0
; NumSgprs: 6
; NumVgprs: 0
; NumAgprs: 0
; TotalNumVgprs: 0
; ScratchSize: 0
; MemoryBound: 0
; FloatMode: 240
; IeeeMode: 1
; LDSByteSize: 0 bytes/workgroup (compile time only)
; SGPRBlocks: 0
; VGPRBlocks: 0
; NumSGPRsForWavesPerEU: 6
; NumVGPRsForWavesPerEU: 1
; AccumOffset: 4
; Occupancy: 8
; WaveLimiterHint : 0
; COMPUTE_PGM_RSRC2:SCRATCH_EN: 0
; COMPUTE_PGM_RSRC2:USER_SGPR: 2
; COMPUTE_PGM_RSRC2:TRAP_HANDLER: 0
; COMPUTE_PGM_RSRC2:TGID_X_EN: 1
; COMPUTE_PGM_RSRC2:TGID_Y_EN: 0
; COMPUTE_PGM_RSRC2:TGID_Z_EN: 0
; COMPUTE_PGM_RSRC2:TIDIG_COMP_CNT: 0
; COMPUTE_PGM_RSRC3_GFX90A:ACCUM_OFFSET: 0
; COMPUTE_PGM_RSRC3_GFX90A:TG_SPLIT: 0
	.section	.text._ZN7rocprim17ROCPRIM_400000_NS6detail17trampoline_kernelINS0_14default_configENS1_25transform_config_selectorIlLb0EEEZNS1_14transform_implILb0ES3_S5_NS0_18transform_iteratorINS0_17counting_iteratorImlEEZNS1_24adjacent_difference_implIS3_Lb1ELb0EPlSB_ZN2at6native12_GLOBAL__N_124unique_dim_cuda_templateIbEESt5tupleIJNSC_6TensorESH_SH_EERKSH_lbbbEUlllE1_EE10hipError_tPvRmT2_T3_mT4_P12ihipStream_tbEUlmE_lEESB_NS0_8identityIvEEEESM_SP_SQ_mSR_ST_bEUlT_E_NS1_11comp_targetILNS1_3genE3ELNS1_11target_archE908ELNS1_3gpuE7ELNS1_3repE0EEENS1_30default_config_static_selectorELNS0_4arch9wavefront6targetE1EEEvT1_,"axG",@progbits,_ZN7rocprim17ROCPRIM_400000_NS6detail17trampoline_kernelINS0_14default_configENS1_25transform_config_selectorIlLb0EEEZNS1_14transform_implILb0ES3_S5_NS0_18transform_iteratorINS0_17counting_iteratorImlEEZNS1_24adjacent_difference_implIS3_Lb1ELb0EPlSB_ZN2at6native12_GLOBAL__N_124unique_dim_cuda_templateIbEESt5tupleIJNSC_6TensorESH_SH_EERKSH_lbbbEUlllE1_EE10hipError_tPvRmT2_T3_mT4_P12ihipStream_tbEUlmE_lEESB_NS0_8identityIvEEEESM_SP_SQ_mSR_ST_bEUlT_E_NS1_11comp_targetILNS1_3genE3ELNS1_11target_archE908ELNS1_3gpuE7ELNS1_3repE0EEENS1_30default_config_static_selectorELNS0_4arch9wavefront6targetE1EEEvT1_,comdat
	.globl	_ZN7rocprim17ROCPRIM_400000_NS6detail17trampoline_kernelINS0_14default_configENS1_25transform_config_selectorIlLb0EEEZNS1_14transform_implILb0ES3_S5_NS0_18transform_iteratorINS0_17counting_iteratorImlEEZNS1_24adjacent_difference_implIS3_Lb1ELb0EPlSB_ZN2at6native12_GLOBAL__N_124unique_dim_cuda_templateIbEESt5tupleIJNSC_6TensorESH_SH_EERKSH_lbbbEUlllE1_EE10hipError_tPvRmT2_T3_mT4_P12ihipStream_tbEUlmE_lEESB_NS0_8identityIvEEEESM_SP_SQ_mSR_ST_bEUlT_E_NS1_11comp_targetILNS1_3genE3ELNS1_11target_archE908ELNS1_3gpuE7ELNS1_3repE0EEENS1_30default_config_static_selectorELNS0_4arch9wavefront6targetE1EEEvT1_ ; -- Begin function _ZN7rocprim17ROCPRIM_400000_NS6detail17trampoline_kernelINS0_14default_configENS1_25transform_config_selectorIlLb0EEEZNS1_14transform_implILb0ES3_S5_NS0_18transform_iteratorINS0_17counting_iteratorImlEEZNS1_24adjacent_difference_implIS3_Lb1ELb0EPlSB_ZN2at6native12_GLOBAL__N_124unique_dim_cuda_templateIbEESt5tupleIJNSC_6TensorESH_SH_EERKSH_lbbbEUlllE1_EE10hipError_tPvRmT2_T3_mT4_P12ihipStream_tbEUlmE_lEESB_NS0_8identityIvEEEESM_SP_SQ_mSR_ST_bEUlT_E_NS1_11comp_targetILNS1_3genE3ELNS1_11target_archE908ELNS1_3gpuE7ELNS1_3repE0EEENS1_30default_config_static_selectorELNS0_4arch9wavefront6targetE1EEEvT1_
	.p2align	8
	.type	_ZN7rocprim17ROCPRIM_400000_NS6detail17trampoline_kernelINS0_14default_configENS1_25transform_config_selectorIlLb0EEEZNS1_14transform_implILb0ES3_S5_NS0_18transform_iteratorINS0_17counting_iteratorImlEEZNS1_24adjacent_difference_implIS3_Lb1ELb0EPlSB_ZN2at6native12_GLOBAL__N_124unique_dim_cuda_templateIbEESt5tupleIJNSC_6TensorESH_SH_EERKSH_lbbbEUlllE1_EE10hipError_tPvRmT2_T3_mT4_P12ihipStream_tbEUlmE_lEESB_NS0_8identityIvEEEESM_SP_SQ_mSR_ST_bEUlT_E_NS1_11comp_targetILNS1_3genE3ELNS1_11target_archE908ELNS1_3gpuE7ELNS1_3repE0EEENS1_30default_config_static_selectorELNS0_4arch9wavefront6targetE1EEEvT1_,@function
_ZN7rocprim17ROCPRIM_400000_NS6detail17trampoline_kernelINS0_14default_configENS1_25transform_config_selectorIlLb0EEEZNS1_14transform_implILb0ES3_S5_NS0_18transform_iteratorINS0_17counting_iteratorImlEEZNS1_24adjacent_difference_implIS3_Lb1ELb0EPlSB_ZN2at6native12_GLOBAL__N_124unique_dim_cuda_templateIbEESt5tupleIJNSC_6TensorESH_SH_EERKSH_lbbbEUlllE1_EE10hipError_tPvRmT2_T3_mT4_P12ihipStream_tbEUlmE_lEESB_NS0_8identityIvEEEESM_SP_SQ_mSR_ST_bEUlT_E_NS1_11comp_targetILNS1_3genE3ELNS1_11target_archE908ELNS1_3gpuE7ELNS1_3repE0EEENS1_30default_config_static_selectorELNS0_4arch9wavefront6targetE1EEEvT1_: ; @_ZN7rocprim17ROCPRIM_400000_NS6detail17trampoline_kernelINS0_14default_configENS1_25transform_config_selectorIlLb0EEEZNS1_14transform_implILb0ES3_S5_NS0_18transform_iteratorINS0_17counting_iteratorImlEEZNS1_24adjacent_difference_implIS3_Lb1ELb0EPlSB_ZN2at6native12_GLOBAL__N_124unique_dim_cuda_templateIbEESt5tupleIJNSC_6TensorESH_SH_EERKSH_lbbbEUlllE1_EE10hipError_tPvRmT2_T3_mT4_P12ihipStream_tbEUlmE_lEESB_NS0_8identityIvEEEESM_SP_SQ_mSR_ST_bEUlT_E_NS1_11comp_targetILNS1_3genE3ELNS1_11target_archE908ELNS1_3gpuE7ELNS1_3repE0EEENS1_30default_config_static_selectorELNS0_4arch9wavefront6targetE1EEEvT1_
; %bb.0:
	.section	.rodata,"a",@progbits
	.p2align	6, 0x0
	.amdhsa_kernel _ZN7rocprim17ROCPRIM_400000_NS6detail17trampoline_kernelINS0_14default_configENS1_25transform_config_selectorIlLb0EEEZNS1_14transform_implILb0ES3_S5_NS0_18transform_iteratorINS0_17counting_iteratorImlEEZNS1_24adjacent_difference_implIS3_Lb1ELb0EPlSB_ZN2at6native12_GLOBAL__N_124unique_dim_cuda_templateIbEESt5tupleIJNSC_6TensorESH_SH_EERKSH_lbbbEUlllE1_EE10hipError_tPvRmT2_T3_mT4_P12ihipStream_tbEUlmE_lEESB_NS0_8identityIvEEEESM_SP_SQ_mSR_ST_bEUlT_E_NS1_11comp_targetILNS1_3genE3ELNS1_11target_archE908ELNS1_3gpuE7ELNS1_3repE0EEENS1_30default_config_static_selectorELNS0_4arch9wavefront6targetE1EEEvT1_
		.amdhsa_group_segment_fixed_size 0
		.amdhsa_private_segment_fixed_size 0
		.amdhsa_kernarg_size 56
		.amdhsa_user_sgpr_count 2
		.amdhsa_user_sgpr_dispatch_ptr 0
		.amdhsa_user_sgpr_queue_ptr 0
		.amdhsa_user_sgpr_kernarg_segment_ptr 1
		.amdhsa_user_sgpr_dispatch_id 0
		.amdhsa_user_sgpr_kernarg_preload_length 0
		.amdhsa_user_sgpr_kernarg_preload_offset 0
		.amdhsa_user_sgpr_private_segment_size 0
		.amdhsa_uses_dynamic_stack 0
		.amdhsa_enable_private_segment 0
		.amdhsa_system_sgpr_workgroup_id_x 1
		.amdhsa_system_sgpr_workgroup_id_y 0
		.amdhsa_system_sgpr_workgroup_id_z 0
		.amdhsa_system_sgpr_workgroup_info 0
		.amdhsa_system_vgpr_workitem_id 0
		.amdhsa_next_free_vgpr 1
		.amdhsa_next_free_sgpr 0
		.amdhsa_accum_offset 4
		.amdhsa_reserve_vcc 0
		.amdhsa_float_round_mode_32 0
		.amdhsa_float_round_mode_16_64 0
		.amdhsa_float_denorm_mode_32 3
		.amdhsa_float_denorm_mode_16_64 3
		.amdhsa_dx10_clamp 1
		.amdhsa_ieee_mode 1
		.amdhsa_fp16_overflow 0
		.amdhsa_tg_split 0
		.amdhsa_exception_fp_ieee_invalid_op 0
		.amdhsa_exception_fp_denorm_src 0
		.amdhsa_exception_fp_ieee_div_zero 0
		.amdhsa_exception_fp_ieee_overflow 0
		.amdhsa_exception_fp_ieee_underflow 0
		.amdhsa_exception_fp_ieee_inexact 0
		.amdhsa_exception_int_div_zero 0
	.end_amdhsa_kernel
	.section	.text._ZN7rocprim17ROCPRIM_400000_NS6detail17trampoline_kernelINS0_14default_configENS1_25transform_config_selectorIlLb0EEEZNS1_14transform_implILb0ES3_S5_NS0_18transform_iteratorINS0_17counting_iteratorImlEEZNS1_24adjacent_difference_implIS3_Lb1ELb0EPlSB_ZN2at6native12_GLOBAL__N_124unique_dim_cuda_templateIbEESt5tupleIJNSC_6TensorESH_SH_EERKSH_lbbbEUlllE1_EE10hipError_tPvRmT2_T3_mT4_P12ihipStream_tbEUlmE_lEESB_NS0_8identityIvEEEESM_SP_SQ_mSR_ST_bEUlT_E_NS1_11comp_targetILNS1_3genE3ELNS1_11target_archE908ELNS1_3gpuE7ELNS1_3repE0EEENS1_30default_config_static_selectorELNS0_4arch9wavefront6targetE1EEEvT1_,"axG",@progbits,_ZN7rocprim17ROCPRIM_400000_NS6detail17trampoline_kernelINS0_14default_configENS1_25transform_config_selectorIlLb0EEEZNS1_14transform_implILb0ES3_S5_NS0_18transform_iteratorINS0_17counting_iteratorImlEEZNS1_24adjacent_difference_implIS3_Lb1ELb0EPlSB_ZN2at6native12_GLOBAL__N_124unique_dim_cuda_templateIbEESt5tupleIJNSC_6TensorESH_SH_EERKSH_lbbbEUlllE1_EE10hipError_tPvRmT2_T3_mT4_P12ihipStream_tbEUlmE_lEESB_NS0_8identityIvEEEESM_SP_SQ_mSR_ST_bEUlT_E_NS1_11comp_targetILNS1_3genE3ELNS1_11target_archE908ELNS1_3gpuE7ELNS1_3repE0EEENS1_30default_config_static_selectorELNS0_4arch9wavefront6targetE1EEEvT1_,comdat
.Lfunc_end1045:
	.size	_ZN7rocprim17ROCPRIM_400000_NS6detail17trampoline_kernelINS0_14default_configENS1_25transform_config_selectorIlLb0EEEZNS1_14transform_implILb0ES3_S5_NS0_18transform_iteratorINS0_17counting_iteratorImlEEZNS1_24adjacent_difference_implIS3_Lb1ELb0EPlSB_ZN2at6native12_GLOBAL__N_124unique_dim_cuda_templateIbEESt5tupleIJNSC_6TensorESH_SH_EERKSH_lbbbEUlllE1_EE10hipError_tPvRmT2_T3_mT4_P12ihipStream_tbEUlmE_lEESB_NS0_8identityIvEEEESM_SP_SQ_mSR_ST_bEUlT_E_NS1_11comp_targetILNS1_3genE3ELNS1_11target_archE908ELNS1_3gpuE7ELNS1_3repE0EEENS1_30default_config_static_selectorELNS0_4arch9wavefront6targetE1EEEvT1_, .Lfunc_end1045-_ZN7rocprim17ROCPRIM_400000_NS6detail17trampoline_kernelINS0_14default_configENS1_25transform_config_selectorIlLb0EEEZNS1_14transform_implILb0ES3_S5_NS0_18transform_iteratorINS0_17counting_iteratorImlEEZNS1_24adjacent_difference_implIS3_Lb1ELb0EPlSB_ZN2at6native12_GLOBAL__N_124unique_dim_cuda_templateIbEESt5tupleIJNSC_6TensorESH_SH_EERKSH_lbbbEUlllE1_EE10hipError_tPvRmT2_T3_mT4_P12ihipStream_tbEUlmE_lEESB_NS0_8identityIvEEEESM_SP_SQ_mSR_ST_bEUlT_E_NS1_11comp_targetILNS1_3genE3ELNS1_11target_archE908ELNS1_3gpuE7ELNS1_3repE0EEENS1_30default_config_static_selectorELNS0_4arch9wavefront6targetE1EEEvT1_
                                        ; -- End function
	.section	.AMDGPU.csdata,"",@progbits
; Kernel info:
; codeLenInByte = 0
; NumSgprs: 6
; NumVgprs: 0
; NumAgprs: 0
; TotalNumVgprs: 0
; ScratchSize: 0
; MemoryBound: 0
; FloatMode: 240
; IeeeMode: 1
; LDSByteSize: 0 bytes/workgroup (compile time only)
; SGPRBlocks: 0
; VGPRBlocks: 0
; NumSGPRsForWavesPerEU: 6
; NumVGPRsForWavesPerEU: 1
; AccumOffset: 4
; Occupancy: 8
; WaveLimiterHint : 0
; COMPUTE_PGM_RSRC2:SCRATCH_EN: 0
; COMPUTE_PGM_RSRC2:USER_SGPR: 2
; COMPUTE_PGM_RSRC2:TRAP_HANDLER: 0
; COMPUTE_PGM_RSRC2:TGID_X_EN: 1
; COMPUTE_PGM_RSRC2:TGID_Y_EN: 0
; COMPUTE_PGM_RSRC2:TGID_Z_EN: 0
; COMPUTE_PGM_RSRC2:TIDIG_COMP_CNT: 0
; COMPUTE_PGM_RSRC3_GFX90A:ACCUM_OFFSET: 0
; COMPUTE_PGM_RSRC3_GFX90A:TG_SPLIT: 0
	.section	.text._ZN7rocprim17ROCPRIM_400000_NS6detail17trampoline_kernelINS0_14default_configENS1_25transform_config_selectorIlLb0EEEZNS1_14transform_implILb0ES3_S5_NS0_18transform_iteratorINS0_17counting_iteratorImlEEZNS1_24adjacent_difference_implIS3_Lb1ELb0EPlSB_ZN2at6native12_GLOBAL__N_124unique_dim_cuda_templateIbEESt5tupleIJNSC_6TensorESH_SH_EERKSH_lbbbEUlllE1_EE10hipError_tPvRmT2_T3_mT4_P12ihipStream_tbEUlmE_lEESB_NS0_8identityIvEEEESM_SP_SQ_mSR_ST_bEUlT_E_NS1_11comp_targetILNS1_3genE2ELNS1_11target_archE906ELNS1_3gpuE6ELNS1_3repE0EEENS1_30default_config_static_selectorELNS0_4arch9wavefront6targetE1EEEvT1_,"axG",@progbits,_ZN7rocprim17ROCPRIM_400000_NS6detail17trampoline_kernelINS0_14default_configENS1_25transform_config_selectorIlLb0EEEZNS1_14transform_implILb0ES3_S5_NS0_18transform_iteratorINS0_17counting_iteratorImlEEZNS1_24adjacent_difference_implIS3_Lb1ELb0EPlSB_ZN2at6native12_GLOBAL__N_124unique_dim_cuda_templateIbEESt5tupleIJNSC_6TensorESH_SH_EERKSH_lbbbEUlllE1_EE10hipError_tPvRmT2_T3_mT4_P12ihipStream_tbEUlmE_lEESB_NS0_8identityIvEEEESM_SP_SQ_mSR_ST_bEUlT_E_NS1_11comp_targetILNS1_3genE2ELNS1_11target_archE906ELNS1_3gpuE6ELNS1_3repE0EEENS1_30default_config_static_selectorELNS0_4arch9wavefront6targetE1EEEvT1_,comdat
	.globl	_ZN7rocprim17ROCPRIM_400000_NS6detail17trampoline_kernelINS0_14default_configENS1_25transform_config_selectorIlLb0EEEZNS1_14transform_implILb0ES3_S5_NS0_18transform_iteratorINS0_17counting_iteratorImlEEZNS1_24adjacent_difference_implIS3_Lb1ELb0EPlSB_ZN2at6native12_GLOBAL__N_124unique_dim_cuda_templateIbEESt5tupleIJNSC_6TensorESH_SH_EERKSH_lbbbEUlllE1_EE10hipError_tPvRmT2_T3_mT4_P12ihipStream_tbEUlmE_lEESB_NS0_8identityIvEEEESM_SP_SQ_mSR_ST_bEUlT_E_NS1_11comp_targetILNS1_3genE2ELNS1_11target_archE906ELNS1_3gpuE6ELNS1_3repE0EEENS1_30default_config_static_selectorELNS0_4arch9wavefront6targetE1EEEvT1_ ; -- Begin function _ZN7rocprim17ROCPRIM_400000_NS6detail17trampoline_kernelINS0_14default_configENS1_25transform_config_selectorIlLb0EEEZNS1_14transform_implILb0ES3_S5_NS0_18transform_iteratorINS0_17counting_iteratorImlEEZNS1_24adjacent_difference_implIS3_Lb1ELb0EPlSB_ZN2at6native12_GLOBAL__N_124unique_dim_cuda_templateIbEESt5tupleIJNSC_6TensorESH_SH_EERKSH_lbbbEUlllE1_EE10hipError_tPvRmT2_T3_mT4_P12ihipStream_tbEUlmE_lEESB_NS0_8identityIvEEEESM_SP_SQ_mSR_ST_bEUlT_E_NS1_11comp_targetILNS1_3genE2ELNS1_11target_archE906ELNS1_3gpuE6ELNS1_3repE0EEENS1_30default_config_static_selectorELNS0_4arch9wavefront6targetE1EEEvT1_
	.p2align	8
	.type	_ZN7rocprim17ROCPRIM_400000_NS6detail17trampoline_kernelINS0_14default_configENS1_25transform_config_selectorIlLb0EEEZNS1_14transform_implILb0ES3_S5_NS0_18transform_iteratorINS0_17counting_iteratorImlEEZNS1_24adjacent_difference_implIS3_Lb1ELb0EPlSB_ZN2at6native12_GLOBAL__N_124unique_dim_cuda_templateIbEESt5tupleIJNSC_6TensorESH_SH_EERKSH_lbbbEUlllE1_EE10hipError_tPvRmT2_T3_mT4_P12ihipStream_tbEUlmE_lEESB_NS0_8identityIvEEEESM_SP_SQ_mSR_ST_bEUlT_E_NS1_11comp_targetILNS1_3genE2ELNS1_11target_archE906ELNS1_3gpuE6ELNS1_3repE0EEENS1_30default_config_static_selectorELNS0_4arch9wavefront6targetE1EEEvT1_,@function
_ZN7rocprim17ROCPRIM_400000_NS6detail17trampoline_kernelINS0_14default_configENS1_25transform_config_selectorIlLb0EEEZNS1_14transform_implILb0ES3_S5_NS0_18transform_iteratorINS0_17counting_iteratorImlEEZNS1_24adjacent_difference_implIS3_Lb1ELb0EPlSB_ZN2at6native12_GLOBAL__N_124unique_dim_cuda_templateIbEESt5tupleIJNSC_6TensorESH_SH_EERKSH_lbbbEUlllE1_EE10hipError_tPvRmT2_T3_mT4_P12ihipStream_tbEUlmE_lEESB_NS0_8identityIvEEEESM_SP_SQ_mSR_ST_bEUlT_E_NS1_11comp_targetILNS1_3genE2ELNS1_11target_archE906ELNS1_3gpuE6ELNS1_3repE0EEENS1_30default_config_static_selectorELNS0_4arch9wavefront6targetE1EEEvT1_: ; @_ZN7rocprim17ROCPRIM_400000_NS6detail17trampoline_kernelINS0_14default_configENS1_25transform_config_selectorIlLb0EEEZNS1_14transform_implILb0ES3_S5_NS0_18transform_iteratorINS0_17counting_iteratorImlEEZNS1_24adjacent_difference_implIS3_Lb1ELb0EPlSB_ZN2at6native12_GLOBAL__N_124unique_dim_cuda_templateIbEESt5tupleIJNSC_6TensorESH_SH_EERKSH_lbbbEUlllE1_EE10hipError_tPvRmT2_T3_mT4_P12ihipStream_tbEUlmE_lEESB_NS0_8identityIvEEEESM_SP_SQ_mSR_ST_bEUlT_E_NS1_11comp_targetILNS1_3genE2ELNS1_11target_archE906ELNS1_3gpuE6ELNS1_3repE0EEENS1_30default_config_static_selectorELNS0_4arch9wavefront6targetE1EEEvT1_
; %bb.0:
	.section	.rodata,"a",@progbits
	.p2align	6, 0x0
	.amdhsa_kernel _ZN7rocprim17ROCPRIM_400000_NS6detail17trampoline_kernelINS0_14default_configENS1_25transform_config_selectorIlLb0EEEZNS1_14transform_implILb0ES3_S5_NS0_18transform_iteratorINS0_17counting_iteratorImlEEZNS1_24adjacent_difference_implIS3_Lb1ELb0EPlSB_ZN2at6native12_GLOBAL__N_124unique_dim_cuda_templateIbEESt5tupleIJNSC_6TensorESH_SH_EERKSH_lbbbEUlllE1_EE10hipError_tPvRmT2_T3_mT4_P12ihipStream_tbEUlmE_lEESB_NS0_8identityIvEEEESM_SP_SQ_mSR_ST_bEUlT_E_NS1_11comp_targetILNS1_3genE2ELNS1_11target_archE906ELNS1_3gpuE6ELNS1_3repE0EEENS1_30default_config_static_selectorELNS0_4arch9wavefront6targetE1EEEvT1_
		.amdhsa_group_segment_fixed_size 0
		.amdhsa_private_segment_fixed_size 0
		.amdhsa_kernarg_size 56
		.amdhsa_user_sgpr_count 2
		.amdhsa_user_sgpr_dispatch_ptr 0
		.amdhsa_user_sgpr_queue_ptr 0
		.amdhsa_user_sgpr_kernarg_segment_ptr 1
		.amdhsa_user_sgpr_dispatch_id 0
		.amdhsa_user_sgpr_kernarg_preload_length 0
		.amdhsa_user_sgpr_kernarg_preload_offset 0
		.amdhsa_user_sgpr_private_segment_size 0
		.amdhsa_uses_dynamic_stack 0
		.amdhsa_enable_private_segment 0
		.amdhsa_system_sgpr_workgroup_id_x 1
		.amdhsa_system_sgpr_workgroup_id_y 0
		.amdhsa_system_sgpr_workgroup_id_z 0
		.amdhsa_system_sgpr_workgroup_info 0
		.amdhsa_system_vgpr_workitem_id 0
		.amdhsa_next_free_vgpr 1
		.amdhsa_next_free_sgpr 0
		.amdhsa_accum_offset 4
		.amdhsa_reserve_vcc 0
		.amdhsa_float_round_mode_32 0
		.amdhsa_float_round_mode_16_64 0
		.amdhsa_float_denorm_mode_32 3
		.amdhsa_float_denorm_mode_16_64 3
		.amdhsa_dx10_clamp 1
		.amdhsa_ieee_mode 1
		.amdhsa_fp16_overflow 0
		.amdhsa_tg_split 0
		.amdhsa_exception_fp_ieee_invalid_op 0
		.amdhsa_exception_fp_denorm_src 0
		.amdhsa_exception_fp_ieee_div_zero 0
		.amdhsa_exception_fp_ieee_overflow 0
		.amdhsa_exception_fp_ieee_underflow 0
		.amdhsa_exception_fp_ieee_inexact 0
		.amdhsa_exception_int_div_zero 0
	.end_amdhsa_kernel
	.section	.text._ZN7rocprim17ROCPRIM_400000_NS6detail17trampoline_kernelINS0_14default_configENS1_25transform_config_selectorIlLb0EEEZNS1_14transform_implILb0ES3_S5_NS0_18transform_iteratorINS0_17counting_iteratorImlEEZNS1_24adjacent_difference_implIS3_Lb1ELb0EPlSB_ZN2at6native12_GLOBAL__N_124unique_dim_cuda_templateIbEESt5tupleIJNSC_6TensorESH_SH_EERKSH_lbbbEUlllE1_EE10hipError_tPvRmT2_T3_mT4_P12ihipStream_tbEUlmE_lEESB_NS0_8identityIvEEEESM_SP_SQ_mSR_ST_bEUlT_E_NS1_11comp_targetILNS1_3genE2ELNS1_11target_archE906ELNS1_3gpuE6ELNS1_3repE0EEENS1_30default_config_static_selectorELNS0_4arch9wavefront6targetE1EEEvT1_,"axG",@progbits,_ZN7rocprim17ROCPRIM_400000_NS6detail17trampoline_kernelINS0_14default_configENS1_25transform_config_selectorIlLb0EEEZNS1_14transform_implILb0ES3_S5_NS0_18transform_iteratorINS0_17counting_iteratorImlEEZNS1_24adjacent_difference_implIS3_Lb1ELb0EPlSB_ZN2at6native12_GLOBAL__N_124unique_dim_cuda_templateIbEESt5tupleIJNSC_6TensorESH_SH_EERKSH_lbbbEUlllE1_EE10hipError_tPvRmT2_T3_mT4_P12ihipStream_tbEUlmE_lEESB_NS0_8identityIvEEEESM_SP_SQ_mSR_ST_bEUlT_E_NS1_11comp_targetILNS1_3genE2ELNS1_11target_archE906ELNS1_3gpuE6ELNS1_3repE0EEENS1_30default_config_static_selectorELNS0_4arch9wavefront6targetE1EEEvT1_,comdat
.Lfunc_end1046:
	.size	_ZN7rocprim17ROCPRIM_400000_NS6detail17trampoline_kernelINS0_14default_configENS1_25transform_config_selectorIlLb0EEEZNS1_14transform_implILb0ES3_S5_NS0_18transform_iteratorINS0_17counting_iteratorImlEEZNS1_24adjacent_difference_implIS3_Lb1ELb0EPlSB_ZN2at6native12_GLOBAL__N_124unique_dim_cuda_templateIbEESt5tupleIJNSC_6TensorESH_SH_EERKSH_lbbbEUlllE1_EE10hipError_tPvRmT2_T3_mT4_P12ihipStream_tbEUlmE_lEESB_NS0_8identityIvEEEESM_SP_SQ_mSR_ST_bEUlT_E_NS1_11comp_targetILNS1_3genE2ELNS1_11target_archE906ELNS1_3gpuE6ELNS1_3repE0EEENS1_30default_config_static_selectorELNS0_4arch9wavefront6targetE1EEEvT1_, .Lfunc_end1046-_ZN7rocprim17ROCPRIM_400000_NS6detail17trampoline_kernelINS0_14default_configENS1_25transform_config_selectorIlLb0EEEZNS1_14transform_implILb0ES3_S5_NS0_18transform_iteratorINS0_17counting_iteratorImlEEZNS1_24adjacent_difference_implIS3_Lb1ELb0EPlSB_ZN2at6native12_GLOBAL__N_124unique_dim_cuda_templateIbEESt5tupleIJNSC_6TensorESH_SH_EERKSH_lbbbEUlllE1_EE10hipError_tPvRmT2_T3_mT4_P12ihipStream_tbEUlmE_lEESB_NS0_8identityIvEEEESM_SP_SQ_mSR_ST_bEUlT_E_NS1_11comp_targetILNS1_3genE2ELNS1_11target_archE906ELNS1_3gpuE6ELNS1_3repE0EEENS1_30default_config_static_selectorELNS0_4arch9wavefront6targetE1EEEvT1_
                                        ; -- End function
	.section	.AMDGPU.csdata,"",@progbits
; Kernel info:
; codeLenInByte = 0
; NumSgprs: 6
; NumVgprs: 0
; NumAgprs: 0
; TotalNumVgprs: 0
; ScratchSize: 0
; MemoryBound: 0
; FloatMode: 240
; IeeeMode: 1
; LDSByteSize: 0 bytes/workgroup (compile time only)
; SGPRBlocks: 0
; VGPRBlocks: 0
; NumSGPRsForWavesPerEU: 6
; NumVGPRsForWavesPerEU: 1
; AccumOffset: 4
; Occupancy: 8
; WaveLimiterHint : 0
; COMPUTE_PGM_RSRC2:SCRATCH_EN: 0
; COMPUTE_PGM_RSRC2:USER_SGPR: 2
; COMPUTE_PGM_RSRC2:TRAP_HANDLER: 0
; COMPUTE_PGM_RSRC2:TGID_X_EN: 1
; COMPUTE_PGM_RSRC2:TGID_Y_EN: 0
; COMPUTE_PGM_RSRC2:TGID_Z_EN: 0
; COMPUTE_PGM_RSRC2:TIDIG_COMP_CNT: 0
; COMPUTE_PGM_RSRC3_GFX90A:ACCUM_OFFSET: 0
; COMPUTE_PGM_RSRC3_GFX90A:TG_SPLIT: 0
	.section	.text._ZN7rocprim17ROCPRIM_400000_NS6detail17trampoline_kernelINS0_14default_configENS1_25transform_config_selectorIlLb0EEEZNS1_14transform_implILb0ES3_S5_NS0_18transform_iteratorINS0_17counting_iteratorImlEEZNS1_24adjacent_difference_implIS3_Lb1ELb0EPlSB_ZN2at6native12_GLOBAL__N_124unique_dim_cuda_templateIbEESt5tupleIJNSC_6TensorESH_SH_EERKSH_lbbbEUlllE1_EE10hipError_tPvRmT2_T3_mT4_P12ihipStream_tbEUlmE_lEESB_NS0_8identityIvEEEESM_SP_SQ_mSR_ST_bEUlT_E_NS1_11comp_targetILNS1_3genE10ELNS1_11target_archE1201ELNS1_3gpuE5ELNS1_3repE0EEENS1_30default_config_static_selectorELNS0_4arch9wavefront6targetE1EEEvT1_,"axG",@progbits,_ZN7rocprim17ROCPRIM_400000_NS6detail17trampoline_kernelINS0_14default_configENS1_25transform_config_selectorIlLb0EEEZNS1_14transform_implILb0ES3_S5_NS0_18transform_iteratorINS0_17counting_iteratorImlEEZNS1_24adjacent_difference_implIS3_Lb1ELb0EPlSB_ZN2at6native12_GLOBAL__N_124unique_dim_cuda_templateIbEESt5tupleIJNSC_6TensorESH_SH_EERKSH_lbbbEUlllE1_EE10hipError_tPvRmT2_T3_mT4_P12ihipStream_tbEUlmE_lEESB_NS0_8identityIvEEEESM_SP_SQ_mSR_ST_bEUlT_E_NS1_11comp_targetILNS1_3genE10ELNS1_11target_archE1201ELNS1_3gpuE5ELNS1_3repE0EEENS1_30default_config_static_selectorELNS0_4arch9wavefront6targetE1EEEvT1_,comdat
	.globl	_ZN7rocprim17ROCPRIM_400000_NS6detail17trampoline_kernelINS0_14default_configENS1_25transform_config_selectorIlLb0EEEZNS1_14transform_implILb0ES3_S5_NS0_18transform_iteratorINS0_17counting_iteratorImlEEZNS1_24adjacent_difference_implIS3_Lb1ELb0EPlSB_ZN2at6native12_GLOBAL__N_124unique_dim_cuda_templateIbEESt5tupleIJNSC_6TensorESH_SH_EERKSH_lbbbEUlllE1_EE10hipError_tPvRmT2_T3_mT4_P12ihipStream_tbEUlmE_lEESB_NS0_8identityIvEEEESM_SP_SQ_mSR_ST_bEUlT_E_NS1_11comp_targetILNS1_3genE10ELNS1_11target_archE1201ELNS1_3gpuE5ELNS1_3repE0EEENS1_30default_config_static_selectorELNS0_4arch9wavefront6targetE1EEEvT1_ ; -- Begin function _ZN7rocprim17ROCPRIM_400000_NS6detail17trampoline_kernelINS0_14default_configENS1_25transform_config_selectorIlLb0EEEZNS1_14transform_implILb0ES3_S5_NS0_18transform_iteratorINS0_17counting_iteratorImlEEZNS1_24adjacent_difference_implIS3_Lb1ELb0EPlSB_ZN2at6native12_GLOBAL__N_124unique_dim_cuda_templateIbEESt5tupleIJNSC_6TensorESH_SH_EERKSH_lbbbEUlllE1_EE10hipError_tPvRmT2_T3_mT4_P12ihipStream_tbEUlmE_lEESB_NS0_8identityIvEEEESM_SP_SQ_mSR_ST_bEUlT_E_NS1_11comp_targetILNS1_3genE10ELNS1_11target_archE1201ELNS1_3gpuE5ELNS1_3repE0EEENS1_30default_config_static_selectorELNS0_4arch9wavefront6targetE1EEEvT1_
	.p2align	8
	.type	_ZN7rocprim17ROCPRIM_400000_NS6detail17trampoline_kernelINS0_14default_configENS1_25transform_config_selectorIlLb0EEEZNS1_14transform_implILb0ES3_S5_NS0_18transform_iteratorINS0_17counting_iteratorImlEEZNS1_24adjacent_difference_implIS3_Lb1ELb0EPlSB_ZN2at6native12_GLOBAL__N_124unique_dim_cuda_templateIbEESt5tupleIJNSC_6TensorESH_SH_EERKSH_lbbbEUlllE1_EE10hipError_tPvRmT2_T3_mT4_P12ihipStream_tbEUlmE_lEESB_NS0_8identityIvEEEESM_SP_SQ_mSR_ST_bEUlT_E_NS1_11comp_targetILNS1_3genE10ELNS1_11target_archE1201ELNS1_3gpuE5ELNS1_3repE0EEENS1_30default_config_static_selectorELNS0_4arch9wavefront6targetE1EEEvT1_,@function
_ZN7rocprim17ROCPRIM_400000_NS6detail17trampoline_kernelINS0_14default_configENS1_25transform_config_selectorIlLb0EEEZNS1_14transform_implILb0ES3_S5_NS0_18transform_iteratorINS0_17counting_iteratorImlEEZNS1_24adjacent_difference_implIS3_Lb1ELb0EPlSB_ZN2at6native12_GLOBAL__N_124unique_dim_cuda_templateIbEESt5tupleIJNSC_6TensorESH_SH_EERKSH_lbbbEUlllE1_EE10hipError_tPvRmT2_T3_mT4_P12ihipStream_tbEUlmE_lEESB_NS0_8identityIvEEEESM_SP_SQ_mSR_ST_bEUlT_E_NS1_11comp_targetILNS1_3genE10ELNS1_11target_archE1201ELNS1_3gpuE5ELNS1_3repE0EEENS1_30default_config_static_selectorELNS0_4arch9wavefront6targetE1EEEvT1_: ; @_ZN7rocprim17ROCPRIM_400000_NS6detail17trampoline_kernelINS0_14default_configENS1_25transform_config_selectorIlLb0EEEZNS1_14transform_implILb0ES3_S5_NS0_18transform_iteratorINS0_17counting_iteratorImlEEZNS1_24adjacent_difference_implIS3_Lb1ELb0EPlSB_ZN2at6native12_GLOBAL__N_124unique_dim_cuda_templateIbEESt5tupleIJNSC_6TensorESH_SH_EERKSH_lbbbEUlllE1_EE10hipError_tPvRmT2_T3_mT4_P12ihipStream_tbEUlmE_lEESB_NS0_8identityIvEEEESM_SP_SQ_mSR_ST_bEUlT_E_NS1_11comp_targetILNS1_3genE10ELNS1_11target_archE1201ELNS1_3gpuE5ELNS1_3repE0EEENS1_30default_config_static_selectorELNS0_4arch9wavefront6targetE1EEEvT1_
; %bb.0:
	.section	.rodata,"a",@progbits
	.p2align	6, 0x0
	.amdhsa_kernel _ZN7rocprim17ROCPRIM_400000_NS6detail17trampoline_kernelINS0_14default_configENS1_25transform_config_selectorIlLb0EEEZNS1_14transform_implILb0ES3_S5_NS0_18transform_iteratorINS0_17counting_iteratorImlEEZNS1_24adjacent_difference_implIS3_Lb1ELb0EPlSB_ZN2at6native12_GLOBAL__N_124unique_dim_cuda_templateIbEESt5tupleIJNSC_6TensorESH_SH_EERKSH_lbbbEUlllE1_EE10hipError_tPvRmT2_T3_mT4_P12ihipStream_tbEUlmE_lEESB_NS0_8identityIvEEEESM_SP_SQ_mSR_ST_bEUlT_E_NS1_11comp_targetILNS1_3genE10ELNS1_11target_archE1201ELNS1_3gpuE5ELNS1_3repE0EEENS1_30default_config_static_selectorELNS0_4arch9wavefront6targetE1EEEvT1_
		.amdhsa_group_segment_fixed_size 0
		.amdhsa_private_segment_fixed_size 0
		.amdhsa_kernarg_size 56
		.amdhsa_user_sgpr_count 2
		.amdhsa_user_sgpr_dispatch_ptr 0
		.amdhsa_user_sgpr_queue_ptr 0
		.amdhsa_user_sgpr_kernarg_segment_ptr 1
		.amdhsa_user_sgpr_dispatch_id 0
		.amdhsa_user_sgpr_kernarg_preload_length 0
		.amdhsa_user_sgpr_kernarg_preload_offset 0
		.amdhsa_user_sgpr_private_segment_size 0
		.amdhsa_uses_dynamic_stack 0
		.amdhsa_enable_private_segment 0
		.amdhsa_system_sgpr_workgroup_id_x 1
		.amdhsa_system_sgpr_workgroup_id_y 0
		.amdhsa_system_sgpr_workgroup_id_z 0
		.amdhsa_system_sgpr_workgroup_info 0
		.amdhsa_system_vgpr_workitem_id 0
		.amdhsa_next_free_vgpr 1
		.amdhsa_next_free_sgpr 0
		.amdhsa_accum_offset 4
		.amdhsa_reserve_vcc 0
		.amdhsa_float_round_mode_32 0
		.amdhsa_float_round_mode_16_64 0
		.amdhsa_float_denorm_mode_32 3
		.amdhsa_float_denorm_mode_16_64 3
		.amdhsa_dx10_clamp 1
		.amdhsa_ieee_mode 1
		.amdhsa_fp16_overflow 0
		.amdhsa_tg_split 0
		.amdhsa_exception_fp_ieee_invalid_op 0
		.amdhsa_exception_fp_denorm_src 0
		.amdhsa_exception_fp_ieee_div_zero 0
		.amdhsa_exception_fp_ieee_overflow 0
		.amdhsa_exception_fp_ieee_underflow 0
		.amdhsa_exception_fp_ieee_inexact 0
		.amdhsa_exception_int_div_zero 0
	.end_amdhsa_kernel
	.section	.text._ZN7rocprim17ROCPRIM_400000_NS6detail17trampoline_kernelINS0_14default_configENS1_25transform_config_selectorIlLb0EEEZNS1_14transform_implILb0ES3_S5_NS0_18transform_iteratorINS0_17counting_iteratorImlEEZNS1_24adjacent_difference_implIS3_Lb1ELb0EPlSB_ZN2at6native12_GLOBAL__N_124unique_dim_cuda_templateIbEESt5tupleIJNSC_6TensorESH_SH_EERKSH_lbbbEUlllE1_EE10hipError_tPvRmT2_T3_mT4_P12ihipStream_tbEUlmE_lEESB_NS0_8identityIvEEEESM_SP_SQ_mSR_ST_bEUlT_E_NS1_11comp_targetILNS1_3genE10ELNS1_11target_archE1201ELNS1_3gpuE5ELNS1_3repE0EEENS1_30default_config_static_selectorELNS0_4arch9wavefront6targetE1EEEvT1_,"axG",@progbits,_ZN7rocprim17ROCPRIM_400000_NS6detail17trampoline_kernelINS0_14default_configENS1_25transform_config_selectorIlLb0EEEZNS1_14transform_implILb0ES3_S5_NS0_18transform_iteratorINS0_17counting_iteratorImlEEZNS1_24adjacent_difference_implIS3_Lb1ELb0EPlSB_ZN2at6native12_GLOBAL__N_124unique_dim_cuda_templateIbEESt5tupleIJNSC_6TensorESH_SH_EERKSH_lbbbEUlllE1_EE10hipError_tPvRmT2_T3_mT4_P12ihipStream_tbEUlmE_lEESB_NS0_8identityIvEEEESM_SP_SQ_mSR_ST_bEUlT_E_NS1_11comp_targetILNS1_3genE10ELNS1_11target_archE1201ELNS1_3gpuE5ELNS1_3repE0EEENS1_30default_config_static_selectorELNS0_4arch9wavefront6targetE1EEEvT1_,comdat
.Lfunc_end1047:
	.size	_ZN7rocprim17ROCPRIM_400000_NS6detail17trampoline_kernelINS0_14default_configENS1_25transform_config_selectorIlLb0EEEZNS1_14transform_implILb0ES3_S5_NS0_18transform_iteratorINS0_17counting_iteratorImlEEZNS1_24adjacent_difference_implIS3_Lb1ELb0EPlSB_ZN2at6native12_GLOBAL__N_124unique_dim_cuda_templateIbEESt5tupleIJNSC_6TensorESH_SH_EERKSH_lbbbEUlllE1_EE10hipError_tPvRmT2_T3_mT4_P12ihipStream_tbEUlmE_lEESB_NS0_8identityIvEEEESM_SP_SQ_mSR_ST_bEUlT_E_NS1_11comp_targetILNS1_3genE10ELNS1_11target_archE1201ELNS1_3gpuE5ELNS1_3repE0EEENS1_30default_config_static_selectorELNS0_4arch9wavefront6targetE1EEEvT1_, .Lfunc_end1047-_ZN7rocprim17ROCPRIM_400000_NS6detail17trampoline_kernelINS0_14default_configENS1_25transform_config_selectorIlLb0EEEZNS1_14transform_implILb0ES3_S5_NS0_18transform_iteratorINS0_17counting_iteratorImlEEZNS1_24adjacent_difference_implIS3_Lb1ELb0EPlSB_ZN2at6native12_GLOBAL__N_124unique_dim_cuda_templateIbEESt5tupleIJNSC_6TensorESH_SH_EERKSH_lbbbEUlllE1_EE10hipError_tPvRmT2_T3_mT4_P12ihipStream_tbEUlmE_lEESB_NS0_8identityIvEEEESM_SP_SQ_mSR_ST_bEUlT_E_NS1_11comp_targetILNS1_3genE10ELNS1_11target_archE1201ELNS1_3gpuE5ELNS1_3repE0EEENS1_30default_config_static_selectorELNS0_4arch9wavefront6targetE1EEEvT1_
                                        ; -- End function
	.section	.AMDGPU.csdata,"",@progbits
; Kernel info:
; codeLenInByte = 0
; NumSgprs: 6
; NumVgprs: 0
; NumAgprs: 0
; TotalNumVgprs: 0
; ScratchSize: 0
; MemoryBound: 0
; FloatMode: 240
; IeeeMode: 1
; LDSByteSize: 0 bytes/workgroup (compile time only)
; SGPRBlocks: 0
; VGPRBlocks: 0
; NumSGPRsForWavesPerEU: 6
; NumVGPRsForWavesPerEU: 1
; AccumOffset: 4
; Occupancy: 8
; WaveLimiterHint : 0
; COMPUTE_PGM_RSRC2:SCRATCH_EN: 0
; COMPUTE_PGM_RSRC2:USER_SGPR: 2
; COMPUTE_PGM_RSRC2:TRAP_HANDLER: 0
; COMPUTE_PGM_RSRC2:TGID_X_EN: 1
; COMPUTE_PGM_RSRC2:TGID_Y_EN: 0
; COMPUTE_PGM_RSRC2:TGID_Z_EN: 0
; COMPUTE_PGM_RSRC2:TIDIG_COMP_CNT: 0
; COMPUTE_PGM_RSRC3_GFX90A:ACCUM_OFFSET: 0
; COMPUTE_PGM_RSRC3_GFX90A:TG_SPLIT: 0
	.section	.text._ZN7rocprim17ROCPRIM_400000_NS6detail17trampoline_kernelINS0_14default_configENS1_25transform_config_selectorIlLb0EEEZNS1_14transform_implILb0ES3_S5_NS0_18transform_iteratorINS0_17counting_iteratorImlEEZNS1_24adjacent_difference_implIS3_Lb1ELb0EPlSB_ZN2at6native12_GLOBAL__N_124unique_dim_cuda_templateIbEESt5tupleIJNSC_6TensorESH_SH_EERKSH_lbbbEUlllE1_EE10hipError_tPvRmT2_T3_mT4_P12ihipStream_tbEUlmE_lEESB_NS0_8identityIvEEEESM_SP_SQ_mSR_ST_bEUlT_E_NS1_11comp_targetILNS1_3genE10ELNS1_11target_archE1200ELNS1_3gpuE4ELNS1_3repE0EEENS1_30default_config_static_selectorELNS0_4arch9wavefront6targetE1EEEvT1_,"axG",@progbits,_ZN7rocprim17ROCPRIM_400000_NS6detail17trampoline_kernelINS0_14default_configENS1_25transform_config_selectorIlLb0EEEZNS1_14transform_implILb0ES3_S5_NS0_18transform_iteratorINS0_17counting_iteratorImlEEZNS1_24adjacent_difference_implIS3_Lb1ELb0EPlSB_ZN2at6native12_GLOBAL__N_124unique_dim_cuda_templateIbEESt5tupleIJNSC_6TensorESH_SH_EERKSH_lbbbEUlllE1_EE10hipError_tPvRmT2_T3_mT4_P12ihipStream_tbEUlmE_lEESB_NS0_8identityIvEEEESM_SP_SQ_mSR_ST_bEUlT_E_NS1_11comp_targetILNS1_3genE10ELNS1_11target_archE1200ELNS1_3gpuE4ELNS1_3repE0EEENS1_30default_config_static_selectorELNS0_4arch9wavefront6targetE1EEEvT1_,comdat
	.globl	_ZN7rocprim17ROCPRIM_400000_NS6detail17trampoline_kernelINS0_14default_configENS1_25transform_config_selectorIlLb0EEEZNS1_14transform_implILb0ES3_S5_NS0_18transform_iteratorINS0_17counting_iteratorImlEEZNS1_24adjacent_difference_implIS3_Lb1ELb0EPlSB_ZN2at6native12_GLOBAL__N_124unique_dim_cuda_templateIbEESt5tupleIJNSC_6TensorESH_SH_EERKSH_lbbbEUlllE1_EE10hipError_tPvRmT2_T3_mT4_P12ihipStream_tbEUlmE_lEESB_NS0_8identityIvEEEESM_SP_SQ_mSR_ST_bEUlT_E_NS1_11comp_targetILNS1_3genE10ELNS1_11target_archE1200ELNS1_3gpuE4ELNS1_3repE0EEENS1_30default_config_static_selectorELNS0_4arch9wavefront6targetE1EEEvT1_ ; -- Begin function _ZN7rocprim17ROCPRIM_400000_NS6detail17trampoline_kernelINS0_14default_configENS1_25transform_config_selectorIlLb0EEEZNS1_14transform_implILb0ES3_S5_NS0_18transform_iteratorINS0_17counting_iteratorImlEEZNS1_24adjacent_difference_implIS3_Lb1ELb0EPlSB_ZN2at6native12_GLOBAL__N_124unique_dim_cuda_templateIbEESt5tupleIJNSC_6TensorESH_SH_EERKSH_lbbbEUlllE1_EE10hipError_tPvRmT2_T3_mT4_P12ihipStream_tbEUlmE_lEESB_NS0_8identityIvEEEESM_SP_SQ_mSR_ST_bEUlT_E_NS1_11comp_targetILNS1_3genE10ELNS1_11target_archE1200ELNS1_3gpuE4ELNS1_3repE0EEENS1_30default_config_static_selectorELNS0_4arch9wavefront6targetE1EEEvT1_
	.p2align	8
	.type	_ZN7rocprim17ROCPRIM_400000_NS6detail17trampoline_kernelINS0_14default_configENS1_25transform_config_selectorIlLb0EEEZNS1_14transform_implILb0ES3_S5_NS0_18transform_iteratorINS0_17counting_iteratorImlEEZNS1_24adjacent_difference_implIS3_Lb1ELb0EPlSB_ZN2at6native12_GLOBAL__N_124unique_dim_cuda_templateIbEESt5tupleIJNSC_6TensorESH_SH_EERKSH_lbbbEUlllE1_EE10hipError_tPvRmT2_T3_mT4_P12ihipStream_tbEUlmE_lEESB_NS0_8identityIvEEEESM_SP_SQ_mSR_ST_bEUlT_E_NS1_11comp_targetILNS1_3genE10ELNS1_11target_archE1200ELNS1_3gpuE4ELNS1_3repE0EEENS1_30default_config_static_selectorELNS0_4arch9wavefront6targetE1EEEvT1_,@function
_ZN7rocprim17ROCPRIM_400000_NS6detail17trampoline_kernelINS0_14default_configENS1_25transform_config_selectorIlLb0EEEZNS1_14transform_implILb0ES3_S5_NS0_18transform_iteratorINS0_17counting_iteratorImlEEZNS1_24adjacent_difference_implIS3_Lb1ELb0EPlSB_ZN2at6native12_GLOBAL__N_124unique_dim_cuda_templateIbEESt5tupleIJNSC_6TensorESH_SH_EERKSH_lbbbEUlllE1_EE10hipError_tPvRmT2_T3_mT4_P12ihipStream_tbEUlmE_lEESB_NS0_8identityIvEEEESM_SP_SQ_mSR_ST_bEUlT_E_NS1_11comp_targetILNS1_3genE10ELNS1_11target_archE1200ELNS1_3gpuE4ELNS1_3repE0EEENS1_30default_config_static_selectorELNS0_4arch9wavefront6targetE1EEEvT1_: ; @_ZN7rocprim17ROCPRIM_400000_NS6detail17trampoline_kernelINS0_14default_configENS1_25transform_config_selectorIlLb0EEEZNS1_14transform_implILb0ES3_S5_NS0_18transform_iteratorINS0_17counting_iteratorImlEEZNS1_24adjacent_difference_implIS3_Lb1ELb0EPlSB_ZN2at6native12_GLOBAL__N_124unique_dim_cuda_templateIbEESt5tupleIJNSC_6TensorESH_SH_EERKSH_lbbbEUlllE1_EE10hipError_tPvRmT2_T3_mT4_P12ihipStream_tbEUlmE_lEESB_NS0_8identityIvEEEESM_SP_SQ_mSR_ST_bEUlT_E_NS1_11comp_targetILNS1_3genE10ELNS1_11target_archE1200ELNS1_3gpuE4ELNS1_3repE0EEENS1_30default_config_static_selectorELNS0_4arch9wavefront6targetE1EEEvT1_
; %bb.0:
	.section	.rodata,"a",@progbits
	.p2align	6, 0x0
	.amdhsa_kernel _ZN7rocprim17ROCPRIM_400000_NS6detail17trampoline_kernelINS0_14default_configENS1_25transform_config_selectorIlLb0EEEZNS1_14transform_implILb0ES3_S5_NS0_18transform_iteratorINS0_17counting_iteratorImlEEZNS1_24adjacent_difference_implIS3_Lb1ELb0EPlSB_ZN2at6native12_GLOBAL__N_124unique_dim_cuda_templateIbEESt5tupleIJNSC_6TensorESH_SH_EERKSH_lbbbEUlllE1_EE10hipError_tPvRmT2_T3_mT4_P12ihipStream_tbEUlmE_lEESB_NS0_8identityIvEEEESM_SP_SQ_mSR_ST_bEUlT_E_NS1_11comp_targetILNS1_3genE10ELNS1_11target_archE1200ELNS1_3gpuE4ELNS1_3repE0EEENS1_30default_config_static_selectorELNS0_4arch9wavefront6targetE1EEEvT1_
		.amdhsa_group_segment_fixed_size 0
		.amdhsa_private_segment_fixed_size 0
		.amdhsa_kernarg_size 56
		.amdhsa_user_sgpr_count 2
		.amdhsa_user_sgpr_dispatch_ptr 0
		.amdhsa_user_sgpr_queue_ptr 0
		.amdhsa_user_sgpr_kernarg_segment_ptr 1
		.amdhsa_user_sgpr_dispatch_id 0
		.amdhsa_user_sgpr_kernarg_preload_length 0
		.amdhsa_user_sgpr_kernarg_preload_offset 0
		.amdhsa_user_sgpr_private_segment_size 0
		.amdhsa_uses_dynamic_stack 0
		.amdhsa_enable_private_segment 0
		.amdhsa_system_sgpr_workgroup_id_x 1
		.amdhsa_system_sgpr_workgroup_id_y 0
		.amdhsa_system_sgpr_workgroup_id_z 0
		.amdhsa_system_sgpr_workgroup_info 0
		.amdhsa_system_vgpr_workitem_id 0
		.amdhsa_next_free_vgpr 1
		.amdhsa_next_free_sgpr 0
		.amdhsa_accum_offset 4
		.amdhsa_reserve_vcc 0
		.amdhsa_float_round_mode_32 0
		.amdhsa_float_round_mode_16_64 0
		.amdhsa_float_denorm_mode_32 3
		.amdhsa_float_denorm_mode_16_64 3
		.amdhsa_dx10_clamp 1
		.amdhsa_ieee_mode 1
		.amdhsa_fp16_overflow 0
		.amdhsa_tg_split 0
		.amdhsa_exception_fp_ieee_invalid_op 0
		.amdhsa_exception_fp_denorm_src 0
		.amdhsa_exception_fp_ieee_div_zero 0
		.amdhsa_exception_fp_ieee_overflow 0
		.amdhsa_exception_fp_ieee_underflow 0
		.amdhsa_exception_fp_ieee_inexact 0
		.amdhsa_exception_int_div_zero 0
	.end_amdhsa_kernel
	.section	.text._ZN7rocprim17ROCPRIM_400000_NS6detail17trampoline_kernelINS0_14default_configENS1_25transform_config_selectorIlLb0EEEZNS1_14transform_implILb0ES3_S5_NS0_18transform_iteratorINS0_17counting_iteratorImlEEZNS1_24adjacent_difference_implIS3_Lb1ELb0EPlSB_ZN2at6native12_GLOBAL__N_124unique_dim_cuda_templateIbEESt5tupleIJNSC_6TensorESH_SH_EERKSH_lbbbEUlllE1_EE10hipError_tPvRmT2_T3_mT4_P12ihipStream_tbEUlmE_lEESB_NS0_8identityIvEEEESM_SP_SQ_mSR_ST_bEUlT_E_NS1_11comp_targetILNS1_3genE10ELNS1_11target_archE1200ELNS1_3gpuE4ELNS1_3repE0EEENS1_30default_config_static_selectorELNS0_4arch9wavefront6targetE1EEEvT1_,"axG",@progbits,_ZN7rocprim17ROCPRIM_400000_NS6detail17trampoline_kernelINS0_14default_configENS1_25transform_config_selectorIlLb0EEEZNS1_14transform_implILb0ES3_S5_NS0_18transform_iteratorINS0_17counting_iteratorImlEEZNS1_24adjacent_difference_implIS3_Lb1ELb0EPlSB_ZN2at6native12_GLOBAL__N_124unique_dim_cuda_templateIbEESt5tupleIJNSC_6TensorESH_SH_EERKSH_lbbbEUlllE1_EE10hipError_tPvRmT2_T3_mT4_P12ihipStream_tbEUlmE_lEESB_NS0_8identityIvEEEESM_SP_SQ_mSR_ST_bEUlT_E_NS1_11comp_targetILNS1_3genE10ELNS1_11target_archE1200ELNS1_3gpuE4ELNS1_3repE0EEENS1_30default_config_static_selectorELNS0_4arch9wavefront6targetE1EEEvT1_,comdat
.Lfunc_end1048:
	.size	_ZN7rocprim17ROCPRIM_400000_NS6detail17trampoline_kernelINS0_14default_configENS1_25transform_config_selectorIlLb0EEEZNS1_14transform_implILb0ES3_S5_NS0_18transform_iteratorINS0_17counting_iteratorImlEEZNS1_24adjacent_difference_implIS3_Lb1ELb0EPlSB_ZN2at6native12_GLOBAL__N_124unique_dim_cuda_templateIbEESt5tupleIJNSC_6TensorESH_SH_EERKSH_lbbbEUlllE1_EE10hipError_tPvRmT2_T3_mT4_P12ihipStream_tbEUlmE_lEESB_NS0_8identityIvEEEESM_SP_SQ_mSR_ST_bEUlT_E_NS1_11comp_targetILNS1_3genE10ELNS1_11target_archE1200ELNS1_3gpuE4ELNS1_3repE0EEENS1_30default_config_static_selectorELNS0_4arch9wavefront6targetE1EEEvT1_, .Lfunc_end1048-_ZN7rocprim17ROCPRIM_400000_NS6detail17trampoline_kernelINS0_14default_configENS1_25transform_config_selectorIlLb0EEEZNS1_14transform_implILb0ES3_S5_NS0_18transform_iteratorINS0_17counting_iteratorImlEEZNS1_24adjacent_difference_implIS3_Lb1ELb0EPlSB_ZN2at6native12_GLOBAL__N_124unique_dim_cuda_templateIbEESt5tupleIJNSC_6TensorESH_SH_EERKSH_lbbbEUlllE1_EE10hipError_tPvRmT2_T3_mT4_P12ihipStream_tbEUlmE_lEESB_NS0_8identityIvEEEESM_SP_SQ_mSR_ST_bEUlT_E_NS1_11comp_targetILNS1_3genE10ELNS1_11target_archE1200ELNS1_3gpuE4ELNS1_3repE0EEENS1_30default_config_static_selectorELNS0_4arch9wavefront6targetE1EEEvT1_
                                        ; -- End function
	.section	.AMDGPU.csdata,"",@progbits
; Kernel info:
; codeLenInByte = 0
; NumSgprs: 6
; NumVgprs: 0
; NumAgprs: 0
; TotalNumVgprs: 0
; ScratchSize: 0
; MemoryBound: 0
; FloatMode: 240
; IeeeMode: 1
; LDSByteSize: 0 bytes/workgroup (compile time only)
; SGPRBlocks: 0
; VGPRBlocks: 0
; NumSGPRsForWavesPerEU: 6
; NumVGPRsForWavesPerEU: 1
; AccumOffset: 4
; Occupancy: 8
; WaveLimiterHint : 0
; COMPUTE_PGM_RSRC2:SCRATCH_EN: 0
; COMPUTE_PGM_RSRC2:USER_SGPR: 2
; COMPUTE_PGM_RSRC2:TRAP_HANDLER: 0
; COMPUTE_PGM_RSRC2:TGID_X_EN: 1
; COMPUTE_PGM_RSRC2:TGID_Y_EN: 0
; COMPUTE_PGM_RSRC2:TGID_Z_EN: 0
; COMPUTE_PGM_RSRC2:TIDIG_COMP_CNT: 0
; COMPUTE_PGM_RSRC3_GFX90A:ACCUM_OFFSET: 0
; COMPUTE_PGM_RSRC3_GFX90A:TG_SPLIT: 0
	.section	.text._ZN7rocprim17ROCPRIM_400000_NS6detail17trampoline_kernelINS0_14default_configENS1_25transform_config_selectorIlLb0EEEZNS1_14transform_implILb0ES3_S5_NS0_18transform_iteratorINS0_17counting_iteratorImlEEZNS1_24adjacent_difference_implIS3_Lb1ELb0EPlSB_ZN2at6native12_GLOBAL__N_124unique_dim_cuda_templateIbEESt5tupleIJNSC_6TensorESH_SH_EERKSH_lbbbEUlllE1_EE10hipError_tPvRmT2_T3_mT4_P12ihipStream_tbEUlmE_lEESB_NS0_8identityIvEEEESM_SP_SQ_mSR_ST_bEUlT_E_NS1_11comp_targetILNS1_3genE9ELNS1_11target_archE1100ELNS1_3gpuE3ELNS1_3repE0EEENS1_30default_config_static_selectorELNS0_4arch9wavefront6targetE1EEEvT1_,"axG",@progbits,_ZN7rocprim17ROCPRIM_400000_NS6detail17trampoline_kernelINS0_14default_configENS1_25transform_config_selectorIlLb0EEEZNS1_14transform_implILb0ES3_S5_NS0_18transform_iteratorINS0_17counting_iteratorImlEEZNS1_24adjacent_difference_implIS3_Lb1ELb0EPlSB_ZN2at6native12_GLOBAL__N_124unique_dim_cuda_templateIbEESt5tupleIJNSC_6TensorESH_SH_EERKSH_lbbbEUlllE1_EE10hipError_tPvRmT2_T3_mT4_P12ihipStream_tbEUlmE_lEESB_NS0_8identityIvEEEESM_SP_SQ_mSR_ST_bEUlT_E_NS1_11comp_targetILNS1_3genE9ELNS1_11target_archE1100ELNS1_3gpuE3ELNS1_3repE0EEENS1_30default_config_static_selectorELNS0_4arch9wavefront6targetE1EEEvT1_,comdat
	.globl	_ZN7rocprim17ROCPRIM_400000_NS6detail17trampoline_kernelINS0_14default_configENS1_25transform_config_selectorIlLb0EEEZNS1_14transform_implILb0ES3_S5_NS0_18transform_iteratorINS0_17counting_iteratorImlEEZNS1_24adjacent_difference_implIS3_Lb1ELb0EPlSB_ZN2at6native12_GLOBAL__N_124unique_dim_cuda_templateIbEESt5tupleIJNSC_6TensorESH_SH_EERKSH_lbbbEUlllE1_EE10hipError_tPvRmT2_T3_mT4_P12ihipStream_tbEUlmE_lEESB_NS0_8identityIvEEEESM_SP_SQ_mSR_ST_bEUlT_E_NS1_11comp_targetILNS1_3genE9ELNS1_11target_archE1100ELNS1_3gpuE3ELNS1_3repE0EEENS1_30default_config_static_selectorELNS0_4arch9wavefront6targetE1EEEvT1_ ; -- Begin function _ZN7rocprim17ROCPRIM_400000_NS6detail17trampoline_kernelINS0_14default_configENS1_25transform_config_selectorIlLb0EEEZNS1_14transform_implILb0ES3_S5_NS0_18transform_iteratorINS0_17counting_iteratorImlEEZNS1_24adjacent_difference_implIS3_Lb1ELb0EPlSB_ZN2at6native12_GLOBAL__N_124unique_dim_cuda_templateIbEESt5tupleIJNSC_6TensorESH_SH_EERKSH_lbbbEUlllE1_EE10hipError_tPvRmT2_T3_mT4_P12ihipStream_tbEUlmE_lEESB_NS0_8identityIvEEEESM_SP_SQ_mSR_ST_bEUlT_E_NS1_11comp_targetILNS1_3genE9ELNS1_11target_archE1100ELNS1_3gpuE3ELNS1_3repE0EEENS1_30default_config_static_selectorELNS0_4arch9wavefront6targetE1EEEvT1_
	.p2align	8
	.type	_ZN7rocprim17ROCPRIM_400000_NS6detail17trampoline_kernelINS0_14default_configENS1_25transform_config_selectorIlLb0EEEZNS1_14transform_implILb0ES3_S5_NS0_18transform_iteratorINS0_17counting_iteratorImlEEZNS1_24adjacent_difference_implIS3_Lb1ELb0EPlSB_ZN2at6native12_GLOBAL__N_124unique_dim_cuda_templateIbEESt5tupleIJNSC_6TensorESH_SH_EERKSH_lbbbEUlllE1_EE10hipError_tPvRmT2_T3_mT4_P12ihipStream_tbEUlmE_lEESB_NS0_8identityIvEEEESM_SP_SQ_mSR_ST_bEUlT_E_NS1_11comp_targetILNS1_3genE9ELNS1_11target_archE1100ELNS1_3gpuE3ELNS1_3repE0EEENS1_30default_config_static_selectorELNS0_4arch9wavefront6targetE1EEEvT1_,@function
_ZN7rocprim17ROCPRIM_400000_NS6detail17trampoline_kernelINS0_14default_configENS1_25transform_config_selectorIlLb0EEEZNS1_14transform_implILb0ES3_S5_NS0_18transform_iteratorINS0_17counting_iteratorImlEEZNS1_24adjacent_difference_implIS3_Lb1ELb0EPlSB_ZN2at6native12_GLOBAL__N_124unique_dim_cuda_templateIbEESt5tupleIJNSC_6TensorESH_SH_EERKSH_lbbbEUlllE1_EE10hipError_tPvRmT2_T3_mT4_P12ihipStream_tbEUlmE_lEESB_NS0_8identityIvEEEESM_SP_SQ_mSR_ST_bEUlT_E_NS1_11comp_targetILNS1_3genE9ELNS1_11target_archE1100ELNS1_3gpuE3ELNS1_3repE0EEENS1_30default_config_static_selectorELNS0_4arch9wavefront6targetE1EEEvT1_: ; @_ZN7rocprim17ROCPRIM_400000_NS6detail17trampoline_kernelINS0_14default_configENS1_25transform_config_selectorIlLb0EEEZNS1_14transform_implILb0ES3_S5_NS0_18transform_iteratorINS0_17counting_iteratorImlEEZNS1_24adjacent_difference_implIS3_Lb1ELb0EPlSB_ZN2at6native12_GLOBAL__N_124unique_dim_cuda_templateIbEESt5tupleIJNSC_6TensorESH_SH_EERKSH_lbbbEUlllE1_EE10hipError_tPvRmT2_T3_mT4_P12ihipStream_tbEUlmE_lEESB_NS0_8identityIvEEEESM_SP_SQ_mSR_ST_bEUlT_E_NS1_11comp_targetILNS1_3genE9ELNS1_11target_archE1100ELNS1_3gpuE3ELNS1_3repE0EEENS1_30default_config_static_selectorELNS0_4arch9wavefront6targetE1EEEvT1_
; %bb.0:
	.section	.rodata,"a",@progbits
	.p2align	6, 0x0
	.amdhsa_kernel _ZN7rocprim17ROCPRIM_400000_NS6detail17trampoline_kernelINS0_14default_configENS1_25transform_config_selectorIlLb0EEEZNS1_14transform_implILb0ES3_S5_NS0_18transform_iteratorINS0_17counting_iteratorImlEEZNS1_24adjacent_difference_implIS3_Lb1ELb0EPlSB_ZN2at6native12_GLOBAL__N_124unique_dim_cuda_templateIbEESt5tupleIJNSC_6TensorESH_SH_EERKSH_lbbbEUlllE1_EE10hipError_tPvRmT2_T3_mT4_P12ihipStream_tbEUlmE_lEESB_NS0_8identityIvEEEESM_SP_SQ_mSR_ST_bEUlT_E_NS1_11comp_targetILNS1_3genE9ELNS1_11target_archE1100ELNS1_3gpuE3ELNS1_3repE0EEENS1_30default_config_static_selectorELNS0_4arch9wavefront6targetE1EEEvT1_
		.amdhsa_group_segment_fixed_size 0
		.amdhsa_private_segment_fixed_size 0
		.amdhsa_kernarg_size 56
		.amdhsa_user_sgpr_count 2
		.amdhsa_user_sgpr_dispatch_ptr 0
		.amdhsa_user_sgpr_queue_ptr 0
		.amdhsa_user_sgpr_kernarg_segment_ptr 1
		.amdhsa_user_sgpr_dispatch_id 0
		.amdhsa_user_sgpr_kernarg_preload_length 0
		.amdhsa_user_sgpr_kernarg_preload_offset 0
		.amdhsa_user_sgpr_private_segment_size 0
		.amdhsa_uses_dynamic_stack 0
		.amdhsa_enable_private_segment 0
		.amdhsa_system_sgpr_workgroup_id_x 1
		.amdhsa_system_sgpr_workgroup_id_y 0
		.amdhsa_system_sgpr_workgroup_id_z 0
		.amdhsa_system_sgpr_workgroup_info 0
		.amdhsa_system_vgpr_workitem_id 0
		.amdhsa_next_free_vgpr 1
		.amdhsa_next_free_sgpr 0
		.amdhsa_accum_offset 4
		.amdhsa_reserve_vcc 0
		.amdhsa_float_round_mode_32 0
		.amdhsa_float_round_mode_16_64 0
		.amdhsa_float_denorm_mode_32 3
		.amdhsa_float_denorm_mode_16_64 3
		.amdhsa_dx10_clamp 1
		.amdhsa_ieee_mode 1
		.amdhsa_fp16_overflow 0
		.amdhsa_tg_split 0
		.amdhsa_exception_fp_ieee_invalid_op 0
		.amdhsa_exception_fp_denorm_src 0
		.amdhsa_exception_fp_ieee_div_zero 0
		.amdhsa_exception_fp_ieee_overflow 0
		.amdhsa_exception_fp_ieee_underflow 0
		.amdhsa_exception_fp_ieee_inexact 0
		.amdhsa_exception_int_div_zero 0
	.end_amdhsa_kernel
	.section	.text._ZN7rocprim17ROCPRIM_400000_NS6detail17trampoline_kernelINS0_14default_configENS1_25transform_config_selectorIlLb0EEEZNS1_14transform_implILb0ES3_S5_NS0_18transform_iteratorINS0_17counting_iteratorImlEEZNS1_24adjacent_difference_implIS3_Lb1ELb0EPlSB_ZN2at6native12_GLOBAL__N_124unique_dim_cuda_templateIbEESt5tupleIJNSC_6TensorESH_SH_EERKSH_lbbbEUlllE1_EE10hipError_tPvRmT2_T3_mT4_P12ihipStream_tbEUlmE_lEESB_NS0_8identityIvEEEESM_SP_SQ_mSR_ST_bEUlT_E_NS1_11comp_targetILNS1_3genE9ELNS1_11target_archE1100ELNS1_3gpuE3ELNS1_3repE0EEENS1_30default_config_static_selectorELNS0_4arch9wavefront6targetE1EEEvT1_,"axG",@progbits,_ZN7rocprim17ROCPRIM_400000_NS6detail17trampoline_kernelINS0_14default_configENS1_25transform_config_selectorIlLb0EEEZNS1_14transform_implILb0ES3_S5_NS0_18transform_iteratorINS0_17counting_iteratorImlEEZNS1_24adjacent_difference_implIS3_Lb1ELb0EPlSB_ZN2at6native12_GLOBAL__N_124unique_dim_cuda_templateIbEESt5tupleIJNSC_6TensorESH_SH_EERKSH_lbbbEUlllE1_EE10hipError_tPvRmT2_T3_mT4_P12ihipStream_tbEUlmE_lEESB_NS0_8identityIvEEEESM_SP_SQ_mSR_ST_bEUlT_E_NS1_11comp_targetILNS1_3genE9ELNS1_11target_archE1100ELNS1_3gpuE3ELNS1_3repE0EEENS1_30default_config_static_selectorELNS0_4arch9wavefront6targetE1EEEvT1_,comdat
.Lfunc_end1049:
	.size	_ZN7rocprim17ROCPRIM_400000_NS6detail17trampoline_kernelINS0_14default_configENS1_25transform_config_selectorIlLb0EEEZNS1_14transform_implILb0ES3_S5_NS0_18transform_iteratorINS0_17counting_iteratorImlEEZNS1_24adjacent_difference_implIS3_Lb1ELb0EPlSB_ZN2at6native12_GLOBAL__N_124unique_dim_cuda_templateIbEESt5tupleIJNSC_6TensorESH_SH_EERKSH_lbbbEUlllE1_EE10hipError_tPvRmT2_T3_mT4_P12ihipStream_tbEUlmE_lEESB_NS0_8identityIvEEEESM_SP_SQ_mSR_ST_bEUlT_E_NS1_11comp_targetILNS1_3genE9ELNS1_11target_archE1100ELNS1_3gpuE3ELNS1_3repE0EEENS1_30default_config_static_selectorELNS0_4arch9wavefront6targetE1EEEvT1_, .Lfunc_end1049-_ZN7rocprim17ROCPRIM_400000_NS6detail17trampoline_kernelINS0_14default_configENS1_25transform_config_selectorIlLb0EEEZNS1_14transform_implILb0ES3_S5_NS0_18transform_iteratorINS0_17counting_iteratorImlEEZNS1_24adjacent_difference_implIS3_Lb1ELb0EPlSB_ZN2at6native12_GLOBAL__N_124unique_dim_cuda_templateIbEESt5tupleIJNSC_6TensorESH_SH_EERKSH_lbbbEUlllE1_EE10hipError_tPvRmT2_T3_mT4_P12ihipStream_tbEUlmE_lEESB_NS0_8identityIvEEEESM_SP_SQ_mSR_ST_bEUlT_E_NS1_11comp_targetILNS1_3genE9ELNS1_11target_archE1100ELNS1_3gpuE3ELNS1_3repE0EEENS1_30default_config_static_selectorELNS0_4arch9wavefront6targetE1EEEvT1_
                                        ; -- End function
	.section	.AMDGPU.csdata,"",@progbits
; Kernel info:
; codeLenInByte = 0
; NumSgprs: 6
; NumVgprs: 0
; NumAgprs: 0
; TotalNumVgprs: 0
; ScratchSize: 0
; MemoryBound: 0
; FloatMode: 240
; IeeeMode: 1
; LDSByteSize: 0 bytes/workgroup (compile time only)
; SGPRBlocks: 0
; VGPRBlocks: 0
; NumSGPRsForWavesPerEU: 6
; NumVGPRsForWavesPerEU: 1
; AccumOffset: 4
; Occupancy: 8
; WaveLimiterHint : 0
; COMPUTE_PGM_RSRC2:SCRATCH_EN: 0
; COMPUTE_PGM_RSRC2:USER_SGPR: 2
; COMPUTE_PGM_RSRC2:TRAP_HANDLER: 0
; COMPUTE_PGM_RSRC2:TGID_X_EN: 1
; COMPUTE_PGM_RSRC2:TGID_Y_EN: 0
; COMPUTE_PGM_RSRC2:TGID_Z_EN: 0
; COMPUTE_PGM_RSRC2:TIDIG_COMP_CNT: 0
; COMPUTE_PGM_RSRC3_GFX90A:ACCUM_OFFSET: 0
; COMPUTE_PGM_RSRC3_GFX90A:TG_SPLIT: 0
	.section	.text._ZN7rocprim17ROCPRIM_400000_NS6detail17trampoline_kernelINS0_14default_configENS1_25transform_config_selectorIlLb0EEEZNS1_14transform_implILb0ES3_S5_NS0_18transform_iteratorINS0_17counting_iteratorImlEEZNS1_24adjacent_difference_implIS3_Lb1ELb0EPlSB_ZN2at6native12_GLOBAL__N_124unique_dim_cuda_templateIbEESt5tupleIJNSC_6TensorESH_SH_EERKSH_lbbbEUlllE1_EE10hipError_tPvRmT2_T3_mT4_P12ihipStream_tbEUlmE_lEESB_NS0_8identityIvEEEESM_SP_SQ_mSR_ST_bEUlT_E_NS1_11comp_targetILNS1_3genE8ELNS1_11target_archE1030ELNS1_3gpuE2ELNS1_3repE0EEENS1_30default_config_static_selectorELNS0_4arch9wavefront6targetE1EEEvT1_,"axG",@progbits,_ZN7rocprim17ROCPRIM_400000_NS6detail17trampoline_kernelINS0_14default_configENS1_25transform_config_selectorIlLb0EEEZNS1_14transform_implILb0ES3_S5_NS0_18transform_iteratorINS0_17counting_iteratorImlEEZNS1_24adjacent_difference_implIS3_Lb1ELb0EPlSB_ZN2at6native12_GLOBAL__N_124unique_dim_cuda_templateIbEESt5tupleIJNSC_6TensorESH_SH_EERKSH_lbbbEUlllE1_EE10hipError_tPvRmT2_T3_mT4_P12ihipStream_tbEUlmE_lEESB_NS0_8identityIvEEEESM_SP_SQ_mSR_ST_bEUlT_E_NS1_11comp_targetILNS1_3genE8ELNS1_11target_archE1030ELNS1_3gpuE2ELNS1_3repE0EEENS1_30default_config_static_selectorELNS0_4arch9wavefront6targetE1EEEvT1_,comdat
	.globl	_ZN7rocprim17ROCPRIM_400000_NS6detail17trampoline_kernelINS0_14default_configENS1_25transform_config_selectorIlLb0EEEZNS1_14transform_implILb0ES3_S5_NS0_18transform_iteratorINS0_17counting_iteratorImlEEZNS1_24adjacent_difference_implIS3_Lb1ELb0EPlSB_ZN2at6native12_GLOBAL__N_124unique_dim_cuda_templateIbEESt5tupleIJNSC_6TensorESH_SH_EERKSH_lbbbEUlllE1_EE10hipError_tPvRmT2_T3_mT4_P12ihipStream_tbEUlmE_lEESB_NS0_8identityIvEEEESM_SP_SQ_mSR_ST_bEUlT_E_NS1_11comp_targetILNS1_3genE8ELNS1_11target_archE1030ELNS1_3gpuE2ELNS1_3repE0EEENS1_30default_config_static_selectorELNS0_4arch9wavefront6targetE1EEEvT1_ ; -- Begin function _ZN7rocprim17ROCPRIM_400000_NS6detail17trampoline_kernelINS0_14default_configENS1_25transform_config_selectorIlLb0EEEZNS1_14transform_implILb0ES3_S5_NS0_18transform_iteratorINS0_17counting_iteratorImlEEZNS1_24adjacent_difference_implIS3_Lb1ELb0EPlSB_ZN2at6native12_GLOBAL__N_124unique_dim_cuda_templateIbEESt5tupleIJNSC_6TensorESH_SH_EERKSH_lbbbEUlllE1_EE10hipError_tPvRmT2_T3_mT4_P12ihipStream_tbEUlmE_lEESB_NS0_8identityIvEEEESM_SP_SQ_mSR_ST_bEUlT_E_NS1_11comp_targetILNS1_3genE8ELNS1_11target_archE1030ELNS1_3gpuE2ELNS1_3repE0EEENS1_30default_config_static_selectorELNS0_4arch9wavefront6targetE1EEEvT1_
	.p2align	8
	.type	_ZN7rocprim17ROCPRIM_400000_NS6detail17trampoline_kernelINS0_14default_configENS1_25transform_config_selectorIlLb0EEEZNS1_14transform_implILb0ES3_S5_NS0_18transform_iteratorINS0_17counting_iteratorImlEEZNS1_24adjacent_difference_implIS3_Lb1ELb0EPlSB_ZN2at6native12_GLOBAL__N_124unique_dim_cuda_templateIbEESt5tupleIJNSC_6TensorESH_SH_EERKSH_lbbbEUlllE1_EE10hipError_tPvRmT2_T3_mT4_P12ihipStream_tbEUlmE_lEESB_NS0_8identityIvEEEESM_SP_SQ_mSR_ST_bEUlT_E_NS1_11comp_targetILNS1_3genE8ELNS1_11target_archE1030ELNS1_3gpuE2ELNS1_3repE0EEENS1_30default_config_static_selectorELNS0_4arch9wavefront6targetE1EEEvT1_,@function
_ZN7rocprim17ROCPRIM_400000_NS6detail17trampoline_kernelINS0_14default_configENS1_25transform_config_selectorIlLb0EEEZNS1_14transform_implILb0ES3_S5_NS0_18transform_iteratorINS0_17counting_iteratorImlEEZNS1_24adjacent_difference_implIS3_Lb1ELb0EPlSB_ZN2at6native12_GLOBAL__N_124unique_dim_cuda_templateIbEESt5tupleIJNSC_6TensorESH_SH_EERKSH_lbbbEUlllE1_EE10hipError_tPvRmT2_T3_mT4_P12ihipStream_tbEUlmE_lEESB_NS0_8identityIvEEEESM_SP_SQ_mSR_ST_bEUlT_E_NS1_11comp_targetILNS1_3genE8ELNS1_11target_archE1030ELNS1_3gpuE2ELNS1_3repE0EEENS1_30default_config_static_selectorELNS0_4arch9wavefront6targetE1EEEvT1_: ; @_ZN7rocprim17ROCPRIM_400000_NS6detail17trampoline_kernelINS0_14default_configENS1_25transform_config_selectorIlLb0EEEZNS1_14transform_implILb0ES3_S5_NS0_18transform_iteratorINS0_17counting_iteratorImlEEZNS1_24adjacent_difference_implIS3_Lb1ELb0EPlSB_ZN2at6native12_GLOBAL__N_124unique_dim_cuda_templateIbEESt5tupleIJNSC_6TensorESH_SH_EERKSH_lbbbEUlllE1_EE10hipError_tPvRmT2_T3_mT4_P12ihipStream_tbEUlmE_lEESB_NS0_8identityIvEEEESM_SP_SQ_mSR_ST_bEUlT_E_NS1_11comp_targetILNS1_3genE8ELNS1_11target_archE1030ELNS1_3gpuE2ELNS1_3repE0EEENS1_30default_config_static_selectorELNS0_4arch9wavefront6targetE1EEEvT1_
; %bb.0:
	.section	.rodata,"a",@progbits
	.p2align	6, 0x0
	.amdhsa_kernel _ZN7rocprim17ROCPRIM_400000_NS6detail17trampoline_kernelINS0_14default_configENS1_25transform_config_selectorIlLb0EEEZNS1_14transform_implILb0ES3_S5_NS0_18transform_iteratorINS0_17counting_iteratorImlEEZNS1_24adjacent_difference_implIS3_Lb1ELb0EPlSB_ZN2at6native12_GLOBAL__N_124unique_dim_cuda_templateIbEESt5tupleIJNSC_6TensorESH_SH_EERKSH_lbbbEUlllE1_EE10hipError_tPvRmT2_T3_mT4_P12ihipStream_tbEUlmE_lEESB_NS0_8identityIvEEEESM_SP_SQ_mSR_ST_bEUlT_E_NS1_11comp_targetILNS1_3genE8ELNS1_11target_archE1030ELNS1_3gpuE2ELNS1_3repE0EEENS1_30default_config_static_selectorELNS0_4arch9wavefront6targetE1EEEvT1_
		.amdhsa_group_segment_fixed_size 0
		.amdhsa_private_segment_fixed_size 0
		.amdhsa_kernarg_size 56
		.amdhsa_user_sgpr_count 2
		.amdhsa_user_sgpr_dispatch_ptr 0
		.amdhsa_user_sgpr_queue_ptr 0
		.amdhsa_user_sgpr_kernarg_segment_ptr 1
		.amdhsa_user_sgpr_dispatch_id 0
		.amdhsa_user_sgpr_kernarg_preload_length 0
		.amdhsa_user_sgpr_kernarg_preload_offset 0
		.amdhsa_user_sgpr_private_segment_size 0
		.amdhsa_uses_dynamic_stack 0
		.amdhsa_enable_private_segment 0
		.amdhsa_system_sgpr_workgroup_id_x 1
		.amdhsa_system_sgpr_workgroup_id_y 0
		.amdhsa_system_sgpr_workgroup_id_z 0
		.amdhsa_system_sgpr_workgroup_info 0
		.amdhsa_system_vgpr_workitem_id 0
		.amdhsa_next_free_vgpr 1
		.amdhsa_next_free_sgpr 0
		.amdhsa_accum_offset 4
		.amdhsa_reserve_vcc 0
		.amdhsa_float_round_mode_32 0
		.amdhsa_float_round_mode_16_64 0
		.amdhsa_float_denorm_mode_32 3
		.amdhsa_float_denorm_mode_16_64 3
		.amdhsa_dx10_clamp 1
		.amdhsa_ieee_mode 1
		.amdhsa_fp16_overflow 0
		.amdhsa_tg_split 0
		.amdhsa_exception_fp_ieee_invalid_op 0
		.amdhsa_exception_fp_denorm_src 0
		.amdhsa_exception_fp_ieee_div_zero 0
		.amdhsa_exception_fp_ieee_overflow 0
		.amdhsa_exception_fp_ieee_underflow 0
		.amdhsa_exception_fp_ieee_inexact 0
		.amdhsa_exception_int_div_zero 0
	.end_amdhsa_kernel
	.section	.text._ZN7rocprim17ROCPRIM_400000_NS6detail17trampoline_kernelINS0_14default_configENS1_25transform_config_selectorIlLb0EEEZNS1_14transform_implILb0ES3_S5_NS0_18transform_iteratorINS0_17counting_iteratorImlEEZNS1_24adjacent_difference_implIS3_Lb1ELb0EPlSB_ZN2at6native12_GLOBAL__N_124unique_dim_cuda_templateIbEESt5tupleIJNSC_6TensorESH_SH_EERKSH_lbbbEUlllE1_EE10hipError_tPvRmT2_T3_mT4_P12ihipStream_tbEUlmE_lEESB_NS0_8identityIvEEEESM_SP_SQ_mSR_ST_bEUlT_E_NS1_11comp_targetILNS1_3genE8ELNS1_11target_archE1030ELNS1_3gpuE2ELNS1_3repE0EEENS1_30default_config_static_selectorELNS0_4arch9wavefront6targetE1EEEvT1_,"axG",@progbits,_ZN7rocprim17ROCPRIM_400000_NS6detail17trampoline_kernelINS0_14default_configENS1_25transform_config_selectorIlLb0EEEZNS1_14transform_implILb0ES3_S5_NS0_18transform_iteratorINS0_17counting_iteratorImlEEZNS1_24adjacent_difference_implIS3_Lb1ELb0EPlSB_ZN2at6native12_GLOBAL__N_124unique_dim_cuda_templateIbEESt5tupleIJNSC_6TensorESH_SH_EERKSH_lbbbEUlllE1_EE10hipError_tPvRmT2_T3_mT4_P12ihipStream_tbEUlmE_lEESB_NS0_8identityIvEEEESM_SP_SQ_mSR_ST_bEUlT_E_NS1_11comp_targetILNS1_3genE8ELNS1_11target_archE1030ELNS1_3gpuE2ELNS1_3repE0EEENS1_30default_config_static_selectorELNS0_4arch9wavefront6targetE1EEEvT1_,comdat
.Lfunc_end1050:
	.size	_ZN7rocprim17ROCPRIM_400000_NS6detail17trampoline_kernelINS0_14default_configENS1_25transform_config_selectorIlLb0EEEZNS1_14transform_implILb0ES3_S5_NS0_18transform_iteratorINS0_17counting_iteratorImlEEZNS1_24adjacent_difference_implIS3_Lb1ELb0EPlSB_ZN2at6native12_GLOBAL__N_124unique_dim_cuda_templateIbEESt5tupleIJNSC_6TensorESH_SH_EERKSH_lbbbEUlllE1_EE10hipError_tPvRmT2_T3_mT4_P12ihipStream_tbEUlmE_lEESB_NS0_8identityIvEEEESM_SP_SQ_mSR_ST_bEUlT_E_NS1_11comp_targetILNS1_3genE8ELNS1_11target_archE1030ELNS1_3gpuE2ELNS1_3repE0EEENS1_30default_config_static_selectorELNS0_4arch9wavefront6targetE1EEEvT1_, .Lfunc_end1050-_ZN7rocprim17ROCPRIM_400000_NS6detail17trampoline_kernelINS0_14default_configENS1_25transform_config_selectorIlLb0EEEZNS1_14transform_implILb0ES3_S5_NS0_18transform_iteratorINS0_17counting_iteratorImlEEZNS1_24adjacent_difference_implIS3_Lb1ELb0EPlSB_ZN2at6native12_GLOBAL__N_124unique_dim_cuda_templateIbEESt5tupleIJNSC_6TensorESH_SH_EERKSH_lbbbEUlllE1_EE10hipError_tPvRmT2_T3_mT4_P12ihipStream_tbEUlmE_lEESB_NS0_8identityIvEEEESM_SP_SQ_mSR_ST_bEUlT_E_NS1_11comp_targetILNS1_3genE8ELNS1_11target_archE1030ELNS1_3gpuE2ELNS1_3repE0EEENS1_30default_config_static_selectorELNS0_4arch9wavefront6targetE1EEEvT1_
                                        ; -- End function
	.section	.AMDGPU.csdata,"",@progbits
; Kernel info:
; codeLenInByte = 0
; NumSgprs: 6
; NumVgprs: 0
; NumAgprs: 0
; TotalNumVgprs: 0
; ScratchSize: 0
; MemoryBound: 0
; FloatMode: 240
; IeeeMode: 1
; LDSByteSize: 0 bytes/workgroup (compile time only)
; SGPRBlocks: 0
; VGPRBlocks: 0
; NumSGPRsForWavesPerEU: 6
; NumVGPRsForWavesPerEU: 1
; AccumOffset: 4
; Occupancy: 8
; WaveLimiterHint : 0
; COMPUTE_PGM_RSRC2:SCRATCH_EN: 0
; COMPUTE_PGM_RSRC2:USER_SGPR: 2
; COMPUTE_PGM_RSRC2:TRAP_HANDLER: 0
; COMPUTE_PGM_RSRC2:TGID_X_EN: 1
; COMPUTE_PGM_RSRC2:TGID_Y_EN: 0
; COMPUTE_PGM_RSRC2:TGID_Z_EN: 0
; COMPUTE_PGM_RSRC2:TIDIG_COMP_CNT: 0
; COMPUTE_PGM_RSRC3_GFX90A:ACCUM_OFFSET: 0
; COMPUTE_PGM_RSRC3_GFX90A:TG_SPLIT: 0
	.section	.text._ZN7rocprim17ROCPRIM_400000_NS6detail17trampoline_kernelINS0_14default_configENS1_35adjacent_difference_config_selectorILb1ElEEZNS1_24adjacent_difference_implIS3_Lb1ELb0EPlS7_ZN2at6native12_GLOBAL__N_124unique_dim_cuda_templateIbEESt5tupleIJNS8_6TensorESD_SD_EERKSD_lbbbEUlllE1_EE10hipError_tPvRmT2_T3_mT4_P12ihipStream_tbEUlT_E_NS1_11comp_targetILNS1_3genE0ELNS1_11target_archE4294967295ELNS1_3gpuE0ELNS1_3repE0EEENS1_30default_config_static_selectorELNS0_4arch9wavefront6targetE1EEEvT1_,"axG",@progbits,_ZN7rocprim17ROCPRIM_400000_NS6detail17trampoline_kernelINS0_14default_configENS1_35adjacent_difference_config_selectorILb1ElEEZNS1_24adjacent_difference_implIS3_Lb1ELb0EPlS7_ZN2at6native12_GLOBAL__N_124unique_dim_cuda_templateIbEESt5tupleIJNS8_6TensorESD_SD_EERKSD_lbbbEUlllE1_EE10hipError_tPvRmT2_T3_mT4_P12ihipStream_tbEUlT_E_NS1_11comp_targetILNS1_3genE0ELNS1_11target_archE4294967295ELNS1_3gpuE0ELNS1_3repE0EEENS1_30default_config_static_selectorELNS0_4arch9wavefront6targetE1EEEvT1_,comdat
	.globl	_ZN7rocprim17ROCPRIM_400000_NS6detail17trampoline_kernelINS0_14default_configENS1_35adjacent_difference_config_selectorILb1ElEEZNS1_24adjacent_difference_implIS3_Lb1ELb0EPlS7_ZN2at6native12_GLOBAL__N_124unique_dim_cuda_templateIbEESt5tupleIJNS8_6TensorESD_SD_EERKSD_lbbbEUlllE1_EE10hipError_tPvRmT2_T3_mT4_P12ihipStream_tbEUlT_E_NS1_11comp_targetILNS1_3genE0ELNS1_11target_archE4294967295ELNS1_3gpuE0ELNS1_3repE0EEENS1_30default_config_static_selectorELNS0_4arch9wavefront6targetE1EEEvT1_ ; -- Begin function _ZN7rocprim17ROCPRIM_400000_NS6detail17trampoline_kernelINS0_14default_configENS1_35adjacent_difference_config_selectorILb1ElEEZNS1_24adjacent_difference_implIS3_Lb1ELb0EPlS7_ZN2at6native12_GLOBAL__N_124unique_dim_cuda_templateIbEESt5tupleIJNS8_6TensorESD_SD_EERKSD_lbbbEUlllE1_EE10hipError_tPvRmT2_T3_mT4_P12ihipStream_tbEUlT_E_NS1_11comp_targetILNS1_3genE0ELNS1_11target_archE4294967295ELNS1_3gpuE0ELNS1_3repE0EEENS1_30default_config_static_selectorELNS0_4arch9wavefront6targetE1EEEvT1_
	.p2align	8
	.type	_ZN7rocprim17ROCPRIM_400000_NS6detail17trampoline_kernelINS0_14default_configENS1_35adjacent_difference_config_selectorILb1ElEEZNS1_24adjacent_difference_implIS3_Lb1ELb0EPlS7_ZN2at6native12_GLOBAL__N_124unique_dim_cuda_templateIbEESt5tupleIJNS8_6TensorESD_SD_EERKSD_lbbbEUlllE1_EE10hipError_tPvRmT2_T3_mT4_P12ihipStream_tbEUlT_E_NS1_11comp_targetILNS1_3genE0ELNS1_11target_archE4294967295ELNS1_3gpuE0ELNS1_3repE0EEENS1_30default_config_static_selectorELNS0_4arch9wavefront6targetE1EEEvT1_,@function
_ZN7rocprim17ROCPRIM_400000_NS6detail17trampoline_kernelINS0_14default_configENS1_35adjacent_difference_config_selectorILb1ElEEZNS1_24adjacent_difference_implIS3_Lb1ELb0EPlS7_ZN2at6native12_GLOBAL__N_124unique_dim_cuda_templateIbEESt5tupleIJNS8_6TensorESD_SD_EERKSD_lbbbEUlllE1_EE10hipError_tPvRmT2_T3_mT4_P12ihipStream_tbEUlT_E_NS1_11comp_targetILNS1_3genE0ELNS1_11target_archE4294967295ELNS1_3gpuE0ELNS1_3repE0EEENS1_30default_config_static_selectorELNS0_4arch9wavefront6targetE1EEEvT1_: ; @_ZN7rocprim17ROCPRIM_400000_NS6detail17trampoline_kernelINS0_14default_configENS1_35adjacent_difference_config_selectorILb1ElEEZNS1_24adjacent_difference_implIS3_Lb1ELb0EPlS7_ZN2at6native12_GLOBAL__N_124unique_dim_cuda_templateIbEESt5tupleIJNS8_6TensorESD_SD_EERKSD_lbbbEUlllE1_EE10hipError_tPvRmT2_T3_mT4_P12ihipStream_tbEUlT_E_NS1_11comp_targetILNS1_3genE0ELNS1_11target_archE4294967295ELNS1_3gpuE0ELNS1_3repE0EEENS1_30default_config_static_selectorELNS0_4arch9wavefront6targetE1EEEvT1_
; %bb.0:
	.section	.rodata,"a",@progbits
	.p2align	6, 0x0
	.amdhsa_kernel _ZN7rocprim17ROCPRIM_400000_NS6detail17trampoline_kernelINS0_14default_configENS1_35adjacent_difference_config_selectorILb1ElEEZNS1_24adjacent_difference_implIS3_Lb1ELb0EPlS7_ZN2at6native12_GLOBAL__N_124unique_dim_cuda_templateIbEESt5tupleIJNS8_6TensorESD_SD_EERKSD_lbbbEUlllE1_EE10hipError_tPvRmT2_T3_mT4_P12ihipStream_tbEUlT_E_NS1_11comp_targetILNS1_3genE0ELNS1_11target_archE4294967295ELNS1_3gpuE0ELNS1_3repE0EEENS1_30default_config_static_selectorELNS0_4arch9wavefront6targetE1EEEvT1_
		.amdhsa_group_segment_fixed_size 0
		.amdhsa_private_segment_fixed_size 0
		.amdhsa_kernarg_size 64
		.amdhsa_user_sgpr_count 2
		.amdhsa_user_sgpr_dispatch_ptr 0
		.amdhsa_user_sgpr_queue_ptr 0
		.amdhsa_user_sgpr_kernarg_segment_ptr 1
		.amdhsa_user_sgpr_dispatch_id 0
		.amdhsa_user_sgpr_kernarg_preload_length 0
		.amdhsa_user_sgpr_kernarg_preload_offset 0
		.amdhsa_user_sgpr_private_segment_size 0
		.amdhsa_uses_dynamic_stack 0
		.amdhsa_enable_private_segment 0
		.amdhsa_system_sgpr_workgroup_id_x 1
		.amdhsa_system_sgpr_workgroup_id_y 0
		.amdhsa_system_sgpr_workgroup_id_z 0
		.amdhsa_system_sgpr_workgroup_info 0
		.amdhsa_system_vgpr_workitem_id 0
		.amdhsa_next_free_vgpr 1
		.amdhsa_next_free_sgpr 0
		.amdhsa_accum_offset 4
		.amdhsa_reserve_vcc 0
		.amdhsa_float_round_mode_32 0
		.amdhsa_float_round_mode_16_64 0
		.amdhsa_float_denorm_mode_32 3
		.amdhsa_float_denorm_mode_16_64 3
		.amdhsa_dx10_clamp 1
		.amdhsa_ieee_mode 1
		.amdhsa_fp16_overflow 0
		.amdhsa_tg_split 0
		.amdhsa_exception_fp_ieee_invalid_op 0
		.amdhsa_exception_fp_denorm_src 0
		.amdhsa_exception_fp_ieee_div_zero 0
		.amdhsa_exception_fp_ieee_overflow 0
		.amdhsa_exception_fp_ieee_underflow 0
		.amdhsa_exception_fp_ieee_inexact 0
		.amdhsa_exception_int_div_zero 0
	.end_amdhsa_kernel
	.section	.text._ZN7rocprim17ROCPRIM_400000_NS6detail17trampoline_kernelINS0_14default_configENS1_35adjacent_difference_config_selectorILb1ElEEZNS1_24adjacent_difference_implIS3_Lb1ELb0EPlS7_ZN2at6native12_GLOBAL__N_124unique_dim_cuda_templateIbEESt5tupleIJNS8_6TensorESD_SD_EERKSD_lbbbEUlllE1_EE10hipError_tPvRmT2_T3_mT4_P12ihipStream_tbEUlT_E_NS1_11comp_targetILNS1_3genE0ELNS1_11target_archE4294967295ELNS1_3gpuE0ELNS1_3repE0EEENS1_30default_config_static_selectorELNS0_4arch9wavefront6targetE1EEEvT1_,"axG",@progbits,_ZN7rocprim17ROCPRIM_400000_NS6detail17trampoline_kernelINS0_14default_configENS1_35adjacent_difference_config_selectorILb1ElEEZNS1_24adjacent_difference_implIS3_Lb1ELb0EPlS7_ZN2at6native12_GLOBAL__N_124unique_dim_cuda_templateIbEESt5tupleIJNS8_6TensorESD_SD_EERKSD_lbbbEUlllE1_EE10hipError_tPvRmT2_T3_mT4_P12ihipStream_tbEUlT_E_NS1_11comp_targetILNS1_3genE0ELNS1_11target_archE4294967295ELNS1_3gpuE0ELNS1_3repE0EEENS1_30default_config_static_selectorELNS0_4arch9wavefront6targetE1EEEvT1_,comdat
.Lfunc_end1051:
	.size	_ZN7rocprim17ROCPRIM_400000_NS6detail17trampoline_kernelINS0_14default_configENS1_35adjacent_difference_config_selectorILb1ElEEZNS1_24adjacent_difference_implIS3_Lb1ELb0EPlS7_ZN2at6native12_GLOBAL__N_124unique_dim_cuda_templateIbEESt5tupleIJNS8_6TensorESD_SD_EERKSD_lbbbEUlllE1_EE10hipError_tPvRmT2_T3_mT4_P12ihipStream_tbEUlT_E_NS1_11comp_targetILNS1_3genE0ELNS1_11target_archE4294967295ELNS1_3gpuE0ELNS1_3repE0EEENS1_30default_config_static_selectorELNS0_4arch9wavefront6targetE1EEEvT1_, .Lfunc_end1051-_ZN7rocprim17ROCPRIM_400000_NS6detail17trampoline_kernelINS0_14default_configENS1_35adjacent_difference_config_selectorILb1ElEEZNS1_24adjacent_difference_implIS3_Lb1ELb0EPlS7_ZN2at6native12_GLOBAL__N_124unique_dim_cuda_templateIbEESt5tupleIJNS8_6TensorESD_SD_EERKSD_lbbbEUlllE1_EE10hipError_tPvRmT2_T3_mT4_P12ihipStream_tbEUlT_E_NS1_11comp_targetILNS1_3genE0ELNS1_11target_archE4294967295ELNS1_3gpuE0ELNS1_3repE0EEENS1_30default_config_static_selectorELNS0_4arch9wavefront6targetE1EEEvT1_
                                        ; -- End function
	.section	.AMDGPU.csdata,"",@progbits
; Kernel info:
; codeLenInByte = 0
; NumSgprs: 6
; NumVgprs: 0
; NumAgprs: 0
; TotalNumVgprs: 0
; ScratchSize: 0
; MemoryBound: 0
; FloatMode: 240
; IeeeMode: 1
; LDSByteSize: 0 bytes/workgroup (compile time only)
; SGPRBlocks: 0
; VGPRBlocks: 0
; NumSGPRsForWavesPerEU: 6
; NumVGPRsForWavesPerEU: 1
; AccumOffset: 4
; Occupancy: 8
; WaveLimiterHint : 0
; COMPUTE_PGM_RSRC2:SCRATCH_EN: 0
; COMPUTE_PGM_RSRC2:USER_SGPR: 2
; COMPUTE_PGM_RSRC2:TRAP_HANDLER: 0
; COMPUTE_PGM_RSRC2:TGID_X_EN: 1
; COMPUTE_PGM_RSRC2:TGID_Y_EN: 0
; COMPUTE_PGM_RSRC2:TGID_Z_EN: 0
; COMPUTE_PGM_RSRC2:TIDIG_COMP_CNT: 0
; COMPUTE_PGM_RSRC3_GFX90A:ACCUM_OFFSET: 0
; COMPUTE_PGM_RSRC3_GFX90A:TG_SPLIT: 0
	.section	.text._ZN7rocprim17ROCPRIM_400000_NS6detail17trampoline_kernelINS0_14default_configENS1_35adjacent_difference_config_selectorILb1ElEEZNS1_24adjacent_difference_implIS3_Lb1ELb0EPlS7_ZN2at6native12_GLOBAL__N_124unique_dim_cuda_templateIbEESt5tupleIJNS8_6TensorESD_SD_EERKSD_lbbbEUlllE1_EE10hipError_tPvRmT2_T3_mT4_P12ihipStream_tbEUlT_E_NS1_11comp_targetILNS1_3genE10ELNS1_11target_archE1201ELNS1_3gpuE5ELNS1_3repE0EEENS1_30default_config_static_selectorELNS0_4arch9wavefront6targetE1EEEvT1_,"axG",@progbits,_ZN7rocprim17ROCPRIM_400000_NS6detail17trampoline_kernelINS0_14default_configENS1_35adjacent_difference_config_selectorILb1ElEEZNS1_24adjacent_difference_implIS3_Lb1ELb0EPlS7_ZN2at6native12_GLOBAL__N_124unique_dim_cuda_templateIbEESt5tupleIJNS8_6TensorESD_SD_EERKSD_lbbbEUlllE1_EE10hipError_tPvRmT2_T3_mT4_P12ihipStream_tbEUlT_E_NS1_11comp_targetILNS1_3genE10ELNS1_11target_archE1201ELNS1_3gpuE5ELNS1_3repE0EEENS1_30default_config_static_selectorELNS0_4arch9wavefront6targetE1EEEvT1_,comdat
	.globl	_ZN7rocprim17ROCPRIM_400000_NS6detail17trampoline_kernelINS0_14default_configENS1_35adjacent_difference_config_selectorILb1ElEEZNS1_24adjacent_difference_implIS3_Lb1ELb0EPlS7_ZN2at6native12_GLOBAL__N_124unique_dim_cuda_templateIbEESt5tupleIJNS8_6TensorESD_SD_EERKSD_lbbbEUlllE1_EE10hipError_tPvRmT2_T3_mT4_P12ihipStream_tbEUlT_E_NS1_11comp_targetILNS1_3genE10ELNS1_11target_archE1201ELNS1_3gpuE5ELNS1_3repE0EEENS1_30default_config_static_selectorELNS0_4arch9wavefront6targetE1EEEvT1_ ; -- Begin function _ZN7rocprim17ROCPRIM_400000_NS6detail17trampoline_kernelINS0_14default_configENS1_35adjacent_difference_config_selectorILb1ElEEZNS1_24adjacent_difference_implIS3_Lb1ELb0EPlS7_ZN2at6native12_GLOBAL__N_124unique_dim_cuda_templateIbEESt5tupleIJNS8_6TensorESD_SD_EERKSD_lbbbEUlllE1_EE10hipError_tPvRmT2_T3_mT4_P12ihipStream_tbEUlT_E_NS1_11comp_targetILNS1_3genE10ELNS1_11target_archE1201ELNS1_3gpuE5ELNS1_3repE0EEENS1_30default_config_static_selectorELNS0_4arch9wavefront6targetE1EEEvT1_
	.p2align	8
	.type	_ZN7rocprim17ROCPRIM_400000_NS6detail17trampoline_kernelINS0_14default_configENS1_35adjacent_difference_config_selectorILb1ElEEZNS1_24adjacent_difference_implIS3_Lb1ELb0EPlS7_ZN2at6native12_GLOBAL__N_124unique_dim_cuda_templateIbEESt5tupleIJNS8_6TensorESD_SD_EERKSD_lbbbEUlllE1_EE10hipError_tPvRmT2_T3_mT4_P12ihipStream_tbEUlT_E_NS1_11comp_targetILNS1_3genE10ELNS1_11target_archE1201ELNS1_3gpuE5ELNS1_3repE0EEENS1_30default_config_static_selectorELNS0_4arch9wavefront6targetE1EEEvT1_,@function
_ZN7rocprim17ROCPRIM_400000_NS6detail17trampoline_kernelINS0_14default_configENS1_35adjacent_difference_config_selectorILb1ElEEZNS1_24adjacent_difference_implIS3_Lb1ELb0EPlS7_ZN2at6native12_GLOBAL__N_124unique_dim_cuda_templateIbEESt5tupleIJNS8_6TensorESD_SD_EERKSD_lbbbEUlllE1_EE10hipError_tPvRmT2_T3_mT4_P12ihipStream_tbEUlT_E_NS1_11comp_targetILNS1_3genE10ELNS1_11target_archE1201ELNS1_3gpuE5ELNS1_3repE0EEENS1_30default_config_static_selectorELNS0_4arch9wavefront6targetE1EEEvT1_: ; @_ZN7rocprim17ROCPRIM_400000_NS6detail17trampoline_kernelINS0_14default_configENS1_35adjacent_difference_config_selectorILb1ElEEZNS1_24adjacent_difference_implIS3_Lb1ELb0EPlS7_ZN2at6native12_GLOBAL__N_124unique_dim_cuda_templateIbEESt5tupleIJNS8_6TensorESD_SD_EERKSD_lbbbEUlllE1_EE10hipError_tPvRmT2_T3_mT4_P12ihipStream_tbEUlT_E_NS1_11comp_targetILNS1_3genE10ELNS1_11target_archE1201ELNS1_3gpuE5ELNS1_3repE0EEENS1_30default_config_static_selectorELNS0_4arch9wavefront6targetE1EEEvT1_
; %bb.0:
	.section	.rodata,"a",@progbits
	.p2align	6, 0x0
	.amdhsa_kernel _ZN7rocprim17ROCPRIM_400000_NS6detail17trampoline_kernelINS0_14default_configENS1_35adjacent_difference_config_selectorILb1ElEEZNS1_24adjacent_difference_implIS3_Lb1ELb0EPlS7_ZN2at6native12_GLOBAL__N_124unique_dim_cuda_templateIbEESt5tupleIJNS8_6TensorESD_SD_EERKSD_lbbbEUlllE1_EE10hipError_tPvRmT2_T3_mT4_P12ihipStream_tbEUlT_E_NS1_11comp_targetILNS1_3genE10ELNS1_11target_archE1201ELNS1_3gpuE5ELNS1_3repE0EEENS1_30default_config_static_selectorELNS0_4arch9wavefront6targetE1EEEvT1_
		.amdhsa_group_segment_fixed_size 0
		.amdhsa_private_segment_fixed_size 0
		.amdhsa_kernarg_size 64
		.amdhsa_user_sgpr_count 2
		.amdhsa_user_sgpr_dispatch_ptr 0
		.amdhsa_user_sgpr_queue_ptr 0
		.amdhsa_user_sgpr_kernarg_segment_ptr 1
		.amdhsa_user_sgpr_dispatch_id 0
		.amdhsa_user_sgpr_kernarg_preload_length 0
		.amdhsa_user_sgpr_kernarg_preload_offset 0
		.amdhsa_user_sgpr_private_segment_size 0
		.amdhsa_uses_dynamic_stack 0
		.amdhsa_enable_private_segment 0
		.amdhsa_system_sgpr_workgroup_id_x 1
		.amdhsa_system_sgpr_workgroup_id_y 0
		.amdhsa_system_sgpr_workgroup_id_z 0
		.amdhsa_system_sgpr_workgroup_info 0
		.amdhsa_system_vgpr_workitem_id 0
		.amdhsa_next_free_vgpr 1
		.amdhsa_next_free_sgpr 0
		.amdhsa_accum_offset 4
		.amdhsa_reserve_vcc 0
		.amdhsa_float_round_mode_32 0
		.amdhsa_float_round_mode_16_64 0
		.amdhsa_float_denorm_mode_32 3
		.amdhsa_float_denorm_mode_16_64 3
		.amdhsa_dx10_clamp 1
		.amdhsa_ieee_mode 1
		.amdhsa_fp16_overflow 0
		.amdhsa_tg_split 0
		.amdhsa_exception_fp_ieee_invalid_op 0
		.amdhsa_exception_fp_denorm_src 0
		.amdhsa_exception_fp_ieee_div_zero 0
		.amdhsa_exception_fp_ieee_overflow 0
		.amdhsa_exception_fp_ieee_underflow 0
		.amdhsa_exception_fp_ieee_inexact 0
		.amdhsa_exception_int_div_zero 0
	.end_amdhsa_kernel
	.section	.text._ZN7rocprim17ROCPRIM_400000_NS6detail17trampoline_kernelINS0_14default_configENS1_35adjacent_difference_config_selectorILb1ElEEZNS1_24adjacent_difference_implIS3_Lb1ELb0EPlS7_ZN2at6native12_GLOBAL__N_124unique_dim_cuda_templateIbEESt5tupleIJNS8_6TensorESD_SD_EERKSD_lbbbEUlllE1_EE10hipError_tPvRmT2_T3_mT4_P12ihipStream_tbEUlT_E_NS1_11comp_targetILNS1_3genE10ELNS1_11target_archE1201ELNS1_3gpuE5ELNS1_3repE0EEENS1_30default_config_static_selectorELNS0_4arch9wavefront6targetE1EEEvT1_,"axG",@progbits,_ZN7rocprim17ROCPRIM_400000_NS6detail17trampoline_kernelINS0_14default_configENS1_35adjacent_difference_config_selectorILb1ElEEZNS1_24adjacent_difference_implIS3_Lb1ELb0EPlS7_ZN2at6native12_GLOBAL__N_124unique_dim_cuda_templateIbEESt5tupleIJNS8_6TensorESD_SD_EERKSD_lbbbEUlllE1_EE10hipError_tPvRmT2_T3_mT4_P12ihipStream_tbEUlT_E_NS1_11comp_targetILNS1_3genE10ELNS1_11target_archE1201ELNS1_3gpuE5ELNS1_3repE0EEENS1_30default_config_static_selectorELNS0_4arch9wavefront6targetE1EEEvT1_,comdat
.Lfunc_end1052:
	.size	_ZN7rocprim17ROCPRIM_400000_NS6detail17trampoline_kernelINS0_14default_configENS1_35adjacent_difference_config_selectorILb1ElEEZNS1_24adjacent_difference_implIS3_Lb1ELb0EPlS7_ZN2at6native12_GLOBAL__N_124unique_dim_cuda_templateIbEESt5tupleIJNS8_6TensorESD_SD_EERKSD_lbbbEUlllE1_EE10hipError_tPvRmT2_T3_mT4_P12ihipStream_tbEUlT_E_NS1_11comp_targetILNS1_3genE10ELNS1_11target_archE1201ELNS1_3gpuE5ELNS1_3repE0EEENS1_30default_config_static_selectorELNS0_4arch9wavefront6targetE1EEEvT1_, .Lfunc_end1052-_ZN7rocprim17ROCPRIM_400000_NS6detail17trampoline_kernelINS0_14default_configENS1_35adjacent_difference_config_selectorILb1ElEEZNS1_24adjacent_difference_implIS3_Lb1ELb0EPlS7_ZN2at6native12_GLOBAL__N_124unique_dim_cuda_templateIbEESt5tupleIJNS8_6TensorESD_SD_EERKSD_lbbbEUlllE1_EE10hipError_tPvRmT2_T3_mT4_P12ihipStream_tbEUlT_E_NS1_11comp_targetILNS1_3genE10ELNS1_11target_archE1201ELNS1_3gpuE5ELNS1_3repE0EEENS1_30default_config_static_selectorELNS0_4arch9wavefront6targetE1EEEvT1_
                                        ; -- End function
	.section	.AMDGPU.csdata,"",@progbits
; Kernel info:
; codeLenInByte = 0
; NumSgprs: 6
; NumVgprs: 0
; NumAgprs: 0
; TotalNumVgprs: 0
; ScratchSize: 0
; MemoryBound: 0
; FloatMode: 240
; IeeeMode: 1
; LDSByteSize: 0 bytes/workgroup (compile time only)
; SGPRBlocks: 0
; VGPRBlocks: 0
; NumSGPRsForWavesPerEU: 6
; NumVGPRsForWavesPerEU: 1
; AccumOffset: 4
; Occupancy: 8
; WaveLimiterHint : 0
; COMPUTE_PGM_RSRC2:SCRATCH_EN: 0
; COMPUTE_PGM_RSRC2:USER_SGPR: 2
; COMPUTE_PGM_RSRC2:TRAP_HANDLER: 0
; COMPUTE_PGM_RSRC2:TGID_X_EN: 1
; COMPUTE_PGM_RSRC2:TGID_Y_EN: 0
; COMPUTE_PGM_RSRC2:TGID_Z_EN: 0
; COMPUTE_PGM_RSRC2:TIDIG_COMP_CNT: 0
; COMPUTE_PGM_RSRC3_GFX90A:ACCUM_OFFSET: 0
; COMPUTE_PGM_RSRC3_GFX90A:TG_SPLIT: 0
	.section	.text._ZN7rocprim17ROCPRIM_400000_NS6detail17trampoline_kernelINS0_14default_configENS1_35adjacent_difference_config_selectorILb1ElEEZNS1_24adjacent_difference_implIS3_Lb1ELb0EPlS7_ZN2at6native12_GLOBAL__N_124unique_dim_cuda_templateIbEESt5tupleIJNS8_6TensorESD_SD_EERKSD_lbbbEUlllE1_EE10hipError_tPvRmT2_T3_mT4_P12ihipStream_tbEUlT_E_NS1_11comp_targetILNS1_3genE5ELNS1_11target_archE942ELNS1_3gpuE9ELNS1_3repE0EEENS1_30default_config_static_selectorELNS0_4arch9wavefront6targetE1EEEvT1_,"axG",@progbits,_ZN7rocprim17ROCPRIM_400000_NS6detail17trampoline_kernelINS0_14default_configENS1_35adjacent_difference_config_selectorILb1ElEEZNS1_24adjacent_difference_implIS3_Lb1ELb0EPlS7_ZN2at6native12_GLOBAL__N_124unique_dim_cuda_templateIbEESt5tupleIJNS8_6TensorESD_SD_EERKSD_lbbbEUlllE1_EE10hipError_tPvRmT2_T3_mT4_P12ihipStream_tbEUlT_E_NS1_11comp_targetILNS1_3genE5ELNS1_11target_archE942ELNS1_3gpuE9ELNS1_3repE0EEENS1_30default_config_static_selectorELNS0_4arch9wavefront6targetE1EEEvT1_,comdat
	.globl	_ZN7rocprim17ROCPRIM_400000_NS6detail17trampoline_kernelINS0_14default_configENS1_35adjacent_difference_config_selectorILb1ElEEZNS1_24adjacent_difference_implIS3_Lb1ELb0EPlS7_ZN2at6native12_GLOBAL__N_124unique_dim_cuda_templateIbEESt5tupleIJNS8_6TensorESD_SD_EERKSD_lbbbEUlllE1_EE10hipError_tPvRmT2_T3_mT4_P12ihipStream_tbEUlT_E_NS1_11comp_targetILNS1_3genE5ELNS1_11target_archE942ELNS1_3gpuE9ELNS1_3repE0EEENS1_30default_config_static_selectorELNS0_4arch9wavefront6targetE1EEEvT1_ ; -- Begin function _ZN7rocprim17ROCPRIM_400000_NS6detail17trampoline_kernelINS0_14default_configENS1_35adjacent_difference_config_selectorILb1ElEEZNS1_24adjacent_difference_implIS3_Lb1ELb0EPlS7_ZN2at6native12_GLOBAL__N_124unique_dim_cuda_templateIbEESt5tupleIJNS8_6TensorESD_SD_EERKSD_lbbbEUlllE1_EE10hipError_tPvRmT2_T3_mT4_P12ihipStream_tbEUlT_E_NS1_11comp_targetILNS1_3genE5ELNS1_11target_archE942ELNS1_3gpuE9ELNS1_3repE0EEENS1_30default_config_static_selectorELNS0_4arch9wavefront6targetE1EEEvT1_
	.p2align	8
	.type	_ZN7rocprim17ROCPRIM_400000_NS6detail17trampoline_kernelINS0_14default_configENS1_35adjacent_difference_config_selectorILb1ElEEZNS1_24adjacent_difference_implIS3_Lb1ELb0EPlS7_ZN2at6native12_GLOBAL__N_124unique_dim_cuda_templateIbEESt5tupleIJNS8_6TensorESD_SD_EERKSD_lbbbEUlllE1_EE10hipError_tPvRmT2_T3_mT4_P12ihipStream_tbEUlT_E_NS1_11comp_targetILNS1_3genE5ELNS1_11target_archE942ELNS1_3gpuE9ELNS1_3repE0EEENS1_30default_config_static_selectorELNS0_4arch9wavefront6targetE1EEEvT1_,@function
_ZN7rocprim17ROCPRIM_400000_NS6detail17trampoline_kernelINS0_14default_configENS1_35adjacent_difference_config_selectorILb1ElEEZNS1_24adjacent_difference_implIS3_Lb1ELb0EPlS7_ZN2at6native12_GLOBAL__N_124unique_dim_cuda_templateIbEESt5tupleIJNS8_6TensorESD_SD_EERKSD_lbbbEUlllE1_EE10hipError_tPvRmT2_T3_mT4_P12ihipStream_tbEUlT_E_NS1_11comp_targetILNS1_3genE5ELNS1_11target_archE942ELNS1_3gpuE9ELNS1_3repE0EEENS1_30default_config_static_selectorELNS0_4arch9wavefront6targetE1EEEvT1_: ; @_ZN7rocprim17ROCPRIM_400000_NS6detail17trampoline_kernelINS0_14default_configENS1_35adjacent_difference_config_selectorILb1ElEEZNS1_24adjacent_difference_implIS3_Lb1ELb0EPlS7_ZN2at6native12_GLOBAL__N_124unique_dim_cuda_templateIbEESt5tupleIJNS8_6TensorESD_SD_EERKSD_lbbbEUlllE1_EE10hipError_tPvRmT2_T3_mT4_P12ihipStream_tbEUlT_E_NS1_11comp_targetILNS1_3genE5ELNS1_11target_archE942ELNS1_3gpuE9ELNS1_3repE0EEENS1_30default_config_static_selectorELNS0_4arch9wavefront6targetE1EEEvT1_
; %bb.0:
	s_load_dwordx16 s[4:19], s[0:1], 0x0
	s_mov_b32 s1, 0x545d15a0
	v_bfrev_b32_e32 v1, 4
	s_movk_i32 s0, 0xb00
	s_mul_i32 s20, s2, 0xb00
	s_waitcnt lgkmcnt(0)
	s_lshl_b64 s[22:23], s[6:7], 3
	s_add_u32 s30, s4, s22
	s_addc_u32 s31, s5, s23
	s_add_u32 s1, 0x74, s1
	s_addc_u32 s4, 0, 0
	v_add_co_u32_e32 v1, vcc, s1, v1
	s_cmp_lg_u64 vcc, 0
	v_readfirstlane_b32 s5, v1
	s_addc_u32 s1, s4, 0x1745d1
	s_mul_hi_u32 s6, s5, 0xfffff500
	s_mul_i32 s4, s1, 0xfffff500
	s_sub_i32 s6, s6, s5
	s_add_i32 s6, s6, s4
	s_mul_i32 s21, s5, 0xfffff500
	s_mul_hi_u32 s4, s5, s6
	s_mul_i32 s7, s5, s6
	s_mul_hi_u32 s5, s5, s21
	s_add_u32 s5, s5, s7
	s_addc_u32 s4, 0, s4
	s_mul_hi_u32 s24, s1, s21
	s_mul_i32 s21, s1, s21
	s_add_u32 s5, s5, s21
	s_mul_hi_u32 s7, s1, s6
	s_addc_u32 s4, s4, s24
	s_addc_u32 s5, s7, 0
	s_mul_i32 s6, s1, s6
	s_add_u32 s4, s4, s6
	s_addc_u32 s5, 0, s5
	v_add_co_u32_e32 v1, vcc, s4, v1
	s_cmp_lg_u64 vcc, 0
	s_addc_u32 s1, s1, s5
	v_readfirstlane_b32 s6, v1
	s_mul_i32 s5, s10, s1
	s_mul_hi_u32 s7, s10, s6
	s_mul_hi_u32 s4, s10, s1
	s_add_u32 s5, s7, s5
	s_addc_u32 s4, 0, s4
	s_mul_hi_u32 s21, s11, s6
	s_mul_i32 s6, s11, s6
	s_add_u32 s5, s5, s6
	s_mul_hi_u32 s7, s11, s1
	s_addc_u32 s4, s4, s21
	s_addc_u32 s5, s7, 0
	s_mul_i32 s1, s11, s1
	s_add_u32 s1, s4, s1
	s_addc_u32 s4, 0, s5
	s_add_u32 s5, s1, 1
	s_addc_u32 s6, s4, 0
	s_add_u32 s7, s1, 2
	s_mul_i32 s24, s4, 0xb00
	s_mul_hi_u32 s25, s1, 0xb00
	s_addc_u32 s21, s4, 0
	s_add_i32 s25, s25, s24
	s_mul_i32 s24, s1, 0xb00
	v_mov_b32_e32 v1, s24
	v_sub_co_u32_e32 v1, vcc, s10, v1
	s_cmp_lg_u64 vcc, 0
	s_subb_u32 s24, s11, s25
	v_subrev_co_u32_e32 v2, vcc, s0, v1
	s_cmp_lg_u64 vcc, 0
	s_subb_u32 s0, s24, 0
	v_readfirstlane_b32 s25, v2
	s_cmpk_gt_u32 s25, 0xaff
	s_cselect_b32 s25, -1, 0
	s_cmp_eq_u32 s0, 0
	s_cselect_b32 s0, s25, -1
	s_cmp_lg_u32 s0, 0
	s_cselect_b32 s0, s7, s5
	s_cselect_b32 s5, s21, s6
	v_readfirstlane_b32 s6, v1
	s_cmpk_gt_u32 s6, 0xaff
	s_cselect_b32 s6, -1, 0
	s_cmp_eq_u32 s24, 0
	s_cselect_b32 s6, s6, -1
	s_cmp_lg_u32 s6, 0
	s_cselect_b32 s4, s5, s4
	s_cselect_b32 s5, s0, s1
	s_mul_i32 s0, s4, 0xb00
	s_mul_hi_u32 s1, s5, 0xb00
	s_add_i32 s1, s1, s0
	s_mul_i32 s0, s5, 0xb00
	s_sub_u32 s0, s10, s0
	s_subb_u32 s1, s11, s1
	s_cmp_lg_u64 s[0:1], 0
	s_cselect_b64 s[0:1], -1, 0
	v_cndmask_b32_e64 v1, 0, 1, s[0:1]
	s_mov_b32 s3, 0
	v_readfirstlane_b32 s0, v1
	s_add_u32 s26, s5, s0
	s_addc_u32 s27, s4, 0
	s_add_u32 s28, s18, s2
	s_addc_u32 s29, s19, 0
	s_add_u32 s4, s26, -1
	s_addc_u32 s5, s27, -1
	v_mov_b64_e32 v[2:3], s[4:5]
	v_cmp_ge_u64_e64 s[0:1], s[28:29], v[2:3]
	s_mov_b64 s[6:7], -1
	s_and_b64 vcc, exec, s[0:1]
	s_mul_i32 s11, s4, 0xfffff500
	s_cbranch_vccz .LBB1053_24
; %bb.1:
	s_mov_b32 s21, s3
	s_add_i32 s33, s11, s10
	s_lshl_b64 s[6:7], s[20:21], 3
	s_add_u32 s6, s30, s6
	s_addc_u32 s7, s31, s7
	v_cmp_gt_u32_e32 vcc, s33, v0
                                        ; implicit-def: $vgpr2_vgpr3_vgpr4_vgpr5_vgpr6_vgpr7_vgpr8_vgpr9_vgpr10_vgpr11_vgpr12_vgpr13_vgpr14_vgpr15_vgpr16_vgpr17_vgpr18_vgpr19_vgpr20_vgpr21_vgpr22_vgpr23_vgpr24_vgpr25_vgpr26_vgpr27_vgpr28_vgpr29_vgpr30_vgpr31_vgpr32_vgpr33
	s_and_saveexec_b64 s[24:25], vcc
	s_cbranch_execz .LBB1053_3
; %bb.2:
	v_lshlrev_b32_e32 v1, 3, v0
	global_load_dwordx2 v[2:3], v1, s[6:7]
.LBB1053_3:
	s_or_b64 exec, exec, s[24:25]
	v_or_b32_e32 v1, 0x100, v0
	v_cmp_gt_u32_e32 vcc, s33, v1
	s_and_saveexec_b64 s[24:25], vcc
	s_cbranch_execz .LBB1053_5
; %bb.4:
	v_lshlrev_b32_e32 v1, 3, v0
	global_load_dwordx2 v[4:5], v1, s[6:7] offset:2048
.LBB1053_5:
	s_or_b64 exec, exec, s[24:25]
	v_or_b32_e32 v1, 0x200, v0
	v_cmp_gt_u32_e32 vcc, s33, v1
	s_and_saveexec_b64 s[24:25], vcc
	s_cbranch_execz .LBB1053_7
; %bb.6:
	v_lshlrev_b32_e32 v1, 3, v1
	global_load_dwordx2 v[6:7], v1, s[6:7]
.LBB1053_7:
	s_or_b64 exec, exec, s[24:25]
	v_or_b32_e32 v1, 0x300, v0
	v_cmp_gt_u32_e32 vcc, s33, v1
	s_and_saveexec_b64 s[24:25], vcc
	s_cbranch_execz .LBB1053_9
; %bb.8:
	v_lshlrev_b32_e32 v1, 3, v1
	global_load_dwordx2 v[8:9], v1, s[6:7]
.LBB1053_9:
	;; [unrolled: 9-line block ×9, first 2 shown]
	s_or_b64 exec, exec, s[24:25]
	v_lshlrev_b32_e32 v1, 3, v0
	s_mov_b64 s[6:7], 0
	s_waitcnt vmcnt(0)
	ds_write2st64_b64 v1, v[2:3], v[4:5] offset1:4
	ds_write2st64_b64 v1, v[6:7], v[8:9] offset0:8 offset1:12
	ds_write2st64_b64 v1, v[10:11], v[12:13] offset0:16 offset1:20
	;; [unrolled: 1-line block ×4, first 2 shown]
	ds_write_b64 v1, v[22:23] offset:20480
	s_waitcnt lgkmcnt(0)
	s_barrier
.LBB1053_24:
	s_and_b64 vcc, exec, s[6:7]
	v_lshlrev_b32_e32 v46, 3, v0
	s_cbranch_vccz .LBB1053_26
; %bb.25:
	s_mov_b32 s21, 0
	s_lshl_b64 s[6:7], s[20:21], 3
	s_add_u32 s6, s30, s6
	s_addc_u32 s7, s31, s7
	v_mov_b32_e32 v47, 0
	v_lshl_add_u64 v[2:3], s[6:7], 0, v[46:47]
	v_add_co_u32_e32 v8, vcc, 0x1000, v2
	global_load_dwordx2 v[4:5], v46, s[6:7]
	global_load_dwordx2 v[6:7], v46, s[6:7] offset:2048
	v_addc_co_u32_e32 v9, vcc, 0, v3, vcc
	v_add_co_u32_e32 v10, vcc, 0x2000, v2
	s_nop 1
	v_addc_co_u32_e32 v11, vcc, 0, v3, vcc
	global_load_dwordx2 v[12:13], v[8:9], off
	global_load_dwordx2 v[14:15], v[8:9], off offset:2048
	global_load_dwordx2 v[16:17], v[10:11], off
	global_load_dwordx2 v[18:19], v[10:11], off offset:2048
	v_add_co_u32_e32 v8, vcc, 0x3000, v2
	s_nop 1
	v_addc_co_u32_e32 v9, vcc, 0, v3, vcc
	v_add_co_u32_e32 v10, vcc, 0x4000, v2
	s_nop 1
	v_addc_co_u32_e32 v11, vcc, 0, v3, vcc
	global_load_dwordx2 v[20:21], v[8:9], off
	global_load_dwordx2 v[22:23], v[8:9], off offset:2048
	global_load_dwordx2 v[24:25], v[10:11], off
	global_load_dwordx2 v[26:27], v[10:11], off offset:2048
	v_add_co_u32_e32 v2, vcc, 0x5000, v2
	s_nop 1
	v_addc_co_u32_e32 v3, vcc, 0, v3, vcc
	global_load_dwordx2 v[2:3], v[2:3], off
	s_waitcnt vmcnt(9)
	ds_write2st64_b64 v46, v[4:5], v[6:7] offset1:4
	s_waitcnt vmcnt(7)
	ds_write2st64_b64 v46, v[12:13], v[14:15] offset0:8 offset1:12
	s_waitcnt vmcnt(5)
	ds_write2st64_b64 v46, v[16:17], v[18:19] offset0:16 offset1:20
	s_waitcnt vmcnt(3)
	ds_write2st64_b64 v46, v[20:21], v[22:23] offset0:24 offset1:28
	s_waitcnt vmcnt(1)
	ds_write2st64_b64 v46, v[24:25], v[26:27] offset0:32 offset1:36
	s_waitcnt vmcnt(0)
	ds_write_b64 v46, v[2:3] offset:20480
	s_waitcnt lgkmcnt(0)
	s_barrier
.LBB1053_26:
	v_mul_u32_u24_e32 v1, 11, v0
	v_lshlrev_b32_e32 v1, 3, v1
	ds_read2_b64 v[2:5], v1 offset1:1
	ds_read2_b64 v[6:9], v1 offset0:2 offset1:3
	ds_read2_b64 v[10:13], v1 offset0:4 offset1:5
	;; [unrolled: 1-line block ×4, first 2 shown]
	ds_read_b64 v[52:53], v1 offset:80
	s_cmp_eq_u64 s[28:29], 0
	s_mov_b64 s[24:25], 0
	s_waitcnt lgkmcnt(0)
	s_barrier
	s_cbranch_scc1 .LBB1053_35
; %bb.27:
	s_lshl_b64 s[6:7], s[18:19], 3
	s_add_u32 s6, s16, s6
	s_addc_u32 s7, s17, s7
	s_lshl_b64 s[2:3], s[2:3], 3
	s_add_u32 s2, s6, s2
	s_addc_u32 s3, s7, s3
	s_add_u32 s2, s2, -8
	s_addc_u32 s3, s3, -1
	s_load_dwordx2 s[16:17], s[2:3], 0x0
	s_cmp_lg_u64 s[28:29], s[4:5]
	s_cbranch_scc0 .LBB1053_36
; %bb.28:
	v_mov_b64_e32 v[50:51], 0
	v_cmp_lt_i64_e64 s[2:3], s[12:13], 1
	v_cmp_gt_i64_e64 s[6:7], s[12:13], 0
	s_and_b64 vcc, exec, s[2:3]
	v_mov_b64_e32 v[48:49], v[50:51]
	ds_write_b64 v46, v[52:53]
	s_cbranch_vccnz .LBB1053_46
; %bb.29:
	v_mov_b64_e32 v[14:15], s[14:15]
	v_mad_u64_u32 v[16:17], s[2:3], v52, s12, v[14:15]
	v_mul_lo_u32 v1, v52, s13
	v_mul_lo_u32 v26, v53, s12
	v_add3_u32 v17, v26, v17, v1
	v_mad_u64_u32 v[14:15], s[2:3], v24, s12, v[14:15]
	v_mul_lo_u32 v1, v24, s13
	v_mul_lo_u32 v26, v25, s12
	v_add3_u32 v15, v26, v15, v1
	global_load_ubyte v1, v[16:17], off
	global_load_ubyte v26, v[14:15], off
	v_mov_b64_e32 v[48:49], 1
	s_waitcnt vmcnt(1)
	v_cmp_ne_u16_e64 s[2:3], 0, v1
	s_waitcnt vmcnt(0)
	v_cmp_ne_u16_e32 vcc, 0, v26
	s_xor_b64 s[2:3], s[2:3], vcc
	s_xor_b64 s[2:3], s[2:3], -1
	s_and_saveexec_b64 s[18:19], s[2:3]
	s_cbranch_execz .LBB1053_38
; %bb.30:
	s_mov_b64 s[34:35], 1
                                        ; implicit-def: $sgpr30_sgpr31
	s_branch .LBB1053_33
.LBB1053_31:                            ;   in Loop: Header=BB1053_33 Depth=1
	v_lshl_add_u64 v[26:27], v[16:17], 0, s[34:35]
	v_lshl_add_u64 v[28:29], v[14:15], 0, s[34:35]
	global_load_ubyte v1, v[26:27], off
	global_load_ubyte v30, v[28:29], off
	s_waitcnt vmcnt(1)
	v_cmp_ne_u16_e64 s[2:3], 0, v1
	s_waitcnt vmcnt(0)
	v_cmp_ne_u16_e64 s[4:5], 0, v30
	s_xor_b64 s[4:5], s[2:3], s[4:5]
	s_add_u32 s2, s34, 1
	s_addc_u32 s3, s35, 0
	s_andn2_b64 s[30:31], s[30:31], exec
	s_and_b64 s[4:5], s[4:5], exec
	s_or_b64 s[30:31], s[30:31], s[4:5]
.LBB1053_32:                            ;   in Loop: Header=BB1053_33 Depth=1
	s_and_b64 s[4:5], exec, s[30:31]
	s_or_b64 s[24:25], s[4:5], s[24:25]
	v_mov_b64_e32 v[26:27], s[34:35]
	s_mov_b64 s[34:35], s[2:3]
	s_andn2_b64 exec, exec, s[24:25]
	s_cbranch_execz .LBB1053_37
.LBB1053_33:                            ; =>This Inner Loop Header: Depth=1
	s_or_b64 s[30:31], s[30:31], exec
	s_cmp_eq_u64 s[12:13], s[34:35]
	s_cbranch_scc0 .LBB1053_31
; %bb.34:                               ;   in Loop: Header=BB1053_33 Depth=1
                                        ; implicit-def: $sgpr2_sgpr3
	s_mov_b64 s[34:35], s[12:13]
	s_branch .LBB1053_32
.LBB1053_35:
                                        ; implicit-def: $sgpr4_sgpr5
                                        ; implicit-def: $vgpr48_vgpr49
                                        ; implicit-def: $vgpr50_vgpr51
                                        ; implicit-def: $vgpr44_vgpr45
                                        ; implicit-def: $vgpr42_vgpr43
                                        ; implicit-def: $vgpr36_vgpr37
                                        ; implicit-def: $vgpr30_vgpr31
                                        ; implicit-def: $vgpr14_vgpr15_vgpr16_vgpr17
                                        ; implicit-def: $vgpr26_vgpr27_vgpr28_vgpr29
                                        ; implicit-def: $vgpr32_vgpr33_vgpr34_vgpr35
                                        ; implicit-def: $vgpr38_vgpr39_vgpr40_vgpr41
	s_cbranch_execnz .LBB1053_245
	s_branch .LBB1053_462
.LBB1053_36:
                                        ; implicit-def: $sgpr4_sgpr5
                                        ; implicit-def: $vgpr48_vgpr49
                                        ; implicit-def: $vgpr50_vgpr51
                                        ; implicit-def: $vgpr44_vgpr45
                                        ; implicit-def: $vgpr42_vgpr43
                                        ; implicit-def: $vgpr36_vgpr37
                                        ; implicit-def: $vgpr30_vgpr31
                                        ; implicit-def: $vgpr14_vgpr15_vgpr16_vgpr17
                                        ; implicit-def: $vgpr26_vgpr27_vgpr28_vgpr29
                                        ; implicit-def: $vgpr32_vgpr33_vgpr34_vgpr35
                                        ; implicit-def: $vgpr38_vgpr39_vgpr40_vgpr41
	s_cbranch_execnz .LBB1053_122
	s_branch .LBB1053_244
.LBB1053_37:
	s_or_b64 exec, exec, s[24:25]
	v_cmp_gt_i64_e64 s[2:3], s[12:13], v[26:27]
	s_nop 1
	v_cndmask_b32_e64 v48, 0, 1, s[2:3]
	s_mov_b32 s2, 0
	v_mov_b32_e32 v49, s2
.LBB1053_38:
	s_or_b64 exec, exec, s[18:19]
	v_mov_b64_e32 v[16:17], s[14:15]
	v_mad_u64_u32 v[16:17], s[2:3], v22, s12, v[16:17]
	v_mul_lo_u32 v1, v22, s13
	v_mul_lo_u32 v26, v23, s12
	v_add3_u32 v17, v26, v17, v1
	global_load_ubyte v1, v[16:17], off
	v_mov_b64_e32 v[50:51], 1
	s_waitcnt vmcnt(0)
	v_cmp_ne_u16_e64 s[2:3], 0, v1
	s_xor_b64 s[2:3], vcc, s[2:3]
	s_xor_b64 s[2:3], s[2:3], -1
	s_and_saveexec_b64 s[4:5], s[2:3]
	s_cbranch_execz .LBB1053_45
; %bb.39:
	s_mov_b64 s[30:31], 1
	s_mov_b64 s[18:19], 0
                                        ; implicit-def: $sgpr24_sgpr25
	s_branch .LBB1053_42
.LBB1053_40:                            ;   in Loop: Header=BB1053_42 Depth=1
	v_lshl_add_u64 v[26:27], v[14:15], 0, s[30:31]
	v_lshl_add_u64 v[28:29], v[16:17], 0, s[30:31]
	global_load_ubyte v1, v[26:27], off
	global_load_ubyte v30, v[28:29], off
	s_waitcnt vmcnt(1)
	v_cmp_ne_u16_e32 vcc, 0, v1
	s_waitcnt vmcnt(0)
	v_cmp_ne_u16_e64 s[2:3], 0, v30
	s_xor_b64 s[34:35], vcc, s[2:3]
	s_add_u32 s2, s30, 1
	s_addc_u32 s3, s31, 0
	s_andn2_b64 s[24:25], s[24:25], exec
	s_and_b64 s[34:35], s[34:35], exec
	s_or_b64 s[24:25], s[24:25], s[34:35]
.LBB1053_41:                            ;   in Loop: Header=BB1053_42 Depth=1
	s_and_b64 s[34:35], exec, s[24:25]
	s_or_b64 s[18:19], s[34:35], s[18:19]
	v_mov_b64_e32 v[26:27], s[30:31]
	s_mov_b64 s[30:31], s[2:3]
	s_andn2_b64 exec, exec, s[18:19]
	s_cbranch_execz .LBB1053_44
.LBB1053_42:                            ; =>This Inner Loop Header: Depth=1
	s_or_b64 s[24:25], s[24:25], exec
	s_cmp_eq_u64 s[12:13], s[30:31]
	s_cbranch_scc0 .LBB1053_40
; %bb.43:                               ;   in Loop: Header=BB1053_42 Depth=1
                                        ; implicit-def: $sgpr2_sgpr3
	s_mov_b64 s[30:31], s[12:13]
	s_branch .LBB1053_41
.LBB1053_44:
	s_or_b64 exec, exec, s[18:19]
	v_cmp_gt_i64_e32 vcc, s[12:13], v[26:27]
	s_mov_b32 s2, 0
	v_mov_b32_e32 v51, s2
	v_cndmask_b32_e64 v50, 0, 1, vcc
.LBB1053_45:
	s_or_b64 exec, exec, s[4:5]
.LBB1053_46:
	v_cndmask_b32_e64 v1, 0, 1, s[6:7]
	v_mov_b64_e32 v[28:29], 0
	v_cmp_ne_u32_e64 s[2:3], 1, v1
	s_andn2_b64 vcc, exec, s[6:7]
	v_mov_b64_e32 v[14:15], v[28:29]
	s_cbranch_vccnz .LBB1053_62
; %bb.47:
	v_mov_b64_e32 v[14:15], s[14:15]
	v_mad_u64_u32 v[26:27], s[4:5], v22, s12, v[14:15]
	v_mul_lo_u32 v1, v22, s13
	v_mul_lo_u32 v16, v23, s12
	v_add3_u32 v27, v16, v27, v1
	v_mad_u64_u32 v[16:17], s[4:5], v20, s12, v[14:15]
	v_mul_lo_u32 v1, v20, s13
	v_mul_lo_u32 v14, v21, s12
	v_add3_u32 v17, v14, v17, v1
	global_load_ubyte v1, v[26:27], off
	global_load_ubyte v14, v[16:17], off
	s_waitcnt vmcnt(1)
	v_cmp_ne_u16_e64 s[4:5], 0, v1
	s_waitcnt vmcnt(0)
	v_cmp_ne_u16_e32 vcc, 0, v14
	s_xor_b64 s[4:5], s[4:5], vcc
	s_xor_b64 s[4:5], s[4:5], -1
	v_mov_b64_e32 v[14:15], 1
	s_and_saveexec_b64 s[18:19], s[4:5]
	s_cbranch_execz .LBB1053_54
; %bb.48:
	s_mov_b64 s[34:35], 1
	s_mov_b64 s[24:25], 0
                                        ; implicit-def: $sgpr30_sgpr31
	s_branch .LBB1053_51
.LBB1053_49:                            ;   in Loop: Header=BB1053_51 Depth=1
	v_lshl_add_u64 v[14:15], v[26:27], 0, s[34:35]
	v_lshl_add_u64 v[28:29], v[16:17], 0, s[34:35]
	global_load_ubyte v1, v[14:15], off
	global_load_ubyte v30, v[28:29], off
	s_waitcnt vmcnt(1)
	v_cmp_ne_u16_e64 s[4:5], 0, v1
	s_waitcnt vmcnt(0)
	v_cmp_ne_u16_e64 s[6:7], 0, v30
	s_xor_b64 s[6:7], s[4:5], s[6:7]
	s_add_u32 s4, s34, 1
	s_addc_u32 s5, s35, 0
	s_andn2_b64 s[30:31], s[30:31], exec
	s_and_b64 s[6:7], s[6:7], exec
	s_or_b64 s[30:31], s[30:31], s[6:7]
.LBB1053_50:                            ;   in Loop: Header=BB1053_51 Depth=1
	s_and_b64 s[6:7], exec, s[30:31]
	s_or_b64 s[24:25], s[6:7], s[24:25]
	v_mov_b64_e32 v[14:15], s[34:35]
	s_mov_b64 s[34:35], s[4:5]
	s_andn2_b64 exec, exec, s[24:25]
	s_cbranch_execz .LBB1053_53
.LBB1053_51:                            ; =>This Inner Loop Header: Depth=1
	s_or_b64 s[30:31], s[30:31], exec
	s_cmp_eq_u64 s[12:13], s[34:35]
	s_cbranch_scc0 .LBB1053_49
; %bb.52:                               ;   in Loop: Header=BB1053_51 Depth=1
                                        ; implicit-def: $sgpr4_sgpr5
	s_mov_b64 s[34:35], s[12:13]
	s_branch .LBB1053_50
.LBB1053_53:
	s_or_b64 exec, exec, s[24:25]
	v_cmp_gt_i64_e64 s[4:5], s[12:13], v[14:15]
	s_nop 1
	v_cndmask_b32_e64 v14, 0, 1, s[4:5]
	s_mov_b32 s4, 0
	v_mov_b32_e32 v15, s4
.LBB1053_54:
	s_or_b64 exec, exec, s[18:19]
	v_mov_b64_e32 v[26:27], s[14:15]
	v_mad_u64_u32 v[26:27], s[4:5], v18, s12, v[26:27]
	v_mul_lo_u32 v1, v18, s13
	v_mul_lo_u32 v28, v19, s12
	v_add3_u32 v27, v28, v27, v1
	global_load_ubyte v1, v[26:27], off
	v_mov_b64_e32 v[28:29], 1
	s_waitcnt vmcnt(0)
	v_cmp_ne_u16_e64 s[4:5], 0, v1
	s_xor_b64 s[4:5], vcc, s[4:5]
	s_xor_b64 s[4:5], s[4:5], -1
	s_and_saveexec_b64 s[6:7], s[4:5]
	s_cbranch_execz .LBB1053_61
; %bb.55:
	s_mov_b64 s[30:31], 1
	s_mov_b64 s[18:19], 0
                                        ; implicit-def: $sgpr24_sgpr25
	s_branch .LBB1053_58
.LBB1053_56:                            ;   in Loop: Header=BB1053_58 Depth=1
	v_lshl_add_u64 v[28:29], v[16:17], 0, s[30:31]
	v_lshl_add_u64 v[30:31], v[26:27], 0, s[30:31]
	global_load_ubyte v1, v[28:29], off
	global_load_ubyte v32, v[30:31], off
	s_waitcnt vmcnt(1)
	v_cmp_ne_u16_e32 vcc, 0, v1
	s_waitcnt vmcnt(0)
	v_cmp_ne_u16_e64 s[4:5], 0, v32
	s_xor_b64 s[34:35], vcc, s[4:5]
	s_add_u32 s4, s30, 1
	s_addc_u32 s5, s31, 0
	s_andn2_b64 s[24:25], s[24:25], exec
	s_and_b64 s[34:35], s[34:35], exec
	s_or_b64 s[24:25], s[24:25], s[34:35]
.LBB1053_57:                            ;   in Loop: Header=BB1053_58 Depth=1
	s_and_b64 s[34:35], exec, s[24:25]
	s_or_b64 s[18:19], s[34:35], s[18:19]
	v_mov_b64_e32 v[28:29], s[30:31]
	s_mov_b64 s[30:31], s[4:5]
	s_andn2_b64 exec, exec, s[18:19]
	s_cbranch_execz .LBB1053_60
.LBB1053_58:                            ; =>This Inner Loop Header: Depth=1
	s_or_b64 s[24:25], s[24:25], exec
	s_cmp_eq_u64 s[12:13], s[30:31]
	s_cbranch_scc0 .LBB1053_56
; %bb.59:                               ;   in Loop: Header=BB1053_58 Depth=1
                                        ; implicit-def: $sgpr4_sgpr5
	s_mov_b64 s[30:31], s[12:13]
	s_branch .LBB1053_57
.LBB1053_60:
	s_or_b64 exec, exec, s[18:19]
	v_cmp_gt_i64_e32 vcc, s[12:13], v[28:29]
	s_mov_b32 s4, 0
	v_mov_b32_e32 v29, s4
	v_cndmask_b32_e64 v28, 0, 1, vcc
.LBB1053_61:
	s_or_b64 exec, exec, s[6:7]
.LBB1053_62:
	v_mov_b64_e32 v[34:35], 0
	s_and_b64 vcc, exec, s[2:3]
	v_mov_b64_e32 v[30:31], v[34:35]
	s_cbranch_vccnz .LBB1053_78
; %bb.63:
	v_mov_b64_e32 v[16:17], s[14:15]
	v_mad_u64_u32 v[26:27], s[4:5], v18, s12, v[16:17]
	v_mul_lo_u32 v1, v18, s13
	v_mul_lo_u32 v30, v19, s12
	v_add3_u32 v27, v30, v27, v1
	v_mad_u64_u32 v[16:17], s[4:5], v12, s12, v[16:17]
	v_mul_lo_u32 v1, v12, s13
	v_mul_lo_u32 v30, v13, s12
	v_add3_u32 v17, v30, v17, v1
	global_load_ubyte v1, v[26:27], off
	global_load_ubyte v30, v[16:17], off
	s_waitcnt vmcnt(1)
	v_cmp_ne_u16_e64 s[4:5], 0, v1
	s_waitcnt vmcnt(0)
	v_cmp_ne_u16_e32 vcc, 0, v30
	s_xor_b64 s[4:5], s[4:5], vcc
	s_xor_b64 s[4:5], s[4:5], -1
	v_mov_b64_e32 v[30:31], 1
	s_and_saveexec_b64 s[18:19], s[4:5]
	s_cbranch_execz .LBB1053_70
; %bb.64:
	s_mov_b64 s[34:35], 1
	s_mov_b64 s[24:25], 0
                                        ; implicit-def: $sgpr30_sgpr31
	s_branch .LBB1053_67
.LBB1053_65:                            ;   in Loop: Header=BB1053_67 Depth=1
	v_lshl_add_u64 v[30:31], v[26:27], 0, s[34:35]
	v_lshl_add_u64 v[32:33], v[16:17], 0, s[34:35]
	global_load_ubyte v1, v[30:31], off
	global_load_ubyte v34, v[32:33], off
	s_waitcnt vmcnt(1)
	v_cmp_ne_u16_e64 s[4:5], 0, v1
	s_waitcnt vmcnt(0)
	v_cmp_ne_u16_e64 s[6:7], 0, v34
	s_xor_b64 s[6:7], s[4:5], s[6:7]
	s_add_u32 s4, s34, 1
	s_addc_u32 s5, s35, 0
	s_andn2_b64 s[30:31], s[30:31], exec
	s_and_b64 s[6:7], s[6:7], exec
	s_or_b64 s[30:31], s[30:31], s[6:7]
.LBB1053_66:                            ;   in Loop: Header=BB1053_67 Depth=1
	s_and_b64 s[6:7], exec, s[30:31]
	s_or_b64 s[24:25], s[6:7], s[24:25]
	v_mov_b64_e32 v[30:31], s[34:35]
	s_mov_b64 s[34:35], s[4:5]
	s_andn2_b64 exec, exec, s[24:25]
	s_cbranch_execz .LBB1053_69
.LBB1053_67:                            ; =>This Inner Loop Header: Depth=1
	s_or_b64 s[30:31], s[30:31], exec
	s_cmp_eq_u64 s[12:13], s[34:35]
	s_cbranch_scc0 .LBB1053_65
; %bb.68:                               ;   in Loop: Header=BB1053_67 Depth=1
                                        ; implicit-def: $sgpr4_sgpr5
	s_mov_b64 s[34:35], s[12:13]
	s_branch .LBB1053_66
.LBB1053_69:
	s_or_b64 exec, exec, s[24:25]
	v_cmp_gt_i64_e64 s[4:5], s[12:13], v[30:31]
	s_nop 1
	v_cndmask_b32_e64 v30, 0, 1, s[4:5]
	s_mov_b32 s4, 0
	v_mov_b32_e32 v31, s4
.LBB1053_70:
	s_or_b64 exec, exec, s[18:19]
	v_mov_b64_e32 v[26:27], s[14:15]
	v_mad_u64_u32 v[26:27], s[4:5], v10, s12, v[26:27]
	v_mul_lo_u32 v1, v10, s13
	v_mul_lo_u32 v32, v11, s12
	v_add3_u32 v27, v32, v27, v1
	global_load_ubyte v1, v[26:27], off
	v_mov_b64_e32 v[34:35], 1
	s_waitcnt vmcnt(0)
	v_cmp_ne_u16_e64 s[4:5], 0, v1
	s_xor_b64 s[4:5], vcc, s[4:5]
	s_xor_b64 s[4:5], s[4:5], -1
	s_and_saveexec_b64 s[6:7], s[4:5]
	s_cbranch_execz .LBB1053_77
; %bb.71:
	s_mov_b64 s[30:31], 1
	s_mov_b64 s[18:19], 0
                                        ; implicit-def: $sgpr24_sgpr25
	s_branch .LBB1053_74
.LBB1053_72:                            ;   in Loop: Header=BB1053_74 Depth=1
	v_lshl_add_u64 v[32:33], v[16:17], 0, s[30:31]
	v_lshl_add_u64 v[34:35], v[26:27], 0, s[30:31]
	global_load_ubyte v1, v[32:33], off
	global_load_ubyte v36, v[34:35], off
	s_waitcnt vmcnt(1)
	v_cmp_ne_u16_e32 vcc, 0, v1
	s_waitcnt vmcnt(0)
	v_cmp_ne_u16_e64 s[4:5], 0, v36
	s_xor_b64 s[34:35], vcc, s[4:5]
	s_add_u32 s4, s30, 1
	s_addc_u32 s5, s31, 0
	s_andn2_b64 s[24:25], s[24:25], exec
	s_and_b64 s[34:35], s[34:35], exec
	s_or_b64 s[24:25], s[24:25], s[34:35]
.LBB1053_73:                            ;   in Loop: Header=BB1053_74 Depth=1
	s_and_b64 s[34:35], exec, s[24:25]
	s_or_b64 s[18:19], s[34:35], s[18:19]
	v_mov_b64_e32 v[32:33], s[30:31]
	s_mov_b64 s[30:31], s[4:5]
	s_andn2_b64 exec, exec, s[18:19]
	s_cbranch_execz .LBB1053_76
.LBB1053_74:                            ; =>This Inner Loop Header: Depth=1
	s_or_b64 s[24:25], s[24:25], exec
	s_cmp_eq_u64 s[12:13], s[30:31]
	s_cbranch_scc0 .LBB1053_72
; %bb.75:                               ;   in Loop: Header=BB1053_74 Depth=1
                                        ; implicit-def: $sgpr4_sgpr5
	s_mov_b64 s[30:31], s[12:13]
	s_branch .LBB1053_73
.LBB1053_76:
	s_or_b64 exec, exec, s[18:19]
	v_cmp_gt_i64_e32 vcc, s[12:13], v[32:33]
	s_mov_b32 s4, 0
	v_mov_b32_e32 v35, s4
	v_cndmask_b32_e64 v34, 0, 1, vcc
.LBB1053_77:
	s_or_b64 exec, exec, s[6:7]
.LBB1053_78:
	v_mov_b64_e32 v[40:41], 0
	s_and_b64 vcc, exec, s[2:3]
	v_mov_b64_e32 v[36:37], v[40:41]
	s_cbranch_vccnz .LBB1053_94
; %bb.79:
	v_mov_b64_e32 v[16:17], s[14:15]
	v_mad_u64_u32 v[26:27], s[4:5], v10, s12, v[16:17]
	v_mul_lo_u32 v1, v10, s13
	v_mul_lo_u32 v32, v11, s12
	v_add3_u32 v27, v32, v27, v1
	v_mad_u64_u32 v[16:17], s[4:5], v8, s12, v[16:17]
	v_mul_lo_u32 v1, v8, s13
	v_mul_lo_u32 v32, v9, s12
	v_add3_u32 v17, v32, v17, v1
	global_load_ubyte v1, v[26:27], off
	global_load_ubyte v32, v[16:17], off
	v_mov_b64_e32 v[36:37], 1
	s_waitcnt vmcnt(1)
	v_cmp_ne_u16_e64 s[4:5], 0, v1
	s_waitcnt vmcnt(0)
	v_cmp_ne_u16_e32 vcc, 0, v32
	s_xor_b64 s[4:5], s[4:5], vcc
	s_xor_b64 s[4:5], s[4:5], -1
	s_and_saveexec_b64 s[18:19], s[4:5]
	s_cbranch_execz .LBB1053_86
; %bb.80:
	s_mov_b64 s[34:35], 1
	s_mov_b64 s[24:25], 0
                                        ; implicit-def: $sgpr30_sgpr31
	s_branch .LBB1053_83
.LBB1053_81:                            ;   in Loop: Header=BB1053_83 Depth=1
	v_lshl_add_u64 v[32:33], v[26:27], 0, s[34:35]
	v_lshl_add_u64 v[36:37], v[16:17], 0, s[34:35]
	global_load_ubyte v1, v[32:33], off
	global_load_ubyte v38, v[36:37], off
	s_waitcnt vmcnt(1)
	v_cmp_ne_u16_e64 s[4:5], 0, v1
	s_waitcnt vmcnt(0)
	v_cmp_ne_u16_e64 s[6:7], 0, v38
	s_xor_b64 s[6:7], s[4:5], s[6:7]
	s_add_u32 s4, s34, 1
	s_addc_u32 s5, s35, 0
	s_andn2_b64 s[30:31], s[30:31], exec
	s_and_b64 s[6:7], s[6:7], exec
	s_or_b64 s[30:31], s[30:31], s[6:7]
.LBB1053_82:                            ;   in Loop: Header=BB1053_83 Depth=1
	s_and_b64 s[6:7], exec, s[30:31]
	s_or_b64 s[24:25], s[6:7], s[24:25]
	v_mov_b64_e32 v[32:33], s[34:35]
	s_mov_b64 s[34:35], s[4:5]
	s_andn2_b64 exec, exec, s[24:25]
	s_cbranch_execz .LBB1053_85
.LBB1053_83:                            ; =>This Inner Loop Header: Depth=1
	s_or_b64 s[30:31], s[30:31], exec
	s_cmp_eq_u64 s[12:13], s[34:35]
	s_cbranch_scc0 .LBB1053_81
; %bb.84:                               ;   in Loop: Header=BB1053_83 Depth=1
                                        ; implicit-def: $sgpr4_sgpr5
	s_mov_b64 s[34:35], s[12:13]
	s_branch .LBB1053_82
.LBB1053_85:
	s_or_b64 exec, exec, s[24:25]
	v_cmp_gt_i64_e64 s[4:5], s[12:13], v[32:33]
	s_nop 1
	v_cndmask_b32_e64 v36, 0, 1, s[4:5]
	s_mov_b32 s4, 0
	v_mov_b32_e32 v37, s4
.LBB1053_86:
	s_or_b64 exec, exec, s[18:19]
	v_mov_b64_e32 v[26:27], s[14:15]
	v_mad_u64_u32 v[26:27], s[4:5], v6, s12, v[26:27]
	v_mul_lo_u32 v1, v6, s13
	v_mul_lo_u32 v32, v7, s12
	v_add3_u32 v27, v32, v27, v1
	global_load_ubyte v1, v[26:27], off
	v_mov_b64_e32 v[40:41], 1
	s_waitcnt vmcnt(0)
	v_cmp_ne_u16_e64 s[4:5], 0, v1
	s_xor_b64 s[4:5], vcc, s[4:5]
	s_xor_b64 s[4:5], s[4:5], -1
	s_and_saveexec_b64 s[6:7], s[4:5]
	s_cbranch_execz .LBB1053_93
; %bb.87:
	s_mov_b64 s[30:31], 1
	s_mov_b64 s[18:19], 0
                                        ; implicit-def: $sgpr24_sgpr25
	s_branch .LBB1053_90
.LBB1053_88:                            ;   in Loop: Header=BB1053_90 Depth=1
	v_lshl_add_u64 v[32:33], v[16:17], 0, s[30:31]
	v_lshl_add_u64 v[38:39], v[26:27], 0, s[30:31]
	global_load_ubyte v1, v[32:33], off
	global_load_ubyte v40, v[38:39], off
	s_waitcnt vmcnt(1)
	v_cmp_ne_u16_e32 vcc, 0, v1
	s_waitcnt vmcnt(0)
	v_cmp_ne_u16_e64 s[4:5], 0, v40
	s_xor_b64 s[34:35], vcc, s[4:5]
	s_add_u32 s4, s30, 1
	s_addc_u32 s5, s31, 0
	s_andn2_b64 s[24:25], s[24:25], exec
	s_and_b64 s[34:35], s[34:35], exec
	s_or_b64 s[24:25], s[24:25], s[34:35]
.LBB1053_89:                            ;   in Loop: Header=BB1053_90 Depth=1
	s_and_b64 s[34:35], exec, s[24:25]
	s_or_b64 s[18:19], s[34:35], s[18:19]
	v_mov_b64_e32 v[32:33], s[30:31]
	s_mov_b64 s[30:31], s[4:5]
	s_andn2_b64 exec, exec, s[18:19]
	s_cbranch_execz .LBB1053_92
.LBB1053_90:                            ; =>This Inner Loop Header: Depth=1
	s_or_b64 s[24:25], s[24:25], exec
	s_cmp_eq_u64 s[12:13], s[30:31]
	s_cbranch_scc0 .LBB1053_88
; %bb.91:                               ;   in Loop: Header=BB1053_90 Depth=1
                                        ; implicit-def: $sgpr4_sgpr5
	s_mov_b64 s[30:31], s[12:13]
	s_branch .LBB1053_89
.LBB1053_92:
	s_or_b64 exec, exec, s[18:19]
	v_cmp_gt_i64_e32 vcc, s[12:13], v[32:33]
	s_mov_b32 s4, 0
	v_mov_b32_e32 v41, s4
	v_cndmask_b32_e64 v40, 0, 1, vcc
.LBB1053_93:
	s_or_b64 exec, exec, s[6:7]
.LBB1053_94:
	v_mov_b64_e32 v[44:45], 0
	s_and_b64 vcc, exec, s[2:3]
	v_mov_b64_e32 v[42:43], v[44:45]
	s_cbranch_vccnz .LBB1053_110
; %bb.95:
	v_mov_b64_e32 v[16:17], s[14:15]
	v_mad_u64_u32 v[26:27], s[4:5], v6, s12, v[16:17]
	v_mul_lo_u32 v1, v6, s13
	v_mul_lo_u32 v32, v7, s12
	v_add3_u32 v27, v32, v27, v1
	v_mad_u64_u32 v[16:17], s[4:5], v4, s12, v[16:17]
	v_mul_lo_u32 v1, v4, s13
	v_mul_lo_u32 v32, v5, s12
	v_add3_u32 v17, v32, v17, v1
	global_load_ubyte v1, v[26:27], off
	global_load_ubyte v32, v[16:17], off
	v_mov_b64_e32 v[42:43], 1
	s_waitcnt vmcnt(1)
	v_cmp_ne_u16_e64 s[4:5], 0, v1
	s_waitcnt vmcnt(0)
	v_cmp_ne_u16_e32 vcc, 0, v32
	s_xor_b64 s[4:5], s[4:5], vcc
	s_xor_b64 s[4:5], s[4:5], -1
	s_and_saveexec_b64 s[18:19], s[4:5]
	s_cbranch_execz .LBB1053_102
; %bb.96:
	s_mov_b64 s[34:35], 1
	s_mov_b64 s[24:25], 0
                                        ; implicit-def: $sgpr30_sgpr31
	s_branch .LBB1053_99
.LBB1053_97:                            ;   in Loop: Header=BB1053_99 Depth=1
	v_lshl_add_u64 v[32:33], v[26:27], 0, s[34:35]
	v_lshl_add_u64 v[38:39], v[16:17], 0, s[34:35]
	global_load_ubyte v1, v[32:33], off
	global_load_ubyte v42, v[38:39], off
	s_waitcnt vmcnt(1)
	v_cmp_ne_u16_e64 s[4:5], 0, v1
	s_waitcnt vmcnt(0)
	v_cmp_ne_u16_e64 s[6:7], 0, v42
	s_xor_b64 s[6:7], s[4:5], s[6:7]
	s_add_u32 s4, s34, 1
	s_addc_u32 s5, s35, 0
	s_andn2_b64 s[30:31], s[30:31], exec
	s_and_b64 s[6:7], s[6:7], exec
	s_or_b64 s[30:31], s[30:31], s[6:7]
.LBB1053_98:                            ;   in Loop: Header=BB1053_99 Depth=1
	s_and_b64 s[6:7], exec, s[30:31]
	s_or_b64 s[24:25], s[6:7], s[24:25]
	v_mov_b64_e32 v[32:33], s[34:35]
	s_mov_b64 s[34:35], s[4:5]
	s_andn2_b64 exec, exec, s[24:25]
	s_cbranch_execz .LBB1053_101
.LBB1053_99:                            ; =>This Inner Loop Header: Depth=1
	s_or_b64 s[30:31], s[30:31], exec
	s_cmp_eq_u64 s[12:13], s[34:35]
	s_cbranch_scc0 .LBB1053_97
; %bb.100:                              ;   in Loop: Header=BB1053_99 Depth=1
                                        ; implicit-def: $sgpr4_sgpr5
	s_mov_b64 s[34:35], s[12:13]
	s_branch .LBB1053_98
.LBB1053_101:
	s_or_b64 exec, exec, s[24:25]
	v_cmp_gt_i64_e64 s[4:5], s[12:13], v[32:33]
	s_nop 1
	v_cndmask_b32_e64 v42, 0, 1, s[4:5]
	s_mov_b32 s4, 0
	v_mov_b32_e32 v43, s4
.LBB1053_102:
	s_or_b64 exec, exec, s[18:19]
	v_mov_b64_e32 v[26:27], s[14:15]
	v_mad_u64_u32 v[26:27], s[4:5], v2, s12, v[26:27]
	v_mul_lo_u32 v1, v2, s13
	v_mul_lo_u32 v32, v3, s12
	v_add3_u32 v27, v32, v27, v1
	global_load_ubyte v1, v[26:27], off
	v_mov_b64_e32 v[44:45], 1
	s_waitcnt vmcnt(0)
	v_cmp_ne_u16_e64 s[4:5], 0, v1
	s_xor_b64 s[4:5], vcc, s[4:5]
	s_xor_b64 s[4:5], s[4:5], -1
	s_and_saveexec_b64 s[6:7], s[4:5]
	s_cbranch_execz .LBB1053_109
; %bb.103:
	s_mov_b64 s[30:31], 1
	s_mov_b64 s[18:19], 0
                                        ; implicit-def: $sgpr24_sgpr25
	s_branch .LBB1053_106
.LBB1053_104:                           ;   in Loop: Header=BB1053_106 Depth=1
	v_lshl_add_u64 v[32:33], v[16:17], 0, s[30:31]
	v_lshl_add_u64 v[38:39], v[26:27], 0, s[30:31]
	global_load_ubyte v1, v[32:33], off
	global_load_ubyte v44, v[38:39], off
	s_waitcnt vmcnt(1)
	v_cmp_ne_u16_e32 vcc, 0, v1
	s_waitcnt vmcnt(0)
	v_cmp_ne_u16_e64 s[4:5], 0, v44
	s_xor_b64 s[34:35], vcc, s[4:5]
	s_add_u32 s4, s30, 1
	s_addc_u32 s5, s31, 0
	s_andn2_b64 s[24:25], s[24:25], exec
	s_and_b64 s[34:35], s[34:35], exec
	s_or_b64 s[24:25], s[24:25], s[34:35]
.LBB1053_105:                           ;   in Loop: Header=BB1053_106 Depth=1
	s_and_b64 s[34:35], exec, s[24:25]
	s_or_b64 s[18:19], s[34:35], s[18:19]
	v_mov_b64_e32 v[32:33], s[30:31]
	s_mov_b64 s[30:31], s[4:5]
	s_andn2_b64 exec, exec, s[18:19]
	s_cbranch_execz .LBB1053_108
.LBB1053_106:                           ; =>This Inner Loop Header: Depth=1
	s_or_b64 s[24:25], s[24:25], exec
	s_cmp_eq_u64 s[12:13], s[30:31]
	s_cbranch_scc0 .LBB1053_104
; %bb.107:                              ;   in Loop: Header=BB1053_106 Depth=1
                                        ; implicit-def: $sgpr4_sgpr5
	s_mov_b64 s[30:31], s[12:13]
	s_branch .LBB1053_105
.LBB1053_108:
	s_or_b64 exec, exec, s[18:19]
	v_cmp_gt_i64_e32 vcc, s[12:13], v[32:33]
	s_mov_b32 s4, 0
	v_mov_b32_e32 v45, s4
	v_cndmask_b32_e64 v44, 0, 1, vcc
.LBB1053_109:
	s_or_b64 exec, exec, s[6:7]
.LBB1053_110:
	v_cmp_ne_u32_e32 vcc, 0, v0
	s_waitcnt lgkmcnt(0)
	v_mov_b64_e32 v[32:33], s[16:17]
	s_barrier
	s_and_saveexec_b64 s[4:5], vcc
	s_cbranch_execz .LBB1053_112
; %bb.111:
	v_add_u32_e32 v1, -8, v46
	ds_read_b64 v[32:33], v1
.LBB1053_112:
	s_or_b64 exec, exec, s[4:5]
	s_mov_b64 s[6:7], 0
	s_and_b64 vcc, exec, s[2:3]
	s_mov_b64 s[4:5], 0
	s_cbranch_vccnz .LBB1053_121
; %bb.113:
	v_mov_b64_e32 v[26:27], s[14:15]
	v_mad_u64_u32 v[16:17], s[2:3], v2, s12, v[26:27]
	v_mul_lo_u32 v1, v2, s13
	v_mul_lo_u32 v38, v3, s12
	v_add3_u32 v17, v38, v17, v1
	s_waitcnt lgkmcnt(0)
	v_mad_u64_u32 v[26:27], s[2:3], v32, s12, v[26:27]
	v_mul_lo_u32 v1, v32, s13
	v_mul_lo_u32 v32, v33, s12
	v_add3_u32 v27, v32, v27, v1
	global_load_ubyte v1, v[16:17], off
	global_load_ubyte v32, v[26:27], off
	s_mov_b64 s[4:5], -1
	s_waitcnt vmcnt(1)
	v_cmp_ne_u16_e32 vcc, 0, v1
	s_waitcnt vmcnt(0)
	v_cmp_ne_u16_e64 s[2:3], 0, v32
	s_xor_b64 s[2:3], vcc, s[2:3]
	s_xor_b64 s[2:3], s[2:3], -1
	s_and_saveexec_b64 s[18:19], s[2:3]
	s_cbranch_execz .LBB1053_120
; %bb.114:
	s_mov_b64 s[30:31], 1
	s_mov_b64 s[4:5], 0
                                        ; implicit-def: $sgpr24_sgpr25
	s_branch .LBB1053_117
.LBB1053_115:                           ;   in Loop: Header=BB1053_117 Depth=1
	v_lshl_add_u64 v[32:33], v[16:17], 0, s[30:31]
	v_lshl_add_u64 v[38:39], v[26:27], 0, s[30:31]
	global_load_ubyte v1, v[32:33], off
	global_load_ubyte v47, v[38:39], off
	s_waitcnt vmcnt(1)
	v_cmp_ne_u16_e32 vcc, 0, v1
	s_waitcnt vmcnt(0)
	v_cmp_ne_u16_e64 s[2:3], 0, v47
	s_xor_b64 s[34:35], vcc, s[2:3]
	s_add_u32 s2, s30, 1
	s_addc_u32 s3, s31, 0
	s_andn2_b64 s[24:25], s[24:25], exec
	s_and_b64 s[34:35], s[34:35], exec
	s_or_b64 s[24:25], s[24:25], s[34:35]
.LBB1053_116:                           ;   in Loop: Header=BB1053_117 Depth=1
	s_and_b64 s[34:35], exec, s[24:25]
	s_or_b64 s[4:5], s[34:35], s[4:5]
	v_mov_b64_e32 v[32:33], s[30:31]
	s_mov_b64 s[30:31], s[2:3]
	s_andn2_b64 exec, exec, s[4:5]
	s_cbranch_execz .LBB1053_119
.LBB1053_117:                           ; =>This Inner Loop Header: Depth=1
	s_or_b64 s[24:25], s[24:25], exec
	s_cmp_eq_u64 s[12:13], s[30:31]
	s_cbranch_scc0 .LBB1053_115
; %bb.118:                              ;   in Loop: Header=BB1053_117 Depth=1
                                        ; implicit-def: $sgpr2_sgpr3
	s_mov_b64 s[30:31], s[12:13]
	s_branch .LBB1053_116
.LBB1053_119:
	s_or_b64 exec, exec, s[4:5]
	v_cmp_gt_i64_e32 vcc, s[12:13], v[32:33]
	s_orn2_b64 s[4:5], vcc, exec
.LBB1053_120:
	s_or_b64 exec, exec, s[18:19]
.LBB1053_121:
	s_mov_b64 s[24:25], -1
	s_and_b64 vcc, exec, s[6:7]
	s_cbranch_vccz .LBB1053_244
.LBB1053_122:
	s_mul_i32 s21, s28, 0xfffff500
	s_add_i32 s21, s21, s10
	v_mad_u32_u24 v1, v0, 11, 10
	v_cmp_lt_i64_e64 s[18:19], s[12:13], 1
	v_cmp_le_u32_e32 vcc, s21, v1
	s_or_b64 s[2:3], vcc, s[18:19]
	v_cmp_gt_i64_e64 s[6:7], s[12:13], 0
	s_xor_b64 s[2:3], s[2:3], -1
	ds_write_b64 v46, v[52:53]
                                        ; implicit-def: $vgpr48_vgpr49
	s_and_saveexec_b64 s[4:5], s[2:3]
	s_xor_b64 s[28:29], exec, s[4:5]
	s_cbranch_execz .LBB1053_131
; %bb.123:
	v_mov_b64_e32 v[16:17], s[14:15]
	v_mad_u64_u32 v[14:15], s[2:3], v52, s12, v[16:17]
	v_mul_lo_u32 v1, v52, s13
	v_mul_lo_u32 v26, v53, s12
	v_add3_u32 v15, v26, v15, v1
	v_mad_u64_u32 v[16:17], s[2:3], v24, s12, v[16:17]
	v_mul_lo_u32 v1, v24, s13
	v_mul_lo_u32 v26, v25, s12
	v_add3_u32 v17, v26, v17, v1
	global_load_ubyte v1, v[14:15], off
	global_load_ubyte v26, v[16:17], off
	v_mov_b64_e32 v[48:49], 1
	s_waitcnt vmcnt(1)
	v_cmp_ne_u16_e64 s[2:3], 0, v1
	s_waitcnt vmcnt(0)
	v_cmp_ne_u16_e64 s[4:5], 0, v26
	s_xor_b64 s[2:3], s[2:3], s[4:5]
	s_xor_b64 s[2:3], s[2:3], -1
	s_and_saveexec_b64 s[30:31], s[2:3]
	s_cbranch_execz .LBB1053_130
; %bb.124:
	s_mov_b64 s[38:39], 1
	s_mov_b64 s[34:35], 0
                                        ; implicit-def: $sgpr36_sgpr37
	s_branch .LBB1053_127
.LBB1053_125:                           ;   in Loop: Header=BB1053_127 Depth=1
	v_lshl_add_u64 v[26:27], v[14:15], 0, s[38:39]
	v_lshl_add_u64 v[28:29], v[16:17], 0, s[38:39]
	global_load_ubyte v1, v[26:27], off
	global_load_ubyte v30, v[28:29], off
	s_waitcnt vmcnt(1)
	v_cmp_ne_u16_e64 s[2:3], 0, v1
	s_waitcnt vmcnt(0)
	v_cmp_ne_u16_e64 s[4:5], 0, v30
	s_xor_b64 s[4:5], s[2:3], s[4:5]
	s_add_u32 s2, s38, 1
	s_addc_u32 s3, s39, 0
	s_andn2_b64 s[36:37], s[36:37], exec
	s_and_b64 s[4:5], s[4:5], exec
	s_or_b64 s[36:37], s[36:37], s[4:5]
.LBB1053_126:                           ;   in Loop: Header=BB1053_127 Depth=1
	s_and_b64 s[4:5], exec, s[36:37]
	s_or_b64 s[34:35], s[4:5], s[34:35]
	v_mov_b64_e32 v[26:27], s[38:39]
	s_mov_b64 s[38:39], s[2:3]
	s_andn2_b64 exec, exec, s[34:35]
	s_cbranch_execz .LBB1053_129
.LBB1053_127:                           ; =>This Inner Loop Header: Depth=1
	s_or_b64 s[36:37], s[36:37], exec
	s_cmp_eq_u64 s[12:13], s[38:39]
	s_cbranch_scc0 .LBB1053_125
; %bb.128:                              ;   in Loop: Header=BB1053_127 Depth=1
                                        ; implicit-def: $sgpr2_sgpr3
	s_mov_b64 s[38:39], s[12:13]
	s_branch .LBB1053_126
.LBB1053_129:
	s_or_b64 exec, exec, s[34:35]
	v_cmp_gt_i64_e64 s[2:3], s[12:13], v[26:27]
	s_nop 1
	v_cndmask_b32_e64 v48, 0, 1, s[2:3]
	s_mov_b32 s2, 0
	v_mov_b32_e32 v49, s2
.LBB1053_130:
	s_or_b64 exec, exec, s[30:31]
.LBB1053_131:
	s_or_saveexec_b64 s[2:3], s[28:29]
	v_mul_u32_u24_e32 v1, 11, v0
	s_xor_b64 exec, exec, s[2:3]
; %bb.132:
	v_cndmask_b32_e32 v49, 0, v53, vcc
	v_cndmask_b32_e32 v48, 0, v52, vcc
; %bb.133:
	s_or_b64 exec, exec, s[2:3]
	v_add_u32_e32 v14, 9, v1
	v_cmp_le_u32_e32 vcc, s21, v14
	s_or_b64 s[2:3], vcc, s[18:19]
	s_xor_b64 s[2:3], s[2:3], -1
                                        ; implicit-def: $vgpr50_vgpr51
	s_and_saveexec_b64 s[4:5], s[2:3]
	s_xor_b64 s[28:29], exec, s[4:5]
	s_cbranch_execz .LBB1053_142
; %bb.134:
	v_mov_b64_e32 v[16:17], s[14:15]
	v_mad_u64_u32 v[14:15], s[2:3], v24, s12, v[16:17]
	v_mul_lo_u32 v26, v24, s13
	v_mul_lo_u32 v27, v25, s12
	v_add3_u32 v15, v27, v15, v26
	v_mad_u64_u32 v[16:17], s[2:3], v22, s12, v[16:17]
	v_mul_lo_u32 v26, v22, s13
	v_mul_lo_u32 v27, v23, s12
	v_add3_u32 v17, v27, v17, v26
	global_load_ubyte v26, v[14:15], off
	global_load_ubyte v27, v[16:17], off
	v_mov_b64_e32 v[50:51], 1
	s_waitcnt vmcnt(1)
	v_cmp_ne_u16_e64 s[2:3], 0, v26
	s_waitcnt vmcnt(0)
	v_cmp_ne_u16_e64 s[4:5], 0, v27
	s_xor_b64 s[2:3], s[2:3], s[4:5]
	s_xor_b64 s[2:3], s[2:3], -1
	s_and_saveexec_b64 s[30:31], s[2:3]
	s_cbranch_execz .LBB1053_141
; %bb.135:
	s_mov_b64 s[38:39], 1
	s_mov_b64 s[34:35], 0
                                        ; implicit-def: $sgpr36_sgpr37
	s_branch .LBB1053_138
.LBB1053_136:                           ;   in Loop: Header=BB1053_138 Depth=1
	v_lshl_add_u64 v[26:27], v[14:15], 0, s[38:39]
	v_lshl_add_u64 v[28:29], v[16:17], 0, s[38:39]
	global_load_ubyte v30, v[26:27], off
	global_load_ubyte v31, v[28:29], off
	s_waitcnt vmcnt(1)
	v_cmp_ne_u16_e64 s[2:3], 0, v30
	s_waitcnt vmcnt(0)
	v_cmp_ne_u16_e64 s[4:5], 0, v31
	s_xor_b64 s[4:5], s[2:3], s[4:5]
	s_add_u32 s2, s38, 1
	s_addc_u32 s3, s39, 0
	s_andn2_b64 s[36:37], s[36:37], exec
	s_and_b64 s[4:5], s[4:5], exec
	s_or_b64 s[36:37], s[36:37], s[4:5]
.LBB1053_137:                           ;   in Loop: Header=BB1053_138 Depth=1
	s_and_b64 s[4:5], exec, s[36:37]
	s_or_b64 s[34:35], s[4:5], s[34:35]
	v_mov_b64_e32 v[26:27], s[38:39]
	s_mov_b64 s[38:39], s[2:3]
	s_andn2_b64 exec, exec, s[34:35]
	s_cbranch_execz .LBB1053_140
.LBB1053_138:                           ; =>This Inner Loop Header: Depth=1
	s_or_b64 s[36:37], s[36:37], exec
	s_cmp_eq_u64 s[12:13], s[38:39]
	s_cbranch_scc0 .LBB1053_136
; %bb.139:                              ;   in Loop: Header=BB1053_138 Depth=1
                                        ; implicit-def: $sgpr2_sgpr3
	s_mov_b64 s[38:39], s[12:13]
	s_branch .LBB1053_137
.LBB1053_140:
	s_or_b64 exec, exec, s[34:35]
	v_cmp_gt_i64_e64 s[2:3], s[12:13], v[26:27]
	s_nop 1
	v_cndmask_b32_e64 v50, 0, 1, s[2:3]
	s_mov_b32 s2, 0
	v_mov_b32_e32 v51, s2
.LBB1053_141:
	s_or_b64 exec, exec, s[30:31]
.LBB1053_142:
	s_andn2_saveexec_b64 s[2:3], s[28:29]
; %bb.143:
	v_cndmask_b32_e32 v51, 0, v25, vcc
	v_cndmask_b32_e32 v50, 0, v24, vcc
; %bb.144:
	s_or_b64 exec, exec, s[2:3]
	v_add_u32_e32 v14, 8, v1
	v_cmp_le_u32_e32 vcc, s21, v14
	s_or_b64 s[2:3], vcc, s[18:19]
	s_xor_b64 s[2:3], s[2:3], -1
	s_and_saveexec_b64 s[4:5], s[2:3]
	s_xor_b64 s[28:29], exec, s[4:5]
                                        ; implicit-def: $vgpr14_vgpr15_vgpr16_vgpr17
	s_cbranch_execz .LBB1053_153
; %bb.145:
	v_mov_b64_e32 v[14:15], s[14:15]
	v_mad_u64_u32 v[16:17], s[2:3], v22, s12, v[14:15]
	v_mul_lo_u32 v26, v22, s13
	v_mul_lo_u32 v27, v23, s12
	v_add3_u32 v17, v27, v17, v26
	v_mad_u64_u32 v[26:27], s[2:3], v20, s12, v[14:15]
	v_mul_lo_u32 v14, v20, s13
	v_mul_lo_u32 v15, v21, s12
	v_add3_u32 v27, v15, v27, v14
	global_load_ubyte v14, v[16:17], off
	global_load_ubyte v15, v[26:27], off
	s_waitcnt vmcnt(1)
	v_cmp_ne_u16_e64 s[2:3], 0, v14
	s_waitcnt vmcnt(0)
	v_cmp_ne_u16_e64 s[4:5], 0, v15
	s_xor_b64 s[2:3], s[2:3], s[4:5]
	s_xor_b64 s[2:3], s[2:3], -1
	v_mov_b64_e32 v[14:15], 1
	s_and_saveexec_b64 s[30:31], s[2:3]
	s_cbranch_execz .LBB1053_152
; %bb.146:
	s_mov_b64 s[38:39], 1
	s_mov_b64 s[34:35], 0
                                        ; implicit-def: $sgpr36_sgpr37
	s_branch .LBB1053_149
.LBB1053_147:                           ;   in Loop: Header=BB1053_149 Depth=1
	v_lshl_add_u64 v[14:15], v[16:17], 0, s[38:39]
	v_lshl_add_u64 v[28:29], v[26:27], 0, s[38:39]
	global_load_ubyte v30, v[14:15], off
	global_load_ubyte v31, v[28:29], off
	s_waitcnt vmcnt(1)
	v_cmp_ne_u16_e64 s[2:3], 0, v30
	s_waitcnt vmcnt(0)
	v_cmp_ne_u16_e64 s[4:5], 0, v31
	s_xor_b64 s[4:5], s[2:3], s[4:5]
	s_add_u32 s2, s38, 1
	s_addc_u32 s3, s39, 0
	s_andn2_b64 s[36:37], s[36:37], exec
	s_and_b64 s[4:5], s[4:5], exec
	s_or_b64 s[36:37], s[36:37], s[4:5]
.LBB1053_148:                           ;   in Loop: Header=BB1053_149 Depth=1
	s_and_b64 s[4:5], exec, s[36:37]
	s_or_b64 s[34:35], s[4:5], s[34:35]
	v_mov_b64_e32 v[14:15], s[38:39]
	s_mov_b64 s[38:39], s[2:3]
	s_andn2_b64 exec, exec, s[34:35]
	s_cbranch_execz .LBB1053_151
.LBB1053_149:                           ; =>This Inner Loop Header: Depth=1
	s_or_b64 s[36:37], s[36:37], exec
	s_cmp_eq_u64 s[12:13], s[38:39]
	s_cbranch_scc0 .LBB1053_147
; %bb.150:                              ;   in Loop: Header=BB1053_149 Depth=1
                                        ; implicit-def: $sgpr2_sgpr3
	s_mov_b64 s[38:39], s[12:13]
	s_branch .LBB1053_148
.LBB1053_151:
	s_or_b64 exec, exec, s[34:35]
	v_cmp_gt_i64_e64 s[2:3], s[12:13], v[14:15]
	s_nop 1
	v_cndmask_b32_e64 v14, 0, 1, s[2:3]
	s_mov_b32 s2, 0
	v_mov_b32_e32 v15, s2
.LBB1053_152:
	s_or_b64 exec, exec, s[30:31]
.LBB1053_153:
	s_andn2_saveexec_b64 s[2:3], s[28:29]
; %bb.154:
	v_cndmask_b32_e32 v15, 0, v23, vcc
	v_cndmask_b32_e32 v14, 0, v22, vcc
; %bb.155:
	s_or_b64 exec, exec, s[2:3]
	v_add_u32_e32 v16, 7, v1
	v_cmp_le_u32_e32 vcc, s21, v16
	s_or_b64 s[2:3], vcc, s[18:19]
	s_xor_b64 s[2:3], s[2:3], -1
                                        ; implicit-def: $vgpr28_vgpr29
	s_and_saveexec_b64 s[4:5], s[2:3]
	s_xor_b64 s[28:29], exec, s[4:5]
	s_cbranch_execz .LBB1053_164
; %bb.156:
	v_mov_b64_e32 v[26:27], s[14:15]
	v_mad_u64_u32 v[16:17], s[2:3], v20, s12, v[26:27]
	v_mul_lo_u32 v28, v20, s13
	v_mul_lo_u32 v29, v21, s12
	v_add3_u32 v17, v29, v17, v28
	v_mad_u64_u32 v[26:27], s[2:3], v18, s12, v[26:27]
	v_mul_lo_u32 v28, v18, s13
	v_mul_lo_u32 v29, v19, s12
	v_add3_u32 v27, v29, v27, v28
	global_load_ubyte v28, v[16:17], off
	global_load_ubyte v29, v[26:27], off
	s_waitcnt vmcnt(1)
	v_cmp_ne_u16_e64 s[2:3], 0, v28
	s_waitcnt vmcnt(0)
	v_cmp_ne_u16_e64 s[4:5], 0, v29
	s_xor_b64 s[2:3], s[2:3], s[4:5]
	s_xor_b64 s[2:3], s[2:3], -1
	v_mov_b64_e32 v[28:29], 1
	s_and_saveexec_b64 s[30:31], s[2:3]
	s_cbranch_execz .LBB1053_163
; %bb.157:
	s_mov_b64 s[38:39], 1
	s_mov_b64 s[34:35], 0
                                        ; implicit-def: $sgpr36_sgpr37
	s_branch .LBB1053_160
.LBB1053_158:                           ;   in Loop: Header=BB1053_160 Depth=1
	v_lshl_add_u64 v[28:29], v[16:17], 0, s[38:39]
	v_lshl_add_u64 v[30:31], v[26:27], 0, s[38:39]
	s_waitcnt lgkmcnt(0)
	global_load_ubyte v32, v[28:29], off
	global_load_ubyte v33, v[30:31], off
	s_waitcnt vmcnt(1)
	v_cmp_ne_u16_e64 s[2:3], 0, v32
	s_waitcnt vmcnt(0)
	v_cmp_ne_u16_e64 s[4:5], 0, v33
	s_xor_b64 s[4:5], s[2:3], s[4:5]
	s_add_u32 s2, s38, 1
	s_addc_u32 s3, s39, 0
	s_andn2_b64 s[36:37], s[36:37], exec
	s_and_b64 s[4:5], s[4:5], exec
	s_or_b64 s[36:37], s[36:37], s[4:5]
.LBB1053_159:                           ;   in Loop: Header=BB1053_160 Depth=1
	s_and_b64 s[4:5], exec, s[36:37]
	s_or_b64 s[34:35], s[4:5], s[34:35]
	v_mov_b64_e32 v[28:29], s[38:39]
	s_mov_b64 s[38:39], s[2:3]
	s_andn2_b64 exec, exec, s[34:35]
	s_cbranch_execz .LBB1053_162
.LBB1053_160:                           ; =>This Inner Loop Header: Depth=1
	s_or_b64 s[36:37], s[36:37], exec
	s_cmp_eq_u64 s[12:13], s[38:39]
	s_cbranch_scc0 .LBB1053_158
; %bb.161:                              ;   in Loop: Header=BB1053_160 Depth=1
                                        ; implicit-def: $sgpr2_sgpr3
	s_mov_b64 s[38:39], s[12:13]
	s_branch .LBB1053_159
.LBB1053_162:
	s_or_b64 exec, exec, s[34:35]
	v_cmp_gt_i64_e64 s[2:3], s[12:13], v[28:29]
	s_nop 1
	v_cndmask_b32_e64 v28, 0, 1, s[2:3]
	s_mov_b32 s2, 0
	v_mov_b32_e32 v29, s2
.LBB1053_163:
	s_or_b64 exec, exec, s[30:31]
.LBB1053_164:
	s_andn2_saveexec_b64 s[2:3], s[28:29]
; %bb.165:
	v_cndmask_b32_e32 v29, 0, v21, vcc
	v_cndmask_b32_e32 v28, 0, v20, vcc
; %bb.166:
	s_or_b64 exec, exec, s[2:3]
	v_add_u32_e32 v16, 6, v1
	v_cmp_le_u32_e32 vcc, s21, v16
	s_or_b64 s[2:3], vcc, s[18:19]
	s_xor_b64 s[2:3], s[2:3], -1
	s_and_saveexec_b64 s[4:5], s[2:3]
	s_xor_b64 s[28:29], exec, s[4:5]
                                        ; implicit-def: $vgpr30_vgpr31_vgpr32_vgpr33
	s_cbranch_execz .LBB1053_175
; %bb.167:
	v_mov_b64_e32 v[26:27], s[14:15]
	v_mad_u64_u32 v[16:17], s[2:3], v18, s12, v[26:27]
	v_mul_lo_u32 v30, v18, s13
	v_mul_lo_u32 v31, v19, s12
	v_add3_u32 v17, v31, v17, v30
	v_mad_u64_u32 v[26:27], s[2:3], v12, s12, v[26:27]
	v_mul_lo_u32 v30, v12, s13
	v_mul_lo_u32 v31, v13, s12
	v_add3_u32 v27, v31, v27, v30
	global_load_ubyte v30, v[16:17], off
	global_load_ubyte v31, v[26:27], off
	s_waitcnt vmcnt(1)
	v_cmp_ne_u16_e64 s[2:3], 0, v30
	s_waitcnt vmcnt(0)
	v_cmp_ne_u16_e64 s[4:5], 0, v31
	s_xor_b64 s[2:3], s[2:3], s[4:5]
	s_xor_b64 s[2:3], s[2:3], -1
	v_mov_b64_e32 v[30:31], 1
	s_and_saveexec_b64 s[30:31], s[2:3]
	s_cbranch_execz .LBB1053_174
; %bb.168:
	s_mov_b64 s[38:39], 1
	s_mov_b64 s[34:35], 0
                                        ; implicit-def: $sgpr36_sgpr37
	s_branch .LBB1053_171
.LBB1053_169:                           ;   in Loop: Header=BB1053_171 Depth=1
	v_lshl_add_u64 v[30:31], v[16:17], 0, s[38:39]
	s_waitcnt lgkmcnt(0)
	v_lshl_add_u64 v[32:33], v[26:27], 0, s[38:39]
	global_load_ubyte v34, v[30:31], off
	global_load_ubyte v35, v[32:33], off
	s_waitcnt vmcnt(1)
	v_cmp_ne_u16_e64 s[2:3], 0, v34
	s_waitcnt vmcnt(0)
	v_cmp_ne_u16_e64 s[4:5], 0, v35
	s_xor_b64 s[4:5], s[2:3], s[4:5]
	s_add_u32 s2, s38, 1
	s_addc_u32 s3, s39, 0
	s_andn2_b64 s[36:37], s[36:37], exec
	s_and_b64 s[4:5], s[4:5], exec
	s_or_b64 s[36:37], s[36:37], s[4:5]
.LBB1053_170:                           ;   in Loop: Header=BB1053_171 Depth=1
	s_and_b64 s[4:5], exec, s[36:37]
	s_or_b64 s[34:35], s[4:5], s[34:35]
	v_mov_b64_e32 v[30:31], s[38:39]
	s_mov_b64 s[38:39], s[2:3]
	s_andn2_b64 exec, exec, s[34:35]
	s_cbranch_execz .LBB1053_173
.LBB1053_171:                           ; =>This Inner Loop Header: Depth=1
	s_or_b64 s[36:37], s[36:37], exec
	s_cmp_eq_u64 s[12:13], s[38:39]
	s_cbranch_scc0 .LBB1053_169
; %bb.172:                              ;   in Loop: Header=BB1053_171 Depth=1
                                        ; implicit-def: $sgpr2_sgpr3
	s_mov_b64 s[38:39], s[12:13]
	s_branch .LBB1053_170
.LBB1053_173:
	s_or_b64 exec, exec, s[34:35]
	v_cmp_gt_i64_e64 s[2:3], s[12:13], v[30:31]
	s_nop 1
	v_cndmask_b32_e64 v30, 0, 1, s[2:3]
	s_mov_b32 s2, 0
	v_mov_b32_e32 v31, s2
.LBB1053_174:
	s_or_b64 exec, exec, s[30:31]
.LBB1053_175:
	s_andn2_saveexec_b64 s[2:3], s[28:29]
; %bb.176:
	v_cndmask_b32_e32 v31, 0, v19, vcc
	v_cndmask_b32_e32 v30, 0, v18, vcc
; %bb.177:
	s_or_b64 exec, exec, s[2:3]
	v_add_u32_e32 v16, 5, v1
	v_cmp_le_u32_e32 vcc, s21, v16
	s_or_b64 s[2:3], vcc, s[18:19]
	s_xor_b64 s[2:3], s[2:3], -1
                                        ; implicit-def: $vgpr34_vgpr35
	s_and_saveexec_b64 s[4:5], s[2:3]
	s_xor_b64 s[28:29], exec, s[4:5]
	s_cbranch_execz .LBB1053_186
; %bb.178:
	v_mov_b64_e32 v[26:27], s[14:15]
	v_mad_u64_u32 v[16:17], s[2:3], v12, s12, v[26:27]
	s_waitcnt lgkmcnt(0)
	v_mul_lo_u32 v32, v12, s13
	v_mul_lo_u32 v33, v13, s12
	v_add3_u32 v17, v33, v17, v32
	v_mad_u64_u32 v[26:27], s[2:3], v10, s12, v[26:27]
	v_mul_lo_u32 v32, v10, s13
	v_mul_lo_u32 v33, v11, s12
	v_add3_u32 v27, v33, v27, v32
	global_load_ubyte v32, v[16:17], off
	global_load_ubyte v33, v[26:27], off
	v_mov_b64_e32 v[34:35], 1
	s_waitcnt vmcnt(1)
	v_cmp_ne_u16_e64 s[2:3], 0, v32
	s_waitcnt vmcnt(0)
	v_cmp_ne_u16_e64 s[4:5], 0, v33
	s_xor_b64 s[2:3], s[2:3], s[4:5]
	s_xor_b64 s[2:3], s[2:3], -1
	s_and_saveexec_b64 s[30:31], s[2:3]
	s_cbranch_execz .LBB1053_185
; %bb.179:
	s_mov_b64 s[38:39], 1
	s_mov_b64 s[34:35], 0
                                        ; implicit-def: $sgpr36_sgpr37
	s_branch .LBB1053_182
.LBB1053_180:                           ;   in Loop: Header=BB1053_182 Depth=1
	v_lshl_add_u64 v[32:33], v[16:17], 0, s[38:39]
	v_lshl_add_u64 v[34:35], v[26:27], 0, s[38:39]
	global_load_ubyte v36, v[32:33], off
	global_load_ubyte v37, v[34:35], off
	s_waitcnt vmcnt(1)
	v_cmp_ne_u16_e64 s[2:3], 0, v36
	s_waitcnt vmcnt(0)
	v_cmp_ne_u16_e64 s[4:5], 0, v37
	s_xor_b64 s[4:5], s[2:3], s[4:5]
	s_add_u32 s2, s38, 1
	s_addc_u32 s3, s39, 0
	s_andn2_b64 s[36:37], s[36:37], exec
	s_and_b64 s[4:5], s[4:5], exec
	s_or_b64 s[36:37], s[36:37], s[4:5]
.LBB1053_181:                           ;   in Loop: Header=BB1053_182 Depth=1
	s_and_b64 s[4:5], exec, s[36:37]
	s_or_b64 s[34:35], s[4:5], s[34:35]
	v_mov_b64_e32 v[32:33], s[38:39]
	s_mov_b64 s[38:39], s[2:3]
	s_andn2_b64 exec, exec, s[34:35]
	s_cbranch_execz .LBB1053_184
.LBB1053_182:                           ; =>This Inner Loop Header: Depth=1
	s_or_b64 s[36:37], s[36:37], exec
	s_cmp_eq_u64 s[12:13], s[38:39]
	s_cbranch_scc0 .LBB1053_180
; %bb.183:                              ;   in Loop: Header=BB1053_182 Depth=1
                                        ; implicit-def: $sgpr2_sgpr3
	s_mov_b64 s[38:39], s[12:13]
	s_branch .LBB1053_181
.LBB1053_184:
	s_or_b64 exec, exec, s[34:35]
	v_cmp_gt_i64_e64 s[2:3], s[12:13], v[32:33]
	s_nop 1
	v_cndmask_b32_e64 v34, 0, 1, s[2:3]
	s_mov_b32 s2, 0
	v_mov_b32_e32 v35, s2
.LBB1053_185:
	s_or_b64 exec, exec, s[30:31]
.LBB1053_186:
	s_andn2_saveexec_b64 s[2:3], s[28:29]
; %bb.187:
	v_cndmask_b32_e32 v35, 0, v13, vcc
	v_cndmask_b32_e32 v34, 0, v12, vcc
; %bb.188:
	s_or_b64 exec, exec, s[2:3]
	v_add_u32_e32 v16, 4, v1
	v_cmp_le_u32_e32 vcc, s21, v16
	s_or_b64 s[2:3], vcc, s[18:19]
	s_xor_b64 s[2:3], s[2:3], -1
	s_and_saveexec_b64 s[4:5], s[2:3]
	s_xor_b64 s[28:29], exec, s[4:5]
                                        ; implicit-def: $vgpr36_vgpr37_vgpr38_vgpr39
	s_cbranch_execz .LBB1053_197
; %bb.189:
	v_mov_b64_e32 v[26:27], s[14:15]
	v_mad_u64_u32 v[16:17], s[2:3], v10, s12, v[26:27]
	s_waitcnt lgkmcnt(0)
	v_mul_lo_u32 v32, v10, s13
	v_mul_lo_u32 v33, v11, s12
	v_add3_u32 v17, v33, v17, v32
	v_mad_u64_u32 v[26:27], s[2:3], v8, s12, v[26:27]
	v_mul_lo_u32 v32, v8, s13
	v_mul_lo_u32 v33, v9, s12
	v_add3_u32 v27, v33, v27, v32
	global_load_ubyte v32, v[16:17], off
	global_load_ubyte v33, v[26:27], off
	v_mov_b64_e32 v[36:37], 1
	s_waitcnt vmcnt(1)
	v_cmp_ne_u16_e64 s[2:3], 0, v32
	s_waitcnt vmcnt(0)
	v_cmp_ne_u16_e64 s[4:5], 0, v33
	s_xor_b64 s[2:3], s[2:3], s[4:5]
	s_xor_b64 s[2:3], s[2:3], -1
	s_and_saveexec_b64 s[30:31], s[2:3]
	s_cbranch_execz .LBB1053_196
; %bb.190:
	s_mov_b64 s[38:39], 1
	s_mov_b64 s[34:35], 0
                                        ; implicit-def: $sgpr36_sgpr37
	s_branch .LBB1053_193
.LBB1053_191:                           ;   in Loop: Header=BB1053_193 Depth=1
	v_lshl_add_u64 v[32:33], v[16:17], 0, s[38:39]
	v_lshl_add_u64 v[36:37], v[26:27], 0, s[38:39]
	global_load_ubyte v38, v[32:33], off
	global_load_ubyte v39, v[36:37], off
	s_waitcnt vmcnt(1)
	v_cmp_ne_u16_e64 s[2:3], 0, v38
	s_waitcnt vmcnt(0)
	v_cmp_ne_u16_e64 s[4:5], 0, v39
	s_xor_b64 s[4:5], s[2:3], s[4:5]
	s_add_u32 s2, s38, 1
	s_addc_u32 s3, s39, 0
	s_andn2_b64 s[36:37], s[36:37], exec
	s_and_b64 s[4:5], s[4:5], exec
	s_or_b64 s[36:37], s[36:37], s[4:5]
.LBB1053_192:                           ;   in Loop: Header=BB1053_193 Depth=1
	s_and_b64 s[4:5], exec, s[36:37]
	s_or_b64 s[34:35], s[4:5], s[34:35]
	v_mov_b64_e32 v[32:33], s[38:39]
	s_mov_b64 s[38:39], s[2:3]
	s_andn2_b64 exec, exec, s[34:35]
	s_cbranch_execz .LBB1053_195
.LBB1053_193:                           ; =>This Inner Loop Header: Depth=1
	s_or_b64 s[36:37], s[36:37], exec
	s_cmp_eq_u64 s[12:13], s[38:39]
	s_cbranch_scc0 .LBB1053_191
; %bb.194:                              ;   in Loop: Header=BB1053_193 Depth=1
                                        ; implicit-def: $sgpr2_sgpr3
	s_mov_b64 s[38:39], s[12:13]
	s_branch .LBB1053_192
.LBB1053_195:
	s_or_b64 exec, exec, s[34:35]
	v_cmp_gt_i64_e64 s[2:3], s[12:13], v[32:33]
	s_nop 1
	v_cndmask_b32_e64 v36, 0, 1, s[2:3]
	s_mov_b32 s2, 0
	v_mov_b32_e32 v37, s2
.LBB1053_196:
	s_or_b64 exec, exec, s[30:31]
.LBB1053_197:
	s_andn2_saveexec_b64 s[2:3], s[28:29]
; %bb.198:
	v_cndmask_b32_e32 v37, 0, v11, vcc
	v_cndmask_b32_e32 v36, 0, v10, vcc
; %bb.199:
	s_or_b64 exec, exec, s[2:3]
	v_add_u32_e32 v16, 3, v1
	v_cmp_le_u32_e32 vcc, s21, v16
	s_or_b64 s[2:3], vcc, s[18:19]
	s_xor_b64 s[2:3], s[2:3], -1
                                        ; implicit-def: $vgpr40_vgpr41
	s_and_saveexec_b64 s[4:5], s[2:3]
	s_xor_b64 s[28:29], exec, s[4:5]
	s_cbranch_execz .LBB1053_208
; %bb.200:
	v_mov_b64_e32 v[26:27], s[14:15]
	v_mad_u64_u32 v[16:17], s[2:3], v8, s12, v[26:27]
	s_waitcnt lgkmcnt(0)
	v_mul_lo_u32 v32, v8, s13
	v_mul_lo_u32 v33, v9, s12
	v_add3_u32 v17, v33, v17, v32
	v_mad_u64_u32 v[26:27], s[2:3], v6, s12, v[26:27]
	v_mul_lo_u32 v32, v6, s13
	v_mul_lo_u32 v33, v7, s12
	v_add3_u32 v27, v33, v27, v32
	global_load_ubyte v32, v[16:17], off
	global_load_ubyte v33, v[26:27], off
	v_mov_b64_e32 v[40:41], 1
	s_waitcnt vmcnt(1)
	v_cmp_ne_u16_e64 s[2:3], 0, v32
	s_waitcnt vmcnt(0)
	v_cmp_ne_u16_e64 s[4:5], 0, v33
	s_xor_b64 s[2:3], s[2:3], s[4:5]
	s_xor_b64 s[2:3], s[2:3], -1
	s_and_saveexec_b64 s[30:31], s[2:3]
	s_cbranch_execz .LBB1053_207
; %bb.201:
	s_mov_b64 s[38:39], 1
	s_mov_b64 s[34:35], 0
                                        ; implicit-def: $sgpr36_sgpr37
	s_branch .LBB1053_204
.LBB1053_202:                           ;   in Loop: Header=BB1053_204 Depth=1
	v_lshl_add_u64 v[32:33], v[16:17], 0, s[38:39]
	v_lshl_add_u64 v[38:39], v[26:27], 0, s[38:39]
	global_load_ubyte v40, v[32:33], off
	global_load_ubyte v41, v[38:39], off
	s_waitcnt vmcnt(1)
	v_cmp_ne_u16_e64 s[2:3], 0, v40
	s_waitcnt vmcnt(0)
	v_cmp_ne_u16_e64 s[4:5], 0, v41
	s_xor_b64 s[4:5], s[2:3], s[4:5]
	s_add_u32 s2, s38, 1
	s_addc_u32 s3, s39, 0
	s_andn2_b64 s[36:37], s[36:37], exec
	s_and_b64 s[4:5], s[4:5], exec
	s_or_b64 s[36:37], s[36:37], s[4:5]
.LBB1053_203:                           ;   in Loop: Header=BB1053_204 Depth=1
	s_and_b64 s[4:5], exec, s[36:37]
	s_or_b64 s[34:35], s[4:5], s[34:35]
	v_mov_b64_e32 v[32:33], s[38:39]
	s_mov_b64 s[38:39], s[2:3]
	s_andn2_b64 exec, exec, s[34:35]
	s_cbranch_execz .LBB1053_206
.LBB1053_204:                           ; =>This Inner Loop Header: Depth=1
	s_or_b64 s[36:37], s[36:37], exec
	s_cmp_eq_u64 s[12:13], s[38:39]
	s_cbranch_scc0 .LBB1053_202
; %bb.205:                              ;   in Loop: Header=BB1053_204 Depth=1
                                        ; implicit-def: $sgpr2_sgpr3
	s_mov_b64 s[38:39], s[12:13]
	s_branch .LBB1053_203
.LBB1053_206:
	s_or_b64 exec, exec, s[34:35]
	v_cmp_gt_i64_e64 s[2:3], s[12:13], v[32:33]
	s_nop 1
	v_cndmask_b32_e64 v40, 0, 1, s[2:3]
	s_mov_b32 s2, 0
	v_mov_b32_e32 v41, s2
.LBB1053_207:
	s_or_b64 exec, exec, s[30:31]
.LBB1053_208:
	s_andn2_saveexec_b64 s[2:3], s[28:29]
; %bb.209:
	v_cndmask_b32_e32 v41, 0, v9, vcc
	v_cndmask_b32_e32 v40, 0, v8, vcc
; %bb.210:
	s_or_b64 exec, exec, s[2:3]
	v_add_u32_e32 v16, 2, v1
	v_cmp_le_u32_e32 vcc, s21, v16
	s_or_b64 s[2:3], vcc, s[18:19]
	s_xor_b64 s[2:3], s[2:3], -1
	s_and_saveexec_b64 s[4:5], s[2:3]
	s_xor_b64 s[28:29], exec, s[4:5]
                                        ; implicit-def: $vgpr42_vgpr43_vgpr44_vgpr45
	s_cbranch_execz .LBB1053_219
; %bb.211:
	v_mov_b64_e32 v[26:27], s[14:15]
	v_mad_u64_u32 v[16:17], s[2:3], v6, s12, v[26:27]
	s_waitcnt lgkmcnt(0)
	v_mul_lo_u32 v32, v6, s13
	v_mul_lo_u32 v33, v7, s12
	v_add3_u32 v17, v33, v17, v32
	v_mad_u64_u32 v[26:27], s[2:3], v4, s12, v[26:27]
	v_mul_lo_u32 v32, v4, s13
	v_mul_lo_u32 v33, v5, s12
	v_add3_u32 v27, v33, v27, v32
	global_load_ubyte v32, v[16:17], off
	global_load_ubyte v33, v[26:27], off
	v_mov_b64_e32 v[42:43], 1
	s_waitcnt vmcnt(1)
	v_cmp_ne_u16_e64 s[2:3], 0, v32
	s_waitcnt vmcnt(0)
	v_cmp_ne_u16_e64 s[4:5], 0, v33
	s_xor_b64 s[2:3], s[2:3], s[4:5]
	s_xor_b64 s[2:3], s[2:3], -1
	s_and_saveexec_b64 s[30:31], s[2:3]
	s_cbranch_execz .LBB1053_218
; %bb.212:
	s_mov_b64 s[38:39], 1
	s_mov_b64 s[34:35], 0
                                        ; implicit-def: $sgpr36_sgpr37
	s_branch .LBB1053_215
.LBB1053_213:                           ;   in Loop: Header=BB1053_215 Depth=1
	v_lshl_add_u64 v[32:33], v[16:17], 0, s[38:39]
	v_lshl_add_u64 v[38:39], v[26:27], 0, s[38:39]
	global_load_ubyte v42, v[32:33], off
	global_load_ubyte v43, v[38:39], off
	s_waitcnt vmcnt(1)
	v_cmp_ne_u16_e64 s[2:3], 0, v42
	s_waitcnt vmcnt(0)
	v_cmp_ne_u16_e64 s[4:5], 0, v43
	s_xor_b64 s[4:5], s[2:3], s[4:5]
	s_add_u32 s2, s38, 1
	s_addc_u32 s3, s39, 0
	s_andn2_b64 s[36:37], s[36:37], exec
	s_and_b64 s[4:5], s[4:5], exec
	s_or_b64 s[36:37], s[36:37], s[4:5]
.LBB1053_214:                           ;   in Loop: Header=BB1053_215 Depth=1
	s_and_b64 s[4:5], exec, s[36:37]
	s_or_b64 s[34:35], s[4:5], s[34:35]
	v_mov_b64_e32 v[32:33], s[38:39]
	s_mov_b64 s[38:39], s[2:3]
	s_andn2_b64 exec, exec, s[34:35]
	s_cbranch_execz .LBB1053_217
.LBB1053_215:                           ; =>This Inner Loop Header: Depth=1
	s_or_b64 s[36:37], s[36:37], exec
	s_cmp_eq_u64 s[12:13], s[38:39]
	s_cbranch_scc0 .LBB1053_213
; %bb.216:                              ;   in Loop: Header=BB1053_215 Depth=1
                                        ; implicit-def: $sgpr2_sgpr3
	s_mov_b64 s[38:39], s[12:13]
	s_branch .LBB1053_214
.LBB1053_217:
	s_or_b64 exec, exec, s[34:35]
	v_cmp_gt_i64_e64 s[2:3], s[12:13], v[32:33]
	s_nop 1
	v_cndmask_b32_e64 v42, 0, 1, s[2:3]
	s_mov_b32 s2, 0
	v_mov_b32_e32 v43, s2
.LBB1053_218:
	s_or_b64 exec, exec, s[30:31]
.LBB1053_219:
	s_andn2_saveexec_b64 s[2:3], s[28:29]
; %bb.220:
	v_cndmask_b32_e32 v43, 0, v7, vcc
	v_cndmask_b32_e32 v42, 0, v6, vcc
; %bb.221:
	s_or_b64 exec, exec, s[2:3]
	v_add_u32_e32 v16, 1, v1
	v_cmp_le_u32_e32 vcc, s21, v16
	s_or_b64 s[2:3], vcc, s[18:19]
	s_xor_b64 s[2:3], s[2:3], -1
	v_cndmask_b32_e32 v45, 0, v5, vcc
	v_cndmask_b32_e32 v44, 0, v4, vcc
	s_and_saveexec_b64 s[4:5], s[2:3]
	s_cbranch_execz .LBB1053_230
; %bb.222:
	v_mov_b64_e32 v[26:27], s[14:15]
	v_mad_u64_u32 v[16:17], s[2:3], v4, s12, v[26:27]
	s_waitcnt lgkmcnt(0)
	v_mul_lo_u32 v32, v4, s13
	v_mul_lo_u32 v33, v5, s12
	v_add3_u32 v17, v33, v17, v32
	v_mad_u64_u32 v[26:27], s[2:3], v2, s12, v[26:27]
	v_mul_lo_u32 v32, v2, s13
	v_mul_lo_u32 v33, v3, s12
	v_add3_u32 v27, v33, v27, v32
	global_load_ubyte v32, v[16:17], off
	global_load_ubyte v33, v[26:27], off
	v_mov_b64_e32 v[44:45], 1
	s_waitcnt vmcnt(1)
	v_cmp_ne_u16_e32 vcc, 0, v32
	s_waitcnt vmcnt(0)
	v_cmp_ne_u16_e64 s[2:3], 0, v33
	s_xor_b64 s[2:3], vcc, s[2:3]
	s_xor_b64 s[2:3], s[2:3], -1
	s_and_saveexec_b64 s[18:19], s[2:3]
	s_cbranch_execz .LBB1053_229
; %bb.223:
	s_mov_b64 s[34:35], 1
	s_mov_b64 s[28:29], 0
                                        ; implicit-def: $sgpr30_sgpr31
	s_branch .LBB1053_226
.LBB1053_224:                           ;   in Loop: Header=BB1053_226 Depth=1
	v_lshl_add_u64 v[32:33], v[16:17], 0, s[34:35]
	v_lshl_add_u64 v[38:39], v[26:27], 0, s[34:35]
	global_load_ubyte v44, v[32:33], off
	global_load_ubyte v45, v[38:39], off
	s_waitcnt vmcnt(1)
	v_cmp_ne_u16_e32 vcc, 0, v44
	s_waitcnt vmcnt(0)
	v_cmp_ne_u16_e64 s[2:3], 0, v45
	s_xor_b64 s[36:37], vcc, s[2:3]
	s_add_u32 s2, s34, 1
	s_addc_u32 s3, s35, 0
	s_andn2_b64 s[30:31], s[30:31], exec
	s_and_b64 s[36:37], s[36:37], exec
	s_or_b64 s[30:31], s[30:31], s[36:37]
.LBB1053_225:                           ;   in Loop: Header=BB1053_226 Depth=1
	s_and_b64 s[36:37], exec, s[30:31]
	s_or_b64 s[28:29], s[36:37], s[28:29]
	v_mov_b64_e32 v[32:33], s[34:35]
	s_mov_b64 s[34:35], s[2:3]
	s_andn2_b64 exec, exec, s[28:29]
	s_cbranch_execz .LBB1053_228
.LBB1053_226:                           ; =>This Inner Loop Header: Depth=1
	s_or_b64 s[30:31], s[30:31], exec
	s_cmp_eq_u64 s[12:13], s[34:35]
	s_cbranch_scc0 .LBB1053_224
; %bb.227:                              ;   in Loop: Header=BB1053_226 Depth=1
                                        ; implicit-def: $sgpr2_sgpr3
	s_mov_b64 s[34:35], s[12:13]
	s_branch .LBB1053_225
.LBB1053_228:
	s_or_b64 exec, exec, s[28:29]
	v_cmp_gt_i64_e32 vcc, s[12:13], v[32:33]
	s_mov_b32 s2, 0
	v_mov_b32_e32 v45, s2
	v_cndmask_b32_e64 v44, 0, 1, vcc
.LBB1053_229:
	s_or_b64 exec, exec, s[18:19]
.LBB1053_230:
	s_or_b64 exec, exec, s[4:5]
	v_cmp_ne_u32_e32 vcc, 0, v0
	s_waitcnt lgkmcnt(0)
	v_mov_b64_e32 v[32:33], s[16:17]
	s_barrier
	s_and_saveexec_b64 s[2:3], vcc
	s_cbranch_execz .LBB1053_232
; %bb.231:
	v_add_u32_e32 v16, -8, v46
	ds_read_b64 v[32:33], v16
.LBB1053_232:
	s_or_b64 exec, exec, s[2:3]
	v_cmp_gt_u32_e32 vcc, s21, v1
                                        ; implicit-def: $sgpr4_sgpr5
	s_and_saveexec_b64 s[16:17], vcc
	s_cbranch_execz .LBB1053_243
; %bb.233:
	s_andn2_b64 vcc, exec, s[6:7]
	s_mov_b64 s[2:3], 0
	s_cbranch_vccnz .LBB1053_242
; %bb.234:
	v_mov_b64_e32 v[26:27], s[14:15]
	v_mad_u64_u32 v[16:17], s[2:3], v2, s12, v[26:27]
	v_mul_lo_u32 v1, v2, s13
	v_mul_lo_u32 v38, v3, s12
	v_add3_u32 v17, v38, v17, v1
	s_waitcnt lgkmcnt(0)
	v_mad_u64_u32 v[26:27], s[2:3], v32, s12, v[26:27]
	v_mul_lo_u32 v1, v32, s13
	v_mul_lo_u32 v32, v33, s12
	v_add3_u32 v27, v32, v27, v1
	global_load_ubyte v1, v[16:17], off
	global_load_ubyte v32, v[26:27], off
	s_waitcnt vmcnt(1)
	v_cmp_ne_u16_e32 vcc, 0, v1
	s_waitcnt vmcnt(0)
	v_cmp_ne_u16_e64 s[2:3], 0, v32
	s_xor_b64 s[4:5], vcc, s[2:3]
	s_mov_b64 s[2:3], -1
	s_xor_b64 s[6:7], s[4:5], -1
	s_and_saveexec_b64 s[4:5], s[6:7]
	s_cbranch_execz .LBB1053_241
; %bb.235:
	s_mov_b64 s[28:29], 1
	s_mov_b64 s[6:7], 0
                                        ; implicit-def: $sgpr18_sgpr19
	s_branch .LBB1053_238
.LBB1053_236:                           ;   in Loop: Header=BB1053_238 Depth=1
	v_lshl_add_u64 v[32:33], v[16:17], 0, s[28:29]
	v_lshl_add_u64 v[38:39], v[26:27], 0, s[28:29]
	global_load_ubyte v1, v[32:33], off
	global_load_ubyte v47, v[38:39], off
	s_waitcnt vmcnt(1)
	v_cmp_ne_u16_e32 vcc, 0, v1
	s_waitcnt vmcnt(0)
	v_cmp_ne_u16_e64 s[2:3], 0, v47
	s_xor_b64 s[30:31], vcc, s[2:3]
	s_add_u32 s2, s28, 1
	s_addc_u32 s3, s29, 0
	s_andn2_b64 s[18:19], s[18:19], exec
	s_and_b64 s[30:31], s[30:31], exec
	s_or_b64 s[18:19], s[18:19], s[30:31]
.LBB1053_237:                           ;   in Loop: Header=BB1053_238 Depth=1
	s_and_b64 s[30:31], exec, s[18:19]
	s_or_b64 s[6:7], s[30:31], s[6:7]
	v_mov_b64_e32 v[32:33], s[28:29]
	s_mov_b64 s[28:29], s[2:3]
	s_andn2_b64 exec, exec, s[6:7]
	s_cbranch_execz .LBB1053_240
.LBB1053_238:                           ; =>This Inner Loop Header: Depth=1
	s_or_b64 s[18:19], s[18:19], exec
	s_cmp_eq_u64 s[12:13], s[28:29]
	s_cbranch_scc0 .LBB1053_236
; %bb.239:                              ;   in Loop: Header=BB1053_238 Depth=1
                                        ; implicit-def: $sgpr2_sgpr3
	s_mov_b64 s[28:29], s[12:13]
	s_branch .LBB1053_237
.LBB1053_240:
	s_or_b64 exec, exec, s[6:7]
	v_cmp_gt_i64_e32 vcc, s[12:13], v[32:33]
	s_orn2_b64 s[2:3], vcc, exec
.LBB1053_241:
	s_or_b64 exec, exec, s[4:5]
.LBB1053_242:
	s_and_b64 s[4:5], s[2:3], exec
	s_or_b64 s[24:25], s[24:25], exec
.LBB1053_243:
	s_or_b64 exec, exec, s[16:17]
.LBB1053_244:
	s_branch .LBB1053_462
.LBB1053_245:
	s_cmp_lg_u64 s[26:27], 1
	s_cbranch_scc0 .LBB1053_253
; %bb.246:
	v_mov_b64_e32 v[50:51], 0
	v_cmp_lt_i64_e64 s[2:3], s[12:13], 1
	v_cmp_gt_i64_e64 s[6:7], s[12:13], 0
	s_and_b64 vcc, exec, s[2:3]
	v_mov_b64_e32 v[48:49], v[50:51]
	ds_write_b64 v46, v[52:53]
	s_cbranch_vccnz .LBB1053_263
; %bb.247:
	v_mov_b64_e32 v[14:15], s[14:15]
	v_mad_u64_u32 v[16:17], s[2:3], v52, s12, v[14:15]
	v_mul_lo_u32 v1, v52, s13
	v_mul_lo_u32 v26, v53, s12
	v_add3_u32 v17, v26, v17, v1
	v_mad_u64_u32 v[14:15], s[2:3], v24, s12, v[14:15]
	v_mul_lo_u32 v1, v24, s13
	v_mul_lo_u32 v26, v25, s12
	v_add3_u32 v15, v26, v15, v1
	global_load_ubyte v1, v[16:17], off
	global_load_ubyte v26, v[14:15], off
	v_mov_b64_e32 v[48:49], 1
	s_waitcnt vmcnt(1)
	v_cmp_ne_u16_e64 s[2:3], 0, v1
	s_waitcnt vmcnt(0)
	v_cmp_ne_u16_e32 vcc, 0, v26
	s_xor_b64 s[2:3], s[2:3], vcc
	s_xor_b64 s[2:3], s[2:3], -1
	s_waitcnt lgkmcnt(0)
	s_and_saveexec_b64 s[16:17], s[2:3]
	s_cbranch_execz .LBB1053_255
; %bb.248:
	s_mov_b64 s[28:29], 1
	s_mov_b64 s[18:19], 0
                                        ; implicit-def: $sgpr26_sgpr27
	s_branch .LBB1053_251
.LBB1053_249:                           ;   in Loop: Header=BB1053_251 Depth=1
	v_lshl_add_u64 v[26:27], v[16:17], 0, s[28:29]
	v_lshl_add_u64 v[28:29], v[14:15], 0, s[28:29]
	global_load_ubyte v1, v[26:27], off
	global_load_ubyte v30, v[28:29], off
	s_waitcnt vmcnt(1)
	v_cmp_ne_u16_e64 s[2:3], 0, v1
	s_waitcnt vmcnt(0)
	v_cmp_ne_u16_e64 s[4:5], 0, v30
	s_xor_b64 s[4:5], s[2:3], s[4:5]
	s_add_u32 s2, s28, 1
	s_addc_u32 s3, s29, 0
	s_andn2_b64 s[26:27], s[26:27], exec
	s_and_b64 s[4:5], s[4:5], exec
	s_or_b64 s[26:27], s[26:27], s[4:5]
.LBB1053_250:                           ;   in Loop: Header=BB1053_251 Depth=1
	s_and_b64 s[4:5], exec, s[26:27]
	s_or_b64 s[18:19], s[4:5], s[18:19]
	v_mov_b64_e32 v[26:27], s[28:29]
	s_mov_b64 s[28:29], s[2:3]
	s_andn2_b64 exec, exec, s[18:19]
	s_cbranch_execz .LBB1053_254
.LBB1053_251:                           ; =>This Inner Loop Header: Depth=1
	s_or_b64 s[26:27], s[26:27], exec
	s_cmp_eq_u64 s[12:13], s[28:29]
	s_cbranch_scc0 .LBB1053_249
; %bb.252:                              ;   in Loop: Header=BB1053_251 Depth=1
                                        ; implicit-def: $sgpr2_sgpr3
	s_mov_b64 s[28:29], s[12:13]
	s_branch .LBB1053_250
.LBB1053_253:
                                        ; implicit-def: $sgpr4_sgpr5
                                        ; implicit-def: $vgpr48_vgpr49
                                        ; implicit-def: $vgpr50_vgpr51
                                        ; implicit-def: $vgpr44_vgpr45
                                        ; implicit-def: $vgpr42_vgpr43
                                        ; implicit-def: $vgpr36_vgpr37
                                        ; implicit-def: $vgpr30_vgpr31
                                        ; implicit-def: $vgpr14_vgpr15_vgpr16_vgpr17
                                        ; implicit-def: $vgpr26_vgpr27_vgpr28_vgpr29
                                        ; implicit-def: $vgpr32_vgpr33_vgpr34_vgpr35
                                        ; implicit-def: $vgpr38_vgpr39_vgpr40_vgpr41
	s_cbranch_execnz .LBB1053_340
	s_branch .LBB1053_462
.LBB1053_254:
	s_or_b64 exec, exec, s[18:19]
	v_cmp_gt_i64_e64 s[2:3], s[12:13], v[26:27]
	s_nop 1
	v_cndmask_b32_e64 v48, 0, 1, s[2:3]
	s_mov_b32 s2, 0
	v_mov_b32_e32 v49, s2
.LBB1053_255:
	s_or_b64 exec, exec, s[16:17]
	v_mov_b64_e32 v[16:17], s[14:15]
	v_mad_u64_u32 v[16:17], s[2:3], v22, s12, v[16:17]
	v_mul_lo_u32 v1, v22, s13
	v_mul_lo_u32 v26, v23, s12
	v_add3_u32 v17, v26, v17, v1
	global_load_ubyte v1, v[16:17], off
	v_mov_b64_e32 v[50:51], 1
	s_waitcnt vmcnt(0)
	v_cmp_ne_u16_e64 s[2:3], 0, v1
	s_xor_b64 s[2:3], vcc, s[2:3]
	s_xor_b64 s[2:3], s[2:3], -1
	s_and_saveexec_b64 s[4:5], s[2:3]
	s_cbranch_execz .LBB1053_262
; %bb.256:
	s_mov_b64 s[26:27], 1
	s_mov_b64 s[16:17], 0
                                        ; implicit-def: $sgpr18_sgpr19
	s_branch .LBB1053_259
.LBB1053_257:                           ;   in Loop: Header=BB1053_259 Depth=1
	v_lshl_add_u64 v[26:27], v[14:15], 0, s[26:27]
	v_lshl_add_u64 v[28:29], v[16:17], 0, s[26:27]
	global_load_ubyte v1, v[26:27], off
	global_load_ubyte v30, v[28:29], off
	s_waitcnt vmcnt(1)
	v_cmp_ne_u16_e32 vcc, 0, v1
	s_waitcnt vmcnt(0)
	v_cmp_ne_u16_e64 s[2:3], 0, v30
	s_xor_b64 s[28:29], vcc, s[2:3]
	s_add_u32 s2, s26, 1
	s_addc_u32 s3, s27, 0
	s_andn2_b64 s[18:19], s[18:19], exec
	s_and_b64 s[28:29], s[28:29], exec
	s_or_b64 s[18:19], s[18:19], s[28:29]
.LBB1053_258:                           ;   in Loop: Header=BB1053_259 Depth=1
	s_and_b64 s[28:29], exec, s[18:19]
	s_or_b64 s[16:17], s[28:29], s[16:17]
	v_mov_b64_e32 v[26:27], s[26:27]
	s_mov_b64 s[26:27], s[2:3]
	s_andn2_b64 exec, exec, s[16:17]
	s_cbranch_execz .LBB1053_261
.LBB1053_259:                           ; =>This Inner Loop Header: Depth=1
	s_or_b64 s[18:19], s[18:19], exec
	s_cmp_eq_u64 s[12:13], s[26:27]
	s_cbranch_scc0 .LBB1053_257
; %bb.260:                              ;   in Loop: Header=BB1053_259 Depth=1
                                        ; implicit-def: $sgpr2_sgpr3
	s_mov_b64 s[26:27], s[12:13]
	s_branch .LBB1053_258
.LBB1053_261:
	s_or_b64 exec, exec, s[16:17]
	v_cmp_gt_i64_e32 vcc, s[12:13], v[26:27]
	s_mov_b32 s2, 0
	v_mov_b32_e32 v51, s2
	v_cndmask_b32_e64 v50, 0, 1, vcc
.LBB1053_262:
	s_or_b64 exec, exec, s[4:5]
.LBB1053_263:
	v_cndmask_b32_e64 v1, 0, 1, s[6:7]
	v_mov_b64_e32 v[28:29], 0
	v_cmp_ne_u32_e64 s[2:3], 1, v1
	s_andn2_b64 vcc, exec, s[6:7]
	v_mov_b64_e32 v[14:15], v[28:29]
	s_cbranch_vccnz .LBB1053_279
; %bb.264:
	v_mov_b64_e32 v[14:15], s[14:15]
	v_mad_u64_u32 v[26:27], s[4:5], v22, s12, v[14:15]
	v_mul_lo_u32 v1, v22, s13
	v_mul_lo_u32 v16, v23, s12
	v_add3_u32 v27, v16, v27, v1
	v_mad_u64_u32 v[16:17], s[4:5], v20, s12, v[14:15]
	v_mul_lo_u32 v1, v20, s13
	v_mul_lo_u32 v14, v21, s12
	v_add3_u32 v17, v14, v17, v1
	global_load_ubyte v1, v[26:27], off
	global_load_ubyte v14, v[16:17], off
	s_waitcnt vmcnt(1)
	v_cmp_ne_u16_e64 s[4:5], 0, v1
	s_waitcnt vmcnt(0)
	v_cmp_ne_u16_e32 vcc, 0, v14
	s_xor_b64 s[4:5], s[4:5], vcc
	s_xor_b64 s[4:5], s[4:5], -1
	v_mov_b64_e32 v[14:15], 1
	s_waitcnt lgkmcnt(0)
	s_and_saveexec_b64 s[16:17], s[4:5]
	s_cbranch_execz .LBB1053_271
; %bb.265:
	s_mov_b64 s[28:29], 1
	s_mov_b64 s[18:19], 0
                                        ; implicit-def: $sgpr26_sgpr27
	s_branch .LBB1053_268
.LBB1053_266:                           ;   in Loop: Header=BB1053_268 Depth=1
	v_lshl_add_u64 v[14:15], v[26:27], 0, s[28:29]
	v_lshl_add_u64 v[28:29], v[16:17], 0, s[28:29]
	global_load_ubyte v1, v[14:15], off
	global_load_ubyte v30, v[28:29], off
	s_waitcnt vmcnt(1)
	v_cmp_ne_u16_e64 s[4:5], 0, v1
	s_waitcnt vmcnt(0)
	v_cmp_ne_u16_e64 s[6:7], 0, v30
	s_xor_b64 s[6:7], s[4:5], s[6:7]
	s_add_u32 s4, s28, 1
	s_addc_u32 s5, s29, 0
	s_andn2_b64 s[26:27], s[26:27], exec
	s_and_b64 s[6:7], s[6:7], exec
	s_or_b64 s[26:27], s[26:27], s[6:7]
.LBB1053_267:                           ;   in Loop: Header=BB1053_268 Depth=1
	s_and_b64 s[6:7], exec, s[26:27]
	s_or_b64 s[18:19], s[6:7], s[18:19]
	v_mov_b64_e32 v[14:15], s[28:29]
	s_mov_b64 s[28:29], s[4:5]
	s_andn2_b64 exec, exec, s[18:19]
	s_cbranch_execz .LBB1053_270
.LBB1053_268:                           ; =>This Inner Loop Header: Depth=1
	s_or_b64 s[26:27], s[26:27], exec
	s_cmp_eq_u64 s[12:13], s[28:29]
	s_cbranch_scc0 .LBB1053_266
; %bb.269:                              ;   in Loop: Header=BB1053_268 Depth=1
                                        ; implicit-def: $sgpr4_sgpr5
	s_mov_b64 s[28:29], s[12:13]
	s_branch .LBB1053_267
.LBB1053_270:
	s_or_b64 exec, exec, s[18:19]
	v_cmp_gt_i64_e64 s[4:5], s[12:13], v[14:15]
	s_nop 1
	v_cndmask_b32_e64 v14, 0, 1, s[4:5]
	s_mov_b32 s4, 0
	v_mov_b32_e32 v15, s4
.LBB1053_271:
	s_or_b64 exec, exec, s[16:17]
	v_mov_b64_e32 v[26:27], s[14:15]
	v_mad_u64_u32 v[26:27], s[4:5], v18, s12, v[26:27]
	v_mul_lo_u32 v1, v18, s13
	v_mul_lo_u32 v28, v19, s12
	v_add3_u32 v27, v28, v27, v1
	global_load_ubyte v1, v[26:27], off
	v_mov_b64_e32 v[28:29], 1
	s_waitcnt vmcnt(0)
	v_cmp_ne_u16_e64 s[4:5], 0, v1
	s_xor_b64 s[4:5], vcc, s[4:5]
	s_xor_b64 s[4:5], s[4:5], -1
	s_and_saveexec_b64 s[6:7], s[4:5]
	s_cbranch_execz .LBB1053_278
; %bb.272:
	s_mov_b64 s[26:27], 1
	s_mov_b64 s[16:17], 0
                                        ; implicit-def: $sgpr18_sgpr19
	s_branch .LBB1053_275
.LBB1053_273:                           ;   in Loop: Header=BB1053_275 Depth=1
	v_lshl_add_u64 v[28:29], v[16:17], 0, s[26:27]
	v_lshl_add_u64 v[30:31], v[26:27], 0, s[26:27]
	global_load_ubyte v1, v[28:29], off
	global_load_ubyte v32, v[30:31], off
	s_waitcnt vmcnt(1)
	v_cmp_ne_u16_e32 vcc, 0, v1
	s_waitcnt vmcnt(0)
	v_cmp_ne_u16_e64 s[4:5], 0, v32
	s_xor_b64 s[28:29], vcc, s[4:5]
	s_add_u32 s4, s26, 1
	s_addc_u32 s5, s27, 0
	s_andn2_b64 s[18:19], s[18:19], exec
	s_and_b64 s[28:29], s[28:29], exec
	s_or_b64 s[18:19], s[18:19], s[28:29]
.LBB1053_274:                           ;   in Loop: Header=BB1053_275 Depth=1
	s_and_b64 s[28:29], exec, s[18:19]
	s_or_b64 s[16:17], s[28:29], s[16:17]
	v_mov_b64_e32 v[28:29], s[26:27]
	s_mov_b64 s[26:27], s[4:5]
	s_andn2_b64 exec, exec, s[16:17]
	s_cbranch_execz .LBB1053_277
.LBB1053_275:                           ; =>This Inner Loop Header: Depth=1
	s_or_b64 s[18:19], s[18:19], exec
	s_cmp_eq_u64 s[12:13], s[26:27]
	s_cbranch_scc0 .LBB1053_273
; %bb.276:                              ;   in Loop: Header=BB1053_275 Depth=1
                                        ; implicit-def: $sgpr4_sgpr5
	s_mov_b64 s[26:27], s[12:13]
	s_branch .LBB1053_274
.LBB1053_277:
	s_or_b64 exec, exec, s[16:17]
	v_cmp_gt_i64_e32 vcc, s[12:13], v[28:29]
	s_mov_b32 s4, 0
	v_mov_b32_e32 v29, s4
	v_cndmask_b32_e64 v28, 0, 1, vcc
.LBB1053_278:
	s_or_b64 exec, exec, s[6:7]
.LBB1053_279:
	v_mov_b64_e32 v[34:35], 0
	s_and_b64 vcc, exec, s[2:3]
	v_mov_b64_e32 v[30:31], v[34:35]
	s_cbranch_vccnz .LBB1053_295
; %bb.280:
	v_mov_b64_e32 v[16:17], s[14:15]
	v_mad_u64_u32 v[26:27], s[4:5], v18, s12, v[16:17]
	v_mul_lo_u32 v1, v18, s13
	v_mul_lo_u32 v30, v19, s12
	v_add3_u32 v27, v30, v27, v1
	v_mad_u64_u32 v[16:17], s[4:5], v12, s12, v[16:17]
	v_mul_lo_u32 v1, v12, s13
	v_mul_lo_u32 v30, v13, s12
	v_add3_u32 v17, v30, v17, v1
	global_load_ubyte v1, v[26:27], off
	global_load_ubyte v30, v[16:17], off
	s_waitcnt vmcnt(1)
	v_cmp_ne_u16_e64 s[4:5], 0, v1
	s_waitcnt vmcnt(0)
	v_cmp_ne_u16_e32 vcc, 0, v30
	s_xor_b64 s[4:5], s[4:5], vcc
	s_xor_b64 s[4:5], s[4:5], -1
	v_mov_b64_e32 v[30:31], 1
	s_waitcnt lgkmcnt(0)
	s_and_saveexec_b64 s[16:17], s[4:5]
	s_cbranch_execz .LBB1053_287
; %bb.281:
	s_mov_b64 s[28:29], 1
	s_mov_b64 s[18:19], 0
                                        ; implicit-def: $sgpr26_sgpr27
	s_branch .LBB1053_284
.LBB1053_282:                           ;   in Loop: Header=BB1053_284 Depth=1
	v_lshl_add_u64 v[30:31], v[26:27], 0, s[28:29]
	v_lshl_add_u64 v[32:33], v[16:17], 0, s[28:29]
	global_load_ubyte v1, v[30:31], off
	global_load_ubyte v34, v[32:33], off
	s_waitcnt vmcnt(1)
	v_cmp_ne_u16_e64 s[4:5], 0, v1
	s_waitcnt vmcnt(0)
	v_cmp_ne_u16_e64 s[6:7], 0, v34
	s_xor_b64 s[6:7], s[4:5], s[6:7]
	s_add_u32 s4, s28, 1
	s_addc_u32 s5, s29, 0
	s_andn2_b64 s[26:27], s[26:27], exec
	s_and_b64 s[6:7], s[6:7], exec
	s_or_b64 s[26:27], s[26:27], s[6:7]
.LBB1053_283:                           ;   in Loop: Header=BB1053_284 Depth=1
	s_and_b64 s[6:7], exec, s[26:27]
	s_or_b64 s[18:19], s[6:7], s[18:19]
	v_mov_b64_e32 v[30:31], s[28:29]
	s_mov_b64 s[28:29], s[4:5]
	s_andn2_b64 exec, exec, s[18:19]
	s_cbranch_execz .LBB1053_286
.LBB1053_284:                           ; =>This Inner Loop Header: Depth=1
	s_or_b64 s[26:27], s[26:27], exec
	s_cmp_eq_u64 s[12:13], s[28:29]
	s_cbranch_scc0 .LBB1053_282
; %bb.285:                              ;   in Loop: Header=BB1053_284 Depth=1
                                        ; implicit-def: $sgpr4_sgpr5
	s_mov_b64 s[28:29], s[12:13]
	s_branch .LBB1053_283
.LBB1053_286:
	s_or_b64 exec, exec, s[18:19]
	v_cmp_gt_i64_e64 s[4:5], s[12:13], v[30:31]
	s_nop 1
	v_cndmask_b32_e64 v30, 0, 1, s[4:5]
	s_mov_b32 s4, 0
	v_mov_b32_e32 v31, s4
.LBB1053_287:
	s_or_b64 exec, exec, s[16:17]
	v_mov_b64_e32 v[26:27], s[14:15]
	v_mad_u64_u32 v[26:27], s[4:5], v10, s12, v[26:27]
	v_mul_lo_u32 v1, v10, s13
	v_mul_lo_u32 v32, v11, s12
	v_add3_u32 v27, v32, v27, v1
	global_load_ubyte v1, v[26:27], off
	v_mov_b64_e32 v[34:35], 1
	s_waitcnt vmcnt(0)
	v_cmp_ne_u16_e64 s[4:5], 0, v1
	s_xor_b64 s[4:5], vcc, s[4:5]
	s_xor_b64 s[4:5], s[4:5], -1
	s_and_saveexec_b64 s[6:7], s[4:5]
	s_cbranch_execz .LBB1053_294
; %bb.288:
	s_mov_b64 s[26:27], 1
	s_mov_b64 s[16:17], 0
                                        ; implicit-def: $sgpr18_sgpr19
	s_branch .LBB1053_291
.LBB1053_289:                           ;   in Loop: Header=BB1053_291 Depth=1
	v_lshl_add_u64 v[32:33], v[16:17], 0, s[26:27]
	v_lshl_add_u64 v[34:35], v[26:27], 0, s[26:27]
	global_load_ubyte v1, v[32:33], off
	global_load_ubyte v36, v[34:35], off
	s_waitcnt vmcnt(1)
	v_cmp_ne_u16_e32 vcc, 0, v1
	s_waitcnt vmcnt(0)
	v_cmp_ne_u16_e64 s[4:5], 0, v36
	s_xor_b64 s[28:29], vcc, s[4:5]
	s_add_u32 s4, s26, 1
	s_addc_u32 s5, s27, 0
	s_andn2_b64 s[18:19], s[18:19], exec
	s_and_b64 s[28:29], s[28:29], exec
	s_or_b64 s[18:19], s[18:19], s[28:29]
.LBB1053_290:                           ;   in Loop: Header=BB1053_291 Depth=1
	s_and_b64 s[28:29], exec, s[18:19]
	s_or_b64 s[16:17], s[28:29], s[16:17]
	v_mov_b64_e32 v[32:33], s[26:27]
	s_mov_b64 s[26:27], s[4:5]
	s_andn2_b64 exec, exec, s[16:17]
	s_cbranch_execz .LBB1053_293
.LBB1053_291:                           ; =>This Inner Loop Header: Depth=1
	s_or_b64 s[18:19], s[18:19], exec
	s_cmp_eq_u64 s[12:13], s[26:27]
	s_cbranch_scc0 .LBB1053_289
; %bb.292:                              ;   in Loop: Header=BB1053_291 Depth=1
                                        ; implicit-def: $sgpr4_sgpr5
	s_mov_b64 s[26:27], s[12:13]
	s_branch .LBB1053_290
.LBB1053_293:
	s_or_b64 exec, exec, s[16:17]
	v_cmp_gt_i64_e32 vcc, s[12:13], v[32:33]
	s_mov_b32 s4, 0
	v_mov_b32_e32 v35, s4
	v_cndmask_b32_e64 v34, 0, 1, vcc
.LBB1053_294:
	s_or_b64 exec, exec, s[6:7]
.LBB1053_295:
	v_mov_b64_e32 v[40:41], 0
	s_and_b64 vcc, exec, s[2:3]
	v_mov_b64_e32 v[36:37], v[40:41]
	s_cbranch_vccnz .LBB1053_311
; %bb.296:
	v_mov_b64_e32 v[16:17], s[14:15]
	v_mad_u64_u32 v[26:27], s[4:5], v10, s12, v[16:17]
	v_mul_lo_u32 v1, v10, s13
	s_waitcnt lgkmcnt(0)
	v_mul_lo_u32 v32, v11, s12
	v_add3_u32 v27, v32, v27, v1
	v_mad_u64_u32 v[16:17], s[4:5], v8, s12, v[16:17]
	v_mul_lo_u32 v1, v8, s13
	v_mul_lo_u32 v32, v9, s12
	v_add3_u32 v17, v32, v17, v1
	global_load_ubyte v1, v[26:27], off
	global_load_ubyte v32, v[16:17], off
	v_mov_b64_e32 v[36:37], 1
	s_waitcnt vmcnt(1)
	v_cmp_ne_u16_e64 s[4:5], 0, v1
	s_waitcnt vmcnt(0)
	v_cmp_ne_u16_e32 vcc, 0, v32
	s_xor_b64 s[4:5], s[4:5], vcc
	s_xor_b64 s[4:5], s[4:5], -1
	s_and_saveexec_b64 s[16:17], s[4:5]
	s_cbranch_execz .LBB1053_303
; %bb.297:
	s_mov_b64 s[28:29], 1
	s_mov_b64 s[18:19], 0
                                        ; implicit-def: $sgpr26_sgpr27
	s_branch .LBB1053_300
.LBB1053_298:                           ;   in Loop: Header=BB1053_300 Depth=1
	v_lshl_add_u64 v[32:33], v[26:27], 0, s[28:29]
	v_lshl_add_u64 v[36:37], v[16:17], 0, s[28:29]
	global_load_ubyte v1, v[32:33], off
	global_load_ubyte v38, v[36:37], off
	s_waitcnt vmcnt(1)
	v_cmp_ne_u16_e64 s[4:5], 0, v1
	s_waitcnt vmcnt(0)
	v_cmp_ne_u16_e64 s[6:7], 0, v38
	s_xor_b64 s[6:7], s[4:5], s[6:7]
	s_add_u32 s4, s28, 1
	s_addc_u32 s5, s29, 0
	s_andn2_b64 s[26:27], s[26:27], exec
	s_and_b64 s[6:7], s[6:7], exec
	s_or_b64 s[26:27], s[26:27], s[6:7]
.LBB1053_299:                           ;   in Loop: Header=BB1053_300 Depth=1
	s_and_b64 s[6:7], exec, s[26:27]
	s_or_b64 s[18:19], s[6:7], s[18:19]
	v_mov_b64_e32 v[32:33], s[28:29]
	s_mov_b64 s[28:29], s[4:5]
	s_andn2_b64 exec, exec, s[18:19]
	s_cbranch_execz .LBB1053_302
.LBB1053_300:                           ; =>This Inner Loop Header: Depth=1
	s_or_b64 s[26:27], s[26:27], exec
	s_cmp_eq_u64 s[12:13], s[28:29]
	s_cbranch_scc0 .LBB1053_298
; %bb.301:                              ;   in Loop: Header=BB1053_300 Depth=1
                                        ; implicit-def: $sgpr4_sgpr5
	s_mov_b64 s[28:29], s[12:13]
	s_branch .LBB1053_299
.LBB1053_302:
	s_or_b64 exec, exec, s[18:19]
	v_cmp_gt_i64_e64 s[4:5], s[12:13], v[32:33]
	s_nop 1
	v_cndmask_b32_e64 v36, 0, 1, s[4:5]
	s_mov_b32 s4, 0
	v_mov_b32_e32 v37, s4
.LBB1053_303:
	s_or_b64 exec, exec, s[16:17]
	v_mov_b64_e32 v[26:27], s[14:15]
	v_mad_u64_u32 v[26:27], s[4:5], v6, s12, v[26:27]
	v_mul_lo_u32 v1, v6, s13
	v_mul_lo_u32 v32, v7, s12
	v_add3_u32 v27, v32, v27, v1
	global_load_ubyte v1, v[26:27], off
	v_mov_b64_e32 v[40:41], 1
	s_waitcnt vmcnt(0)
	v_cmp_ne_u16_e64 s[4:5], 0, v1
	s_xor_b64 s[4:5], vcc, s[4:5]
	s_xor_b64 s[4:5], s[4:5], -1
	s_and_saveexec_b64 s[6:7], s[4:5]
	s_cbranch_execz .LBB1053_310
; %bb.304:
	s_mov_b64 s[26:27], 1
	s_mov_b64 s[16:17], 0
                                        ; implicit-def: $sgpr18_sgpr19
	s_branch .LBB1053_307
.LBB1053_305:                           ;   in Loop: Header=BB1053_307 Depth=1
	v_lshl_add_u64 v[32:33], v[16:17], 0, s[26:27]
	v_lshl_add_u64 v[38:39], v[26:27], 0, s[26:27]
	global_load_ubyte v1, v[32:33], off
	global_load_ubyte v40, v[38:39], off
	s_waitcnt vmcnt(1)
	v_cmp_ne_u16_e32 vcc, 0, v1
	s_waitcnt vmcnt(0)
	v_cmp_ne_u16_e64 s[4:5], 0, v40
	s_xor_b64 s[28:29], vcc, s[4:5]
	s_add_u32 s4, s26, 1
	s_addc_u32 s5, s27, 0
	s_andn2_b64 s[18:19], s[18:19], exec
	s_and_b64 s[28:29], s[28:29], exec
	s_or_b64 s[18:19], s[18:19], s[28:29]
.LBB1053_306:                           ;   in Loop: Header=BB1053_307 Depth=1
	s_and_b64 s[28:29], exec, s[18:19]
	s_or_b64 s[16:17], s[28:29], s[16:17]
	v_mov_b64_e32 v[32:33], s[26:27]
	s_mov_b64 s[26:27], s[4:5]
	s_andn2_b64 exec, exec, s[16:17]
	s_cbranch_execz .LBB1053_309
.LBB1053_307:                           ; =>This Inner Loop Header: Depth=1
	s_or_b64 s[18:19], s[18:19], exec
	s_cmp_eq_u64 s[12:13], s[26:27]
	s_cbranch_scc0 .LBB1053_305
; %bb.308:                              ;   in Loop: Header=BB1053_307 Depth=1
                                        ; implicit-def: $sgpr4_sgpr5
	s_mov_b64 s[26:27], s[12:13]
	s_branch .LBB1053_306
.LBB1053_309:
	s_or_b64 exec, exec, s[16:17]
	v_cmp_gt_i64_e32 vcc, s[12:13], v[32:33]
	s_mov_b32 s4, 0
	v_mov_b32_e32 v41, s4
	v_cndmask_b32_e64 v40, 0, 1, vcc
.LBB1053_310:
	s_or_b64 exec, exec, s[6:7]
.LBB1053_311:
	v_mov_b64_e32 v[44:45], 0
	s_and_b64 vcc, exec, s[2:3]
	v_mov_b64_e32 v[42:43], v[44:45]
	s_cbranch_vccnz .LBB1053_327
; %bb.312:
	v_mov_b64_e32 v[16:17], s[14:15]
	v_mad_u64_u32 v[26:27], s[4:5], v6, s12, v[16:17]
	v_mul_lo_u32 v1, v6, s13
	s_waitcnt lgkmcnt(0)
	v_mul_lo_u32 v32, v7, s12
	v_add3_u32 v27, v32, v27, v1
	v_mad_u64_u32 v[16:17], s[4:5], v4, s12, v[16:17]
	v_mul_lo_u32 v1, v4, s13
	v_mul_lo_u32 v32, v5, s12
	v_add3_u32 v17, v32, v17, v1
	global_load_ubyte v1, v[26:27], off
	global_load_ubyte v32, v[16:17], off
	v_mov_b64_e32 v[42:43], 1
	s_waitcnt vmcnt(1)
	v_cmp_ne_u16_e64 s[4:5], 0, v1
	s_waitcnt vmcnt(0)
	v_cmp_ne_u16_e32 vcc, 0, v32
	s_xor_b64 s[4:5], s[4:5], vcc
	s_xor_b64 s[4:5], s[4:5], -1
	s_and_saveexec_b64 s[16:17], s[4:5]
	s_cbranch_execz .LBB1053_319
; %bb.313:
	s_mov_b64 s[28:29], 1
	s_mov_b64 s[18:19], 0
                                        ; implicit-def: $sgpr26_sgpr27
	s_branch .LBB1053_316
.LBB1053_314:                           ;   in Loop: Header=BB1053_316 Depth=1
	v_lshl_add_u64 v[32:33], v[26:27], 0, s[28:29]
	v_lshl_add_u64 v[38:39], v[16:17], 0, s[28:29]
	global_load_ubyte v1, v[32:33], off
	global_load_ubyte v42, v[38:39], off
	s_waitcnt vmcnt(1)
	v_cmp_ne_u16_e64 s[4:5], 0, v1
	s_waitcnt vmcnt(0)
	v_cmp_ne_u16_e64 s[6:7], 0, v42
	s_xor_b64 s[6:7], s[4:5], s[6:7]
	s_add_u32 s4, s28, 1
	s_addc_u32 s5, s29, 0
	s_andn2_b64 s[26:27], s[26:27], exec
	s_and_b64 s[6:7], s[6:7], exec
	s_or_b64 s[26:27], s[26:27], s[6:7]
.LBB1053_315:                           ;   in Loop: Header=BB1053_316 Depth=1
	s_and_b64 s[6:7], exec, s[26:27]
	s_or_b64 s[18:19], s[6:7], s[18:19]
	v_mov_b64_e32 v[32:33], s[28:29]
	s_mov_b64 s[28:29], s[4:5]
	s_andn2_b64 exec, exec, s[18:19]
	s_cbranch_execz .LBB1053_318
.LBB1053_316:                           ; =>This Inner Loop Header: Depth=1
	s_or_b64 s[26:27], s[26:27], exec
	s_cmp_eq_u64 s[12:13], s[28:29]
	s_cbranch_scc0 .LBB1053_314
; %bb.317:                              ;   in Loop: Header=BB1053_316 Depth=1
                                        ; implicit-def: $sgpr4_sgpr5
	s_mov_b64 s[28:29], s[12:13]
	s_branch .LBB1053_315
.LBB1053_318:
	s_or_b64 exec, exec, s[18:19]
	v_cmp_gt_i64_e64 s[4:5], s[12:13], v[32:33]
	s_nop 1
	v_cndmask_b32_e64 v42, 0, 1, s[4:5]
	s_mov_b32 s4, 0
	v_mov_b32_e32 v43, s4
.LBB1053_319:
	s_or_b64 exec, exec, s[16:17]
	v_mov_b64_e32 v[26:27], s[14:15]
	v_mad_u64_u32 v[26:27], s[4:5], v2, s12, v[26:27]
	v_mul_lo_u32 v1, v2, s13
	v_mul_lo_u32 v32, v3, s12
	v_add3_u32 v27, v32, v27, v1
	global_load_ubyte v1, v[26:27], off
	v_mov_b64_e32 v[44:45], 1
	s_waitcnt vmcnt(0)
	v_cmp_ne_u16_e64 s[4:5], 0, v1
	s_xor_b64 s[4:5], vcc, s[4:5]
	s_xor_b64 s[4:5], s[4:5], -1
	s_and_saveexec_b64 s[6:7], s[4:5]
	s_cbranch_execz .LBB1053_326
; %bb.320:
	s_mov_b64 s[26:27], 1
	s_mov_b64 s[16:17], 0
                                        ; implicit-def: $sgpr18_sgpr19
	s_branch .LBB1053_323
.LBB1053_321:                           ;   in Loop: Header=BB1053_323 Depth=1
	v_lshl_add_u64 v[32:33], v[16:17], 0, s[26:27]
	v_lshl_add_u64 v[38:39], v[26:27], 0, s[26:27]
	global_load_ubyte v1, v[32:33], off
	global_load_ubyte v44, v[38:39], off
	s_waitcnt vmcnt(1)
	v_cmp_ne_u16_e32 vcc, 0, v1
	s_waitcnt vmcnt(0)
	v_cmp_ne_u16_e64 s[4:5], 0, v44
	s_xor_b64 s[28:29], vcc, s[4:5]
	s_add_u32 s4, s26, 1
	s_addc_u32 s5, s27, 0
	s_andn2_b64 s[18:19], s[18:19], exec
	s_and_b64 s[28:29], s[28:29], exec
	s_or_b64 s[18:19], s[18:19], s[28:29]
.LBB1053_322:                           ;   in Loop: Header=BB1053_323 Depth=1
	s_and_b64 s[28:29], exec, s[18:19]
	s_or_b64 s[16:17], s[28:29], s[16:17]
	v_mov_b64_e32 v[32:33], s[26:27]
	s_mov_b64 s[26:27], s[4:5]
	s_andn2_b64 exec, exec, s[16:17]
	s_cbranch_execz .LBB1053_325
.LBB1053_323:                           ; =>This Inner Loop Header: Depth=1
	s_or_b64 s[18:19], s[18:19], exec
	s_cmp_eq_u64 s[12:13], s[26:27]
	s_cbranch_scc0 .LBB1053_321
; %bb.324:                              ;   in Loop: Header=BB1053_323 Depth=1
                                        ; implicit-def: $sgpr4_sgpr5
	s_mov_b64 s[26:27], s[12:13]
	s_branch .LBB1053_322
.LBB1053_325:
	s_or_b64 exec, exec, s[16:17]
	v_cmp_gt_i64_e32 vcc, s[12:13], v[32:33]
	s_mov_b32 s4, 0
	v_mov_b32_e32 v45, s4
	v_cndmask_b32_e64 v44, 0, 1, vcc
.LBB1053_326:
	s_or_b64 exec, exec, s[6:7]
.LBB1053_327:
	v_cmp_ne_u32_e32 vcc, 0, v0
	s_waitcnt lgkmcnt(0)
	s_barrier
	s_waitcnt lgkmcnt(0)
                                        ; implicit-def: $sgpr4_sgpr5
	s_and_saveexec_b64 s[6:7], vcc
	s_cbranch_execz .LBB1053_339
; %bb.328:
	s_and_b64 vcc, exec, s[2:3]
	s_cbranch_vccnz .LBB1053_335
; %bb.329:
	v_add_u32_e32 v1, -8, v46
	ds_read_b64 v[26:27], v1
	v_mov_b64_e32 v[32:33], s[14:15]
	v_mad_u64_u32 v[16:17], s[2:3], v2, s12, v[32:33]
	v_mul_lo_u32 v1, v2, s13
	v_mul_lo_u32 v38, v3, s12
	v_add3_u32 v17, v38, v17, v1
	s_waitcnt lgkmcnt(0)
	v_mul_lo_u32 v1, v26, s13
	v_mul_lo_u32 v38, v27, s12
	v_mad_u64_u32 v[26:27], s[2:3], v26, s12, v[32:33]
	v_add3_u32 v27, v38, v27, v1
	global_load_ubyte v1, v[16:17], off
	global_load_ubyte v32, v[26:27], off
	s_waitcnt vmcnt(1)
	v_cmp_ne_u16_e32 vcc, 0, v1
	s_waitcnt vmcnt(0)
	v_cmp_ne_u16_e64 s[2:3], 0, v32
	s_xor_b64 s[4:5], vcc, s[2:3]
	s_mov_b64 s[2:3], -1
	s_xor_b64 s[16:17], s[4:5], -1
	s_and_saveexec_b64 s[4:5], s[16:17]
	s_cbranch_execz .LBB1053_337
; %bb.330:
	s_mov_b64 s[26:27], 1
	s_mov_b64 s[16:17], 0
                                        ; implicit-def: $sgpr18_sgpr19
	s_branch .LBB1053_333
.LBB1053_331:                           ;   in Loop: Header=BB1053_333 Depth=1
	v_lshl_add_u64 v[32:33], v[16:17], 0, s[26:27]
	v_lshl_add_u64 v[38:39], v[26:27], 0, s[26:27]
	global_load_ubyte v1, v[32:33], off
	global_load_ubyte v47, v[38:39], off
	s_waitcnt vmcnt(1)
	v_cmp_ne_u16_e32 vcc, 0, v1
	s_waitcnt vmcnt(0)
	v_cmp_ne_u16_e64 s[2:3], 0, v47
	s_xor_b64 s[28:29], vcc, s[2:3]
	s_add_u32 s2, s26, 1
	s_addc_u32 s3, s27, 0
	s_andn2_b64 s[18:19], s[18:19], exec
	s_and_b64 s[28:29], s[28:29], exec
	s_or_b64 s[18:19], s[18:19], s[28:29]
.LBB1053_332:                           ;   in Loop: Header=BB1053_333 Depth=1
	s_and_b64 s[28:29], exec, s[18:19]
	s_or_b64 s[16:17], s[28:29], s[16:17]
	v_mov_b64_e32 v[32:33], s[26:27]
	s_mov_b64 s[26:27], s[2:3]
	s_andn2_b64 exec, exec, s[16:17]
	s_cbranch_execz .LBB1053_336
.LBB1053_333:                           ; =>This Inner Loop Header: Depth=1
	s_or_b64 s[18:19], s[18:19], exec
	s_cmp_eq_u64 s[12:13], s[26:27]
	s_cbranch_scc0 .LBB1053_331
; %bb.334:                              ;   in Loop: Header=BB1053_333 Depth=1
                                        ; implicit-def: $sgpr2_sgpr3
	s_mov_b64 s[26:27], s[12:13]
	s_branch .LBB1053_332
.LBB1053_335:
	s_mov_b64 s[2:3], 0
	s_branch .LBB1053_338
.LBB1053_336:
	s_or_b64 exec, exec, s[16:17]
	v_cmp_gt_i64_e32 vcc, s[12:13], v[32:33]
	s_orn2_b64 s[2:3], vcc, exec
.LBB1053_337:
	s_or_b64 exec, exec, s[4:5]
.LBB1053_338:
	s_and_b64 s[4:5], s[2:3], exec
	s_or_b64 s[24:25], s[24:25], exec
.LBB1053_339:
	s_or_b64 exec, exec, s[6:7]
	s_branch .LBB1053_462
.LBB1053_340:
	v_mad_u32_u24 v1, v0, 11, 10
	s_waitcnt lgkmcnt(0)
	v_cmp_lt_i64_e64 s[16:17], s[12:13], 1
	v_cmp_le_u32_e32 vcc, s10, v1
	s_or_b64 s[2:3], vcc, s[16:17]
	v_cmp_gt_i64_e64 s[6:7], s[12:13], 0
	s_xor_b64 s[2:3], s[2:3], -1
	v_mul_lo_u32 v28, v24, s13
	v_mul_lo_u32 v29, v25, s12
	ds_write_b64 v46, v[52:53]
                                        ; implicit-def: $vgpr48_vgpr49
	s_and_saveexec_b64 s[4:5], s[2:3]
	s_xor_b64 s[18:19], exec, s[4:5]
	s_cbranch_execz .LBB1053_349
; %bb.341:
	v_mov_b64_e32 v[16:17], s[14:15]
	v_mad_u64_u32 v[14:15], s[2:3], v52, s12, v[16:17]
	v_mul_lo_u32 v1, v52, s13
	v_mul_lo_u32 v26, v53, s12
	v_add3_u32 v15, v26, v15, v1
	v_mad_u64_u32 v[16:17], s[2:3], v24, s12, v[16:17]
	v_add3_u32 v17, v29, v17, v28
	global_load_ubyte v1, v[14:15], off
	global_load_ubyte v26, v[16:17], off
	v_mov_b64_e32 v[48:49], 1
	s_waitcnt vmcnt(1)
	v_cmp_ne_u16_e64 s[2:3], 0, v1
	s_waitcnt vmcnt(0)
	v_cmp_ne_u16_e64 s[4:5], 0, v26
	s_xor_b64 s[2:3], s[2:3], s[4:5]
	s_xor_b64 s[2:3], s[2:3], -1
	s_and_saveexec_b64 s[26:27], s[2:3]
	s_cbranch_execz .LBB1053_348
; %bb.342:
	s_mov_b64 s[34:35], 1
	s_mov_b64 s[28:29], 0
                                        ; implicit-def: $sgpr30_sgpr31
	s_branch .LBB1053_345
.LBB1053_343:                           ;   in Loop: Header=BB1053_345 Depth=1
	v_lshl_add_u64 v[26:27], v[14:15], 0, s[34:35]
	v_lshl_add_u64 v[30:31], v[16:17], 0, s[34:35]
	global_load_ubyte v1, v[26:27], off
	global_load_ubyte v32, v[30:31], off
	s_waitcnt vmcnt(1)
	v_cmp_ne_u16_e64 s[2:3], 0, v1
	s_waitcnt vmcnt(0)
	v_cmp_ne_u16_e64 s[4:5], 0, v32
	s_xor_b64 s[4:5], s[2:3], s[4:5]
	s_add_u32 s2, s34, 1
	s_addc_u32 s3, s35, 0
	s_andn2_b64 s[30:31], s[30:31], exec
	s_and_b64 s[4:5], s[4:5], exec
	s_or_b64 s[30:31], s[30:31], s[4:5]
.LBB1053_344:                           ;   in Loop: Header=BB1053_345 Depth=1
	s_and_b64 s[4:5], exec, s[30:31]
	s_or_b64 s[28:29], s[4:5], s[28:29]
	v_mov_b64_e32 v[26:27], s[34:35]
	s_mov_b64 s[34:35], s[2:3]
	s_andn2_b64 exec, exec, s[28:29]
	s_cbranch_execz .LBB1053_347
.LBB1053_345:                           ; =>This Inner Loop Header: Depth=1
	s_or_b64 s[30:31], s[30:31], exec
	s_cmp_eq_u64 s[12:13], s[34:35]
	s_cbranch_scc0 .LBB1053_343
; %bb.346:                              ;   in Loop: Header=BB1053_345 Depth=1
                                        ; implicit-def: $sgpr2_sgpr3
	s_mov_b64 s[34:35], s[12:13]
	s_branch .LBB1053_344
.LBB1053_347:
	s_or_b64 exec, exec, s[28:29]
	v_cmp_gt_i64_e64 s[2:3], s[12:13], v[26:27]
	s_nop 1
	v_cndmask_b32_e64 v48, 0, 1, s[2:3]
	s_mov_b32 s2, 0
	v_mov_b32_e32 v49, s2
.LBB1053_348:
	s_or_b64 exec, exec, s[26:27]
                                        ; implicit-def: $vgpr52_vgpr53
.LBB1053_349:
	s_or_saveexec_b64 s[2:3], s[18:19]
	v_mul_u32_u24_e32 v1, 11, v0
	s_xor_b64 exec, exec, s[2:3]
; %bb.350:
	v_cndmask_b32_e32 v49, 0, v53, vcc
	v_cndmask_b32_e32 v48, 0, v52, vcc
; %bb.351:
	s_or_b64 exec, exec, s[2:3]
	v_add_u32_e32 v14, 9, v1
	v_cmp_le_u32_e32 vcc, s10, v14
	s_or_b64 s[2:3], vcc, s[16:17]
	s_xor_b64 s[2:3], s[2:3], -1
	v_mul_lo_u32 v30, v22, s13
	v_mul_lo_u32 v31, v23, s12
                                        ; implicit-def: $vgpr50_vgpr51
	s_and_saveexec_b64 s[4:5], s[2:3]
	s_xor_b64 s[18:19], exec, s[4:5]
	s_cbranch_execz .LBB1053_360
; %bb.352:
	v_mov_b64_e32 v[16:17], s[14:15]
	v_mad_u64_u32 v[14:15], s[2:3], v24, s12, v[16:17]
	v_add3_u32 v15, v29, v15, v28
	v_mad_u64_u32 v[16:17], s[2:3], v22, s12, v[16:17]
	v_add3_u32 v17, v31, v17, v30
	global_load_ubyte v26, v[14:15], off
	global_load_ubyte v27, v[16:17], off
	v_mov_b64_e32 v[50:51], 1
	s_waitcnt vmcnt(1)
	v_cmp_ne_u16_e64 s[2:3], 0, v26
	s_waitcnt vmcnt(0)
	v_cmp_ne_u16_e64 s[4:5], 0, v27
	s_xor_b64 s[2:3], s[2:3], s[4:5]
	s_xor_b64 s[2:3], s[2:3], -1
	s_and_saveexec_b64 s[26:27], s[2:3]
	s_cbranch_execz .LBB1053_359
; %bb.353:
	s_mov_b64 s[34:35], 1
	s_mov_b64 s[28:29], 0
                                        ; implicit-def: $sgpr30_sgpr31
	s_branch .LBB1053_356
.LBB1053_354:                           ;   in Loop: Header=BB1053_356 Depth=1
	v_lshl_add_u64 v[26:27], v[14:15], 0, s[34:35]
	v_lshl_add_u64 v[28:29], v[16:17], 0, s[34:35]
	global_load_ubyte v32, v[26:27], off
	global_load_ubyte v33, v[28:29], off
	s_waitcnt vmcnt(1)
	v_cmp_ne_u16_e64 s[2:3], 0, v32
	s_waitcnt vmcnt(0)
	v_cmp_ne_u16_e64 s[4:5], 0, v33
	s_xor_b64 s[4:5], s[2:3], s[4:5]
	s_add_u32 s2, s34, 1
	s_addc_u32 s3, s35, 0
	s_andn2_b64 s[30:31], s[30:31], exec
	s_and_b64 s[4:5], s[4:5], exec
	s_or_b64 s[30:31], s[30:31], s[4:5]
.LBB1053_355:                           ;   in Loop: Header=BB1053_356 Depth=1
	s_and_b64 s[4:5], exec, s[30:31]
	s_or_b64 s[28:29], s[4:5], s[28:29]
	v_mov_b64_e32 v[26:27], s[34:35]
	s_mov_b64 s[34:35], s[2:3]
	s_andn2_b64 exec, exec, s[28:29]
	s_cbranch_execz .LBB1053_358
.LBB1053_356:                           ; =>This Inner Loop Header: Depth=1
	s_or_b64 s[30:31], s[30:31], exec
	s_cmp_eq_u64 s[12:13], s[34:35]
	s_cbranch_scc0 .LBB1053_354
; %bb.357:                              ;   in Loop: Header=BB1053_356 Depth=1
                                        ; implicit-def: $sgpr2_sgpr3
	s_mov_b64 s[34:35], s[12:13]
	s_branch .LBB1053_355
.LBB1053_358:
	s_or_b64 exec, exec, s[28:29]
	v_cmp_gt_i64_e64 s[2:3], s[12:13], v[26:27]
	s_nop 1
	v_cndmask_b32_e64 v50, 0, 1, s[2:3]
	s_mov_b32 s2, 0
	v_mov_b32_e32 v51, s2
.LBB1053_359:
	s_or_b64 exec, exec, s[26:27]
.LBB1053_360:
	s_andn2_saveexec_b64 s[2:3], s[18:19]
; %bb.361:
	v_cndmask_b32_e32 v51, 0, v25, vcc
	v_cndmask_b32_e32 v50, 0, v24, vcc
; %bb.362:
	s_or_b64 exec, exec, s[2:3]
	v_add_u32_e32 v14, 8, v1
	v_cmp_le_u32_e32 vcc, s10, v14
	s_or_b64 s[2:3], vcc, s[16:17]
	s_xor_b64 s[2:3], s[2:3], -1
	v_mul_lo_u32 v26, v20, s13
	v_mul_lo_u32 v27, v21, s12
	s_and_saveexec_b64 s[4:5], s[2:3]
	s_xor_b64 s[18:19], exec, s[4:5]
                                        ; implicit-def: $vgpr14_vgpr15_vgpr16_vgpr17
	s_cbranch_execz .LBB1053_371
; %bb.363:
	v_mov_b64_e32 v[14:15], s[14:15]
	v_mad_u64_u32 v[16:17], s[2:3], v22, s12, v[14:15]
	v_add3_u32 v17, v31, v17, v30
	v_mad_u64_u32 v[22:23], s[2:3], v20, s12, v[14:15]
	v_add3_u32 v23, v27, v23, v26
	global_load_ubyte v14, v[16:17], off
	global_load_ubyte v15, v[22:23], off
	s_waitcnt vmcnt(1)
	v_cmp_ne_u16_e64 s[2:3], 0, v14
	s_waitcnt vmcnt(0)
	v_cmp_ne_u16_e64 s[4:5], 0, v15
	s_xor_b64 s[2:3], s[2:3], s[4:5]
	s_xor_b64 s[2:3], s[2:3], -1
	v_mov_b64_e32 v[14:15], 1
	s_and_saveexec_b64 s[26:27], s[2:3]
	s_cbranch_execz .LBB1053_370
; %bb.364:
	s_mov_b64 s[34:35], 1
	s_mov_b64 s[28:29], 0
                                        ; implicit-def: $sgpr30_sgpr31
	s_branch .LBB1053_367
.LBB1053_365:                           ;   in Loop: Header=BB1053_367 Depth=1
	v_lshl_add_u64 v[14:15], v[16:17], 0, s[34:35]
	v_lshl_add_u64 v[24:25], v[22:23], 0, s[34:35]
	global_load_ubyte v28, v[14:15], off
	global_load_ubyte v29, v[24:25], off
	s_waitcnt vmcnt(1)
	v_cmp_ne_u16_e64 s[2:3], 0, v28
	s_waitcnt vmcnt(0)
	v_cmp_ne_u16_e64 s[4:5], 0, v29
	s_xor_b64 s[4:5], s[2:3], s[4:5]
	s_add_u32 s2, s34, 1
	s_addc_u32 s3, s35, 0
	s_andn2_b64 s[30:31], s[30:31], exec
	s_and_b64 s[4:5], s[4:5], exec
	s_or_b64 s[30:31], s[30:31], s[4:5]
.LBB1053_366:                           ;   in Loop: Header=BB1053_367 Depth=1
	s_and_b64 s[4:5], exec, s[30:31]
	s_or_b64 s[28:29], s[4:5], s[28:29]
	v_mov_b64_e32 v[14:15], s[34:35]
	s_mov_b64 s[34:35], s[2:3]
	s_andn2_b64 exec, exec, s[28:29]
	s_cbranch_execz .LBB1053_369
.LBB1053_367:                           ; =>This Inner Loop Header: Depth=1
	s_or_b64 s[30:31], s[30:31], exec
	s_cmp_eq_u64 s[12:13], s[34:35]
	s_cbranch_scc0 .LBB1053_365
; %bb.368:                              ;   in Loop: Header=BB1053_367 Depth=1
                                        ; implicit-def: $sgpr2_sgpr3
	s_mov_b64 s[34:35], s[12:13]
	s_branch .LBB1053_366
.LBB1053_369:
	s_or_b64 exec, exec, s[28:29]
	v_cmp_gt_i64_e64 s[2:3], s[12:13], v[14:15]
	s_nop 1
	v_cndmask_b32_e64 v14, 0, 1, s[2:3]
	s_mov_b32 s2, 0
	v_mov_b32_e32 v15, s2
.LBB1053_370:
	s_or_b64 exec, exec, s[26:27]
                                        ; implicit-def: $vgpr22_vgpr23_vgpr24_vgpr25
.LBB1053_371:
	s_andn2_saveexec_b64 s[2:3], s[18:19]
; %bb.372:
	v_cndmask_b32_e32 v15, 0, v23, vcc
	v_cndmask_b32_e32 v14, 0, v22, vcc
; %bb.373:
	s_or_b64 exec, exec, s[2:3]
	v_add_u32_e32 v16, 7, v1
	v_cmp_le_u32_e32 vcc, s10, v16
	s_or_b64 s[2:3], vcc, s[16:17]
	s_xor_b64 s[2:3], s[2:3], -1
	v_mul_lo_u32 v34, v18, s13
	v_mul_lo_u32 v35, v19, s12
                                        ; implicit-def: $vgpr28_vgpr29
	s_and_saveexec_b64 s[4:5], s[2:3]
	s_xor_b64 s[18:19], exec, s[4:5]
	s_cbranch_execz .LBB1053_382
; %bb.374:
	v_mov_b64_e32 v[22:23], s[14:15]
	v_mad_u64_u32 v[16:17], s[2:3], v20, s12, v[22:23]
	v_add3_u32 v17, v27, v17, v26
	v_mad_u64_u32 v[22:23], s[2:3], v18, s12, v[22:23]
	v_add3_u32 v23, v35, v23, v34
	global_load_ubyte v24, v[16:17], off
	global_load_ubyte v25, v[22:23], off
	v_mov_b64_e32 v[28:29], 1
	s_waitcnt vmcnt(1)
	v_cmp_ne_u16_e64 s[2:3], 0, v24
	s_waitcnt vmcnt(0)
	v_cmp_ne_u16_e64 s[4:5], 0, v25
	s_xor_b64 s[2:3], s[2:3], s[4:5]
	s_xor_b64 s[2:3], s[2:3], -1
	s_and_saveexec_b64 s[26:27], s[2:3]
	s_cbranch_execz .LBB1053_381
; %bb.375:
	s_mov_b64 s[34:35], 1
	s_mov_b64 s[28:29], 0
                                        ; implicit-def: $sgpr30_sgpr31
	s_branch .LBB1053_378
.LBB1053_376:                           ;   in Loop: Header=BB1053_378 Depth=1
	v_lshl_add_u64 v[24:25], v[16:17], 0, s[34:35]
	v_lshl_add_u64 v[26:27], v[22:23], 0, s[34:35]
	global_load_ubyte v28, v[24:25], off
	global_load_ubyte v29, v[26:27], off
	s_waitcnt vmcnt(1)
	v_cmp_ne_u16_e64 s[2:3], 0, v28
	s_waitcnt vmcnt(0)
	v_cmp_ne_u16_e64 s[4:5], 0, v29
	s_xor_b64 s[4:5], s[2:3], s[4:5]
	s_add_u32 s2, s34, 1
	s_addc_u32 s3, s35, 0
	s_andn2_b64 s[30:31], s[30:31], exec
	s_and_b64 s[4:5], s[4:5], exec
	s_or_b64 s[30:31], s[30:31], s[4:5]
.LBB1053_377:                           ;   in Loop: Header=BB1053_378 Depth=1
	s_and_b64 s[4:5], exec, s[30:31]
	s_or_b64 s[28:29], s[4:5], s[28:29]
	v_mov_b64_e32 v[24:25], s[34:35]
	s_mov_b64 s[34:35], s[2:3]
	s_andn2_b64 exec, exec, s[28:29]
	s_cbranch_execz .LBB1053_380
.LBB1053_378:                           ; =>This Inner Loop Header: Depth=1
	s_or_b64 s[30:31], s[30:31], exec
	s_cmp_eq_u64 s[12:13], s[34:35]
	s_cbranch_scc0 .LBB1053_376
; %bb.379:                              ;   in Loop: Header=BB1053_378 Depth=1
                                        ; implicit-def: $sgpr2_sgpr3
	s_mov_b64 s[34:35], s[12:13]
	s_branch .LBB1053_377
.LBB1053_380:
	s_or_b64 exec, exec, s[28:29]
	v_cmp_gt_i64_e64 s[2:3], s[12:13], v[24:25]
	s_nop 1
	v_cndmask_b32_e64 v28, 0, 1, s[2:3]
	s_mov_b32 s2, 0
	v_mov_b32_e32 v29, s2
.LBB1053_381:
	s_or_b64 exec, exec, s[26:27]
.LBB1053_382:
	s_andn2_saveexec_b64 s[2:3], s[18:19]
; %bb.383:
	v_cndmask_b32_e32 v29, 0, v21, vcc
	v_cndmask_b32_e32 v28, 0, v20, vcc
; %bb.384:
	s_or_b64 exec, exec, s[2:3]
	v_add_u32_e32 v16, 6, v1
	v_cmp_le_u32_e32 vcc, s10, v16
	s_or_b64 s[2:3], vcc, s[16:17]
	s_xor_b64 s[2:3], s[2:3], -1
	v_mul_lo_u32 v22, v12, s13
	v_mul_lo_u32 v23, v13, s12
	s_and_saveexec_b64 s[4:5], s[2:3]
	s_xor_b64 s[18:19], exec, s[4:5]
                                        ; implicit-def: $vgpr30_vgpr31_vgpr32_vgpr33
	s_cbranch_execz .LBB1053_393
; %bb.385:
	v_mov_b64_e32 v[20:21], s[14:15]
	v_mad_u64_u32 v[16:17], s[2:3], v18, s12, v[20:21]
	v_add3_u32 v17, v35, v17, v34
	v_mad_u64_u32 v[18:19], s[2:3], v12, s12, v[20:21]
	v_add3_u32 v19, v23, v19, v22
	global_load_ubyte v20, v[16:17], off
	global_load_ubyte v21, v[18:19], off
	v_mov_b64_e32 v[30:31], 1
	s_waitcnt vmcnt(1)
	v_cmp_ne_u16_e64 s[2:3], 0, v20
	s_waitcnt vmcnt(0)
	v_cmp_ne_u16_e64 s[4:5], 0, v21
	s_xor_b64 s[2:3], s[2:3], s[4:5]
	s_xor_b64 s[2:3], s[2:3], -1
	s_and_saveexec_b64 s[26:27], s[2:3]
	s_cbranch_execz .LBB1053_392
; %bb.386:
	s_mov_b64 s[34:35], 1
	s_mov_b64 s[28:29], 0
                                        ; implicit-def: $sgpr30_sgpr31
	s_branch .LBB1053_389
.LBB1053_387:                           ;   in Loop: Header=BB1053_389 Depth=1
	v_lshl_add_u64 v[20:21], v[16:17], 0, s[34:35]
	v_lshl_add_u64 v[24:25], v[18:19], 0, s[34:35]
	global_load_ubyte v26, v[20:21], off
	global_load_ubyte v27, v[24:25], off
	s_waitcnt vmcnt(1)
	v_cmp_ne_u16_e64 s[2:3], 0, v26
	s_waitcnt vmcnt(0)
	v_cmp_ne_u16_e64 s[4:5], 0, v27
	s_xor_b64 s[4:5], s[2:3], s[4:5]
	s_add_u32 s2, s34, 1
	s_addc_u32 s3, s35, 0
	s_andn2_b64 s[30:31], s[30:31], exec
	s_and_b64 s[4:5], s[4:5], exec
	s_or_b64 s[30:31], s[30:31], s[4:5]
.LBB1053_388:                           ;   in Loop: Header=BB1053_389 Depth=1
	s_and_b64 s[4:5], exec, s[30:31]
	s_or_b64 s[28:29], s[4:5], s[28:29]
	v_mov_b64_e32 v[20:21], s[34:35]
	s_mov_b64 s[34:35], s[2:3]
	s_andn2_b64 exec, exec, s[28:29]
	s_cbranch_execz .LBB1053_391
.LBB1053_389:                           ; =>This Inner Loop Header: Depth=1
	s_or_b64 s[30:31], s[30:31], exec
	s_cmp_eq_u64 s[12:13], s[34:35]
	s_cbranch_scc0 .LBB1053_387
; %bb.390:                              ;   in Loop: Header=BB1053_389 Depth=1
                                        ; implicit-def: $sgpr2_sgpr3
	s_mov_b64 s[34:35], s[12:13]
	s_branch .LBB1053_388
.LBB1053_391:
	s_or_b64 exec, exec, s[28:29]
	v_cmp_gt_i64_e64 s[2:3], s[12:13], v[20:21]
	s_nop 1
	v_cndmask_b32_e64 v30, 0, 1, s[2:3]
	s_mov_b32 s2, 0
	v_mov_b32_e32 v31, s2
.LBB1053_392:
	s_or_b64 exec, exec, s[26:27]
                                        ; implicit-def: $vgpr18_vgpr19_vgpr20_vgpr21
.LBB1053_393:
	s_andn2_saveexec_b64 s[2:3], s[18:19]
; %bb.394:
	v_cndmask_b32_e32 v31, 0, v19, vcc
	v_cndmask_b32_e32 v30, 0, v18, vcc
; %bb.395:
	s_or_b64 exec, exec, s[2:3]
	v_add_u32_e32 v16, 5, v1
	v_cmp_le_u32_e32 vcc, s10, v16
	s_or_b64 s[2:3], vcc, s[16:17]
	s_xor_b64 s[2:3], s[2:3], -1
	v_mul_lo_u32 v24, v10, s13
	v_mul_lo_u32 v25, v11, s12
                                        ; implicit-def: $vgpr34_vgpr35
	s_and_saveexec_b64 s[4:5], s[2:3]
	s_xor_b64 s[18:19], exec, s[4:5]
	s_cbranch_execz .LBB1053_404
; %bb.396:
	v_mov_b64_e32 v[18:19], s[14:15]
	v_mad_u64_u32 v[16:17], s[2:3], v12, s12, v[18:19]
	v_add3_u32 v17, v23, v17, v22
	v_mad_u64_u32 v[18:19], s[2:3], v10, s12, v[18:19]
	v_add3_u32 v19, v25, v19, v24
	global_load_ubyte v20, v[16:17], off
	global_load_ubyte v21, v[18:19], off
	v_mov_b64_e32 v[34:35], 1
	s_waitcnt vmcnt(1)
	v_cmp_ne_u16_e64 s[2:3], 0, v20
	s_waitcnt vmcnt(0)
	v_cmp_ne_u16_e64 s[4:5], 0, v21
	s_xor_b64 s[2:3], s[2:3], s[4:5]
	s_xor_b64 s[2:3], s[2:3], -1
	s_and_saveexec_b64 s[26:27], s[2:3]
	s_cbranch_execz .LBB1053_403
; %bb.397:
	s_mov_b64 s[34:35], 1
	s_mov_b64 s[28:29], 0
                                        ; implicit-def: $sgpr30_sgpr31
	s_branch .LBB1053_400
.LBB1053_398:                           ;   in Loop: Header=BB1053_400 Depth=1
	v_lshl_add_u64 v[20:21], v[16:17], 0, s[34:35]
	v_lshl_add_u64 v[22:23], v[18:19], 0, s[34:35]
	global_load_ubyte v26, v[20:21], off
	global_load_ubyte v27, v[22:23], off
	s_waitcnt vmcnt(1)
	v_cmp_ne_u16_e64 s[2:3], 0, v26
	s_waitcnt vmcnt(0)
	v_cmp_ne_u16_e64 s[4:5], 0, v27
	s_xor_b64 s[4:5], s[2:3], s[4:5]
	s_add_u32 s2, s34, 1
	s_addc_u32 s3, s35, 0
	s_andn2_b64 s[30:31], s[30:31], exec
	s_and_b64 s[4:5], s[4:5], exec
	s_or_b64 s[30:31], s[30:31], s[4:5]
.LBB1053_399:                           ;   in Loop: Header=BB1053_400 Depth=1
	s_and_b64 s[4:5], exec, s[30:31]
	s_or_b64 s[28:29], s[4:5], s[28:29]
	v_mov_b64_e32 v[20:21], s[34:35]
	s_mov_b64 s[34:35], s[2:3]
	s_andn2_b64 exec, exec, s[28:29]
	s_cbranch_execz .LBB1053_402
.LBB1053_400:                           ; =>This Inner Loop Header: Depth=1
	s_or_b64 s[30:31], s[30:31], exec
	s_cmp_eq_u64 s[12:13], s[34:35]
	s_cbranch_scc0 .LBB1053_398
; %bb.401:                              ;   in Loop: Header=BB1053_400 Depth=1
                                        ; implicit-def: $sgpr2_sgpr3
	s_mov_b64 s[34:35], s[12:13]
	s_branch .LBB1053_399
.LBB1053_402:
	s_or_b64 exec, exec, s[28:29]
	v_cmp_gt_i64_e64 s[2:3], s[12:13], v[20:21]
	s_nop 1
	v_cndmask_b32_e64 v34, 0, 1, s[2:3]
	s_mov_b32 s2, 0
	v_mov_b32_e32 v35, s2
.LBB1053_403:
	s_or_b64 exec, exec, s[26:27]
.LBB1053_404:
	s_andn2_saveexec_b64 s[2:3], s[18:19]
; %bb.405:
	v_cndmask_b32_e32 v35, 0, v13, vcc
	v_cndmask_b32_e32 v34, 0, v12, vcc
; %bb.406:
	s_or_b64 exec, exec, s[2:3]
	v_add_u32_e32 v12, 4, v1
	v_cmp_le_u32_e32 vcc, s10, v12
	s_or_b64 s[2:3], vcc, s[16:17]
	s_xor_b64 s[2:3], s[2:3], -1
	v_mul_lo_u32 v18, v8, s13
	v_mul_lo_u32 v19, v9, s12
	s_and_saveexec_b64 s[4:5], s[2:3]
	s_xor_b64 s[18:19], exec, s[4:5]
                                        ; implicit-def: $vgpr36_vgpr37_vgpr38_vgpr39
	s_cbranch_execz .LBB1053_415
; %bb.407:
	v_mov_b64_e32 v[12:13], s[14:15]
	v_mad_u64_u32 v[10:11], s[2:3], v10, s12, v[12:13]
	v_add3_u32 v11, v25, v11, v24
	v_mad_u64_u32 v[12:13], s[2:3], v8, s12, v[12:13]
	v_add3_u32 v13, v19, v13, v18
	global_load_ubyte v16, v[10:11], off
	global_load_ubyte v17, v[12:13], off
	v_mov_b64_e32 v[36:37], 1
	s_waitcnt vmcnt(1)
	v_cmp_ne_u16_e64 s[2:3], 0, v16
	s_waitcnt vmcnt(0)
	v_cmp_ne_u16_e64 s[4:5], 0, v17
	s_xor_b64 s[2:3], s[2:3], s[4:5]
	s_xor_b64 s[2:3], s[2:3], -1
	s_and_saveexec_b64 s[26:27], s[2:3]
	s_cbranch_execz .LBB1053_414
; %bb.408:
	s_mov_b64 s[34:35], 1
	s_mov_b64 s[28:29], 0
                                        ; implicit-def: $sgpr30_sgpr31
	s_branch .LBB1053_411
.LBB1053_409:                           ;   in Loop: Header=BB1053_411 Depth=1
	v_lshl_add_u64 v[16:17], v[10:11], 0, s[34:35]
	v_lshl_add_u64 v[20:21], v[12:13], 0, s[34:35]
	global_load_ubyte v22, v[16:17], off
	global_load_ubyte v23, v[20:21], off
	s_waitcnt vmcnt(1)
	v_cmp_ne_u16_e64 s[2:3], 0, v22
	s_waitcnt vmcnt(0)
	v_cmp_ne_u16_e64 s[4:5], 0, v23
	s_xor_b64 s[4:5], s[2:3], s[4:5]
	s_add_u32 s2, s34, 1
	s_addc_u32 s3, s35, 0
	s_andn2_b64 s[30:31], s[30:31], exec
	s_and_b64 s[4:5], s[4:5], exec
	s_or_b64 s[30:31], s[30:31], s[4:5]
.LBB1053_410:                           ;   in Loop: Header=BB1053_411 Depth=1
	s_and_b64 s[4:5], exec, s[30:31]
	s_or_b64 s[28:29], s[4:5], s[28:29]
	v_mov_b64_e32 v[16:17], s[34:35]
	s_mov_b64 s[34:35], s[2:3]
	s_andn2_b64 exec, exec, s[28:29]
	s_cbranch_execz .LBB1053_413
.LBB1053_411:                           ; =>This Inner Loop Header: Depth=1
	s_or_b64 s[30:31], s[30:31], exec
	s_cmp_eq_u64 s[12:13], s[34:35]
	s_cbranch_scc0 .LBB1053_409
; %bb.412:                              ;   in Loop: Header=BB1053_411 Depth=1
                                        ; implicit-def: $sgpr2_sgpr3
	s_mov_b64 s[34:35], s[12:13]
	s_branch .LBB1053_410
.LBB1053_413:
	s_or_b64 exec, exec, s[28:29]
	v_cmp_gt_i64_e64 s[2:3], s[12:13], v[16:17]
	s_nop 1
	v_cndmask_b32_e64 v36, 0, 1, s[2:3]
	s_mov_b32 s2, 0
	v_mov_b32_e32 v37, s2
.LBB1053_414:
	s_or_b64 exec, exec, s[26:27]
                                        ; implicit-def: $vgpr10_vgpr11_vgpr12_vgpr13
.LBB1053_415:
	s_andn2_saveexec_b64 s[2:3], s[18:19]
; %bb.416:
	v_cndmask_b32_e32 v37, 0, v11, vcc
	v_cndmask_b32_e32 v36, 0, v10, vcc
; %bb.417:
	s_or_b64 exec, exec, s[2:3]
	v_add_u32_e32 v10, 3, v1
	v_cmp_le_u32_e32 vcc, s10, v10
	s_or_b64 s[2:3], vcc, s[16:17]
	s_xor_b64 s[2:3], s[2:3], -1
	v_mul_lo_u32 v20, v6, s13
	v_mul_lo_u32 v21, v7, s12
                                        ; implicit-def: $vgpr40_vgpr41
	s_and_saveexec_b64 s[4:5], s[2:3]
	s_xor_b64 s[18:19], exec, s[4:5]
	s_cbranch_execz .LBB1053_426
; %bb.418:
	v_mov_b64_e32 v[12:13], s[14:15]
	v_mad_u64_u32 v[10:11], s[2:3], v8, s12, v[12:13]
	v_add3_u32 v11, v19, v11, v18
	v_mad_u64_u32 v[12:13], s[2:3], v6, s12, v[12:13]
	v_add3_u32 v13, v21, v13, v20
	global_load_ubyte v16, v[10:11], off
	global_load_ubyte v17, v[12:13], off
	v_mov_b64_e32 v[40:41], 1
	s_waitcnt vmcnt(1)
	v_cmp_ne_u16_e64 s[2:3], 0, v16
	s_waitcnt vmcnt(0)
	v_cmp_ne_u16_e64 s[4:5], 0, v17
	s_xor_b64 s[2:3], s[2:3], s[4:5]
	s_xor_b64 s[2:3], s[2:3], -1
	s_and_saveexec_b64 s[26:27], s[2:3]
	s_cbranch_execz .LBB1053_425
; %bb.419:
	s_mov_b64 s[34:35], 1
	s_mov_b64 s[28:29], 0
                                        ; implicit-def: $sgpr30_sgpr31
	s_branch .LBB1053_422
.LBB1053_420:                           ;   in Loop: Header=BB1053_422 Depth=1
	v_lshl_add_u64 v[16:17], v[10:11], 0, s[34:35]
	v_lshl_add_u64 v[18:19], v[12:13], 0, s[34:35]
	global_load_ubyte v22, v[16:17], off
	global_load_ubyte v23, v[18:19], off
	s_waitcnt vmcnt(1)
	v_cmp_ne_u16_e64 s[2:3], 0, v22
	s_waitcnt vmcnt(0)
	v_cmp_ne_u16_e64 s[4:5], 0, v23
	s_xor_b64 s[4:5], s[2:3], s[4:5]
	s_add_u32 s2, s34, 1
	s_addc_u32 s3, s35, 0
	s_andn2_b64 s[30:31], s[30:31], exec
	s_and_b64 s[4:5], s[4:5], exec
	s_or_b64 s[30:31], s[30:31], s[4:5]
.LBB1053_421:                           ;   in Loop: Header=BB1053_422 Depth=1
	s_and_b64 s[4:5], exec, s[30:31]
	s_or_b64 s[28:29], s[4:5], s[28:29]
	v_mov_b64_e32 v[16:17], s[34:35]
	s_mov_b64 s[34:35], s[2:3]
	s_andn2_b64 exec, exec, s[28:29]
	s_cbranch_execz .LBB1053_424
.LBB1053_422:                           ; =>This Inner Loop Header: Depth=1
	s_or_b64 s[30:31], s[30:31], exec
	s_cmp_eq_u64 s[12:13], s[34:35]
	s_cbranch_scc0 .LBB1053_420
; %bb.423:                              ;   in Loop: Header=BB1053_422 Depth=1
                                        ; implicit-def: $sgpr2_sgpr3
	s_mov_b64 s[34:35], s[12:13]
	s_branch .LBB1053_421
.LBB1053_424:
	s_or_b64 exec, exec, s[28:29]
	v_cmp_gt_i64_e64 s[2:3], s[12:13], v[16:17]
	s_nop 1
	v_cndmask_b32_e64 v40, 0, 1, s[2:3]
	s_mov_b32 s2, 0
	v_mov_b32_e32 v41, s2
.LBB1053_425:
	s_or_b64 exec, exec, s[26:27]
.LBB1053_426:
	s_andn2_saveexec_b64 s[2:3], s[18:19]
; %bb.427:
	v_cndmask_b32_e32 v41, 0, v9, vcc
	v_cndmask_b32_e32 v40, 0, v8, vcc
; %bb.428:
	s_or_b64 exec, exec, s[2:3]
	v_add_u32_e32 v8, 2, v1
	v_cmp_le_u32_e32 vcc, s10, v8
	s_or_b64 s[2:3], vcc, s[16:17]
	s_xor_b64 s[2:3], s[2:3], -1
	v_mul_lo_u32 v12, v4, s13
	v_mul_lo_u32 v13, v5, s12
	s_and_saveexec_b64 s[4:5], s[2:3]
	s_xor_b64 s[18:19], exec, s[4:5]
                                        ; implicit-def: $vgpr42_vgpr43_vgpr44_vgpr45
	s_cbranch_execz .LBB1053_437
; %bb.429:
	v_mov_b64_e32 v[8:9], s[14:15]
	v_mad_u64_u32 v[6:7], s[2:3], v6, s12, v[8:9]
	v_add3_u32 v7, v21, v7, v20
	v_mad_u64_u32 v[8:9], s[2:3], v4, s12, v[8:9]
	v_add3_u32 v9, v13, v9, v12
	global_load_ubyte v10, v[6:7], off
	global_load_ubyte v11, v[8:9], off
	v_mov_b64_e32 v[42:43], 1
	s_waitcnt vmcnt(1)
	v_cmp_ne_u16_e64 s[2:3], 0, v10
	s_waitcnt vmcnt(0)
	v_cmp_ne_u16_e64 s[4:5], 0, v11
	s_xor_b64 s[2:3], s[2:3], s[4:5]
	s_xor_b64 s[2:3], s[2:3], -1
	s_and_saveexec_b64 s[26:27], s[2:3]
	s_cbranch_execz .LBB1053_436
; %bb.430:
	s_mov_b64 s[34:35], 1
	s_mov_b64 s[28:29], 0
                                        ; implicit-def: $sgpr30_sgpr31
	s_branch .LBB1053_433
.LBB1053_431:                           ;   in Loop: Header=BB1053_433 Depth=1
	v_lshl_add_u64 v[10:11], v[6:7], 0, s[34:35]
	v_lshl_add_u64 v[16:17], v[8:9], 0, s[34:35]
	global_load_ubyte v18, v[10:11], off
	global_load_ubyte v19, v[16:17], off
	s_waitcnt vmcnt(1)
	v_cmp_ne_u16_e64 s[2:3], 0, v18
	s_waitcnt vmcnt(0)
	v_cmp_ne_u16_e64 s[4:5], 0, v19
	s_xor_b64 s[4:5], s[2:3], s[4:5]
	s_add_u32 s2, s34, 1
	s_addc_u32 s3, s35, 0
	s_andn2_b64 s[30:31], s[30:31], exec
	s_and_b64 s[4:5], s[4:5], exec
	s_or_b64 s[30:31], s[30:31], s[4:5]
.LBB1053_432:                           ;   in Loop: Header=BB1053_433 Depth=1
	s_and_b64 s[4:5], exec, s[30:31]
	s_or_b64 s[28:29], s[4:5], s[28:29]
	v_mov_b64_e32 v[10:11], s[34:35]
	s_mov_b64 s[34:35], s[2:3]
	s_andn2_b64 exec, exec, s[28:29]
	s_cbranch_execz .LBB1053_435
.LBB1053_433:                           ; =>This Inner Loop Header: Depth=1
	s_or_b64 s[30:31], s[30:31], exec
	s_cmp_eq_u64 s[12:13], s[34:35]
	s_cbranch_scc0 .LBB1053_431
; %bb.434:                              ;   in Loop: Header=BB1053_433 Depth=1
                                        ; implicit-def: $sgpr2_sgpr3
	s_mov_b64 s[34:35], s[12:13]
	s_branch .LBB1053_432
.LBB1053_435:
	s_or_b64 exec, exec, s[28:29]
	v_cmp_gt_i64_e64 s[2:3], s[12:13], v[10:11]
	s_nop 1
	v_cndmask_b32_e64 v42, 0, 1, s[2:3]
	s_mov_b32 s2, 0
	v_mov_b32_e32 v43, s2
.LBB1053_436:
	s_or_b64 exec, exec, s[26:27]
                                        ; implicit-def: $vgpr6_vgpr7_vgpr8_vgpr9
.LBB1053_437:
	s_andn2_saveexec_b64 s[2:3], s[18:19]
; %bb.438:
	v_cndmask_b32_e32 v43, 0, v7, vcc
	v_cndmask_b32_e32 v42, 0, v6, vcc
; %bb.439:
	s_or_b64 exec, exec, s[2:3]
	v_add_u32_e32 v6, 1, v1
	v_cmp_le_u32_e32 vcc, s10, v6
	s_or_b64 s[2:3], vcc, s[16:17]
	s_xor_b64 s[2:3], s[2:3], -1
                                        ; implicit-def: $vgpr44_vgpr45
	s_and_saveexec_b64 s[4:5], s[2:3]
	s_xor_b64 s[16:17], exec, s[4:5]
	s_cbranch_execz .LBB1053_448
; %bb.440:
	v_mov_b64_e32 v[8:9], s[14:15]
	v_mad_u64_u32 v[6:7], s[2:3], v4, s12, v[8:9]
	v_add3_u32 v7, v13, v7, v12
	v_mad_u64_u32 v[8:9], s[2:3], v2, s12, v[8:9]
	v_mul_lo_u32 v10, v2, s13
	v_mul_lo_u32 v11, v3, s12
	v_add3_u32 v9, v11, v9, v10
	global_load_ubyte v10, v[6:7], off
	global_load_ubyte v11, v[8:9], off
	v_mov_b64_e32 v[44:45], 1
	s_waitcnt vmcnt(1)
	v_cmp_ne_u16_e64 s[2:3], 0, v10
	s_waitcnt vmcnt(0)
	v_cmp_ne_u16_e64 s[4:5], 0, v11
	s_xor_b64 s[2:3], s[2:3], s[4:5]
	s_xor_b64 s[2:3], s[2:3], -1
	s_and_saveexec_b64 s[18:19], s[2:3]
	s_cbranch_execz .LBB1053_447
; %bb.441:
	s_mov_b64 s[30:31], 1
	s_mov_b64 s[26:27], 0
                                        ; implicit-def: $sgpr28_sgpr29
	s_branch .LBB1053_444
.LBB1053_442:                           ;   in Loop: Header=BB1053_444 Depth=1
	v_lshl_add_u64 v[10:11], v[6:7], 0, s[30:31]
	v_lshl_add_u64 v[12:13], v[8:9], 0, s[30:31]
	global_load_ubyte v16, v[10:11], off
	global_load_ubyte v17, v[12:13], off
	s_waitcnt vmcnt(1)
	v_cmp_ne_u16_e64 s[2:3], 0, v16
	s_waitcnt vmcnt(0)
	v_cmp_ne_u16_e64 s[4:5], 0, v17
	s_xor_b64 s[4:5], s[2:3], s[4:5]
	s_add_u32 s2, s30, 1
	s_addc_u32 s3, s31, 0
	s_andn2_b64 s[28:29], s[28:29], exec
	s_and_b64 s[4:5], s[4:5], exec
	s_or_b64 s[28:29], s[28:29], s[4:5]
.LBB1053_443:                           ;   in Loop: Header=BB1053_444 Depth=1
	s_and_b64 s[4:5], exec, s[28:29]
	s_or_b64 s[26:27], s[4:5], s[26:27]
	v_mov_b64_e32 v[10:11], s[30:31]
	s_mov_b64 s[30:31], s[2:3]
	s_andn2_b64 exec, exec, s[26:27]
	s_cbranch_execz .LBB1053_446
.LBB1053_444:                           ; =>This Inner Loop Header: Depth=1
	s_or_b64 s[28:29], s[28:29], exec
	s_cmp_eq_u64 s[12:13], s[30:31]
	s_cbranch_scc0 .LBB1053_442
; %bb.445:                              ;   in Loop: Header=BB1053_444 Depth=1
                                        ; implicit-def: $sgpr2_sgpr3
	s_mov_b64 s[30:31], s[12:13]
	s_branch .LBB1053_443
.LBB1053_446:
	s_or_b64 exec, exec, s[26:27]
	v_cmp_gt_i64_e64 s[2:3], s[12:13], v[10:11]
	s_nop 1
	v_cndmask_b32_e64 v44, 0, 1, s[2:3]
	s_mov_b32 s2, 0
	v_mov_b32_e32 v45, s2
.LBB1053_447:
	s_or_b64 exec, exec, s[18:19]
.LBB1053_448:
	s_andn2_saveexec_b64 s[2:3], s[16:17]
; %bb.449:
	v_cndmask_b32_e32 v45, 0, v5, vcc
	v_cndmask_b32_e32 v44, 0, v4, vcc
; %bb.450:
	s_or_b64 exec, exec, s[2:3]
	v_cmp_ne_u32_e32 vcc, 0, v0
	v_cmp_gt_u32_e64 s[2:3], s10, v1
	s_and_b64 s[2:3], vcc, s[2:3]
	s_waitcnt lgkmcnt(0)
	s_barrier
	s_waitcnt lgkmcnt(0)
                                        ; implicit-def: $sgpr4_sgpr5
	s_and_saveexec_b64 s[16:17], s[2:3]
	s_cbranch_execz .LBB1053_461
; %bb.451:
	s_andn2_b64 vcc, exec, s[6:7]
	s_mov_b64 s[2:3], 0
	s_cbranch_vccnz .LBB1053_460
; %bb.452:
	v_add_u32_e32 v1, -8, v46
	ds_read_b64 v[6:7], v1
	v_mov_b64_e32 v[8:9], s[14:15]
	v_mad_u64_u32 v[4:5], s[2:3], v2, s12, v[8:9]
	v_mul_lo_u32 v1, v2, s13
	v_mul_lo_u32 v2, v3, s12
	v_add3_u32 v5, v2, v5, v1
	s_waitcnt lgkmcnt(0)
	v_mul_lo_u32 v1, v6, s13
	v_mul_lo_u32 v7, v7, s12
	v_mad_u64_u32 v[2:3], s[2:3], v6, s12, v[8:9]
	v_add3_u32 v3, v7, v3, v1
	global_load_ubyte v1, v[4:5], off
	global_load_ubyte v6, v[2:3], off
	s_waitcnt vmcnt(1)
	v_cmp_ne_u16_e32 vcc, 0, v1
	s_waitcnt vmcnt(0)
	v_cmp_ne_u16_e64 s[2:3], 0, v6
	s_xor_b64 s[4:5], vcc, s[2:3]
	s_mov_b64 s[2:3], -1
	s_xor_b64 s[6:7], s[4:5], -1
	s_and_saveexec_b64 s[4:5], s[6:7]
	s_cbranch_execz .LBB1053_459
; %bb.453:
	s_mov_b64 s[18:19], 1
	s_mov_b64 s[6:7], 0
                                        ; implicit-def: $sgpr14_sgpr15
	s_branch .LBB1053_456
.LBB1053_454:                           ;   in Loop: Header=BB1053_456 Depth=1
	v_lshl_add_u64 v[6:7], v[4:5], 0, s[18:19]
	v_lshl_add_u64 v[8:9], v[2:3], 0, s[18:19]
	global_load_ubyte v1, v[6:7], off
	global_load_ubyte v10, v[8:9], off
	s_waitcnt vmcnt(1)
	v_cmp_ne_u16_e32 vcc, 0, v1
	s_waitcnt vmcnt(0)
	v_cmp_ne_u16_e64 s[2:3], 0, v10
	s_xor_b64 s[26:27], vcc, s[2:3]
	s_add_u32 s2, s18, 1
	s_addc_u32 s3, s19, 0
	s_andn2_b64 s[14:15], s[14:15], exec
	s_and_b64 s[26:27], s[26:27], exec
	s_or_b64 s[14:15], s[14:15], s[26:27]
.LBB1053_455:                           ;   in Loop: Header=BB1053_456 Depth=1
	s_and_b64 s[26:27], exec, s[14:15]
	s_or_b64 s[6:7], s[26:27], s[6:7]
	v_mov_b64_e32 v[6:7], s[18:19]
	s_mov_b64 s[18:19], s[2:3]
	s_andn2_b64 exec, exec, s[6:7]
	s_cbranch_execz .LBB1053_458
.LBB1053_456:                           ; =>This Inner Loop Header: Depth=1
	s_or_b64 s[14:15], s[14:15], exec
	s_cmp_eq_u64 s[12:13], s[18:19]
	s_cbranch_scc0 .LBB1053_454
; %bb.457:                              ;   in Loop: Header=BB1053_456 Depth=1
                                        ; implicit-def: $sgpr2_sgpr3
	s_mov_b64 s[18:19], s[12:13]
	s_branch .LBB1053_455
.LBB1053_458:
	s_or_b64 exec, exec, s[6:7]
	v_cmp_gt_i64_e32 vcc, s[12:13], v[6:7]
	s_orn2_b64 s[2:3], vcc, exec
.LBB1053_459:
	s_or_b64 exec, exec, s[4:5]
.LBB1053_460:
	s_and_b64 s[4:5], s[2:3], exec
	s_or_b64 s[24:25], s[24:25], exec
                                        ; implicit-def: $vgpr2_vgpr3
.LBB1053_461:
	s_or_b64 exec, exec, s[16:17]
.LBB1053_462:
	s_and_saveexec_b64 s[2:3], s[24:25]
; %bb.463:
	v_cndmask_b32_e64 v2, 0, 1, s[4:5]
	s_mov_b32 s4, 0
	v_mov_b32_e32 v3, s4
; %bb.464:
	s_or_b64 exec, exec, s[2:3]
	s_add_u32 s4, s8, s22
	s_addc_u32 s5, s9, s23
	s_and_b64 vcc, exec, s[0:1]
	s_waitcnt lgkmcnt(0)
	s_barrier
	s_cbranch_vccz .LBB1053_486
; %bb.465:
	s_movk_i32 s2, 0x58
	v_mul_u32_u24_e32 v1, 0x58, v0
	v_mov_b32_e32 v4, v44
	v_mov_b32_e32 v5, v45
	v_mul_i32_i24_e32 v32, 0xffffffb0, v0
	ds_write2_b64 v1, v[2:3], v[4:5] offset1:1
	ds_write2_b64 v1, v[42:43], v[40:41] offset0:2 offset1:3
	ds_write2_b64 v1, v[36:37], v[34:35] offset0:4 offset1:5
	;; [unrolled: 1-line block ×4, first 2 shown]
	ds_write_b64 v1, v[48:49] offset:80
	v_mad_u32_u24 v4, v0, s2, v32
	s_waitcnt lgkmcnt(0)
	s_barrier
	ds_read2st64_b64 v[24:27], v4 offset0:4 offset1:8
	ds_read2st64_b64 v[20:23], v4 offset0:12 offset1:16
	;; [unrolled: 1-line block ×5, first 2 shown]
	s_mov_b32 s21, 0
	s_add_i32 s11, s11, s10
	s_lshl_b64 s[0:1], s[20:21], 3
	s_add_u32 s0, s4, s0
	s_addc_u32 s1, s5, s1
	v_mov_b32_e32 v47, 0
	v_lshl_add_u64 v[12:13], s[0:1], 0, v[46:47]
	v_cmp_gt_u32_e32 vcc, s11, v0
	s_and_saveexec_b64 s[0:1], vcc
	s_cbranch_execz .LBB1053_467
; %bb.466:
	v_add_u32_e32 v1, v1, v32
	ds_read_b64 v[32:33], v1
	s_waitcnt lgkmcnt(0)
	global_store_dwordx2 v[12:13], v[32:33], off
.LBB1053_467:
	s_or_b64 exec, exec, s[0:1]
	v_or_b32_e32 v1, 0x100, v0
	v_cmp_gt_u32_e32 vcc, s11, v1
	s_and_saveexec_b64 s[0:1], vcc
	s_cbranch_execz .LBB1053_469
; %bb.468:
	s_waitcnt lgkmcnt(4)
	global_store_dwordx2 v[12:13], v[24:25], off offset:2048
.LBB1053_469:
	s_or_b64 exec, exec, s[0:1]
	v_or_b32_e32 v1, 0x200, v0
	v_cmp_gt_u32_e32 vcc, s11, v1
	s_and_saveexec_b64 s[0:1], vcc
	s_cbranch_execz .LBB1053_471
; %bb.470:
	s_waitcnt lgkmcnt(4)
	v_add_co_u32_e32 v24, vcc, 0x1000, v12
	s_nop 1
	v_addc_co_u32_e32 v25, vcc, 0, v13, vcc
	global_store_dwordx2 v[24:25], v[26:27], off
.LBB1053_471:
	s_or_b64 exec, exec, s[0:1]
	v_or_b32_e32 v1, 0x300, v0
	v_cmp_gt_u32_e32 vcc, s11, v1
	s_and_saveexec_b64 s[0:1], vcc
	s_cbranch_execz .LBB1053_473
; %bb.472:
	s_waitcnt lgkmcnt(4)
	v_add_co_u32_e32 v24, vcc, 0x1000, v12
	s_nop 1
	v_addc_co_u32_e32 v25, vcc, 0, v13, vcc
	s_waitcnt lgkmcnt(3)
	global_store_dwordx2 v[24:25], v[20:21], off offset:2048
.LBB1053_473:
	s_or_b64 exec, exec, s[0:1]
	v_or_b32_e32 v1, 0x400, v0
	v_cmp_gt_u32_e32 vcc, s11, v1
	s_and_saveexec_b64 s[0:1], vcc
	s_cbranch_execz .LBB1053_475
; %bb.474:
	s_waitcnt lgkmcnt(3)
	v_add_co_u32_e32 v20, vcc, 0x2000, v12
	s_nop 1
	v_addc_co_u32_e32 v21, vcc, 0, v13, vcc
	global_store_dwordx2 v[20:21], v[22:23], off
.LBB1053_475:
	s_or_b64 exec, exec, s[0:1]
	v_or_b32_e32 v1, 0x500, v0
	v_cmp_gt_u32_e32 vcc, s11, v1
	s_and_saveexec_b64 s[0:1], vcc
	s_cbranch_execz .LBB1053_477
; %bb.476:
	s_waitcnt lgkmcnt(3)
	v_add_co_u32_e32 v20, vcc, 0x2000, v12
	s_nop 1
	v_addc_co_u32_e32 v21, vcc, 0, v13, vcc
	s_waitcnt lgkmcnt(2)
	global_store_dwordx2 v[20:21], v[16:17], off offset:2048
.LBB1053_477:
	;; [unrolled: 25-line block ×4, first 2 shown]
	s_or_b64 exec, exec, s[0:1]
	v_or_b32_e32 v1, 0xa00, v0
	v_cmp_gt_u32_e64 s[0:1], s11, v1
	s_branch .LBB1053_488
.LBB1053_486:
	s_mov_b64 s[0:1], 0
                                        ; implicit-def: $vgpr6_vgpr7
                                        ; implicit-def: $vgpr12_vgpr13
	s_cbranch_execz .LBB1053_488
; %bb.487:
	s_mov_b32 s21, 0
	s_lshl_b64 s[2:3], s[20:21], 3
	v_mul_u32_u24_e32 v1, 0x58, v0
	s_add_u32 s2, s4, s2
	s_movk_i32 s4, 0x58
	ds_write2_b64 v1, v[2:3], v[44:45] offset1:1
	ds_write2_b64 v1, v[42:43], v[40:41] offset0:2 offset1:3
	ds_write2_b64 v1, v[36:37], v[34:35] offset0:4 offset1:5
	;; [unrolled: 1-line block ×4, first 2 shown]
	ds_write_b64 v1, v[48:49] offset:80
	v_mul_i32_i24_e32 v1, 0xffffffb0, v0
	s_addc_u32 s3, s5, s3
	s_waitcnt lgkmcnt(6)
	v_mad_u32_u24 v4, v0, s4, v1
	v_mov_b32_e32 v47, 0
	s_waitcnt lgkmcnt(0)
	s_barrier
	ds_read2st64_b64 v[0:3], v4 offset1:4
	ds_read2st64_b64 v[8:11], v4 offset0:8 offset1:12
	ds_read2st64_b64 v[14:17], v4 offset0:16 offset1:20
	ds_read2st64_b64 v[18:21], v4 offset0:24 offset1:28
	ds_read2st64_b64 v[22:25], v4 offset0:32 offset1:36
	ds_read_b64 v[6:7], v4 offset:20480
	v_lshl_add_u64 v[12:13], s[2:3], 0, v[46:47]
	s_waitcnt lgkmcnt(5)
	global_store_dwordx2 v46, v[0:1], s[2:3]
	global_store_dwordx2 v46, v[2:3], s[2:3] offset:2048
	s_movk_i32 s2, 0x1000
	v_add_co_u32_e32 v0, vcc, s2, v12
	s_movk_i32 s2, 0x2000
	s_nop 0
	v_addc_co_u32_e32 v1, vcc, 0, v13, vcc
	v_add_co_u32_e32 v2, vcc, s2, v12
	s_or_b64 s[0:1], s[0:1], exec
	s_nop 0
	v_addc_co_u32_e32 v3, vcc, 0, v13, vcc
	s_waitcnt lgkmcnt(4)
	global_store_dwordx2 v[2:3], v[8:9], off offset:-4096
	global_store_dwordx2 v[0:1], v[10:11], off offset:2048
	s_waitcnt lgkmcnt(3)
	global_store_dwordx2 v[2:3], v[14:15], off
	global_store_dwordx2 v[2:3], v[16:17], off offset:2048
	v_add_co_u32_e32 v0, vcc, 0x3000, v12
	s_nop 1
	v_addc_co_u32_e32 v1, vcc, 0, v13, vcc
	s_waitcnt lgkmcnt(2)
	global_store_dwordx2 v[0:1], v[18:19], off
	global_store_dwordx2 v[0:1], v[20:21], off offset:2048
	v_add_co_u32_e32 v0, vcc, 0x4000, v12
	s_nop 1
	v_addc_co_u32_e32 v1, vcc, 0, v13, vcc
	s_waitcnt lgkmcnt(1)
	global_store_dwordx2 v[0:1], v[22:23], off
	global_store_dwordx2 v[0:1], v[24:25], off offset:2048
.LBB1053_488:
	s_and_saveexec_b64 s[2:3], s[0:1]
	s_cbranch_execnz .LBB1053_490
; %bb.489:
	s_endpgm
.LBB1053_490:
	v_add_co_u32_e32 v0, vcc, 0x5000, v12
	s_nop 1
	v_addc_co_u32_e32 v1, vcc, 0, v13, vcc
	s_waitcnt lgkmcnt(0)
	global_store_dwordx2 v[0:1], v[6:7], off
	s_endpgm
	.section	.rodata,"a",@progbits
	.p2align	6, 0x0
	.amdhsa_kernel _ZN7rocprim17ROCPRIM_400000_NS6detail17trampoline_kernelINS0_14default_configENS1_35adjacent_difference_config_selectorILb1ElEEZNS1_24adjacent_difference_implIS3_Lb1ELb0EPlS7_ZN2at6native12_GLOBAL__N_124unique_dim_cuda_templateIbEESt5tupleIJNS8_6TensorESD_SD_EERKSD_lbbbEUlllE1_EE10hipError_tPvRmT2_T3_mT4_P12ihipStream_tbEUlT_E_NS1_11comp_targetILNS1_3genE5ELNS1_11target_archE942ELNS1_3gpuE9ELNS1_3repE0EEENS1_30default_config_static_selectorELNS0_4arch9wavefront6targetE1EEEvT1_
		.amdhsa_group_segment_fixed_size 22528
		.amdhsa_private_segment_fixed_size 0
		.amdhsa_kernarg_size 64
		.amdhsa_user_sgpr_count 2
		.amdhsa_user_sgpr_dispatch_ptr 0
		.amdhsa_user_sgpr_queue_ptr 0
		.amdhsa_user_sgpr_kernarg_segment_ptr 1
		.amdhsa_user_sgpr_dispatch_id 0
		.amdhsa_user_sgpr_kernarg_preload_length 0
		.amdhsa_user_sgpr_kernarg_preload_offset 0
		.amdhsa_user_sgpr_private_segment_size 0
		.amdhsa_uses_dynamic_stack 0
		.amdhsa_enable_private_segment 0
		.amdhsa_system_sgpr_workgroup_id_x 1
		.amdhsa_system_sgpr_workgroup_id_y 0
		.amdhsa_system_sgpr_workgroup_id_z 0
		.amdhsa_system_sgpr_workgroup_info 0
		.amdhsa_system_vgpr_workitem_id 0
		.amdhsa_next_free_vgpr 54
		.amdhsa_next_free_sgpr 40
		.amdhsa_accum_offset 56
		.amdhsa_reserve_vcc 1
		.amdhsa_float_round_mode_32 0
		.amdhsa_float_round_mode_16_64 0
		.amdhsa_float_denorm_mode_32 3
		.amdhsa_float_denorm_mode_16_64 3
		.amdhsa_dx10_clamp 1
		.amdhsa_ieee_mode 1
		.amdhsa_fp16_overflow 0
		.amdhsa_tg_split 0
		.amdhsa_exception_fp_ieee_invalid_op 0
		.amdhsa_exception_fp_denorm_src 0
		.amdhsa_exception_fp_ieee_div_zero 0
		.amdhsa_exception_fp_ieee_overflow 0
		.amdhsa_exception_fp_ieee_underflow 0
		.amdhsa_exception_fp_ieee_inexact 0
		.amdhsa_exception_int_div_zero 0
	.end_amdhsa_kernel
	.section	.text._ZN7rocprim17ROCPRIM_400000_NS6detail17trampoline_kernelINS0_14default_configENS1_35adjacent_difference_config_selectorILb1ElEEZNS1_24adjacent_difference_implIS3_Lb1ELb0EPlS7_ZN2at6native12_GLOBAL__N_124unique_dim_cuda_templateIbEESt5tupleIJNS8_6TensorESD_SD_EERKSD_lbbbEUlllE1_EE10hipError_tPvRmT2_T3_mT4_P12ihipStream_tbEUlT_E_NS1_11comp_targetILNS1_3genE5ELNS1_11target_archE942ELNS1_3gpuE9ELNS1_3repE0EEENS1_30default_config_static_selectorELNS0_4arch9wavefront6targetE1EEEvT1_,"axG",@progbits,_ZN7rocprim17ROCPRIM_400000_NS6detail17trampoline_kernelINS0_14default_configENS1_35adjacent_difference_config_selectorILb1ElEEZNS1_24adjacent_difference_implIS3_Lb1ELb0EPlS7_ZN2at6native12_GLOBAL__N_124unique_dim_cuda_templateIbEESt5tupleIJNS8_6TensorESD_SD_EERKSD_lbbbEUlllE1_EE10hipError_tPvRmT2_T3_mT4_P12ihipStream_tbEUlT_E_NS1_11comp_targetILNS1_3genE5ELNS1_11target_archE942ELNS1_3gpuE9ELNS1_3repE0EEENS1_30default_config_static_selectorELNS0_4arch9wavefront6targetE1EEEvT1_,comdat
.Lfunc_end1053:
	.size	_ZN7rocprim17ROCPRIM_400000_NS6detail17trampoline_kernelINS0_14default_configENS1_35adjacent_difference_config_selectorILb1ElEEZNS1_24adjacent_difference_implIS3_Lb1ELb0EPlS7_ZN2at6native12_GLOBAL__N_124unique_dim_cuda_templateIbEESt5tupleIJNS8_6TensorESD_SD_EERKSD_lbbbEUlllE1_EE10hipError_tPvRmT2_T3_mT4_P12ihipStream_tbEUlT_E_NS1_11comp_targetILNS1_3genE5ELNS1_11target_archE942ELNS1_3gpuE9ELNS1_3repE0EEENS1_30default_config_static_selectorELNS0_4arch9wavefront6targetE1EEEvT1_, .Lfunc_end1053-_ZN7rocprim17ROCPRIM_400000_NS6detail17trampoline_kernelINS0_14default_configENS1_35adjacent_difference_config_selectorILb1ElEEZNS1_24adjacent_difference_implIS3_Lb1ELb0EPlS7_ZN2at6native12_GLOBAL__N_124unique_dim_cuda_templateIbEESt5tupleIJNS8_6TensorESD_SD_EERKSD_lbbbEUlllE1_EE10hipError_tPvRmT2_T3_mT4_P12ihipStream_tbEUlT_E_NS1_11comp_targetILNS1_3genE5ELNS1_11target_archE942ELNS1_3gpuE9ELNS1_3repE0EEENS1_30default_config_static_selectorELNS0_4arch9wavefront6targetE1EEEvT1_
                                        ; -- End function
	.section	.AMDGPU.csdata,"",@progbits
; Kernel info:
; codeLenInByte = 16328
; NumSgprs: 46
; NumVgprs: 54
; NumAgprs: 0
; TotalNumVgprs: 54
; ScratchSize: 0
; MemoryBound: 0
; FloatMode: 240
; IeeeMode: 1
; LDSByteSize: 22528 bytes/workgroup (compile time only)
; SGPRBlocks: 5
; VGPRBlocks: 6
; NumSGPRsForWavesPerEU: 46
; NumVGPRsForWavesPerEU: 54
; AccumOffset: 56
; Occupancy: 2
; WaveLimiterHint : 1
; COMPUTE_PGM_RSRC2:SCRATCH_EN: 0
; COMPUTE_PGM_RSRC2:USER_SGPR: 2
; COMPUTE_PGM_RSRC2:TRAP_HANDLER: 0
; COMPUTE_PGM_RSRC2:TGID_X_EN: 1
; COMPUTE_PGM_RSRC2:TGID_Y_EN: 0
; COMPUTE_PGM_RSRC2:TGID_Z_EN: 0
; COMPUTE_PGM_RSRC2:TIDIG_COMP_CNT: 0
; COMPUTE_PGM_RSRC3_GFX90A:ACCUM_OFFSET: 13
; COMPUTE_PGM_RSRC3_GFX90A:TG_SPLIT: 0
	.section	.text._ZN7rocprim17ROCPRIM_400000_NS6detail17trampoline_kernelINS0_14default_configENS1_35adjacent_difference_config_selectorILb1ElEEZNS1_24adjacent_difference_implIS3_Lb1ELb0EPlS7_ZN2at6native12_GLOBAL__N_124unique_dim_cuda_templateIbEESt5tupleIJNS8_6TensorESD_SD_EERKSD_lbbbEUlllE1_EE10hipError_tPvRmT2_T3_mT4_P12ihipStream_tbEUlT_E_NS1_11comp_targetILNS1_3genE4ELNS1_11target_archE910ELNS1_3gpuE8ELNS1_3repE0EEENS1_30default_config_static_selectorELNS0_4arch9wavefront6targetE1EEEvT1_,"axG",@progbits,_ZN7rocprim17ROCPRIM_400000_NS6detail17trampoline_kernelINS0_14default_configENS1_35adjacent_difference_config_selectorILb1ElEEZNS1_24adjacent_difference_implIS3_Lb1ELb0EPlS7_ZN2at6native12_GLOBAL__N_124unique_dim_cuda_templateIbEESt5tupleIJNS8_6TensorESD_SD_EERKSD_lbbbEUlllE1_EE10hipError_tPvRmT2_T3_mT4_P12ihipStream_tbEUlT_E_NS1_11comp_targetILNS1_3genE4ELNS1_11target_archE910ELNS1_3gpuE8ELNS1_3repE0EEENS1_30default_config_static_selectorELNS0_4arch9wavefront6targetE1EEEvT1_,comdat
	.globl	_ZN7rocprim17ROCPRIM_400000_NS6detail17trampoline_kernelINS0_14default_configENS1_35adjacent_difference_config_selectorILb1ElEEZNS1_24adjacent_difference_implIS3_Lb1ELb0EPlS7_ZN2at6native12_GLOBAL__N_124unique_dim_cuda_templateIbEESt5tupleIJNS8_6TensorESD_SD_EERKSD_lbbbEUlllE1_EE10hipError_tPvRmT2_T3_mT4_P12ihipStream_tbEUlT_E_NS1_11comp_targetILNS1_3genE4ELNS1_11target_archE910ELNS1_3gpuE8ELNS1_3repE0EEENS1_30default_config_static_selectorELNS0_4arch9wavefront6targetE1EEEvT1_ ; -- Begin function _ZN7rocprim17ROCPRIM_400000_NS6detail17trampoline_kernelINS0_14default_configENS1_35adjacent_difference_config_selectorILb1ElEEZNS1_24adjacent_difference_implIS3_Lb1ELb0EPlS7_ZN2at6native12_GLOBAL__N_124unique_dim_cuda_templateIbEESt5tupleIJNS8_6TensorESD_SD_EERKSD_lbbbEUlllE1_EE10hipError_tPvRmT2_T3_mT4_P12ihipStream_tbEUlT_E_NS1_11comp_targetILNS1_3genE4ELNS1_11target_archE910ELNS1_3gpuE8ELNS1_3repE0EEENS1_30default_config_static_selectorELNS0_4arch9wavefront6targetE1EEEvT1_
	.p2align	8
	.type	_ZN7rocprim17ROCPRIM_400000_NS6detail17trampoline_kernelINS0_14default_configENS1_35adjacent_difference_config_selectorILb1ElEEZNS1_24adjacent_difference_implIS3_Lb1ELb0EPlS7_ZN2at6native12_GLOBAL__N_124unique_dim_cuda_templateIbEESt5tupleIJNS8_6TensorESD_SD_EERKSD_lbbbEUlllE1_EE10hipError_tPvRmT2_T3_mT4_P12ihipStream_tbEUlT_E_NS1_11comp_targetILNS1_3genE4ELNS1_11target_archE910ELNS1_3gpuE8ELNS1_3repE0EEENS1_30default_config_static_selectorELNS0_4arch9wavefront6targetE1EEEvT1_,@function
_ZN7rocprim17ROCPRIM_400000_NS6detail17trampoline_kernelINS0_14default_configENS1_35adjacent_difference_config_selectorILb1ElEEZNS1_24adjacent_difference_implIS3_Lb1ELb0EPlS7_ZN2at6native12_GLOBAL__N_124unique_dim_cuda_templateIbEESt5tupleIJNS8_6TensorESD_SD_EERKSD_lbbbEUlllE1_EE10hipError_tPvRmT2_T3_mT4_P12ihipStream_tbEUlT_E_NS1_11comp_targetILNS1_3genE4ELNS1_11target_archE910ELNS1_3gpuE8ELNS1_3repE0EEENS1_30default_config_static_selectorELNS0_4arch9wavefront6targetE1EEEvT1_: ; @_ZN7rocprim17ROCPRIM_400000_NS6detail17trampoline_kernelINS0_14default_configENS1_35adjacent_difference_config_selectorILb1ElEEZNS1_24adjacent_difference_implIS3_Lb1ELb0EPlS7_ZN2at6native12_GLOBAL__N_124unique_dim_cuda_templateIbEESt5tupleIJNS8_6TensorESD_SD_EERKSD_lbbbEUlllE1_EE10hipError_tPvRmT2_T3_mT4_P12ihipStream_tbEUlT_E_NS1_11comp_targetILNS1_3genE4ELNS1_11target_archE910ELNS1_3gpuE8ELNS1_3repE0EEENS1_30default_config_static_selectorELNS0_4arch9wavefront6targetE1EEEvT1_
; %bb.0:
	.section	.rodata,"a",@progbits
	.p2align	6, 0x0
	.amdhsa_kernel _ZN7rocprim17ROCPRIM_400000_NS6detail17trampoline_kernelINS0_14default_configENS1_35adjacent_difference_config_selectorILb1ElEEZNS1_24adjacent_difference_implIS3_Lb1ELb0EPlS7_ZN2at6native12_GLOBAL__N_124unique_dim_cuda_templateIbEESt5tupleIJNS8_6TensorESD_SD_EERKSD_lbbbEUlllE1_EE10hipError_tPvRmT2_T3_mT4_P12ihipStream_tbEUlT_E_NS1_11comp_targetILNS1_3genE4ELNS1_11target_archE910ELNS1_3gpuE8ELNS1_3repE0EEENS1_30default_config_static_selectorELNS0_4arch9wavefront6targetE1EEEvT1_
		.amdhsa_group_segment_fixed_size 0
		.amdhsa_private_segment_fixed_size 0
		.amdhsa_kernarg_size 64
		.amdhsa_user_sgpr_count 2
		.amdhsa_user_sgpr_dispatch_ptr 0
		.amdhsa_user_sgpr_queue_ptr 0
		.amdhsa_user_sgpr_kernarg_segment_ptr 1
		.amdhsa_user_sgpr_dispatch_id 0
		.amdhsa_user_sgpr_kernarg_preload_length 0
		.amdhsa_user_sgpr_kernarg_preload_offset 0
		.amdhsa_user_sgpr_private_segment_size 0
		.amdhsa_uses_dynamic_stack 0
		.amdhsa_enable_private_segment 0
		.amdhsa_system_sgpr_workgroup_id_x 1
		.amdhsa_system_sgpr_workgroup_id_y 0
		.amdhsa_system_sgpr_workgroup_id_z 0
		.amdhsa_system_sgpr_workgroup_info 0
		.amdhsa_system_vgpr_workitem_id 0
		.amdhsa_next_free_vgpr 1
		.amdhsa_next_free_sgpr 0
		.amdhsa_accum_offset 4
		.amdhsa_reserve_vcc 0
		.amdhsa_float_round_mode_32 0
		.amdhsa_float_round_mode_16_64 0
		.amdhsa_float_denorm_mode_32 3
		.amdhsa_float_denorm_mode_16_64 3
		.amdhsa_dx10_clamp 1
		.amdhsa_ieee_mode 1
		.amdhsa_fp16_overflow 0
		.amdhsa_tg_split 0
		.amdhsa_exception_fp_ieee_invalid_op 0
		.amdhsa_exception_fp_denorm_src 0
		.amdhsa_exception_fp_ieee_div_zero 0
		.amdhsa_exception_fp_ieee_overflow 0
		.amdhsa_exception_fp_ieee_underflow 0
		.amdhsa_exception_fp_ieee_inexact 0
		.amdhsa_exception_int_div_zero 0
	.end_amdhsa_kernel
	.section	.text._ZN7rocprim17ROCPRIM_400000_NS6detail17trampoline_kernelINS0_14default_configENS1_35adjacent_difference_config_selectorILb1ElEEZNS1_24adjacent_difference_implIS3_Lb1ELb0EPlS7_ZN2at6native12_GLOBAL__N_124unique_dim_cuda_templateIbEESt5tupleIJNS8_6TensorESD_SD_EERKSD_lbbbEUlllE1_EE10hipError_tPvRmT2_T3_mT4_P12ihipStream_tbEUlT_E_NS1_11comp_targetILNS1_3genE4ELNS1_11target_archE910ELNS1_3gpuE8ELNS1_3repE0EEENS1_30default_config_static_selectorELNS0_4arch9wavefront6targetE1EEEvT1_,"axG",@progbits,_ZN7rocprim17ROCPRIM_400000_NS6detail17trampoline_kernelINS0_14default_configENS1_35adjacent_difference_config_selectorILb1ElEEZNS1_24adjacent_difference_implIS3_Lb1ELb0EPlS7_ZN2at6native12_GLOBAL__N_124unique_dim_cuda_templateIbEESt5tupleIJNS8_6TensorESD_SD_EERKSD_lbbbEUlllE1_EE10hipError_tPvRmT2_T3_mT4_P12ihipStream_tbEUlT_E_NS1_11comp_targetILNS1_3genE4ELNS1_11target_archE910ELNS1_3gpuE8ELNS1_3repE0EEENS1_30default_config_static_selectorELNS0_4arch9wavefront6targetE1EEEvT1_,comdat
.Lfunc_end1054:
	.size	_ZN7rocprim17ROCPRIM_400000_NS6detail17trampoline_kernelINS0_14default_configENS1_35adjacent_difference_config_selectorILb1ElEEZNS1_24adjacent_difference_implIS3_Lb1ELb0EPlS7_ZN2at6native12_GLOBAL__N_124unique_dim_cuda_templateIbEESt5tupleIJNS8_6TensorESD_SD_EERKSD_lbbbEUlllE1_EE10hipError_tPvRmT2_T3_mT4_P12ihipStream_tbEUlT_E_NS1_11comp_targetILNS1_3genE4ELNS1_11target_archE910ELNS1_3gpuE8ELNS1_3repE0EEENS1_30default_config_static_selectorELNS0_4arch9wavefront6targetE1EEEvT1_, .Lfunc_end1054-_ZN7rocprim17ROCPRIM_400000_NS6detail17trampoline_kernelINS0_14default_configENS1_35adjacent_difference_config_selectorILb1ElEEZNS1_24adjacent_difference_implIS3_Lb1ELb0EPlS7_ZN2at6native12_GLOBAL__N_124unique_dim_cuda_templateIbEESt5tupleIJNS8_6TensorESD_SD_EERKSD_lbbbEUlllE1_EE10hipError_tPvRmT2_T3_mT4_P12ihipStream_tbEUlT_E_NS1_11comp_targetILNS1_3genE4ELNS1_11target_archE910ELNS1_3gpuE8ELNS1_3repE0EEENS1_30default_config_static_selectorELNS0_4arch9wavefront6targetE1EEEvT1_
                                        ; -- End function
	.section	.AMDGPU.csdata,"",@progbits
; Kernel info:
; codeLenInByte = 0
; NumSgprs: 6
; NumVgprs: 0
; NumAgprs: 0
; TotalNumVgprs: 0
; ScratchSize: 0
; MemoryBound: 0
; FloatMode: 240
; IeeeMode: 1
; LDSByteSize: 0 bytes/workgroup (compile time only)
; SGPRBlocks: 0
; VGPRBlocks: 0
; NumSGPRsForWavesPerEU: 6
; NumVGPRsForWavesPerEU: 1
; AccumOffset: 4
; Occupancy: 8
; WaveLimiterHint : 0
; COMPUTE_PGM_RSRC2:SCRATCH_EN: 0
; COMPUTE_PGM_RSRC2:USER_SGPR: 2
; COMPUTE_PGM_RSRC2:TRAP_HANDLER: 0
; COMPUTE_PGM_RSRC2:TGID_X_EN: 1
; COMPUTE_PGM_RSRC2:TGID_Y_EN: 0
; COMPUTE_PGM_RSRC2:TGID_Z_EN: 0
; COMPUTE_PGM_RSRC2:TIDIG_COMP_CNT: 0
; COMPUTE_PGM_RSRC3_GFX90A:ACCUM_OFFSET: 0
; COMPUTE_PGM_RSRC3_GFX90A:TG_SPLIT: 0
	.section	.text._ZN7rocprim17ROCPRIM_400000_NS6detail17trampoline_kernelINS0_14default_configENS1_35adjacent_difference_config_selectorILb1ElEEZNS1_24adjacent_difference_implIS3_Lb1ELb0EPlS7_ZN2at6native12_GLOBAL__N_124unique_dim_cuda_templateIbEESt5tupleIJNS8_6TensorESD_SD_EERKSD_lbbbEUlllE1_EE10hipError_tPvRmT2_T3_mT4_P12ihipStream_tbEUlT_E_NS1_11comp_targetILNS1_3genE3ELNS1_11target_archE908ELNS1_3gpuE7ELNS1_3repE0EEENS1_30default_config_static_selectorELNS0_4arch9wavefront6targetE1EEEvT1_,"axG",@progbits,_ZN7rocprim17ROCPRIM_400000_NS6detail17trampoline_kernelINS0_14default_configENS1_35adjacent_difference_config_selectorILb1ElEEZNS1_24adjacent_difference_implIS3_Lb1ELb0EPlS7_ZN2at6native12_GLOBAL__N_124unique_dim_cuda_templateIbEESt5tupleIJNS8_6TensorESD_SD_EERKSD_lbbbEUlllE1_EE10hipError_tPvRmT2_T3_mT4_P12ihipStream_tbEUlT_E_NS1_11comp_targetILNS1_3genE3ELNS1_11target_archE908ELNS1_3gpuE7ELNS1_3repE0EEENS1_30default_config_static_selectorELNS0_4arch9wavefront6targetE1EEEvT1_,comdat
	.globl	_ZN7rocprim17ROCPRIM_400000_NS6detail17trampoline_kernelINS0_14default_configENS1_35adjacent_difference_config_selectorILb1ElEEZNS1_24adjacent_difference_implIS3_Lb1ELb0EPlS7_ZN2at6native12_GLOBAL__N_124unique_dim_cuda_templateIbEESt5tupleIJNS8_6TensorESD_SD_EERKSD_lbbbEUlllE1_EE10hipError_tPvRmT2_T3_mT4_P12ihipStream_tbEUlT_E_NS1_11comp_targetILNS1_3genE3ELNS1_11target_archE908ELNS1_3gpuE7ELNS1_3repE0EEENS1_30default_config_static_selectorELNS0_4arch9wavefront6targetE1EEEvT1_ ; -- Begin function _ZN7rocprim17ROCPRIM_400000_NS6detail17trampoline_kernelINS0_14default_configENS1_35adjacent_difference_config_selectorILb1ElEEZNS1_24adjacent_difference_implIS3_Lb1ELb0EPlS7_ZN2at6native12_GLOBAL__N_124unique_dim_cuda_templateIbEESt5tupleIJNS8_6TensorESD_SD_EERKSD_lbbbEUlllE1_EE10hipError_tPvRmT2_T3_mT4_P12ihipStream_tbEUlT_E_NS1_11comp_targetILNS1_3genE3ELNS1_11target_archE908ELNS1_3gpuE7ELNS1_3repE0EEENS1_30default_config_static_selectorELNS0_4arch9wavefront6targetE1EEEvT1_
	.p2align	8
	.type	_ZN7rocprim17ROCPRIM_400000_NS6detail17trampoline_kernelINS0_14default_configENS1_35adjacent_difference_config_selectorILb1ElEEZNS1_24adjacent_difference_implIS3_Lb1ELb0EPlS7_ZN2at6native12_GLOBAL__N_124unique_dim_cuda_templateIbEESt5tupleIJNS8_6TensorESD_SD_EERKSD_lbbbEUlllE1_EE10hipError_tPvRmT2_T3_mT4_P12ihipStream_tbEUlT_E_NS1_11comp_targetILNS1_3genE3ELNS1_11target_archE908ELNS1_3gpuE7ELNS1_3repE0EEENS1_30default_config_static_selectorELNS0_4arch9wavefront6targetE1EEEvT1_,@function
_ZN7rocprim17ROCPRIM_400000_NS6detail17trampoline_kernelINS0_14default_configENS1_35adjacent_difference_config_selectorILb1ElEEZNS1_24adjacent_difference_implIS3_Lb1ELb0EPlS7_ZN2at6native12_GLOBAL__N_124unique_dim_cuda_templateIbEESt5tupleIJNS8_6TensorESD_SD_EERKSD_lbbbEUlllE1_EE10hipError_tPvRmT2_T3_mT4_P12ihipStream_tbEUlT_E_NS1_11comp_targetILNS1_3genE3ELNS1_11target_archE908ELNS1_3gpuE7ELNS1_3repE0EEENS1_30default_config_static_selectorELNS0_4arch9wavefront6targetE1EEEvT1_: ; @_ZN7rocprim17ROCPRIM_400000_NS6detail17trampoline_kernelINS0_14default_configENS1_35adjacent_difference_config_selectorILb1ElEEZNS1_24adjacent_difference_implIS3_Lb1ELb0EPlS7_ZN2at6native12_GLOBAL__N_124unique_dim_cuda_templateIbEESt5tupleIJNS8_6TensorESD_SD_EERKSD_lbbbEUlllE1_EE10hipError_tPvRmT2_T3_mT4_P12ihipStream_tbEUlT_E_NS1_11comp_targetILNS1_3genE3ELNS1_11target_archE908ELNS1_3gpuE7ELNS1_3repE0EEENS1_30default_config_static_selectorELNS0_4arch9wavefront6targetE1EEEvT1_
; %bb.0:
	.section	.rodata,"a",@progbits
	.p2align	6, 0x0
	.amdhsa_kernel _ZN7rocprim17ROCPRIM_400000_NS6detail17trampoline_kernelINS0_14default_configENS1_35adjacent_difference_config_selectorILb1ElEEZNS1_24adjacent_difference_implIS3_Lb1ELb0EPlS7_ZN2at6native12_GLOBAL__N_124unique_dim_cuda_templateIbEESt5tupleIJNS8_6TensorESD_SD_EERKSD_lbbbEUlllE1_EE10hipError_tPvRmT2_T3_mT4_P12ihipStream_tbEUlT_E_NS1_11comp_targetILNS1_3genE3ELNS1_11target_archE908ELNS1_3gpuE7ELNS1_3repE0EEENS1_30default_config_static_selectorELNS0_4arch9wavefront6targetE1EEEvT1_
		.amdhsa_group_segment_fixed_size 0
		.amdhsa_private_segment_fixed_size 0
		.amdhsa_kernarg_size 64
		.amdhsa_user_sgpr_count 2
		.amdhsa_user_sgpr_dispatch_ptr 0
		.amdhsa_user_sgpr_queue_ptr 0
		.amdhsa_user_sgpr_kernarg_segment_ptr 1
		.amdhsa_user_sgpr_dispatch_id 0
		.amdhsa_user_sgpr_kernarg_preload_length 0
		.amdhsa_user_sgpr_kernarg_preload_offset 0
		.amdhsa_user_sgpr_private_segment_size 0
		.amdhsa_uses_dynamic_stack 0
		.amdhsa_enable_private_segment 0
		.amdhsa_system_sgpr_workgroup_id_x 1
		.amdhsa_system_sgpr_workgroup_id_y 0
		.amdhsa_system_sgpr_workgroup_id_z 0
		.amdhsa_system_sgpr_workgroup_info 0
		.amdhsa_system_vgpr_workitem_id 0
		.amdhsa_next_free_vgpr 1
		.amdhsa_next_free_sgpr 0
		.amdhsa_accum_offset 4
		.amdhsa_reserve_vcc 0
		.amdhsa_float_round_mode_32 0
		.amdhsa_float_round_mode_16_64 0
		.amdhsa_float_denorm_mode_32 3
		.amdhsa_float_denorm_mode_16_64 3
		.amdhsa_dx10_clamp 1
		.amdhsa_ieee_mode 1
		.amdhsa_fp16_overflow 0
		.amdhsa_tg_split 0
		.amdhsa_exception_fp_ieee_invalid_op 0
		.amdhsa_exception_fp_denorm_src 0
		.amdhsa_exception_fp_ieee_div_zero 0
		.amdhsa_exception_fp_ieee_overflow 0
		.amdhsa_exception_fp_ieee_underflow 0
		.amdhsa_exception_fp_ieee_inexact 0
		.amdhsa_exception_int_div_zero 0
	.end_amdhsa_kernel
	.section	.text._ZN7rocprim17ROCPRIM_400000_NS6detail17trampoline_kernelINS0_14default_configENS1_35adjacent_difference_config_selectorILb1ElEEZNS1_24adjacent_difference_implIS3_Lb1ELb0EPlS7_ZN2at6native12_GLOBAL__N_124unique_dim_cuda_templateIbEESt5tupleIJNS8_6TensorESD_SD_EERKSD_lbbbEUlllE1_EE10hipError_tPvRmT2_T3_mT4_P12ihipStream_tbEUlT_E_NS1_11comp_targetILNS1_3genE3ELNS1_11target_archE908ELNS1_3gpuE7ELNS1_3repE0EEENS1_30default_config_static_selectorELNS0_4arch9wavefront6targetE1EEEvT1_,"axG",@progbits,_ZN7rocprim17ROCPRIM_400000_NS6detail17trampoline_kernelINS0_14default_configENS1_35adjacent_difference_config_selectorILb1ElEEZNS1_24adjacent_difference_implIS3_Lb1ELb0EPlS7_ZN2at6native12_GLOBAL__N_124unique_dim_cuda_templateIbEESt5tupleIJNS8_6TensorESD_SD_EERKSD_lbbbEUlllE1_EE10hipError_tPvRmT2_T3_mT4_P12ihipStream_tbEUlT_E_NS1_11comp_targetILNS1_3genE3ELNS1_11target_archE908ELNS1_3gpuE7ELNS1_3repE0EEENS1_30default_config_static_selectorELNS0_4arch9wavefront6targetE1EEEvT1_,comdat
.Lfunc_end1055:
	.size	_ZN7rocprim17ROCPRIM_400000_NS6detail17trampoline_kernelINS0_14default_configENS1_35adjacent_difference_config_selectorILb1ElEEZNS1_24adjacent_difference_implIS3_Lb1ELb0EPlS7_ZN2at6native12_GLOBAL__N_124unique_dim_cuda_templateIbEESt5tupleIJNS8_6TensorESD_SD_EERKSD_lbbbEUlllE1_EE10hipError_tPvRmT2_T3_mT4_P12ihipStream_tbEUlT_E_NS1_11comp_targetILNS1_3genE3ELNS1_11target_archE908ELNS1_3gpuE7ELNS1_3repE0EEENS1_30default_config_static_selectorELNS0_4arch9wavefront6targetE1EEEvT1_, .Lfunc_end1055-_ZN7rocprim17ROCPRIM_400000_NS6detail17trampoline_kernelINS0_14default_configENS1_35adjacent_difference_config_selectorILb1ElEEZNS1_24adjacent_difference_implIS3_Lb1ELb0EPlS7_ZN2at6native12_GLOBAL__N_124unique_dim_cuda_templateIbEESt5tupleIJNS8_6TensorESD_SD_EERKSD_lbbbEUlllE1_EE10hipError_tPvRmT2_T3_mT4_P12ihipStream_tbEUlT_E_NS1_11comp_targetILNS1_3genE3ELNS1_11target_archE908ELNS1_3gpuE7ELNS1_3repE0EEENS1_30default_config_static_selectorELNS0_4arch9wavefront6targetE1EEEvT1_
                                        ; -- End function
	.section	.AMDGPU.csdata,"",@progbits
; Kernel info:
; codeLenInByte = 0
; NumSgprs: 6
; NumVgprs: 0
; NumAgprs: 0
; TotalNumVgprs: 0
; ScratchSize: 0
; MemoryBound: 0
; FloatMode: 240
; IeeeMode: 1
; LDSByteSize: 0 bytes/workgroup (compile time only)
; SGPRBlocks: 0
; VGPRBlocks: 0
; NumSGPRsForWavesPerEU: 6
; NumVGPRsForWavesPerEU: 1
; AccumOffset: 4
; Occupancy: 8
; WaveLimiterHint : 0
; COMPUTE_PGM_RSRC2:SCRATCH_EN: 0
; COMPUTE_PGM_RSRC2:USER_SGPR: 2
; COMPUTE_PGM_RSRC2:TRAP_HANDLER: 0
; COMPUTE_PGM_RSRC2:TGID_X_EN: 1
; COMPUTE_PGM_RSRC2:TGID_Y_EN: 0
; COMPUTE_PGM_RSRC2:TGID_Z_EN: 0
; COMPUTE_PGM_RSRC2:TIDIG_COMP_CNT: 0
; COMPUTE_PGM_RSRC3_GFX90A:ACCUM_OFFSET: 0
; COMPUTE_PGM_RSRC3_GFX90A:TG_SPLIT: 0
	.section	.text._ZN7rocprim17ROCPRIM_400000_NS6detail17trampoline_kernelINS0_14default_configENS1_35adjacent_difference_config_selectorILb1ElEEZNS1_24adjacent_difference_implIS3_Lb1ELb0EPlS7_ZN2at6native12_GLOBAL__N_124unique_dim_cuda_templateIbEESt5tupleIJNS8_6TensorESD_SD_EERKSD_lbbbEUlllE1_EE10hipError_tPvRmT2_T3_mT4_P12ihipStream_tbEUlT_E_NS1_11comp_targetILNS1_3genE2ELNS1_11target_archE906ELNS1_3gpuE6ELNS1_3repE0EEENS1_30default_config_static_selectorELNS0_4arch9wavefront6targetE1EEEvT1_,"axG",@progbits,_ZN7rocprim17ROCPRIM_400000_NS6detail17trampoline_kernelINS0_14default_configENS1_35adjacent_difference_config_selectorILb1ElEEZNS1_24adjacent_difference_implIS3_Lb1ELb0EPlS7_ZN2at6native12_GLOBAL__N_124unique_dim_cuda_templateIbEESt5tupleIJNS8_6TensorESD_SD_EERKSD_lbbbEUlllE1_EE10hipError_tPvRmT2_T3_mT4_P12ihipStream_tbEUlT_E_NS1_11comp_targetILNS1_3genE2ELNS1_11target_archE906ELNS1_3gpuE6ELNS1_3repE0EEENS1_30default_config_static_selectorELNS0_4arch9wavefront6targetE1EEEvT1_,comdat
	.globl	_ZN7rocprim17ROCPRIM_400000_NS6detail17trampoline_kernelINS0_14default_configENS1_35adjacent_difference_config_selectorILb1ElEEZNS1_24adjacent_difference_implIS3_Lb1ELb0EPlS7_ZN2at6native12_GLOBAL__N_124unique_dim_cuda_templateIbEESt5tupleIJNS8_6TensorESD_SD_EERKSD_lbbbEUlllE1_EE10hipError_tPvRmT2_T3_mT4_P12ihipStream_tbEUlT_E_NS1_11comp_targetILNS1_3genE2ELNS1_11target_archE906ELNS1_3gpuE6ELNS1_3repE0EEENS1_30default_config_static_selectorELNS0_4arch9wavefront6targetE1EEEvT1_ ; -- Begin function _ZN7rocprim17ROCPRIM_400000_NS6detail17trampoline_kernelINS0_14default_configENS1_35adjacent_difference_config_selectorILb1ElEEZNS1_24adjacent_difference_implIS3_Lb1ELb0EPlS7_ZN2at6native12_GLOBAL__N_124unique_dim_cuda_templateIbEESt5tupleIJNS8_6TensorESD_SD_EERKSD_lbbbEUlllE1_EE10hipError_tPvRmT2_T3_mT4_P12ihipStream_tbEUlT_E_NS1_11comp_targetILNS1_3genE2ELNS1_11target_archE906ELNS1_3gpuE6ELNS1_3repE0EEENS1_30default_config_static_selectorELNS0_4arch9wavefront6targetE1EEEvT1_
	.p2align	8
	.type	_ZN7rocprim17ROCPRIM_400000_NS6detail17trampoline_kernelINS0_14default_configENS1_35adjacent_difference_config_selectorILb1ElEEZNS1_24adjacent_difference_implIS3_Lb1ELb0EPlS7_ZN2at6native12_GLOBAL__N_124unique_dim_cuda_templateIbEESt5tupleIJNS8_6TensorESD_SD_EERKSD_lbbbEUlllE1_EE10hipError_tPvRmT2_T3_mT4_P12ihipStream_tbEUlT_E_NS1_11comp_targetILNS1_3genE2ELNS1_11target_archE906ELNS1_3gpuE6ELNS1_3repE0EEENS1_30default_config_static_selectorELNS0_4arch9wavefront6targetE1EEEvT1_,@function
_ZN7rocprim17ROCPRIM_400000_NS6detail17trampoline_kernelINS0_14default_configENS1_35adjacent_difference_config_selectorILb1ElEEZNS1_24adjacent_difference_implIS3_Lb1ELb0EPlS7_ZN2at6native12_GLOBAL__N_124unique_dim_cuda_templateIbEESt5tupleIJNS8_6TensorESD_SD_EERKSD_lbbbEUlllE1_EE10hipError_tPvRmT2_T3_mT4_P12ihipStream_tbEUlT_E_NS1_11comp_targetILNS1_3genE2ELNS1_11target_archE906ELNS1_3gpuE6ELNS1_3repE0EEENS1_30default_config_static_selectorELNS0_4arch9wavefront6targetE1EEEvT1_: ; @_ZN7rocprim17ROCPRIM_400000_NS6detail17trampoline_kernelINS0_14default_configENS1_35adjacent_difference_config_selectorILb1ElEEZNS1_24adjacent_difference_implIS3_Lb1ELb0EPlS7_ZN2at6native12_GLOBAL__N_124unique_dim_cuda_templateIbEESt5tupleIJNS8_6TensorESD_SD_EERKSD_lbbbEUlllE1_EE10hipError_tPvRmT2_T3_mT4_P12ihipStream_tbEUlT_E_NS1_11comp_targetILNS1_3genE2ELNS1_11target_archE906ELNS1_3gpuE6ELNS1_3repE0EEENS1_30default_config_static_selectorELNS0_4arch9wavefront6targetE1EEEvT1_
; %bb.0:
	.section	.rodata,"a",@progbits
	.p2align	6, 0x0
	.amdhsa_kernel _ZN7rocprim17ROCPRIM_400000_NS6detail17trampoline_kernelINS0_14default_configENS1_35adjacent_difference_config_selectorILb1ElEEZNS1_24adjacent_difference_implIS3_Lb1ELb0EPlS7_ZN2at6native12_GLOBAL__N_124unique_dim_cuda_templateIbEESt5tupleIJNS8_6TensorESD_SD_EERKSD_lbbbEUlllE1_EE10hipError_tPvRmT2_T3_mT4_P12ihipStream_tbEUlT_E_NS1_11comp_targetILNS1_3genE2ELNS1_11target_archE906ELNS1_3gpuE6ELNS1_3repE0EEENS1_30default_config_static_selectorELNS0_4arch9wavefront6targetE1EEEvT1_
		.amdhsa_group_segment_fixed_size 0
		.amdhsa_private_segment_fixed_size 0
		.amdhsa_kernarg_size 64
		.amdhsa_user_sgpr_count 2
		.amdhsa_user_sgpr_dispatch_ptr 0
		.amdhsa_user_sgpr_queue_ptr 0
		.amdhsa_user_sgpr_kernarg_segment_ptr 1
		.amdhsa_user_sgpr_dispatch_id 0
		.amdhsa_user_sgpr_kernarg_preload_length 0
		.amdhsa_user_sgpr_kernarg_preload_offset 0
		.amdhsa_user_sgpr_private_segment_size 0
		.amdhsa_uses_dynamic_stack 0
		.amdhsa_enable_private_segment 0
		.amdhsa_system_sgpr_workgroup_id_x 1
		.amdhsa_system_sgpr_workgroup_id_y 0
		.amdhsa_system_sgpr_workgroup_id_z 0
		.amdhsa_system_sgpr_workgroup_info 0
		.amdhsa_system_vgpr_workitem_id 0
		.amdhsa_next_free_vgpr 1
		.amdhsa_next_free_sgpr 0
		.amdhsa_accum_offset 4
		.amdhsa_reserve_vcc 0
		.amdhsa_float_round_mode_32 0
		.amdhsa_float_round_mode_16_64 0
		.amdhsa_float_denorm_mode_32 3
		.amdhsa_float_denorm_mode_16_64 3
		.amdhsa_dx10_clamp 1
		.amdhsa_ieee_mode 1
		.amdhsa_fp16_overflow 0
		.amdhsa_tg_split 0
		.amdhsa_exception_fp_ieee_invalid_op 0
		.amdhsa_exception_fp_denorm_src 0
		.amdhsa_exception_fp_ieee_div_zero 0
		.amdhsa_exception_fp_ieee_overflow 0
		.amdhsa_exception_fp_ieee_underflow 0
		.amdhsa_exception_fp_ieee_inexact 0
		.amdhsa_exception_int_div_zero 0
	.end_amdhsa_kernel
	.section	.text._ZN7rocprim17ROCPRIM_400000_NS6detail17trampoline_kernelINS0_14default_configENS1_35adjacent_difference_config_selectorILb1ElEEZNS1_24adjacent_difference_implIS3_Lb1ELb0EPlS7_ZN2at6native12_GLOBAL__N_124unique_dim_cuda_templateIbEESt5tupleIJNS8_6TensorESD_SD_EERKSD_lbbbEUlllE1_EE10hipError_tPvRmT2_T3_mT4_P12ihipStream_tbEUlT_E_NS1_11comp_targetILNS1_3genE2ELNS1_11target_archE906ELNS1_3gpuE6ELNS1_3repE0EEENS1_30default_config_static_selectorELNS0_4arch9wavefront6targetE1EEEvT1_,"axG",@progbits,_ZN7rocprim17ROCPRIM_400000_NS6detail17trampoline_kernelINS0_14default_configENS1_35adjacent_difference_config_selectorILb1ElEEZNS1_24adjacent_difference_implIS3_Lb1ELb0EPlS7_ZN2at6native12_GLOBAL__N_124unique_dim_cuda_templateIbEESt5tupleIJNS8_6TensorESD_SD_EERKSD_lbbbEUlllE1_EE10hipError_tPvRmT2_T3_mT4_P12ihipStream_tbEUlT_E_NS1_11comp_targetILNS1_3genE2ELNS1_11target_archE906ELNS1_3gpuE6ELNS1_3repE0EEENS1_30default_config_static_selectorELNS0_4arch9wavefront6targetE1EEEvT1_,comdat
.Lfunc_end1056:
	.size	_ZN7rocprim17ROCPRIM_400000_NS6detail17trampoline_kernelINS0_14default_configENS1_35adjacent_difference_config_selectorILb1ElEEZNS1_24adjacent_difference_implIS3_Lb1ELb0EPlS7_ZN2at6native12_GLOBAL__N_124unique_dim_cuda_templateIbEESt5tupleIJNS8_6TensorESD_SD_EERKSD_lbbbEUlllE1_EE10hipError_tPvRmT2_T3_mT4_P12ihipStream_tbEUlT_E_NS1_11comp_targetILNS1_3genE2ELNS1_11target_archE906ELNS1_3gpuE6ELNS1_3repE0EEENS1_30default_config_static_selectorELNS0_4arch9wavefront6targetE1EEEvT1_, .Lfunc_end1056-_ZN7rocprim17ROCPRIM_400000_NS6detail17trampoline_kernelINS0_14default_configENS1_35adjacent_difference_config_selectorILb1ElEEZNS1_24adjacent_difference_implIS3_Lb1ELb0EPlS7_ZN2at6native12_GLOBAL__N_124unique_dim_cuda_templateIbEESt5tupleIJNS8_6TensorESD_SD_EERKSD_lbbbEUlllE1_EE10hipError_tPvRmT2_T3_mT4_P12ihipStream_tbEUlT_E_NS1_11comp_targetILNS1_3genE2ELNS1_11target_archE906ELNS1_3gpuE6ELNS1_3repE0EEENS1_30default_config_static_selectorELNS0_4arch9wavefront6targetE1EEEvT1_
                                        ; -- End function
	.section	.AMDGPU.csdata,"",@progbits
; Kernel info:
; codeLenInByte = 0
; NumSgprs: 6
; NumVgprs: 0
; NumAgprs: 0
; TotalNumVgprs: 0
; ScratchSize: 0
; MemoryBound: 0
; FloatMode: 240
; IeeeMode: 1
; LDSByteSize: 0 bytes/workgroup (compile time only)
; SGPRBlocks: 0
; VGPRBlocks: 0
; NumSGPRsForWavesPerEU: 6
; NumVGPRsForWavesPerEU: 1
; AccumOffset: 4
; Occupancy: 8
; WaveLimiterHint : 0
; COMPUTE_PGM_RSRC2:SCRATCH_EN: 0
; COMPUTE_PGM_RSRC2:USER_SGPR: 2
; COMPUTE_PGM_RSRC2:TRAP_HANDLER: 0
; COMPUTE_PGM_RSRC2:TGID_X_EN: 1
; COMPUTE_PGM_RSRC2:TGID_Y_EN: 0
; COMPUTE_PGM_RSRC2:TGID_Z_EN: 0
; COMPUTE_PGM_RSRC2:TIDIG_COMP_CNT: 0
; COMPUTE_PGM_RSRC3_GFX90A:ACCUM_OFFSET: 0
; COMPUTE_PGM_RSRC3_GFX90A:TG_SPLIT: 0
	.section	.text._ZN7rocprim17ROCPRIM_400000_NS6detail17trampoline_kernelINS0_14default_configENS1_35adjacent_difference_config_selectorILb1ElEEZNS1_24adjacent_difference_implIS3_Lb1ELb0EPlS7_ZN2at6native12_GLOBAL__N_124unique_dim_cuda_templateIbEESt5tupleIJNS8_6TensorESD_SD_EERKSD_lbbbEUlllE1_EE10hipError_tPvRmT2_T3_mT4_P12ihipStream_tbEUlT_E_NS1_11comp_targetILNS1_3genE9ELNS1_11target_archE1100ELNS1_3gpuE3ELNS1_3repE0EEENS1_30default_config_static_selectorELNS0_4arch9wavefront6targetE1EEEvT1_,"axG",@progbits,_ZN7rocprim17ROCPRIM_400000_NS6detail17trampoline_kernelINS0_14default_configENS1_35adjacent_difference_config_selectorILb1ElEEZNS1_24adjacent_difference_implIS3_Lb1ELb0EPlS7_ZN2at6native12_GLOBAL__N_124unique_dim_cuda_templateIbEESt5tupleIJNS8_6TensorESD_SD_EERKSD_lbbbEUlllE1_EE10hipError_tPvRmT2_T3_mT4_P12ihipStream_tbEUlT_E_NS1_11comp_targetILNS1_3genE9ELNS1_11target_archE1100ELNS1_3gpuE3ELNS1_3repE0EEENS1_30default_config_static_selectorELNS0_4arch9wavefront6targetE1EEEvT1_,comdat
	.globl	_ZN7rocprim17ROCPRIM_400000_NS6detail17trampoline_kernelINS0_14default_configENS1_35adjacent_difference_config_selectorILb1ElEEZNS1_24adjacent_difference_implIS3_Lb1ELb0EPlS7_ZN2at6native12_GLOBAL__N_124unique_dim_cuda_templateIbEESt5tupleIJNS8_6TensorESD_SD_EERKSD_lbbbEUlllE1_EE10hipError_tPvRmT2_T3_mT4_P12ihipStream_tbEUlT_E_NS1_11comp_targetILNS1_3genE9ELNS1_11target_archE1100ELNS1_3gpuE3ELNS1_3repE0EEENS1_30default_config_static_selectorELNS0_4arch9wavefront6targetE1EEEvT1_ ; -- Begin function _ZN7rocprim17ROCPRIM_400000_NS6detail17trampoline_kernelINS0_14default_configENS1_35adjacent_difference_config_selectorILb1ElEEZNS1_24adjacent_difference_implIS3_Lb1ELb0EPlS7_ZN2at6native12_GLOBAL__N_124unique_dim_cuda_templateIbEESt5tupleIJNS8_6TensorESD_SD_EERKSD_lbbbEUlllE1_EE10hipError_tPvRmT2_T3_mT4_P12ihipStream_tbEUlT_E_NS1_11comp_targetILNS1_3genE9ELNS1_11target_archE1100ELNS1_3gpuE3ELNS1_3repE0EEENS1_30default_config_static_selectorELNS0_4arch9wavefront6targetE1EEEvT1_
	.p2align	8
	.type	_ZN7rocprim17ROCPRIM_400000_NS6detail17trampoline_kernelINS0_14default_configENS1_35adjacent_difference_config_selectorILb1ElEEZNS1_24adjacent_difference_implIS3_Lb1ELb0EPlS7_ZN2at6native12_GLOBAL__N_124unique_dim_cuda_templateIbEESt5tupleIJNS8_6TensorESD_SD_EERKSD_lbbbEUlllE1_EE10hipError_tPvRmT2_T3_mT4_P12ihipStream_tbEUlT_E_NS1_11comp_targetILNS1_3genE9ELNS1_11target_archE1100ELNS1_3gpuE3ELNS1_3repE0EEENS1_30default_config_static_selectorELNS0_4arch9wavefront6targetE1EEEvT1_,@function
_ZN7rocprim17ROCPRIM_400000_NS6detail17trampoline_kernelINS0_14default_configENS1_35adjacent_difference_config_selectorILb1ElEEZNS1_24adjacent_difference_implIS3_Lb1ELb0EPlS7_ZN2at6native12_GLOBAL__N_124unique_dim_cuda_templateIbEESt5tupleIJNS8_6TensorESD_SD_EERKSD_lbbbEUlllE1_EE10hipError_tPvRmT2_T3_mT4_P12ihipStream_tbEUlT_E_NS1_11comp_targetILNS1_3genE9ELNS1_11target_archE1100ELNS1_3gpuE3ELNS1_3repE0EEENS1_30default_config_static_selectorELNS0_4arch9wavefront6targetE1EEEvT1_: ; @_ZN7rocprim17ROCPRIM_400000_NS6detail17trampoline_kernelINS0_14default_configENS1_35adjacent_difference_config_selectorILb1ElEEZNS1_24adjacent_difference_implIS3_Lb1ELb0EPlS7_ZN2at6native12_GLOBAL__N_124unique_dim_cuda_templateIbEESt5tupleIJNS8_6TensorESD_SD_EERKSD_lbbbEUlllE1_EE10hipError_tPvRmT2_T3_mT4_P12ihipStream_tbEUlT_E_NS1_11comp_targetILNS1_3genE9ELNS1_11target_archE1100ELNS1_3gpuE3ELNS1_3repE0EEENS1_30default_config_static_selectorELNS0_4arch9wavefront6targetE1EEEvT1_
; %bb.0:
	.section	.rodata,"a",@progbits
	.p2align	6, 0x0
	.amdhsa_kernel _ZN7rocprim17ROCPRIM_400000_NS6detail17trampoline_kernelINS0_14default_configENS1_35adjacent_difference_config_selectorILb1ElEEZNS1_24adjacent_difference_implIS3_Lb1ELb0EPlS7_ZN2at6native12_GLOBAL__N_124unique_dim_cuda_templateIbEESt5tupleIJNS8_6TensorESD_SD_EERKSD_lbbbEUlllE1_EE10hipError_tPvRmT2_T3_mT4_P12ihipStream_tbEUlT_E_NS1_11comp_targetILNS1_3genE9ELNS1_11target_archE1100ELNS1_3gpuE3ELNS1_3repE0EEENS1_30default_config_static_selectorELNS0_4arch9wavefront6targetE1EEEvT1_
		.amdhsa_group_segment_fixed_size 0
		.amdhsa_private_segment_fixed_size 0
		.amdhsa_kernarg_size 64
		.amdhsa_user_sgpr_count 2
		.amdhsa_user_sgpr_dispatch_ptr 0
		.amdhsa_user_sgpr_queue_ptr 0
		.amdhsa_user_sgpr_kernarg_segment_ptr 1
		.amdhsa_user_sgpr_dispatch_id 0
		.amdhsa_user_sgpr_kernarg_preload_length 0
		.amdhsa_user_sgpr_kernarg_preload_offset 0
		.amdhsa_user_sgpr_private_segment_size 0
		.amdhsa_uses_dynamic_stack 0
		.amdhsa_enable_private_segment 0
		.amdhsa_system_sgpr_workgroup_id_x 1
		.amdhsa_system_sgpr_workgroup_id_y 0
		.amdhsa_system_sgpr_workgroup_id_z 0
		.amdhsa_system_sgpr_workgroup_info 0
		.amdhsa_system_vgpr_workitem_id 0
		.amdhsa_next_free_vgpr 1
		.amdhsa_next_free_sgpr 0
		.amdhsa_accum_offset 4
		.amdhsa_reserve_vcc 0
		.amdhsa_float_round_mode_32 0
		.amdhsa_float_round_mode_16_64 0
		.amdhsa_float_denorm_mode_32 3
		.amdhsa_float_denorm_mode_16_64 3
		.amdhsa_dx10_clamp 1
		.amdhsa_ieee_mode 1
		.amdhsa_fp16_overflow 0
		.amdhsa_tg_split 0
		.amdhsa_exception_fp_ieee_invalid_op 0
		.amdhsa_exception_fp_denorm_src 0
		.amdhsa_exception_fp_ieee_div_zero 0
		.amdhsa_exception_fp_ieee_overflow 0
		.amdhsa_exception_fp_ieee_underflow 0
		.amdhsa_exception_fp_ieee_inexact 0
		.amdhsa_exception_int_div_zero 0
	.end_amdhsa_kernel
	.section	.text._ZN7rocprim17ROCPRIM_400000_NS6detail17trampoline_kernelINS0_14default_configENS1_35adjacent_difference_config_selectorILb1ElEEZNS1_24adjacent_difference_implIS3_Lb1ELb0EPlS7_ZN2at6native12_GLOBAL__N_124unique_dim_cuda_templateIbEESt5tupleIJNS8_6TensorESD_SD_EERKSD_lbbbEUlllE1_EE10hipError_tPvRmT2_T3_mT4_P12ihipStream_tbEUlT_E_NS1_11comp_targetILNS1_3genE9ELNS1_11target_archE1100ELNS1_3gpuE3ELNS1_3repE0EEENS1_30default_config_static_selectorELNS0_4arch9wavefront6targetE1EEEvT1_,"axG",@progbits,_ZN7rocprim17ROCPRIM_400000_NS6detail17trampoline_kernelINS0_14default_configENS1_35adjacent_difference_config_selectorILb1ElEEZNS1_24adjacent_difference_implIS3_Lb1ELb0EPlS7_ZN2at6native12_GLOBAL__N_124unique_dim_cuda_templateIbEESt5tupleIJNS8_6TensorESD_SD_EERKSD_lbbbEUlllE1_EE10hipError_tPvRmT2_T3_mT4_P12ihipStream_tbEUlT_E_NS1_11comp_targetILNS1_3genE9ELNS1_11target_archE1100ELNS1_3gpuE3ELNS1_3repE0EEENS1_30default_config_static_selectorELNS0_4arch9wavefront6targetE1EEEvT1_,comdat
.Lfunc_end1057:
	.size	_ZN7rocprim17ROCPRIM_400000_NS6detail17trampoline_kernelINS0_14default_configENS1_35adjacent_difference_config_selectorILb1ElEEZNS1_24adjacent_difference_implIS3_Lb1ELb0EPlS7_ZN2at6native12_GLOBAL__N_124unique_dim_cuda_templateIbEESt5tupleIJNS8_6TensorESD_SD_EERKSD_lbbbEUlllE1_EE10hipError_tPvRmT2_T3_mT4_P12ihipStream_tbEUlT_E_NS1_11comp_targetILNS1_3genE9ELNS1_11target_archE1100ELNS1_3gpuE3ELNS1_3repE0EEENS1_30default_config_static_selectorELNS0_4arch9wavefront6targetE1EEEvT1_, .Lfunc_end1057-_ZN7rocprim17ROCPRIM_400000_NS6detail17trampoline_kernelINS0_14default_configENS1_35adjacent_difference_config_selectorILb1ElEEZNS1_24adjacent_difference_implIS3_Lb1ELb0EPlS7_ZN2at6native12_GLOBAL__N_124unique_dim_cuda_templateIbEESt5tupleIJNS8_6TensorESD_SD_EERKSD_lbbbEUlllE1_EE10hipError_tPvRmT2_T3_mT4_P12ihipStream_tbEUlT_E_NS1_11comp_targetILNS1_3genE9ELNS1_11target_archE1100ELNS1_3gpuE3ELNS1_3repE0EEENS1_30default_config_static_selectorELNS0_4arch9wavefront6targetE1EEEvT1_
                                        ; -- End function
	.section	.AMDGPU.csdata,"",@progbits
; Kernel info:
; codeLenInByte = 0
; NumSgprs: 6
; NumVgprs: 0
; NumAgprs: 0
; TotalNumVgprs: 0
; ScratchSize: 0
; MemoryBound: 0
; FloatMode: 240
; IeeeMode: 1
; LDSByteSize: 0 bytes/workgroup (compile time only)
; SGPRBlocks: 0
; VGPRBlocks: 0
; NumSGPRsForWavesPerEU: 6
; NumVGPRsForWavesPerEU: 1
; AccumOffset: 4
; Occupancy: 8
; WaveLimiterHint : 0
; COMPUTE_PGM_RSRC2:SCRATCH_EN: 0
; COMPUTE_PGM_RSRC2:USER_SGPR: 2
; COMPUTE_PGM_RSRC2:TRAP_HANDLER: 0
; COMPUTE_PGM_RSRC2:TGID_X_EN: 1
; COMPUTE_PGM_RSRC2:TGID_Y_EN: 0
; COMPUTE_PGM_RSRC2:TGID_Z_EN: 0
; COMPUTE_PGM_RSRC2:TIDIG_COMP_CNT: 0
; COMPUTE_PGM_RSRC3_GFX90A:ACCUM_OFFSET: 0
; COMPUTE_PGM_RSRC3_GFX90A:TG_SPLIT: 0
	.section	.text._ZN7rocprim17ROCPRIM_400000_NS6detail17trampoline_kernelINS0_14default_configENS1_35adjacent_difference_config_selectorILb1ElEEZNS1_24adjacent_difference_implIS3_Lb1ELb0EPlS7_ZN2at6native12_GLOBAL__N_124unique_dim_cuda_templateIbEESt5tupleIJNS8_6TensorESD_SD_EERKSD_lbbbEUlllE1_EE10hipError_tPvRmT2_T3_mT4_P12ihipStream_tbEUlT_E_NS1_11comp_targetILNS1_3genE8ELNS1_11target_archE1030ELNS1_3gpuE2ELNS1_3repE0EEENS1_30default_config_static_selectorELNS0_4arch9wavefront6targetE1EEEvT1_,"axG",@progbits,_ZN7rocprim17ROCPRIM_400000_NS6detail17trampoline_kernelINS0_14default_configENS1_35adjacent_difference_config_selectorILb1ElEEZNS1_24adjacent_difference_implIS3_Lb1ELb0EPlS7_ZN2at6native12_GLOBAL__N_124unique_dim_cuda_templateIbEESt5tupleIJNS8_6TensorESD_SD_EERKSD_lbbbEUlllE1_EE10hipError_tPvRmT2_T3_mT4_P12ihipStream_tbEUlT_E_NS1_11comp_targetILNS1_3genE8ELNS1_11target_archE1030ELNS1_3gpuE2ELNS1_3repE0EEENS1_30default_config_static_selectorELNS0_4arch9wavefront6targetE1EEEvT1_,comdat
	.globl	_ZN7rocprim17ROCPRIM_400000_NS6detail17trampoline_kernelINS0_14default_configENS1_35adjacent_difference_config_selectorILb1ElEEZNS1_24adjacent_difference_implIS3_Lb1ELb0EPlS7_ZN2at6native12_GLOBAL__N_124unique_dim_cuda_templateIbEESt5tupleIJNS8_6TensorESD_SD_EERKSD_lbbbEUlllE1_EE10hipError_tPvRmT2_T3_mT4_P12ihipStream_tbEUlT_E_NS1_11comp_targetILNS1_3genE8ELNS1_11target_archE1030ELNS1_3gpuE2ELNS1_3repE0EEENS1_30default_config_static_selectorELNS0_4arch9wavefront6targetE1EEEvT1_ ; -- Begin function _ZN7rocprim17ROCPRIM_400000_NS6detail17trampoline_kernelINS0_14default_configENS1_35adjacent_difference_config_selectorILb1ElEEZNS1_24adjacent_difference_implIS3_Lb1ELb0EPlS7_ZN2at6native12_GLOBAL__N_124unique_dim_cuda_templateIbEESt5tupleIJNS8_6TensorESD_SD_EERKSD_lbbbEUlllE1_EE10hipError_tPvRmT2_T3_mT4_P12ihipStream_tbEUlT_E_NS1_11comp_targetILNS1_3genE8ELNS1_11target_archE1030ELNS1_3gpuE2ELNS1_3repE0EEENS1_30default_config_static_selectorELNS0_4arch9wavefront6targetE1EEEvT1_
	.p2align	8
	.type	_ZN7rocprim17ROCPRIM_400000_NS6detail17trampoline_kernelINS0_14default_configENS1_35adjacent_difference_config_selectorILb1ElEEZNS1_24adjacent_difference_implIS3_Lb1ELb0EPlS7_ZN2at6native12_GLOBAL__N_124unique_dim_cuda_templateIbEESt5tupleIJNS8_6TensorESD_SD_EERKSD_lbbbEUlllE1_EE10hipError_tPvRmT2_T3_mT4_P12ihipStream_tbEUlT_E_NS1_11comp_targetILNS1_3genE8ELNS1_11target_archE1030ELNS1_3gpuE2ELNS1_3repE0EEENS1_30default_config_static_selectorELNS0_4arch9wavefront6targetE1EEEvT1_,@function
_ZN7rocprim17ROCPRIM_400000_NS6detail17trampoline_kernelINS0_14default_configENS1_35adjacent_difference_config_selectorILb1ElEEZNS1_24adjacent_difference_implIS3_Lb1ELb0EPlS7_ZN2at6native12_GLOBAL__N_124unique_dim_cuda_templateIbEESt5tupleIJNS8_6TensorESD_SD_EERKSD_lbbbEUlllE1_EE10hipError_tPvRmT2_T3_mT4_P12ihipStream_tbEUlT_E_NS1_11comp_targetILNS1_3genE8ELNS1_11target_archE1030ELNS1_3gpuE2ELNS1_3repE0EEENS1_30default_config_static_selectorELNS0_4arch9wavefront6targetE1EEEvT1_: ; @_ZN7rocprim17ROCPRIM_400000_NS6detail17trampoline_kernelINS0_14default_configENS1_35adjacent_difference_config_selectorILb1ElEEZNS1_24adjacent_difference_implIS3_Lb1ELb0EPlS7_ZN2at6native12_GLOBAL__N_124unique_dim_cuda_templateIbEESt5tupleIJNS8_6TensorESD_SD_EERKSD_lbbbEUlllE1_EE10hipError_tPvRmT2_T3_mT4_P12ihipStream_tbEUlT_E_NS1_11comp_targetILNS1_3genE8ELNS1_11target_archE1030ELNS1_3gpuE2ELNS1_3repE0EEENS1_30default_config_static_selectorELNS0_4arch9wavefront6targetE1EEEvT1_
; %bb.0:
	.section	.rodata,"a",@progbits
	.p2align	6, 0x0
	.amdhsa_kernel _ZN7rocprim17ROCPRIM_400000_NS6detail17trampoline_kernelINS0_14default_configENS1_35adjacent_difference_config_selectorILb1ElEEZNS1_24adjacent_difference_implIS3_Lb1ELb0EPlS7_ZN2at6native12_GLOBAL__N_124unique_dim_cuda_templateIbEESt5tupleIJNS8_6TensorESD_SD_EERKSD_lbbbEUlllE1_EE10hipError_tPvRmT2_T3_mT4_P12ihipStream_tbEUlT_E_NS1_11comp_targetILNS1_3genE8ELNS1_11target_archE1030ELNS1_3gpuE2ELNS1_3repE0EEENS1_30default_config_static_selectorELNS0_4arch9wavefront6targetE1EEEvT1_
		.amdhsa_group_segment_fixed_size 0
		.amdhsa_private_segment_fixed_size 0
		.amdhsa_kernarg_size 64
		.amdhsa_user_sgpr_count 2
		.amdhsa_user_sgpr_dispatch_ptr 0
		.amdhsa_user_sgpr_queue_ptr 0
		.amdhsa_user_sgpr_kernarg_segment_ptr 1
		.amdhsa_user_sgpr_dispatch_id 0
		.amdhsa_user_sgpr_kernarg_preload_length 0
		.amdhsa_user_sgpr_kernarg_preload_offset 0
		.amdhsa_user_sgpr_private_segment_size 0
		.amdhsa_uses_dynamic_stack 0
		.amdhsa_enable_private_segment 0
		.amdhsa_system_sgpr_workgroup_id_x 1
		.amdhsa_system_sgpr_workgroup_id_y 0
		.amdhsa_system_sgpr_workgroup_id_z 0
		.amdhsa_system_sgpr_workgroup_info 0
		.amdhsa_system_vgpr_workitem_id 0
		.amdhsa_next_free_vgpr 1
		.amdhsa_next_free_sgpr 0
		.amdhsa_accum_offset 4
		.amdhsa_reserve_vcc 0
		.amdhsa_float_round_mode_32 0
		.amdhsa_float_round_mode_16_64 0
		.amdhsa_float_denorm_mode_32 3
		.amdhsa_float_denorm_mode_16_64 3
		.amdhsa_dx10_clamp 1
		.amdhsa_ieee_mode 1
		.amdhsa_fp16_overflow 0
		.amdhsa_tg_split 0
		.amdhsa_exception_fp_ieee_invalid_op 0
		.amdhsa_exception_fp_denorm_src 0
		.amdhsa_exception_fp_ieee_div_zero 0
		.amdhsa_exception_fp_ieee_overflow 0
		.amdhsa_exception_fp_ieee_underflow 0
		.amdhsa_exception_fp_ieee_inexact 0
		.amdhsa_exception_int_div_zero 0
	.end_amdhsa_kernel
	.section	.text._ZN7rocprim17ROCPRIM_400000_NS6detail17trampoline_kernelINS0_14default_configENS1_35adjacent_difference_config_selectorILb1ElEEZNS1_24adjacent_difference_implIS3_Lb1ELb0EPlS7_ZN2at6native12_GLOBAL__N_124unique_dim_cuda_templateIbEESt5tupleIJNS8_6TensorESD_SD_EERKSD_lbbbEUlllE1_EE10hipError_tPvRmT2_T3_mT4_P12ihipStream_tbEUlT_E_NS1_11comp_targetILNS1_3genE8ELNS1_11target_archE1030ELNS1_3gpuE2ELNS1_3repE0EEENS1_30default_config_static_selectorELNS0_4arch9wavefront6targetE1EEEvT1_,"axG",@progbits,_ZN7rocprim17ROCPRIM_400000_NS6detail17trampoline_kernelINS0_14default_configENS1_35adjacent_difference_config_selectorILb1ElEEZNS1_24adjacent_difference_implIS3_Lb1ELb0EPlS7_ZN2at6native12_GLOBAL__N_124unique_dim_cuda_templateIbEESt5tupleIJNS8_6TensorESD_SD_EERKSD_lbbbEUlllE1_EE10hipError_tPvRmT2_T3_mT4_P12ihipStream_tbEUlT_E_NS1_11comp_targetILNS1_3genE8ELNS1_11target_archE1030ELNS1_3gpuE2ELNS1_3repE0EEENS1_30default_config_static_selectorELNS0_4arch9wavefront6targetE1EEEvT1_,comdat
.Lfunc_end1058:
	.size	_ZN7rocprim17ROCPRIM_400000_NS6detail17trampoline_kernelINS0_14default_configENS1_35adjacent_difference_config_selectorILb1ElEEZNS1_24adjacent_difference_implIS3_Lb1ELb0EPlS7_ZN2at6native12_GLOBAL__N_124unique_dim_cuda_templateIbEESt5tupleIJNS8_6TensorESD_SD_EERKSD_lbbbEUlllE1_EE10hipError_tPvRmT2_T3_mT4_P12ihipStream_tbEUlT_E_NS1_11comp_targetILNS1_3genE8ELNS1_11target_archE1030ELNS1_3gpuE2ELNS1_3repE0EEENS1_30default_config_static_selectorELNS0_4arch9wavefront6targetE1EEEvT1_, .Lfunc_end1058-_ZN7rocprim17ROCPRIM_400000_NS6detail17trampoline_kernelINS0_14default_configENS1_35adjacent_difference_config_selectorILb1ElEEZNS1_24adjacent_difference_implIS3_Lb1ELb0EPlS7_ZN2at6native12_GLOBAL__N_124unique_dim_cuda_templateIbEESt5tupleIJNS8_6TensorESD_SD_EERKSD_lbbbEUlllE1_EE10hipError_tPvRmT2_T3_mT4_P12ihipStream_tbEUlT_E_NS1_11comp_targetILNS1_3genE8ELNS1_11target_archE1030ELNS1_3gpuE2ELNS1_3repE0EEENS1_30default_config_static_selectorELNS0_4arch9wavefront6targetE1EEEvT1_
                                        ; -- End function
	.section	.AMDGPU.csdata,"",@progbits
; Kernel info:
; codeLenInByte = 0
; NumSgprs: 6
; NumVgprs: 0
; NumAgprs: 0
; TotalNumVgprs: 0
; ScratchSize: 0
; MemoryBound: 0
; FloatMode: 240
; IeeeMode: 1
; LDSByteSize: 0 bytes/workgroup (compile time only)
; SGPRBlocks: 0
; VGPRBlocks: 0
; NumSGPRsForWavesPerEU: 6
; NumVGPRsForWavesPerEU: 1
; AccumOffset: 4
; Occupancy: 8
; WaveLimiterHint : 0
; COMPUTE_PGM_RSRC2:SCRATCH_EN: 0
; COMPUTE_PGM_RSRC2:USER_SGPR: 2
; COMPUTE_PGM_RSRC2:TRAP_HANDLER: 0
; COMPUTE_PGM_RSRC2:TGID_X_EN: 1
; COMPUTE_PGM_RSRC2:TGID_Y_EN: 0
; COMPUTE_PGM_RSRC2:TGID_Z_EN: 0
; COMPUTE_PGM_RSRC2:TIDIG_COMP_CNT: 0
; COMPUTE_PGM_RSRC3_GFX90A:ACCUM_OFFSET: 0
; COMPUTE_PGM_RSRC3_GFX90A:TG_SPLIT: 0
	.section	.text._ZN7rocprim17ROCPRIM_400000_NS6detail17trampoline_kernelINS0_14default_configENS1_25partition_config_selectorILNS1_17partition_subalgoE8ElNS0_10empty_typeEbEEZZNS1_14partition_implILS5_8ELb0ES3_jPlPS6_PKS6_NS0_5tupleIJS9_S6_EEENSD_IJSA_SA_EEENS0_18inequality_wrapperIZN2at6native12_GLOBAL__N_124unique_dim_cuda_templateIbEESt5tupleIJNSH_6TensorESM_SM_EERKSM_lbbbEUlllE0_EEPmJS6_EEE10hipError_tPvRmT3_T4_T5_T6_T7_T9_mT8_P12ihipStream_tbDpT10_ENKUlT_T0_E_clISt17integral_constantIbLb0EES1C_EEDaS17_S18_EUlS17_E_NS1_11comp_targetILNS1_3genE0ELNS1_11target_archE4294967295ELNS1_3gpuE0ELNS1_3repE0EEENS1_30default_config_static_selectorELNS0_4arch9wavefront6targetE1EEEvT1_,"axG",@progbits,_ZN7rocprim17ROCPRIM_400000_NS6detail17trampoline_kernelINS0_14default_configENS1_25partition_config_selectorILNS1_17partition_subalgoE8ElNS0_10empty_typeEbEEZZNS1_14partition_implILS5_8ELb0ES3_jPlPS6_PKS6_NS0_5tupleIJS9_S6_EEENSD_IJSA_SA_EEENS0_18inequality_wrapperIZN2at6native12_GLOBAL__N_124unique_dim_cuda_templateIbEESt5tupleIJNSH_6TensorESM_SM_EERKSM_lbbbEUlllE0_EEPmJS6_EEE10hipError_tPvRmT3_T4_T5_T6_T7_T9_mT8_P12ihipStream_tbDpT10_ENKUlT_T0_E_clISt17integral_constantIbLb0EES1C_EEDaS17_S18_EUlS17_E_NS1_11comp_targetILNS1_3genE0ELNS1_11target_archE4294967295ELNS1_3gpuE0ELNS1_3repE0EEENS1_30default_config_static_selectorELNS0_4arch9wavefront6targetE1EEEvT1_,comdat
	.globl	_ZN7rocprim17ROCPRIM_400000_NS6detail17trampoline_kernelINS0_14default_configENS1_25partition_config_selectorILNS1_17partition_subalgoE8ElNS0_10empty_typeEbEEZZNS1_14partition_implILS5_8ELb0ES3_jPlPS6_PKS6_NS0_5tupleIJS9_S6_EEENSD_IJSA_SA_EEENS0_18inequality_wrapperIZN2at6native12_GLOBAL__N_124unique_dim_cuda_templateIbEESt5tupleIJNSH_6TensorESM_SM_EERKSM_lbbbEUlllE0_EEPmJS6_EEE10hipError_tPvRmT3_T4_T5_T6_T7_T9_mT8_P12ihipStream_tbDpT10_ENKUlT_T0_E_clISt17integral_constantIbLb0EES1C_EEDaS17_S18_EUlS17_E_NS1_11comp_targetILNS1_3genE0ELNS1_11target_archE4294967295ELNS1_3gpuE0ELNS1_3repE0EEENS1_30default_config_static_selectorELNS0_4arch9wavefront6targetE1EEEvT1_ ; -- Begin function _ZN7rocprim17ROCPRIM_400000_NS6detail17trampoline_kernelINS0_14default_configENS1_25partition_config_selectorILNS1_17partition_subalgoE8ElNS0_10empty_typeEbEEZZNS1_14partition_implILS5_8ELb0ES3_jPlPS6_PKS6_NS0_5tupleIJS9_S6_EEENSD_IJSA_SA_EEENS0_18inequality_wrapperIZN2at6native12_GLOBAL__N_124unique_dim_cuda_templateIbEESt5tupleIJNSH_6TensorESM_SM_EERKSM_lbbbEUlllE0_EEPmJS6_EEE10hipError_tPvRmT3_T4_T5_T6_T7_T9_mT8_P12ihipStream_tbDpT10_ENKUlT_T0_E_clISt17integral_constantIbLb0EES1C_EEDaS17_S18_EUlS17_E_NS1_11comp_targetILNS1_3genE0ELNS1_11target_archE4294967295ELNS1_3gpuE0ELNS1_3repE0EEENS1_30default_config_static_selectorELNS0_4arch9wavefront6targetE1EEEvT1_
	.p2align	8
	.type	_ZN7rocprim17ROCPRIM_400000_NS6detail17trampoline_kernelINS0_14default_configENS1_25partition_config_selectorILNS1_17partition_subalgoE8ElNS0_10empty_typeEbEEZZNS1_14partition_implILS5_8ELb0ES3_jPlPS6_PKS6_NS0_5tupleIJS9_S6_EEENSD_IJSA_SA_EEENS0_18inequality_wrapperIZN2at6native12_GLOBAL__N_124unique_dim_cuda_templateIbEESt5tupleIJNSH_6TensorESM_SM_EERKSM_lbbbEUlllE0_EEPmJS6_EEE10hipError_tPvRmT3_T4_T5_T6_T7_T9_mT8_P12ihipStream_tbDpT10_ENKUlT_T0_E_clISt17integral_constantIbLb0EES1C_EEDaS17_S18_EUlS17_E_NS1_11comp_targetILNS1_3genE0ELNS1_11target_archE4294967295ELNS1_3gpuE0ELNS1_3repE0EEENS1_30default_config_static_selectorELNS0_4arch9wavefront6targetE1EEEvT1_,@function
_ZN7rocprim17ROCPRIM_400000_NS6detail17trampoline_kernelINS0_14default_configENS1_25partition_config_selectorILNS1_17partition_subalgoE8ElNS0_10empty_typeEbEEZZNS1_14partition_implILS5_8ELb0ES3_jPlPS6_PKS6_NS0_5tupleIJS9_S6_EEENSD_IJSA_SA_EEENS0_18inequality_wrapperIZN2at6native12_GLOBAL__N_124unique_dim_cuda_templateIbEESt5tupleIJNSH_6TensorESM_SM_EERKSM_lbbbEUlllE0_EEPmJS6_EEE10hipError_tPvRmT3_T4_T5_T6_T7_T9_mT8_P12ihipStream_tbDpT10_ENKUlT_T0_E_clISt17integral_constantIbLb0EES1C_EEDaS17_S18_EUlS17_E_NS1_11comp_targetILNS1_3genE0ELNS1_11target_archE4294967295ELNS1_3gpuE0ELNS1_3repE0EEENS1_30default_config_static_selectorELNS0_4arch9wavefront6targetE1EEEvT1_: ; @_ZN7rocprim17ROCPRIM_400000_NS6detail17trampoline_kernelINS0_14default_configENS1_25partition_config_selectorILNS1_17partition_subalgoE8ElNS0_10empty_typeEbEEZZNS1_14partition_implILS5_8ELb0ES3_jPlPS6_PKS6_NS0_5tupleIJS9_S6_EEENSD_IJSA_SA_EEENS0_18inequality_wrapperIZN2at6native12_GLOBAL__N_124unique_dim_cuda_templateIbEESt5tupleIJNSH_6TensorESM_SM_EERKSM_lbbbEUlllE0_EEPmJS6_EEE10hipError_tPvRmT3_T4_T5_T6_T7_T9_mT8_P12ihipStream_tbDpT10_ENKUlT_T0_E_clISt17integral_constantIbLb0EES1C_EEDaS17_S18_EUlS17_E_NS1_11comp_targetILNS1_3genE0ELNS1_11target_archE4294967295ELNS1_3gpuE0ELNS1_3repE0EEENS1_30default_config_static_selectorELNS0_4arch9wavefront6targetE1EEEvT1_
; %bb.0:
	.section	.rodata,"a",@progbits
	.p2align	6, 0x0
	.amdhsa_kernel _ZN7rocprim17ROCPRIM_400000_NS6detail17trampoline_kernelINS0_14default_configENS1_25partition_config_selectorILNS1_17partition_subalgoE8ElNS0_10empty_typeEbEEZZNS1_14partition_implILS5_8ELb0ES3_jPlPS6_PKS6_NS0_5tupleIJS9_S6_EEENSD_IJSA_SA_EEENS0_18inequality_wrapperIZN2at6native12_GLOBAL__N_124unique_dim_cuda_templateIbEESt5tupleIJNSH_6TensorESM_SM_EERKSM_lbbbEUlllE0_EEPmJS6_EEE10hipError_tPvRmT3_T4_T5_T6_T7_T9_mT8_P12ihipStream_tbDpT10_ENKUlT_T0_E_clISt17integral_constantIbLb0EES1C_EEDaS17_S18_EUlS17_E_NS1_11comp_targetILNS1_3genE0ELNS1_11target_archE4294967295ELNS1_3gpuE0ELNS1_3repE0EEENS1_30default_config_static_selectorELNS0_4arch9wavefront6targetE1EEEvT1_
		.amdhsa_group_segment_fixed_size 0
		.amdhsa_private_segment_fixed_size 0
		.amdhsa_kernarg_size 120
		.amdhsa_user_sgpr_count 2
		.amdhsa_user_sgpr_dispatch_ptr 0
		.amdhsa_user_sgpr_queue_ptr 0
		.amdhsa_user_sgpr_kernarg_segment_ptr 1
		.amdhsa_user_sgpr_dispatch_id 0
		.amdhsa_user_sgpr_kernarg_preload_length 0
		.amdhsa_user_sgpr_kernarg_preload_offset 0
		.amdhsa_user_sgpr_private_segment_size 0
		.amdhsa_uses_dynamic_stack 0
		.amdhsa_enable_private_segment 0
		.amdhsa_system_sgpr_workgroup_id_x 1
		.amdhsa_system_sgpr_workgroup_id_y 0
		.amdhsa_system_sgpr_workgroup_id_z 0
		.amdhsa_system_sgpr_workgroup_info 0
		.amdhsa_system_vgpr_workitem_id 0
		.amdhsa_next_free_vgpr 1
		.amdhsa_next_free_sgpr 0
		.amdhsa_accum_offset 4
		.amdhsa_reserve_vcc 0
		.amdhsa_float_round_mode_32 0
		.amdhsa_float_round_mode_16_64 0
		.amdhsa_float_denorm_mode_32 3
		.amdhsa_float_denorm_mode_16_64 3
		.amdhsa_dx10_clamp 1
		.amdhsa_ieee_mode 1
		.amdhsa_fp16_overflow 0
		.amdhsa_tg_split 0
		.amdhsa_exception_fp_ieee_invalid_op 0
		.amdhsa_exception_fp_denorm_src 0
		.amdhsa_exception_fp_ieee_div_zero 0
		.amdhsa_exception_fp_ieee_overflow 0
		.amdhsa_exception_fp_ieee_underflow 0
		.amdhsa_exception_fp_ieee_inexact 0
		.amdhsa_exception_int_div_zero 0
	.end_amdhsa_kernel
	.section	.text._ZN7rocprim17ROCPRIM_400000_NS6detail17trampoline_kernelINS0_14default_configENS1_25partition_config_selectorILNS1_17partition_subalgoE8ElNS0_10empty_typeEbEEZZNS1_14partition_implILS5_8ELb0ES3_jPlPS6_PKS6_NS0_5tupleIJS9_S6_EEENSD_IJSA_SA_EEENS0_18inequality_wrapperIZN2at6native12_GLOBAL__N_124unique_dim_cuda_templateIbEESt5tupleIJNSH_6TensorESM_SM_EERKSM_lbbbEUlllE0_EEPmJS6_EEE10hipError_tPvRmT3_T4_T5_T6_T7_T9_mT8_P12ihipStream_tbDpT10_ENKUlT_T0_E_clISt17integral_constantIbLb0EES1C_EEDaS17_S18_EUlS17_E_NS1_11comp_targetILNS1_3genE0ELNS1_11target_archE4294967295ELNS1_3gpuE0ELNS1_3repE0EEENS1_30default_config_static_selectorELNS0_4arch9wavefront6targetE1EEEvT1_,"axG",@progbits,_ZN7rocprim17ROCPRIM_400000_NS6detail17trampoline_kernelINS0_14default_configENS1_25partition_config_selectorILNS1_17partition_subalgoE8ElNS0_10empty_typeEbEEZZNS1_14partition_implILS5_8ELb0ES3_jPlPS6_PKS6_NS0_5tupleIJS9_S6_EEENSD_IJSA_SA_EEENS0_18inequality_wrapperIZN2at6native12_GLOBAL__N_124unique_dim_cuda_templateIbEESt5tupleIJNSH_6TensorESM_SM_EERKSM_lbbbEUlllE0_EEPmJS6_EEE10hipError_tPvRmT3_T4_T5_T6_T7_T9_mT8_P12ihipStream_tbDpT10_ENKUlT_T0_E_clISt17integral_constantIbLb0EES1C_EEDaS17_S18_EUlS17_E_NS1_11comp_targetILNS1_3genE0ELNS1_11target_archE4294967295ELNS1_3gpuE0ELNS1_3repE0EEENS1_30default_config_static_selectorELNS0_4arch9wavefront6targetE1EEEvT1_,comdat
.Lfunc_end1059:
	.size	_ZN7rocprim17ROCPRIM_400000_NS6detail17trampoline_kernelINS0_14default_configENS1_25partition_config_selectorILNS1_17partition_subalgoE8ElNS0_10empty_typeEbEEZZNS1_14partition_implILS5_8ELb0ES3_jPlPS6_PKS6_NS0_5tupleIJS9_S6_EEENSD_IJSA_SA_EEENS0_18inequality_wrapperIZN2at6native12_GLOBAL__N_124unique_dim_cuda_templateIbEESt5tupleIJNSH_6TensorESM_SM_EERKSM_lbbbEUlllE0_EEPmJS6_EEE10hipError_tPvRmT3_T4_T5_T6_T7_T9_mT8_P12ihipStream_tbDpT10_ENKUlT_T0_E_clISt17integral_constantIbLb0EES1C_EEDaS17_S18_EUlS17_E_NS1_11comp_targetILNS1_3genE0ELNS1_11target_archE4294967295ELNS1_3gpuE0ELNS1_3repE0EEENS1_30default_config_static_selectorELNS0_4arch9wavefront6targetE1EEEvT1_, .Lfunc_end1059-_ZN7rocprim17ROCPRIM_400000_NS6detail17trampoline_kernelINS0_14default_configENS1_25partition_config_selectorILNS1_17partition_subalgoE8ElNS0_10empty_typeEbEEZZNS1_14partition_implILS5_8ELb0ES3_jPlPS6_PKS6_NS0_5tupleIJS9_S6_EEENSD_IJSA_SA_EEENS0_18inequality_wrapperIZN2at6native12_GLOBAL__N_124unique_dim_cuda_templateIbEESt5tupleIJNSH_6TensorESM_SM_EERKSM_lbbbEUlllE0_EEPmJS6_EEE10hipError_tPvRmT3_T4_T5_T6_T7_T9_mT8_P12ihipStream_tbDpT10_ENKUlT_T0_E_clISt17integral_constantIbLb0EES1C_EEDaS17_S18_EUlS17_E_NS1_11comp_targetILNS1_3genE0ELNS1_11target_archE4294967295ELNS1_3gpuE0ELNS1_3repE0EEENS1_30default_config_static_selectorELNS0_4arch9wavefront6targetE1EEEvT1_
                                        ; -- End function
	.section	.AMDGPU.csdata,"",@progbits
; Kernel info:
; codeLenInByte = 0
; NumSgprs: 6
; NumVgprs: 0
; NumAgprs: 0
; TotalNumVgprs: 0
; ScratchSize: 0
; MemoryBound: 0
; FloatMode: 240
; IeeeMode: 1
; LDSByteSize: 0 bytes/workgroup (compile time only)
; SGPRBlocks: 0
; VGPRBlocks: 0
; NumSGPRsForWavesPerEU: 6
; NumVGPRsForWavesPerEU: 1
; AccumOffset: 4
; Occupancy: 8
; WaveLimiterHint : 0
; COMPUTE_PGM_RSRC2:SCRATCH_EN: 0
; COMPUTE_PGM_RSRC2:USER_SGPR: 2
; COMPUTE_PGM_RSRC2:TRAP_HANDLER: 0
; COMPUTE_PGM_RSRC2:TGID_X_EN: 1
; COMPUTE_PGM_RSRC2:TGID_Y_EN: 0
; COMPUTE_PGM_RSRC2:TGID_Z_EN: 0
; COMPUTE_PGM_RSRC2:TIDIG_COMP_CNT: 0
; COMPUTE_PGM_RSRC3_GFX90A:ACCUM_OFFSET: 0
; COMPUTE_PGM_RSRC3_GFX90A:TG_SPLIT: 0
	.section	.text._ZN7rocprim17ROCPRIM_400000_NS6detail17trampoline_kernelINS0_14default_configENS1_25partition_config_selectorILNS1_17partition_subalgoE8ElNS0_10empty_typeEbEEZZNS1_14partition_implILS5_8ELb0ES3_jPlPS6_PKS6_NS0_5tupleIJS9_S6_EEENSD_IJSA_SA_EEENS0_18inequality_wrapperIZN2at6native12_GLOBAL__N_124unique_dim_cuda_templateIbEESt5tupleIJNSH_6TensorESM_SM_EERKSM_lbbbEUlllE0_EEPmJS6_EEE10hipError_tPvRmT3_T4_T5_T6_T7_T9_mT8_P12ihipStream_tbDpT10_ENKUlT_T0_E_clISt17integral_constantIbLb0EES1C_EEDaS17_S18_EUlS17_E_NS1_11comp_targetILNS1_3genE5ELNS1_11target_archE942ELNS1_3gpuE9ELNS1_3repE0EEENS1_30default_config_static_selectorELNS0_4arch9wavefront6targetE1EEEvT1_,"axG",@progbits,_ZN7rocprim17ROCPRIM_400000_NS6detail17trampoline_kernelINS0_14default_configENS1_25partition_config_selectorILNS1_17partition_subalgoE8ElNS0_10empty_typeEbEEZZNS1_14partition_implILS5_8ELb0ES3_jPlPS6_PKS6_NS0_5tupleIJS9_S6_EEENSD_IJSA_SA_EEENS0_18inequality_wrapperIZN2at6native12_GLOBAL__N_124unique_dim_cuda_templateIbEESt5tupleIJNSH_6TensorESM_SM_EERKSM_lbbbEUlllE0_EEPmJS6_EEE10hipError_tPvRmT3_T4_T5_T6_T7_T9_mT8_P12ihipStream_tbDpT10_ENKUlT_T0_E_clISt17integral_constantIbLb0EES1C_EEDaS17_S18_EUlS17_E_NS1_11comp_targetILNS1_3genE5ELNS1_11target_archE942ELNS1_3gpuE9ELNS1_3repE0EEENS1_30default_config_static_selectorELNS0_4arch9wavefront6targetE1EEEvT1_,comdat
	.globl	_ZN7rocprim17ROCPRIM_400000_NS6detail17trampoline_kernelINS0_14default_configENS1_25partition_config_selectorILNS1_17partition_subalgoE8ElNS0_10empty_typeEbEEZZNS1_14partition_implILS5_8ELb0ES3_jPlPS6_PKS6_NS0_5tupleIJS9_S6_EEENSD_IJSA_SA_EEENS0_18inequality_wrapperIZN2at6native12_GLOBAL__N_124unique_dim_cuda_templateIbEESt5tupleIJNSH_6TensorESM_SM_EERKSM_lbbbEUlllE0_EEPmJS6_EEE10hipError_tPvRmT3_T4_T5_T6_T7_T9_mT8_P12ihipStream_tbDpT10_ENKUlT_T0_E_clISt17integral_constantIbLb0EES1C_EEDaS17_S18_EUlS17_E_NS1_11comp_targetILNS1_3genE5ELNS1_11target_archE942ELNS1_3gpuE9ELNS1_3repE0EEENS1_30default_config_static_selectorELNS0_4arch9wavefront6targetE1EEEvT1_ ; -- Begin function _ZN7rocprim17ROCPRIM_400000_NS6detail17trampoline_kernelINS0_14default_configENS1_25partition_config_selectorILNS1_17partition_subalgoE8ElNS0_10empty_typeEbEEZZNS1_14partition_implILS5_8ELb0ES3_jPlPS6_PKS6_NS0_5tupleIJS9_S6_EEENSD_IJSA_SA_EEENS0_18inequality_wrapperIZN2at6native12_GLOBAL__N_124unique_dim_cuda_templateIbEESt5tupleIJNSH_6TensorESM_SM_EERKSM_lbbbEUlllE0_EEPmJS6_EEE10hipError_tPvRmT3_T4_T5_T6_T7_T9_mT8_P12ihipStream_tbDpT10_ENKUlT_T0_E_clISt17integral_constantIbLb0EES1C_EEDaS17_S18_EUlS17_E_NS1_11comp_targetILNS1_3genE5ELNS1_11target_archE942ELNS1_3gpuE9ELNS1_3repE0EEENS1_30default_config_static_selectorELNS0_4arch9wavefront6targetE1EEEvT1_
	.p2align	8
	.type	_ZN7rocprim17ROCPRIM_400000_NS6detail17trampoline_kernelINS0_14default_configENS1_25partition_config_selectorILNS1_17partition_subalgoE8ElNS0_10empty_typeEbEEZZNS1_14partition_implILS5_8ELb0ES3_jPlPS6_PKS6_NS0_5tupleIJS9_S6_EEENSD_IJSA_SA_EEENS0_18inequality_wrapperIZN2at6native12_GLOBAL__N_124unique_dim_cuda_templateIbEESt5tupleIJNSH_6TensorESM_SM_EERKSM_lbbbEUlllE0_EEPmJS6_EEE10hipError_tPvRmT3_T4_T5_T6_T7_T9_mT8_P12ihipStream_tbDpT10_ENKUlT_T0_E_clISt17integral_constantIbLb0EES1C_EEDaS17_S18_EUlS17_E_NS1_11comp_targetILNS1_3genE5ELNS1_11target_archE942ELNS1_3gpuE9ELNS1_3repE0EEENS1_30default_config_static_selectorELNS0_4arch9wavefront6targetE1EEEvT1_,@function
_ZN7rocprim17ROCPRIM_400000_NS6detail17trampoline_kernelINS0_14default_configENS1_25partition_config_selectorILNS1_17partition_subalgoE8ElNS0_10empty_typeEbEEZZNS1_14partition_implILS5_8ELb0ES3_jPlPS6_PKS6_NS0_5tupleIJS9_S6_EEENSD_IJSA_SA_EEENS0_18inequality_wrapperIZN2at6native12_GLOBAL__N_124unique_dim_cuda_templateIbEESt5tupleIJNSH_6TensorESM_SM_EERKSM_lbbbEUlllE0_EEPmJS6_EEE10hipError_tPvRmT3_T4_T5_T6_T7_T9_mT8_P12ihipStream_tbDpT10_ENKUlT_T0_E_clISt17integral_constantIbLb0EES1C_EEDaS17_S18_EUlS17_E_NS1_11comp_targetILNS1_3genE5ELNS1_11target_archE942ELNS1_3gpuE9ELNS1_3repE0EEENS1_30default_config_static_selectorELNS0_4arch9wavefront6targetE1EEEvT1_: ; @_ZN7rocprim17ROCPRIM_400000_NS6detail17trampoline_kernelINS0_14default_configENS1_25partition_config_selectorILNS1_17partition_subalgoE8ElNS0_10empty_typeEbEEZZNS1_14partition_implILS5_8ELb0ES3_jPlPS6_PKS6_NS0_5tupleIJS9_S6_EEENSD_IJSA_SA_EEENS0_18inequality_wrapperIZN2at6native12_GLOBAL__N_124unique_dim_cuda_templateIbEESt5tupleIJNSH_6TensorESM_SM_EERKSM_lbbbEUlllE0_EEPmJS6_EEE10hipError_tPvRmT3_T4_T5_T6_T7_T9_mT8_P12ihipStream_tbDpT10_ENKUlT_T0_E_clISt17integral_constantIbLb0EES1C_EEDaS17_S18_EUlS17_E_NS1_11comp_targetILNS1_3genE5ELNS1_11target_archE942ELNS1_3gpuE9ELNS1_3repE0EEENS1_30default_config_static_selectorELNS0_4arch9wavefront6targetE1EEEvT1_
; %bb.0:
	s_load_dwordx8 s[20:27], s[0:1], 0x40
	s_load_dwordx4 s[4:7], s[0:1], 0x8
	s_load_dwordx4 s[28:31], s[0:1], 0x60
	s_load_dword s3, s[0:1], 0x70
	s_waitcnt lgkmcnt(0)
	v_mov_b32_e32 v2, s24
	s_lshl_b64 s[8:9], s[6:7], 3
	s_add_u32 s12, s4, s8
	s_mul_i32 s8, s3, 0xe00
	s_addc_u32 s13, s5, s9
	s_add_i32 s10, s3, -1
	s_add_i32 s3, s8, s6
	s_sub_i32 s3, s24, s3
	s_add_u32 s8, s6, s8
	s_addc_u32 s9, s7, 0
	v_mov_b32_e32 v3, s25
	s_cmp_eq_u32 s2, s10
	s_load_dwordx2 s[22:23], s[22:23], 0x0
	v_cmp_ge_u64_e32 vcc, s[8:9], v[2:3]
	s_cselect_b64 s[24:25], -1, 0
	s_mul_i32 s4, s2, 0xe00
	s_mov_b32 s5, 0
	s_and_b64 s[10:11], s[24:25], vcc
	s_xor_b64 s[34:35], s[10:11], -1
	s_lshl_b64 s[4:5], s[4:5], 3
	s_add_u32 s4, s12, s4
	s_mov_b64 s[8:9], -1
	s_addc_u32 s5, s13, s5
	s_and_b64 vcc, exec, s[34:35]
	s_cbranch_vccz .LBB1060_2
; %bb.1:
	v_lshlrev_b32_e32 v2, 3, v0
	v_mov_b32_e32 v3, 0
	v_lshl_add_u64 v[4:5], s[4:5], 0, v[2:3]
	v_add_co_u32_e32 v8, vcc, 0x1000, v4
	global_load_dwordx2 v[6:7], v2, s[4:5]
	s_nop 0
	v_addc_co_u32_e32 v9, vcc, 0, v5, vcc
	v_add_co_u32_e32 v10, vcc, 0x2000, v4
	s_mov_b64 s[8:9], 0
	s_nop 0
	v_addc_co_u32_e32 v11, vcc, 0, v5, vcc
	v_add_co_u32_e32 v12, vcc, 0x3000, v4
	s_nop 1
	v_addc_co_u32_e32 v13, vcc, 0, v5, vcc
	v_add_co_u32_e32 v14, vcc, 0x4000, v4
	s_nop 1
	v_addc_co_u32_e32 v15, vcc, 0, v5, vcc
	global_load_dwordx2 v[16:17], v[8:9], off
	global_load_dwordx2 v[18:19], v[10:11], off
	;; [unrolled: 1-line block ×4, first 2 shown]
	v_add_co_u32_e32 v8, vcc, 0x5000, v4
	s_nop 1
	v_addc_co_u32_e32 v9, vcc, 0, v5, vcc
	v_add_co_u32_e32 v4, vcc, 0x6000, v4
	global_load_dwordx2 v[8:9], v[8:9], off
	s_nop 0
	v_addc_co_u32_e32 v5, vcc, 0, v5, vcc
	global_load_dwordx2 v[4:5], v[4:5], off
	s_waitcnt vmcnt(5)
	ds_write2st64_b64 v2, v[6:7], v[16:17] offset1:8
	s_waitcnt vmcnt(3)
	ds_write2st64_b64 v2, v[18:19], v[20:21] offset0:16 offset1:24
	s_waitcnt vmcnt(1)
	ds_write2st64_b64 v2, v[22:23], v[8:9] offset0:32 offset1:40
	s_waitcnt vmcnt(0)
	ds_write_b64 v2, v[4:5] offset:24576
	s_waitcnt lgkmcnt(0)
	s_barrier
.LBB1060_2:
	s_andn2_b64 vcc, exec, s[8:9]
	s_addk_i32 s3, 0xe00
	s_cbranch_vccnz .LBB1060_18
; %bb.3:
	v_cmp_gt_u32_e32 vcc, s3, v0
                                        ; implicit-def: $vgpr2_vgpr3_vgpr4_vgpr5_vgpr6_vgpr7_vgpr8_vgpr9_vgpr10_vgpr11_vgpr12_vgpr13_vgpr14_vgpr15_vgpr16_vgpr17
	s_and_saveexec_b64 s[8:9], vcc
	s_cbranch_execz .LBB1060_5
; %bb.4:
	v_lshlrev_b32_e32 v1, 3, v0
	global_load_dwordx2 v[2:3], v1, s[4:5]
.LBB1060_5:
	s_or_b64 exec, exec, s[8:9]
	v_or_b32_e32 v1, 0x200, v0
	v_cmp_gt_u32_e32 vcc, s3, v1
	s_and_saveexec_b64 s[8:9], vcc
	s_cbranch_execz .LBB1060_7
; %bb.6:
	v_lshlrev_b32_e32 v1, 3, v1
	global_load_dwordx2 v[4:5], v1, s[4:5]
.LBB1060_7:
	s_or_b64 exec, exec, s[8:9]
	v_or_b32_e32 v1, 0x400, v0
	v_cmp_gt_u32_e32 vcc, s3, v1
	;; [unrolled: 9-line block ×6, first 2 shown]
	s_and_saveexec_b64 s[8:9], vcc
	s_cbranch_execz .LBB1060_17
; %bb.16:
	v_lshlrev_b32_e32 v1, 3, v1
	global_load_dwordx2 v[14:15], v1, s[4:5]
.LBB1060_17:
	s_or_b64 exec, exec, s[8:9]
	v_lshlrev_b32_e32 v1, 3, v0
	s_waitcnt vmcnt(0)
	ds_write2st64_b64 v1, v[2:3], v[4:5] offset1:8
	ds_write2st64_b64 v1, v[6:7], v[8:9] offset0:16 offset1:24
	ds_write2st64_b64 v1, v[10:11], v[12:13] offset0:32 offset1:40
	ds_write_b64 v1, v[14:15] offset:24576
	s_waitcnt lgkmcnt(0)
	s_barrier
.LBB1060_18:
	v_mul_u32_u24_e32 v1, 7, v0
	v_lshlrev_b32_e32 v24, 3, v1
	s_waitcnt lgkmcnt(0)
	ds_read2_b64 v[10:13], v24 offset1:1
	ds_read2_b64 v[6:9], v24 offset0:2 offset1:3
	ds_read2_b64 v[2:5], v24 offset0:4 offset1:5
	ds_read_b64 v[14:15], v24 offset:48
	s_cmp_lg_u32 s2, 0
	s_cselect_b64 s[16:17], -1, 0
	s_cmp_lg_u64 s[6:7], 0
	s_cselect_b64 s[6:7], -1, 0
	s_or_b64 s[6:7], s[16:17], s[6:7]
	v_mad_u32_u24 v27, v0, 7, 1
	v_mad_u32_u24 v26, v0, 7, 2
	;; [unrolled: 1-line block ×6, first 2 shown]
	s_mov_b64 s[12:13], 0
	s_and_b64 vcc, exec, s[6:7]
	v_cmp_lt_i64_e64 s[14:15], s[26:27], 1
	v_cmp_gt_i64_e64 s[8:9], s[26:27], 0
	s_waitcnt lgkmcnt(0)
	s_barrier
	s_cbranch_vccz .LBB1060_27
; %bb.19:
	s_add_u32 s4, s4, -8
	s_addc_u32 s5, s5, -1
	s_load_dwordx2 s[12:13], s[4:5], 0x0
	v_lshlrev_b32_e32 v25, 3, v0
	s_mov_b64 s[6:7], 0
	s_and_b64 vcc, exec, s[34:35]
	ds_write_b64 v25, v[14:15]
	s_cbranch_vccz .LBB1060_29
; %bb.20:
	v_cndmask_b32_e64 v16, 0, 1, s[8:9]
	v_cmp_ne_u32_e64 s[4:5], 1, v16
	s_andn2_b64 vcc, exec, s[8:9]
	s_cbranch_vccnz .LBB1060_30
; %bb.21:
	v_mov_b64_e32 v[18:19], s[28:29]
	v_mad_u64_u32 v[16:17], s[6:7], v4, s26, v[18:19]
	v_mul_lo_u32 v20, v4, s27
	v_mul_lo_u32 v21, v5, s26
	v_add3_u32 v17, v21, v17, v20
	v_mad_u64_u32 v[18:19], s[6:7], v14, s26, v[18:19]
	v_mul_lo_u32 v20, v14, s27
	v_mul_lo_u32 v21, v15, s26
	v_add3_u32 v19, v21, v19, v20
	global_load_ubyte v20, v[16:17], off
	global_load_ubyte v21, v[18:19], off
	s_mov_b64 s[8:9], -1
	s_waitcnt vmcnt(1)
	v_cmp_ne_u16_e32 vcc, 0, v20
	s_waitcnt vmcnt(0)
	v_cmp_ne_u16_e64 s[6:7], 0, v21
	s_xor_b64 s[6:7], vcc, s[6:7]
	s_xor_b64 s[6:7], s[6:7], -1
	s_and_saveexec_b64 s[18:19], s[6:7]
	s_cbranch_execz .LBB1060_32
; %bb.22:
	s_mov_b64 s[40:41], 1
	s_mov_b64 s[36:37], 0
                                        ; implicit-def: $sgpr38_sgpr39
	s_branch .LBB1060_25
.LBB1060_23:                            ;   in Loop: Header=BB1060_25 Depth=1
	v_lshl_add_u64 v[20:21], v[16:17], 0, s[40:41]
	v_lshl_add_u64 v[22:23], v[18:19], 0, s[40:41]
	global_load_ubyte v32, v[20:21], off
	global_load_ubyte v33, v[22:23], off
	s_waitcnt vmcnt(1)
	v_cmp_ne_u16_e64 s[6:7], 0, v32
	s_waitcnt vmcnt(0)
	v_cmp_ne_u16_e64 s[8:9], 0, v33
	s_xor_b64 s[8:9], s[6:7], s[8:9]
	s_add_u32 s6, s40, 1
	s_addc_u32 s7, s41, 0
	s_andn2_b64 s[38:39], s[38:39], exec
	s_and_b64 s[8:9], s[8:9], exec
	s_or_b64 s[38:39], s[38:39], s[8:9]
.LBB1060_24:                            ;   in Loop: Header=BB1060_25 Depth=1
	s_and_b64 s[8:9], exec, s[38:39]
	s_or_b64 s[36:37], s[8:9], s[36:37]
	v_mov_b64_e32 v[20:21], s[40:41]
	s_mov_b64 s[40:41], s[6:7]
	s_andn2_b64 exec, exec, s[36:37]
	s_cbranch_execz .LBB1060_31
.LBB1060_25:                            ; =>This Inner Loop Header: Depth=1
	s_or_b64 s[38:39], s[38:39], exec
	s_cmp_eq_u64 s[26:27], s[40:41]
	s_cbranch_scc0 .LBB1060_23
; %bb.26:                               ;   in Loop: Header=BB1060_25 Depth=1
                                        ; implicit-def: $sgpr6_sgpr7
	s_mov_b64 s[40:41], s[26:27]
	s_branch .LBB1060_24
.LBB1060_27:
                                        ; implicit-def: $sgpr36_sgpr37
                                        ; implicit-def: $vgpr32
                                        ; implicit-def: $vgpr18
                                        ; implicit-def: $vgpr19
                                        ; implicit-def: $vgpr20
	s_branch .LBB1060_155
.LBB1060_28:
                                        ; implicit-def: $vgpr16_vgpr17
	s_branch .LBB1060_288
.LBB1060_29:
                                        ; implicit-def: $sgpr36_sgpr37
                                        ; implicit-def: $vgpr32
                                        ; implicit-def: $vgpr18
                                        ; implicit-def: $vgpr19
                                        ; implicit-def: $vgpr20
	s_cbranch_execnz .LBB1060_88
	s_branch .LBB1060_154
.LBB1060_30:
	v_mov_b32_e32 v16, 0
	s_branch .LBB1060_40
.LBB1060_31:
	s_or_b64 exec, exec, s[36:37]
	v_cmp_gt_i64_e64 s[6:7], s[26:27], v[20:21]
	s_orn2_b64 s[8:9], s[6:7], exec
.LBB1060_32:
	s_or_b64 exec, exec, s[18:19]
	v_mov_b64_e32 v[18:19], s[28:29]
	v_mad_u64_u32 v[18:19], s[6:7], v2, s26, v[18:19]
	v_mul_lo_u32 v20, v2, s27
	v_mul_lo_u32 v21, v3, s26
	v_add3_u32 v19, v21, v19, v20
	global_load_ubyte v20, v[18:19], off
	s_waitcnt vmcnt(0)
	v_cmp_ne_u16_e64 s[6:7], 0, v20
	s_xor_b64 s[18:19], vcc, s[6:7]
	s_mov_b64 s[6:7], -1
	s_xor_b64 s[36:37], s[18:19], -1
	s_and_saveexec_b64 s[18:19], s[36:37]
	s_cbranch_execz .LBB1060_39
; %bb.33:
	s_mov_b64 s[40:41], 1
	s_mov_b64 s[36:37], 0
                                        ; implicit-def: $sgpr38_sgpr39
	s_branch .LBB1060_36
.LBB1060_34:                            ;   in Loop: Header=BB1060_36 Depth=1
	v_lshl_add_u64 v[20:21], v[18:19], 0, s[40:41]
	v_lshl_add_u64 v[22:23], v[16:17], 0, s[40:41]
	global_load_ubyte v32, v[20:21], off
	global_load_ubyte v33, v[22:23], off
	s_waitcnt vmcnt(1)
	v_cmp_ne_u16_e32 vcc, 0, v32
	s_waitcnt vmcnt(0)
	v_cmp_ne_u16_e64 s[6:7], 0, v33
	s_xor_b64 s[42:43], vcc, s[6:7]
	s_add_u32 s6, s40, 1
	s_addc_u32 s7, s41, 0
	s_andn2_b64 s[38:39], s[38:39], exec
	s_and_b64 s[42:43], s[42:43], exec
	s_or_b64 s[38:39], s[38:39], s[42:43]
.LBB1060_35:                            ;   in Loop: Header=BB1060_36 Depth=1
	s_and_b64 s[42:43], exec, s[38:39]
	s_or_b64 s[36:37], s[42:43], s[36:37]
	v_mov_b64_e32 v[20:21], s[40:41]
	s_mov_b64 s[40:41], s[6:7]
	s_andn2_b64 exec, exec, s[36:37]
	s_cbranch_execz .LBB1060_38
.LBB1060_36:                            ; =>This Inner Loop Header: Depth=1
	s_or_b64 s[38:39], s[38:39], exec
	s_cmp_eq_u64 s[26:27], s[40:41]
	s_cbranch_scc0 .LBB1060_34
; %bb.37:                               ;   in Loop: Header=BB1060_36 Depth=1
                                        ; implicit-def: $sgpr6_sgpr7
	s_mov_b64 s[40:41], s[26:27]
	s_branch .LBB1060_35
.LBB1060_38:
	s_or_b64 exec, exec, s[36:37]
	v_cmp_gt_i64_e32 vcc, s[26:27], v[20:21]
	s_orn2_b64 s[6:7], vcc, exec
.LBB1060_39:
	s_or_b64 exec, exec, s[18:19]
	v_cndmask_b32_e64 v16, 0, 1, s[8:9]
.LBB1060_40:
	v_lshlrev_b16_e32 v17, 8, v0
	v_lshlrev_b16_e32 v18, 8, v0
	v_mov_b32_e32 v20, 8
	v_lshrrev_b32_sdwa v18, v20, v18 dst_sel:BYTE_1 dst_unused:UNUSED_PAD src0_sel:DWORD src1_sel:DWORD
	v_lshrrev_b32_sdwa v17, v20, v17 dst_sel:BYTE_1 dst_unused:UNUSED_PAD src0_sel:DWORD src1_sel:DWORD
	v_cndmask_b32_e64 v19, 0, 1, s[6:7]
	v_or_b32_sdwa v18, v0, v18 dst_sel:DWORD dst_unused:UNUSED_PAD src0_sel:BYTE_0 src1_sel:DWORD
	v_or_b32_sdwa v17, v0, v17 dst_sel:WORD_1 dst_unused:UNUSED_PAD src0_sel:BYTE_0 src1_sel:DWORD
	v_lshlrev_b32_e32 v16, 16, v16
	v_or_b32_sdwa v32, v18, v17 dst_sel:DWORD dst_unused:UNUSED_PAD src0_sel:WORD_0 src1_sel:DWORD
	v_lshlrev_b16_e32 v17, 8, v19
	s_and_b64 vcc, exec, s[4:5]
	v_or_b32_e32 v33, v17, v16
	s_cbranch_vccnz .LBB1060_47
; %bb.41:
	v_mov_b64_e32 v[18:19], s[28:29]
	v_mad_u64_u32 v[16:17], s[6:7], v8, s26, v[18:19]
	v_mul_lo_u32 v20, v8, s27
	v_mul_lo_u32 v21, v9, s26
	v_add3_u32 v17, v21, v17, v20
	v_mad_u64_u32 v[18:19], s[6:7], v2, s26, v[18:19]
	v_mul_lo_u32 v20, v2, s27
	v_mul_lo_u32 v21, v3, s26
	v_add3_u32 v19, v21, v19, v20
	global_load_ubyte v20, v[16:17], off
	global_load_ubyte v21, v[18:19], off
	s_waitcnt vmcnt(1)
	v_cmp_ne_u16_e32 vcc, 0, v20
	s_waitcnt vmcnt(0)
	v_cmp_ne_u16_e64 s[6:7], 0, v21
	s_xor_b64 s[8:9], vcc, s[6:7]
	s_mov_b64 s[6:7], -1
	s_xor_b64 s[8:9], s[8:9], -1
	s_and_saveexec_b64 s[18:19], s[8:9]
	s_cbranch_execz .LBB1060_49
; %bb.42:
	s_mov_b64 s[40:41], 1
	s_mov_b64 s[36:37], 0
                                        ; implicit-def: $sgpr38_sgpr39
	s_branch .LBB1060_45
.LBB1060_43:                            ;   in Loop: Header=BB1060_45 Depth=1
	v_lshl_add_u64 v[20:21], v[16:17], 0, s[40:41]
	v_lshl_add_u64 v[22:23], v[18:19], 0, s[40:41]
	global_load_ubyte v34, v[20:21], off
	global_load_ubyte v35, v[22:23], off
	s_waitcnt vmcnt(1)
	v_cmp_ne_u16_e64 s[6:7], 0, v34
	s_waitcnt vmcnt(0)
	v_cmp_ne_u16_e64 s[8:9], 0, v35
	s_xor_b64 s[8:9], s[6:7], s[8:9]
	s_add_u32 s6, s40, 1
	s_addc_u32 s7, s41, 0
	s_andn2_b64 s[38:39], s[38:39], exec
	s_and_b64 s[8:9], s[8:9], exec
	s_or_b64 s[38:39], s[38:39], s[8:9]
.LBB1060_44:                            ;   in Loop: Header=BB1060_45 Depth=1
	s_and_b64 s[8:9], exec, s[38:39]
	s_or_b64 s[36:37], s[8:9], s[36:37]
	v_mov_b64_e32 v[20:21], s[40:41]
	s_mov_b64 s[40:41], s[6:7]
	s_andn2_b64 exec, exec, s[36:37]
	s_cbranch_execz .LBB1060_48
.LBB1060_45:                            ; =>This Inner Loop Header: Depth=1
	s_or_b64 s[38:39], s[38:39], exec
	s_cmp_eq_u64 s[26:27], s[40:41]
	s_cbranch_scc0 .LBB1060_43
; %bb.46:                               ;   in Loop: Header=BB1060_45 Depth=1
                                        ; implicit-def: $sgpr6_sgpr7
	s_mov_b64 s[40:41], s[26:27]
	s_branch .LBB1060_44
.LBB1060_47:
                                        ; implicit-def: $sgpr6_sgpr7
                                        ; implicit-def: $vgpr18_vgpr19
	s_cbranch_execnz .LBB1060_57
	s_branch .LBB1060_58
.LBB1060_48:
	s_or_b64 exec, exec, s[36:37]
	v_cmp_gt_i64_e64 s[6:7], s[26:27], v[20:21]
	s_orn2_b64 s[6:7], s[6:7], exec
.LBB1060_49:
	s_or_b64 exec, exec, s[18:19]
	v_mov_b64_e32 v[18:19], s[28:29]
	v_mad_u64_u32 v[20:21], s[8:9], v6, s26, v[18:19]
	v_mul_lo_u32 v18, v6, s27
	v_mul_lo_u32 v19, v7, s26
	v_add3_u32 v21, v19, v21, v18
	global_load_ubyte v22, v[20:21], off
	v_mov_b32_e32 v18, 8
	v_cndmask_b32_e64 v19, 0, 1, s[6:7]
	s_mov_b32 s6, 0x3020104
	v_lshrrev_b32_sdwa v34, v18, v33 dst_sel:BYTE_1 dst_unused:UNUSED_PAD src0_sel:DWORD src1_sel:DWORD
	v_perm_b32 v18, v32, v32, s6
	v_or_b32_e32 v19, v19, v34
	v_bfe_u32 v23, v33, 16, 8
	v_and_b32_e32 v19, 0xffff, v19
	v_lshl_or_b32 v19, v23, 16, v19
	s_waitcnt vmcnt(0)
	v_cmp_ne_u16_e64 s[6:7], 0, v22
	s_xor_b64 s[8:9], vcc, s[6:7]
	s_mov_b64 s[6:7], -1
	s_xor_b64 s[18:19], s[8:9], -1
	s_and_saveexec_b64 s[8:9], s[18:19]
	s_cbranch_execz .LBB1060_56
; %bb.50:
	s_mov_b64 s[38:39], 1
	s_mov_b64 s[18:19], 0
                                        ; implicit-def: $sgpr36_sgpr37
	s_branch .LBB1060_53
.LBB1060_51:                            ;   in Loop: Header=BB1060_53 Depth=1
	v_lshl_add_u64 v[22:23], v[20:21], 0, s[38:39]
	v_lshl_add_u64 v[34:35], v[16:17], 0, s[38:39]
	global_load_ubyte v36, v[22:23], off
	global_load_ubyte v37, v[34:35], off
	s_waitcnt vmcnt(1)
	v_cmp_ne_u16_e32 vcc, 0, v36
	s_waitcnt vmcnt(0)
	v_cmp_ne_u16_e64 s[6:7], 0, v37
	s_xor_b64 s[40:41], vcc, s[6:7]
	s_add_u32 s6, s38, 1
	s_addc_u32 s7, s39, 0
	s_andn2_b64 s[36:37], s[36:37], exec
	s_and_b64 s[40:41], s[40:41], exec
	s_or_b64 s[36:37], s[36:37], s[40:41]
.LBB1060_52:                            ;   in Loop: Header=BB1060_53 Depth=1
	s_and_b64 s[40:41], exec, s[36:37]
	s_or_b64 s[18:19], s[40:41], s[18:19]
	v_mov_b64_e32 v[22:23], s[38:39]
	s_mov_b64 s[38:39], s[6:7]
	s_andn2_b64 exec, exec, s[18:19]
	s_cbranch_execz .LBB1060_55
.LBB1060_53:                            ; =>This Inner Loop Header: Depth=1
	s_or_b64 s[36:37], s[36:37], exec
	s_cmp_eq_u64 s[26:27], s[38:39]
	s_cbranch_scc0 .LBB1060_51
; %bb.54:                               ;   in Loop: Header=BB1060_53 Depth=1
                                        ; implicit-def: $sgpr6_sgpr7
	s_mov_b64 s[38:39], s[26:27]
	s_branch .LBB1060_52
.LBB1060_55:
	s_or_b64 exec, exec, s[18:19]
	v_cmp_gt_i64_e32 vcc, s[26:27], v[22:23]
	s_orn2_b64 s[6:7], vcc, exec
.LBB1060_56:
	s_or_b64 exec, exec, s[8:9]
	s_branch .LBB1060_58
.LBB1060_57:
	v_mov_b32_e32 v16, 8
	v_lshrrev_b32_sdwa v16, v16, v33 dst_sel:BYTE_1 dst_unused:UNUSED_PAD src0_sel:DWORD src1_sel:DWORD
	v_bfe_u32 v17, v33, 16, 8
	s_mov_b32 s8, 0x3020104
	v_lshl_or_b32 v19, v17, 16, v16
	v_perm_b32 v18, v32, v32, s8
	s_andn2_b64 s[6:7], s[6:7], exec
.LBB1060_58:
	v_mov_b32_e32 v17, 8
	v_cndmask_b32_e64 v16, 0, 1, s[6:7]
	s_movk_i32 s6, 0xff
	v_lshrrev_b32_sdwa v20, v17, v18 dst_sel:BYTE_1 dst_unused:UNUSED_PAD src0_sel:DWORD src1_sel:DWORD
	v_lshlrev_b16_e32 v16, 8, v16
	v_or_b32_sdwa v20, v18, v20 dst_sel:DWORD dst_unused:UNUSED_PAD src0_sel:BYTE_0 src1_sel:DWORD
	v_and_b32_sdwa v18, v18, s6 dst_sel:DWORD dst_unused:UNUSED_PAD src0_sel:WORD_1 src1_sel:DWORD
	v_or_b32_sdwa v16, v18, v16 dst_sel:WORD_1 dst_unused:UNUSED_PAD src0_sel:DWORD src1_sel:DWORD
	s_and_b64 vcc, exec, s[4:5]
	v_or_b32_sdwa v32, v20, v16 dst_sel:DWORD dst_unused:UNUSED_PAD src0_sel:WORD_0 src1_sel:DWORD
	v_lshrrev_b32_sdwa v16, v17, v19 dst_sel:BYTE_1 dst_unused:UNUSED_PAD src0_sel:DWORD src1_sel:DWORD
	v_bfe_u32 v17, v19, 16, 8
	v_or_b32_sdwa v16, v19, v16 dst_sel:DWORD dst_unused:UNUSED_PAD src0_sel:BYTE_0 src1_sel:DWORD
	v_and_b32_e32 v16, 0xffff, v16
	v_lshl_or_b32 v33, v17, 16, v16
	s_cbranch_vccnz .LBB1060_65
; %bb.59:
	v_mov_b64_e32 v[18:19], s[28:29]
	v_mad_u64_u32 v[16:17], s[6:7], v12, s26, v[18:19]
	v_mul_lo_u32 v20, v12, s27
	v_mul_lo_u32 v21, v13, s26
	v_add3_u32 v17, v21, v17, v20
	v_mad_u64_u32 v[18:19], s[6:7], v6, s26, v[18:19]
	v_mul_lo_u32 v20, v6, s27
	v_mul_lo_u32 v21, v7, s26
	v_add3_u32 v19, v21, v19, v20
	global_load_ubyte v20, v[16:17], off
	global_load_ubyte v21, v[18:19], off
	s_waitcnt vmcnt(1)
	v_cmp_ne_u16_e32 vcc, 0, v20
	s_waitcnt vmcnt(0)
	v_cmp_ne_u16_e64 s[6:7], 0, v21
	s_xor_b64 s[8:9], vcc, s[6:7]
	s_mov_b64 s[6:7], -1
	s_xor_b64 s[8:9], s[8:9], -1
	s_and_saveexec_b64 s[18:19], s[8:9]
	s_cbranch_execz .LBB1060_67
; %bb.60:
	s_mov_b64 s[40:41], 1
	s_mov_b64 s[36:37], 0
                                        ; implicit-def: $sgpr38_sgpr39
	s_branch .LBB1060_63
.LBB1060_61:                            ;   in Loop: Header=BB1060_63 Depth=1
	v_lshl_add_u64 v[20:21], v[16:17], 0, s[40:41]
	v_lshl_add_u64 v[22:23], v[18:19], 0, s[40:41]
	global_load_ubyte v34, v[20:21], off
	global_load_ubyte v35, v[22:23], off
	s_waitcnt vmcnt(1)
	v_cmp_ne_u16_e64 s[6:7], 0, v34
	s_waitcnt vmcnt(0)
	v_cmp_ne_u16_e64 s[8:9], 0, v35
	s_xor_b64 s[8:9], s[6:7], s[8:9]
	s_add_u32 s6, s40, 1
	s_addc_u32 s7, s41, 0
	s_andn2_b64 s[38:39], s[38:39], exec
	s_and_b64 s[8:9], s[8:9], exec
	s_or_b64 s[38:39], s[38:39], s[8:9]
.LBB1060_62:                            ;   in Loop: Header=BB1060_63 Depth=1
	s_and_b64 s[8:9], exec, s[38:39]
	s_or_b64 s[36:37], s[8:9], s[36:37]
	v_mov_b64_e32 v[20:21], s[40:41]
	s_mov_b64 s[40:41], s[6:7]
	s_andn2_b64 exec, exec, s[36:37]
	s_cbranch_execz .LBB1060_66
.LBB1060_63:                            ; =>This Inner Loop Header: Depth=1
	s_or_b64 s[38:39], s[38:39], exec
	s_cmp_eq_u64 s[26:27], s[40:41]
	s_cbranch_scc0 .LBB1060_61
; %bb.64:                               ;   in Loop: Header=BB1060_63 Depth=1
                                        ; implicit-def: $sgpr6_sgpr7
	s_mov_b64 s[40:41], s[26:27]
	s_branch .LBB1060_62
.LBB1060_65:
                                        ; implicit-def: $sgpr6_sgpr7
                                        ; implicit-def: $vgpr18_vgpr19
	s_cbranch_execnz .LBB1060_75
	s_branch .LBB1060_76
.LBB1060_66:
	s_or_b64 exec, exec, s[36:37]
	v_cmp_gt_i64_e64 s[6:7], s[26:27], v[20:21]
	s_orn2_b64 s[6:7], s[6:7], exec
.LBB1060_67:
	s_or_b64 exec, exec, s[18:19]
	v_mov_b64_e32 v[18:19], s[28:29]
	v_mad_u64_u32 v[20:21], s[8:9], v10, s26, v[18:19]
	v_mul_lo_u32 v18, v10, s27
	v_mul_lo_u32 v19, v11, s26
	v_add3_u32 v21, v19, v21, v18
	global_load_ubyte v22, v[20:21], off
	v_mov_b32_e32 v19, 8
	v_lshrrev_b32_e32 v34, 24, v32
	v_lshrrev_b32_sdwa v35, v19, v33 dst_sel:BYTE_1 dst_unused:UNUSED_PAD src0_sel:DWORD src1_sel:DWORD
	v_cndmask_b32_e64 v18, 0, 1, s[6:7]
	v_lshrrev_b32_sdwa v19, v19, v32 dst_sel:BYTE_1 dst_unused:UNUSED_PAD src0_sel:DWORD src1_sel:DWORD
	v_lshlrev_b16_e32 v34, 8, v34
	v_or_b32_sdwa v35, v33, v35 dst_sel:DWORD dst_unused:UNUSED_PAD src0_sel:BYTE_0 src1_sel:DWORD
	v_bfe_u32 v23, v33, 16, 8
	v_or_b32_sdwa v19, v32, v19 dst_sel:DWORD dst_unused:UNUSED_PAD src0_sel:BYTE_0 src1_sel:DWORD
	v_or_b32_sdwa v18, v18, v34 dst_sel:WORD_1 dst_unused:UNUSED_PAD src0_sel:DWORD src1_sel:DWORD
	v_and_b32_e32 v34, 0xffff, v35
	v_or_b32_sdwa v18, v19, v18 dst_sel:DWORD dst_unused:UNUSED_PAD src0_sel:WORD_0 src1_sel:DWORD
	v_lshl_or_b32 v19, v23, 16, v34
	s_waitcnt vmcnt(0)
	v_cmp_ne_u16_e64 s[6:7], 0, v22
	s_xor_b64 s[8:9], vcc, s[6:7]
	s_mov_b64 s[6:7], -1
	s_xor_b64 s[18:19], s[8:9], -1
	s_and_saveexec_b64 s[8:9], s[18:19]
	s_cbranch_execz .LBB1060_74
; %bb.68:
	s_mov_b64 s[38:39], 1
	s_mov_b64 s[18:19], 0
                                        ; implicit-def: $sgpr36_sgpr37
	s_branch .LBB1060_71
.LBB1060_69:                            ;   in Loop: Header=BB1060_71 Depth=1
	v_lshl_add_u64 v[22:23], v[20:21], 0, s[38:39]
	v_lshl_add_u64 v[34:35], v[16:17], 0, s[38:39]
	global_load_ubyte v36, v[22:23], off
	global_load_ubyte v37, v[34:35], off
	s_waitcnt vmcnt(1)
	v_cmp_ne_u16_e32 vcc, 0, v36
	s_waitcnt vmcnt(0)
	v_cmp_ne_u16_e64 s[6:7], 0, v37
	s_xor_b64 s[40:41], vcc, s[6:7]
	s_add_u32 s6, s38, 1
	s_addc_u32 s7, s39, 0
	s_andn2_b64 s[36:37], s[36:37], exec
	s_and_b64 s[40:41], s[40:41], exec
	s_or_b64 s[36:37], s[36:37], s[40:41]
.LBB1060_70:                            ;   in Loop: Header=BB1060_71 Depth=1
	s_and_b64 s[40:41], exec, s[36:37]
	s_or_b64 s[18:19], s[40:41], s[18:19]
	v_mov_b64_e32 v[22:23], s[38:39]
	s_mov_b64 s[38:39], s[6:7]
	s_andn2_b64 exec, exec, s[18:19]
	s_cbranch_execz .LBB1060_73
.LBB1060_71:                            ; =>This Inner Loop Header: Depth=1
	s_or_b64 s[36:37], s[36:37], exec
	s_cmp_eq_u64 s[26:27], s[38:39]
	s_cbranch_scc0 .LBB1060_69
; %bb.72:                               ;   in Loop: Header=BB1060_71 Depth=1
                                        ; implicit-def: $sgpr6_sgpr7
	s_mov_b64 s[38:39], s[26:27]
	s_branch .LBB1060_70
.LBB1060_73:
	s_or_b64 exec, exec, s[18:19]
	v_cmp_gt_i64_e32 vcc, s[26:27], v[22:23]
	s_orn2_b64 s[6:7], vcc, exec
.LBB1060_74:
	s_or_b64 exec, exec, s[8:9]
	s_branch .LBB1060_76
.LBB1060_75:
	v_mov_b32_e32 v16, 8
	v_lshrrev_b32_sdwa v17, v16, v33 dst_sel:BYTE_1 dst_unused:UNUSED_PAD src0_sel:DWORD src1_sel:DWORD
	v_lshrrev_b32_sdwa v16, v16, v32 dst_sel:BYTE_1 dst_unused:UNUSED_PAD src0_sel:DWORD src1_sel:DWORD
	v_or_b32_sdwa v17, v33, v17 dst_sel:DWORD dst_unused:UNUSED_PAD src0_sel:BYTE_0 src1_sel:DWORD
	v_or_b32_sdwa v16, v32, v16 dst_sel:DWORD dst_unused:UNUSED_PAD src0_sel:BYTE_0 src1_sel:DWORD
	v_and_b32_e32 v17, 0xffff, v17
	v_bfe_u32 v18, v33, 16, 8
	v_and_b32_e32 v16, 0xffff, v16
	s_mov_b32 s8, 0xff000000
	v_lshl_or_b32 v19, v18, 16, v17
	v_and_or_b32 v18, v32, s8, v16
	s_andn2_b64 s[6:7], s[6:7], exec
.LBB1060_76:
	v_cmp_ne_u32_e32 vcc, 0, v0
	s_waitcnt lgkmcnt(0)
	v_mov_b64_e32 v[20:21], s[12:13]
	s_barrier
	s_and_saveexec_b64 s[8:9], vcc
	s_cbranch_execz .LBB1060_78
; %bb.77:
	v_add_u32_e32 v16, -8, v25
	ds_read_b64 v[20:21], v16
.LBB1060_78:
	s_or_b64 exec, exec, s[8:9]
	v_cndmask_b32_e64 v16, 0, 1, s[6:7]
	v_lshlrev_b16_e32 v16, 8, v16
	s_movk_i32 s6, 0xff
	v_or_b32_sdwa v32, v18, v16 dst_sel:DWORD dst_unused:UNUSED_PAD src0_sel:BYTE_0 src1_sel:DWORD
	v_lshrrev_b32_e32 v16, 24, v18
	v_lshlrev_b16_e32 v16, 8, v16
	v_and_b32_sdwa v17, v18, s6 dst_sel:DWORD dst_unused:UNUSED_PAD src0_sel:WORD_1 src1_sel:DWORD
	v_or_b32_sdwa v18, v17, v16 dst_sel:WORD_1 dst_unused:UNUSED_PAD src0_sel:DWORD src1_sel:DWORD
	s_mov_b64 s[6:7], 0
	s_and_b64 vcc, exec, s[4:5]
	s_mov_b64 s[36:37], 0
	s_cbranch_vccnz .LBB1060_87
; %bb.79:
	v_mov_b64_e32 v[22:23], s[28:29]
	s_waitcnt lgkmcnt(0)
	v_mad_u64_u32 v[16:17], s[4:5], v20, s26, v[22:23]
	v_mul_lo_u32 v20, v20, s27
	v_mul_lo_u32 v21, v21, s26
	v_add3_u32 v17, v21, v17, v20
	v_mad_u64_u32 v[20:21], s[4:5], v10, s26, v[22:23]
	v_mul_lo_u32 v22, v10, s27
	v_mul_lo_u32 v23, v11, s26
	v_add3_u32 v21, v23, v21, v22
	global_load_ubyte v22, v[16:17], off
	global_load_ubyte v23, v[20:21], off
	s_mov_b64 s[36:37], -1
	s_waitcnt vmcnt(1)
	v_cmp_ne_u16_e32 vcc, 0, v22
	s_waitcnt vmcnt(0)
	v_cmp_ne_u16_e64 s[4:5], 0, v23
	s_xor_b64 s[4:5], vcc, s[4:5]
	s_xor_b64 s[4:5], s[4:5], -1
	s_and_saveexec_b64 s[8:9], s[4:5]
	s_cbranch_execz .LBB1060_86
; %bb.80:
	s_mov_b64 s[38:39], 1
	s_mov_b64 s[18:19], 0
                                        ; implicit-def: $sgpr36_sgpr37
	s_branch .LBB1060_83
.LBB1060_81:                            ;   in Loop: Header=BB1060_83 Depth=1
	v_lshl_add_u64 v[22:23], v[16:17], 0, s[38:39]
	v_lshl_add_u64 v[34:35], v[20:21], 0, s[38:39]
	global_load_ubyte v33, v[22:23], off
	global_load_ubyte v36, v[34:35], off
	s_waitcnt vmcnt(1)
	v_cmp_ne_u16_e32 vcc, 0, v33
	s_waitcnt vmcnt(0)
	v_cmp_ne_u16_e64 s[4:5], 0, v36
	s_xor_b64 s[40:41], vcc, s[4:5]
	s_add_u32 s4, s38, 1
	s_addc_u32 s5, s39, 0
	s_andn2_b64 s[36:37], s[36:37], exec
	s_and_b64 s[40:41], s[40:41], exec
	s_or_b64 s[36:37], s[36:37], s[40:41]
.LBB1060_82:                            ;   in Loop: Header=BB1060_83 Depth=1
	s_and_b64 s[40:41], exec, s[36:37]
	s_or_b64 s[18:19], s[40:41], s[18:19]
	v_mov_b64_e32 v[22:23], s[38:39]
	s_mov_b64 s[38:39], s[4:5]
	s_andn2_b64 exec, exec, s[18:19]
	s_cbranch_execz .LBB1060_85
.LBB1060_83:                            ; =>This Inner Loop Header: Depth=1
	s_or_b64 s[36:37], s[36:37], exec
	s_cmp_eq_u64 s[26:27], s[38:39]
	s_cbranch_scc0 .LBB1060_81
; %bb.84:                               ;   in Loop: Header=BB1060_83 Depth=1
                                        ; implicit-def: $sgpr4_sgpr5
	s_mov_b64 s[38:39], s[26:27]
	s_branch .LBB1060_82
.LBB1060_85:
	s_or_b64 exec, exec, s[18:19]
	v_cmp_gt_i64_e32 vcc, s[26:27], v[22:23]
	s_orn2_b64 s[36:37], vcc, exec
.LBB1060_86:
	s_or_b64 exec, exec, s[8:9]
.LBB1060_87:
	s_waitcnt lgkmcnt(0)
	v_or_b32_sdwa v20, v32, v18 dst_sel:DWORD dst_unused:UNUSED_PAD src0_sel:WORD_0 src1_sel:DWORD
	v_lshrrev_b32_e32 v18, 8, v19
	v_lshrrev_b32_e32 v32, 16, v19
	s_and_b64 vcc, exec, s[6:7]
	s_cbranch_vccz .LBB1060_154
.LBB1060_88:
	v_cmp_gt_u32_e32 vcc, s3, v29
	s_xor_b64 s[14:15], s[14:15], -1
	s_mov_b64 s[36:37], -1
	s_and_b64 s[4:5], vcc, s[14:15]
	s_mov_b64 s[8:9], 0
	s_mov_b64 s[6:7], 0
	s_and_saveexec_b64 s[18:19], s[4:5]
	s_cbranch_execz .LBB1060_97
; %bb.89:
	v_mov_b64_e32 v[18:19], s[28:29]
	v_mad_u64_u32 v[16:17], s[4:5], v4, s26, v[18:19]
	v_mul_lo_u32 v20, v4, s27
	v_mul_lo_u32 v21, v5, s26
	v_add3_u32 v17, v21, v17, v20
	v_mad_u64_u32 v[18:19], s[4:5], v14, s26, v[18:19]
	v_mul_lo_u32 v20, v14, s27
	v_mul_lo_u32 v21, v15, s26
	v_add3_u32 v19, v21, v19, v20
	global_load_ubyte v20, v[16:17], off
	global_load_ubyte v21, v[18:19], off
	s_waitcnt vmcnt(1)
	v_cmp_ne_u16_e32 vcc, 0, v20
	s_waitcnt vmcnt(0)
	v_cmp_ne_u16_e64 s[4:5], 0, v21
	s_xor_b64 s[4:5], vcc, s[4:5]
	s_xor_b64 s[4:5], s[4:5], -1
	s_and_saveexec_b64 s[6:7], s[4:5]
	s_cbranch_execz .LBB1060_96
; %bb.90:
	s_mov_b64 s[40:41], 1
	s_mov_b64 s[36:37], 0
                                        ; implicit-def: $sgpr38_sgpr39
	s_branch .LBB1060_93
.LBB1060_91:                            ;   in Loop: Header=BB1060_93 Depth=1
	v_lshl_add_u64 v[20:21], v[16:17], 0, s[40:41]
	v_lshl_add_u64 v[22:23], v[18:19], 0, s[40:41]
	global_load_ubyte v32, v[20:21], off
	global_load_ubyte v33, v[22:23], off
	s_waitcnt vmcnt(1)
	v_cmp_ne_u16_e32 vcc, 0, v32
	s_waitcnt vmcnt(0)
	v_cmp_ne_u16_e64 s[4:5], 0, v33
	s_xor_b64 s[42:43], vcc, s[4:5]
	s_add_u32 s4, s40, 1
	s_addc_u32 s5, s41, 0
	s_andn2_b64 s[38:39], s[38:39], exec
	s_and_b64 s[42:43], s[42:43], exec
	s_or_b64 s[38:39], s[38:39], s[42:43]
.LBB1060_92:                            ;   in Loop: Header=BB1060_93 Depth=1
	s_and_b64 s[42:43], exec, s[38:39]
	s_or_b64 s[36:37], s[42:43], s[36:37]
	v_mov_b64_e32 v[20:21], s[40:41]
	s_mov_b64 s[40:41], s[4:5]
	s_andn2_b64 exec, exec, s[36:37]
	s_cbranch_execz .LBB1060_95
.LBB1060_93:                            ; =>This Inner Loop Header: Depth=1
	s_or_b64 s[38:39], s[38:39], exec
	s_cmp_eq_u64 s[26:27], s[40:41]
	s_cbranch_scc0 .LBB1060_91
; %bb.94:                               ;   in Loop: Header=BB1060_93 Depth=1
                                        ; implicit-def: $sgpr4_sgpr5
	s_mov_b64 s[40:41], s[26:27]
	s_branch .LBB1060_92
.LBB1060_95:
	s_or_b64 exec, exec, s[36:37]
	v_cmp_gt_i64_e32 vcc, s[26:27], v[20:21]
	s_orn2_b64 s[36:37], vcc, exec
.LBB1060_96:
	s_or_b64 exec, exec, s[6:7]
	s_and_b64 s[6:7], s[36:37], exec
.LBB1060_97:
	s_or_b64 exec, exec, s[18:19]
	v_cmp_gt_u32_e32 vcc, s3, v31
	s_and_b64 s[4:5], vcc, s[14:15]
	s_and_saveexec_b64 s[18:19], s[4:5]
	s_cbranch_execz .LBB1060_106
; %bb.98:
	v_mov_b64_e32 v[18:19], s[28:29]
	v_mad_u64_u32 v[16:17], s[4:5], v2, s26, v[18:19]
	v_mul_lo_u32 v20, v2, s27
	v_mul_lo_u32 v21, v3, s26
	v_add3_u32 v17, v21, v17, v20
	v_mad_u64_u32 v[18:19], s[4:5], v4, s26, v[18:19]
	v_mul_lo_u32 v20, v4, s27
	v_mul_lo_u32 v21, v5, s26
	v_add3_u32 v19, v21, v19, v20
	global_load_ubyte v20, v[16:17], off
	global_load_ubyte v21, v[18:19], off
	s_waitcnt vmcnt(1)
	v_cmp_ne_u16_e32 vcc, 0, v20
	s_waitcnt vmcnt(0)
	v_cmp_ne_u16_e64 s[4:5], 0, v21
	s_xor_b64 s[8:9], vcc, s[4:5]
	s_mov_b64 s[4:5], -1
	s_xor_b64 s[36:37], s[8:9], -1
	s_and_saveexec_b64 s[8:9], s[36:37]
	s_cbranch_execz .LBB1060_105
; %bb.99:
	s_mov_b64 s[40:41], 1
	s_mov_b64 s[36:37], 0
                                        ; implicit-def: $sgpr38_sgpr39
	s_branch .LBB1060_102
.LBB1060_100:                           ;   in Loop: Header=BB1060_102 Depth=1
	v_lshl_add_u64 v[20:21], v[16:17], 0, s[40:41]
	v_lshl_add_u64 v[22:23], v[18:19], 0, s[40:41]
	global_load_ubyte v32, v[20:21], off
	global_load_ubyte v33, v[22:23], off
	s_waitcnt vmcnt(1)
	v_cmp_ne_u16_e32 vcc, 0, v32
	s_waitcnt vmcnt(0)
	v_cmp_ne_u16_e64 s[4:5], 0, v33
	s_xor_b64 s[42:43], vcc, s[4:5]
	s_add_u32 s4, s40, 1
	s_addc_u32 s5, s41, 0
	s_andn2_b64 s[38:39], s[38:39], exec
	s_and_b64 s[42:43], s[42:43], exec
	s_or_b64 s[38:39], s[38:39], s[42:43]
.LBB1060_101:                           ;   in Loop: Header=BB1060_102 Depth=1
	s_and_b64 s[42:43], exec, s[38:39]
	s_or_b64 s[36:37], s[42:43], s[36:37]
	v_mov_b64_e32 v[20:21], s[40:41]
	s_mov_b64 s[40:41], s[4:5]
	s_andn2_b64 exec, exec, s[36:37]
	s_cbranch_execz .LBB1060_104
.LBB1060_102:                           ; =>This Inner Loop Header: Depth=1
	s_or_b64 s[38:39], s[38:39], exec
	s_cmp_eq_u64 s[26:27], s[40:41]
	s_cbranch_scc0 .LBB1060_100
; %bb.103:                              ;   in Loop: Header=BB1060_102 Depth=1
                                        ; implicit-def: $sgpr4_sgpr5
	s_mov_b64 s[40:41], s[26:27]
	s_branch .LBB1060_101
.LBB1060_104:
	s_or_b64 exec, exec, s[36:37]
	v_cmp_gt_i64_e32 vcc, s[26:27], v[20:21]
	s_orn2_b64 s[4:5], vcc, exec
.LBB1060_105:
	s_or_b64 exec, exec, s[8:9]
	s_and_b64 s[8:9], s[4:5], exec
.LBB1060_106:
	s_or_b64 exec, exec, s[18:19]
	v_cmp_gt_u32_e32 vcc, s3, v28
	s_mov_b64 s[40:41], -1
	s_and_b64 s[4:5], vcc, s[14:15]
	s_mov_b64 s[36:37], 0
	s_mov_b64 s[18:19], 0
	s_and_saveexec_b64 s[38:39], s[4:5]
	s_cbranch_execz .LBB1060_115
; %bb.107:
	v_mov_b64_e32 v[18:19], s[28:29]
	v_mad_u64_u32 v[16:17], s[4:5], v8, s26, v[18:19]
	v_mul_lo_u32 v20, v8, s27
	v_mul_lo_u32 v21, v9, s26
	v_add3_u32 v17, v21, v17, v20
	v_mad_u64_u32 v[18:19], s[4:5], v2, s26, v[18:19]
	v_mul_lo_u32 v20, v2, s27
	v_mul_lo_u32 v21, v3, s26
	v_add3_u32 v19, v21, v19, v20
	global_load_ubyte v20, v[16:17], off
	global_load_ubyte v21, v[18:19], off
	s_waitcnt vmcnt(1)
	v_cmp_ne_u16_e32 vcc, 0, v20
	s_waitcnt vmcnt(0)
	v_cmp_ne_u16_e64 s[4:5], 0, v21
	s_xor_b64 s[4:5], vcc, s[4:5]
	s_xor_b64 s[4:5], s[4:5], -1
	s_and_saveexec_b64 s[18:19], s[4:5]
	s_cbranch_execz .LBB1060_114
; %bb.108:
	s_mov_b64 s[44:45], 1
	s_mov_b64 s[40:41], 0
                                        ; implicit-def: $sgpr42_sgpr43
	s_branch .LBB1060_111
.LBB1060_109:                           ;   in Loop: Header=BB1060_111 Depth=1
	v_lshl_add_u64 v[20:21], v[16:17], 0, s[44:45]
	v_lshl_add_u64 v[22:23], v[18:19], 0, s[44:45]
	global_load_ubyte v32, v[20:21], off
	global_load_ubyte v33, v[22:23], off
	s_waitcnt vmcnt(1)
	v_cmp_ne_u16_e32 vcc, 0, v32
	s_waitcnt vmcnt(0)
	v_cmp_ne_u16_e64 s[4:5], 0, v33
	s_xor_b64 s[46:47], vcc, s[4:5]
	s_add_u32 s4, s44, 1
	s_addc_u32 s5, s45, 0
	s_andn2_b64 s[42:43], s[42:43], exec
	s_and_b64 s[46:47], s[46:47], exec
	s_or_b64 s[42:43], s[42:43], s[46:47]
.LBB1060_110:                           ;   in Loop: Header=BB1060_111 Depth=1
	s_and_b64 s[46:47], exec, s[42:43]
	s_or_b64 s[40:41], s[46:47], s[40:41]
	v_mov_b64_e32 v[20:21], s[44:45]
	s_mov_b64 s[44:45], s[4:5]
	s_andn2_b64 exec, exec, s[40:41]
	s_cbranch_execz .LBB1060_113
.LBB1060_111:                           ; =>This Inner Loop Header: Depth=1
	s_or_b64 s[42:43], s[42:43], exec
	s_cmp_eq_u64 s[26:27], s[44:45]
	s_cbranch_scc0 .LBB1060_109
; %bb.112:                              ;   in Loop: Header=BB1060_111 Depth=1
                                        ; implicit-def: $sgpr4_sgpr5
	s_mov_b64 s[44:45], s[26:27]
	s_branch .LBB1060_110
.LBB1060_113:
	s_or_b64 exec, exec, s[40:41]
	v_cmp_gt_i64_e32 vcc, s[26:27], v[20:21]
	s_orn2_b64 s[40:41], vcc, exec
.LBB1060_114:
	s_or_b64 exec, exec, s[18:19]
	s_and_b64 s[18:19], s[40:41], exec
.LBB1060_115:
	s_or_b64 exec, exec, s[38:39]
	v_cmp_gt_u32_e32 vcc, s3, v30
	s_and_b64 s[4:5], vcc, s[14:15]
	s_and_saveexec_b64 s[38:39], s[4:5]
	s_cbranch_execz .LBB1060_124
; %bb.116:
	v_mov_b64_e32 v[18:19], s[28:29]
	v_mad_u64_u32 v[16:17], s[4:5], v6, s26, v[18:19]
	v_mul_lo_u32 v20, v6, s27
	v_mul_lo_u32 v21, v7, s26
	v_add3_u32 v17, v21, v17, v20
	v_mad_u64_u32 v[18:19], s[4:5], v8, s26, v[18:19]
	v_mul_lo_u32 v20, v8, s27
	v_mul_lo_u32 v21, v9, s26
	v_add3_u32 v19, v21, v19, v20
	global_load_ubyte v20, v[16:17], off
	global_load_ubyte v21, v[18:19], off
	s_waitcnt vmcnt(1)
	v_cmp_ne_u16_e32 vcc, 0, v20
	s_waitcnt vmcnt(0)
	v_cmp_ne_u16_e64 s[4:5], 0, v21
	s_xor_b64 s[36:37], vcc, s[4:5]
	s_mov_b64 s[4:5], -1
	s_xor_b64 s[40:41], s[36:37], -1
	s_and_saveexec_b64 s[36:37], s[40:41]
	s_cbranch_execz .LBB1060_123
; %bb.117:
	s_mov_b64 s[44:45], 1
	s_mov_b64 s[40:41], 0
                                        ; implicit-def: $sgpr42_sgpr43
	s_branch .LBB1060_120
.LBB1060_118:                           ;   in Loop: Header=BB1060_120 Depth=1
	v_lshl_add_u64 v[20:21], v[16:17], 0, s[44:45]
	v_lshl_add_u64 v[22:23], v[18:19], 0, s[44:45]
	global_load_ubyte v32, v[20:21], off
	global_load_ubyte v33, v[22:23], off
	s_waitcnt vmcnt(1)
	v_cmp_ne_u16_e32 vcc, 0, v32
	s_waitcnt vmcnt(0)
	v_cmp_ne_u16_e64 s[4:5], 0, v33
	s_xor_b64 s[46:47], vcc, s[4:5]
	s_add_u32 s4, s44, 1
	s_addc_u32 s5, s45, 0
	s_andn2_b64 s[42:43], s[42:43], exec
	s_and_b64 s[46:47], s[46:47], exec
	s_or_b64 s[42:43], s[42:43], s[46:47]
.LBB1060_119:                           ;   in Loop: Header=BB1060_120 Depth=1
	s_and_b64 s[46:47], exec, s[42:43]
	s_or_b64 s[40:41], s[46:47], s[40:41]
	v_mov_b64_e32 v[20:21], s[44:45]
	s_mov_b64 s[44:45], s[4:5]
	s_andn2_b64 exec, exec, s[40:41]
	s_cbranch_execz .LBB1060_122
.LBB1060_120:                           ; =>This Inner Loop Header: Depth=1
	s_or_b64 s[42:43], s[42:43], exec
	s_cmp_eq_u64 s[26:27], s[44:45]
	s_cbranch_scc0 .LBB1060_118
; %bb.121:                              ;   in Loop: Header=BB1060_120 Depth=1
                                        ; implicit-def: $sgpr4_sgpr5
	s_mov_b64 s[44:45], s[26:27]
	s_branch .LBB1060_119
.LBB1060_122:
	s_or_b64 exec, exec, s[40:41]
	v_cmp_gt_i64_e32 vcc, s[26:27], v[20:21]
	s_orn2_b64 s[4:5], vcc, exec
.LBB1060_123:
	s_or_b64 exec, exec, s[36:37]
	s_and_b64 s[36:37], s[4:5], exec
.LBB1060_124:
	s_or_b64 exec, exec, s[38:39]
	v_cmp_gt_u32_e32 vcc, s3, v26
	s_mov_b64 s[44:45], -1
	s_and_b64 s[4:5], vcc, s[14:15]
	s_mov_b64 s[38:39], 0
	s_mov_b64 s[40:41], 0
	s_and_saveexec_b64 s[42:43], s[4:5]
	s_cbranch_execz .LBB1060_133
; %bb.125:
	v_mov_b64_e32 v[18:19], s[28:29]
	v_mad_u64_u32 v[16:17], s[4:5], v12, s26, v[18:19]
	v_mul_lo_u32 v20, v12, s27
	v_mul_lo_u32 v21, v13, s26
	v_add3_u32 v17, v21, v17, v20
	v_mad_u64_u32 v[18:19], s[4:5], v6, s26, v[18:19]
	v_mul_lo_u32 v20, v6, s27
	v_mul_lo_u32 v21, v7, s26
	v_add3_u32 v19, v21, v19, v20
	global_load_ubyte v20, v[16:17], off
	global_load_ubyte v21, v[18:19], off
	s_waitcnt vmcnt(1)
	v_cmp_ne_u16_e32 vcc, 0, v20
	s_waitcnt vmcnt(0)
	v_cmp_ne_u16_e64 s[4:5], 0, v21
	s_xor_b64 s[4:5], vcc, s[4:5]
	s_xor_b64 s[4:5], s[4:5], -1
	s_and_saveexec_b64 s[40:41], s[4:5]
	s_cbranch_execz .LBB1060_132
; %bb.126:
	s_mov_b64 s[48:49], 1
	s_mov_b64 s[44:45], 0
                                        ; implicit-def: $sgpr46_sgpr47
	s_branch .LBB1060_129
.LBB1060_127:                           ;   in Loop: Header=BB1060_129 Depth=1
	v_lshl_add_u64 v[20:21], v[16:17], 0, s[48:49]
	v_lshl_add_u64 v[22:23], v[18:19], 0, s[48:49]
	global_load_ubyte v32, v[20:21], off
	global_load_ubyte v33, v[22:23], off
	s_waitcnt vmcnt(1)
	v_cmp_ne_u16_e32 vcc, 0, v32
	s_waitcnt vmcnt(0)
	v_cmp_ne_u16_e64 s[4:5], 0, v33
	s_xor_b64 s[50:51], vcc, s[4:5]
	s_add_u32 s4, s48, 1
	s_addc_u32 s5, s49, 0
	s_andn2_b64 s[46:47], s[46:47], exec
	s_and_b64 s[50:51], s[50:51], exec
	s_or_b64 s[46:47], s[46:47], s[50:51]
.LBB1060_128:                           ;   in Loop: Header=BB1060_129 Depth=1
	s_and_b64 s[50:51], exec, s[46:47]
	s_or_b64 s[44:45], s[50:51], s[44:45]
	v_mov_b64_e32 v[20:21], s[48:49]
	s_mov_b64 s[48:49], s[4:5]
	s_andn2_b64 exec, exec, s[44:45]
	s_cbranch_execz .LBB1060_131
.LBB1060_129:                           ; =>This Inner Loop Header: Depth=1
	s_or_b64 s[46:47], s[46:47], exec
	s_cmp_eq_u64 s[26:27], s[48:49]
	s_cbranch_scc0 .LBB1060_127
; %bb.130:                              ;   in Loop: Header=BB1060_129 Depth=1
                                        ; implicit-def: $sgpr4_sgpr5
	s_mov_b64 s[48:49], s[26:27]
	s_branch .LBB1060_128
.LBB1060_131:
	s_or_b64 exec, exec, s[44:45]
	v_cmp_gt_i64_e32 vcc, s[26:27], v[20:21]
	s_orn2_b64 s[44:45], vcc, exec
.LBB1060_132:
	s_or_b64 exec, exec, s[40:41]
	s_and_b64 s[40:41], s[44:45], exec
.LBB1060_133:
	s_or_b64 exec, exec, s[42:43]
	v_cmp_gt_u32_e32 vcc, s3, v27
	s_and_b64 s[4:5], vcc, s[14:15]
	s_and_saveexec_b64 s[42:43], s[4:5]
	s_cbranch_execz .LBB1060_142
; %bb.134:
	v_mov_b64_e32 v[18:19], s[28:29]
	v_mad_u64_u32 v[16:17], s[4:5], v10, s26, v[18:19]
	v_mul_lo_u32 v20, v10, s27
	v_mul_lo_u32 v21, v11, s26
	v_add3_u32 v17, v21, v17, v20
	v_mad_u64_u32 v[18:19], s[4:5], v12, s26, v[18:19]
	v_mul_lo_u32 v20, v12, s27
	v_mul_lo_u32 v21, v13, s26
	v_add3_u32 v19, v21, v19, v20
	global_load_ubyte v20, v[16:17], off
	global_load_ubyte v21, v[18:19], off
	s_waitcnt vmcnt(1)
	v_cmp_ne_u16_e32 vcc, 0, v20
	s_waitcnt vmcnt(0)
	v_cmp_ne_u16_e64 s[4:5], 0, v21
	s_xor_b64 s[38:39], vcc, s[4:5]
	s_mov_b64 s[4:5], -1
	s_xor_b64 s[44:45], s[38:39], -1
	s_and_saveexec_b64 s[38:39], s[44:45]
	s_cbranch_execz .LBB1060_141
; %bb.135:
	s_mov_b64 s[48:49], 1
	s_mov_b64 s[44:45], 0
                                        ; implicit-def: $sgpr46_sgpr47
	s_branch .LBB1060_138
.LBB1060_136:                           ;   in Loop: Header=BB1060_138 Depth=1
	v_lshl_add_u64 v[20:21], v[16:17], 0, s[48:49]
	v_lshl_add_u64 v[22:23], v[18:19], 0, s[48:49]
	global_load_ubyte v32, v[20:21], off
	global_load_ubyte v33, v[22:23], off
	s_waitcnt vmcnt(1)
	v_cmp_ne_u16_e32 vcc, 0, v32
	s_waitcnt vmcnt(0)
	v_cmp_ne_u16_e64 s[4:5], 0, v33
	s_xor_b64 s[50:51], vcc, s[4:5]
	s_add_u32 s4, s48, 1
	s_addc_u32 s5, s49, 0
	s_andn2_b64 s[46:47], s[46:47], exec
	s_and_b64 s[50:51], s[50:51], exec
	s_or_b64 s[46:47], s[46:47], s[50:51]
.LBB1060_137:                           ;   in Loop: Header=BB1060_138 Depth=1
	s_and_b64 s[50:51], exec, s[46:47]
	s_or_b64 s[44:45], s[50:51], s[44:45]
	v_mov_b64_e32 v[20:21], s[48:49]
	s_mov_b64 s[48:49], s[4:5]
	s_andn2_b64 exec, exec, s[44:45]
	s_cbranch_execz .LBB1060_140
.LBB1060_138:                           ; =>This Inner Loop Header: Depth=1
	s_or_b64 s[46:47], s[46:47], exec
	s_cmp_eq_u64 s[26:27], s[48:49]
	s_cbranch_scc0 .LBB1060_136
; %bb.139:                              ;   in Loop: Header=BB1060_138 Depth=1
                                        ; implicit-def: $sgpr4_sgpr5
	s_mov_b64 s[48:49], s[26:27]
	s_branch .LBB1060_137
.LBB1060_140:
	s_or_b64 exec, exec, s[44:45]
	v_cmp_gt_i64_e32 vcc, s[26:27], v[20:21]
	s_orn2_b64 s[4:5], vcc, exec
.LBB1060_141:
	s_or_b64 exec, exec, s[38:39]
	s_and_b64 s[38:39], s[4:5], exec
.LBB1060_142:
	s_or_b64 exec, exec, s[42:43]
	v_cmp_ne_u32_e32 vcc, 0, v0
	s_waitcnt lgkmcnt(0)
	v_mov_b64_e32 v[18:19], s[12:13]
	s_barrier
	s_and_saveexec_b64 s[4:5], vcc
	s_cbranch_execz .LBB1060_144
; %bb.143:
	v_add_u32_e32 v16, -8, v25
	ds_read_b64 v[18:19], v16
.LBB1060_144:
	s_or_b64 exec, exec, s[4:5]
	v_cndmask_b32_e64 v17, 0, 1, s[36:37]
	v_cndmask_b32_e64 v16, 0, 1, s[40:41]
	;; [unrolled: 1-line block ×3, first 2 shown]
	v_cmp_gt_u32_e32 vcc, s3, v1
	v_lshlrev_b16_e32 v17, 8, v17
	s_mov_b64 s[38:39], -1
	s_and_b64 s[4:5], vcc, s[14:15]
	v_lshlrev_b16_e32 v22, 8, v20
	v_or_b32_sdwa v23, v16, v17 dst_sel:WORD_1 dst_unused:UNUSED_PAD src0_sel:DWORD src1_sel:DWORD
	s_mov_b64 s[36:37], 0
	s_and_saveexec_b64 s[12:13], s[4:5]
	s_cbranch_execz .LBB1060_153
; %bb.145:
	v_mov_b64_e32 v[20:21], s[28:29]
	s_waitcnt lgkmcnt(0)
	v_mad_u64_u32 v[16:17], s[4:5], v18, s26, v[20:21]
	v_mul_lo_u32 v18, v18, s27
	v_mul_lo_u32 v19, v19, s26
	v_add3_u32 v17, v19, v17, v18
	v_mad_u64_u32 v[18:19], s[4:5], v10, s26, v[20:21]
	v_mul_lo_u32 v20, v10, s27
	v_mul_lo_u32 v21, v11, s26
	v_add3_u32 v19, v21, v19, v20
	global_load_ubyte v20, v[16:17], off
	global_load_ubyte v21, v[18:19], off
	s_waitcnt vmcnt(1)
	v_cmp_ne_u16_e32 vcc, 0, v20
	s_waitcnt vmcnt(0)
	v_cmp_ne_u16_e64 s[4:5], 0, v21
	s_xor_b64 s[4:5], vcc, s[4:5]
	s_xor_b64 s[4:5], s[4:5], -1
	s_and_saveexec_b64 s[14:15], s[4:5]
	s_cbranch_execz .LBB1060_152
; %bb.146:
	s_mov_b64 s[40:41], 1
                                        ; implicit-def: $sgpr38_sgpr39
	s_branch .LBB1060_149
.LBB1060_147:                           ;   in Loop: Header=BB1060_149 Depth=1
	v_lshl_add_u64 v[20:21], v[16:17], 0, s[40:41]
	v_lshl_add_u64 v[32:33], v[18:19], 0, s[40:41]
	global_load_ubyte v25, v[20:21], off
	global_load_ubyte v34, v[32:33], off
	s_waitcnt vmcnt(1)
	v_cmp_ne_u16_e32 vcc, 0, v25
	s_waitcnt vmcnt(0)
	v_cmp_ne_u16_e64 s[4:5], 0, v34
	s_xor_b64 s[42:43], vcc, s[4:5]
	s_add_u32 s4, s40, 1
	s_addc_u32 s5, s41, 0
	s_andn2_b64 s[38:39], s[38:39], exec
	s_and_b64 s[42:43], s[42:43], exec
	s_or_b64 s[38:39], s[38:39], s[42:43]
.LBB1060_148:                           ;   in Loop: Header=BB1060_149 Depth=1
	s_and_b64 s[42:43], exec, s[38:39]
	s_or_b64 s[36:37], s[42:43], s[36:37]
	v_mov_b64_e32 v[20:21], s[40:41]
	s_mov_b64 s[40:41], s[4:5]
	s_andn2_b64 exec, exec, s[36:37]
	s_cbranch_execz .LBB1060_151
.LBB1060_149:                           ; =>This Inner Loop Header: Depth=1
	s_or_b64 s[38:39], s[38:39], exec
	s_cmp_eq_u64 s[26:27], s[40:41]
	s_cbranch_scc0 .LBB1060_147
; %bb.150:                              ;   in Loop: Header=BB1060_149 Depth=1
                                        ; implicit-def: $sgpr4_sgpr5
	s_mov_b64 s[40:41], s[26:27]
	s_branch .LBB1060_148
.LBB1060_151:
	s_or_b64 exec, exec, s[36:37]
	v_cmp_gt_i64_e32 vcc, s[26:27], v[20:21]
	s_orn2_b64 s[38:39], vcc, exec
.LBB1060_152:
	s_or_b64 exec, exec, s[14:15]
	s_and_b64 s[36:37], s[38:39], exec
.LBB1060_153:
	s_or_b64 exec, exec, s[12:13]
	s_waitcnt lgkmcnt(0)
	v_cndmask_b32_e64 v19, 0, 1, s[18:19]
	v_cndmask_b32_e64 v18, 0, 1, s[8:9]
	;; [unrolled: 1-line block ×3, first 2 shown]
	v_or_b32_e32 v20, v22, v23
.LBB1060_154:
	s_waitcnt lgkmcnt(0)
	s_mov_b64 s[12:13], -1
	s_cbranch_execnz .LBB1060_28
.LBB1060_155:
	s_movk_i32 s4, 0xffd0
	v_mad_i32_i24 v24, v0, s4, v24
	v_cmp_lt_i64_e64 s[14:15], s[26:27], 1
	s_mov_b64 s[6:7], 0
	v_cmp_gt_i64_e64 s[8:9], s[26:27], 0
	s_and_b64 vcc, exec, s[34:35]
	ds_write_b64 v24, v[14:15]
	s_cbranch_vccz .LBB1060_163
; %bb.156:
	v_cndmask_b32_e64 v16, 0, 1, s[8:9]
	v_cmp_ne_u32_e64 s[4:5], 1, v16
	s_andn2_b64 vcc, exec, s[8:9]
	s_cbranch_vccnz .LBB1060_164
; %bb.157:
	v_mov_b64_e32 v[18:19], s[28:29]
	v_mad_u64_u32 v[16:17], s[6:7], v4, s26, v[18:19]
	v_mul_lo_u32 v20, v4, s27
	v_mul_lo_u32 v21, v5, s26
	v_add3_u32 v17, v21, v17, v20
	v_mad_u64_u32 v[18:19], s[6:7], v14, s26, v[18:19]
	v_mul_lo_u32 v20, v14, s27
	v_mul_lo_u32 v21, v15, s26
	v_add3_u32 v19, v21, v19, v20
	global_load_ubyte v20, v[16:17], off
	global_load_ubyte v21, v[18:19], off
	s_mov_b64 s[8:9], -1
	s_waitcnt vmcnt(1)
	v_cmp_ne_u16_e32 vcc, 0, v20
	s_waitcnt vmcnt(0)
	v_cmp_ne_u16_e64 s[6:7], 0, v21
	s_xor_b64 s[6:7], vcc, s[6:7]
	s_xor_b64 s[6:7], s[6:7], -1
	s_and_saveexec_b64 s[18:19], s[6:7]
	s_cbranch_execz .LBB1060_166
; %bb.158:
	s_mov_b64 s[40:41], 1
	s_mov_b64 s[36:37], 0
                                        ; implicit-def: $sgpr38_sgpr39
	s_branch .LBB1060_161
.LBB1060_159:                           ;   in Loop: Header=BB1060_161 Depth=1
	v_lshl_add_u64 v[20:21], v[16:17], 0, s[40:41]
	v_lshl_add_u64 v[22:23], v[18:19], 0, s[40:41]
	global_load_ubyte v25, v[20:21], off
	global_load_ubyte v32, v[22:23], off
	s_waitcnt vmcnt(1)
	v_cmp_ne_u16_e64 s[6:7], 0, v25
	s_waitcnt vmcnt(0)
	v_cmp_ne_u16_e64 s[8:9], 0, v32
	s_xor_b64 s[8:9], s[6:7], s[8:9]
	s_add_u32 s6, s40, 1
	s_addc_u32 s7, s41, 0
	s_andn2_b64 s[38:39], s[38:39], exec
	s_and_b64 s[8:9], s[8:9], exec
	s_or_b64 s[38:39], s[38:39], s[8:9]
.LBB1060_160:                           ;   in Loop: Header=BB1060_161 Depth=1
	s_and_b64 s[8:9], exec, s[38:39]
	s_or_b64 s[36:37], s[8:9], s[36:37]
	v_mov_b64_e32 v[20:21], s[40:41]
	s_mov_b64 s[40:41], s[6:7]
	s_andn2_b64 exec, exec, s[36:37]
	s_cbranch_execz .LBB1060_165
.LBB1060_161:                           ; =>This Inner Loop Header: Depth=1
	s_or_b64 s[38:39], s[38:39], exec
	s_cmp_eq_u64 s[26:27], s[40:41]
	s_cbranch_scc0 .LBB1060_159
; %bb.162:                              ;   in Loop: Header=BB1060_161 Depth=1
                                        ; implicit-def: $sgpr6_sgpr7
	s_mov_b64 s[40:41], s[26:27]
	s_branch .LBB1060_160
.LBB1060_163:
                                        ; implicit-def: $sgpr36_sgpr37
                                        ; implicit-def: $vgpr32
                                        ; implicit-def: $vgpr18
                                        ; implicit-def: $vgpr19
                                        ; implicit-def: $vgpr20
                                        ; implicit-def: $vgpr16_vgpr17
	s_cbranch_execnz .LBB1060_222
	s_branch .LBB1060_288
.LBB1060_164:
	v_mov_b32_e32 v16, 0
	s_branch .LBB1060_174
.LBB1060_165:
	s_or_b64 exec, exec, s[36:37]
	v_cmp_gt_i64_e64 s[6:7], s[26:27], v[20:21]
	s_orn2_b64 s[8:9], s[6:7], exec
.LBB1060_166:
	s_or_b64 exec, exec, s[18:19]
	v_mov_b64_e32 v[18:19], s[28:29]
	v_mad_u64_u32 v[18:19], s[6:7], v2, s26, v[18:19]
	v_mul_lo_u32 v20, v2, s27
	v_mul_lo_u32 v21, v3, s26
	v_add3_u32 v19, v21, v19, v20
	global_load_ubyte v20, v[18:19], off
	s_waitcnt vmcnt(0)
	v_cmp_ne_u16_e64 s[6:7], 0, v20
	s_xor_b64 s[18:19], vcc, s[6:7]
	s_mov_b64 s[6:7], -1
	s_xor_b64 s[36:37], s[18:19], -1
	s_and_saveexec_b64 s[18:19], s[36:37]
	s_cbranch_execz .LBB1060_173
; %bb.167:
	s_mov_b64 s[40:41], 1
	s_mov_b64 s[36:37], 0
                                        ; implicit-def: $sgpr38_sgpr39
	s_branch .LBB1060_170
.LBB1060_168:                           ;   in Loop: Header=BB1060_170 Depth=1
	v_lshl_add_u64 v[20:21], v[18:19], 0, s[40:41]
	v_lshl_add_u64 v[22:23], v[16:17], 0, s[40:41]
	global_load_ubyte v25, v[20:21], off
	global_load_ubyte v32, v[22:23], off
	s_waitcnt vmcnt(1)
	v_cmp_ne_u16_e32 vcc, 0, v25
	s_waitcnt vmcnt(0)
	v_cmp_ne_u16_e64 s[6:7], 0, v32
	s_xor_b64 s[42:43], vcc, s[6:7]
	s_add_u32 s6, s40, 1
	s_addc_u32 s7, s41, 0
	s_andn2_b64 s[38:39], s[38:39], exec
	s_and_b64 s[42:43], s[42:43], exec
	s_or_b64 s[38:39], s[38:39], s[42:43]
.LBB1060_169:                           ;   in Loop: Header=BB1060_170 Depth=1
	s_and_b64 s[42:43], exec, s[38:39]
	s_or_b64 s[36:37], s[42:43], s[36:37]
	v_mov_b64_e32 v[20:21], s[40:41]
	s_mov_b64 s[40:41], s[6:7]
	s_andn2_b64 exec, exec, s[36:37]
	s_cbranch_execz .LBB1060_172
.LBB1060_170:                           ; =>This Inner Loop Header: Depth=1
	s_or_b64 s[38:39], s[38:39], exec
	s_cmp_eq_u64 s[26:27], s[40:41]
	s_cbranch_scc0 .LBB1060_168
; %bb.171:                              ;   in Loop: Header=BB1060_170 Depth=1
                                        ; implicit-def: $sgpr6_sgpr7
	s_mov_b64 s[40:41], s[26:27]
	s_branch .LBB1060_169
.LBB1060_172:
	s_or_b64 exec, exec, s[36:37]
	v_cmp_gt_i64_e32 vcc, s[26:27], v[20:21]
	s_orn2_b64 s[6:7], vcc, exec
.LBB1060_173:
	s_or_b64 exec, exec, s[18:19]
	v_cndmask_b32_e64 v16, 0, 1, s[8:9]
.LBB1060_174:
	v_lshlrev_b16_e32 v17, 8, v0
	v_lshlrev_b16_e32 v18, 8, v0
	v_mov_b32_e32 v20, 8
	v_lshrrev_b32_sdwa v18, v20, v18 dst_sel:BYTE_1 dst_unused:UNUSED_PAD src0_sel:DWORD src1_sel:DWORD
	v_lshrrev_b32_sdwa v17, v20, v17 dst_sel:BYTE_1 dst_unused:UNUSED_PAD src0_sel:DWORD src1_sel:DWORD
	v_cndmask_b32_e64 v19, 0, 1, s[6:7]
	v_or_b32_sdwa v18, v0, v18 dst_sel:DWORD dst_unused:UNUSED_PAD src0_sel:BYTE_0 src1_sel:DWORD
	v_or_b32_sdwa v17, v0, v17 dst_sel:WORD_1 dst_unused:UNUSED_PAD src0_sel:BYTE_0 src1_sel:DWORD
	v_lshlrev_b32_e32 v16, 16, v16
	v_or_b32_sdwa v25, v18, v17 dst_sel:DWORD dst_unused:UNUSED_PAD src0_sel:WORD_0 src1_sel:DWORD
	v_lshlrev_b16_e32 v17, 8, v19
	s_and_b64 vcc, exec, s[4:5]
	v_or_b32_e32 v32, v17, v16
	s_cbranch_vccnz .LBB1060_181
; %bb.175:
	v_mov_b64_e32 v[18:19], s[28:29]
	v_mad_u64_u32 v[16:17], s[6:7], v8, s26, v[18:19]
	v_mul_lo_u32 v20, v8, s27
	v_mul_lo_u32 v21, v9, s26
	v_add3_u32 v17, v21, v17, v20
	v_mad_u64_u32 v[18:19], s[6:7], v2, s26, v[18:19]
	v_mul_lo_u32 v20, v2, s27
	v_mul_lo_u32 v21, v3, s26
	v_add3_u32 v19, v21, v19, v20
	global_load_ubyte v20, v[16:17], off
	global_load_ubyte v21, v[18:19], off
	s_waitcnt vmcnt(1)
	v_cmp_ne_u16_e32 vcc, 0, v20
	s_waitcnt vmcnt(0)
	v_cmp_ne_u16_e64 s[6:7], 0, v21
	s_xor_b64 s[8:9], vcc, s[6:7]
	s_mov_b64 s[6:7], -1
	s_xor_b64 s[8:9], s[8:9], -1
	s_and_saveexec_b64 s[18:19], s[8:9]
	s_cbranch_execz .LBB1060_183
; %bb.176:
	s_mov_b64 s[40:41], 1
	s_mov_b64 s[36:37], 0
                                        ; implicit-def: $sgpr38_sgpr39
	s_branch .LBB1060_179
.LBB1060_177:                           ;   in Loop: Header=BB1060_179 Depth=1
	v_lshl_add_u64 v[20:21], v[16:17], 0, s[40:41]
	v_lshl_add_u64 v[22:23], v[18:19], 0, s[40:41]
	global_load_ubyte v33, v[20:21], off
	global_load_ubyte v34, v[22:23], off
	s_waitcnt vmcnt(1)
	v_cmp_ne_u16_e64 s[6:7], 0, v33
	s_waitcnt vmcnt(0)
	v_cmp_ne_u16_e64 s[8:9], 0, v34
	s_xor_b64 s[8:9], s[6:7], s[8:9]
	s_add_u32 s6, s40, 1
	s_addc_u32 s7, s41, 0
	s_andn2_b64 s[38:39], s[38:39], exec
	s_and_b64 s[8:9], s[8:9], exec
	s_or_b64 s[38:39], s[38:39], s[8:9]
.LBB1060_178:                           ;   in Loop: Header=BB1060_179 Depth=1
	s_and_b64 s[8:9], exec, s[38:39]
	s_or_b64 s[36:37], s[8:9], s[36:37]
	v_mov_b64_e32 v[20:21], s[40:41]
	s_mov_b64 s[40:41], s[6:7]
	s_andn2_b64 exec, exec, s[36:37]
	s_cbranch_execz .LBB1060_182
.LBB1060_179:                           ; =>This Inner Loop Header: Depth=1
	s_or_b64 s[38:39], s[38:39], exec
	s_cmp_eq_u64 s[26:27], s[40:41]
	s_cbranch_scc0 .LBB1060_177
; %bb.180:                              ;   in Loop: Header=BB1060_179 Depth=1
                                        ; implicit-def: $sgpr6_sgpr7
	s_mov_b64 s[40:41], s[26:27]
	s_branch .LBB1060_178
.LBB1060_181:
                                        ; implicit-def: $sgpr6_sgpr7
                                        ; implicit-def: $vgpr18_vgpr19
	s_cbranch_execnz .LBB1060_191
	s_branch .LBB1060_192
.LBB1060_182:
	s_or_b64 exec, exec, s[36:37]
	v_cmp_gt_i64_e64 s[6:7], s[26:27], v[20:21]
	s_orn2_b64 s[6:7], s[6:7], exec
.LBB1060_183:
	s_or_b64 exec, exec, s[18:19]
	v_mov_b64_e32 v[18:19], s[28:29]
	v_mad_u64_u32 v[20:21], s[8:9], v6, s26, v[18:19]
	v_mul_lo_u32 v18, v6, s27
	v_mul_lo_u32 v19, v7, s26
	v_add3_u32 v21, v19, v21, v18
	global_load_ubyte v22, v[20:21], off
	v_mov_b32_e32 v18, 8
	v_cndmask_b32_e64 v19, 0, 1, s[6:7]
	s_mov_b32 s6, 0x3020104
	v_lshrrev_b32_sdwa v33, v18, v32 dst_sel:BYTE_1 dst_unused:UNUSED_PAD src0_sel:DWORD src1_sel:DWORD
	v_perm_b32 v18, v25, v25, s6
	v_or_b32_e32 v19, v19, v33
	v_bfe_u32 v23, v32, 16, 8
	v_and_b32_e32 v19, 0xffff, v19
	v_lshl_or_b32 v19, v23, 16, v19
	s_waitcnt vmcnt(0)
	v_cmp_ne_u16_e64 s[6:7], 0, v22
	s_xor_b64 s[8:9], vcc, s[6:7]
	s_mov_b64 s[6:7], -1
	s_xor_b64 s[18:19], s[8:9], -1
	s_and_saveexec_b64 s[8:9], s[18:19]
	s_cbranch_execz .LBB1060_190
; %bb.184:
	s_mov_b64 s[38:39], 1
	s_mov_b64 s[18:19], 0
                                        ; implicit-def: $sgpr36_sgpr37
	s_branch .LBB1060_187
.LBB1060_185:                           ;   in Loop: Header=BB1060_187 Depth=1
	v_lshl_add_u64 v[22:23], v[20:21], 0, s[38:39]
	v_lshl_add_u64 v[34:35], v[16:17], 0, s[38:39]
	global_load_ubyte v33, v[22:23], off
	global_load_ubyte v36, v[34:35], off
	s_waitcnt vmcnt(1)
	v_cmp_ne_u16_e32 vcc, 0, v33
	s_waitcnt vmcnt(0)
	v_cmp_ne_u16_e64 s[6:7], 0, v36
	s_xor_b64 s[40:41], vcc, s[6:7]
	s_add_u32 s6, s38, 1
	s_addc_u32 s7, s39, 0
	s_andn2_b64 s[36:37], s[36:37], exec
	s_and_b64 s[40:41], s[40:41], exec
	s_or_b64 s[36:37], s[36:37], s[40:41]
.LBB1060_186:                           ;   in Loop: Header=BB1060_187 Depth=1
	s_and_b64 s[40:41], exec, s[36:37]
	s_or_b64 s[18:19], s[40:41], s[18:19]
	v_mov_b64_e32 v[22:23], s[38:39]
	s_mov_b64 s[38:39], s[6:7]
	s_andn2_b64 exec, exec, s[18:19]
	s_cbranch_execz .LBB1060_189
.LBB1060_187:                           ; =>This Inner Loop Header: Depth=1
	s_or_b64 s[36:37], s[36:37], exec
	s_cmp_eq_u64 s[26:27], s[38:39]
	s_cbranch_scc0 .LBB1060_185
; %bb.188:                              ;   in Loop: Header=BB1060_187 Depth=1
                                        ; implicit-def: $sgpr6_sgpr7
	s_mov_b64 s[38:39], s[26:27]
	s_branch .LBB1060_186
.LBB1060_189:
	s_or_b64 exec, exec, s[18:19]
	v_cmp_gt_i64_e32 vcc, s[26:27], v[22:23]
	s_orn2_b64 s[6:7], vcc, exec
.LBB1060_190:
	s_or_b64 exec, exec, s[8:9]
	s_branch .LBB1060_192
.LBB1060_191:
	v_mov_b32_e32 v16, 8
	v_lshrrev_b32_sdwa v16, v16, v32 dst_sel:BYTE_1 dst_unused:UNUSED_PAD src0_sel:DWORD src1_sel:DWORD
	v_bfe_u32 v17, v32, 16, 8
	s_mov_b32 s8, 0x3020104
	v_lshl_or_b32 v19, v17, 16, v16
	v_perm_b32 v18, v25, v25, s8
	s_andn2_b64 s[6:7], s[6:7], exec
.LBB1060_192:
	v_mov_b32_e32 v17, 8
	v_cndmask_b32_e64 v16, 0, 1, s[6:7]
	s_movk_i32 s6, 0xff
	v_lshrrev_b32_sdwa v20, v17, v18 dst_sel:BYTE_1 dst_unused:UNUSED_PAD src0_sel:DWORD src1_sel:DWORD
	v_lshlrev_b16_e32 v16, 8, v16
	v_or_b32_sdwa v20, v18, v20 dst_sel:DWORD dst_unused:UNUSED_PAD src0_sel:BYTE_0 src1_sel:DWORD
	v_and_b32_sdwa v18, v18, s6 dst_sel:DWORD dst_unused:UNUSED_PAD src0_sel:WORD_1 src1_sel:DWORD
	v_or_b32_sdwa v16, v18, v16 dst_sel:WORD_1 dst_unused:UNUSED_PAD src0_sel:DWORD src1_sel:DWORD
	s_and_b64 vcc, exec, s[4:5]
	v_or_b32_sdwa v25, v20, v16 dst_sel:DWORD dst_unused:UNUSED_PAD src0_sel:WORD_0 src1_sel:DWORD
	v_lshrrev_b32_sdwa v16, v17, v19 dst_sel:BYTE_1 dst_unused:UNUSED_PAD src0_sel:DWORD src1_sel:DWORD
	v_bfe_u32 v17, v19, 16, 8
	v_or_b32_sdwa v16, v19, v16 dst_sel:DWORD dst_unused:UNUSED_PAD src0_sel:BYTE_0 src1_sel:DWORD
	v_and_b32_e32 v16, 0xffff, v16
	v_lshl_or_b32 v32, v17, 16, v16
	s_cbranch_vccnz .LBB1060_199
; %bb.193:
	v_mov_b64_e32 v[18:19], s[28:29]
	v_mad_u64_u32 v[16:17], s[6:7], v12, s26, v[18:19]
	v_mul_lo_u32 v20, v12, s27
	v_mul_lo_u32 v21, v13, s26
	v_add3_u32 v17, v21, v17, v20
	v_mad_u64_u32 v[18:19], s[6:7], v6, s26, v[18:19]
	v_mul_lo_u32 v20, v6, s27
	v_mul_lo_u32 v21, v7, s26
	v_add3_u32 v19, v21, v19, v20
	global_load_ubyte v20, v[16:17], off
	global_load_ubyte v21, v[18:19], off
	s_waitcnt vmcnt(1)
	v_cmp_ne_u16_e32 vcc, 0, v20
	s_waitcnt vmcnt(0)
	v_cmp_ne_u16_e64 s[6:7], 0, v21
	s_xor_b64 s[8:9], vcc, s[6:7]
	s_mov_b64 s[6:7], -1
	s_xor_b64 s[8:9], s[8:9], -1
	s_and_saveexec_b64 s[18:19], s[8:9]
	s_cbranch_execz .LBB1060_201
; %bb.194:
	s_mov_b64 s[40:41], 1
	s_mov_b64 s[36:37], 0
                                        ; implicit-def: $sgpr38_sgpr39
	s_branch .LBB1060_197
.LBB1060_195:                           ;   in Loop: Header=BB1060_197 Depth=1
	v_lshl_add_u64 v[20:21], v[16:17], 0, s[40:41]
	v_lshl_add_u64 v[22:23], v[18:19], 0, s[40:41]
	global_load_ubyte v33, v[20:21], off
	global_load_ubyte v34, v[22:23], off
	s_waitcnt vmcnt(1)
	v_cmp_ne_u16_e64 s[6:7], 0, v33
	s_waitcnt vmcnt(0)
	v_cmp_ne_u16_e64 s[8:9], 0, v34
	s_xor_b64 s[8:9], s[6:7], s[8:9]
	s_add_u32 s6, s40, 1
	s_addc_u32 s7, s41, 0
	s_andn2_b64 s[38:39], s[38:39], exec
	s_and_b64 s[8:9], s[8:9], exec
	s_or_b64 s[38:39], s[38:39], s[8:9]
.LBB1060_196:                           ;   in Loop: Header=BB1060_197 Depth=1
	s_and_b64 s[8:9], exec, s[38:39]
	s_or_b64 s[36:37], s[8:9], s[36:37]
	v_mov_b64_e32 v[20:21], s[40:41]
	s_mov_b64 s[40:41], s[6:7]
	s_andn2_b64 exec, exec, s[36:37]
	s_cbranch_execz .LBB1060_200
.LBB1060_197:                           ; =>This Inner Loop Header: Depth=1
	s_or_b64 s[38:39], s[38:39], exec
	s_cmp_eq_u64 s[26:27], s[40:41]
	s_cbranch_scc0 .LBB1060_195
; %bb.198:                              ;   in Loop: Header=BB1060_197 Depth=1
                                        ; implicit-def: $sgpr6_sgpr7
	s_mov_b64 s[40:41], s[26:27]
	s_branch .LBB1060_196
.LBB1060_199:
                                        ; implicit-def: $sgpr6_sgpr7
                                        ; implicit-def: $vgpr18_vgpr19
	s_cbranch_execnz .LBB1060_209
	s_branch .LBB1060_210
.LBB1060_200:
	s_or_b64 exec, exec, s[36:37]
	v_cmp_gt_i64_e64 s[6:7], s[26:27], v[20:21]
	s_orn2_b64 s[6:7], s[6:7], exec
.LBB1060_201:
	s_or_b64 exec, exec, s[18:19]
	v_mov_b64_e32 v[18:19], s[28:29]
	v_mad_u64_u32 v[20:21], s[8:9], v10, s26, v[18:19]
	v_mul_lo_u32 v18, v10, s27
	v_mul_lo_u32 v19, v11, s26
	v_add3_u32 v21, v19, v21, v18
	global_load_ubyte v22, v[20:21], off
	v_mov_b32_e32 v19, 8
	v_lshrrev_b32_e32 v33, 24, v25
	v_lshrrev_b32_sdwa v34, v19, v32 dst_sel:BYTE_1 dst_unused:UNUSED_PAD src0_sel:DWORD src1_sel:DWORD
	v_cndmask_b32_e64 v18, 0, 1, s[6:7]
	v_lshrrev_b32_sdwa v19, v19, v25 dst_sel:BYTE_1 dst_unused:UNUSED_PAD src0_sel:DWORD src1_sel:DWORD
	v_lshlrev_b16_e32 v33, 8, v33
	v_or_b32_sdwa v34, v32, v34 dst_sel:DWORD dst_unused:UNUSED_PAD src0_sel:BYTE_0 src1_sel:DWORD
	v_bfe_u32 v23, v32, 16, 8
	v_or_b32_sdwa v19, v25, v19 dst_sel:DWORD dst_unused:UNUSED_PAD src0_sel:BYTE_0 src1_sel:DWORD
	v_or_b32_sdwa v18, v18, v33 dst_sel:WORD_1 dst_unused:UNUSED_PAD src0_sel:DWORD src1_sel:DWORD
	v_and_b32_e32 v33, 0xffff, v34
	v_or_b32_sdwa v18, v19, v18 dst_sel:DWORD dst_unused:UNUSED_PAD src0_sel:WORD_0 src1_sel:DWORD
	v_lshl_or_b32 v19, v23, 16, v33
	s_waitcnt vmcnt(0)
	v_cmp_ne_u16_e64 s[6:7], 0, v22
	s_xor_b64 s[8:9], vcc, s[6:7]
	s_mov_b64 s[6:7], -1
	s_xor_b64 s[18:19], s[8:9], -1
	s_and_saveexec_b64 s[8:9], s[18:19]
	s_cbranch_execz .LBB1060_208
; %bb.202:
	s_mov_b64 s[38:39], 1
	s_mov_b64 s[18:19], 0
                                        ; implicit-def: $sgpr36_sgpr37
	s_branch .LBB1060_205
.LBB1060_203:                           ;   in Loop: Header=BB1060_205 Depth=1
	v_lshl_add_u64 v[22:23], v[20:21], 0, s[38:39]
	v_lshl_add_u64 v[34:35], v[16:17], 0, s[38:39]
	global_load_ubyte v33, v[22:23], off
	global_load_ubyte v36, v[34:35], off
	s_waitcnt vmcnt(1)
	v_cmp_ne_u16_e32 vcc, 0, v33
	s_waitcnt vmcnt(0)
	v_cmp_ne_u16_e64 s[6:7], 0, v36
	s_xor_b64 s[40:41], vcc, s[6:7]
	s_add_u32 s6, s38, 1
	s_addc_u32 s7, s39, 0
	s_andn2_b64 s[36:37], s[36:37], exec
	s_and_b64 s[40:41], s[40:41], exec
	s_or_b64 s[36:37], s[36:37], s[40:41]
.LBB1060_204:                           ;   in Loop: Header=BB1060_205 Depth=1
	s_and_b64 s[40:41], exec, s[36:37]
	s_or_b64 s[18:19], s[40:41], s[18:19]
	v_mov_b64_e32 v[22:23], s[38:39]
	s_mov_b64 s[38:39], s[6:7]
	s_andn2_b64 exec, exec, s[18:19]
	s_cbranch_execz .LBB1060_207
.LBB1060_205:                           ; =>This Inner Loop Header: Depth=1
	s_or_b64 s[36:37], s[36:37], exec
	s_cmp_eq_u64 s[26:27], s[38:39]
	s_cbranch_scc0 .LBB1060_203
; %bb.206:                              ;   in Loop: Header=BB1060_205 Depth=1
                                        ; implicit-def: $sgpr6_sgpr7
	s_mov_b64 s[38:39], s[26:27]
	s_branch .LBB1060_204
.LBB1060_207:
	s_or_b64 exec, exec, s[18:19]
	v_cmp_gt_i64_e32 vcc, s[26:27], v[22:23]
	s_orn2_b64 s[6:7], vcc, exec
.LBB1060_208:
	s_or_b64 exec, exec, s[8:9]
	s_branch .LBB1060_210
.LBB1060_209:
	v_mov_b32_e32 v16, 8
	v_lshrrev_b32_sdwa v17, v16, v32 dst_sel:BYTE_1 dst_unused:UNUSED_PAD src0_sel:DWORD src1_sel:DWORD
	v_lshrrev_b32_sdwa v16, v16, v25 dst_sel:BYTE_1 dst_unused:UNUSED_PAD src0_sel:DWORD src1_sel:DWORD
	v_or_b32_sdwa v17, v32, v17 dst_sel:DWORD dst_unused:UNUSED_PAD src0_sel:BYTE_0 src1_sel:DWORD
	v_or_b32_sdwa v16, v25, v16 dst_sel:DWORD dst_unused:UNUSED_PAD src0_sel:BYTE_0 src1_sel:DWORD
	v_and_b32_e32 v17, 0xffff, v17
	v_bfe_u32 v18, v32, 16, 8
	v_and_b32_e32 v16, 0xffff, v16
	s_mov_b32 s8, 0xff000000
	v_lshl_or_b32 v19, v18, 16, v17
	v_and_or_b32 v18, v25, s8, v16
	s_andn2_b64 s[6:7], s[6:7], exec
.LBB1060_210:
	v_mov_b32_e32 v17, 8
	v_lshrrev_b32_sdwa v17, v17, v19 dst_sel:BYTE_1 dst_unused:UNUSED_PAD src0_sel:DWORD src1_sel:DWORD
	v_cndmask_b32_e64 v16, 0, 1, s[6:7]
	v_or_b32_sdwa v17, v19, v17 dst_sel:DWORD dst_unused:UNUSED_PAD src0_sel:BYTE_0 src1_sel:DWORD
	v_and_b32_e32 v17, 0xffff, v17
	v_bfe_u32 v19, v19, 16, 8
	s_movk_i32 s6, 0xff
	v_lshl_or_b32 v17, v19, 16, v17
	v_lshrrev_b32_e32 v19, 24, v18
	v_lshlrev_b16_e32 v19, 8, v19
	v_and_b32_sdwa v18, v18, s6 dst_sel:DWORD dst_unused:UNUSED_PAD src0_sel:WORD_1 src1_sel:DWORD
	v_lshlrev_b16_e32 v16, 8, v16
	v_or_b32_sdwa v18, v18, v19 dst_sel:WORD_1 dst_unused:UNUSED_PAD src0_sel:DWORD src1_sel:DWORD
	v_or_b32_e32 v16, 1, v16
	v_or_b32_sdwa v16, v16, v18 dst_sel:DWORD dst_unused:UNUSED_PAD src0_sel:WORD_0 src1_sel:DWORD
	v_cmp_ne_u32_e32 vcc, 0, v0
	s_waitcnt lgkmcnt(0)
	s_barrier
	s_waitcnt lgkmcnt(0)
                                        ; implicit-def: $sgpr36_sgpr37
                                        ; implicit-def: $vgpr32
                                        ; implicit-def: $vgpr18
                                        ; implicit-def: $vgpr19
                                        ; implicit-def: $vgpr20
	s_and_saveexec_b64 s[6:7], vcc
	s_xor_b64 s[6:7], exec, s[6:7]
	s_cbranch_execz .LBB1060_221
; %bb.211:
	s_mov_b32 s33, 0x3020104
	s_and_b64 vcc, exec, s[4:5]
	s_mov_b64 s[4:5], 0
	s_cbranch_vccnz .LBB1060_220
; %bb.212:
	v_add_u32_e32 v18, -8, v24
	ds_read_b64 v[18:19], v18
	v_mov_b64_e32 v[20:21], s[28:29]
	s_waitcnt lgkmcnt(0)
	v_mul_lo_u32 v22, v18, s27
	v_mul_lo_u32 v23, v19, s26
	v_mad_u64_u32 v[18:19], s[4:5], v18, s26, v[20:21]
	v_add3_u32 v19, v23, v19, v22
	v_mad_u64_u32 v[20:21], s[4:5], v10, s26, v[20:21]
	v_mul_lo_u32 v22, v10, s27
	v_mul_lo_u32 v23, v11, s26
	v_add3_u32 v21, v23, v21, v22
	global_load_ubyte v22, v[18:19], off
	global_load_ubyte v23, v[20:21], off
	s_waitcnt vmcnt(1)
	v_cmp_ne_u16_e32 vcc, 0, v22
	s_waitcnt vmcnt(0)
	v_cmp_ne_u16_e64 s[4:5], 0, v23
	s_xor_b64 s[8:9], vcc, s[4:5]
	s_mov_b64 s[4:5], -1
	s_xor_b64 s[18:19], s[8:9], -1
	s_and_saveexec_b64 s[8:9], s[18:19]
	s_cbranch_execz .LBB1060_219
; %bb.213:
	s_mov_b64 s[38:39], 1
	s_mov_b64 s[18:19], 0
                                        ; implicit-def: $sgpr36_sgpr37
	s_branch .LBB1060_216
.LBB1060_214:                           ;   in Loop: Header=BB1060_216 Depth=1
	v_lshl_add_u64 v[22:23], v[18:19], 0, s[38:39]
	v_lshl_add_u64 v[32:33], v[20:21], 0, s[38:39]
	global_load_ubyte v25, v[22:23], off
	global_load_ubyte v34, v[32:33], off
	s_waitcnt vmcnt(1)
	v_cmp_ne_u16_e32 vcc, 0, v25
	s_waitcnt vmcnt(0)
	v_cmp_ne_u16_e64 s[4:5], 0, v34
	s_xor_b64 s[40:41], vcc, s[4:5]
	s_add_u32 s4, s38, 1
	s_addc_u32 s5, s39, 0
	s_andn2_b64 s[36:37], s[36:37], exec
	s_and_b64 s[40:41], s[40:41], exec
	s_or_b64 s[36:37], s[36:37], s[40:41]
.LBB1060_215:                           ;   in Loop: Header=BB1060_216 Depth=1
	s_and_b64 s[40:41], exec, s[36:37]
	s_or_b64 s[18:19], s[40:41], s[18:19]
	v_mov_b64_e32 v[22:23], s[38:39]
	s_mov_b64 s[38:39], s[4:5]
	s_andn2_b64 exec, exec, s[18:19]
	s_cbranch_execz .LBB1060_218
.LBB1060_216:                           ; =>This Inner Loop Header: Depth=1
	s_or_b64 s[36:37], s[36:37], exec
	s_cmp_eq_u64 s[26:27], s[38:39]
	s_cbranch_scc0 .LBB1060_214
; %bb.217:                              ;   in Loop: Header=BB1060_216 Depth=1
                                        ; implicit-def: $sgpr4_sgpr5
	s_mov_b64 s[38:39], s[26:27]
	s_branch .LBB1060_215
.LBB1060_218:
	s_or_b64 exec, exec, s[18:19]
	v_cmp_gt_i64_e32 vcc, s[26:27], v[22:23]
	s_orn2_b64 s[4:5], vcc, exec
.LBB1060_219:
	s_or_b64 exec, exec, s[8:9]
.LBB1060_220:
	v_perm_b32 v20, v16, v16, s33
	v_lshrrev_b32_e32 v18, 8, v17
	v_lshrrev_b32_e32 v32, 16, v17
	s_and_b64 s[36:37], s[4:5], exec
	s_or_b64 s[12:13], s[12:13], exec
	v_mov_b32_e32 v19, v17
                                        ; implicit-def: $vgpr16_vgpr17
.LBB1060_221:
	s_or_b64 exec, exec, s[6:7]
	s_branch .LBB1060_288
.LBB1060_222:
	v_cmp_gt_u32_e32 vcc, s3, v29
	s_xor_b64 s[6:7], s[14:15], -1
	s_mov_b64 s[36:37], -1
	s_and_b64 s[4:5], vcc, s[6:7]
	s_mov_b64 s[14:15], 0
	v_mul_lo_u32 v25, v4, s27
	v_mul_lo_u32 v32, v5, s26
	s_mov_b64 s[8:9], 0
	s_and_saveexec_b64 s[18:19], s[4:5]
	s_cbranch_execz .LBB1060_231
; %bb.223:
	v_mov_b64_e32 v[18:19], s[28:29]
	v_mad_u64_u32 v[16:17], s[4:5], v4, s26, v[18:19]
	v_add3_u32 v17, v32, v17, v25
	v_mad_u64_u32 v[18:19], s[4:5], v14, s26, v[18:19]
	v_mul_lo_u32 v20, v14, s27
	v_mul_lo_u32 v21, v15, s26
	v_add3_u32 v19, v21, v19, v20
	global_load_ubyte v20, v[16:17], off
	global_load_ubyte v21, v[18:19], off
	s_waitcnt vmcnt(1)
	v_cmp_ne_u16_e32 vcc, 0, v20
	s_waitcnt vmcnt(0)
	v_cmp_ne_u16_e64 s[4:5], 0, v21
	s_xor_b64 s[4:5], vcc, s[4:5]
	s_xor_b64 s[4:5], s[4:5], -1
	s_and_saveexec_b64 s[8:9], s[4:5]
	s_cbranch_execz .LBB1060_230
; %bb.224:
	s_mov_b64 s[40:41], 1
	s_mov_b64 s[36:37], 0
                                        ; implicit-def: $sgpr38_sgpr39
	s_branch .LBB1060_227
.LBB1060_225:                           ;   in Loop: Header=BB1060_227 Depth=1
	v_lshl_add_u64 v[20:21], v[16:17], 0, s[40:41]
	v_lshl_add_u64 v[22:23], v[18:19], 0, s[40:41]
	global_load_ubyte v33, v[20:21], off
	global_load_ubyte v34, v[22:23], off
	s_waitcnt vmcnt(1)
	v_cmp_ne_u16_e32 vcc, 0, v33
	s_waitcnt vmcnt(0)
	v_cmp_ne_u16_e64 s[4:5], 0, v34
	s_xor_b64 s[42:43], vcc, s[4:5]
	s_add_u32 s4, s40, 1
	s_addc_u32 s5, s41, 0
	s_andn2_b64 s[38:39], s[38:39], exec
	s_and_b64 s[42:43], s[42:43], exec
	s_or_b64 s[38:39], s[38:39], s[42:43]
.LBB1060_226:                           ;   in Loop: Header=BB1060_227 Depth=1
	s_and_b64 s[42:43], exec, s[38:39]
	s_or_b64 s[36:37], s[42:43], s[36:37]
	v_mov_b64_e32 v[20:21], s[40:41]
	s_mov_b64 s[40:41], s[4:5]
	s_andn2_b64 exec, exec, s[36:37]
	s_cbranch_execz .LBB1060_229
.LBB1060_227:                           ; =>This Inner Loop Header: Depth=1
	s_or_b64 s[38:39], s[38:39], exec
	s_cmp_eq_u64 s[26:27], s[40:41]
	s_cbranch_scc0 .LBB1060_225
; %bb.228:                              ;   in Loop: Header=BB1060_227 Depth=1
                                        ; implicit-def: $sgpr4_sgpr5
	s_mov_b64 s[40:41], s[26:27]
	s_branch .LBB1060_226
.LBB1060_229:
	s_or_b64 exec, exec, s[36:37]
	v_cmp_gt_i64_e32 vcc, s[26:27], v[20:21]
	s_orn2_b64 s[36:37], vcc, exec
.LBB1060_230:
	s_or_b64 exec, exec, s[8:9]
	s_and_b64 s[8:9], s[36:37], exec
.LBB1060_231:
	s_or_b64 exec, exec, s[18:19]
	v_cmp_gt_u32_e32 vcc, s3, v31
	s_and_b64 s[4:5], vcc, s[6:7]
	v_mul_lo_u32 v22, v2, s27
	v_mul_lo_u32 v23, v3, s26
	s_and_saveexec_b64 s[18:19], s[4:5]
	s_cbranch_execz .LBB1060_240
; %bb.232:
	v_mov_b64_e32 v[18:19], s[28:29]
	v_mad_u64_u32 v[16:17], s[4:5], v2, s26, v[18:19]
	v_add3_u32 v17, v23, v17, v22
	v_mad_u64_u32 v[18:19], s[4:5], v4, s26, v[18:19]
	v_add3_u32 v19, v32, v19, v25
	global_load_ubyte v20, v[16:17], off
	global_load_ubyte v21, v[18:19], off
	s_waitcnt vmcnt(1)
	v_cmp_ne_u16_e32 vcc, 0, v20
	s_waitcnt vmcnt(0)
	v_cmp_ne_u16_e64 s[4:5], 0, v21
	s_xor_b64 s[14:15], vcc, s[4:5]
	s_mov_b64 s[4:5], -1
	s_xor_b64 s[36:37], s[14:15], -1
	s_and_saveexec_b64 s[14:15], s[36:37]
	s_cbranch_execz .LBB1060_239
; %bb.233:
	s_mov_b64 s[40:41], 1
	s_mov_b64 s[36:37], 0
                                        ; implicit-def: $sgpr38_sgpr39
	s_branch .LBB1060_236
.LBB1060_234:                           ;   in Loop: Header=BB1060_236 Depth=1
	v_lshl_add_u64 v[20:21], v[16:17], 0, s[40:41]
	v_lshl_add_u64 v[32:33], v[18:19], 0, s[40:41]
	global_load_ubyte v25, v[20:21], off
	global_load_ubyte v34, v[32:33], off
	s_waitcnt vmcnt(1)
	v_cmp_ne_u16_e32 vcc, 0, v25
	s_waitcnt vmcnt(0)
	v_cmp_ne_u16_e64 s[4:5], 0, v34
	s_xor_b64 s[42:43], vcc, s[4:5]
	s_add_u32 s4, s40, 1
	s_addc_u32 s5, s41, 0
	s_andn2_b64 s[38:39], s[38:39], exec
	s_and_b64 s[42:43], s[42:43], exec
	s_or_b64 s[38:39], s[38:39], s[42:43]
.LBB1060_235:                           ;   in Loop: Header=BB1060_236 Depth=1
	s_and_b64 s[42:43], exec, s[38:39]
	s_or_b64 s[36:37], s[42:43], s[36:37]
	v_mov_b64_e32 v[20:21], s[40:41]
	s_mov_b64 s[40:41], s[4:5]
	s_andn2_b64 exec, exec, s[36:37]
	s_cbranch_execz .LBB1060_238
.LBB1060_236:                           ; =>This Inner Loop Header: Depth=1
	s_or_b64 s[38:39], s[38:39], exec
	s_cmp_eq_u64 s[26:27], s[40:41]
	s_cbranch_scc0 .LBB1060_234
; %bb.237:                              ;   in Loop: Header=BB1060_236 Depth=1
                                        ; implicit-def: $sgpr4_sgpr5
	s_mov_b64 s[40:41], s[26:27]
	s_branch .LBB1060_235
.LBB1060_238:
	s_or_b64 exec, exec, s[36:37]
	v_cmp_gt_i64_e32 vcc, s[26:27], v[20:21]
	s_orn2_b64 s[4:5], vcc, exec
.LBB1060_239:
	s_or_b64 exec, exec, s[14:15]
	s_and_b64 s[14:15], s[4:5], exec
.LBB1060_240:
	s_or_b64 exec, exec, s[18:19]
	v_cmp_gt_u32_e32 vcc, s3, v28
	s_mov_b64 s[40:41], -1
	s_and_b64 s[4:5], vcc, s[6:7]
	s_mov_b64 s[18:19], 0
	v_mul_lo_u32 v25, v8, s27
	v_mul_lo_u32 v32, v9, s26
	s_mov_b64 s[36:37], 0
	s_and_saveexec_b64 s[38:39], s[4:5]
	s_cbranch_execz .LBB1060_249
; %bb.241:
	v_mov_b64_e32 v[18:19], s[28:29]
	v_mad_u64_u32 v[16:17], s[4:5], v8, s26, v[18:19]
	v_add3_u32 v17, v32, v17, v25
	v_mad_u64_u32 v[18:19], s[4:5], v2, s26, v[18:19]
	v_add3_u32 v19, v23, v19, v22
	global_load_ubyte v20, v[16:17], off
	global_load_ubyte v21, v[18:19], off
	s_waitcnt vmcnt(1)
	v_cmp_ne_u16_e32 vcc, 0, v20
	s_waitcnt vmcnt(0)
	v_cmp_ne_u16_e64 s[4:5], 0, v21
	s_xor_b64 s[4:5], vcc, s[4:5]
	s_xor_b64 s[4:5], s[4:5], -1
	s_and_saveexec_b64 s[36:37], s[4:5]
	s_cbranch_execz .LBB1060_248
; %bb.242:
	s_mov_b64 s[44:45], 1
	s_mov_b64 s[40:41], 0
                                        ; implicit-def: $sgpr42_sgpr43
	s_branch .LBB1060_245
.LBB1060_243:                           ;   in Loop: Header=BB1060_245 Depth=1
	v_lshl_add_u64 v[20:21], v[16:17], 0, s[44:45]
	v_lshl_add_u64 v[22:23], v[18:19], 0, s[44:45]
	global_load_ubyte v33, v[20:21], off
	global_load_ubyte v34, v[22:23], off
	s_waitcnt vmcnt(1)
	v_cmp_ne_u16_e32 vcc, 0, v33
	s_waitcnt vmcnt(0)
	v_cmp_ne_u16_e64 s[4:5], 0, v34
	s_xor_b64 s[46:47], vcc, s[4:5]
	s_add_u32 s4, s44, 1
	s_addc_u32 s5, s45, 0
	s_andn2_b64 s[42:43], s[42:43], exec
	s_and_b64 s[46:47], s[46:47], exec
	s_or_b64 s[42:43], s[42:43], s[46:47]
.LBB1060_244:                           ;   in Loop: Header=BB1060_245 Depth=1
	s_and_b64 s[46:47], exec, s[42:43]
	s_or_b64 s[40:41], s[46:47], s[40:41]
	v_mov_b64_e32 v[20:21], s[44:45]
	s_mov_b64 s[44:45], s[4:5]
	s_andn2_b64 exec, exec, s[40:41]
	s_cbranch_execz .LBB1060_247
.LBB1060_245:                           ; =>This Inner Loop Header: Depth=1
	s_or_b64 s[42:43], s[42:43], exec
	s_cmp_eq_u64 s[26:27], s[44:45]
	s_cbranch_scc0 .LBB1060_243
; %bb.246:                              ;   in Loop: Header=BB1060_245 Depth=1
                                        ; implicit-def: $sgpr4_sgpr5
	s_mov_b64 s[44:45], s[26:27]
	s_branch .LBB1060_244
.LBB1060_247:
	s_or_b64 exec, exec, s[40:41]
	v_cmp_gt_i64_e32 vcc, s[26:27], v[20:21]
	s_orn2_b64 s[40:41], vcc, exec
.LBB1060_248:
	s_or_b64 exec, exec, s[36:37]
	s_and_b64 s[36:37], s[40:41], exec
.LBB1060_249:
	s_or_b64 exec, exec, s[38:39]
	v_cmp_gt_u32_e32 vcc, s3, v30
	s_and_b64 s[4:5], vcc, s[6:7]
	v_mul_lo_u32 v22, v6, s27
	v_mul_lo_u32 v23, v7, s26
	s_and_saveexec_b64 s[38:39], s[4:5]
	s_cbranch_execz .LBB1060_258
; %bb.250:
	v_mov_b64_e32 v[18:19], s[28:29]
	v_mad_u64_u32 v[16:17], s[4:5], v6, s26, v[18:19]
	v_add3_u32 v17, v23, v17, v22
	v_mad_u64_u32 v[18:19], s[4:5], v8, s26, v[18:19]
	v_add3_u32 v19, v32, v19, v25
	global_load_ubyte v20, v[16:17], off
	global_load_ubyte v21, v[18:19], off
	s_waitcnt vmcnt(1)
	v_cmp_ne_u16_e32 vcc, 0, v20
	s_waitcnt vmcnt(0)
	v_cmp_ne_u16_e64 s[4:5], 0, v21
	s_xor_b64 s[18:19], vcc, s[4:5]
	s_mov_b64 s[4:5], -1
	s_xor_b64 s[40:41], s[18:19], -1
	s_and_saveexec_b64 s[18:19], s[40:41]
	s_cbranch_execz .LBB1060_257
; %bb.251:
	s_mov_b64 s[44:45], 1
	s_mov_b64 s[40:41], 0
                                        ; implicit-def: $sgpr42_sgpr43
	s_branch .LBB1060_254
.LBB1060_252:                           ;   in Loop: Header=BB1060_254 Depth=1
	v_lshl_add_u64 v[20:21], v[16:17], 0, s[44:45]
	v_lshl_add_u64 v[32:33], v[18:19], 0, s[44:45]
	global_load_ubyte v25, v[20:21], off
	global_load_ubyte v34, v[32:33], off
	s_waitcnt vmcnt(1)
	v_cmp_ne_u16_e32 vcc, 0, v25
	s_waitcnt vmcnt(0)
	v_cmp_ne_u16_e64 s[4:5], 0, v34
	s_xor_b64 s[46:47], vcc, s[4:5]
	s_add_u32 s4, s44, 1
	s_addc_u32 s5, s45, 0
	s_andn2_b64 s[42:43], s[42:43], exec
	s_and_b64 s[46:47], s[46:47], exec
	s_or_b64 s[42:43], s[42:43], s[46:47]
.LBB1060_253:                           ;   in Loop: Header=BB1060_254 Depth=1
	s_and_b64 s[46:47], exec, s[42:43]
	s_or_b64 s[40:41], s[46:47], s[40:41]
	v_mov_b64_e32 v[20:21], s[44:45]
	s_mov_b64 s[44:45], s[4:5]
	s_andn2_b64 exec, exec, s[40:41]
	s_cbranch_execz .LBB1060_256
.LBB1060_254:                           ; =>This Inner Loop Header: Depth=1
	s_or_b64 s[42:43], s[42:43], exec
	s_cmp_eq_u64 s[26:27], s[44:45]
	s_cbranch_scc0 .LBB1060_252
; %bb.255:                              ;   in Loop: Header=BB1060_254 Depth=1
                                        ; implicit-def: $sgpr4_sgpr5
	s_mov_b64 s[44:45], s[26:27]
	s_branch .LBB1060_253
.LBB1060_256:
	s_or_b64 exec, exec, s[40:41]
	v_cmp_gt_i64_e32 vcc, s[26:27], v[20:21]
	s_orn2_b64 s[4:5], vcc, exec
.LBB1060_257:
	s_or_b64 exec, exec, s[18:19]
	s_and_b64 s[18:19], s[4:5], exec
.LBB1060_258:
	s_or_b64 exec, exec, s[38:39]
	v_cmp_gt_u32_e32 vcc, s3, v26
	s_mov_b64 s[44:45], -1
	s_and_b64 s[4:5], vcc, s[6:7]
	s_mov_b64 s[38:39], 0
	v_mul_lo_u32 v25, v12, s27
	v_mul_lo_u32 v32, v13, s26
	s_mov_b64 s[40:41], 0
	s_and_saveexec_b64 s[42:43], s[4:5]
	s_cbranch_execz .LBB1060_267
; %bb.259:
	v_mov_b64_e32 v[18:19], s[28:29]
	v_mad_u64_u32 v[16:17], s[4:5], v12, s26, v[18:19]
	v_add3_u32 v17, v32, v17, v25
	v_mad_u64_u32 v[18:19], s[4:5], v6, s26, v[18:19]
	v_add3_u32 v19, v23, v19, v22
	global_load_ubyte v20, v[16:17], off
	global_load_ubyte v21, v[18:19], off
	s_waitcnt vmcnt(1)
	v_cmp_ne_u16_e32 vcc, 0, v20
	s_waitcnt vmcnt(0)
	v_cmp_ne_u16_e64 s[4:5], 0, v21
	s_xor_b64 s[4:5], vcc, s[4:5]
	s_xor_b64 s[4:5], s[4:5], -1
	s_and_saveexec_b64 s[40:41], s[4:5]
	s_cbranch_execz .LBB1060_266
; %bb.260:
	s_mov_b64 s[48:49], 1
	s_mov_b64 s[44:45], 0
                                        ; implicit-def: $sgpr46_sgpr47
	s_branch .LBB1060_263
.LBB1060_261:                           ;   in Loop: Header=BB1060_263 Depth=1
	v_lshl_add_u64 v[20:21], v[16:17], 0, s[48:49]
	v_lshl_add_u64 v[22:23], v[18:19], 0, s[48:49]
	global_load_ubyte v33, v[20:21], off
	global_load_ubyte v34, v[22:23], off
	s_waitcnt vmcnt(1)
	v_cmp_ne_u16_e32 vcc, 0, v33
	s_waitcnt vmcnt(0)
	v_cmp_ne_u16_e64 s[4:5], 0, v34
	s_xor_b64 s[50:51], vcc, s[4:5]
	s_add_u32 s4, s48, 1
	s_addc_u32 s5, s49, 0
	s_andn2_b64 s[46:47], s[46:47], exec
	s_and_b64 s[50:51], s[50:51], exec
	s_or_b64 s[46:47], s[46:47], s[50:51]
.LBB1060_262:                           ;   in Loop: Header=BB1060_263 Depth=1
	s_and_b64 s[50:51], exec, s[46:47]
	s_or_b64 s[44:45], s[50:51], s[44:45]
	v_mov_b64_e32 v[20:21], s[48:49]
	s_mov_b64 s[48:49], s[4:5]
	s_andn2_b64 exec, exec, s[44:45]
	s_cbranch_execz .LBB1060_265
.LBB1060_263:                           ; =>This Inner Loop Header: Depth=1
	s_or_b64 s[46:47], s[46:47], exec
	s_cmp_eq_u64 s[26:27], s[48:49]
	s_cbranch_scc0 .LBB1060_261
; %bb.264:                              ;   in Loop: Header=BB1060_263 Depth=1
                                        ; implicit-def: $sgpr4_sgpr5
	s_mov_b64 s[48:49], s[26:27]
	s_branch .LBB1060_262
.LBB1060_265:
	s_or_b64 exec, exec, s[44:45]
	v_cmp_gt_i64_e32 vcc, s[26:27], v[20:21]
	s_orn2_b64 s[44:45], vcc, exec
.LBB1060_266:
	s_or_b64 exec, exec, s[40:41]
	s_and_b64 s[40:41], s[44:45], exec
.LBB1060_267:
	s_or_b64 exec, exec, s[42:43]
	v_cmp_gt_u32_e32 vcc, s3, v27
	s_and_b64 s[4:5], vcc, s[6:7]
	s_and_saveexec_b64 s[42:43], s[4:5]
	s_cbranch_execz .LBB1060_276
; %bb.268:
	v_mov_b64_e32 v[18:19], s[28:29]
	v_mad_u64_u32 v[16:17], s[4:5], v10, s26, v[18:19]
	v_mul_lo_u32 v20, v10, s27
	v_mul_lo_u32 v21, v11, s26
	v_add3_u32 v17, v21, v17, v20
	v_mad_u64_u32 v[18:19], s[4:5], v12, s26, v[18:19]
	v_add3_u32 v19, v32, v19, v25
	global_load_ubyte v20, v[16:17], off
	global_load_ubyte v21, v[18:19], off
	s_waitcnt vmcnt(1)
	v_cmp_ne_u16_e32 vcc, 0, v20
	s_waitcnt vmcnt(0)
	v_cmp_ne_u16_e64 s[4:5], 0, v21
	s_xor_b64 s[38:39], vcc, s[4:5]
	s_mov_b64 s[4:5], -1
	s_xor_b64 s[44:45], s[38:39], -1
	s_and_saveexec_b64 s[38:39], s[44:45]
	s_cbranch_execz .LBB1060_275
; %bb.269:
	s_mov_b64 s[48:49], 1
	s_mov_b64 s[44:45], 0
                                        ; implicit-def: $sgpr46_sgpr47
	s_branch .LBB1060_272
.LBB1060_270:                           ;   in Loop: Header=BB1060_272 Depth=1
	v_lshl_add_u64 v[20:21], v[16:17], 0, s[48:49]
	v_lshl_add_u64 v[22:23], v[18:19], 0, s[48:49]
	global_load_ubyte v25, v[20:21], off
	global_load_ubyte v32, v[22:23], off
	s_waitcnt vmcnt(1)
	v_cmp_ne_u16_e32 vcc, 0, v25
	s_waitcnt vmcnt(0)
	v_cmp_ne_u16_e64 s[4:5], 0, v32
	s_xor_b64 s[50:51], vcc, s[4:5]
	s_add_u32 s4, s48, 1
	s_addc_u32 s5, s49, 0
	s_andn2_b64 s[46:47], s[46:47], exec
	s_and_b64 s[50:51], s[50:51], exec
	s_or_b64 s[46:47], s[46:47], s[50:51]
.LBB1060_271:                           ;   in Loop: Header=BB1060_272 Depth=1
	s_and_b64 s[50:51], exec, s[46:47]
	s_or_b64 s[44:45], s[50:51], s[44:45]
	v_mov_b64_e32 v[20:21], s[48:49]
	s_mov_b64 s[48:49], s[4:5]
	s_andn2_b64 exec, exec, s[44:45]
	s_cbranch_execz .LBB1060_274
.LBB1060_272:                           ; =>This Inner Loop Header: Depth=1
	s_or_b64 s[46:47], s[46:47], exec
	s_cmp_eq_u64 s[26:27], s[48:49]
	s_cbranch_scc0 .LBB1060_270
; %bb.273:                              ;   in Loop: Header=BB1060_272 Depth=1
                                        ; implicit-def: $sgpr4_sgpr5
	s_mov_b64 s[48:49], s[26:27]
	s_branch .LBB1060_271
.LBB1060_274:
	s_or_b64 exec, exec, s[44:45]
	v_cmp_gt_i64_e32 vcc, s[26:27], v[20:21]
	s_orn2_b64 s[4:5], vcc, exec
.LBB1060_275:
	s_or_b64 exec, exec, s[38:39]
	s_and_b64 s[38:39], s[4:5], exec
.LBB1060_276:
	s_or_b64 exec, exec, s[42:43]
	v_cndmask_b32_e64 v17, 0, 1, s[18:19]
	v_cndmask_b32_e64 v16, 0, 1, s[40:41]
	;; [unrolled: 1-line block ×3, first 2 shown]
	v_lshlrev_b16_e32 v17, 8, v17
	v_cndmask_b32_e64 v19, 0, 1, s[36:37]
	v_cndmask_b32_e64 v20, 0, 1, s[38:39]
	v_or_b32_sdwa v16, v16, v17 dst_sel:WORD_1 dst_unused:UNUSED_PAD src0_sel:DWORD src1_sel:DWORD
	v_lshlrev_b16_e32 v17, 8, v18
	v_lshlrev_b16_e32 v20, 8, v20
	v_or_b32_e32 v17, v19, v17
	v_or_b32_e32 v20, 1, v20
	v_and_b32_e32 v17, 0xffff, v17
	v_cndmask_b32_e64 v32, 0, 1, s[8:9]
	v_or_b32_sdwa v16, v20, v16 dst_sel:DWORD dst_unused:UNUSED_PAD src0_sel:WORD_0 src1_sel:DWORD
	v_lshl_or_b32 v17, v32, 16, v17
	v_cmp_ne_u32_e32 vcc, 0, v0
	s_waitcnt lgkmcnt(0)
	s_barrier
	s_waitcnt lgkmcnt(0)
                                        ; implicit-def: $sgpr36_sgpr37
                                        ; implicit-def: $vgpr20
	s_and_saveexec_b64 s[8:9], vcc
	s_cbranch_execz .LBB1060_287
; %bb.277:
	v_cmp_gt_u32_e32 vcc, s3, v1
	s_mov_b64 s[18:19], -1
	s_and_b64 s[14:15], vcc, s[6:7]
	s_mov_b32 s33, 0x3020104
	s_mov_b64 s[4:5], 0
	s_and_saveexec_b64 s[6:7], s[14:15]
	s_cbranch_execz .LBB1060_286
; %bb.278:
	v_add_u32_e32 v17, -8, v24
	ds_read_b64 v[20:21], v17
	v_mov_b64_e32 v[22:23], s[28:29]
	s_waitcnt lgkmcnt(0)
	v_mul_lo_u32 v17, v20, s27
	v_mul_lo_u32 v24, v21, s26
	v_mad_u64_u32 v[20:21], s[4:5], v20, s26, v[22:23]
	v_add3_u32 v21, v24, v21, v17
	v_mad_u64_u32 v[22:23], s[4:5], v10, s26, v[22:23]
	v_mul_lo_u32 v17, v10, s27
	v_mul_lo_u32 v24, v11, s26
	v_add3_u32 v23, v24, v23, v17
	global_load_ubyte v17, v[20:21], off
	global_load_ubyte v24, v[22:23], off
	s_waitcnt vmcnt(1)
	v_cmp_ne_u16_e32 vcc, 0, v17
	s_waitcnt vmcnt(0)
	v_cmp_ne_u16_e64 s[4:5], 0, v24
	s_xor_b64 s[4:5], vcc, s[4:5]
	s_xor_b64 s[4:5], s[4:5], -1
	s_and_saveexec_b64 s[14:15], s[4:5]
	s_cbranch_execz .LBB1060_285
; %bb.279:
	s_mov_b64 s[36:37], 1
	s_mov_b64 s[18:19], 0
                                        ; implicit-def: $sgpr28_sgpr29
	s_branch .LBB1060_282
.LBB1060_280:                           ;   in Loop: Header=BB1060_282 Depth=1
	v_lshl_add_u64 v[24:25], v[20:21], 0, s[36:37]
	v_lshl_add_u64 v[34:35], v[22:23], 0, s[36:37]
	global_load_ubyte v17, v[24:25], off
	global_load_ubyte v33, v[34:35], off
	s_waitcnt vmcnt(1)
	v_cmp_ne_u16_e32 vcc, 0, v17
	s_waitcnt vmcnt(0)
	v_cmp_ne_u16_e64 s[4:5], 0, v33
	s_xor_b64 s[38:39], vcc, s[4:5]
	s_add_u32 s4, s36, 1
	s_addc_u32 s5, s37, 0
	s_andn2_b64 s[28:29], s[28:29], exec
	s_and_b64 s[38:39], s[38:39], exec
	s_or_b64 s[28:29], s[28:29], s[38:39]
.LBB1060_281:                           ;   in Loop: Header=BB1060_282 Depth=1
	s_and_b64 s[38:39], exec, s[28:29]
	s_or_b64 s[18:19], s[38:39], s[18:19]
	v_mov_b64_e32 v[24:25], s[36:37]
	s_mov_b64 s[36:37], s[4:5]
	s_andn2_b64 exec, exec, s[18:19]
	s_cbranch_execz .LBB1060_284
.LBB1060_282:                           ; =>This Inner Loop Header: Depth=1
	s_or_b64 s[28:29], s[28:29], exec
	s_cmp_eq_u64 s[26:27], s[36:37]
	s_cbranch_scc0 .LBB1060_280
; %bb.283:                              ;   in Loop: Header=BB1060_282 Depth=1
                                        ; implicit-def: $sgpr4_sgpr5
	s_mov_b64 s[36:37], s[26:27]
	s_branch .LBB1060_281
.LBB1060_284:
	s_or_b64 exec, exec, s[18:19]
	v_cmp_gt_i64_e32 vcc, s[26:27], v[24:25]
	s_orn2_b64 s[18:19], vcc, exec
.LBB1060_285:
	s_or_b64 exec, exec, s[14:15]
	s_and_b64 s[4:5], s[18:19], exec
.LBB1060_286:
	s_or_b64 exec, exec, s[6:7]
	v_perm_b32 v20, v16, v16, s33
	s_and_b64 s[36:37], s[4:5], exec
	s_or_b64 s[12:13], s[12:13], exec
                                        ; implicit-def: $vgpr16_vgpr17
.LBB1060_287:
	s_or_b64 exec, exec, s[8:9]
.LBB1060_288:
	s_and_saveexec_b64 s[4:5], s[12:13]
	s_cbranch_execz .LBB1060_290
; %bb.289:
	v_lshlrev_b16_e32 v17, 8, v18
	v_and_b32_e32 v18, 0xff, v32
	v_or_b32_sdwa v17, v19, v17 dst_sel:DWORD dst_unused:UNUSED_PAD src0_sel:BYTE_0 src1_sel:DWORD
	v_lshlrev_b32_e32 v18, 16, v18
	s_movk_i32 s6, 0xff
	v_or_b32_sdwa v17, v17, v18 dst_sel:DWORD dst_unused:UNUSED_PAD src0_sel:WORD_0 src1_sel:DWORD
	v_lshrrev_b32_e32 v18, 24, v20
	v_lshlrev_b16_e32 v18, 8, v18
	v_and_b32_sdwa v19, v20, s6 dst_sel:DWORD dst_unused:UNUSED_PAD src0_sel:WORD_1 src1_sel:DWORD
	v_or_b32_sdwa v18, v19, v18 dst_sel:WORD_1 dst_unused:UNUSED_PAD src0_sel:DWORD src1_sel:DWORD
	v_mov_b32_e32 v19, 8
	v_cndmask_b32_e64 v16, 0, 1, s[36:37]
	v_lshrrev_b32_sdwa v19, v19, v20 dst_sel:BYTE_1 dst_unused:UNUSED_PAD src0_sel:DWORD src1_sel:DWORD
	s_nop 0
	v_or_b32_e32 v16, v16, v19
	v_or_b32_sdwa v16, v16, v18 dst_sel:DWORD dst_unused:UNUSED_PAD src0_sel:WORD_0 src1_sel:DWORD
.LBB1060_290:
	s_or_b64 exec, exec, s[4:5]
	s_andn2_b64 vcc, exec, s[10:11]
	s_cbranch_vccnz .LBB1060_292
; %bb.291:
	v_and_b32_e32 v18, 0xffff0000, v16
	v_cmp_gt_u32_e32 vcc, s3, v1
	s_mov_b32 s4, 0x40c0100
	s_nop 0
	v_cndmask_b32_e32 v1, v18, v16, vcc
	v_and_b32_e32 v1, 0xffff00ff, v1
	v_cmp_gt_u32_e32 vcc, s3, v27
	s_nop 1
	v_cndmask_b32_e32 v1, v1, v16, vcc
	v_lshrrev_b32_e32 v18, 24, v1
	v_perm_b32 v1, v18, v1, s4
	v_cmp_gt_u32_e32 vcc, s3, v26
	v_and_b32_e32 v18, 0xffffff00, v17
	s_nop 0
	v_cndmask_b32_e32 v1, v1, v16, vcc
	v_and_b32_e32 v1, 0xffffff, v1
	v_cmp_gt_u32_e32 vcc, s3, v30
	s_nop 1
	v_cndmask_b32_e32 v1, v1, v16, vcc
	v_cmp_gt_u32_e32 vcc, s3, v28
	s_nop 1
	v_cndmask_b32_e32 v18, v18, v17, vcc
	v_and_b32_e32 v18, 0xffff00ff, v18
	v_cndmask_b32_e32 v1, v1, v16, vcc
	v_cmp_gt_u32_e32 vcc, s3, v31
	s_nop 1
	v_cndmask_b32_e32 v18, v18, v17, vcc
	v_lshrrev_b32_e32 v19, 24, v18
	v_cndmask_b32_e32 v1, v1, v16, vcc
	v_perm_b32 v18, v19, v18, s4
	v_cmp_gt_u32_e32 vcc, s3, v29
	s_mov_b32 s3, 0x3020104
	s_nop 0
	v_cndmask_b32_e32 v1, v1, v16, vcc
	v_cndmask_b32_e32 v16, v18, v17, vcc
	v_mov_b32_e32 v17, 8
	v_lshrrev_b32_sdwa v17, v17, v16 dst_sel:BYTE_1 dst_unused:UNUSED_PAD src0_sel:DWORD src1_sel:DWORD
	s_nop 0
	v_or_b32_sdwa v17, v16, v17 dst_sel:DWORD dst_unused:UNUSED_PAD src0_sel:BYTE_0 src1_sel:DWORD
	v_and_b32_e32 v17, 0xffff, v17
	v_bfe_u32 v16, v16, 16, 8
	v_lshl_or_b32 v17, v16, 16, v17
	v_perm_b32 v16, v1, v1, s3
.LBB1060_292:
	v_and_b32_e32 v1, 0xff, v16
	v_bfe_u32 v29, v16, 8, 8
	v_bfe_u32 v31, v16, 16, 8
	v_alignbit_b32 v18, v17, v16, 24
	v_and_b32_e32 v33, 0xff, v18
	v_and_b32_e32 v35, 0xff, v17
	v_add3_u32 v19, v29, v1, v31
	v_bfe_u32 v36, v17, 8, 8
	v_bfe_u32 v18, v17, 16, 8
	v_add3_u32 v19, v19, v33, v35
	v_add3_u32 v39, v19, v36, v18
	v_mbcnt_lo_u32_b32 v18, -1, 0
	v_mbcnt_hi_u32_b32 v37, -1, v18
	v_and_b32_e32 v18, 15, v37
	v_cmp_eq_u32_e64 s[14:15], 0, v18
	v_cmp_lt_u32_e64 s[12:13], 1, v18
	v_cmp_lt_u32_e64 s[10:11], 3, v18
	;; [unrolled: 1-line block ×3, first 2 shown]
	v_and_b32_e32 v18, 16, v37
	v_cmp_eq_u32_e64 s[6:7], 0, v18
	v_or_b32_e32 v18, 63, v0
	v_cmp_lt_u32_e64 s[18:19], 31, v37
	v_lshrrev_b32_e32 v38, 6, v0
	v_cmp_eq_u32_e64 s[4:5], v18, v0
	s_and_b64 vcc, exec, s[16:17]
	s_waitcnt lgkmcnt(0)
	s_barrier
	s_cbranch_vccz .LBB1060_319
; %bb.293:
	v_mov_b32_dpp v18, v39 row_shr:1 row_mask:0xf bank_mask:0xf
	v_cndmask_b32_e64 v18, v18, 0, s[14:15]
	v_add_u32_e32 v18, v18, v39
	s_nop 1
	v_mov_b32_dpp v19, v18 row_shr:2 row_mask:0xf bank_mask:0xf
	v_cndmask_b32_e64 v19, 0, v19, s[12:13]
	v_add_u32_e32 v18, v18, v19
	s_nop 1
	;; [unrolled: 4-line block ×4, first 2 shown]
	v_mov_b32_dpp v19, v18 row_bcast:15 row_mask:0xf bank_mask:0xf
	v_cndmask_b32_e64 v19, v19, 0, s[6:7]
	v_add_u32_e32 v18, v18, v19
	s_nop 1
	v_mov_b32_dpp v19, v18 row_bcast:31 row_mask:0xf bank_mask:0xf
	v_cndmask_b32_e64 v19, 0, v19, s[18:19]
	v_add_u32_e32 v18, v18, v19
	s_and_saveexec_b64 s[16:17], s[4:5]
	s_cbranch_execz .LBB1060_295
; %bb.294:
	v_lshlrev_b32_e32 v19, 2, v38
	ds_write_b32 v19, v18
.LBB1060_295:
	s_or_b64 exec, exec, s[16:17]
	v_cmp_gt_u32_e32 vcc, 8, v0
	s_waitcnt lgkmcnt(0)
	s_barrier
	s_and_saveexec_b64 s[16:17], vcc
	s_cbranch_execz .LBB1060_297
; %bb.296:
	v_lshlrev_b32_e32 v19, 2, v0
	ds_read_b32 v20, v19
	v_and_b32_e32 v21, 7, v37
	v_cmp_ne_u32_e32 vcc, 0, v21
	s_waitcnt lgkmcnt(0)
	v_mov_b32_dpp v22, v20 row_shr:1 row_mask:0xf bank_mask:0xf
	v_cndmask_b32_e32 v22, 0, v22, vcc
	v_add_u32_e32 v20, v22, v20
	v_cmp_lt_u32_e32 vcc, 1, v21
	s_nop 0
	v_mov_b32_dpp v22, v20 row_shr:2 row_mask:0xf bank_mask:0xf
	v_cndmask_b32_e32 v22, 0, v22, vcc
	v_add_u32_e32 v20, v20, v22
	v_cmp_lt_u32_e32 vcc, 3, v21
	s_nop 0
	v_mov_b32_dpp v22, v20 row_shr:4 row_mask:0xf bank_mask:0xf
	v_cndmask_b32_e32 v21, 0, v22, vcc
	v_add_u32_e32 v20, v20, v21
	ds_write_b32 v19, v20
.LBB1060_297:
	s_or_b64 exec, exec, s[16:17]
	v_cmp_gt_u32_e32 vcc, 64, v0
	v_cmp_lt_u32_e64 s[16:17], 63, v0
	s_waitcnt lgkmcnt(0)
	s_barrier
	s_waitcnt lgkmcnt(0)
                                        ; implicit-def: $vgpr28
	s_and_saveexec_b64 s[26:27], s[16:17]
	s_cbranch_execz .LBB1060_299
; %bb.298:
	v_lshl_add_u32 v19, v38, 2, -4
	ds_read_b32 v28, v19
	s_waitcnt lgkmcnt(0)
	v_add_u32_e32 v18, v28, v18
.LBB1060_299:
	s_or_b64 exec, exec, s[26:27]
	v_add_u32_e32 v19, -1, v37
	v_and_b32_e32 v20, 64, v37
	v_cmp_lt_i32_e64 s[16:17], v19, v20
	s_nop 1
	v_cndmask_b32_e64 v19, v19, v37, s[16:17]
	v_lshlrev_b32_e32 v19, 2, v19
	ds_bpermute_b32 v30, v19, v18
	v_cmp_eq_u32_e64 s[16:17], 0, v37
	s_and_saveexec_b64 s[26:27], vcc
	s_cbranch_execz .LBB1060_318
; %bb.300:
	v_mov_b32_e32 v25, 0
	ds_read_b32 v18, v25 offset:28
	s_and_saveexec_b64 s[28:29], s[16:17]
	s_cbranch_execz .LBB1060_302
; %bb.301:
	s_add_i32 s36, s2, 64
	s_mov_b32 s37, 0
	s_lshl_b64 s[36:37], s[36:37], 3
	s_add_u32 s36, s30, s36
	v_mov_b32_e32 v19, 1
	s_addc_u32 s37, s31, s37
	s_waitcnt lgkmcnt(0)
	global_store_dwordx2 v25, v[18:19], s[36:37] sc1
.LBB1060_302:
	s_or_b64 exec, exec, s[28:29]
	v_xad_u32 v20, v37, -1, s2
	v_add_u32_e32 v24, 64, v20
	v_lshl_add_u64 v[26:27], v[24:25], 3, s[30:31]
	global_load_dwordx2 v[22:23], v[26:27], off sc1
	s_waitcnt vmcnt(0)
	v_cmp_eq_u16_sdwa s[36:37], v23, v25 src0_sel:BYTE_0 src1_sel:DWORD
	s_and_saveexec_b64 s[28:29], s[36:37]
	s_cbranch_execz .LBB1060_306
; %bb.303:
	s_mov_b64 s[36:37], 0
	v_mov_b32_e32 v19, 0
.LBB1060_304:                           ; =>This Inner Loop Header: Depth=1
	global_load_dwordx2 v[22:23], v[26:27], off sc1
	s_waitcnt vmcnt(0)
	v_cmp_ne_u16_sdwa s[38:39], v23, v19 src0_sel:BYTE_0 src1_sel:DWORD
	s_or_b64 s[36:37], s[38:39], s[36:37]
	s_andn2_b64 exec, exec, s[36:37]
	s_cbranch_execnz .LBB1060_304
; %bb.305:
	s_or_b64 exec, exec, s[36:37]
.LBB1060_306:
	s_or_b64 exec, exec, s[28:29]
	v_and_b32_e32 v32, 63, v37
	v_mov_b32_e32 v19, 2
	v_cmp_ne_u32_e32 vcc, 63, v32
	v_cmp_eq_u16_sdwa s[28:29], v23, v19 src0_sel:BYTE_0 src1_sel:DWORD
	v_lshlrev_b64 v[24:25], v37, -1
	v_addc_co_u32_e32 v27, vcc, 0, v37, vcc
	v_and_b32_e32 v21, s29, v25
	v_lshlrev_b32_e32 v34, 2, v27
	v_or_b32_e32 v21, 0x80000000, v21
	ds_bpermute_b32 v27, v34, v22
	v_and_b32_e32 v26, s28, v24
	v_ffbl_b32_e32 v21, v21
	v_add_u32_e32 v21, 32, v21
	v_ffbl_b32_e32 v26, v26
	v_min_u32_e32 v21, v26, v21
	v_cmp_lt_u32_e32 vcc, v32, v21
	v_add_u32_e32 v41, 2, v32
	v_add_u32_e32 v43, 4, v32
	s_waitcnt lgkmcnt(0)
	v_cndmask_b32_e32 v26, 0, v27, vcc
	v_cmp_gt_u32_e32 vcc, 62, v32
	v_add_u32_e32 v22, v26, v22
	v_add_u32_e32 v45, 8, v32
	v_cndmask_b32_e64 v26, 0, 1, vcc
	v_lshlrev_b32_e32 v26, 1, v26
	v_add_lshl_u32 v40, v26, v37, 2
	ds_bpermute_b32 v26, v40, v22
	v_cmp_le_u32_e32 vcc, v41, v21
	v_add_u32_e32 v48, 16, v32
	v_add_u32_e32 v50, 32, v32
	s_waitcnt lgkmcnt(0)
	v_cndmask_b32_e32 v26, 0, v26, vcc
	v_cmp_gt_u32_e32 vcc, 60, v32
	v_add_u32_e32 v22, v22, v26
	s_nop 0
	v_cndmask_b32_e64 v26, 0, 1, vcc
	v_lshlrev_b32_e32 v26, 2, v26
	v_add_lshl_u32 v42, v26, v37, 2
	ds_bpermute_b32 v26, v42, v22
	v_cmp_le_u32_e32 vcc, v43, v21
	s_waitcnt lgkmcnt(0)
	s_nop 0
	v_cndmask_b32_e32 v26, 0, v26, vcc
	v_cmp_gt_u32_e32 vcc, 56, v32
	v_add_u32_e32 v22, v22, v26
	s_nop 0
	v_cndmask_b32_e64 v26, 0, 1, vcc
	v_lshlrev_b32_e32 v26, 3, v26
	v_add_lshl_u32 v44, v26, v37, 2
	ds_bpermute_b32 v26, v44, v22
	v_cmp_le_u32_e32 vcc, v45, v21
	s_waitcnt lgkmcnt(0)
	s_nop 0
	;; [unrolled: 11-line block ×4, first 2 shown]
	v_cndmask_b32_e32 v21, 0, v26, vcc
	v_add_u32_e32 v22, v22, v21
	v_mov_b32_e32 v21, 0
	s_branch .LBB1060_308
.LBB1060_307:                           ;   in Loop: Header=BB1060_308 Depth=1
	s_or_b64 exec, exec, s[28:29]
	v_cmp_eq_u16_sdwa s[28:29], v23, v19 src0_sel:BYTE_0 src1_sel:DWORD
	ds_bpermute_b32 v51, v34, v22
	v_subrev_u32_e32 v20, 64, v20
	v_and_b32_e32 v26, s29, v25
	v_or_b32_e32 v26, 0x80000000, v26
	v_and_b32_e32 v27, s28, v24
	v_ffbl_b32_e32 v26, v26
	v_add_u32_e32 v26, 32, v26
	v_ffbl_b32_e32 v27, v27
	v_min_u32_e32 v26, v27, v26
	v_cmp_lt_u32_e32 vcc, v32, v26
	s_waitcnt lgkmcnt(0)
	s_nop 0
	v_cndmask_b32_e32 v27, 0, v51, vcc
	v_add_u32_e32 v22, v27, v22
	ds_bpermute_b32 v27, v40, v22
	v_cmp_le_u32_e32 vcc, v41, v26
	s_waitcnt lgkmcnt(0)
	s_nop 0
	v_cndmask_b32_e32 v27, 0, v27, vcc
	v_add_u32_e32 v22, v22, v27
	ds_bpermute_b32 v27, v42, v22
	v_cmp_le_u32_e32 vcc, v43, v26
	;; [unrolled: 6-line block ×5, first 2 shown]
	s_waitcnt lgkmcnt(0)
	s_nop 0
	v_cndmask_b32_e32 v26, 0, v27, vcc
	v_add3_u32 v22, v26, v46, v22
.LBB1060_308:                           ; =>This Loop Header: Depth=1
                                        ;     Child Loop BB1060_311 Depth 2
	v_cmp_ne_u16_sdwa s[28:29], v23, v19 src0_sel:BYTE_0 src1_sel:DWORD
	v_mov_b32_e32 v46, v22
	s_nop 0
	v_cndmask_b32_e64 v23, 0, 1, s[28:29]
	;;#ASMSTART
	;;#ASMEND
	s_nop 0
	v_cmp_ne_u32_e32 vcc, 0, v23
	s_cmp_lg_u64 vcc, exec
	s_cbranch_scc1 .LBB1060_313
; %bb.309:                              ;   in Loop: Header=BB1060_308 Depth=1
	v_lshl_add_u64 v[26:27], v[20:21], 3, s[30:31]
	global_load_dwordx2 v[22:23], v[26:27], off sc1
	s_waitcnt vmcnt(0)
	v_cmp_eq_u16_sdwa s[36:37], v23, v21 src0_sel:BYTE_0 src1_sel:DWORD
	s_and_saveexec_b64 s[28:29], s[36:37]
	s_cbranch_execz .LBB1060_307
; %bb.310:                              ;   in Loop: Header=BB1060_308 Depth=1
	s_mov_b64 s[36:37], 0
.LBB1060_311:                           ;   Parent Loop BB1060_308 Depth=1
                                        ; =>  This Inner Loop Header: Depth=2
	global_load_dwordx2 v[22:23], v[26:27], off sc1
	s_waitcnt vmcnt(0)
	v_cmp_ne_u16_sdwa s[38:39], v23, v21 src0_sel:BYTE_0 src1_sel:DWORD
	s_or_b64 s[36:37], s[38:39], s[36:37]
	s_andn2_b64 exec, exec, s[36:37]
	s_cbranch_execnz .LBB1060_311
; %bb.312:                              ;   in Loop: Header=BB1060_308 Depth=1
	s_or_b64 exec, exec, s[36:37]
	s_branch .LBB1060_307
.LBB1060_313:                           ;   in Loop: Header=BB1060_308 Depth=1
                                        ; implicit-def: $vgpr22
                                        ; implicit-def: $vgpr23
	s_cbranch_execz .LBB1060_308
; %bb.314:
	s_and_saveexec_b64 s[28:29], s[16:17]
	s_cbranch_execz .LBB1060_316
; %bb.315:
	s_add_i32 s2, s2, 64
	s_mov_b32 s3, 0
	s_lshl_b64 s[2:3], s[2:3], 3
	s_add_u32 s2, s30, s2
	v_add_u32_e32 v20, v46, v18
	v_mov_b32_e32 v21, 2
	s_addc_u32 s3, s31, s3
	v_mov_b32_e32 v19, 0
	global_store_dwordx2 v19, v[20:21], s[2:3] sc1
	s_movk_i32 s2, 0x7000
	v_add_u32_e64 v19, s2, 0
	ds_write2_b32 v19, v18, v46 offset1:2
.LBB1060_316:
	s_or_b64 exec, exec, s[28:29]
	v_cmp_eq_u32_e32 vcc, 0, v0
	s_and_b64 exec, exec, vcc
	s_cbranch_execz .LBB1060_318
; %bb.317:
	v_mov_b32_e32 v18, 0
	ds_write_b32 v18, v46 offset:28
.LBB1060_318:
	s_or_b64 exec, exec, s[26:27]
	v_mov_b32_e32 v18, 0
	s_waitcnt lgkmcnt(0)
	s_barrier
	ds_read_b32 v18, v18 offset:28
	v_cndmask_b32_e64 v19, v30, v28, s[16:17]
	v_cmp_ne_u32_e32 vcc, 0, v0
	s_movk_i32 s2, 0x7000
	s_waitcnt lgkmcnt(0)
	v_cndmask_b32_e32 v19, 0, v19, vcc
	v_add_u32_e32 v34, v18, v19
	v_add_u32_e32 v32, v34, v1
	v_add_u32_e64 v18, s2, 0
	v_add_u32_e32 v30, v32, v29
	s_barrier
	ds_read2_b32 v[18:19], v18 offset1:2
	v_add_u32_e32 v28, v30, v31
	v_add_u32_e32 v26, v28, v33
	;; [unrolled: 1-line block ×4, first 2 shown]
	s_load_dwordx2 s[2:3], s[0:1], 0x28
	v_lshrrev_b64 v[20:21], 24, v[16:17]
	s_branch .LBB1060_329
.LBB1060_319:
                                        ; implicit-def: $vgpr22
                                        ; implicit-def: $vgpr24
                                        ; implicit-def: $vgpr26
                                        ; implicit-def: $vgpr28
                                        ; implicit-def: $vgpr30
                                        ; implicit-def: $vgpr32
                                        ; implicit-def: $vgpr34
                                        ; implicit-def: $vgpr19
	s_load_dwordx2 s[2:3], s[0:1], 0x28
	v_lshrrev_b64 v[20:21], 24, v[16:17]
	s_cbranch_execz .LBB1060_329
; %bb.320:
	s_waitcnt lgkmcnt(0)
	v_mov_b32_dpp v18, v39 row_shr:1 row_mask:0xf bank_mask:0xf
	v_cndmask_b32_e64 v18, v18, 0, s[14:15]
	v_add_u32_e32 v18, v18, v39
	s_nop 1
	v_mov_b32_dpp v19, v18 row_shr:2 row_mask:0xf bank_mask:0xf
	v_cndmask_b32_e64 v19, 0, v19, s[12:13]
	v_add_u32_e32 v18, v18, v19
	s_nop 1
	;; [unrolled: 4-line block ×4, first 2 shown]
	v_mov_b32_dpp v19, v18 row_bcast:15 row_mask:0xf bank_mask:0xf
	v_cndmask_b32_e64 v19, v19, 0, s[6:7]
	v_add_u32_e32 v18, v18, v19
	s_nop 1
	v_mov_b32_dpp v19, v18 row_bcast:31 row_mask:0xf bank_mask:0xf
	v_cndmask_b32_e64 v19, 0, v19, s[18:19]
	v_add_u32_e32 v18, v18, v19
	s_and_saveexec_b64 s[0:1], s[4:5]
	s_cbranch_execz .LBB1060_322
; %bb.321:
	v_lshlrev_b32_e32 v19, 2, v38
	ds_write_b32 v19, v18
.LBB1060_322:
	s_or_b64 exec, exec, s[0:1]
	v_cmp_gt_u32_e32 vcc, 8, v0
	s_waitcnt lgkmcnt(0)
	s_barrier
	s_and_saveexec_b64 s[0:1], vcc
	s_cbranch_execz .LBB1060_324
; %bb.323:
	v_lshlrev_b32_e32 v19, 2, v0
	ds_read_b32 v21, v19
	v_and_b32_e32 v22, 7, v37
	v_cmp_ne_u32_e32 vcc, 0, v22
	s_waitcnt lgkmcnt(0)
	v_mov_b32_dpp v23, v21 row_shr:1 row_mask:0xf bank_mask:0xf
	v_cndmask_b32_e32 v23, 0, v23, vcc
	v_add_u32_e32 v21, v23, v21
	v_cmp_lt_u32_e32 vcc, 1, v22
	s_nop 0
	v_mov_b32_dpp v23, v21 row_shr:2 row_mask:0xf bank_mask:0xf
	v_cndmask_b32_e32 v23, 0, v23, vcc
	v_add_u32_e32 v21, v21, v23
	v_cmp_lt_u32_e32 vcc, 3, v22
	s_nop 0
	v_mov_b32_dpp v23, v21 row_shr:4 row_mask:0xf bank_mask:0xf
	v_cndmask_b32_e32 v22, 0, v23, vcc
	v_add_u32_e32 v21, v21, v22
	ds_write_b32 v19, v21
.LBB1060_324:
	s_or_b64 exec, exec, s[0:1]
	v_cmp_lt_u32_e32 vcc, 63, v0
	v_mov_b32_e32 v19, 0
	v_mov_b32_e32 v21, 0
	s_waitcnt lgkmcnt(0)
	s_barrier
	s_and_saveexec_b64 s[0:1], vcc
	s_cbranch_execz .LBB1060_326
; %bb.325:
	v_lshl_add_u32 v21, v38, 2, -4
	ds_read_b32 v21, v21
.LBB1060_326:
	s_or_b64 exec, exec, s[0:1]
	v_add_u32_e32 v22, -1, v37
	v_and_b32_e32 v23, 64, v37
	v_cmp_lt_i32_e32 vcc, v22, v23
	s_waitcnt lgkmcnt(0)
	v_add_u32_e32 v18, v21, v18
	v_cndmask_b32_e32 v22, v22, v37, vcc
	v_lshlrev_b32_e32 v22, 2, v22
	ds_bpermute_b32 v22, v22, v18
	ds_read_b32 v18, v19 offset:28
	v_cmp_eq_u32_e32 vcc, 0, v0
	s_and_saveexec_b64 s[0:1], vcc
	s_cbranch_execz .LBB1060_328
; %bb.327:
	v_mov_b32_e32 v23, 0
	v_mov_b32_e32 v19, 2
	s_waitcnt lgkmcnt(0)
	global_store_dwordx2 v23, v[18:19], s[30:31] offset:512 sc1
.LBB1060_328:
	s_or_b64 exec, exec, s[0:1]
	v_cmp_eq_u32_e64 s[0:1], 0, v37
	v_mov_b32_e32 v19, 0
	s_waitcnt lgkmcnt(0)
	v_cndmask_b32_e64 v21, v22, v21, s[0:1]
	v_cndmask_b32_e64 v34, v21, 0, vcc
	v_add_u32_e32 v32, v34, v1
	v_add_u32_e32 v30, v32, v29
	;; [unrolled: 1-line block ×6, first 2 shown]
	s_barrier
.LBB1060_329:
	s_movk_i32 s0, 0x201
	s_waitcnt lgkmcnt(0)
	v_cmp_gt_u32_e32 vcc, s0, v18
	v_lshrrev_b32_e32 v21, 8, v16
	v_lshrrev_b32_e32 v1, 8, v17
	s_mov_b64 s[0:1], -1
	s_cbranch_vccnz .LBB1060_333
; %bb.330:
	s_and_b64 vcc, exec, s[0:1]
	s_cbranch_vccnz .LBB1060_355
.LBB1060_331:
	v_cmp_eq_u32_e32 vcc, 0, v0
	s_and_b64 s[0:1], vcc, s[24:25]
	s_and_saveexec_b64 s[2:3], s[0:1]
	s_cbranch_execnz .LBB1060_373
.LBB1060_332:
	s_endpgm
.LBB1060_333:
	v_add_u32_e32 v23, v19, v18
	v_cmp_lt_u32_e32 vcc, v34, v23
	s_or_b64 s[4:5], s[34:35], vcc
	s_and_saveexec_b64 s[0:1], s[4:5]
	s_cbranch_execz .LBB1060_336
; %bb.334:
	v_and_b32_e32 v25, 1, v16
	v_cmp_eq_u32_e32 vcc, 1, v25
	s_and_b64 exec, exec, vcc
	s_cbranch_execz .LBB1060_336
; %bb.335:
	s_lshl_b64 s[4:5], s[22:23], 3
	s_add_u32 s4, s2, s4
	s_addc_u32 s5, s3, s5
	v_mov_b32_e32 v35, 0
	v_lshl_add_u64 v[36:37], v[34:35], 3, s[4:5]
	global_store_dwordx2 v[36:37], v[10:11], off
.LBB1060_336:
	s_or_b64 exec, exec, s[0:1]
	v_cmp_lt_u32_e32 vcc, v32, v23
	s_or_b64 s[4:5], s[34:35], vcc
	s_and_saveexec_b64 s[0:1], s[4:5]
	s_cbranch_execz .LBB1060_339
; %bb.337:
	v_and_b32_e32 v25, 1, v21
	v_cmp_eq_u32_e32 vcc, 1, v25
	s_and_b64 exec, exec, vcc
	s_cbranch_execz .LBB1060_339
; %bb.338:
	s_lshl_b64 s[4:5], s[22:23], 3
	s_add_u32 s4, s2, s4
	s_addc_u32 s5, s3, s5
	v_mov_b32_e32 v33, 0
	v_lshl_add_u64 v[36:37], v[32:33], 3, s[4:5]
	global_store_dwordx2 v[36:37], v[12:13], off
.LBB1060_339:
	s_or_b64 exec, exec, s[0:1]
	v_cmp_lt_u32_e32 vcc, v30, v23
	s_or_b64 s[4:5], s[34:35], vcc
	s_and_saveexec_b64 s[0:1], s[4:5]
	s_cbranch_execz .LBB1060_342
; %bb.340:
	v_mov_b32_e32 v25, 1
	v_and_b32_sdwa v25, v25, v16 dst_sel:DWORD dst_unused:UNUSED_PAD src0_sel:DWORD src1_sel:WORD_1
	v_cmp_eq_u32_e32 vcc, 1, v25
	s_and_b64 exec, exec, vcc
	s_cbranch_execz .LBB1060_342
; %bb.341:
	s_lshl_b64 s[4:5], s[22:23], 3
	s_add_u32 s4, s2, s4
	s_addc_u32 s5, s3, s5
	v_mov_b32_e32 v31, 0
	v_lshl_add_u64 v[36:37], v[30:31], 3, s[4:5]
	global_store_dwordx2 v[36:37], v[6:7], off
.LBB1060_342:
	s_or_b64 exec, exec, s[0:1]
	v_cmp_lt_u32_e32 vcc, v28, v23
	s_or_b64 s[4:5], s[34:35], vcc
	s_and_saveexec_b64 s[0:1], s[4:5]
	s_cbranch_execz .LBB1060_345
; %bb.343:
	v_and_b32_e32 v25, 1, v20
	v_cmp_eq_u32_e32 vcc, 1, v25
	s_and_b64 exec, exec, vcc
	s_cbranch_execz .LBB1060_345
; %bb.344:
	s_lshl_b64 s[4:5], s[22:23], 3
	s_add_u32 s4, s2, s4
	s_addc_u32 s5, s3, s5
	v_mov_b32_e32 v29, 0
	v_lshl_add_u64 v[36:37], v[28:29], 3, s[4:5]
	global_store_dwordx2 v[36:37], v[8:9], off
.LBB1060_345:
	s_or_b64 exec, exec, s[0:1]
	v_cmp_lt_u32_e32 vcc, v26, v23
	s_or_b64 s[4:5], s[34:35], vcc
	s_and_saveexec_b64 s[0:1], s[4:5]
	s_cbranch_execz .LBB1060_348
; %bb.346:
	v_and_b32_e32 v25, 1, v17
	v_cmp_eq_u32_e32 vcc, 1, v25
	s_and_b64 exec, exec, vcc
	s_cbranch_execz .LBB1060_348
; %bb.347:
	s_lshl_b64 s[4:5], s[22:23], 3
	s_add_u32 s4, s2, s4
	s_addc_u32 s5, s3, s5
	v_mov_b32_e32 v27, 0
	v_lshl_add_u64 v[36:37], v[26:27], 3, s[4:5]
	global_store_dwordx2 v[36:37], v[2:3], off
.LBB1060_348:
	;; [unrolled: 18-line block ×3, first 2 shown]
	s_or_b64 exec, exec, s[0:1]
	v_cmp_lt_u32_e32 vcc, v22, v23
	s_or_b64 s[4:5], s[34:35], vcc
	s_and_saveexec_b64 s[0:1], s[4:5]
	s_cbranch_execz .LBB1060_354
; %bb.352:
	v_mov_b32_e32 v23, 1
	v_and_b32_sdwa v23, v23, v17 dst_sel:DWORD dst_unused:UNUSED_PAD src0_sel:DWORD src1_sel:WORD_1
	v_cmp_eq_u32_e32 vcc, 1, v23
	s_and_b64 exec, exec, vcc
	s_cbranch_execz .LBB1060_354
; %bb.353:
	s_lshl_b64 s[4:5], s[22:23], 3
	s_add_u32 s4, s2, s4
	s_addc_u32 s5, s3, s5
	v_mov_b32_e32 v23, 0
	v_lshl_add_u64 v[36:37], v[22:23], 3, s[4:5]
	global_store_dwordx2 v[36:37], v[14:15], off
.LBB1060_354:
	s_or_b64 exec, exec, s[0:1]
	s_branch .LBB1060_331
.LBB1060_355:
	v_and_b32_e32 v23, 1, v16
	v_cmp_eq_u32_e32 vcc, 1, v23
	s_and_saveexec_b64 s[0:1], vcc
	s_cbranch_execz .LBB1060_357
; %bb.356:
	v_sub_u32_e32 v23, v34, v19
	v_lshlrev_b32_e32 v23, 3, v23
	ds_write_b64 v23, v[10:11]
.LBB1060_357:
	s_or_b64 exec, exec, s[0:1]
	v_and_b32_e32 v10, 1, v21
	v_cmp_eq_u32_e32 vcc, 1, v10
	s_and_saveexec_b64 s[0:1], vcc
	s_cbranch_execz .LBB1060_359
; %bb.358:
	v_sub_u32_e32 v10, v32, v19
	v_lshlrev_b32_e32 v10, 3, v10
	ds_write_b64 v10, v[12:13]
.LBB1060_359:
	s_or_b64 exec, exec, s[0:1]
	v_mov_b32_e32 v10, 1
	v_and_b32_sdwa v10, v10, v16 dst_sel:DWORD dst_unused:UNUSED_PAD src0_sel:DWORD src1_sel:WORD_1
	v_cmp_eq_u32_e32 vcc, 1, v10
	s_and_saveexec_b64 s[0:1], vcc
	s_cbranch_execz .LBB1060_361
; %bb.360:
	v_sub_u32_e32 v10, v30, v19
	v_lshlrev_b32_e32 v10, 3, v10
	ds_write_b64 v10, v[6:7]
.LBB1060_361:
	s_or_b64 exec, exec, s[0:1]
	v_and_b32_e32 v6, 1, v20
	v_cmp_eq_u32_e32 vcc, 1, v6
	s_and_saveexec_b64 s[0:1], vcc
	s_cbranch_execz .LBB1060_363
; %bb.362:
	v_sub_u32_e32 v6, v28, v19
	v_lshlrev_b32_e32 v6, 3, v6
	ds_write_b64 v6, v[8:9]
.LBB1060_363:
	s_or_b64 exec, exec, s[0:1]
	v_and_b32_e32 v6, 1, v17
	;; [unrolled: 10-line block ×3, first 2 shown]
	v_cmp_eq_u32_e32 vcc, 1, v1
	s_and_saveexec_b64 s[0:1], vcc
	s_cbranch_execz .LBB1060_367
; %bb.366:
	v_sub_u32_e32 v1, v24, v19
	v_lshlrev_b32_e32 v1, 3, v1
	ds_write_b64 v1, v[4:5]
.LBB1060_367:
	s_or_b64 exec, exec, s[0:1]
	v_mov_b32_e32 v1, 1
	v_and_b32_sdwa v1, v1, v17 dst_sel:DWORD dst_unused:UNUSED_PAD src0_sel:DWORD src1_sel:WORD_1
	v_cmp_eq_u32_e32 vcc, 1, v1
	s_and_saveexec_b64 s[0:1], vcc
	s_cbranch_execz .LBB1060_369
; %bb.368:
	v_sub_u32_e32 v1, v22, v19
	v_lshlrev_b32_e32 v1, 3, v1
	ds_write_b64 v1, v[14:15]
.LBB1060_369:
	s_or_b64 exec, exec, s[0:1]
	v_cmp_lt_u32_e32 vcc, v0, v18
	s_waitcnt lgkmcnt(0)
	s_barrier
	s_and_saveexec_b64 s[0:1], vcc
	s_cbranch_execz .LBB1060_372
; %bb.370:
	v_mov_b32_e32 v5, 0
	v_mov_b32_e32 v4, v19
	s_lshl_b64 s[4:5], s[22:23], 3
	v_lshlrev_b64 v[6:7], 3, v[4:5]
	v_lshl_add_u64 v[6:7], s[4:5], 0, v[6:7]
	v_lshlrev_b32_e32 v2, 3, v0
	v_mov_b32_e32 v3, v5
	v_lshl_add_u64 v[4:5], s[2:3], 0, v[6:7]
	v_lshl_add_u64 v[4:5], v[4:5], 0, v[2:3]
	s_mov_b64 s[2:3], 0
	s_mov_b64 s[4:5], 0x1000
	v_mov_b32_e32 v1, v0
.LBB1060_371:                           ; =>This Inner Loop Header: Depth=1
	ds_read_b64 v[6:7], v2
	v_add_u32_e32 v1, 0x200, v1
	v_cmp_ge_u32_e32 vcc, v1, v18
	v_add_u32_e32 v2, 0x1000, v2
	s_or_b64 s[2:3], vcc, s[2:3]
	s_waitcnt lgkmcnt(0)
	global_store_dwordx2 v[4:5], v[6:7], off
	v_lshl_add_u64 v[4:5], v[4:5], 0, s[4:5]
	s_andn2_b64 exec, exec, s[2:3]
	s_cbranch_execnz .LBB1060_371
.LBB1060_372:
	s_or_b64 exec, exec, s[0:1]
	v_cmp_eq_u32_e32 vcc, 0, v0
	s_and_b64 s[0:1], vcc, s[24:25]
	s_and_saveexec_b64 s[2:3], s[0:1]
	s_cbranch_execz .LBB1060_332
.LBB1060_373:
	v_mov_b32_e32 v1, 0
	v_mov_b32_e32 v0, v18
	v_lshl_add_u64 v[2:3], s[22:23], 0, v[0:1]
	v_mov_b32_e32 v0, v19
	v_lshl_add_u64 v[2:3], v[2:3], 0, v[0:1]
	global_store_dwordx2 v1, v[2:3], s[20:21]
	s_endpgm
	.section	.rodata,"a",@progbits
	.p2align	6, 0x0
	.amdhsa_kernel _ZN7rocprim17ROCPRIM_400000_NS6detail17trampoline_kernelINS0_14default_configENS1_25partition_config_selectorILNS1_17partition_subalgoE8ElNS0_10empty_typeEbEEZZNS1_14partition_implILS5_8ELb0ES3_jPlPS6_PKS6_NS0_5tupleIJS9_S6_EEENSD_IJSA_SA_EEENS0_18inequality_wrapperIZN2at6native12_GLOBAL__N_124unique_dim_cuda_templateIbEESt5tupleIJNSH_6TensorESM_SM_EERKSM_lbbbEUlllE0_EEPmJS6_EEE10hipError_tPvRmT3_T4_T5_T6_T7_T9_mT8_P12ihipStream_tbDpT10_ENKUlT_T0_E_clISt17integral_constantIbLb0EES1C_EEDaS17_S18_EUlS17_E_NS1_11comp_targetILNS1_3genE5ELNS1_11target_archE942ELNS1_3gpuE9ELNS1_3repE0EEENS1_30default_config_static_selectorELNS0_4arch9wavefront6targetE1EEEvT1_
		.amdhsa_group_segment_fixed_size 28684
		.amdhsa_private_segment_fixed_size 0
		.amdhsa_kernarg_size 120
		.amdhsa_user_sgpr_count 2
		.amdhsa_user_sgpr_dispatch_ptr 0
		.amdhsa_user_sgpr_queue_ptr 0
		.amdhsa_user_sgpr_kernarg_segment_ptr 1
		.amdhsa_user_sgpr_dispatch_id 0
		.amdhsa_user_sgpr_kernarg_preload_length 0
		.amdhsa_user_sgpr_kernarg_preload_offset 0
		.amdhsa_user_sgpr_private_segment_size 0
		.amdhsa_uses_dynamic_stack 0
		.amdhsa_enable_private_segment 0
		.amdhsa_system_sgpr_workgroup_id_x 1
		.amdhsa_system_sgpr_workgroup_id_y 0
		.amdhsa_system_sgpr_workgroup_id_z 0
		.amdhsa_system_sgpr_workgroup_info 0
		.amdhsa_system_vgpr_workitem_id 0
		.amdhsa_next_free_vgpr 52
		.amdhsa_next_free_sgpr 52
		.amdhsa_accum_offset 52
		.amdhsa_reserve_vcc 1
		.amdhsa_float_round_mode_32 0
		.amdhsa_float_round_mode_16_64 0
		.amdhsa_float_denorm_mode_32 3
		.amdhsa_float_denorm_mode_16_64 3
		.amdhsa_dx10_clamp 1
		.amdhsa_ieee_mode 1
		.amdhsa_fp16_overflow 0
		.amdhsa_tg_split 0
		.amdhsa_exception_fp_ieee_invalid_op 0
		.amdhsa_exception_fp_denorm_src 0
		.amdhsa_exception_fp_ieee_div_zero 0
		.amdhsa_exception_fp_ieee_overflow 0
		.amdhsa_exception_fp_ieee_underflow 0
		.amdhsa_exception_fp_ieee_inexact 0
		.amdhsa_exception_int_div_zero 0
	.end_amdhsa_kernel
	.section	.text._ZN7rocprim17ROCPRIM_400000_NS6detail17trampoline_kernelINS0_14default_configENS1_25partition_config_selectorILNS1_17partition_subalgoE8ElNS0_10empty_typeEbEEZZNS1_14partition_implILS5_8ELb0ES3_jPlPS6_PKS6_NS0_5tupleIJS9_S6_EEENSD_IJSA_SA_EEENS0_18inequality_wrapperIZN2at6native12_GLOBAL__N_124unique_dim_cuda_templateIbEESt5tupleIJNSH_6TensorESM_SM_EERKSM_lbbbEUlllE0_EEPmJS6_EEE10hipError_tPvRmT3_T4_T5_T6_T7_T9_mT8_P12ihipStream_tbDpT10_ENKUlT_T0_E_clISt17integral_constantIbLb0EES1C_EEDaS17_S18_EUlS17_E_NS1_11comp_targetILNS1_3genE5ELNS1_11target_archE942ELNS1_3gpuE9ELNS1_3repE0EEENS1_30default_config_static_selectorELNS0_4arch9wavefront6targetE1EEEvT1_,"axG",@progbits,_ZN7rocprim17ROCPRIM_400000_NS6detail17trampoline_kernelINS0_14default_configENS1_25partition_config_selectorILNS1_17partition_subalgoE8ElNS0_10empty_typeEbEEZZNS1_14partition_implILS5_8ELb0ES3_jPlPS6_PKS6_NS0_5tupleIJS9_S6_EEENSD_IJSA_SA_EEENS0_18inequality_wrapperIZN2at6native12_GLOBAL__N_124unique_dim_cuda_templateIbEESt5tupleIJNSH_6TensorESM_SM_EERKSM_lbbbEUlllE0_EEPmJS6_EEE10hipError_tPvRmT3_T4_T5_T6_T7_T9_mT8_P12ihipStream_tbDpT10_ENKUlT_T0_E_clISt17integral_constantIbLb0EES1C_EEDaS17_S18_EUlS17_E_NS1_11comp_targetILNS1_3genE5ELNS1_11target_archE942ELNS1_3gpuE9ELNS1_3repE0EEENS1_30default_config_static_selectorELNS0_4arch9wavefront6targetE1EEEvT1_,comdat
.Lfunc_end1060:
	.size	_ZN7rocprim17ROCPRIM_400000_NS6detail17trampoline_kernelINS0_14default_configENS1_25partition_config_selectorILNS1_17partition_subalgoE8ElNS0_10empty_typeEbEEZZNS1_14partition_implILS5_8ELb0ES3_jPlPS6_PKS6_NS0_5tupleIJS9_S6_EEENSD_IJSA_SA_EEENS0_18inequality_wrapperIZN2at6native12_GLOBAL__N_124unique_dim_cuda_templateIbEESt5tupleIJNSH_6TensorESM_SM_EERKSM_lbbbEUlllE0_EEPmJS6_EEE10hipError_tPvRmT3_T4_T5_T6_T7_T9_mT8_P12ihipStream_tbDpT10_ENKUlT_T0_E_clISt17integral_constantIbLb0EES1C_EEDaS17_S18_EUlS17_E_NS1_11comp_targetILNS1_3genE5ELNS1_11target_archE942ELNS1_3gpuE9ELNS1_3repE0EEENS1_30default_config_static_selectorELNS0_4arch9wavefront6targetE1EEEvT1_, .Lfunc_end1060-_ZN7rocprim17ROCPRIM_400000_NS6detail17trampoline_kernelINS0_14default_configENS1_25partition_config_selectorILNS1_17partition_subalgoE8ElNS0_10empty_typeEbEEZZNS1_14partition_implILS5_8ELb0ES3_jPlPS6_PKS6_NS0_5tupleIJS9_S6_EEENSD_IJSA_SA_EEENS0_18inequality_wrapperIZN2at6native12_GLOBAL__N_124unique_dim_cuda_templateIbEESt5tupleIJNSH_6TensorESM_SM_EERKSM_lbbbEUlllE0_EEPmJS6_EEE10hipError_tPvRmT3_T4_T5_T6_T7_T9_mT8_P12ihipStream_tbDpT10_ENKUlT_T0_E_clISt17integral_constantIbLb0EES1C_EEDaS17_S18_EUlS17_E_NS1_11comp_targetILNS1_3genE5ELNS1_11target_archE942ELNS1_3gpuE9ELNS1_3repE0EEENS1_30default_config_static_selectorELNS0_4arch9wavefront6targetE1EEEvT1_
                                        ; -- End function
	.section	.AMDGPU.csdata,"",@progbits
; Kernel info:
; codeLenInByte = 13920
; NumSgprs: 58
; NumVgprs: 52
; NumAgprs: 0
; TotalNumVgprs: 52
; ScratchSize: 0
; MemoryBound: 0
; FloatMode: 240
; IeeeMode: 1
; LDSByteSize: 28684 bytes/workgroup (compile time only)
; SGPRBlocks: 7
; VGPRBlocks: 6
; NumSGPRsForWavesPerEU: 58
; NumVGPRsForWavesPerEU: 52
; AccumOffset: 52
; Occupancy: 4
; WaveLimiterHint : 1
; COMPUTE_PGM_RSRC2:SCRATCH_EN: 0
; COMPUTE_PGM_RSRC2:USER_SGPR: 2
; COMPUTE_PGM_RSRC2:TRAP_HANDLER: 0
; COMPUTE_PGM_RSRC2:TGID_X_EN: 1
; COMPUTE_PGM_RSRC2:TGID_Y_EN: 0
; COMPUTE_PGM_RSRC2:TGID_Z_EN: 0
; COMPUTE_PGM_RSRC2:TIDIG_COMP_CNT: 0
; COMPUTE_PGM_RSRC3_GFX90A:ACCUM_OFFSET: 12
; COMPUTE_PGM_RSRC3_GFX90A:TG_SPLIT: 0
	.section	.text._ZN7rocprim17ROCPRIM_400000_NS6detail17trampoline_kernelINS0_14default_configENS1_25partition_config_selectorILNS1_17partition_subalgoE8ElNS0_10empty_typeEbEEZZNS1_14partition_implILS5_8ELb0ES3_jPlPS6_PKS6_NS0_5tupleIJS9_S6_EEENSD_IJSA_SA_EEENS0_18inequality_wrapperIZN2at6native12_GLOBAL__N_124unique_dim_cuda_templateIbEESt5tupleIJNSH_6TensorESM_SM_EERKSM_lbbbEUlllE0_EEPmJS6_EEE10hipError_tPvRmT3_T4_T5_T6_T7_T9_mT8_P12ihipStream_tbDpT10_ENKUlT_T0_E_clISt17integral_constantIbLb0EES1C_EEDaS17_S18_EUlS17_E_NS1_11comp_targetILNS1_3genE4ELNS1_11target_archE910ELNS1_3gpuE8ELNS1_3repE0EEENS1_30default_config_static_selectorELNS0_4arch9wavefront6targetE1EEEvT1_,"axG",@progbits,_ZN7rocprim17ROCPRIM_400000_NS6detail17trampoline_kernelINS0_14default_configENS1_25partition_config_selectorILNS1_17partition_subalgoE8ElNS0_10empty_typeEbEEZZNS1_14partition_implILS5_8ELb0ES3_jPlPS6_PKS6_NS0_5tupleIJS9_S6_EEENSD_IJSA_SA_EEENS0_18inequality_wrapperIZN2at6native12_GLOBAL__N_124unique_dim_cuda_templateIbEESt5tupleIJNSH_6TensorESM_SM_EERKSM_lbbbEUlllE0_EEPmJS6_EEE10hipError_tPvRmT3_T4_T5_T6_T7_T9_mT8_P12ihipStream_tbDpT10_ENKUlT_T0_E_clISt17integral_constantIbLb0EES1C_EEDaS17_S18_EUlS17_E_NS1_11comp_targetILNS1_3genE4ELNS1_11target_archE910ELNS1_3gpuE8ELNS1_3repE0EEENS1_30default_config_static_selectorELNS0_4arch9wavefront6targetE1EEEvT1_,comdat
	.globl	_ZN7rocprim17ROCPRIM_400000_NS6detail17trampoline_kernelINS0_14default_configENS1_25partition_config_selectorILNS1_17partition_subalgoE8ElNS0_10empty_typeEbEEZZNS1_14partition_implILS5_8ELb0ES3_jPlPS6_PKS6_NS0_5tupleIJS9_S6_EEENSD_IJSA_SA_EEENS0_18inequality_wrapperIZN2at6native12_GLOBAL__N_124unique_dim_cuda_templateIbEESt5tupleIJNSH_6TensorESM_SM_EERKSM_lbbbEUlllE0_EEPmJS6_EEE10hipError_tPvRmT3_T4_T5_T6_T7_T9_mT8_P12ihipStream_tbDpT10_ENKUlT_T0_E_clISt17integral_constantIbLb0EES1C_EEDaS17_S18_EUlS17_E_NS1_11comp_targetILNS1_3genE4ELNS1_11target_archE910ELNS1_3gpuE8ELNS1_3repE0EEENS1_30default_config_static_selectorELNS0_4arch9wavefront6targetE1EEEvT1_ ; -- Begin function _ZN7rocprim17ROCPRIM_400000_NS6detail17trampoline_kernelINS0_14default_configENS1_25partition_config_selectorILNS1_17partition_subalgoE8ElNS0_10empty_typeEbEEZZNS1_14partition_implILS5_8ELb0ES3_jPlPS6_PKS6_NS0_5tupleIJS9_S6_EEENSD_IJSA_SA_EEENS0_18inequality_wrapperIZN2at6native12_GLOBAL__N_124unique_dim_cuda_templateIbEESt5tupleIJNSH_6TensorESM_SM_EERKSM_lbbbEUlllE0_EEPmJS6_EEE10hipError_tPvRmT3_T4_T5_T6_T7_T9_mT8_P12ihipStream_tbDpT10_ENKUlT_T0_E_clISt17integral_constantIbLb0EES1C_EEDaS17_S18_EUlS17_E_NS1_11comp_targetILNS1_3genE4ELNS1_11target_archE910ELNS1_3gpuE8ELNS1_3repE0EEENS1_30default_config_static_selectorELNS0_4arch9wavefront6targetE1EEEvT1_
	.p2align	8
	.type	_ZN7rocprim17ROCPRIM_400000_NS6detail17trampoline_kernelINS0_14default_configENS1_25partition_config_selectorILNS1_17partition_subalgoE8ElNS0_10empty_typeEbEEZZNS1_14partition_implILS5_8ELb0ES3_jPlPS6_PKS6_NS0_5tupleIJS9_S6_EEENSD_IJSA_SA_EEENS0_18inequality_wrapperIZN2at6native12_GLOBAL__N_124unique_dim_cuda_templateIbEESt5tupleIJNSH_6TensorESM_SM_EERKSM_lbbbEUlllE0_EEPmJS6_EEE10hipError_tPvRmT3_T4_T5_T6_T7_T9_mT8_P12ihipStream_tbDpT10_ENKUlT_T0_E_clISt17integral_constantIbLb0EES1C_EEDaS17_S18_EUlS17_E_NS1_11comp_targetILNS1_3genE4ELNS1_11target_archE910ELNS1_3gpuE8ELNS1_3repE0EEENS1_30default_config_static_selectorELNS0_4arch9wavefront6targetE1EEEvT1_,@function
_ZN7rocprim17ROCPRIM_400000_NS6detail17trampoline_kernelINS0_14default_configENS1_25partition_config_selectorILNS1_17partition_subalgoE8ElNS0_10empty_typeEbEEZZNS1_14partition_implILS5_8ELb0ES3_jPlPS6_PKS6_NS0_5tupleIJS9_S6_EEENSD_IJSA_SA_EEENS0_18inequality_wrapperIZN2at6native12_GLOBAL__N_124unique_dim_cuda_templateIbEESt5tupleIJNSH_6TensorESM_SM_EERKSM_lbbbEUlllE0_EEPmJS6_EEE10hipError_tPvRmT3_T4_T5_T6_T7_T9_mT8_P12ihipStream_tbDpT10_ENKUlT_T0_E_clISt17integral_constantIbLb0EES1C_EEDaS17_S18_EUlS17_E_NS1_11comp_targetILNS1_3genE4ELNS1_11target_archE910ELNS1_3gpuE8ELNS1_3repE0EEENS1_30default_config_static_selectorELNS0_4arch9wavefront6targetE1EEEvT1_: ; @_ZN7rocprim17ROCPRIM_400000_NS6detail17trampoline_kernelINS0_14default_configENS1_25partition_config_selectorILNS1_17partition_subalgoE8ElNS0_10empty_typeEbEEZZNS1_14partition_implILS5_8ELb0ES3_jPlPS6_PKS6_NS0_5tupleIJS9_S6_EEENSD_IJSA_SA_EEENS0_18inequality_wrapperIZN2at6native12_GLOBAL__N_124unique_dim_cuda_templateIbEESt5tupleIJNSH_6TensorESM_SM_EERKSM_lbbbEUlllE0_EEPmJS6_EEE10hipError_tPvRmT3_T4_T5_T6_T7_T9_mT8_P12ihipStream_tbDpT10_ENKUlT_T0_E_clISt17integral_constantIbLb0EES1C_EEDaS17_S18_EUlS17_E_NS1_11comp_targetILNS1_3genE4ELNS1_11target_archE910ELNS1_3gpuE8ELNS1_3repE0EEENS1_30default_config_static_selectorELNS0_4arch9wavefront6targetE1EEEvT1_
; %bb.0:
	.section	.rodata,"a",@progbits
	.p2align	6, 0x0
	.amdhsa_kernel _ZN7rocprim17ROCPRIM_400000_NS6detail17trampoline_kernelINS0_14default_configENS1_25partition_config_selectorILNS1_17partition_subalgoE8ElNS0_10empty_typeEbEEZZNS1_14partition_implILS5_8ELb0ES3_jPlPS6_PKS6_NS0_5tupleIJS9_S6_EEENSD_IJSA_SA_EEENS0_18inequality_wrapperIZN2at6native12_GLOBAL__N_124unique_dim_cuda_templateIbEESt5tupleIJNSH_6TensorESM_SM_EERKSM_lbbbEUlllE0_EEPmJS6_EEE10hipError_tPvRmT3_T4_T5_T6_T7_T9_mT8_P12ihipStream_tbDpT10_ENKUlT_T0_E_clISt17integral_constantIbLb0EES1C_EEDaS17_S18_EUlS17_E_NS1_11comp_targetILNS1_3genE4ELNS1_11target_archE910ELNS1_3gpuE8ELNS1_3repE0EEENS1_30default_config_static_selectorELNS0_4arch9wavefront6targetE1EEEvT1_
		.amdhsa_group_segment_fixed_size 0
		.amdhsa_private_segment_fixed_size 0
		.amdhsa_kernarg_size 120
		.amdhsa_user_sgpr_count 2
		.amdhsa_user_sgpr_dispatch_ptr 0
		.amdhsa_user_sgpr_queue_ptr 0
		.amdhsa_user_sgpr_kernarg_segment_ptr 1
		.amdhsa_user_sgpr_dispatch_id 0
		.amdhsa_user_sgpr_kernarg_preload_length 0
		.amdhsa_user_sgpr_kernarg_preload_offset 0
		.amdhsa_user_sgpr_private_segment_size 0
		.amdhsa_uses_dynamic_stack 0
		.amdhsa_enable_private_segment 0
		.amdhsa_system_sgpr_workgroup_id_x 1
		.amdhsa_system_sgpr_workgroup_id_y 0
		.amdhsa_system_sgpr_workgroup_id_z 0
		.amdhsa_system_sgpr_workgroup_info 0
		.amdhsa_system_vgpr_workitem_id 0
		.amdhsa_next_free_vgpr 1
		.amdhsa_next_free_sgpr 0
		.amdhsa_accum_offset 4
		.amdhsa_reserve_vcc 0
		.amdhsa_float_round_mode_32 0
		.amdhsa_float_round_mode_16_64 0
		.amdhsa_float_denorm_mode_32 3
		.amdhsa_float_denorm_mode_16_64 3
		.amdhsa_dx10_clamp 1
		.amdhsa_ieee_mode 1
		.amdhsa_fp16_overflow 0
		.amdhsa_tg_split 0
		.amdhsa_exception_fp_ieee_invalid_op 0
		.amdhsa_exception_fp_denorm_src 0
		.amdhsa_exception_fp_ieee_div_zero 0
		.amdhsa_exception_fp_ieee_overflow 0
		.amdhsa_exception_fp_ieee_underflow 0
		.amdhsa_exception_fp_ieee_inexact 0
		.amdhsa_exception_int_div_zero 0
	.end_amdhsa_kernel
	.section	.text._ZN7rocprim17ROCPRIM_400000_NS6detail17trampoline_kernelINS0_14default_configENS1_25partition_config_selectorILNS1_17partition_subalgoE8ElNS0_10empty_typeEbEEZZNS1_14partition_implILS5_8ELb0ES3_jPlPS6_PKS6_NS0_5tupleIJS9_S6_EEENSD_IJSA_SA_EEENS0_18inequality_wrapperIZN2at6native12_GLOBAL__N_124unique_dim_cuda_templateIbEESt5tupleIJNSH_6TensorESM_SM_EERKSM_lbbbEUlllE0_EEPmJS6_EEE10hipError_tPvRmT3_T4_T5_T6_T7_T9_mT8_P12ihipStream_tbDpT10_ENKUlT_T0_E_clISt17integral_constantIbLb0EES1C_EEDaS17_S18_EUlS17_E_NS1_11comp_targetILNS1_3genE4ELNS1_11target_archE910ELNS1_3gpuE8ELNS1_3repE0EEENS1_30default_config_static_selectorELNS0_4arch9wavefront6targetE1EEEvT1_,"axG",@progbits,_ZN7rocprim17ROCPRIM_400000_NS6detail17trampoline_kernelINS0_14default_configENS1_25partition_config_selectorILNS1_17partition_subalgoE8ElNS0_10empty_typeEbEEZZNS1_14partition_implILS5_8ELb0ES3_jPlPS6_PKS6_NS0_5tupleIJS9_S6_EEENSD_IJSA_SA_EEENS0_18inequality_wrapperIZN2at6native12_GLOBAL__N_124unique_dim_cuda_templateIbEESt5tupleIJNSH_6TensorESM_SM_EERKSM_lbbbEUlllE0_EEPmJS6_EEE10hipError_tPvRmT3_T4_T5_T6_T7_T9_mT8_P12ihipStream_tbDpT10_ENKUlT_T0_E_clISt17integral_constantIbLb0EES1C_EEDaS17_S18_EUlS17_E_NS1_11comp_targetILNS1_3genE4ELNS1_11target_archE910ELNS1_3gpuE8ELNS1_3repE0EEENS1_30default_config_static_selectorELNS0_4arch9wavefront6targetE1EEEvT1_,comdat
.Lfunc_end1061:
	.size	_ZN7rocprim17ROCPRIM_400000_NS6detail17trampoline_kernelINS0_14default_configENS1_25partition_config_selectorILNS1_17partition_subalgoE8ElNS0_10empty_typeEbEEZZNS1_14partition_implILS5_8ELb0ES3_jPlPS6_PKS6_NS0_5tupleIJS9_S6_EEENSD_IJSA_SA_EEENS0_18inequality_wrapperIZN2at6native12_GLOBAL__N_124unique_dim_cuda_templateIbEESt5tupleIJNSH_6TensorESM_SM_EERKSM_lbbbEUlllE0_EEPmJS6_EEE10hipError_tPvRmT3_T4_T5_T6_T7_T9_mT8_P12ihipStream_tbDpT10_ENKUlT_T0_E_clISt17integral_constantIbLb0EES1C_EEDaS17_S18_EUlS17_E_NS1_11comp_targetILNS1_3genE4ELNS1_11target_archE910ELNS1_3gpuE8ELNS1_3repE0EEENS1_30default_config_static_selectorELNS0_4arch9wavefront6targetE1EEEvT1_, .Lfunc_end1061-_ZN7rocprim17ROCPRIM_400000_NS6detail17trampoline_kernelINS0_14default_configENS1_25partition_config_selectorILNS1_17partition_subalgoE8ElNS0_10empty_typeEbEEZZNS1_14partition_implILS5_8ELb0ES3_jPlPS6_PKS6_NS0_5tupleIJS9_S6_EEENSD_IJSA_SA_EEENS0_18inequality_wrapperIZN2at6native12_GLOBAL__N_124unique_dim_cuda_templateIbEESt5tupleIJNSH_6TensorESM_SM_EERKSM_lbbbEUlllE0_EEPmJS6_EEE10hipError_tPvRmT3_T4_T5_T6_T7_T9_mT8_P12ihipStream_tbDpT10_ENKUlT_T0_E_clISt17integral_constantIbLb0EES1C_EEDaS17_S18_EUlS17_E_NS1_11comp_targetILNS1_3genE4ELNS1_11target_archE910ELNS1_3gpuE8ELNS1_3repE0EEENS1_30default_config_static_selectorELNS0_4arch9wavefront6targetE1EEEvT1_
                                        ; -- End function
	.section	.AMDGPU.csdata,"",@progbits
; Kernel info:
; codeLenInByte = 0
; NumSgprs: 6
; NumVgprs: 0
; NumAgprs: 0
; TotalNumVgprs: 0
; ScratchSize: 0
; MemoryBound: 0
; FloatMode: 240
; IeeeMode: 1
; LDSByteSize: 0 bytes/workgroup (compile time only)
; SGPRBlocks: 0
; VGPRBlocks: 0
; NumSGPRsForWavesPerEU: 6
; NumVGPRsForWavesPerEU: 1
; AccumOffset: 4
; Occupancy: 8
; WaveLimiterHint : 0
; COMPUTE_PGM_RSRC2:SCRATCH_EN: 0
; COMPUTE_PGM_RSRC2:USER_SGPR: 2
; COMPUTE_PGM_RSRC2:TRAP_HANDLER: 0
; COMPUTE_PGM_RSRC2:TGID_X_EN: 1
; COMPUTE_PGM_RSRC2:TGID_Y_EN: 0
; COMPUTE_PGM_RSRC2:TGID_Z_EN: 0
; COMPUTE_PGM_RSRC2:TIDIG_COMP_CNT: 0
; COMPUTE_PGM_RSRC3_GFX90A:ACCUM_OFFSET: 0
; COMPUTE_PGM_RSRC3_GFX90A:TG_SPLIT: 0
	.section	.text._ZN7rocprim17ROCPRIM_400000_NS6detail17trampoline_kernelINS0_14default_configENS1_25partition_config_selectorILNS1_17partition_subalgoE8ElNS0_10empty_typeEbEEZZNS1_14partition_implILS5_8ELb0ES3_jPlPS6_PKS6_NS0_5tupleIJS9_S6_EEENSD_IJSA_SA_EEENS0_18inequality_wrapperIZN2at6native12_GLOBAL__N_124unique_dim_cuda_templateIbEESt5tupleIJNSH_6TensorESM_SM_EERKSM_lbbbEUlllE0_EEPmJS6_EEE10hipError_tPvRmT3_T4_T5_T6_T7_T9_mT8_P12ihipStream_tbDpT10_ENKUlT_T0_E_clISt17integral_constantIbLb0EES1C_EEDaS17_S18_EUlS17_E_NS1_11comp_targetILNS1_3genE3ELNS1_11target_archE908ELNS1_3gpuE7ELNS1_3repE0EEENS1_30default_config_static_selectorELNS0_4arch9wavefront6targetE1EEEvT1_,"axG",@progbits,_ZN7rocprim17ROCPRIM_400000_NS6detail17trampoline_kernelINS0_14default_configENS1_25partition_config_selectorILNS1_17partition_subalgoE8ElNS0_10empty_typeEbEEZZNS1_14partition_implILS5_8ELb0ES3_jPlPS6_PKS6_NS0_5tupleIJS9_S6_EEENSD_IJSA_SA_EEENS0_18inequality_wrapperIZN2at6native12_GLOBAL__N_124unique_dim_cuda_templateIbEESt5tupleIJNSH_6TensorESM_SM_EERKSM_lbbbEUlllE0_EEPmJS6_EEE10hipError_tPvRmT3_T4_T5_T6_T7_T9_mT8_P12ihipStream_tbDpT10_ENKUlT_T0_E_clISt17integral_constantIbLb0EES1C_EEDaS17_S18_EUlS17_E_NS1_11comp_targetILNS1_3genE3ELNS1_11target_archE908ELNS1_3gpuE7ELNS1_3repE0EEENS1_30default_config_static_selectorELNS0_4arch9wavefront6targetE1EEEvT1_,comdat
	.globl	_ZN7rocprim17ROCPRIM_400000_NS6detail17trampoline_kernelINS0_14default_configENS1_25partition_config_selectorILNS1_17partition_subalgoE8ElNS0_10empty_typeEbEEZZNS1_14partition_implILS5_8ELb0ES3_jPlPS6_PKS6_NS0_5tupleIJS9_S6_EEENSD_IJSA_SA_EEENS0_18inequality_wrapperIZN2at6native12_GLOBAL__N_124unique_dim_cuda_templateIbEESt5tupleIJNSH_6TensorESM_SM_EERKSM_lbbbEUlllE0_EEPmJS6_EEE10hipError_tPvRmT3_T4_T5_T6_T7_T9_mT8_P12ihipStream_tbDpT10_ENKUlT_T0_E_clISt17integral_constantIbLb0EES1C_EEDaS17_S18_EUlS17_E_NS1_11comp_targetILNS1_3genE3ELNS1_11target_archE908ELNS1_3gpuE7ELNS1_3repE0EEENS1_30default_config_static_selectorELNS0_4arch9wavefront6targetE1EEEvT1_ ; -- Begin function _ZN7rocprim17ROCPRIM_400000_NS6detail17trampoline_kernelINS0_14default_configENS1_25partition_config_selectorILNS1_17partition_subalgoE8ElNS0_10empty_typeEbEEZZNS1_14partition_implILS5_8ELb0ES3_jPlPS6_PKS6_NS0_5tupleIJS9_S6_EEENSD_IJSA_SA_EEENS0_18inequality_wrapperIZN2at6native12_GLOBAL__N_124unique_dim_cuda_templateIbEESt5tupleIJNSH_6TensorESM_SM_EERKSM_lbbbEUlllE0_EEPmJS6_EEE10hipError_tPvRmT3_T4_T5_T6_T7_T9_mT8_P12ihipStream_tbDpT10_ENKUlT_T0_E_clISt17integral_constantIbLb0EES1C_EEDaS17_S18_EUlS17_E_NS1_11comp_targetILNS1_3genE3ELNS1_11target_archE908ELNS1_3gpuE7ELNS1_3repE0EEENS1_30default_config_static_selectorELNS0_4arch9wavefront6targetE1EEEvT1_
	.p2align	8
	.type	_ZN7rocprim17ROCPRIM_400000_NS6detail17trampoline_kernelINS0_14default_configENS1_25partition_config_selectorILNS1_17partition_subalgoE8ElNS0_10empty_typeEbEEZZNS1_14partition_implILS5_8ELb0ES3_jPlPS6_PKS6_NS0_5tupleIJS9_S6_EEENSD_IJSA_SA_EEENS0_18inequality_wrapperIZN2at6native12_GLOBAL__N_124unique_dim_cuda_templateIbEESt5tupleIJNSH_6TensorESM_SM_EERKSM_lbbbEUlllE0_EEPmJS6_EEE10hipError_tPvRmT3_T4_T5_T6_T7_T9_mT8_P12ihipStream_tbDpT10_ENKUlT_T0_E_clISt17integral_constantIbLb0EES1C_EEDaS17_S18_EUlS17_E_NS1_11comp_targetILNS1_3genE3ELNS1_11target_archE908ELNS1_3gpuE7ELNS1_3repE0EEENS1_30default_config_static_selectorELNS0_4arch9wavefront6targetE1EEEvT1_,@function
_ZN7rocprim17ROCPRIM_400000_NS6detail17trampoline_kernelINS0_14default_configENS1_25partition_config_selectorILNS1_17partition_subalgoE8ElNS0_10empty_typeEbEEZZNS1_14partition_implILS5_8ELb0ES3_jPlPS6_PKS6_NS0_5tupleIJS9_S6_EEENSD_IJSA_SA_EEENS0_18inequality_wrapperIZN2at6native12_GLOBAL__N_124unique_dim_cuda_templateIbEESt5tupleIJNSH_6TensorESM_SM_EERKSM_lbbbEUlllE0_EEPmJS6_EEE10hipError_tPvRmT3_T4_T5_T6_T7_T9_mT8_P12ihipStream_tbDpT10_ENKUlT_T0_E_clISt17integral_constantIbLb0EES1C_EEDaS17_S18_EUlS17_E_NS1_11comp_targetILNS1_3genE3ELNS1_11target_archE908ELNS1_3gpuE7ELNS1_3repE0EEENS1_30default_config_static_selectorELNS0_4arch9wavefront6targetE1EEEvT1_: ; @_ZN7rocprim17ROCPRIM_400000_NS6detail17trampoline_kernelINS0_14default_configENS1_25partition_config_selectorILNS1_17partition_subalgoE8ElNS0_10empty_typeEbEEZZNS1_14partition_implILS5_8ELb0ES3_jPlPS6_PKS6_NS0_5tupleIJS9_S6_EEENSD_IJSA_SA_EEENS0_18inequality_wrapperIZN2at6native12_GLOBAL__N_124unique_dim_cuda_templateIbEESt5tupleIJNSH_6TensorESM_SM_EERKSM_lbbbEUlllE0_EEPmJS6_EEE10hipError_tPvRmT3_T4_T5_T6_T7_T9_mT8_P12ihipStream_tbDpT10_ENKUlT_T0_E_clISt17integral_constantIbLb0EES1C_EEDaS17_S18_EUlS17_E_NS1_11comp_targetILNS1_3genE3ELNS1_11target_archE908ELNS1_3gpuE7ELNS1_3repE0EEENS1_30default_config_static_selectorELNS0_4arch9wavefront6targetE1EEEvT1_
; %bb.0:
	.section	.rodata,"a",@progbits
	.p2align	6, 0x0
	.amdhsa_kernel _ZN7rocprim17ROCPRIM_400000_NS6detail17trampoline_kernelINS0_14default_configENS1_25partition_config_selectorILNS1_17partition_subalgoE8ElNS0_10empty_typeEbEEZZNS1_14partition_implILS5_8ELb0ES3_jPlPS6_PKS6_NS0_5tupleIJS9_S6_EEENSD_IJSA_SA_EEENS0_18inequality_wrapperIZN2at6native12_GLOBAL__N_124unique_dim_cuda_templateIbEESt5tupleIJNSH_6TensorESM_SM_EERKSM_lbbbEUlllE0_EEPmJS6_EEE10hipError_tPvRmT3_T4_T5_T6_T7_T9_mT8_P12ihipStream_tbDpT10_ENKUlT_T0_E_clISt17integral_constantIbLb0EES1C_EEDaS17_S18_EUlS17_E_NS1_11comp_targetILNS1_3genE3ELNS1_11target_archE908ELNS1_3gpuE7ELNS1_3repE0EEENS1_30default_config_static_selectorELNS0_4arch9wavefront6targetE1EEEvT1_
		.amdhsa_group_segment_fixed_size 0
		.amdhsa_private_segment_fixed_size 0
		.amdhsa_kernarg_size 120
		.amdhsa_user_sgpr_count 2
		.amdhsa_user_sgpr_dispatch_ptr 0
		.amdhsa_user_sgpr_queue_ptr 0
		.amdhsa_user_sgpr_kernarg_segment_ptr 1
		.amdhsa_user_sgpr_dispatch_id 0
		.amdhsa_user_sgpr_kernarg_preload_length 0
		.amdhsa_user_sgpr_kernarg_preload_offset 0
		.amdhsa_user_sgpr_private_segment_size 0
		.amdhsa_uses_dynamic_stack 0
		.amdhsa_enable_private_segment 0
		.amdhsa_system_sgpr_workgroup_id_x 1
		.amdhsa_system_sgpr_workgroup_id_y 0
		.amdhsa_system_sgpr_workgroup_id_z 0
		.amdhsa_system_sgpr_workgroup_info 0
		.amdhsa_system_vgpr_workitem_id 0
		.amdhsa_next_free_vgpr 1
		.amdhsa_next_free_sgpr 0
		.amdhsa_accum_offset 4
		.amdhsa_reserve_vcc 0
		.amdhsa_float_round_mode_32 0
		.amdhsa_float_round_mode_16_64 0
		.amdhsa_float_denorm_mode_32 3
		.amdhsa_float_denorm_mode_16_64 3
		.amdhsa_dx10_clamp 1
		.amdhsa_ieee_mode 1
		.amdhsa_fp16_overflow 0
		.amdhsa_tg_split 0
		.amdhsa_exception_fp_ieee_invalid_op 0
		.amdhsa_exception_fp_denorm_src 0
		.amdhsa_exception_fp_ieee_div_zero 0
		.amdhsa_exception_fp_ieee_overflow 0
		.amdhsa_exception_fp_ieee_underflow 0
		.amdhsa_exception_fp_ieee_inexact 0
		.amdhsa_exception_int_div_zero 0
	.end_amdhsa_kernel
	.section	.text._ZN7rocprim17ROCPRIM_400000_NS6detail17trampoline_kernelINS0_14default_configENS1_25partition_config_selectorILNS1_17partition_subalgoE8ElNS0_10empty_typeEbEEZZNS1_14partition_implILS5_8ELb0ES3_jPlPS6_PKS6_NS0_5tupleIJS9_S6_EEENSD_IJSA_SA_EEENS0_18inequality_wrapperIZN2at6native12_GLOBAL__N_124unique_dim_cuda_templateIbEESt5tupleIJNSH_6TensorESM_SM_EERKSM_lbbbEUlllE0_EEPmJS6_EEE10hipError_tPvRmT3_T4_T5_T6_T7_T9_mT8_P12ihipStream_tbDpT10_ENKUlT_T0_E_clISt17integral_constantIbLb0EES1C_EEDaS17_S18_EUlS17_E_NS1_11comp_targetILNS1_3genE3ELNS1_11target_archE908ELNS1_3gpuE7ELNS1_3repE0EEENS1_30default_config_static_selectorELNS0_4arch9wavefront6targetE1EEEvT1_,"axG",@progbits,_ZN7rocprim17ROCPRIM_400000_NS6detail17trampoline_kernelINS0_14default_configENS1_25partition_config_selectorILNS1_17partition_subalgoE8ElNS0_10empty_typeEbEEZZNS1_14partition_implILS5_8ELb0ES3_jPlPS6_PKS6_NS0_5tupleIJS9_S6_EEENSD_IJSA_SA_EEENS0_18inequality_wrapperIZN2at6native12_GLOBAL__N_124unique_dim_cuda_templateIbEESt5tupleIJNSH_6TensorESM_SM_EERKSM_lbbbEUlllE0_EEPmJS6_EEE10hipError_tPvRmT3_T4_T5_T6_T7_T9_mT8_P12ihipStream_tbDpT10_ENKUlT_T0_E_clISt17integral_constantIbLb0EES1C_EEDaS17_S18_EUlS17_E_NS1_11comp_targetILNS1_3genE3ELNS1_11target_archE908ELNS1_3gpuE7ELNS1_3repE0EEENS1_30default_config_static_selectorELNS0_4arch9wavefront6targetE1EEEvT1_,comdat
.Lfunc_end1062:
	.size	_ZN7rocprim17ROCPRIM_400000_NS6detail17trampoline_kernelINS0_14default_configENS1_25partition_config_selectorILNS1_17partition_subalgoE8ElNS0_10empty_typeEbEEZZNS1_14partition_implILS5_8ELb0ES3_jPlPS6_PKS6_NS0_5tupleIJS9_S6_EEENSD_IJSA_SA_EEENS0_18inequality_wrapperIZN2at6native12_GLOBAL__N_124unique_dim_cuda_templateIbEESt5tupleIJNSH_6TensorESM_SM_EERKSM_lbbbEUlllE0_EEPmJS6_EEE10hipError_tPvRmT3_T4_T5_T6_T7_T9_mT8_P12ihipStream_tbDpT10_ENKUlT_T0_E_clISt17integral_constantIbLb0EES1C_EEDaS17_S18_EUlS17_E_NS1_11comp_targetILNS1_3genE3ELNS1_11target_archE908ELNS1_3gpuE7ELNS1_3repE0EEENS1_30default_config_static_selectorELNS0_4arch9wavefront6targetE1EEEvT1_, .Lfunc_end1062-_ZN7rocprim17ROCPRIM_400000_NS6detail17trampoline_kernelINS0_14default_configENS1_25partition_config_selectorILNS1_17partition_subalgoE8ElNS0_10empty_typeEbEEZZNS1_14partition_implILS5_8ELb0ES3_jPlPS6_PKS6_NS0_5tupleIJS9_S6_EEENSD_IJSA_SA_EEENS0_18inequality_wrapperIZN2at6native12_GLOBAL__N_124unique_dim_cuda_templateIbEESt5tupleIJNSH_6TensorESM_SM_EERKSM_lbbbEUlllE0_EEPmJS6_EEE10hipError_tPvRmT3_T4_T5_T6_T7_T9_mT8_P12ihipStream_tbDpT10_ENKUlT_T0_E_clISt17integral_constantIbLb0EES1C_EEDaS17_S18_EUlS17_E_NS1_11comp_targetILNS1_3genE3ELNS1_11target_archE908ELNS1_3gpuE7ELNS1_3repE0EEENS1_30default_config_static_selectorELNS0_4arch9wavefront6targetE1EEEvT1_
                                        ; -- End function
	.section	.AMDGPU.csdata,"",@progbits
; Kernel info:
; codeLenInByte = 0
; NumSgprs: 6
; NumVgprs: 0
; NumAgprs: 0
; TotalNumVgprs: 0
; ScratchSize: 0
; MemoryBound: 0
; FloatMode: 240
; IeeeMode: 1
; LDSByteSize: 0 bytes/workgroup (compile time only)
; SGPRBlocks: 0
; VGPRBlocks: 0
; NumSGPRsForWavesPerEU: 6
; NumVGPRsForWavesPerEU: 1
; AccumOffset: 4
; Occupancy: 8
; WaveLimiterHint : 0
; COMPUTE_PGM_RSRC2:SCRATCH_EN: 0
; COMPUTE_PGM_RSRC2:USER_SGPR: 2
; COMPUTE_PGM_RSRC2:TRAP_HANDLER: 0
; COMPUTE_PGM_RSRC2:TGID_X_EN: 1
; COMPUTE_PGM_RSRC2:TGID_Y_EN: 0
; COMPUTE_PGM_RSRC2:TGID_Z_EN: 0
; COMPUTE_PGM_RSRC2:TIDIG_COMP_CNT: 0
; COMPUTE_PGM_RSRC3_GFX90A:ACCUM_OFFSET: 0
; COMPUTE_PGM_RSRC3_GFX90A:TG_SPLIT: 0
	.section	.text._ZN7rocprim17ROCPRIM_400000_NS6detail17trampoline_kernelINS0_14default_configENS1_25partition_config_selectorILNS1_17partition_subalgoE8ElNS0_10empty_typeEbEEZZNS1_14partition_implILS5_8ELb0ES3_jPlPS6_PKS6_NS0_5tupleIJS9_S6_EEENSD_IJSA_SA_EEENS0_18inequality_wrapperIZN2at6native12_GLOBAL__N_124unique_dim_cuda_templateIbEESt5tupleIJNSH_6TensorESM_SM_EERKSM_lbbbEUlllE0_EEPmJS6_EEE10hipError_tPvRmT3_T4_T5_T6_T7_T9_mT8_P12ihipStream_tbDpT10_ENKUlT_T0_E_clISt17integral_constantIbLb0EES1C_EEDaS17_S18_EUlS17_E_NS1_11comp_targetILNS1_3genE2ELNS1_11target_archE906ELNS1_3gpuE6ELNS1_3repE0EEENS1_30default_config_static_selectorELNS0_4arch9wavefront6targetE1EEEvT1_,"axG",@progbits,_ZN7rocprim17ROCPRIM_400000_NS6detail17trampoline_kernelINS0_14default_configENS1_25partition_config_selectorILNS1_17partition_subalgoE8ElNS0_10empty_typeEbEEZZNS1_14partition_implILS5_8ELb0ES3_jPlPS6_PKS6_NS0_5tupleIJS9_S6_EEENSD_IJSA_SA_EEENS0_18inequality_wrapperIZN2at6native12_GLOBAL__N_124unique_dim_cuda_templateIbEESt5tupleIJNSH_6TensorESM_SM_EERKSM_lbbbEUlllE0_EEPmJS6_EEE10hipError_tPvRmT3_T4_T5_T6_T7_T9_mT8_P12ihipStream_tbDpT10_ENKUlT_T0_E_clISt17integral_constantIbLb0EES1C_EEDaS17_S18_EUlS17_E_NS1_11comp_targetILNS1_3genE2ELNS1_11target_archE906ELNS1_3gpuE6ELNS1_3repE0EEENS1_30default_config_static_selectorELNS0_4arch9wavefront6targetE1EEEvT1_,comdat
	.globl	_ZN7rocprim17ROCPRIM_400000_NS6detail17trampoline_kernelINS0_14default_configENS1_25partition_config_selectorILNS1_17partition_subalgoE8ElNS0_10empty_typeEbEEZZNS1_14partition_implILS5_8ELb0ES3_jPlPS6_PKS6_NS0_5tupleIJS9_S6_EEENSD_IJSA_SA_EEENS0_18inequality_wrapperIZN2at6native12_GLOBAL__N_124unique_dim_cuda_templateIbEESt5tupleIJNSH_6TensorESM_SM_EERKSM_lbbbEUlllE0_EEPmJS6_EEE10hipError_tPvRmT3_T4_T5_T6_T7_T9_mT8_P12ihipStream_tbDpT10_ENKUlT_T0_E_clISt17integral_constantIbLb0EES1C_EEDaS17_S18_EUlS17_E_NS1_11comp_targetILNS1_3genE2ELNS1_11target_archE906ELNS1_3gpuE6ELNS1_3repE0EEENS1_30default_config_static_selectorELNS0_4arch9wavefront6targetE1EEEvT1_ ; -- Begin function _ZN7rocprim17ROCPRIM_400000_NS6detail17trampoline_kernelINS0_14default_configENS1_25partition_config_selectorILNS1_17partition_subalgoE8ElNS0_10empty_typeEbEEZZNS1_14partition_implILS5_8ELb0ES3_jPlPS6_PKS6_NS0_5tupleIJS9_S6_EEENSD_IJSA_SA_EEENS0_18inequality_wrapperIZN2at6native12_GLOBAL__N_124unique_dim_cuda_templateIbEESt5tupleIJNSH_6TensorESM_SM_EERKSM_lbbbEUlllE0_EEPmJS6_EEE10hipError_tPvRmT3_T4_T5_T6_T7_T9_mT8_P12ihipStream_tbDpT10_ENKUlT_T0_E_clISt17integral_constantIbLb0EES1C_EEDaS17_S18_EUlS17_E_NS1_11comp_targetILNS1_3genE2ELNS1_11target_archE906ELNS1_3gpuE6ELNS1_3repE0EEENS1_30default_config_static_selectorELNS0_4arch9wavefront6targetE1EEEvT1_
	.p2align	8
	.type	_ZN7rocprim17ROCPRIM_400000_NS6detail17trampoline_kernelINS0_14default_configENS1_25partition_config_selectorILNS1_17partition_subalgoE8ElNS0_10empty_typeEbEEZZNS1_14partition_implILS5_8ELb0ES3_jPlPS6_PKS6_NS0_5tupleIJS9_S6_EEENSD_IJSA_SA_EEENS0_18inequality_wrapperIZN2at6native12_GLOBAL__N_124unique_dim_cuda_templateIbEESt5tupleIJNSH_6TensorESM_SM_EERKSM_lbbbEUlllE0_EEPmJS6_EEE10hipError_tPvRmT3_T4_T5_T6_T7_T9_mT8_P12ihipStream_tbDpT10_ENKUlT_T0_E_clISt17integral_constantIbLb0EES1C_EEDaS17_S18_EUlS17_E_NS1_11comp_targetILNS1_3genE2ELNS1_11target_archE906ELNS1_3gpuE6ELNS1_3repE0EEENS1_30default_config_static_selectorELNS0_4arch9wavefront6targetE1EEEvT1_,@function
_ZN7rocprim17ROCPRIM_400000_NS6detail17trampoline_kernelINS0_14default_configENS1_25partition_config_selectorILNS1_17partition_subalgoE8ElNS0_10empty_typeEbEEZZNS1_14partition_implILS5_8ELb0ES3_jPlPS6_PKS6_NS0_5tupleIJS9_S6_EEENSD_IJSA_SA_EEENS0_18inequality_wrapperIZN2at6native12_GLOBAL__N_124unique_dim_cuda_templateIbEESt5tupleIJNSH_6TensorESM_SM_EERKSM_lbbbEUlllE0_EEPmJS6_EEE10hipError_tPvRmT3_T4_T5_T6_T7_T9_mT8_P12ihipStream_tbDpT10_ENKUlT_T0_E_clISt17integral_constantIbLb0EES1C_EEDaS17_S18_EUlS17_E_NS1_11comp_targetILNS1_3genE2ELNS1_11target_archE906ELNS1_3gpuE6ELNS1_3repE0EEENS1_30default_config_static_selectorELNS0_4arch9wavefront6targetE1EEEvT1_: ; @_ZN7rocprim17ROCPRIM_400000_NS6detail17trampoline_kernelINS0_14default_configENS1_25partition_config_selectorILNS1_17partition_subalgoE8ElNS0_10empty_typeEbEEZZNS1_14partition_implILS5_8ELb0ES3_jPlPS6_PKS6_NS0_5tupleIJS9_S6_EEENSD_IJSA_SA_EEENS0_18inequality_wrapperIZN2at6native12_GLOBAL__N_124unique_dim_cuda_templateIbEESt5tupleIJNSH_6TensorESM_SM_EERKSM_lbbbEUlllE0_EEPmJS6_EEE10hipError_tPvRmT3_T4_T5_T6_T7_T9_mT8_P12ihipStream_tbDpT10_ENKUlT_T0_E_clISt17integral_constantIbLb0EES1C_EEDaS17_S18_EUlS17_E_NS1_11comp_targetILNS1_3genE2ELNS1_11target_archE906ELNS1_3gpuE6ELNS1_3repE0EEENS1_30default_config_static_selectorELNS0_4arch9wavefront6targetE1EEEvT1_
; %bb.0:
	.section	.rodata,"a",@progbits
	.p2align	6, 0x0
	.amdhsa_kernel _ZN7rocprim17ROCPRIM_400000_NS6detail17trampoline_kernelINS0_14default_configENS1_25partition_config_selectorILNS1_17partition_subalgoE8ElNS0_10empty_typeEbEEZZNS1_14partition_implILS5_8ELb0ES3_jPlPS6_PKS6_NS0_5tupleIJS9_S6_EEENSD_IJSA_SA_EEENS0_18inequality_wrapperIZN2at6native12_GLOBAL__N_124unique_dim_cuda_templateIbEESt5tupleIJNSH_6TensorESM_SM_EERKSM_lbbbEUlllE0_EEPmJS6_EEE10hipError_tPvRmT3_T4_T5_T6_T7_T9_mT8_P12ihipStream_tbDpT10_ENKUlT_T0_E_clISt17integral_constantIbLb0EES1C_EEDaS17_S18_EUlS17_E_NS1_11comp_targetILNS1_3genE2ELNS1_11target_archE906ELNS1_3gpuE6ELNS1_3repE0EEENS1_30default_config_static_selectorELNS0_4arch9wavefront6targetE1EEEvT1_
		.amdhsa_group_segment_fixed_size 0
		.amdhsa_private_segment_fixed_size 0
		.amdhsa_kernarg_size 120
		.amdhsa_user_sgpr_count 2
		.amdhsa_user_sgpr_dispatch_ptr 0
		.amdhsa_user_sgpr_queue_ptr 0
		.amdhsa_user_sgpr_kernarg_segment_ptr 1
		.amdhsa_user_sgpr_dispatch_id 0
		.amdhsa_user_sgpr_kernarg_preload_length 0
		.amdhsa_user_sgpr_kernarg_preload_offset 0
		.amdhsa_user_sgpr_private_segment_size 0
		.amdhsa_uses_dynamic_stack 0
		.amdhsa_enable_private_segment 0
		.amdhsa_system_sgpr_workgroup_id_x 1
		.amdhsa_system_sgpr_workgroup_id_y 0
		.amdhsa_system_sgpr_workgroup_id_z 0
		.amdhsa_system_sgpr_workgroup_info 0
		.amdhsa_system_vgpr_workitem_id 0
		.amdhsa_next_free_vgpr 1
		.amdhsa_next_free_sgpr 0
		.amdhsa_accum_offset 4
		.amdhsa_reserve_vcc 0
		.amdhsa_float_round_mode_32 0
		.amdhsa_float_round_mode_16_64 0
		.amdhsa_float_denorm_mode_32 3
		.amdhsa_float_denorm_mode_16_64 3
		.amdhsa_dx10_clamp 1
		.amdhsa_ieee_mode 1
		.amdhsa_fp16_overflow 0
		.amdhsa_tg_split 0
		.amdhsa_exception_fp_ieee_invalid_op 0
		.amdhsa_exception_fp_denorm_src 0
		.amdhsa_exception_fp_ieee_div_zero 0
		.amdhsa_exception_fp_ieee_overflow 0
		.amdhsa_exception_fp_ieee_underflow 0
		.amdhsa_exception_fp_ieee_inexact 0
		.amdhsa_exception_int_div_zero 0
	.end_amdhsa_kernel
	.section	.text._ZN7rocprim17ROCPRIM_400000_NS6detail17trampoline_kernelINS0_14default_configENS1_25partition_config_selectorILNS1_17partition_subalgoE8ElNS0_10empty_typeEbEEZZNS1_14partition_implILS5_8ELb0ES3_jPlPS6_PKS6_NS0_5tupleIJS9_S6_EEENSD_IJSA_SA_EEENS0_18inequality_wrapperIZN2at6native12_GLOBAL__N_124unique_dim_cuda_templateIbEESt5tupleIJNSH_6TensorESM_SM_EERKSM_lbbbEUlllE0_EEPmJS6_EEE10hipError_tPvRmT3_T4_T5_T6_T7_T9_mT8_P12ihipStream_tbDpT10_ENKUlT_T0_E_clISt17integral_constantIbLb0EES1C_EEDaS17_S18_EUlS17_E_NS1_11comp_targetILNS1_3genE2ELNS1_11target_archE906ELNS1_3gpuE6ELNS1_3repE0EEENS1_30default_config_static_selectorELNS0_4arch9wavefront6targetE1EEEvT1_,"axG",@progbits,_ZN7rocprim17ROCPRIM_400000_NS6detail17trampoline_kernelINS0_14default_configENS1_25partition_config_selectorILNS1_17partition_subalgoE8ElNS0_10empty_typeEbEEZZNS1_14partition_implILS5_8ELb0ES3_jPlPS6_PKS6_NS0_5tupleIJS9_S6_EEENSD_IJSA_SA_EEENS0_18inequality_wrapperIZN2at6native12_GLOBAL__N_124unique_dim_cuda_templateIbEESt5tupleIJNSH_6TensorESM_SM_EERKSM_lbbbEUlllE0_EEPmJS6_EEE10hipError_tPvRmT3_T4_T5_T6_T7_T9_mT8_P12ihipStream_tbDpT10_ENKUlT_T0_E_clISt17integral_constantIbLb0EES1C_EEDaS17_S18_EUlS17_E_NS1_11comp_targetILNS1_3genE2ELNS1_11target_archE906ELNS1_3gpuE6ELNS1_3repE0EEENS1_30default_config_static_selectorELNS0_4arch9wavefront6targetE1EEEvT1_,comdat
.Lfunc_end1063:
	.size	_ZN7rocprim17ROCPRIM_400000_NS6detail17trampoline_kernelINS0_14default_configENS1_25partition_config_selectorILNS1_17partition_subalgoE8ElNS0_10empty_typeEbEEZZNS1_14partition_implILS5_8ELb0ES3_jPlPS6_PKS6_NS0_5tupleIJS9_S6_EEENSD_IJSA_SA_EEENS0_18inequality_wrapperIZN2at6native12_GLOBAL__N_124unique_dim_cuda_templateIbEESt5tupleIJNSH_6TensorESM_SM_EERKSM_lbbbEUlllE0_EEPmJS6_EEE10hipError_tPvRmT3_T4_T5_T6_T7_T9_mT8_P12ihipStream_tbDpT10_ENKUlT_T0_E_clISt17integral_constantIbLb0EES1C_EEDaS17_S18_EUlS17_E_NS1_11comp_targetILNS1_3genE2ELNS1_11target_archE906ELNS1_3gpuE6ELNS1_3repE0EEENS1_30default_config_static_selectorELNS0_4arch9wavefront6targetE1EEEvT1_, .Lfunc_end1063-_ZN7rocprim17ROCPRIM_400000_NS6detail17trampoline_kernelINS0_14default_configENS1_25partition_config_selectorILNS1_17partition_subalgoE8ElNS0_10empty_typeEbEEZZNS1_14partition_implILS5_8ELb0ES3_jPlPS6_PKS6_NS0_5tupleIJS9_S6_EEENSD_IJSA_SA_EEENS0_18inequality_wrapperIZN2at6native12_GLOBAL__N_124unique_dim_cuda_templateIbEESt5tupleIJNSH_6TensorESM_SM_EERKSM_lbbbEUlllE0_EEPmJS6_EEE10hipError_tPvRmT3_T4_T5_T6_T7_T9_mT8_P12ihipStream_tbDpT10_ENKUlT_T0_E_clISt17integral_constantIbLb0EES1C_EEDaS17_S18_EUlS17_E_NS1_11comp_targetILNS1_3genE2ELNS1_11target_archE906ELNS1_3gpuE6ELNS1_3repE0EEENS1_30default_config_static_selectorELNS0_4arch9wavefront6targetE1EEEvT1_
                                        ; -- End function
	.section	.AMDGPU.csdata,"",@progbits
; Kernel info:
; codeLenInByte = 0
; NumSgprs: 6
; NumVgprs: 0
; NumAgprs: 0
; TotalNumVgprs: 0
; ScratchSize: 0
; MemoryBound: 0
; FloatMode: 240
; IeeeMode: 1
; LDSByteSize: 0 bytes/workgroup (compile time only)
; SGPRBlocks: 0
; VGPRBlocks: 0
; NumSGPRsForWavesPerEU: 6
; NumVGPRsForWavesPerEU: 1
; AccumOffset: 4
; Occupancy: 8
; WaveLimiterHint : 0
; COMPUTE_PGM_RSRC2:SCRATCH_EN: 0
; COMPUTE_PGM_RSRC2:USER_SGPR: 2
; COMPUTE_PGM_RSRC2:TRAP_HANDLER: 0
; COMPUTE_PGM_RSRC2:TGID_X_EN: 1
; COMPUTE_PGM_RSRC2:TGID_Y_EN: 0
; COMPUTE_PGM_RSRC2:TGID_Z_EN: 0
; COMPUTE_PGM_RSRC2:TIDIG_COMP_CNT: 0
; COMPUTE_PGM_RSRC3_GFX90A:ACCUM_OFFSET: 0
; COMPUTE_PGM_RSRC3_GFX90A:TG_SPLIT: 0
	.section	.text._ZN7rocprim17ROCPRIM_400000_NS6detail17trampoline_kernelINS0_14default_configENS1_25partition_config_selectorILNS1_17partition_subalgoE8ElNS0_10empty_typeEbEEZZNS1_14partition_implILS5_8ELb0ES3_jPlPS6_PKS6_NS0_5tupleIJS9_S6_EEENSD_IJSA_SA_EEENS0_18inequality_wrapperIZN2at6native12_GLOBAL__N_124unique_dim_cuda_templateIbEESt5tupleIJNSH_6TensorESM_SM_EERKSM_lbbbEUlllE0_EEPmJS6_EEE10hipError_tPvRmT3_T4_T5_T6_T7_T9_mT8_P12ihipStream_tbDpT10_ENKUlT_T0_E_clISt17integral_constantIbLb0EES1C_EEDaS17_S18_EUlS17_E_NS1_11comp_targetILNS1_3genE10ELNS1_11target_archE1200ELNS1_3gpuE4ELNS1_3repE0EEENS1_30default_config_static_selectorELNS0_4arch9wavefront6targetE1EEEvT1_,"axG",@progbits,_ZN7rocprim17ROCPRIM_400000_NS6detail17trampoline_kernelINS0_14default_configENS1_25partition_config_selectorILNS1_17partition_subalgoE8ElNS0_10empty_typeEbEEZZNS1_14partition_implILS5_8ELb0ES3_jPlPS6_PKS6_NS0_5tupleIJS9_S6_EEENSD_IJSA_SA_EEENS0_18inequality_wrapperIZN2at6native12_GLOBAL__N_124unique_dim_cuda_templateIbEESt5tupleIJNSH_6TensorESM_SM_EERKSM_lbbbEUlllE0_EEPmJS6_EEE10hipError_tPvRmT3_T4_T5_T6_T7_T9_mT8_P12ihipStream_tbDpT10_ENKUlT_T0_E_clISt17integral_constantIbLb0EES1C_EEDaS17_S18_EUlS17_E_NS1_11comp_targetILNS1_3genE10ELNS1_11target_archE1200ELNS1_3gpuE4ELNS1_3repE0EEENS1_30default_config_static_selectorELNS0_4arch9wavefront6targetE1EEEvT1_,comdat
	.globl	_ZN7rocprim17ROCPRIM_400000_NS6detail17trampoline_kernelINS0_14default_configENS1_25partition_config_selectorILNS1_17partition_subalgoE8ElNS0_10empty_typeEbEEZZNS1_14partition_implILS5_8ELb0ES3_jPlPS6_PKS6_NS0_5tupleIJS9_S6_EEENSD_IJSA_SA_EEENS0_18inequality_wrapperIZN2at6native12_GLOBAL__N_124unique_dim_cuda_templateIbEESt5tupleIJNSH_6TensorESM_SM_EERKSM_lbbbEUlllE0_EEPmJS6_EEE10hipError_tPvRmT3_T4_T5_T6_T7_T9_mT8_P12ihipStream_tbDpT10_ENKUlT_T0_E_clISt17integral_constantIbLb0EES1C_EEDaS17_S18_EUlS17_E_NS1_11comp_targetILNS1_3genE10ELNS1_11target_archE1200ELNS1_3gpuE4ELNS1_3repE0EEENS1_30default_config_static_selectorELNS0_4arch9wavefront6targetE1EEEvT1_ ; -- Begin function _ZN7rocprim17ROCPRIM_400000_NS6detail17trampoline_kernelINS0_14default_configENS1_25partition_config_selectorILNS1_17partition_subalgoE8ElNS0_10empty_typeEbEEZZNS1_14partition_implILS5_8ELb0ES3_jPlPS6_PKS6_NS0_5tupleIJS9_S6_EEENSD_IJSA_SA_EEENS0_18inequality_wrapperIZN2at6native12_GLOBAL__N_124unique_dim_cuda_templateIbEESt5tupleIJNSH_6TensorESM_SM_EERKSM_lbbbEUlllE0_EEPmJS6_EEE10hipError_tPvRmT3_T4_T5_T6_T7_T9_mT8_P12ihipStream_tbDpT10_ENKUlT_T0_E_clISt17integral_constantIbLb0EES1C_EEDaS17_S18_EUlS17_E_NS1_11comp_targetILNS1_3genE10ELNS1_11target_archE1200ELNS1_3gpuE4ELNS1_3repE0EEENS1_30default_config_static_selectorELNS0_4arch9wavefront6targetE1EEEvT1_
	.p2align	8
	.type	_ZN7rocprim17ROCPRIM_400000_NS6detail17trampoline_kernelINS0_14default_configENS1_25partition_config_selectorILNS1_17partition_subalgoE8ElNS0_10empty_typeEbEEZZNS1_14partition_implILS5_8ELb0ES3_jPlPS6_PKS6_NS0_5tupleIJS9_S6_EEENSD_IJSA_SA_EEENS0_18inequality_wrapperIZN2at6native12_GLOBAL__N_124unique_dim_cuda_templateIbEESt5tupleIJNSH_6TensorESM_SM_EERKSM_lbbbEUlllE0_EEPmJS6_EEE10hipError_tPvRmT3_T4_T5_T6_T7_T9_mT8_P12ihipStream_tbDpT10_ENKUlT_T0_E_clISt17integral_constantIbLb0EES1C_EEDaS17_S18_EUlS17_E_NS1_11comp_targetILNS1_3genE10ELNS1_11target_archE1200ELNS1_3gpuE4ELNS1_3repE0EEENS1_30default_config_static_selectorELNS0_4arch9wavefront6targetE1EEEvT1_,@function
_ZN7rocprim17ROCPRIM_400000_NS6detail17trampoline_kernelINS0_14default_configENS1_25partition_config_selectorILNS1_17partition_subalgoE8ElNS0_10empty_typeEbEEZZNS1_14partition_implILS5_8ELb0ES3_jPlPS6_PKS6_NS0_5tupleIJS9_S6_EEENSD_IJSA_SA_EEENS0_18inequality_wrapperIZN2at6native12_GLOBAL__N_124unique_dim_cuda_templateIbEESt5tupleIJNSH_6TensorESM_SM_EERKSM_lbbbEUlllE0_EEPmJS6_EEE10hipError_tPvRmT3_T4_T5_T6_T7_T9_mT8_P12ihipStream_tbDpT10_ENKUlT_T0_E_clISt17integral_constantIbLb0EES1C_EEDaS17_S18_EUlS17_E_NS1_11comp_targetILNS1_3genE10ELNS1_11target_archE1200ELNS1_3gpuE4ELNS1_3repE0EEENS1_30default_config_static_selectorELNS0_4arch9wavefront6targetE1EEEvT1_: ; @_ZN7rocprim17ROCPRIM_400000_NS6detail17trampoline_kernelINS0_14default_configENS1_25partition_config_selectorILNS1_17partition_subalgoE8ElNS0_10empty_typeEbEEZZNS1_14partition_implILS5_8ELb0ES3_jPlPS6_PKS6_NS0_5tupleIJS9_S6_EEENSD_IJSA_SA_EEENS0_18inequality_wrapperIZN2at6native12_GLOBAL__N_124unique_dim_cuda_templateIbEESt5tupleIJNSH_6TensorESM_SM_EERKSM_lbbbEUlllE0_EEPmJS6_EEE10hipError_tPvRmT3_T4_T5_T6_T7_T9_mT8_P12ihipStream_tbDpT10_ENKUlT_T0_E_clISt17integral_constantIbLb0EES1C_EEDaS17_S18_EUlS17_E_NS1_11comp_targetILNS1_3genE10ELNS1_11target_archE1200ELNS1_3gpuE4ELNS1_3repE0EEENS1_30default_config_static_selectorELNS0_4arch9wavefront6targetE1EEEvT1_
; %bb.0:
	.section	.rodata,"a",@progbits
	.p2align	6, 0x0
	.amdhsa_kernel _ZN7rocprim17ROCPRIM_400000_NS6detail17trampoline_kernelINS0_14default_configENS1_25partition_config_selectorILNS1_17partition_subalgoE8ElNS0_10empty_typeEbEEZZNS1_14partition_implILS5_8ELb0ES3_jPlPS6_PKS6_NS0_5tupleIJS9_S6_EEENSD_IJSA_SA_EEENS0_18inequality_wrapperIZN2at6native12_GLOBAL__N_124unique_dim_cuda_templateIbEESt5tupleIJNSH_6TensorESM_SM_EERKSM_lbbbEUlllE0_EEPmJS6_EEE10hipError_tPvRmT3_T4_T5_T6_T7_T9_mT8_P12ihipStream_tbDpT10_ENKUlT_T0_E_clISt17integral_constantIbLb0EES1C_EEDaS17_S18_EUlS17_E_NS1_11comp_targetILNS1_3genE10ELNS1_11target_archE1200ELNS1_3gpuE4ELNS1_3repE0EEENS1_30default_config_static_selectorELNS0_4arch9wavefront6targetE1EEEvT1_
		.amdhsa_group_segment_fixed_size 0
		.amdhsa_private_segment_fixed_size 0
		.amdhsa_kernarg_size 120
		.amdhsa_user_sgpr_count 2
		.amdhsa_user_sgpr_dispatch_ptr 0
		.amdhsa_user_sgpr_queue_ptr 0
		.amdhsa_user_sgpr_kernarg_segment_ptr 1
		.amdhsa_user_sgpr_dispatch_id 0
		.amdhsa_user_sgpr_kernarg_preload_length 0
		.amdhsa_user_sgpr_kernarg_preload_offset 0
		.amdhsa_user_sgpr_private_segment_size 0
		.amdhsa_uses_dynamic_stack 0
		.amdhsa_enable_private_segment 0
		.amdhsa_system_sgpr_workgroup_id_x 1
		.amdhsa_system_sgpr_workgroup_id_y 0
		.amdhsa_system_sgpr_workgroup_id_z 0
		.amdhsa_system_sgpr_workgroup_info 0
		.amdhsa_system_vgpr_workitem_id 0
		.amdhsa_next_free_vgpr 1
		.amdhsa_next_free_sgpr 0
		.amdhsa_accum_offset 4
		.amdhsa_reserve_vcc 0
		.amdhsa_float_round_mode_32 0
		.amdhsa_float_round_mode_16_64 0
		.amdhsa_float_denorm_mode_32 3
		.amdhsa_float_denorm_mode_16_64 3
		.amdhsa_dx10_clamp 1
		.amdhsa_ieee_mode 1
		.amdhsa_fp16_overflow 0
		.amdhsa_tg_split 0
		.amdhsa_exception_fp_ieee_invalid_op 0
		.amdhsa_exception_fp_denorm_src 0
		.amdhsa_exception_fp_ieee_div_zero 0
		.amdhsa_exception_fp_ieee_overflow 0
		.amdhsa_exception_fp_ieee_underflow 0
		.amdhsa_exception_fp_ieee_inexact 0
		.amdhsa_exception_int_div_zero 0
	.end_amdhsa_kernel
	.section	.text._ZN7rocprim17ROCPRIM_400000_NS6detail17trampoline_kernelINS0_14default_configENS1_25partition_config_selectorILNS1_17partition_subalgoE8ElNS0_10empty_typeEbEEZZNS1_14partition_implILS5_8ELb0ES3_jPlPS6_PKS6_NS0_5tupleIJS9_S6_EEENSD_IJSA_SA_EEENS0_18inequality_wrapperIZN2at6native12_GLOBAL__N_124unique_dim_cuda_templateIbEESt5tupleIJNSH_6TensorESM_SM_EERKSM_lbbbEUlllE0_EEPmJS6_EEE10hipError_tPvRmT3_T4_T5_T6_T7_T9_mT8_P12ihipStream_tbDpT10_ENKUlT_T0_E_clISt17integral_constantIbLb0EES1C_EEDaS17_S18_EUlS17_E_NS1_11comp_targetILNS1_3genE10ELNS1_11target_archE1200ELNS1_3gpuE4ELNS1_3repE0EEENS1_30default_config_static_selectorELNS0_4arch9wavefront6targetE1EEEvT1_,"axG",@progbits,_ZN7rocprim17ROCPRIM_400000_NS6detail17trampoline_kernelINS0_14default_configENS1_25partition_config_selectorILNS1_17partition_subalgoE8ElNS0_10empty_typeEbEEZZNS1_14partition_implILS5_8ELb0ES3_jPlPS6_PKS6_NS0_5tupleIJS9_S6_EEENSD_IJSA_SA_EEENS0_18inequality_wrapperIZN2at6native12_GLOBAL__N_124unique_dim_cuda_templateIbEESt5tupleIJNSH_6TensorESM_SM_EERKSM_lbbbEUlllE0_EEPmJS6_EEE10hipError_tPvRmT3_T4_T5_T6_T7_T9_mT8_P12ihipStream_tbDpT10_ENKUlT_T0_E_clISt17integral_constantIbLb0EES1C_EEDaS17_S18_EUlS17_E_NS1_11comp_targetILNS1_3genE10ELNS1_11target_archE1200ELNS1_3gpuE4ELNS1_3repE0EEENS1_30default_config_static_selectorELNS0_4arch9wavefront6targetE1EEEvT1_,comdat
.Lfunc_end1064:
	.size	_ZN7rocprim17ROCPRIM_400000_NS6detail17trampoline_kernelINS0_14default_configENS1_25partition_config_selectorILNS1_17partition_subalgoE8ElNS0_10empty_typeEbEEZZNS1_14partition_implILS5_8ELb0ES3_jPlPS6_PKS6_NS0_5tupleIJS9_S6_EEENSD_IJSA_SA_EEENS0_18inequality_wrapperIZN2at6native12_GLOBAL__N_124unique_dim_cuda_templateIbEESt5tupleIJNSH_6TensorESM_SM_EERKSM_lbbbEUlllE0_EEPmJS6_EEE10hipError_tPvRmT3_T4_T5_T6_T7_T9_mT8_P12ihipStream_tbDpT10_ENKUlT_T0_E_clISt17integral_constantIbLb0EES1C_EEDaS17_S18_EUlS17_E_NS1_11comp_targetILNS1_3genE10ELNS1_11target_archE1200ELNS1_3gpuE4ELNS1_3repE0EEENS1_30default_config_static_selectorELNS0_4arch9wavefront6targetE1EEEvT1_, .Lfunc_end1064-_ZN7rocprim17ROCPRIM_400000_NS6detail17trampoline_kernelINS0_14default_configENS1_25partition_config_selectorILNS1_17partition_subalgoE8ElNS0_10empty_typeEbEEZZNS1_14partition_implILS5_8ELb0ES3_jPlPS6_PKS6_NS0_5tupleIJS9_S6_EEENSD_IJSA_SA_EEENS0_18inequality_wrapperIZN2at6native12_GLOBAL__N_124unique_dim_cuda_templateIbEESt5tupleIJNSH_6TensorESM_SM_EERKSM_lbbbEUlllE0_EEPmJS6_EEE10hipError_tPvRmT3_T4_T5_T6_T7_T9_mT8_P12ihipStream_tbDpT10_ENKUlT_T0_E_clISt17integral_constantIbLb0EES1C_EEDaS17_S18_EUlS17_E_NS1_11comp_targetILNS1_3genE10ELNS1_11target_archE1200ELNS1_3gpuE4ELNS1_3repE0EEENS1_30default_config_static_selectorELNS0_4arch9wavefront6targetE1EEEvT1_
                                        ; -- End function
	.section	.AMDGPU.csdata,"",@progbits
; Kernel info:
; codeLenInByte = 0
; NumSgprs: 6
; NumVgprs: 0
; NumAgprs: 0
; TotalNumVgprs: 0
; ScratchSize: 0
; MemoryBound: 0
; FloatMode: 240
; IeeeMode: 1
; LDSByteSize: 0 bytes/workgroup (compile time only)
; SGPRBlocks: 0
; VGPRBlocks: 0
; NumSGPRsForWavesPerEU: 6
; NumVGPRsForWavesPerEU: 1
; AccumOffset: 4
; Occupancy: 8
; WaveLimiterHint : 0
; COMPUTE_PGM_RSRC2:SCRATCH_EN: 0
; COMPUTE_PGM_RSRC2:USER_SGPR: 2
; COMPUTE_PGM_RSRC2:TRAP_HANDLER: 0
; COMPUTE_PGM_RSRC2:TGID_X_EN: 1
; COMPUTE_PGM_RSRC2:TGID_Y_EN: 0
; COMPUTE_PGM_RSRC2:TGID_Z_EN: 0
; COMPUTE_PGM_RSRC2:TIDIG_COMP_CNT: 0
; COMPUTE_PGM_RSRC3_GFX90A:ACCUM_OFFSET: 0
; COMPUTE_PGM_RSRC3_GFX90A:TG_SPLIT: 0
	.section	.text._ZN7rocprim17ROCPRIM_400000_NS6detail17trampoline_kernelINS0_14default_configENS1_25partition_config_selectorILNS1_17partition_subalgoE8ElNS0_10empty_typeEbEEZZNS1_14partition_implILS5_8ELb0ES3_jPlPS6_PKS6_NS0_5tupleIJS9_S6_EEENSD_IJSA_SA_EEENS0_18inequality_wrapperIZN2at6native12_GLOBAL__N_124unique_dim_cuda_templateIbEESt5tupleIJNSH_6TensorESM_SM_EERKSM_lbbbEUlllE0_EEPmJS6_EEE10hipError_tPvRmT3_T4_T5_T6_T7_T9_mT8_P12ihipStream_tbDpT10_ENKUlT_T0_E_clISt17integral_constantIbLb0EES1C_EEDaS17_S18_EUlS17_E_NS1_11comp_targetILNS1_3genE9ELNS1_11target_archE1100ELNS1_3gpuE3ELNS1_3repE0EEENS1_30default_config_static_selectorELNS0_4arch9wavefront6targetE1EEEvT1_,"axG",@progbits,_ZN7rocprim17ROCPRIM_400000_NS6detail17trampoline_kernelINS0_14default_configENS1_25partition_config_selectorILNS1_17partition_subalgoE8ElNS0_10empty_typeEbEEZZNS1_14partition_implILS5_8ELb0ES3_jPlPS6_PKS6_NS0_5tupleIJS9_S6_EEENSD_IJSA_SA_EEENS0_18inequality_wrapperIZN2at6native12_GLOBAL__N_124unique_dim_cuda_templateIbEESt5tupleIJNSH_6TensorESM_SM_EERKSM_lbbbEUlllE0_EEPmJS6_EEE10hipError_tPvRmT3_T4_T5_T6_T7_T9_mT8_P12ihipStream_tbDpT10_ENKUlT_T0_E_clISt17integral_constantIbLb0EES1C_EEDaS17_S18_EUlS17_E_NS1_11comp_targetILNS1_3genE9ELNS1_11target_archE1100ELNS1_3gpuE3ELNS1_3repE0EEENS1_30default_config_static_selectorELNS0_4arch9wavefront6targetE1EEEvT1_,comdat
	.globl	_ZN7rocprim17ROCPRIM_400000_NS6detail17trampoline_kernelINS0_14default_configENS1_25partition_config_selectorILNS1_17partition_subalgoE8ElNS0_10empty_typeEbEEZZNS1_14partition_implILS5_8ELb0ES3_jPlPS6_PKS6_NS0_5tupleIJS9_S6_EEENSD_IJSA_SA_EEENS0_18inequality_wrapperIZN2at6native12_GLOBAL__N_124unique_dim_cuda_templateIbEESt5tupleIJNSH_6TensorESM_SM_EERKSM_lbbbEUlllE0_EEPmJS6_EEE10hipError_tPvRmT3_T4_T5_T6_T7_T9_mT8_P12ihipStream_tbDpT10_ENKUlT_T0_E_clISt17integral_constantIbLb0EES1C_EEDaS17_S18_EUlS17_E_NS1_11comp_targetILNS1_3genE9ELNS1_11target_archE1100ELNS1_3gpuE3ELNS1_3repE0EEENS1_30default_config_static_selectorELNS0_4arch9wavefront6targetE1EEEvT1_ ; -- Begin function _ZN7rocprim17ROCPRIM_400000_NS6detail17trampoline_kernelINS0_14default_configENS1_25partition_config_selectorILNS1_17partition_subalgoE8ElNS0_10empty_typeEbEEZZNS1_14partition_implILS5_8ELb0ES3_jPlPS6_PKS6_NS0_5tupleIJS9_S6_EEENSD_IJSA_SA_EEENS0_18inequality_wrapperIZN2at6native12_GLOBAL__N_124unique_dim_cuda_templateIbEESt5tupleIJNSH_6TensorESM_SM_EERKSM_lbbbEUlllE0_EEPmJS6_EEE10hipError_tPvRmT3_T4_T5_T6_T7_T9_mT8_P12ihipStream_tbDpT10_ENKUlT_T0_E_clISt17integral_constantIbLb0EES1C_EEDaS17_S18_EUlS17_E_NS1_11comp_targetILNS1_3genE9ELNS1_11target_archE1100ELNS1_3gpuE3ELNS1_3repE0EEENS1_30default_config_static_selectorELNS0_4arch9wavefront6targetE1EEEvT1_
	.p2align	8
	.type	_ZN7rocprim17ROCPRIM_400000_NS6detail17trampoline_kernelINS0_14default_configENS1_25partition_config_selectorILNS1_17partition_subalgoE8ElNS0_10empty_typeEbEEZZNS1_14partition_implILS5_8ELb0ES3_jPlPS6_PKS6_NS0_5tupleIJS9_S6_EEENSD_IJSA_SA_EEENS0_18inequality_wrapperIZN2at6native12_GLOBAL__N_124unique_dim_cuda_templateIbEESt5tupleIJNSH_6TensorESM_SM_EERKSM_lbbbEUlllE0_EEPmJS6_EEE10hipError_tPvRmT3_T4_T5_T6_T7_T9_mT8_P12ihipStream_tbDpT10_ENKUlT_T0_E_clISt17integral_constantIbLb0EES1C_EEDaS17_S18_EUlS17_E_NS1_11comp_targetILNS1_3genE9ELNS1_11target_archE1100ELNS1_3gpuE3ELNS1_3repE0EEENS1_30default_config_static_selectorELNS0_4arch9wavefront6targetE1EEEvT1_,@function
_ZN7rocprim17ROCPRIM_400000_NS6detail17trampoline_kernelINS0_14default_configENS1_25partition_config_selectorILNS1_17partition_subalgoE8ElNS0_10empty_typeEbEEZZNS1_14partition_implILS5_8ELb0ES3_jPlPS6_PKS6_NS0_5tupleIJS9_S6_EEENSD_IJSA_SA_EEENS0_18inequality_wrapperIZN2at6native12_GLOBAL__N_124unique_dim_cuda_templateIbEESt5tupleIJNSH_6TensorESM_SM_EERKSM_lbbbEUlllE0_EEPmJS6_EEE10hipError_tPvRmT3_T4_T5_T6_T7_T9_mT8_P12ihipStream_tbDpT10_ENKUlT_T0_E_clISt17integral_constantIbLb0EES1C_EEDaS17_S18_EUlS17_E_NS1_11comp_targetILNS1_3genE9ELNS1_11target_archE1100ELNS1_3gpuE3ELNS1_3repE0EEENS1_30default_config_static_selectorELNS0_4arch9wavefront6targetE1EEEvT1_: ; @_ZN7rocprim17ROCPRIM_400000_NS6detail17trampoline_kernelINS0_14default_configENS1_25partition_config_selectorILNS1_17partition_subalgoE8ElNS0_10empty_typeEbEEZZNS1_14partition_implILS5_8ELb0ES3_jPlPS6_PKS6_NS0_5tupleIJS9_S6_EEENSD_IJSA_SA_EEENS0_18inequality_wrapperIZN2at6native12_GLOBAL__N_124unique_dim_cuda_templateIbEESt5tupleIJNSH_6TensorESM_SM_EERKSM_lbbbEUlllE0_EEPmJS6_EEE10hipError_tPvRmT3_T4_T5_T6_T7_T9_mT8_P12ihipStream_tbDpT10_ENKUlT_T0_E_clISt17integral_constantIbLb0EES1C_EEDaS17_S18_EUlS17_E_NS1_11comp_targetILNS1_3genE9ELNS1_11target_archE1100ELNS1_3gpuE3ELNS1_3repE0EEENS1_30default_config_static_selectorELNS0_4arch9wavefront6targetE1EEEvT1_
; %bb.0:
	.section	.rodata,"a",@progbits
	.p2align	6, 0x0
	.amdhsa_kernel _ZN7rocprim17ROCPRIM_400000_NS6detail17trampoline_kernelINS0_14default_configENS1_25partition_config_selectorILNS1_17partition_subalgoE8ElNS0_10empty_typeEbEEZZNS1_14partition_implILS5_8ELb0ES3_jPlPS6_PKS6_NS0_5tupleIJS9_S6_EEENSD_IJSA_SA_EEENS0_18inequality_wrapperIZN2at6native12_GLOBAL__N_124unique_dim_cuda_templateIbEESt5tupleIJNSH_6TensorESM_SM_EERKSM_lbbbEUlllE0_EEPmJS6_EEE10hipError_tPvRmT3_T4_T5_T6_T7_T9_mT8_P12ihipStream_tbDpT10_ENKUlT_T0_E_clISt17integral_constantIbLb0EES1C_EEDaS17_S18_EUlS17_E_NS1_11comp_targetILNS1_3genE9ELNS1_11target_archE1100ELNS1_3gpuE3ELNS1_3repE0EEENS1_30default_config_static_selectorELNS0_4arch9wavefront6targetE1EEEvT1_
		.amdhsa_group_segment_fixed_size 0
		.amdhsa_private_segment_fixed_size 0
		.amdhsa_kernarg_size 120
		.amdhsa_user_sgpr_count 2
		.amdhsa_user_sgpr_dispatch_ptr 0
		.amdhsa_user_sgpr_queue_ptr 0
		.amdhsa_user_sgpr_kernarg_segment_ptr 1
		.amdhsa_user_sgpr_dispatch_id 0
		.amdhsa_user_sgpr_kernarg_preload_length 0
		.amdhsa_user_sgpr_kernarg_preload_offset 0
		.amdhsa_user_sgpr_private_segment_size 0
		.amdhsa_uses_dynamic_stack 0
		.amdhsa_enable_private_segment 0
		.amdhsa_system_sgpr_workgroup_id_x 1
		.amdhsa_system_sgpr_workgroup_id_y 0
		.amdhsa_system_sgpr_workgroup_id_z 0
		.amdhsa_system_sgpr_workgroup_info 0
		.amdhsa_system_vgpr_workitem_id 0
		.amdhsa_next_free_vgpr 1
		.amdhsa_next_free_sgpr 0
		.amdhsa_accum_offset 4
		.amdhsa_reserve_vcc 0
		.amdhsa_float_round_mode_32 0
		.amdhsa_float_round_mode_16_64 0
		.amdhsa_float_denorm_mode_32 3
		.amdhsa_float_denorm_mode_16_64 3
		.amdhsa_dx10_clamp 1
		.amdhsa_ieee_mode 1
		.amdhsa_fp16_overflow 0
		.amdhsa_tg_split 0
		.amdhsa_exception_fp_ieee_invalid_op 0
		.amdhsa_exception_fp_denorm_src 0
		.amdhsa_exception_fp_ieee_div_zero 0
		.amdhsa_exception_fp_ieee_overflow 0
		.amdhsa_exception_fp_ieee_underflow 0
		.amdhsa_exception_fp_ieee_inexact 0
		.amdhsa_exception_int_div_zero 0
	.end_amdhsa_kernel
	.section	.text._ZN7rocprim17ROCPRIM_400000_NS6detail17trampoline_kernelINS0_14default_configENS1_25partition_config_selectorILNS1_17partition_subalgoE8ElNS0_10empty_typeEbEEZZNS1_14partition_implILS5_8ELb0ES3_jPlPS6_PKS6_NS0_5tupleIJS9_S6_EEENSD_IJSA_SA_EEENS0_18inequality_wrapperIZN2at6native12_GLOBAL__N_124unique_dim_cuda_templateIbEESt5tupleIJNSH_6TensorESM_SM_EERKSM_lbbbEUlllE0_EEPmJS6_EEE10hipError_tPvRmT3_T4_T5_T6_T7_T9_mT8_P12ihipStream_tbDpT10_ENKUlT_T0_E_clISt17integral_constantIbLb0EES1C_EEDaS17_S18_EUlS17_E_NS1_11comp_targetILNS1_3genE9ELNS1_11target_archE1100ELNS1_3gpuE3ELNS1_3repE0EEENS1_30default_config_static_selectorELNS0_4arch9wavefront6targetE1EEEvT1_,"axG",@progbits,_ZN7rocprim17ROCPRIM_400000_NS6detail17trampoline_kernelINS0_14default_configENS1_25partition_config_selectorILNS1_17partition_subalgoE8ElNS0_10empty_typeEbEEZZNS1_14partition_implILS5_8ELb0ES3_jPlPS6_PKS6_NS0_5tupleIJS9_S6_EEENSD_IJSA_SA_EEENS0_18inequality_wrapperIZN2at6native12_GLOBAL__N_124unique_dim_cuda_templateIbEESt5tupleIJNSH_6TensorESM_SM_EERKSM_lbbbEUlllE0_EEPmJS6_EEE10hipError_tPvRmT3_T4_T5_T6_T7_T9_mT8_P12ihipStream_tbDpT10_ENKUlT_T0_E_clISt17integral_constantIbLb0EES1C_EEDaS17_S18_EUlS17_E_NS1_11comp_targetILNS1_3genE9ELNS1_11target_archE1100ELNS1_3gpuE3ELNS1_3repE0EEENS1_30default_config_static_selectorELNS0_4arch9wavefront6targetE1EEEvT1_,comdat
.Lfunc_end1065:
	.size	_ZN7rocprim17ROCPRIM_400000_NS6detail17trampoline_kernelINS0_14default_configENS1_25partition_config_selectorILNS1_17partition_subalgoE8ElNS0_10empty_typeEbEEZZNS1_14partition_implILS5_8ELb0ES3_jPlPS6_PKS6_NS0_5tupleIJS9_S6_EEENSD_IJSA_SA_EEENS0_18inequality_wrapperIZN2at6native12_GLOBAL__N_124unique_dim_cuda_templateIbEESt5tupleIJNSH_6TensorESM_SM_EERKSM_lbbbEUlllE0_EEPmJS6_EEE10hipError_tPvRmT3_T4_T5_T6_T7_T9_mT8_P12ihipStream_tbDpT10_ENKUlT_T0_E_clISt17integral_constantIbLb0EES1C_EEDaS17_S18_EUlS17_E_NS1_11comp_targetILNS1_3genE9ELNS1_11target_archE1100ELNS1_3gpuE3ELNS1_3repE0EEENS1_30default_config_static_selectorELNS0_4arch9wavefront6targetE1EEEvT1_, .Lfunc_end1065-_ZN7rocprim17ROCPRIM_400000_NS6detail17trampoline_kernelINS0_14default_configENS1_25partition_config_selectorILNS1_17partition_subalgoE8ElNS0_10empty_typeEbEEZZNS1_14partition_implILS5_8ELb0ES3_jPlPS6_PKS6_NS0_5tupleIJS9_S6_EEENSD_IJSA_SA_EEENS0_18inequality_wrapperIZN2at6native12_GLOBAL__N_124unique_dim_cuda_templateIbEESt5tupleIJNSH_6TensorESM_SM_EERKSM_lbbbEUlllE0_EEPmJS6_EEE10hipError_tPvRmT3_T4_T5_T6_T7_T9_mT8_P12ihipStream_tbDpT10_ENKUlT_T0_E_clISt17integral_constantIbLb0EES1C_EEDaS17_S18_EUlS17_E_NS1_11comp_targetILNS1_3genE9ELNS1_11target_archE1100ELNS1_3gpuE3ELNS1_3repE0EEENS1_30default_config_static_selectorELNS0_4arch9wavefront6targetE1EEEvT1_
                                        ; -- End function
	.section	.AMDGPU.csdata,"",@progbits
; Kernel info:
; codeLenInByte = 0
; NumSgprs: 6
; NumVgprs: 0
; NumAgprs: 0
; TotalNumVgprs: 0
; ScratchSize: 0
; MemoryBound: 0
; FloatMode: 240
; IeeeMode: 1
; LDSByteSize: 0 bytes/workgroup (compile time only)
; SGPRBlocks: 0
; VGPRBlocks: 0
; NumSGPRsForWavesPerEU: 6
; NumVGPRsForWavesPerEU: 1
; AccumOffset: 4
; Occupancy: 8
; WaveLimiterHint : 0
; COMPUTE_PGM_RSRC2:SCRATCH_EN: 0
; COMPUTE_PGM_RSRC2:USER_SGPR: 2
; COMPUTE_PGM_RSRC2:TRAP_HANDLER: 0
; COMPUTE_PGM_RSRC2:TGID_X_EN: 1
; COMPUTE_PGM_RSRC2:TGID_Y_EN: 0
; COMPUTE_PGM_RSRC2:TGID_Z_EN: 0
; COMPUTE_PGM_RSRC2:TIDIG_COMP_CNT: 0
; COMPUTE_PGM_RSRC3_GFX90A:ACCUM_OFFSET: 0
; COMPUTE_PGM_RSRC3_GFX90A:TG_SPLIT: 0
	.section	.text._ZN7rocprim17ROCPRIM_400000_NS6detail17trampoline_kernelINS0_14default_configENS1_25partition_config_selectorILNS1_17partition_subalgoE8ElNS0_10empty_typeEbEEZZNS1_14partition_implILS5_8ELb0ES3_jPlPS6_PKS6_NS0_5tupleIJS9_S6_EEENSD_IJSA_SA_EEENS0_18inequality_wrapperIZN2at6native12_GLOBAL__N_124unique_dim_cuda_templateIbEESt5tupleIJNSH_6TensorESM_SM_EERKSM_lbbbEUlllE0_EEPmJS6_EEE10hipError_tPvRmT3_T4_T5_T6_T7_T9_mT8_P12ihipStream_tbDpT10_ENKUlT_T0_E_clISt17integral_constantIbLb0EES1C_EEDaS17_S18_EUlS17_E_NS1_11comp_targetILNS1_3genE8ELNS1_11target_archE1030ELNS1_3gpuE2ELNS1_3repE0EEENS1_30default_config_static_selectorELNS0_4arch9wavefront6targetE1EEEvT1_,"axG",@progbits,_ZN7rocprim17ROCPRIM_400000_NS6detail17trampoline_kernelINS0_14default_configENS1_25partition_config_selectorILNS1_17partition_subalgoE8ElNS0_10empty_typeEbEEZZNS1_14partition_implILS5_8ELb0ES3_jPlPS6_PKS6_NS0_5tupleIJS9_S6_EEENSD_IJSA_SA_EEENS0_18inequality_wrapperIZN2at6native12_GLOBAL__N_124unique_dim_cuda_templateIbEESt5tupleIJNSH_6TensorESM_SM_EERKSM_lbbbEUlllE0_EEPmJS6_EEE10hipError_tPvRmT3_T4_T5_T6_T7_T9_mT8_P12ihipStream_tbDpT10_ENKUlT_T0_E_clISt17integral_constantIbLb0EES1C_EEDaS17_S18_EUlS17_E_NS1_11comp_targetILNS1_3genE8ELNS1_11target_archE1030ELNS1_3gpuE2ELNS1_3repE0EEENS1_30default_config_static_selectorELNS0_4arch9wavefront6targetE1EEEvT1_,comdat
	.globl	_ZN7rocprim17ROCPRIM_400000_NS6detail17trampoline_kernelINS0_14default_configENS1_25partition_config_selectorILNS1_17partition_subalgoE8ElNS0_10empty_typeEbEEZZNS1_14partition_implILS5_8ELb0ES3_jPlPS6_PKS6_NS0_5tupleIJS9_S6_EEENSD_IJSA_SA_EEENS0_18inequality_wrapperIZN2at6native12_GLOBAL__N_124unique_dim_cuda_templateIbEESt5tupleIJNSH_6TensorESM_SM_EERKSM_lbbbEUlllE0_EEPmJS6_EEE10hipError_tPvRmT3_T4_T5_T6_T7_T9_mT8_P12ihipStream_tbDpT10_ENKUlT_T0_E_clISt17integral_constantIbLb0EES1C_EEDaS17_S18_EUlS17_E_NS1_11comp_targetILNS1_3genE8ELNS1_11target_archE1030ELNS1_3gpuE2ELNS1_3repE0EEENS1_30default_config_static_selectorELNS0_4arch9wavefront6targetE1EEEvT1_ ; -- Begin function _ZN7rocprim17ROCPRIM_400000_NS6detail17trampoline_kernelINS0_14default_configENS1_25partition_config_selectorILNS1_17partition_subalgoE8ElNS0_10empty_typeEbEEZZNS1_14partition_implILS5_8ELb0ES3_jPlPS6_PKS6_NS0_5tupleIJS9_S6_EEENSD_IJSA_SA_EEENS0_18inequality_wrapperIZN2at6native12_GLOBAL__N_124unique_dim_cuda_templateIbEESt5tupleIJNSH_6TensorESM_SM_EERKSM_lbbbEUlllE0_EEPmJS6_EEE10hipError_tPvRmT3_T4_T5_T6_T7_T9_mT8_P12ihipStream_tbDpT10_ENKUlT_T0_E_clISt17integral_constantIbLb0EES1C_EEDaS17_S18_EUlS17_E_NS1_11comp_targetILNS1_3genE8ELNS1_11target_archE1030ELNS1_3gpuE2ELNS1_3repE0EEENS1_30default_config_static_selectorELNS0_4arch9wavefront6targetE1EEEvT1_
	.p2align	8
	.type	_ZN7rocprim17ROCPRIM_400000_NS6detail17trampoline_kernelINS0_14default_configENS1_25partition_config_selectorILNS1_17partition_subalgoE8ElNS0_10empty_typeEbEEZZNS1_14partition_implILS5_8ELb0ES3_jPlPS6_PKS6_NS0_5tupleIJS9_S6_EEENSD_IJSA_SA_EEENS0_18inequality_wrapperIZN2at6native12_GLOBAL__N_124unique_dim_cuda_templateIbEESt5tupleIJNSH_6TensorESM_SM_EERKSM_lbbbEUlllE0_EEPmJS6_EEE10hipError_tPvRmT3_T4_T5_T6_T7_T9_mT8_P12ihipStream_tbDpT10_ENKUlT_T0_E_clISt17integral_constantIbLb0EES1C_EEDaS17_S18_EUlS17_E_NS1_11comp_targetILNS1_3genE8ELNS1_11target_archE1030ELNS1_3gpuE2ELNS1_3repE0EEENS1_30default_config_static_selectorELNS0_4arch9wavefront6targetE1EEEvT1_,@function
_ZN7rocprim17ROCPRIM_400000_NS6detail17trampoline_kernelINS0_14default_configENS1_25partition_config_selectorILNS1_17partition_subalgoE8ElNS0_10empty_typeEbEEZZNS1_14partition_implILS5_8ELb0ES3_jPlPS6_PKS6_NS0_5tupleIJS9_S6_EEENSD_IJSA_SA_EEENS0_18inequality_wrapperIZN2at6native12_GLOBAL__N_124unique_dim_cuda_templateIbEESt5tupleIJNSH_6TensorESM_SM_EERKSM_lbbbEUlllE0_EEPmJS6_EEE10hipError_tPvRmT3_T4_T5_T6_T7_T9_mT8_P12ihipStream_tbDpT10_ENKUlT_T0_E_clISt17integral_constantIbLb0EES1C_EEDaS17_S18_EUlS17_E_NS1_11comp_targetILNS1_3genE8ELNS1_11target_archE1030ELNS1_3gpuE2ELNS1_3repE0EEENS1_30default_config_static_selectorELNS0_4arch9wavefront6targetE1EEEvT1_: ; @_ZN7rocprim17ROCPRIM_400000_NS6detail17trampoline_kernelINS0_14default_configENS1_25partition_config_selectorILNS1_17partition_subalgoE8ElNS0_10empty_typeEbEEZZNS1_14partition_implILS5_8ELb0ES3_jPlPS6_PKS6_NS0_5tupleIJS9_S6_EEENSD_IJSA_SA_EEENS0_18inequality_wrapperIZN2at6native12_GLOBAL__N_124unique_dim_cuda_templateIbEESt5tupleIJNSH_6TensorESM_SM_EERKSM_lbbbEUlllE0_EEPmJS6_EEE10hipError_tPvRmT3_T4_T5_T6_T7_T9_mT8_P12ihipStream_tbDpT10_ENKUlT_T0_E_clISt17integral_constantIbLb0EES1C_EEDaS17_S18_EUlS17_E_NS1_11comp_targetILNS1_3genE8ELNS1_11target_archE1030ELNS1_3gpuE2ELNS1_3repE0EEENS1_30default_config_static_selectorELNS0_4arch9wavefront6targetE1EEEvT1_
; %bb.0:
	.section	.rodata,"a",@progbits
	.p2align	6, 0x0
	.amdhsa_kernel _ZN7rocprim17ROCPRIM_400000_NS6detail17trampoline_kernelINS0_14default_configENS1_25partition_config_selectorILNS1_17partition_subalgoE8ElNS0_10empty_typeEbEEZZNS1_14partition_implILS5_8ELb0ES3_jPlPS6_PKS6_NS0_5tupleIJS9_S6_EEENSD_IJSA_SA_EEENS0_18inequality_wrapperIZN2at6native12_GLOBAL__N_124unique_dim_cuda_templateIbEESt5tupleIJNSH_6TensorESM_SM_EERKSM_lbbbEUlllE0_EEPmJS6_EEE10hipError_tPvRmT3_T4_T5_T6_T7_T9_mT8_P12ihipStream_tbDpT10_ENKUlT_T0_E_clISt17integral_constantIbLb0EES1C_EEDaS17_S18_EUlS17_E_NS1_11comp_targetILNS1_3genE8ELNS1_11target_archE1030ELNS1_3gpuE2ELNS1_3repE0EEENS1_30default_config_static_selectorELNS0_4arch9wavefront6targetE1EEEvT1_
		.amdhsa_group_segment_fixed_size 0
		.amdhsa_private_segment_fixed_size 0
		.amdhsa_kernarg_size 120
		.amdhsa_user_sgpr_count 2
		.amdhsa_user_sgpr_dispatch_ptr 0
		.amdhsa_user_sgpr_queue_ptr 0
		.amdhsa_user_sgpr_kernarg_segment_ptr 1
		.amdhsa_user_sgpr_dispatch_id 0
		.amdhsa_user_sgpr_kernarg_preload_length 0
		.amdhsa_user_sgpr_kernarg_preload_offset 0
		.amdhsa_user_sgpr_private_segment_size 0
		.amdhsa_uses_dynamic_stack 0
		.amdhsa_enable_private_segment 0
		.amdhsa_system_sgpr_workgroup_id_x 1
		.amdhsa_system_sgpr_workgroup_id_y 0
		.amdhsa_system_sgpr_workgroup_id_z 0
		.amdhsa_system_sgpr_workgroup_info 0
		.amdhsa_system_vgpr_workitem_id 0
		.amdhsa_next_free_vgpr 1
		.amdhsa_next_free_sgpr 0
		.amdhsa_accum_offset 4
		.amdhsa_reserve_vcc 0
		.amdhsa_float_round_mode_32 0
		.amdhsa_float_round_mode_16_64 0
		.amdhsa_float_denorm_mode_32 3
		.amdhsa_float_denorm_mode_16_64 3
		.amdhsa_dx10_clamp 1
		.amdhsa_ieee_mode 1
		.amdhsa_fp16_overflow 0
		.amdhsa_tg_split 0
		.amdhsa_exception_fp_ieee_invalid_op 0
		.amdhsa_exception_fp_denorm_src 0
		.amdhsa_exception_fp_ieee_div_zero 0
		.amdhsa_exception_fp_ieee_overflow 0
		.amdhsa_exception_fp_ieee_underflow 0
		.amdhsa_exception_fp_ieee_inexact 0
		.amdhsa_exception_int_div_zero 0
	.end_amdhsa_kernel
	.section	.text._ZN7rocprim17ROCPRIM_400000_NS6detail17trampoline_kernelINS0_14default_configENS1_25partition_config_selectorILNS1_17partition_subalgoE8ElNS0_10empty_typeEbEEZZNS1_14partition_implILS5_8ELb0ES3_jPlPS6_PKS6_NS0_5tupleIJS9_S6_EEENSD_IJSA_SA_EEENS0_18inequality_wrapperIZN2at6native12_GLOBAL__N_124unique_dim_cuda_templateIbEESt5tupleIJNSH_6TensorESM_SM_EERKSM_lbbbEUlllE0_EEPmJS6_EEE10hipError_tPvRmT3_T4_T5_T6_T7_T9_mT8_P12ihipStream_tbDpT10_ENKUlT_T0_E_clISt17integral_constantIbLb0EES1C_EEDaS17_S18_EUlS17_E_NS1_11comp_targetILNS1_3genE8ELNS1_11target_archE1030ELNS1_3gpuE2ELNS1_3repE0EEENS1_30default_config_static_selectorELNS0_4arch9wavefront6targetE1EEEvT1_,"axG",@progbits,_ZN7rocprim17ROCPRIM_400000_NS6detail17trampoline_kernelINS0_14default_configENS1_25partition_config_selectorILNS1_17partition_subalgoE8ElNS0_10empty_typeEbEEZZNS1_14partition_implILS5_8ELb0ES3_jPlPS6_PKS6_NS0_5tupleIJS9_S6_EEENSD_IJSA_SA_EEENS0_18inequality_wrapperIZN2at6native12_GLOBAL__N_124unique_dim_cuda_templateIbEESt5tupleIJNSH_6TensorESM_SM_EERKSM_lbbbEUlllE0_EEPmJS6_EEE10hipError_tPvRmT3_T4_T5_T6_T7_T9_mT8_P12ihipStream_tbDpT10_ENKUlT_T0_E_clISt17integral_constantIbLb0EES1C_EEDaS17_S18_EUlS17_E_NS1_11comp_targetILNS1_3genE8ELNS1_11target_archE1030ELNS1_3gpuE2ELNS1_3repE0EEENS1_30default_config_static_selectorELNS0_4arch9wavefront6targetE1EEEvT1_,comdat
.Lfunc_end1066:
	.size	_ZN7rocprim17ROCPRIM_400000_NS6detail17trampoline_kernelINS0_14default_configENS1_25partition_config_selectorILNS1_17partition_subalgoE8ElNS0_10empty_typeEbEEZZNS1_14partition_implILS5_8ELb0ES3_jPlPS6_PKS6_NS0_5tupleIJS9_S6_EEENSD_IJSA_SA_EEENS0_18inequality_wrapperIZN2at6native12_GLOBAL__N_124unique_dim_cuda_templateIbEESt5tupleIJNSH_6TensorESM_SM_EERKSM_lbbbEUlllE0_EEPmJS6_EEE10hipError_tPvRmT3_T4_T5_T6_T7_T9_mT8_P12ihipStream_tbDpT10_ENKUlT_T0_E_clISt17integral_constantIbLb0EES1C_EEDaS17_S18_EUlS17_E_NS1_11comp_targetILNS1_3genE8ELNS1_11target_archE1030ELNS1_3gpuE2ELNS1_3repE0EEENS1_30default_config_static_selectorELNS0_4arch9wavefront6targetE1EEEvT1_, .Lfunc_end1066-_ZN7rocprim17ROCPRIM_400000_NS6detail17trampoline_kernelINS0_14default_configENS1_25partition_config_selectorILNS1_17partition_subalgoE8ElNS0_10empty_typeEbEEZZNS1_14partition_implILS5_8ELb0ES3_jPlPS6_PKS6_NS0_5tupleIJS9_S6_EEENSD_IJSA_SA_EEENS0_18inequality_wrapperIZN2at6native12_GLOBAL__N_124unique_dim_cuda_templateIbEESt5tupleIJNSH_6TensorESM_SM_EERKSM_lbbbEUlllE0_EEPmJS6_EEE10hipError_tPvRmT3_T4_T5_T6_T7_T9_mT8_P12ihipStream_tbDpT10_ENKUlT_T0_E_clISt17integral_constantIbLb0EES1C_EEDaS17_S18_EUlS17_E_NS1_11comp_targetILNS1_3genE8ELNS1_11target_archE1030ELNS1_3gpuE2ELNS1_3repE0EEENS1_30default_config_static_selectorELNS0_4arch9wavefront6targetE1EEEvT1_
                                        ; -- End function
	.section	.AMDGPU.csdata,"",@progbits
; Kernel info:
; codeLenInByte = 0
; NumSgprs: 6
; NumVgprs: 0
; NumAgprs: 0
; TotalNumVgprs: 0
; ScratchSize: 0
; MemoryBound: 0
; FloatMode: 240
; IeeeMode: 1
; LDSByteSize: 0 bytes/workgroup (compile time only)
; SGPRBlocks: 0
; VGPRBlocks: 0
; NumSGPRsForWavesPerEU: 6
; NumVGPRsForWavesPerEU: 1
; AccumOffset: 4
; Occupancy: 8
; WaveLimiterHint : 0
; COMPUTE_PGM_RSRC2:SCRATCH_EN: 0
; COMPUTE_PGM_RSRC2:USER_SGPR: 2
; COMPUTE_PGM_RSRC2:TRAP_HANDLER: 0
; COMPUTE_PGM_RSRC2:TGID_X_EN: 1
; COMPUTE_PGM_RSRC2:TGID_Y_EN: 0
; COMPUTE_PGM_RSRC2:TGID_Z_EN: 0
; COMPUTE_PGM_RSRC2:TIDIG_COMP_CNT: 0
; COMPUTE_PGM_RSRC3_GFX90A:ACCUM_OFFSET: 0
; COMPUTE_PGM_RSRC3_GFX90A:TG_SPLIT: 0
	.section	.text._ZN7rocprim17ROCPRIM_400000_NS6detail17trampoline_kernelINS0_14default_configENS1_25partition_config_selectorILNS1_17partition_subalgoE8ElNS0_10empty_typeEbEEZZNS1_14partition_implILS5_8ELb0ES3_jPlPS6_PKS6_NS0_5tupleIJS9_S6_EEENSD_IJSA_SA_EEENS0_18inequality_wrapperIZN2at6native12_GLOBAL__N_124unique_dim_cuda_templateIbEESt5tupleIJNSH_6TensorESM_SM_EERKSM_lbbbEUlllE0_EEPmJS6_EEE10hipError_tPvRmT3_T4_T5_T6_T7_T9_mT8_P12ihipStream_tbDpT10_ENKUlT_T0_E_clISt17integral_constantIbLb1EES1C_EEDaS17_S18_EUlS17_E_NS1_11comp_targetILNS1_3genE0ELNS1_11target_archE4294967295ELNS1_3gpuE0ELNS1_3repE0EEENS1_30default_config_static_selectorELNS0_4arch9wavefront6targetE1EEEvT1_,"axG",@progbits,_ZN7rocprim17ROCPRIM_400000_NS6detail17trampoline_kernelINS0_14default_configENS1_25partition_config_selectorILNS1_17partition_subalgoE8ElNS0_10empty_typeEbEEZZNS1_14partition_implILS5_8ELb0ES3_jPlPS6_PKS6_NS0_5tupleIJS9_S6_EEENSD_IJSA_SA_EEENS0_18inequality_wrapperIZN2at6native12_GLOBAL__N_124unique_dim_cuda_templateIbEESt5tupleIJNSH_6TensorESM_SM_EERKSM_lbbbEUlllE0_EEPmJS6_EEE10hipError_tPvRmT3_T4_T5_T6_T7_T9_mT8_P12ihipStream_tbDpT10_ENKUlT_T0_E_clISt17integral_constantIbLb1EES1C_EEDaS17_S18_EUlS17_E_NS1_11comp_targetILNS1_3genE0ELNS1_11target_archE4294967295ELNS1_3gpuE0ELNS1_3repE0EEENS1_30default_config_static_selectorELNS0_4arch9wavefront6targetE1EEEvT1_,comdat
	.globl	_ZN7rocprim17ROCPRIM_400000_NS6detail17trampoline_kernelINS0_14default_configENS1_25partition_config_selectorILNS1_17partition_subalgoE8ElNS0_10empty_typeEbEEZZNS1_14partition_implILS5_8ELb0ES3_jPlPS6_PKS6_NS0_5tupleIJS9_S6_EEENSD_IJSA_SA_EEENS0_18inequality_wrapperIZN2at6native12_GLOBAL__N_124unique_dim_cuda_templateIbEESt5tupleIJNSH_6TensorESM_SM_EERKSM_lbbbEUlllE0_EEPmJS6_EEE10hipError_tPvRmT3_T4_T5_T6_T7_T9_mT8_P12ihipStream_tbDpT10_ENKUlT_T0_E_clISt17integral_constantIbLb1EES1C_EEDaS17_S18_EUlS17_E_NS1_11comp_targetILNS1_3genE0ELNS1_11target_archE4294967295ELNS1_3gpuE0ELNS1_3repE0EEENS1_30default_config_static_selectorELNS0_4arch9wavefront6targetE1EEEvT1_ ; -- Begin function _ZN7rocprim17ROCPRIM_400000_NS6detail17trampoline_kernelINS0_14default_configENS1_25partition_config_selectorILNS1_17partition_subalgoE8ElNS0_10empty_typeEbEEZZNS1_14partition_implILS5_8ELb0ES3_jPlPS6_PKS6_NS0_5tupleIJS9_S6_EEENSD_IJSA_SA_EEENS0_18inequality_wrapperIZN2at6native12_GLOBAL__N_124unique_dim_cuda_templateIbEESt5tupleIJNSH_6TensorESM_SM_EERKSM_lbbbEUlllE0_EEPmJS6_EEE10hipError_tPvRmT3_T4_T5_T6_T7_T9_mT8_P12ihipStream_tbDpT10_ENKUlT_T0_E_clISt17integral_constantIbLb1EES1C_EEDaS17_S18_EUlS17_E_NS1_11comp_targetILNS1_3genE0ELNS1_11target_archE4294967295ELNS1_3gpuE0ELNS1_3repE0EEENS1_30default_config_static_selectorELNS0_4arch9wavefront6targetE1EEEvT1_
	.p2align	8
	.type	_ZN7rocprim17ROCPRIM_400000_NS6detail17trampoline_kernelINS0_14default_configENS1_25partition_config_selectorILNS1_17partition_subalgoE8ElNS0_10empty_typeEbEEZZNS1_14partition_implILS5_8ELb0ES3_jPlPS6_PKS6_NS0_5tupleIJS9_S6_EEENSD_IJSA_SA_EEENS0_18inequality_wrapperIZN2at6native12_GLOBAL__N_124unique_dim_cuda_templateIbEESt5tupleIJNSH_6TensorESM_SM_EERKSM_lbbbEUlllE0_EEPmJS6_EEE10hipError_tPvRmT3_T4_T5_T6_T7_T9_mT8_P12ihipStream_tbDpT10_ENKUlT_T0_E_clISt17integral_constantIbLb1EES1C_EEDaS17_S18_EUlS17_E_NS1_11comp_targetILNS1_3genE0ELNS1_11target_archE4294967295ELNS1_3gpuE0ELNS1_3repE0EEENS1_30default_config_static_selectorELNS0_4arch9wavefront6targetE1EEEvT1_,@function
_ZN7rocprim17ROCPRIM_400000_NS6detail17trampoline_kernelINS0_14default_configENS1_25partition_config_selectorILNS1_17partition_subalgoE8ElNS0_10empty_typeEbEEZZNS1_14partition_implILS5_8ELb0ES3_jPlPS6_PKS6_NS0_5tupleIJS9_S6_EEENSD_IJSA_SA_EEENS0_18inequality_wrapperIZN2at6native12_GLOBAL__N_124unique_dim_cuda_templateIbEESt5tupleIJNSH_6TensorESM_SM_EERKSM_lbbbEUlllE0_EEPmJS6_EEE10hipError_tPvRmT3_T4_T5_T6_T7_T9_mT8_P12ihipStream_tbDpT10_ENKUlT_T0_E_clISt17integral_constantIbLb1EES1C_EEDaS17_S18_EUlS17_E_NS1_11comp_targetILNS1_3genE0ELNS1_11target_archE4294967295ELNS1_3gpuE0ELNS1_3repE0EEENS1_30default_config_static_selectorELNS0_4arch9wavefront6targetE1EEEvT1_: ; @_ZN7rocprim17ROCPRIM_400000_NS6detail17trampoline_kernelINS0_14default_configENS1_25partition_config_selectorILNS1_17partition_subalgoE8ElNS0_10empty_typeEbEEZZNS1_14partition_implILS5_8ELb0ES3_jPlPS6_PKS6_NS0_5tupleIJS9_S6_EEENSD_IJSA_SA_EEENS0_18inequality_wrapperIZN2at6native12_GLOBAL__N_124unique_dim_cuda_templateIbEESt5tupleIJNSH_6TensorESM_SM_EERKSM_lbbbEUlllE0_EEPmJS6_EEE10hipError_tPvRmT3_T4_T5_T6_T7_T9_mT8_P12ihipStream_tbDpT10_ENKUlT_T0_E_clISt17integral_constantIbLb1EES1C_EEDaS17_S18_EUlS17_E_NS1_11comp_targetILNS1_3genE0ELNS1_11target_archE4294967295ELNS1_3gpuE0ELNS1_3repE0EEENS1_30default_config_static_selectorELNS0_4arch9wavefront6targetE1EEEvT1_
; %bb.0:
	.section	.rodata,"a",@progbits
	.p2align	6, 0x0
	.amdhsa_kernel _ZN7rocprim17ROCPRIM_400000_NS6detail17trampoline_kernelINS0_14default_configENS1_25partition_config_selectorILNS1_17partition_subalgoE8ElNS0_10empty_typeEbEEZZNS1_14partition_implILS5_8ELb0ES3_jPlPS6_PKS6_NS0_5tupleIJS9_S6_EEENSD_IJSA_SA_EEENS0_18inequality_wrapperIZN2at6native12_GLOBAL__N_124unique_dim_cuda_templateIbEESt5tupleIJNSH_6TensorESM_SM_EERKSM_lbbbEUlllE0_EEPmJS6_EEE10hipError_tPvRmT3_T4_T5_T6_T7_T9_mT8_P12ihipStream_tbDpT10_ENKUlT_T0_E_clISt17integral_constantIbLb1EES1C_EEDaS17_S18_EUlS17_E_NS1_11comp_targetILNS1_3genE0ELNS1_11target_archE4294967295ELNS1_3gpuE0ELNS1_3repE0EEENS1_30default_config_static_selectorELNS0_4arch9wavefront6targetE1EEEvT1_
		.amdhsa_group_segment_fixed_size 0
		.amdhsa_private_segment_fixed_size 0
		.amdhsa_kernarg_size 136
		.amdhsa_user_sgpr_count 2
		.amdhsa_user_sgpr_dispatch_ptr 0
		.amdhsa_user_sgpr_queue_ptr 0
		.amdhsa_user_sgpr_kernarg_segment_ptr 1
		.amdhsa_user_sgpr_dispatch_id 0
		.amdhsa_user_sgpr_kernarg_preload_length 0
		.amdhsa_user_sgpr_kernarg_preload_offset 0
		.amdhsa_user_sgpr_private_segment_size 0
		.amdhsa_uses_dynamic_stack 0
		.amdhsa_enable_private_segment 0
		.amdhsa_system_sgpr_workgroup_id_x 1
		.amdhsa_system_sgpr_workgroup_id_y 0
		.amdhsa_system_sgpr_workgroup_id_z 0
		.amdhsa_system_sgpr_workgroup_info 0
		.amdhsa_system_vgpr_workitem_id 0
		.amdhsa_next_free_vgpr 1
		.amdhsa_next_free_sgpr 0
		.amdhsa_accum_offset 4
		.amdhsa_reserve_vcc 0
		.amdhsa_float_round_mode_32 0
		.amdhsa_float_round_mode_16_64 0
		.amdhsa_float_denorm_mode_32 3
		.amdhsa_float_denorm_mode_16_64 3
		.amdhsa_dx10_clamp 1
		.amdhsa_ieee_mode 1
		.amdhsa_fp16_overflow 0
		.amdhsa_tg_split 0
		.amdhsa_exception_fp_ieee_invalid_op 0
		.amdhsa_exception_fp_denorm_src 0
		.amdhsa_exception_fp_ieee_div_zero 0
		.amdhsa_exception_fp_ieee_overflow 0
		.amdhsa_exception_fp_ieee_underflow 0
		.amdhsa_exception_fp_ieee_inexact 0
		.amdhsa_exception_int_div_zero 0
	.end_amdhsa_kernel
	.section	.text._ZN7rocprim17ROCPRIM_400000_NS6detail17trampoline_kernelINS0_14default_configENS1_25partition_config_selectorILNS1_17partition_subalgoE8ElNS0_10empty_typeEbEEZZNS1_14partition_implILS5_8ELb0ES3_jPlPS6_PKS6_NS0_5tupleIJS9_S6_EEENSD_IJSA_SA_EEENS0_18inequality_wrapperIZN2at6native12_GLOBAL__N_124unique_dim_cuda_templateIbEESt5tupleIJNSH_6TensorESM_SM_EERKSM_lbbbEUlllE0_EEPmJS6_EEE10hipError_tPvRmT3_T4_T5_T6_T7_T9_mT8_P12ihipStream_tbDpT10_ENKUlT_T0_E_clISt17integral_constantIbLb1EES1C_EEDaS17_S18_EUlS17_E_NS1_11comp_targetILNS1_3genE0ELNS1_11target_archE4294967295ELNS1_3gpuE0ELNS1_3repE0EEENS1_30default_config_static_selectorELNS0_4arch9wavefront6targetE1EEEvT1_,"axG",@progbits,_ZN7rocprim17ROCPRIM_400000_NS6detail17trampoline_kernelINS0_14default_configENS1_25partition_config_selectorILNS1_17partition_subalgoE8ElNS0_10empty_typeEbEEZZNS1_14partition_implILS5_8ELb0ES3_jPlPS6_PKS6_NS0_5tupleIJS9_S6_EEENSD_IJSA_SA_EEENS0_18inequality_wrapperIZN2at6native12_GLOBAL__N_124unique_dim_cuda_templateIbEESt5tupleIJNSH_6TensorESM_SM_EERKSM_lbbbEUlllE0_EEPmJS6_EEE10hipError_tPvRmT3_T4_T5_T6_T7_T9_mT8_P12ihipStream_tbDpT10_ENKUlT_T0_E_clISt17integral_constantIbLb1EES1C_EEDaS17_S18_EUlS17_E_NS1_11comp_targetILNS1_3genE0ELNS1_11target_archE4294967295ELNS1_3gpuE0ELNS1_3repE0EEENS1_30default_config_static_selectorELNS0_4arch9wavefront6targetE1EEEvT1_,comdat
.Lfunc_end1067:
	.size	_ZN7rocprim17ROCPRIM_400000_NS6detail17trampoline_kernelINS0_14default_configENS1_25partition_config_selectorILNS1_17partition_subalgoE8ElNS0_10empty_typeEbEEZZNS1_14partition_implILS5_8ELb0ES3_jPlPS6_PKS6_NS0_5tupleIJS9_S6_EEENSD_IJSA_SA_EEENS0_18inequality_wrapperIZN2at6native12_GLOBAL__N_124unique_dim_cuda_templateIbEESt5tupleIJNSH_6TensorESM_SM_EERKSM_lbbbEUlllE0_EEPmJS6_EEE10hipError_tPvRmT3_T4_T5_T6_T7_T9_mT8_P12ihipStream_tbDpT10_ENKUlT_T0_E_clISt17integral_constantIbLb1EES1C_EEDaS17_S18_EUlS17_E_NS1_11comp_targetILNS1_3genE0ELNS1_11target_archE4294967295ELNS1_3gpuE0ELNS1_3repE0EEENS1_30default_config_static_selectorELNS0_4arch9wavefront6targetE1EEEvT1_, .Lfunc_end1067-_ZN7rocprim17ROCPRIM_400000_NS6detail17trampoline_kernelINS0_14default_configENS1_25partition_config_selectorILNS1_17partition_subalgoE8ElNS0_10empty_typeEbEEZZNS1_14partition_implILS5_8ELb0ES3_jPlPS6_PKS6_NS0_5tupleIJS9_S6_EEENSD_IJSA_SA_EEENS0_18inequality_wrapperIZN2at6native12_GLOBAL__N_124unique_dim_cuda_templateIbEESt5tupleIJNSH_6TensorESM_SM_EERKSM_lbbbEUlllE0_EEPmJS6_EEE10hipError_tPvRmT3_T4_T5_T6_T7_T9_mT8_P12ihipStream_tbDpT10_ENKUlT_T0_E_clISt17integral_constantIbLb1EES1C_EEDaS17_S18_EUlS17_E_NS1_11comp_targetILNS1_3genE0ELNS1_11target_archE4294967295ELNS1_3gpuE0ELNS1_3repE0EEENS1_30default_config_static_selectorELNS0_4arch9wavefront6targetE1EEEvT1_
                                        ; -- End function
	.section	.AMDGPU.csdata,"",@progbits
; Kernel info:
; codeLenInByte = 0
; NumSgprs: 6
; NumVgprs: 0
; NumAgprs: 0
; TotalNumVgprs: 0
; ScratchSize: 0
; MemoryBound: 0
; FloatMode: 240
; IeeeMode: 1
; LDSByteSize: 0 bytes/workgroup (compile time only)
; SGPRBlocks: 0
; VGPRBlocks: 0
; NumSGPRsForWavesPerEU: 6
; NumVGPRsForWavesPerEU: 1
; AccumOffset: 4
; Occupancy: 8
; WaveLimiterHint : 0
; COMPUTE_PGM_RSRC2:SCRATCH_EN: 0
; COMPUTE_PGM_RSRC2:USER_SGPR: 2
; COMPUTE_PGM_RSRC2:TRAP_HANDLER: 0
; COMPUTE_PGM_RSRC2:TGID_X_EN: 1
; COMPUTE_PGM_RSRC2:TGID_Y_EN: 0
; COMPUTE_PGM_RSRC2:TGID_Z_EN: 0
; COMPUTE_PGM_RSRC2:TIDIG_COMP_CNT: 0
; COMPUTE_PGM_RSRC3_GFX90A:ACCUM_OFFSET: 0
; COMPUTE_PGM_RSRC3_GFX90A:TG_SPLIT: 0
	.section	.text._ZN7rocprim17ROCPRIM_400000_NS6detail17trampoline_kernelINS0_14default_configENS1_25partition_config_selectorILNS1_17partition_subalgoE8ElNS0_10empty_typeEbEEZZNS1_14partition_implILS5_8ELb0ES3_jPlPS6_PKS6_NS0_5tupleIJS9_S6_EEENSD_IJSA_SA_EEENS0_18inequality_wrapperIZN2at6native12_GLOBAL__N_124unique_dim_cuda_templateIbEESt5tupleIJNSH_6TensorESM_SM_EERKSM_lbbbEUlllE0_EEPmJS6_EEE10hipError_tPvRmT3_T4_T5_T6_T7_T9_mT8_P12ihipStream_tbDpT10_ENKUlT_T0_E_clISt17integral_constantIbLb1EES1C_EEDaS17_S18_EUlS17_E_NS1_11comp_targetILNS1_3genE5ELNS1_11target_archE942ELNS1_3gpuE9ELNS1_3repE0EEENS1_30default_config_static_selectorELNS0_4arch9wavefront6targetE1EEEvT1_,"axG",@progbits,_ZN7rocprim17ROCPRIM_400000_NS6detail17trampoline_kernelINS0_14default_configENS1_25partition_config_selectorILNS1_17partition_subalgoE8ElNS0_10empty_typeEbEEZZNS1_14partition_implILS5_8ELb0ES3_jPlPS6_PKS6_NS0_5tupleIJS9_S6_EEENSD_IJSA_SA_EEENS0_18inequality_wrapperIZN2at6native12_GLOBAL__N_124unique_dim_cuda_templateIbEESt5tupleIJNSH_6TensorESM_SM_EERKSM_lbbbEUlllE0_EEPmJS6_EEE10hipError_tPvRmT3_T4_T5_T6_T7_T9_mT8_P12ihipStream_tbDpT10_ENKUlT_T0_E_clISt17integral_constantIbLb1EES1C_EEDaS17_S18_EUlS17_E_NS1_11comp_targetILNS1_3genE5ELNS1_11target_archE942ELNS1_3gpuE9ELNS1_3repE0EEENS1_30default_config_static_selectorELNS0_4arch9wavefront6targetE1EEEvT1_,comdat
	.globl	_ZN7rocprim17ROCPRIM_400000_NS6detail17trampoline_kernelINS0_14default_configENS1_25partition_config_selectorILNS1_17partition_subalgoE8ElNS0_10empty_typeEbEEZZNS1_14partition_implILS5_8ELb0ES3_jPlPS6_PKS6_NS0_5tupleIJS9_S6_EEENSD_IJSA_SA_EEENS0_18inequality_wrapperIZN2at6native12_GLOBAL__N_124unique_dim_cuda_templateIbEESt5tupleIJNSH_6TensorESM_SM_EERKSM_lbbbEUlllE0_EEPmJS6_EEE10hipError_tPvRmT3_T4_T5_T6_T7_T9_mT8_P12ihipStream_tbDpT10_ENKUlT_T0_E_clISt17integral_constantIbLb1EES1C_EEDaS17_S18_EUlS17_E_NS1_11comp_targetILNS1_3genE5ELNS1_11target_archE942ELNS1_3gpuE9ELNS1_3repE0EEENS1_30default_config_static_selectorELNS0_4arch9wavefront6targetE1EEEvT1_ ; -- Begin function _ZN7rocprim17ROCPRIM_400000_NS6detail17trampoline_kernelINS0_14default_configENS1_25partition_config_selectorILNS1_17partition_subalgoE8ElNS0_10empty_typeEbEEZZNS1_14partition_implILS5_8ELb0ES3_jPlPS6_PKS6_NS0_5tupleIJS9_S6_EEENSD_IJSA_SA_EEENS0_18inequality_wrapperIZN2at6native12_GLOBAL__N_124unique_dim_cuda_templateIbEESt5tupleIJNSH_6TensorESM_SM_EERKSM_lbbbEUlllE0_EEPmJS6_EEE10hipError_tPvRmT3_T4_T5_T6_T7_T9_mT8_P12ihipStream_tbDpT10_ENKUlT_T0_E_clISt17integral_constantIbLb1EES1C_EEDaS17_S18_EUlS17_E_NS1_11comp_targetILNS1_3genE5ELNS1_11target_archE942ELNS1_3gpuE9ELNS1_3repE0EEENS1_30default_config_static_selectorELNS0_4arch9wavefront6targetE1EEEvT1_
	.p2align	8
	.type	_ZN7rocprim17ROCPRIM_400000_NS6detail17trampoline_kernelINS0_14default_configENS1_25partition_config_selectorILNS1_17partition_subalgoE8ElNS0_10empty_typeEbEEZZNS1_14partition_implILS5_8ELb0ES3_jPlPS6_PKS6_NS0_5tupleIJS9_S6_EEENSD_IJSA_SA_EEENS0_18inequality_wrapperIZN2at6native12_GLOBAL__N_124unique_dim_cuda_templateIbEESt5tupleIJNSH_6TensorESM_SM_EERKSM_lbbbEUlllE0_EEPmJS6_EEE10hipError_tPvRmT3_T4_T5_T6_T7_T9_mT8_P12ihipStream_tbDpT10_ENKUlT_T0_E_clISt17integral_constantIbLb1EES1C_EEDaS17_S18_EUlS17_E_NS1_11comp_targetILNS1_3genE5ELNS1_11target_archE942ELNS1_3gpuE9ELNS1_3repE0EEENS1_30default_config_static_selectorELNS0_4arch9wavefront6targetE1EEEvT1_,@function
_ZN7rocprim17ROCPRIM_400000_NS6detail17trampoline_kernelINS0_14default_configENS1_25partition_config_selectorILNS1_17partition_subalgoE8ElNS0_10empty_typeEbEEZZNS1_14partition_implILS5_8ELb0ES3_jPlPS6_PKS6_NS0_5tupleIJS9_S6_EEENSD_IJSA_SA_EEENS0_18inequality_wrapperIZN2at6native12_GLOBAL__N_124unique_dim_cuda_templateIbEESt5tupleIJNSH_6TensorESM_SM_EERKSM_lbbbEUlllE0_EEPmJS6_EEE10hipError_tPvRmT3_T4_T5_T6_T7_T9_mT8_P12ihipStream_tbDpT10_ENKUlT_T0_E_clISt17integral_constantIbLb1EES1C_EEDaS17_S18_EUlS17_E_NS1_11comp_targetILNS1_3genE5ELNS1_11target_archE942ELNS1_3gpuE9ELNS1_3repE0EEENS1_30default_config_static_selectorELNS0_4arch9wavefront6targetE1EEEvT1_: ; @_ZN7rocprim17ROCPRIM_400000_NS6detail17trampoline_kernelINS0_14default_configENS1_25partition_config_selectorILNS1_17partition_subalgoE8ElNS0_10empty_typeEbEEZZNS1_14partition_implILS5_8ELb0ES3_jPlPS6_PKS6_NS0_5tupleIJS9_S6_EEENSD_IJSA_SA_EEENS0_18inequality_wrapperIZN2at6native12_GLOBAL__N_124unique_dim_cuda_templateIbEESt5tupleIJNSH_6TensorESM_SM_EERKSM_lbbbEUlllE0_EEPmJS6_EEE10hipError_tPvRmT3_T4_T5_T6_T7_T9_mT8_P12ihipStream_tbDpT10_ENKUlT_T0_E_clISt17integral_constantIbLb1EES1C_EEDaS17_S18_EUlS17_E_NS1_11comp_targetILNS1_3genE5ELNS1_11target_archE942ELNS1_3gpuE9ELNS1_3repE0EEENS1_30default_config_static_selectorELNS0_4arch9wavefront6targetE1EEEvT1_
; %bb.0:
	s_load_dwordx2 s[34:35], s[0:1], 0x28
	s_load_dwordx8 s[20:27], s[0:1], 0x40
	s_load_dwordx4 s[28:31], s[0:1], 0x60
	v_cmp_ne_u32_e64 s[2:3], 0, v0
	v_cmp_eq_u32_e64 s[18:19], 0, v0
	s_and_saveexec_b64 s[4:5], s[18:19]
	s_cbranch_execz .LBB1068_4
; %bb.1:
	s_mov_b64 s[8:9], exec
	v_mbcnt_lo_u32_b32 v1, s8, 0
	v_mbcnt_hi_u32_b32 v1, s9, v1
	v_cmp_eq_u32_e32 vcc, 0, v1
                                        ; implicit-def: $vgpr2
	s_and_saveexec_b64 s[6:7], vcc
	s_cbranch_execz .LBB1068_3
; %bb.2:
	s_load_dwordx2 s[10:11], s[0:1], 0x78
	s_bcnt1_i32_b64 s8, s[8:9]
	v_mov_b32_e32 v2, 0
	v_mov_b32_e32 v3, s8
	s_waitcnt lgkmcnt(0)
	global_atomic_add v2, v2, v3, s[10:11] sc0
.LBB1068_3:
	s_or_b64 exec, exec, s[6:7]
	s_waitcnt vmcnt(0)
	v_readfirstlane_b32 s6, v2
	v_mov_b32_e32 v2, 0
	s_nop 0
	v_add_u32_e32 v1, s6, v1
	ds_write_b32 v2, v1
.LBB1068_4:
	s_or_b64 exec, exec, s[4:5]
	v_mov_b32_e32 v3, 0
	s_load_dwordx4 s[4:7], s[0:1], 0x8
	s_load_dword s8, s[0:1], 0x70
	s_waitcnt lgkmcnt(0)
	s_barrier
	ds_read_b32 v1, v3
	s_waitcnt lgkmcnt(0)
	s_barrier
	global_load_dwordx2 v[4:5], v3, s[22:23]
	s_lshl_b64 s[10:11], s[6:7], 3
	s_mul_i32 s9, s8, 0xe00
	s_add_u32 s4, s4, s10
	s_addc_u32 s5, s5, s11
	s_add_i32 s10, s8, -1
	s_add_i32 s8, s9, s6
	s_sub_i32 s52, s24, s8
	s_add_u32 s8, s6, s9
	s_addc_u32 s9, s7, 0
	v_readfirstlane_b32 s33, v1
	v_mov_b32_e32 v6, s24
	v_mov_b32_e32 v7, s25
	s_cmp_eq_u32 s33, s10
	s_movk_i32 s12, 0xe00
	v_cmp_ge_u64_e32 vcc, s[8:9], v[6:7]
	s_cselect_b64 s[24:25], -1, 0
	v_mul_lo_u32 v2, v1, s12
	s_and_b64 s[8:9], vcc, s[24:25]
	v_lshlrev_b64 v[6:7], 3, v[2:3]
	s_xor_b64 s[36:37], s[8:9], -1
	s_mov_b64 s[0:1], -1
	v_lshl_add_u64 v[18:19], s[4:5], 0, v[6:7]
	s_and_b64 vcc, exec, s[36:37]
	s_waitcnt vmcnt(0)
	v_readfirstlane_b32 s22, v4
	v_readfirstlane_b32 s23, v5
	s_cbranch_vccz .LBB1068_6
; %bb.5:
	v_lshlrev_b32_e32 v2, 3, v0
	v_lshl_add_u64 v[4:5], v[18:19], 0, v[2:3]
	v_add_co_u32_e32 v8, vcc, 0x1000, v4
	v_readfirstlane_b32 s0, v18
	s_nop 0
	v_addc_co_u32_e32 v9, vcc, 0, v5, vcc
	v_add_co_u32_e32 v10, vcc, 0x2000, v4
	v_readfirstlane_b32 s1, v19
	s_nop 0
	v_addc_co_u32_e32 v11, vcc, 0, v5, vcc
	v_add_co_u32_e32 v12, vcc, 0x3000, v4
	s_nop 1
	v_addc_co_u32_e32 v13, vcc, 0, v5, vcc
	v_add_co_u32_e32 v14, vcc, 0x4000, v4
	global_load_dwordx2 v[6:7], v2, s[0:1]
	s_nop 0
	v_addc_co_u32_e32 v15, vcc, 0, v5, vcc
	global_load_dwordx2 v[16:17], v[8:9], off
	global_load_dwordx2 v[20:21], v[10:11], off
	;; [unrolled: 1-line block ×4, first 2 shown]
	v_add_co_u32_e32 v8, vcc, 0x5000, v4
	s_mov_b64 s[0:1], 0
	s_nop 0
	v_addc_co_u32_e32 v9, vcc, 0, v5, vcc
	v_add_co_u32_e32 v4, vcc, 0x6000, v4
	global_load_dwordx2 v[8:9], v[8:9], off
	s_nop 0
	v_addc_co_u32_e32 v5, vcc, 0, v5, vcc
	global_load_dwordx2 v[4:5], v[4:5], off
	s_waitcnt vmcnt(5)
	ds_write2st64_b64 v2, v[6:7], v[16:17] offset1:8
	s_waitcnt vmcnt(3)
	ds_write2st64_b64 v2, v[20:21], v[22:23] offset0:16 offset1:24
	s_waitcnt vmcnt(1)
	ds_write2st64_b64 v2, v[24:25], v[8:9] offset0:32 offset1:40
	s_waitcnt vmcnt(0)
	ds_write_b64 v2, v[4:5] offset:24576
	s_waitcnt lgkmcnt(0)
	s_barrier
.LBB1068_6:
	s_andn2_b64 vcc, exec, s[0:1]
	s_addk_i32 s52, 0xe00
	s_cbranch_vccnz .LBB1068_22
; %bb.7:
	v_cmp_gt_u32_e32 vcc, s52, v0
                                        ; implicit-def: $vgpr2_vgpr3_vgpr4_vgpr5_vgpr6_vgpr7_vgpr8_vgpr9_vgpr10_vgpr11_vgpr12_vgpr13_vgpr14_vgpr15_vgpr16_vgpr17
	s_and_saveexec_b64 s[0:1], vcc
	s_cbranch_execz .LBB1068_9
; %bb.8:
	v_lshlrev_b32_e32 v1, 3, v0
	v_readfirstlane_b32 s4, v18
	v_readfirstlane_b32 s5, v19
	s_nop 4
	global_load_dwordx2 v[2:3], v1, s[4:5]
.LBB1068_9:
	s_or_b64 exec, exec, s[0:1]
	v_or_b32_e32 v1, 0x200, v0
	v_cmp_gt_u32_e32 vcc, s52, v1
	s_and_saveexec_b64 s[0:1], vcc
	s_cbranch_execz .LBB1068_11
; %bb.10:
	v_lshlrev_b32_e32 v1, 3, v1
	v_readfirstlane_b32 s4, v18
	v_readfirstlane_b32 s5, v19
	s_nop 4
	global_load_dwordx2 v[4:5], v1, s[4:5]
.LBB1068_11:
	s_or_b64 exec, exec, s[0:1]
	v_or_b32_e32 v1, 0x400, v0
	v_cmp_gt_u32_e32 vcc, s52, v1
	;; [unrolled: 12-line block ×6, first 2 shown]
	s_and_saveexec_b64 s[0:1], vcc
	s_cbranch_execz .LBB1068_21
; %bb.20:
	v_lshlrev_b32_e32 v1, 3, v1
	v_readfirstlane_b32 s4, v18
	v_readfirstlane_b32 s5, v19
	s_nop 4
	global_load_dwordx2 v[14:15], v1, s[4:5]
.LBB1068_21:
	s_or_b64 exec, exec, s[0:1]
	v_lshlrev_b32_e32 v1, 3, v0
	s_waitcnt vmcnt(0)
	ds_write2st64_b64 v1, v[2:3], v[4:5] offset1:8
	ds_write2st64_b64 v1, v[6:7], v[8:9] offset0:16 offset1:24
	ds_write2st64_b64 v1, v[10:11], v[12:13] offset0:32 offset1:40
	ds_write_b64 v1, v[14:15] offset:24576
	s_waitcnt lgkmcnt(0)
	s_barrier
.LBB1068_22:
	v_mul_u32_u24_e32 v1, 7, v0
	v_lshlrev_b32_e32 v32, 3, v1
	ds_read2_b64 v[10:13], v32 offset1:1
	ds_read2_b64 v[6:9], v32 offset0:2 offset1:3
	ds_read2_b64 v[2:5], v32 offset0:4 offset1:5
	ds_read_b64 v[14:15], v32 offset:48
	s_cmp_lg_u32 s33, 0
	s_cselect_b64 s[16:17], -1, 0
	s_cmp_lg_u64 s[6:7], 0
	s_cselect_b64 s[0:1], -1, 0
	s_or_b64 s[0:1], s[0:1], s[16:17]
	v_mad_u32_u24 v27, v0, 7, 1
	v_mad_u32_u24 v26, v0, 7, 2
	;; [unrolled: 1-line block ×6, first 2 shown]
	s_mov_b64 s[10:11], 0
	s_and_b64 vcc, exec, s[0:1]
	v_cmp_lt_i64_e64 s[12:13], s[26:27], 1
	v_cmp_gt_i64_e64 s[6:7], s[26:27], 0
	s_waitcnt lgkmcnt(0)
	s_barrier
	s_cbranch_vccz .LBB1068_31
; %bb.23:
	global_load_dwordx2 v[16:17], v[18:19], off offset:-8
	v_lshlrev_b32_e32 v33, 3, v0
	s_mov_b64 s[0:1], 0
	s_and_b64 vcc, exec, s[36:37]
	ds_write_b64 v33, v[14:15]
	s_cbranch_vccz .LBB1068_33
; %bb.24:
	v_cndmask_b32_e64 v18, 0, 1, s[6:7]
	v_cmp_ne_u32_e64 s[4:5], 1, v18
	s_andn2_b64 vcc, exec, s[6:7]
	s_cbranch_vccnz .LBB1068_34
; %bb.25:
	v_mov_b64_e32 v[20:21], s[28:29]
	v_mad_u64_u32 v[18:19], s[0:1], v4, s26, v[20:21]
	v_mul_lo_u32 v22, v4, s27
	v_mul_lo_u32 v23, v5, s26
	v_add3_u32 v19, v23, v19, v22
	v_mad_u64_u32 v[20:21], s[0:1], v14, s26, v[20:21]
	v_mul_lo_u32 v22, v14, s27
	v_mul_lo_u32 v23, v15, s26
	v_add3_u32 v21, v23, v21, v22
	global_load_ubyte v22, v[18:19], off
	global_load_ubyte v23, v[20:21], off
	s_mov_b64 s[6:7], -1
	s_waitcnt vmcnt(1)
	v_cmp_ne_u16_e32 vcc, 0, v22
	s_waitcnt vmcnt(0)
	v_cmp_ne_u16_e64 s[0:1], 0, v23
	s_xor_b64 s[0:1], vcc, s[0:1]
	s_xor_b64 s[0:1], s[0:1], -1
	s_and_saveexec_b64 s[10:11], s[0:1]
	s_cbranch_execz .LBB1068_36
; %bb.26:
	s_mov_b64 s[40:41], 1
	s_mov_b64 s[14:15], 0
                                        ; implicit-def: $sgpr38_sgpr39
	s_branch .LBB1068_29
.LBB1068_27:                            ;   in Loop: Header=BB1068_29 Depth=1
	v_lshl_add_u64 v[22:23], v[18:19], 0, s[40:41]
	v_lshl_add_u64 v[24:25], v[20:21], 0, s[40:41]
	global_load_ubyte v34, v[22:23], off
	global_load_ubyte v35, v[24:25], off
	s_waitcnt vmcnt(1)
	v_cmp_ne_u16_e64 s[0:1], 0, v34
	s_waitcnt vmcnt(0)
	v_cmp_ne_u16_e64 s[6:7], 0, v35
	s_xor_b64 s[6:7], s[0:1], s[6:7]
	s_add_u32 s0, s40, 1
	s_addc_u32 s1, s41, 0
	s_andn2_b64 s[38:39], s[38:39], exec
	s_and_b64 s[6:7], s[6:7], exec
	s_or_b64 s[38:39], s[38:39], s[6:7]
.LBB1068_28:                            ;   in Loop: Header=BB1068_29 Depth=1
	s_and_b64 s[6:7], exec, s[38:39]
	s_or_b64 s[14:15], s[6:7], s[14:15]
	v_mov_b64_e32 v[22:23], s[40:41]
	s_mov_b64 s[40:41], s[0:1]
	s_andn2_b64 exec, exec, s[14:15]
	s_cbranch_execz .LBB1068_35
.LBB1068_29:                            ; =>This Inner Loop Header: Depth=1
	s_or_b64 s[38:39], s[38:39], exec
	s_cmp_eq_u64 s[26:27], s[40:41]
	s_cbranch_scc0 .LBB1068_27
; %bb.30:                               ;   in Loop: Header=BB1068_29 Depth=1
                                        ; implicit-def: $sgpr0_sgpr1
	s_mov_b64 s[40:41], s[26:27]
	s_branch .LBB1068_28
.LBB1068_31:
                                        ; implicit-def: $sgpr0_sgpr1
                                        ; implicit-def: $vgpr34
                                        ; implicit-def: $vgpr18
                                        ; implicit-def: $vgpr19
                                        ; implicit-def: $vgpr20
	s_branch .LBB1068_159
.LBB1068_32:
                                        ; implicit-def: $vgpr16_vgpr17
	s_branch .LBB1068_292
.LBB1068_33:
                                        ; implicit-def: $sgpr0_sgpr1
                                        ; implicit-def: $vgpr34
                                        ; implicit-def: $vgpr18
                                        ; implicit-def: $vgpr19
                                        ; implicit-def: $vgpr20
	s_cbranch_execnz .LBB1068_92
	s_branch .LBB1068_158
.LBB1068_34:
	v_mov_b32_e32 v18, 0
	s_branch .LBB1068_44
.LBB1068_35:
	s_or_b64 exec, exec, s[14:15]
	v_cmp_gt_i64_e64 s[0:1], s[26:27], v[22:23]
	s_orn2_b64 s[6:7], s[0:1], exec
.LBB1068_36:
	s_or_b64 exec, exec, s[10:11]
	v_mov_b64_e32 v[20:21], s[28:29]
	v_mad_u64_u32 v[20:21], s[0:1], v2, s26, v[20:21]
	v_mul_lo_u32 v22, v2, s27
	v_mul_lo_u32 v23, v3, s26
	v_add3_u32 v21, v23, v21, v22
	global_load_ubyte v22, v[20:21], off
	s_waitcnt vmcnt(0)
	v_cmp_ne_u16_e64 s[0:1], 0, v22
	s_xor_b64 s[10:11], vcc, s[0:1]
	s_mov_b64 s[0:1], -1
	s_xor_b64 s[14:15], s[10:11], -1
	s_and_saveexec_b64 s[10:11], s[14:15]
	s_cbranch_execz .LBB1068_43
; %bb.37:
	s_mov_b64 s[40:41], 1
	s_mov_b64 s[14:15], 0
                                        ; implicit-def: $sgpr38_sgpr39
	s_branch .LBB1068_40
.LBB1068_38:                            ;   in Loop: Header=BB1068_40 Depth=1
	v_lshl_add_u64 v[22:23], v[20:21], 0, s[40:41]
	v_lshl_add_u64 v[24:25], v[18:19], 0, s[40:41]
	global_load_ubyte v34, v[22:23], off
	global_load_ubyte v35, v[24:25], off
	s_waitcnt vmcnt(1)
	v_cmp_ne_u16_e32 vcc, 0, v34
	s_waitcnt vmcnt(0)
	v_cmp_ne_u16_e64 s[0:1], 0, v35
	s_xor_b64 s[42:43], vcc, s[0:1]
	s_add_u32 s0, s40, 1
	s_addc_u32 s1, s41, 0
	s_andn2_b64 s[38:39], s[38:39], exec
	s_and_b64 s[42:43], s[42:43], exec
	s_or_b64 s[38:39], s[38:39], s[42:43]
.LBB1068_39:                            ;   in Loop: Header=BB1068_40 Depth=1
	s_and_b64 s[42:43], exec, s[38:39]
	s_or_b64 s[14:15], s[42:43], s[14:15]
	v_mov_b64_e32 v[22:23], s[40:41]
	s_mov_b64 s[40:41], s[0:1]
	s_andn2_b64 exec, exec, s[14:15]
	s_cbranch_execz .LBB1068_42
.LBB1068_40:                            ; =>This Inner Loop Header: Depth=1
	s_or_b64 s[38:39], s[38:39], exec
	s_cmp_eq_u64 s[26:27], s[40:41]
	s_cbranch_scc0 .LBB1068_38
; %bb.41:                               ;   in Loop: Header=BB1068_40 Depth=1
                                        ; implicit-def: $sgpr0_sgpr1
	s_mov_b64 s[40:41], s[26:27]
	s_branch .LBB1068_39
.LBB1068_42:
	s_or_b64 exec, exec, s[14:15]
	v_cmp_gt_i64_e32 vcc, s[26:27], v[22:23]
	s_orn2_b64 s[0:1], vcc, exec
.LBB1068_43:
	s_or_b64 exec, exec, s[10:11]
	v_cndmask_b32_e64 v18, 0, 1, s[6:7]
.LBB1068_44:
	v_lshlrev_b16_e32 v19, 8, v0
	v_lshlrev_b16_e32 v20, 8, v0
	v_mov_b32_e32 v22, 8
	v_lshrrev_b32_sdwa v20, v22, v20 dst_sel:BYTE_1 dst_unused:UNUSED_PAD src0_sel:DWORD src1_sel:DWORD
	v_lshrrev_b32_sdwa v19, v22, v19 dst_sel:BYTE_1 dst_unused:UNUSED_PAD src0_sel:DWORD src1_sel:DWORD
	v_cndmask_b32_e64 v21, 0, 1, s[0:1]
	v_or_b32_sdwa v20, v0, v20 dst_sel:DWORD dst_unused:UNUSED_PAD src0_sel:BYTE_0 src1_sel:DWORD
	v_or_b32_sdwa v19, v0, v19 dst_sel:WORD_1 dst_unused:UNUSED_PAD src0_sel:BYTE_0 src1_sel:DWORD
	v_lshlrev_b32_e32 v18, 16, v18
	v_or_b32_sdwa v34, v20, v19 dst_sel:DWORD dst_unused:UNUSED_PAD src0_sel:WORD_0 src1_sel:DWORD
	v_lshlrev_b16_e32 v19, 8, v21
	s_and_b64 vcc, exec, s[4:5]
	v_or_b32_e32 v35, v19, v18
	s_cbranch_vccnz .LBB1068_51
; %bb.45:
	v_mov_b64_e32 v[20:21], s[28:29]
	v_mad_u64_u32 v[18:19], s[0:1], v8, s26, v[20:21]
	v_mul_lo_u32 v22, v8, s27
	v_mul_lo_u32 v23, v9, s26
	v_add3_u32 v19, v23, v19, v22
	v_mad_u64_u32 v[20:21], s[0:1], v2, s26, v[20:21]
	v_mul_lo_u32 v22, v2, s27
	v_mul_lo_u32 v23, v3, s26
	v_add3_u32 v21, v23, v21, v22
	global_load_ubyte v22, v[18:19], off
	global_load_ubyte v23, v[20:21], off
	s_waitcnt vmcnt(1)
	v_cmp_ne_u16_e32 vcc, 0, v22
	s_waitcnt vmcnt(0)
	v_cmp_ne_u16_e64 s[0:1], 0, v23
	s_xor_b64 s[6:7], vcc, s[0:1]
	s_mov_b64 s[0:1], -1
	s_xor_b64 s[6:7], s[6:7], -1
	s_and_saveexec_b64 s[10:11], s[6:7]
	s_cbranch_execz .LBB1068_53
; %bb.46:
	s_mov_b64 s[40:41], 1
	s_mov_b64 s[14:15], 0
                                        ; implicit-def: $sgpr38_sgpr39
	s_branch .LBB1068_49
.LBB1068_47:                            ;   in Loop: Header=BB1068_49 Depth=1
	v_lshl_add_u64 v[22:23], v[18:19], 0, s[40:41]
	v_lshl_add_u64 v[24:25], v[20:21], 0, s[40:41]
	global_load_ubyte v36, v[22:23], off
	global_load_ubyte v37, v[24:25], off
	s_waitcnt vmcnt(1)
	v_cmp_ne_u16_e64 s[0:1], 0, v36
	s_waitcnt vmcnt(0)
	v_cmp_ne_u16_e64 s[6:7], 0, v37
	s_xor_b64 s[6:7], s[0:1], s[6:7]
	s_add_u32 s0, s40, 1
	s_addc_u32 s1, s41, 0
	s_andn2_b64 s[38:39], s[38:39], exec
	s_and_b64 s[6:7], s[6:7], exec
	s_or_b64 s[38:39], s[38:39], s[6:7]
.LBB1068_48:                            ;   in Loop: Header=BB1068_49 Depth=1
	s_and_b64 s[6:7], exec, s[38:39]
	s_or_b64 s[14:15], s[6:7], s[14:15]
	v_mov_b64_e32 v[22:23], s[40:41]
	s_mov_b64 s[40:41], s[0:1]
	s_andn2_b64 exec, exec, s[14:15]
	s_cbranch_execz .LBB1068_52
.LBB1068_49:                            ; =>This Inner Loop Header: Depth=1
	s_or_b64 s[38:39], s[38:39], exec
	s_cmp_eq_u64 s[26:27], s[40:41]
	s_cbranch_scc0 .LBB1068_47
; %bb.50:                               ;   in Loop: Header=BB1068_49 Depth=1
                                        ; implicit-def: $sgpr0_sgpr1
	s_mov_b64 s[40:41], s[26:27]
	s_branch .LBB1068_48
.LBB1068_51:
                                        ; implicit-def: $sgpr0_sgpr1
                                        ; implicit-def: $vgpr20_vgpr21
	s_cbranch_execnz .LBB1068_61
	s_branch .LBB1068_62
.LBB1068_52:
	s_or_b64 exec, exec, s[14:15]
	v_cmp_gt_i64_e64 s[0:1], s[26:27], v[22:23]
	s_orn2_b64 s[0:1], s[0:1], exec
.LBB1068_53:
	s_or_b64 exec, exec, s[10:11]
	v_mov_b64_e32 v[20:21], s[28:29]
	v_mad_u64_u32 v[22:23], s[6:7], v6, s26, v[20:21]
	v_mul_lo_u32 v20, v6, s27
	v_mul_lo_u32 v21, v7, s26
	v_add3_u32 v23, v21, v23, v20
	global_load_ubyte v24, v[22:23], off
	v_mov_b32_e32 v20, 8
	v_cndmask_b32_e64 v21, 0, 1, s[0:1]
	s_mov_b32 s0, 0x3020104
	v_lshrrev_b32_sdwa v36, v20, v35 dst_sel:BYTE_1 dst_unused:UNUSED_PAD src0_sel:DWORD src1_sel:DWORD
	v_perm_b32 v20, v34, v34, s0
	v_or_b32_e32 v21, v21, v36
	v_bfe_u32 v25, v35, 16, 8
	v_and_b32_e32 v21, 0xffff, v21
	v_lshl_or_b32 v21, v25, 16, v21
	s_waitcnt vmcnt(0)
	v_cmp_ne_u16_e64 s[0:1], 0, v24
	s_xor_b64 s[6:7], vcc, s[0:1]
	s_mov_b64 s[0:1], -1
	s_xor_b64 s[10:11], s[6:7], -1
	s_and_saveexec_b64 s[6:7], s[10:11]
	s_cbranch_execz .LBB1068_60
; %bb.54:
	s_mov_b64 s[38:39], 1
	s_mov_b64 s[10:11], 0
                                        ; implicit-def: $sgpr14_sgpr15
	s_branch .LBB1068_57
.LBB1068_55:                            ;   in Loop: Header=BB1068_57 Depth=1
	v_lshl_add_u64 v[24:25], v[22:23], 0, s[38:39]
	v_lshl_add_u64 v[36:37], v[18:19], 0, s[38:39]
	global_load_ubyte v38, v[24:25], off
	global_load_ubyte v39, v[36:37], off
	s_waitcnt vmcnt(1)
	v_cmp_ne_u16_e32 vcc, 0, v38
	s_waitcnt vmcnt(0)
	v_cmp_ne_u16_e64 s[0:1], 0, v39
	s_xor_b64 s[40:41], vcc, s[0:1]
	s_add_u32 s0, s38, 1
	s_addc_u32 s1, s39, 0
	s_andn2_b64 s[14:15], s[14:15], exec
	s_and_b64 s[40:41], s[40:41], exec
	s_or_b64 s[14:15], s[14:15], s[40:41]
.LBB1068_56:                            ;   in Loop: Header=BB1068_57 Depth=1
	s_and_b64 s[40:41], exec, s[14:15]
	s_or_b64 s[10:11], s[40:41], s[10:11]
	v_mov_b64_e32 v[24:25], s[38:39]
	s_mov_b64 s[38:39], s[0:1]
	s_andn2_b64 exec, exec, s[10:11]
	s_cbranch_execz .LBB1068_59
.LBB1068_57:                            ; =>This Inner Loop Header: Depth=1
	s_or_b64 s[14:15], s[14:15], exec
	s_cmp_eq_u64 s[26:27], s[38:39]
	s_cbranch_scc0 .LBB1068_55
; %bb.58:                               ;   in Loop: Header=BB1068_57 Depth=1
                                        ; implicit-def: $sgpr0_sgpr1
	s_mov_b64 s[38:39], s[26:27]
	s_branch .LBB1068_56
.LBB1068_59:
	s_or_b64 exec, exec, s[10:11]
	v_cmp_gt_i64_e32 vcc, s[26:27], v[24:25]
	s_orn2_b64 s[0:1], vcc, exec
.LBB1068_60:
	s_or_b64 exec, exec, s[6:7]
	s_branch .LBB1068_62
.LBB1068_61:
	v_mov_b32_e32 v18, 8
	v_lshrrev_b32_sdwa v18, v18, v35 dst_sel:BYTE_1 dst_unused:UNUSED_PAD src0_sel:DWORD src1_sel:DWORD
	v_bfe_u32 v19, v35, 16, 8
	s_mov_b32 s6, 0x3020104
	v_lshl_or_b32 v21, v19, 16, v18
	v_perm_b32 v20, v34, v34, s6
	s_andn2_b64 s[0:1], s[0:1], exec
.LBB1068_62:
	v_mov_b32_e32 v19, 8
	v_cndmask_b32_e64 v18, 0, 1, s[0:1]
	s_movk_i32 s0, 0xff
	v_lshrrev_b32_sdwa v22, v19, v20 dst_sel:BYTE_1 dst_unused:UNUSED_PAD src0_sel:DWORD src1_sel:DWORD
	v_lshlrev_b16_e32 v18, 8, v18
	v_or_b32_sdwa v22, v20, v22 dst_sel:DWORD dst_unused:UNUSED_PAD src0_sel:BYTE_0 src1_sel:DWORD
	v_and_b32_sdwa v20, v20, s0 dst_sel:DWORD dst_unused:UNUSED_PAD src0_sel:WORD_1 src1_sel:DWORD
	v_or_b32_sdwa v18, v20, v18 dst_sel:WORD_1 dst_unused:UNUSED_PAD src0_sel:DWORD src1_sel:DWORD
	s_and_b64 vcc, exec, s[4:5]
	v_or_b32_sdwa v34, v22, v18 dst_sel:DWORD dst_unused:UNUSED_PAD src0_sel:WORD_0 src1_sel:DWORD
	v_lshrrev_b32_sdwa v18, v19, v21 dst_sel:BYTE_1 dst_unused:UNUSED_PAD src0_sel:DWORD src1_sel:DWORD
	v_bfe_u32 v19, v21, 16, 8
	v_or_b32_sdwa v18, v21, v18 dst_sel:DWORD dst_unused:UNUSED_PAD src0_sel:BYTE_0 src1_sel:DWORD
	v_and_b32_e32 v18, 0xffff, v18
	v_lshl_or_b32 v35, v19, 16, v18
	s_cbranch_vccnz .LBB1068_69
; %bb.63:
	v_mov_b64_e32 v[18:19], s[28:29]
	v_mad_u64_u32 v[20:21], s[0:1], v12, s26, v[18:19]
	v_mul_lo_u32 v22, v12, s27
	v_mul_lo_u32 v23, v13, s26
	v_add3_u32 v21, v23, v21, v22
	v_mad_u64_u32 v[18:19], s[0:1], v6, s26, v[18:19]
	v_mul_lo_u32 v22, v6, s27
	v_mul_lo_u32 v23, v7, s26
	v_add3_u32 v19, v23, v19, v22
	global_load_ubyte v22, v[20:21], off
	global_load_ubyte v23, v[18:19], off
	s_waitcnt vmcnt(1)
	v_cmp_ne_u16_e32 vcc, 0, v22
	s_waitcnt vmcnt(0)
	v_cmp_ne_u16_e64 s[0:1], 0, v23
	s_xor_b64 s[6:7], vcc, s[0:1]
	s_mov_b64 s[0:1], -1
	s_xor_b64 s[6:7], s[6:7], -1
	s_and_saveexec_b64 s[10:11], s[6:7]
	s_cbranch_execz .LBB1068_71
; %bb.64:
	s_mov_b64 s[40:41], 1
	s_mov_b64 s[14:15], 0
                                        ; implicit-def: $sgpr38_sgpr39
	s_branch .LBB1068_67
.LBB1068_65:                            ;   in Loop: Header=BB1068_67 Depth=1
	v_lshl_add_u64 v[22:23], v[20:21], 0, s[40:41]
	v_lshl_add_u64 v[24:25], v[18:19], 0, s[40:41]
	global_load_ubyte v36, v[22:23], off
	global_load_ubyte v37, v[24:25], off
	s_waitcnt vmcnt(1)
	v_cmp_ne_u16_e64 s[0:1], 0, v36
	s_waitcnt vmcnt(0)
	v_cmp_ne_u16_e64 s[6:7], 0, v37
	s_xor_b64 s[6:7], s[0:1], s[6:7]
	s_add_u32 s0, s40, 1
	s_addc_u32 s1, s41, 0
	s_andn2_b64 s[38:39], s[38:39], exec
	s_and_b64 s[6:7], s[6:7], exec
	s_or_b64 s[38:39], s[38:39], s[6:7]
.LBB1068_66:                            ;   in Loop: Header=BB1068_67 Depth=1
	s_and_b64 s[6:7], exec, s[38:39]
	s_or_b64 s[14:15], s[6:7], s[14:15]
	v_mov_b64_e32 v[22:23], s[40:41]
	s_mov_b64 s[40:41], s[0:1]
	s_andn2_b64 exec, exec, s[14:15]
	s_cbranch_execz .LBB1068_70
.LBB1068_67:                            ; =>This Inner Loop Header: Depth=1
	s_or_b64 s[38:39], s[38:39], exec
	s_cmp_eq_u64 s[26:27], s[40:41]
	s_cbranch_scc0 .LBB1068_65
; %bb.68:                               ;   in Loop: Header=BB1068_67 Depth=1
                                        ; implicit-def: $sgpr0_sgpr1
	s_mov_b64 s[40:41], s[26:27]
	s_branch .LBB1068_66
.LBB1068_69:
                                        ; implicit-def: $sgpr0_sgpr1
                                        ; implicit-def: $vgpr18_vgpr19
	s_cbranch_execnz .LBB1068_79
	s_branch .LBB1068_80
.LBB1068_70:
	s_or_b64 exec, exec, s[14:15]
	v_cmp_gt_i64_e64 s[0:1], s[26:27], v[22:23]
	s_orn2_b64 s[0:1], s[0:1], exec
.LBB1068_71:
	s_or_b64 exec, exec, s[10:11]
	v_mov_b64_e32 v[18:19], s[28:29]
	v_mad_u64_u32 v[22:23], s[6:7], v10, s26, v[18:19]
	v_mul_lo_u32 v18, v10, s27
	v_mul_lo_u32 v19, v11, s26
	v_add3_u32 v23, v19, v23, v18
	global_load_ubyte v24, v[22:23], off
	v_mov_b32_e32 v19, 8
	v_lshrrev_b32_e32 v36, 24, v34
	v_lshrrev_b32_sdwa v37, v19, v35 dst_sel:BYTE_1 dst_unused:UNUSED_PAD src0_sel:DWORD src1_sel:DWORD
	v_cndmask_b32_e64 v18, 0, 1, s[0:1]
	v_lshrrev_b32_sdwa v19, v19, v34 dst_sel:BYTE_1 dst_unused:UNUSED_PAD src0_sel:DWORD src1_sel:DWORD
	v_lshlrev_b16_e32 v36, 8, v36
	v_or_b32_sdwa v37, v35, v37 dst_sel:DWORD dst_unused:UNUSED_PAD src0_sel:BYTE_0 src1_sel:DWORD
	v_bfe_u32 v25, v35, 16, 8
	v_or_b32_sdwa v19, v34, v19 dst_sel:DWORD dst_unused:UNUSED_PAD src0_sel:BYTE_0 src1_sel:DWORD
	v_or_b32_sdwa v18, v18, v36 dst_sel:WORD_1 dst_unused:UNUSED_PAD src0_sel:DWORD src1_sel:DWORD
	v_and_b32_e32 v36, 0xffff, v37
	v_or_b32_sdwa v18, v19, v18 dst_sel:DWORD dst_unused:UNUSED_PAD src0_sel:WORD_0 src1_sel:DWORD
	v_lshl_or_b32 v19, v25, 16, v36
	s_waitcnt vmcnt(0)
	v_cmp_ne_u16_e64 s[0:1], 0, v24
	s_xor_b64 s[6:7], vcc, s[0:1]
	s_mov_b64 s[0:1], -1
	s_xor_b64 s[10:11], s[6:7], -1
	s_and_saveexec_b64 s[6:7], s[10:11]
	s_cbranch_execz .LBB1068_78
; %bb.72:
	s_mov_b64 s[38:39], 1
	s_mov_b64 s[10:11], 0
                                        ; implicit-def: $sgpr14_sgpr15
	s_branch .LBB1068_75
.LBB1068_73:                            ;   in Loop: Header=BB1068_75 Depth=1
	v_lshl_add_u64 v[24:25], v[22:23], 0, s[38:39]
	v_lshl_add_u64 v[36:37], v[20:21], 0, s[38:39]
	global_load_ubyte v38, v[24:25], off
	global_load_ubyte v39, v[36:37], off
	s_waitcnt vmcnt(1)
	v_cmp_ne_u16_e32 vcc, 0, v38
	s_waitcnt vmcnt(0)
	v_cmp_ne_u16_e64 s[0:1], 0, v39
	s_xor_b64 s[40:41], vcc, s[0:1]
	s_add_u32 s0, s38, 1
	s_addc_u32 s1, s39, 0
	s_andn2_b64 s[14:15], s[14:15], exec
	s_and_b64 s[40:41], s[40:41], exec
	s_or_b64 s[14:15], s[14:15], s[40:41]
.LBB1068_74:                            ;   in Loop: Header=BB1068_75 Depth=1
	s_and_b64 s[40:41], exec, s[14:15]
	s_or_b64 s[10:11], s[40:41], s[10:11]
	v_mov_b64_e32 v[24:25], s[38:39]
	s_mov_b64 s[38:39], s[0:1]
	s_andn2_b64 exec, exec, s[10:11]
	s_cbranch_execz .LBB1068_77
.LBB1068_75:                            ; =>This Inner Loop Header: Depth=1
	s_or_b64 s[14:15], s[14:15], exec
	s_cmp_eq_u64 s[26:27], s[38:39]
	s_cbranch_scc0 .LBB1068_73
; %bb.76:                               ;   in Loop: Header=BB1068_75 Depth=1
                                        ; implicit-def: $sgpr0_sgpr1
	s_mov_b64 s[38:39], s[26:27]
	s_branch .LBB1068_74
.LBB1068_77:
	s_or_b64 exec, exec, s[10:11]
	v_cmp_gt_i64_e32 vcc, s[26:27], v[24:25]
	s_orn2_b64 s[0:1], vcc, exec
.LBB1068_78:
	s_or_b64 exec, exec, s[6:7]
	s_branch .LBB1068_80
.LBB1068_79:
	v_mov_b32_e32 v18, 8
	v_lshrrev_b32_sdwa v19, v18, v35 dst_sel:BYTE_1 dst_unused:UNUSED_PAD src0_sel:DWORD src1_sel:DWORD
	v_lshrrev_b32_sdwa v18, v18, v34 dst_sel:BYTE_1 dst_unused:UNUSED_PAD src0_sel:DWORD src1_sel:DWORD
	v_or_b32_sdwa v19, v35, v19 dst_sel:DWORD dst_unused:UNUSED_PAD src0_sel:BYTE_0 src1_sel:DWORD
	v_or_b32_sdwa v18, v34, v18 dst_sel:DWORD dst_unused:UNUSED_PAD src0_sel:BYTE_0 src1_sel:DWORD
	v_and_b32_e32 v19, 0xffff, v19
	v_bfe_u32 v20, v35, 16, 8
	v_and_b32_e32 v18, 0xffff, v18
	s_mov_b32 s6, 0xff000000
	v_lshl_or_b32 v19, v20, 16, v19
	v_and_or_b32 v18, v34, s6, v18
	s_andn2_b64 s[0:1], s[0:1], exec
.LBB1068_80:
	s_waitcnt vmcnt(0)
	v_mov_b64_e32 v[22:23], v[16:17]
	s_waitcnt lgkmcnt(0)
	s_barrier
	s_and_saveexec_b64 s[6:7], s[2:3]
	s_cbranch_execz .LBB1068_82
; %bb.81:
	v_add_u32_e32 v20, -8, v33
	ds_read_b64 v[22:23], v20
.LBB1068_82:
	s_or_b64 exec, exec, s[6:7]
	v_cndmask_b32_e64 v20, 0, 1, s[0:1]
	v_lshlrev_b16_e32 v20, 8, v20
	s_movk_i32 s0, 0xff
	v_or_b32_sdwa v34, v18, v20 dst_sel:DWORD dst_unused:UNUSED_PAD src0_sel:BYTE_0 src1_sel:DWORD
	v_lshrrev_b32_e32 v20, 24, v18
	v_lshlrev_b16_e32 v20, 8, v20
	v_and_b32_sdwa v18, v18, s0 dst_sel:DWORD dst_unused:UNUSED_PAD src0_sel:WORD_1 src1_sel:DWORD
	v_or_b32_sdwa v18, v18, v20 dst_sel:WORD_1 dst_unused:UNUSED_PAD src0_sel:DWORD src1_sel:DWORD
	s_mov_b64 s[6:7], 0
	s_and_b64 vcc, exec, s[4:5]
	s_mov_b64 s[0:1], 0
	s_cbranch_vccnz .LBB1068_91
; %bb.83:
	v_mov_b64_e32 v[24:25], s[28:29]
	s_waitcnt lgkmcnt(0)
	v_mad_u64_u32 v[20:21], s[0:1], v22, s26, v[24:25]
	v_mul_lo_u32 v22, v22, s27
	v_mul_lo_u32 v23, v23, s26
	v_add3_u32 v21, v23, v21, v22
	v_mad_u64_u32 v[22:23], s[0:1], v10, s26, v[24:25]
	v_mul_lo_u32 v24, v10, s27
	v_mul_lo_u32 v25, v11, s26
	v_add3_u32 v23, v25, v23, v24
	global_load_ubyte v24, v[20:21], off
	global_load_ubyte v25, v[22:23], off
	s_waitcnt vmcnt(1)
	v_cmp_ne_u16_e32 vcc, 0, v24
	s_waitcnt vmcnt(0)
	v_cmp_ne_u16_e64 s[0:1], 0, v25
	s_xor_b64 s[4:5], vcc, s[0:1]
	s_mov_b64 s[0:1], -1
	s_xor_b64 s[10:11], s[4:5], -1
	s_and_saveexec_b64 s[4:5], s[10:11]
	s_cbranch_execz .LBB1068_90
; %bb.84:
	s_mov_b64 s[38:39], 1
	s_mov_b64 s[10:11], 0
                                        ; implicit-def: $sgpr14_sgpr15
	s_branch .LBB1068_87
.LBB1068_85:                            ;   in Loop: Header=BB1068_87 Depth=1
	v_lshl_add_u64 v[24:25], v[20:21], 0, s[38:39]
	v_lshl_add_u64 v[36:37], v[22:23], 0, s[38:39]
	global_load_ubyte v35, v[24:25], off
	global_load_ubyte v38, v[36:37], off
	s_waitcnt vmcnt(1)
	v_cmp_ne_u16_e32 vcc, 0, v35
	s_waitcnt vmcnt(0)
	v_cmp_ne_u16_e64 s[0:1], 0, v38
	s_xor_b64 s[40:41], vcc, s[0:1]
	s_add_u32 s0, s38, 1
	s_addc_u32 s1, s39, 0
	s_andn2_b64 s[14:15], s[14:15], exec
	s_and_b64 s[40:41], s[40:41], exec
	s_or_b64 s[14:15], s[14:15], s[40:41]
.LBB1068_86:                            ;   in Loop: Header=BB1068_87 Depth=1
	s_and_b64 s[40:41], exec, s[14:15]
	s_or_b64 s[10:11], s[40:41], s[10:11]
	v_mov_b64_e32 v[24:25], s[38:39]
	s_mov_b64 s[38:39], s[0:1]
	s_andn2_b64 exec, exec, s[10:11]
	s_cbranch_execz .LBB1068_89
.LBB1068_87:                            ; =>This Inner Loop Header: Depth=1
	s_or_b64 s[14:15], s[14:15], exec
	s_cmp_eq_u64 s[26:27], s[38:39]
	s_cbranch_scc0 .LBB1068_85
; %bb.88:                               ;   in Loop: Header=BB1068_87 Depth=1
                                        ; implicit-def: $sgpr0_sgpr1
	s_mov_b64 s[38:39], s[26:27]
	s_branch .LBB1068_86
.LBB1068_89:
	s_or_b64 exec, exec, s[10:11]
	v_cmp_gt_i64_e32 vcc, s[26:27], v[24:25]
	s_orn2_b64 s[0:1], vcc, exec
.LBB1068_90:
	s_or_b64 exec, exec, s[4:5]
.LBB1068_91:
	v_or_b32_sdwa v20, v34, v18 dst_sel:DWORD dst_unused:UNUSED_PAD src0_sel:WORD_0 src1_sel:DWORD
	v_lshrrev_b32_e32 v18, 8, v19
	v_lshrrev_b32_e32 v34, 16, v19
	s_and_b64 vcc, exec, s[6:7]
	s_cbranch_vccz .LBB1068_158
.LBB1068_92:
	v_cmp_gt_u32_e32 vcc, s52, v29
	s_xor_b64 s[10:11], s[12:13], -1
	s_mov_b64 s[14:15], -1
	s_and_b64 s[0:1], vcc, s[10:11]
	s_mov_b64 s[6:7], 0
	s_mov_b64 s[4:5], 0
	s_and_saveexec_b64 s[12:13], s[0:1]
	s_cbranch_execz .LBB1068_101
; %bb.93:
	v_mov_b64_e32 v[20:21], s[28:29]
	v_mad_u64_u32 v[18:19], s[0:1], v4, s26, v[20:21]
	s_waitcnt lgkmcnt(0)
	v_mul_lo_u32 v22, v4, s27
	v_mul_lo_u32 v23, v5, s26
	v_add3_u32 v19, v23, v19, v22
	v_mad_u64_u32 v[20:21], s[0:1], v14, s26, v[20:21]
	v_mul_lo_u32 v22, v14, s27
	v_mul_lo_u32 v23, v15, s26
	v_add3_u32 v21, v23, v21, v22
	global_load_ubyte v22, v[18:19], off
	global_load_ubyte v23, v[20:21], off
	s_waitcnt vmcnt(1)
	v_cmp_ne_u16_e32 vcc, 0, v22
	s_waitcnt vmcnt(0)
	v_cmp_ne_u16_e64 s[0:1], 0, v23
	s_xor_b64 s[0:1], vcc, s[0:1]
	s_xor_b64 s[0:1], s[0:1], -1
	s_and_saveexec_b64 s[4:5], s[0:1]
	s_cbranch_execz .LBB1068_100
; %bb.94:
	s_mov_b64 s[40:41], 1
	s_mov_b64 s[14:15], 0
                                        ; implicit-def: $sgpr38_sgpr39
	s_branch .LBB1068_97
.LBB1068_95:                            ;   in Loop: Header=BB1068_97 Depth=1
	v_lshl_add_u64 v[22:23], v[18:19], 0, s[40:41]
	v_lshl_add_u64 v[24:25], v[20:21], 0, s[40:41]
	global_load_ubyte v34, v[22:23], off
	global_load_ubyte v35, v[24:25], off
	s_waitcnt vmcnt(1)
	v_cmp_ne_u16_e32 vcc, 0, v34
	s_waitcnt vmcnt(0)
	v_cmp_ne_u16_e64 s[0:1], 0, v35
	s_xor_b64 s[42:43], vcc, s[0:1]
	s_add_u32 s0, s40, 1
	s_addc_u32 s1, s41, 0
	s_andn2_b64 s[38:39], s[38:39], exec
	s_and_b64 s[42:43], s[42:43], exec
	s_or_b64 s[38:39], s[38:39], s[42:43]
.LBB1068_96:                            ;   in Loop: Header=BB1068_97 Depth=1
	s_and_b64 s[42:43], exec, s[38:39]
	s_or_b64 s[14:15], s[42:43], s[14:15]
	v_mov_b64_e32 v[22:23], s[40:41]
	s_mov_b64 s[40:41], s[0:1]
	s_andn2_b64 exec, exec, s[14:15]
	s_cbranch_execz .LBB1068_99
.LBB1068_97:                            ; =>This Inner Loop Header: Depth=1
	s_or_b64 s[38:39], s[38:39], exec
	s_cmp_eq_u64 s[26:27], s[40:41]
	s_cbranch_scc0 .LBB1068_95
; %bb.98:                               ;   in Loop: Header=BB1068_97 Depth=1
                                        ; implicit-def: $sgpr0_sgpr1
	s_mov_b64 s[40:41], s[26:27]
	s_branch .LBB1068_96
.LBB1068_99:
	s_or_b64 exec, exec, s[14:15]
	v_cmp_gt_i64_e32 vcc, s[26:27], v[22:23]
	s_orn2_b64 s[14:15], vcc, exec
.LBB1068_100:
	s_or_b64 exec, exec, s[4:5]
	s_and_b64 s[4:5], s[14:15], exec
.LBB1068_101:
	s_or_b64 exec, exec, s[12:13]
	v_cmp_gt_u32_e32 vcc, s52, v31
	s_and_b64 s[0:1], vcc, s[10:11]
	s_and_saveexec_b64 s[12:13], s[0:1]
	s_cbranch_execz .LBB1068_110
; %bb.102:
	v_mov_b64_e32 v[20:21], s[28:29]
	v_mad_u64_u32 v[18:19], s[0:1], v2, s26, v[20:21]
	s_waitcnt lgkmcnt(0)
	v_mul_lo_u32 v22, v2, s27
	v_mul_lo_u32 v23, v3, s26
	v_add3_u32 v19, v23, v19, v22
	v_mad_u64_u32 v[20:21], s[0:1], v4, s26, v[20:21]
	v_mul_lo_u32 v22, v4, s27
	v_mul_lo_u32 v23, v5, s26
	v_add3_u32 v21, v23, v21, v22
	global_load_ubyte v22, v[18:19], off
	global_load_ubyte v23, v[20:21], off
	s_waitcnt vmcnt(1)
	v_cmp_ne_u16_e32 vcc, 0, v22
	s_waitcnt vmcnt(0)
	v_cmp_ne_u16_e64 s[0:1], 0, v23
	s_xor_b64 s[6:7], vcc, s[0:1]
	s_mov_b64 s[0:1], -1
	s_xor_b64 s[14:15], s[6:7], -1
	s_and_saveexec_b64 s[6:7], s[14:15]
	s_cbranch_execz .LBB1068_109
; %bb.103:
	s_mov_b64 s[40:41], 1
	s_mov_b64 s[14:15], 0
                                        ; implicit-def: $sgpr38_sgpr39
	s_branch .LBB1068_106
.LBB1068_104:                           ;   in Loop: Header=BB1068_106 Depth=1
	v_lshl_add_u64 v[22:23], v[18:19], 0, s[40:41]
	v_lshl_add_u64 v[24:25], v[20:21], 0, s[40:41]
	global_load_ubyte v34, v[22:23], off
	global_load_ubyte v35, v[24:25], off
	s_waitcnt vmcnt(1)
	v_cmp_ne_u16_e32 vcc, 0, v34
	s_waitcnt vmcnt(0)
	v_cmp_ne_u16_e64 s[0:1], 0, v35
	s_xor_b64 s[42:43], vcc, s[0:1]
	s_add_u32 s0, s40, 1
	s_addc_u32 s1, s41, 0
	s_andn2_b64 s[38:39], s[38:39], exec
	s_and_b64 s[42:43], s[42:43], exec
	s_or_b64 s[38:39], s[38:39], s[42:43]
.LBB1068_105:                           ;   in Loop: Header=BB1068_106 Depth=1
	s_and_b64 s[42:43], exec, s[38:39]
	s_or_b64 s[14:15], s[42:43], s[14:15]
	v_mov_b64_e32 v[22:23], s[40:41]
	s_mov_b64 s[40:41], s[0:1]
	s_andn2_b64 exec, exec, s[14:15]
	s_cbranch_execz .LBB1068_108
.LBB1068_106:                           ; =>This Inner Loop Header: Depth=1
	s_or_b64 s[38:39], s[38:39], exec
	s_cmp_eq_u64 s[26:27], s[40:41]
	s_cbranch_scc0 .LBB1068_104
; %bb.107:                              ;   in Loop: Header=BB1068_106 Depth=1
                                        ; implicit-def: $sgpr0_sgpr1
	s_mov_b64 s[40:41], s[26:27]
	s_branch .LBB1068_105
.LBB1068_108:
	s_or_b64 exec, exec, s[14:15]
	v_cmp_gt_i64_e32 vcc, s[26:27], v[22:23]
	s_orn2_b64 s[0:1], vcc, exec
.LBB1068_109:
	s_or_b64 exec, exec, s[6:7]
	s_and_b64 s[6:7], s[0:1], exec
.LBB1068_110:
	s_or_b64 exec, exec, s[12:13]
	v_cmp_gt_u32_e32 vcc, s52, v28
	s_mov_b64 s[40:41], -1
	s_and_b64 s[0:1], vcc, s[10:11]
	s_mov_b64 s[14:15], 0
	s_mov_b64 s[12:13], 0
	s_and_saveexec_b64 s[38:39], s[0:1]
	s_cbranch_execz .LBB1068_119
; %bb.111:
	v_mov_b64_e32 v[20:21], s[28:29]
	v_mad_u64_u32 v[18:19], s[0:1], v8, s26, v[20:21]
	s_waitcnt lgkmcnt(0)
	v_mul_lo_u32 v22, v8, s27
	v_mul_lo_u32 v23, v9, s26
	v_add3_u32 v19, v23, v19, v22
	v_mad_u64_u32 v[20:21], s[0:1], v2, s26, v[20:21]
	v_mul_lo_u32 v22, v2, s27
	v_mul_lo_u32 v23, v3, s26
	v_add3_u32 v21, v23, v21, v22
	global_load_ubyte v22, v[18:19], off
	global_load_ubyte v23, v[20:21], off
	s_waitcnt vmcnt(1)
	v_cmp_ne_u16_e32 vcc, 0, v22
	s_waitcnt vmcnt(0)
	v_cmp_ne_u16_e64 s[0:1], 0, v23
	s_xor_b64 s[0:1], vcc, s[0:1]
	s_xor_b64 s[0:1], s[0:1], -1
	s_and_saveexec_b64 s[12:13], s[0:1]
	s_cbranch_execz .LBB1068_118
; %bb.112:
	s_mov_b64 s[44:45], 1
	s_mov_b64 s[40:41], 0
                                        ; implicit-def: $sgpr42_sgpr43
	s_branch .LBB1068_115
.LBB1068_113:                           ;   in Loop: Header=BB1068_115 Depth=1
	v_lshl_add_u64 v[22:23], v[18:19], 0, s[44:45]
	v_lshl_add_u64 v[24:25], v[20:21], 0, s[44:45]
	global_load_ubyte v34, v[22:23], off
	global_load_ubyte v35, v[24:25], off
	s_waitcnt vmcnt(1)
	v_cmp_ne_u16_e32 vcc, 0, v34
	s_waitcnt vmcnt(0)
	v_cmp_ne_u16_e64 s[0:1], 0, v35
	s_xor_b64 s[46:47], vcc, s[0:1]
	s_add_u32 s0, s44, 1
	s_addc_u32 s1, s45, 0
	s_andn2_b64 s[42:43], s[42:43], exec
	s_and_b64 s[46:47], s[46:47], exec
	s_or_b64 s[42:43], s[42:43], s[46:47]
.LBB1068_114:                           ;   in Loop: Header=BB1068_115 Depth=1
	s_and_b64 s[46:47], exec, s[42:43]
	s_or_b64 s[40:41], s[46:47], s[40:41]
	v_mov_b64_e32 v[22:23], s[44:45]
	s_mov_b64 s[44:45], s[0:1]
	s_andn2_b64 exec, exec, s[40:41]
	s_cbranch_execz .LBB1068_117
.LBB1068_115:                           ; =>This Inner Loop Header: Depth=1
	s_or_b64 s[42:43], s[42:43], exec
	s_cmp_eq_u64 s[26:27], s[44:45]
	s_cbranch_scc0 .LBB1068_113
; %bb.116:                              ;   in Loop: Header=BB1068_115 Depth=1
                                        ; implicit-def: $sgpr0_sgpr1
	s_mov_b64 s[44:45], s[26:27]
	s_branch .LBB1068_114
.LBB1068_117:
	s_or_b64 exec, exec, s[40:41]
	v_cmp_gt_i64_e32 vcc, s[26:27], v[22:23]
	s_orn2_b64 s[40:41], vcc, exec
.LBB1068_118:
	s_or_b64 exec, exec, s[12:13]
	s_and_b64 s[12:13], s[40:41], exec
.LBB1068_119:
	s_or_b64 exec, exec, s[38:39]
	v_cmp_gt_u32_e32 vcc, s52, v30
	s_and_b64 s[0:1], vcc, s[10:11]
	s_and_saveexec_b64 s[38:39], s[0:1]
	s_cbranch_execz .LBB1068_128
; %bb.120:
	v_mov_b64_e32 v[20:21], s[28:29]
	v_mad_u64_u32 v[18:19], s[0:1], v6, s26, v[20:21]
	s_waitcnt lgkmcnt(0)
	v_mul_lo_u32 v22, v6, s27
	v_mul_lo_u32 v23, v7, s26
	v_add3_u32 v19, v23, v19, v22
	v_mad_u64_u32 v[20:21], s[0:1], v8, s26, v[20:21]
	v_mul_lo_u32 v22, v8, s27
	v_mul_lo_u32 v23, v9, s26
	v_add3_u32 v21, v23, v21, v22
	global_load_ubyte v22, v[18:19], off
	global_load_ubyte v23, v[20:21], off
	s_waitcnt vmcnt(1)
	v_cmp_ne_u16_e32 vcc, 0, v22
	s_waitcnt vmcnt(0)
	v_cmp_ne_u16_e64 s[0:1], 0, v23
	s_xor_b64 s[14:15], vcc, s[0:1]
	s_mov_b64 s[0:1], -1
	s_xor_b64 s[40:41], s[14:15], -1
	s_and_saveexec_b64 s[14:15], s[40:41]
	s_cbranch_execz .LBB1068_127
; %bb.121:
	s_mov_b64 s[44:45], 1
	s_mov_b64 s[40:41], 0
                                        ; implicit-def: $sgpr42_sgpr43
	s_branch .LBB1068_124
.LBB1068_122:                           ;   in Loop: Header=BB1068_124 Depth=1
	v_lshl_add_u64 v[22:23], v[18:19], 0, s[44:45]
	v_lshl_add_u64 v[24:25], v[20:21], 0, s[44:45]
	global_load_ubyte v34, v[22:23], off
	global_load_ubyte v35, v[24:25], off
	s_waitcnt vmcnt(1)
	v_cmp_ne_u16_e32 vcc, 0, v34
	s_waitcnt vmcnt(0)
	v_cmp_ne_u16_e64 s[0:1], 0, v35
	s_xor_b64 s[46:47], vcc, s[0:1]
	s_add_u32 s0, s44, 1
	s_addc_u32 s1, s45, 0
	s_andn2_b64 s[42:43], s[42:43], exec
	s_and_b64 s[46:47], s[46:47], exec
	s_or_b64 s[42:43], s[42:43], s[46:47]
.LBB1068_123:                           ;   in Loop: Header=BB1068_124 Depth=1
	s_and_b64 s[46:47], exec, s[42:43]
	s_or_b64 s[40:41], s[46:47], s[40:41]
	v_mov_b64_e32 v[22:23], s[44:45]
	s_mov_b64 s[44:45], s[0:1]
	s_andn2_b64 exec, exec, s[40:41]
	s_cbranch_execz .LBB1068_126
.LBB1068_124:                           ; =>This Inner Loop Header: Depth=1
	s_or_b64 s[42:43], s[42:43], exec
	s_cmp_eq_u64 s[26:27], s[44:45]
	s_cbranch_scc0 .LBB1068_122
; %bb.125:                              ;   in Loop: Header=BB1068_124 Depth=1
                                        ; implicit-def: $sgpr0_sgpr1
	s_mov_b64 s[44:45], s[26:27]
	s_branch .LBB1068_123
.LBB1068_126:
	s_or_b64 exec, exec, s[40:41]
	v_cmp_gt_i64_e32 vcc, s[26:27], v[22:23]
	s_orn2_b64 s[0:1], vcc, exec
.LBB1068_127:
	s_or_b64 exec, exec, s[14:15]
	s_and_b64 s[14:15], s[0:1], exec
.LBB1068_128:
	s_or_b64 exec, exec, s[38:39]
	v_cmp_gt_u32_e32 vcc, s52, v26
	s_mov_b64 s[44:45], -1
	s_and_b64 s[0:1], vcc, s[10:11]
	s_mov_b64 s[38:39], 0
	s_mov_b64 s[40:41], 0
	s_and_saveexec_b64 s[42:43], s[0:1]
	s_cbranch_execz .LBB1068_137
; %bb.129:
	v_mov_b64_e32 v[20:21], s[28:29]
	v_mad_u64_u32 v[18:19], s[0:1], v12, s26, v[20:21]
	s_waitcnt lgkmcnt(0)
	v_mul_lo_u32 v22, v12, s27
	v_mul_lo_u32 v23, v13, s26
	v_add3_u32 v19, v23, v19, v22
	v_mad_u64_u32 v[20:21], s[0:1], v6, s26, v[20:21]
	v_mul_lo_u32 v22, v6, s27
	v_mul_lo_u32 v23, v7, s26
	v_add3_u32 v21, v23, v21, v22
	global_load_ubyte v22, v[18:19], off
	global_load_ubyte v23, v[20:21], off
	s_waitcnt vmcnt(1)
	v_cmp_ne_u16_e32 vcc, 0, v22
	s_waitcnt vmcnt(0)
	v_cmp_ne_u16_e64 s[0:1], 0, v23
	s_xor_b64 s[0:1], vcc, s[0:1]
	s_xor_b64 s[0:1], s[0:1], -1
	s_and_saveexec_b64 s[40:41], s[0:1]
	s_cbranch_execz .LBB1068_136
; %bb.130:
	s_mov_b64 s[48:49], 1
	s_mov_b64 s[44:45], 0
                                        ; implicit-def: $sgpr46_sgpr47
	s_branch .LBB1068_133
.LBB1068_131:                           ;   in Loop: Header=BB1068_133 Depth=1
	v_lshl_add_u64 v[22:23], v[18:19], 0, s[48:49]
	v_lshl_add_u64 v[24:25], v[20:21], 0, s[48:49]
	global_load_ubyte v34, v[22:23], off
	global_load_ubyte v35, v[24:25], off
	s_waitcnt vmcnt(1)
	v_cmp_ne_u16_e32 vcc, 0, v34
	s_waitcnt vmcnt(0)
	v_cmp_ne_u16_e64 s[0:1], 0, v35
	s_xor_b64 s[50:51], vcc, s[0:1]
	s_add_u32 s0, s48, 1
	s_addc_u32 s1, s49, 0
	s_andn2_b64 s[46:47], s[46:47], exec
	s_and_b64 s[50:51], s[50:51], exec
	s_or_b64 s[46:47], s[46:47], s[50:51]
.LBB1068_132:                           ;   in Loop: Header=BB1068_133 Depth=1
	s_and_b64 s[50:51], exec, s[46:47]
	s_or_b64 s[44:45], s[50:51], s[44:45]
	v_mov_b64_e32 v[22:23], s[48:49]
	s_mov_b64 s[48:49], s[0:1]
	s_andn2_b64 exec, exec, s[44:45]
	s_cbranch_execz .LBB1068_135
.LBB1068_133:                           ; =>This Inner Loop Header: Depth=1
	s_or_b64 s[46:47], s[46:47], exec
	s_cmp_eq_u64 s[26:27], s[48:49]
	s_cbranch_scc0 .LBB1068_131
; %bb.134:                              ;   in Loop: Header=BB1068_133 Depth=1
                                        ; implicit-def: $sgpr0_sgpr1
	s_mov_b64 s[48:49], s[26:27]
	s_branch .LBB1068_132
.LBB1068_135:
	s_or_b64 exec, exec, s[44:45]
	v_cmp_gt_i64_e32 vcc, s[26:27], v[22:23]
	s_orn2_b64 s[44:45], vcc, exec
.LBB1068_136:
	s_or_b64 exec, exec, s[40:41]
	s_and_b64 s[40:41], s[44:45], exec
.LBB1068_137:
	s_or_b64 exec, exec, s[42:43]
	v_cmp_gt_u32_e32 vcc, s52, v27
	s_and_b64 s[0:1], vcc, s[10:11]
	s_and_saveexec_b64 s[42:43], s[0:1]
	s_cbranch_execz .LBB1068_146
; %bb.138:
	v_mov_b64_e32 v[20:21], s[28:29]
	v_mad_u64_u32 v[18:19], s[0:1], v10, s26, v[20:21]
	s_waitcnt lgkmcnt(0)
	v_mul_lo_u32 v22, v10, s27
	v_mul_lo_u32 v23, v11, s26
	v_add3_u32 v19, v23, v19, v22
	v_mad_u64_u32 v[20:21], s[0:1], v12, s26, v[20:21]
	v_mul_lo_u32 v22, v12, s27
	v_mul_lo_u32 v23, v13, s26
	v_add3_u32 v21, v23, v21, v22
	global_load_ubyte v22, v[18:19], off
	global_load_ubyte v23, v[20:21], off
	s_waitcnt vmcnt(1)
	v_cmp_ne_u16_e32 vcc, 0, v22
	s_waitcnt vmcnt(0)
	v_cmp_ne_u16_e64 s[0:1], 0, v23
	s_xor_b64 s[38:39], vcc, s[0:1]
	s_mov_b64 s[0:1], -1
	s_xor_b64 s[44:45], s[38:39], -1
	s_and_saveexec_b64 s[38:39], s[44:45]
	s_cbranch_execz .LBB1068_145
; %bb.139:
	s_mov_b64 s[48:49], 1
	s_mov_b64 s[44:45], 0
                                        ; implicit-def: $sgpr46_sgpr47
	s_branch .LBB1068_142
.LBB1068_140:                           ;   in Loop: Header=BB1068_142 Depth=1
	v_lshl_add_u64 v[22:23], v[18:19], 0, s[48:49]
	v_lshl_add_u64 v[24:25], v[20:21], 0, s[48:49]
	global_load_ubyte v34, v[22:23], off
	global_load_ubyte v35, v[24:25], off
	s_waitcnt vmcnt(1)
	v_cmp_ne_u16_e32 vcc, 0, v34
	s_waitcnt vmcnt(0)
	v_cmp_ne_u16_e64 s[0:1], 0, v35
	s_xor_b64 s[50:51], vcc, s[0:1]
	s_add_u32 s0, s48, 1
	s_addc_u32 s1, s49, 0
	s_andn2_b64 s[46:47], s[46:47], exec
	s_and_b64 s[50:51], s[50:51], exec
	s_or_b64 s[46:47], s[46:47], s[50:51]
.LBB1068_141:                           ;   in Loop: Header=BB1068_142 Depth=1
	s_and_b64 s[50:51], exec, s[46:47]
	s_or_b64 s[44:45], s[50:51], s[44:45]
	v_mov_b64_e32 v[22:23], s[48:49]
	s_mov_b64 s[48:49], s[0:1]
	s_andn2_b64 exec, exec, s[44:45]
	s_cbranch_execz .LBB1068_144
.LBB1068_142:                           ; =>This Inner Loop Header: Depth=1
	s_or_b64 s[46:47], s[46:47], exec
	s_cmp_eq_u64 s[26:27], s[48:49]
	s_cbranch_scc0 .LBB1068_140
; %bb.143:                              ;   in Loop: Header=BB1068_142 Depth=1
                                        ; implicit-def: $sgpr0_sgpr1
	s_mov_b64 s[48:49], s[26:27]
	s_branch .LBB1068_141
.LBB1068_144:
	s_or_b64 exec, exec, s[44:45]
	v_cmp_gt_i64_e32 vcc, s[26:27], v[22:23]
	s_orn2_b64 s[0:1], vcc, exec
.LBB1068_145:
	s_or_b64 exec, exec, s[38:39]
	s_and_b64 s[38:39], s[0:1], exec
.LBB1068_146:
	s_or_b64 exec, exec, s[42:43]
	s_waitcnt lgkmcnt(0)
	s_barrier
	s_and_saveexec_b64 s[0:1], s[2:3]
	s_cbranch_execz .LBB1068_148
; %bb.147:
	s_waitcnt vmcnt(0)
	v_add_u32_e32 v16, -8, v33
	ds_read_b64 v[16:17], v16
.LBB1068_148:
	s_or_b64 exec, exec, s[0:1]
	v_cndmask_b32_e64 v19, 0, 1, s[14:15]
	v_cndmask_b32_e64 v18, 0, 1, s[40:41]
	;; [unrolled: 1-line block ×3, first 2 shown]
	v_cmp_gt_u32_e32 vcc, s52, v1
	v_lshlrev_b16_e32 v19, 8, v19
	s_mov_b64 s[38:39], -1
	s_and_b64 s[14:15], vcc, s[10:11]
	v_lshlrev_b16_e32 v22, 8, v20
	v_or_b32_sdwa v23, v18, v19 dst_sel:WORD_1 dst_unused:UNUSED_PAD src0_sel:DWORD src1_sel:DWORD
	s_mov_b64 s[0:1], 0
	s_and_saveexec_b64 s[10:11], s[14:15]
	s_cbranch_execz .LBB1068_157
; %bb.149:
	v_mov_b64_e32 v[20:21], s[28:29]
	s_waitcnt vmcnt(0) lgkmcnt(0)
	v_mad_u64_u32 v[18:19], s[0:1], v16, s26, v[20:21]
	v_mul_lo_u32 v16, v16, s27
	v_mul_lo_u32 v17, v17, s26
	v_add3_u32 v19, v17, v19, v16
	v_mad_u64_u32 v[16:17], s[0:1], v10, s26, v[20:21]
	v_mul_lo_u32 v20, v10, s27
	v_mul_lo_u32 v21, v11, s26
	v_add3_u32 v17, v21, v17, v20
	global_load_ubyte v20, v[18:19], off
	global_load_ubyte v21, v[16:17], off
	s_waitcnt vmcnt(1)
	v_cmp_ne_u16_e32 vcc, 0, v20
	s_waitcnt vmcnt(0)
	v_cmp_ne_u16_e64 s[0:1], 0, v21
	s_xor_b64 s[0:1], vcc, s[0:1]
	s_xor_b64 s[0:1], s[0:1], -1
	s_and_saveexec_b64 s[14:15], s[0:1]
	s_cbranch_execz .LBB1068_156
; %bb.150:
	s_mov_b64 s[42:43], 1
	s_mov_b64 s[38:39], 0
                                        ; implicit-def: $sgpr40_sgpr41
	s_branch .LBB1068_153
.LBB1068_151:                           ;   in Loop: Header=BB1068_153 Depth=1
	v_lshl_add_u64 v[20:21], v[18:19], 0, s[42:43]
	v_lshl_add_u64 v[24:25], v[16:17], 0, s[42:43]
	global_load_ubyte v33, v[20:21], off
	global_load_ubyte v34, v[24:25], off
	s_waitcnt vmcnt(1)
	v_cmp_ne_u16_e32 vcc, 0, v33
	s_waitcnt vmcnt(0)
	v_cmp_ne_u16_e64 s[0:1], 0, v34
	s_xor_b64 s[44:45], vcc, s[0:1]
	s_add_u32 s0, s42, 1
	s_addc_u32 s1, s43, 0
	s_andn2_b64 s[40:41], s[40:41], exec
	s_and_b64 s[44:45], s[44:45], exec
	s_or_b64 s[40:41], s[40:41], s[44:45]
.LBB1068_152:                           ;   in Loop: Header=BB1068_153 Depth=1
	s_and_b64 s[44:45], exec, s[40:41]
	s_or_b64 s[38:39], s[44:45], s[38:39]
	v_mov_b64_e32 v[20:21], s[42:43]
	s_mov_b64 s[42:43], s[0:1]
	s_andn2_b64 exec, exec, s[38:39]
	s_cbranch_execz .LBB1068_155
.LBB1068_153:                           ; =>This Inner Loop Header: Depth=1
	s_or_b64 s[40:41], s[40:41], exec
	s_cmp_eq_u64 s[26:27], s[42:43]
	s_cbranch_scc0 .LBB1068_151
; %bb.154:                              ;   in Loop: Header=BB1068_153 Depth=1
                                        ; implicit-def: $sgpr0_sgpr1
	s_mov_b64 s[42:43], s[26:27]
	s_branch .LBB1068_152
.LBB1068_155:
	s_or_b64 exec, exec, s[38:39]
	v_cmp_gt_i64_e32 vcc, s[26:27], v[20:21]
	s_orn2_b64 s[38:39], vcc, exec
.LBB1068_156:
	s_or_b64 exec, exec, s[14:15]
	s_and_b64 s[0:1], s[38:39], exec
.LBB1068_157:
	s_or_b64 exec, exec, s[10:11]
	v_cndmask_b32_e64 v19, 0, 1, s[12:13]
	v_cndmask_b32_e64 v18, 0, 1, s[6:7]
	;; [unrolled: 1-line block ×3, first 2 shown]
	v_or_b32_e32 v20, v22, v23
.LBB1068_158:
	s_mov_b64 s[10:11], -1
	s_cbranch_execnz .LBB1068_32
.LBB1068_159:
	s_movk_i32 s0, 0xffd0
	v_mad_i32_i24 v24, v0, s0, v32
	v_cmp_lt_i64_e64 s[12:13], s[26:27], 1
	s_mov_b64 s[0:1], 0
	v_cmp_gt_i64_e64 s[6:7], s[26:27], 0
	s_and_b64 vcc, exec, s[36:37]
	ds_write_b64 v24, v[14:15]
	s_cbranch_vccz .LBB1068_167
; %bb.160:
	s_waitcnt vmcnt(0) lgkmcnt(1)
	v_cndmask_b32_e64 v16, 0, 1, s[6:7]
	v_cmp_ne_u32_e64 s[4:5], 1, v16
	s_andn2_b64 vcc, exec, s[6:7]
	s_cbranch_vccnz .LBB1068_168
; %bb.161:
	v_mov_b64_e32 v[18:19], s[28:29]
	v_mad_u64_u32 v[16:17], s[0:1], v4, s26, v[18:19]
	v_mul_lo_u32 v20, v4, s27
	v_mul_lo_u32 v21, v5, s26
	v_add3_u32 v17, v21, v17, v20
	v_mad_u64_u32 v[18:19], s[0:1], v14, s26, v[18:19]
	v_mul_lo_u32 v20, v14, s27
	v_mul_lo_u32 v21, v15, s26
	v_add3_u32 v19, v21, v19, v20
	global_load_ubyte v20, v[16:17], off
	global_load_ubyte v21, v[18:19], off
	s_mov_b64 s[6:7], -1
	s_waitcnt vmcnt(1)
	v_cmp_ne_u16_e32 vcc, 0, v20
	s_waitcnt vmcnt(0)
	v_cmp_ne_u16_e64 s[0:1], 0, v21
	s_xor_b64 s[0:1], vcc, s[0:1]
	s_xor_b64 s[0:1], s[0:1], -1
	s_and_saveexec_b64 s[14:15], s[0:1]
	s_cbranch_execz .LBB1068_170
; %bb.162:
	s_mov_b64 s[42:43], 1
	s_mov_b64 s[38:39], 0
                                        ; implicit-def: $sgpr40_sgpr41
	s_branch .LBB1068_165
.LBB1068_163:                           ;   in Loop: Header=BB1068_165 Depth=1
	v_lshl_add_u64 v[20:21], v[16:17], 0, s[42:43]
	v_lshl_add_u64 v[22:23], v[18:19], 0, s[42:43]
	global_load_ubyte v25, v[20:21], off
	global_load_ubyte v32, v[22:23], off
	s_waitcnt vmcnt(1)
	v_cmp_ne_u16_e64 s[0:1], 0, v25
	s_waitcnt vmcnt(0)
	v_cmp_ne_u16_e64 s[6:7], 0, v32
	s_xor_b64 s[6:7], s[0:1], s[6:7]
	s_add_u32 s0, s42, 1
	s_addc_u32 s1, s43, 0
	s_andn2_b64 s[40:41], s[40:41], exec
	s_and_b64 s[6:7], s[6:7], exec
	s_or_b64 s[40:41], s[40:41], s[6:7]
.LBB1068_164:                           ;   in Loop: Header=BB1068_165 Depth=1
	s_and_b64 s[6:7], exec, s[40:41]
	s_or_b64 s[38:39], s[6:7], s[38:39]
	v_mov_b64_e32 v[20:21], s[42:43]
	s_mov_b64 s[42:43], s[0:1]
	s_andn2_b64 exec, exec, s[38:39]
	s_cbranch_execz .LBB1068_169
.LBB1068_165:                           ; =>This Inner Loop Header: Depth=1
	s_or_b64 s[40:41], s[40:41], exec
	s_cmp_eq_u64 s[26:27], s[42:43]
	s_cbranch_scc0 .LBB1068_163
; %bb.166:                              ;   in Loop: Header=BB1068_165 Depth=1
                                        ; implicit-def: $sgpr0_sgpr1
	s_mov_b64 s[42:43], s[26:27]
	s_branch .LBB1068_164
.LBB1068_167:
                                        ; implicit-def: $sgpr0_sgpr1
                                        ; implicit-def: $vgpr34
                                        ; implicit-def: $vgpr18
                                        ; implicit-def: $vgpr19
                                        ; implicit-def: $vgpr20
                                        ; implicit-def: $vgpr16_vgpr17
	s_cbranch_execnz .LBB1068_226
	s_branch .LBB1068_292
.LBB1068_168:
	v_mov_b32_e32 v16, 0
	s_branch .LBB1068_178
.LBB1068_169:
	s_or_b64 exec, exec, s[38:39]
	v_cmp_gt_i64_e64 s[0:1], s[26:27], v[20:21]
	s_orn2_b64 s[6:7], s[0:1], exec
.LBB1068_170:
	s_or_b64 exec, exec, s[14:15]
	v_mov_b64_e32 v[18:19], s[28:29]
	v_mad_u64_u32 v[18:19], s[0:1], v2, s26, v[18:19]
	v_mul_lo_u32 v20, v2, s27
	v_mul_lo_u32 v21, v3, s26
	v_add3_u32 v19, v21, v19, v20
	global_load_ubyte v20, v[18:19], off
	s_waitcnt vmcnt(0)
	v_cmp_ne_u16_e64 s[0:1], 0, v20
	s_xor_b64 s[14:15], vcc, s[0:1]
	s_mov_b64 s[0:1], -1
	s_xor_b64 s[38:39], s[14:15], -1
	s_and_saveexec_b64 s[14:15], s[38:39]
	s_cbranch_execz .LBB1068_177
; %bb.171:
	s_mov_b64 s[42:43], 1
	s_mov_b64 s[38:39], 0
                                        ; implicit-def: $sgpr40_sgpr41
	s_branch .LBB1068_174
.LBB1068_172:                           ;   in Loop: Header=BB1068_174 Depth=1
	v_lshl_add_u64 v[20:21], v[18:19], 0, s[42:43]
	v_lshl_add_u64 v[22:23], v[16:17], 0, s[42:43]
	global_load_ubyte v25, v[20:21], off
	global_load_ubyte v32, v[22:23], off
	s_waitcnt vmcnt(1)
	v_cmp_ne_u16_e32 vcc, 0, v25
	s_waitcnt vmcnt(0)
	v_cmp_ne_u16_e64 s[0:1], 0, v32
	s_xor_b64 s[44:45], vcc, s[0:1]
	s_add_u32 s0, s42, 1
	s_addc_u32 s1, s43, 0
	s_andn2_b64 s[40:41], s[40:41], exec
	s_and_b64 s[44:45], s[44:45], exec
	s_or_b64 s[40:41], s[40:41], s[44:45]
.LBB1068_173:                           ;   in Loop: Header=BB1068_174 Depth=1
	s_and_b64 s[44:45], exec, s[40:41]
	s_or_b64 s[38:39], s[44:45], s[38:39]
	v_mov_b64_e32 v[20:21], s[42:43]
	s_mov_b64 s[42:43], s[0:1]
	s_andn2_b64 exec, exec, s[38:39]
	s_cbranch_execz .LBB1068_176
.LBB1068_174:                           ; =>This Inner Loop Header: Depth=1
	s_or_b64 s[40:41], s[40:41], exec
	s_cmp_eq_u64 s[26:27], s[42:43]
	s_cbranch_scc0 .LBB1068_172
; %bb.175:                              ;   in Loop: Header=BB1068_174 Depth=1
                                        ; implicit-def: $sgpr0_sgpr1
	s_mov_b64 s[42:43], s[26:27]
	s_branch .LBB1068_173
.LBB1068_176:
	s_or_b64 exec, exec, s[38:39]
	v_cmp_gt_i64_e32 vcc, s[26:27], v[20:21]
	s_orn2_b64 s[0:1], vcc, exec
.LBB1068_177:
	s_or_b64 exec, exec, s[14:15]
	v_cndmask_b32_e64 v16, 0, 1, s[6:7]
.LBB1068_178:
	v_lshlrev_b16_e32 v17, 8, v0
	v_lshlrev_b16_e32 v18, 8, v0
	v_mov_b32_e32 v20, 8
	v_lshrrev_b32_sdwa v18, v20, v18 dst_sel:BYTE_1 dst_unused:UNUSED_PAD src0_sel:DWORD src1_sel:DWORD
	v_lshrrev_b32_sdwa v17, v20, v17 dst_sel:BYTE_1 dst_unused:UNUSED_PAD src0_sel:DWORD src1_sel:DWORD
	v_cndmask_b32_e64 v19, 0, 1, s[0:1]
	v_or_b32_sdwa v18, v0, v18 dst_sel:DWORD dst_unused:UNUSED_PAD src0_sel:BYTE_0 src1_sel:DWORD
	v_or_b32_sdwa v17, v0, v17 dst_sel:WORD_1 dst_unused:UNUSED_PAD src0_sel:BYTE_0 src1_sel:DWORD
	v_lshlrev_b32_e32 v16, 16, v16
	v_or_b32_sdwa v25, v18, v17 dst_sel:DWORD dst_unused:UNUSED_PAD src0_sel:WORD_0 src1_sel:DWORD
	v_lshlrev_b16_e32 v17, 8, v19
	s_and_b64 vcc, exec, s[4:5]
	v_or_b32_e32 v32, v17, v16
	s_cbranch_vccnz .LBB1068_185
; %bb.179:
	v_mov_b64_e32 v[18:19], s[28:29]
	v_mad_u64_u32 v[16:17], s[0:1], v8, s26, v[18:19]
	v_mul_lo_u32 v20, v8, s27
	v_mul_lo_u32 v21, v9, s26
	v_add3_u32 v17, v21, v17, v20
	v_mad_u64_u32 v[18:19], s[0:1], v2, s26, v[18:19]
	v_mul_lo_u32 v20, v2, s27
	v_mul_lo_u32 v21, v3, s26
	v_add3_u32 v19, v21, v19, v20
	global_load_ubyte v20, v[16:17], off
	global_load_ubyte v21, v[18:19], off
	s_waitcnt vmcnt(1)
	v_cmp_ne_u16_e32 vcc, 0, v20
	s_waitcnt vmcnt(0)
	v_cmp_ne_u16_e64 s[0:1], 0, v21
	s_xor_b64 s[6:7], vcc, s[0:1]
	s_mov_b64 s[0:1], -1
	s_xor_b64 s[6:7], s[6:7], -1
	s_and_saveexec_b64 s[14:15], s[6:7]
	s_cbranch_execz .LBB1068_187
; %bb.180:
	s_mov_b64 s[42:43], 1
	s_mov_b64 s[38:39], 0
                                        ; implicit-def: $sgpr40_sgpr41
	s_branch .LBB1068_183
.LBB1068_181:                           ;   in Loop: Header=BB1068_183 Depth=1
	v_lshl_add_u64 v[20:21], v[16:17], 0, s[42:43]
	v_lshl_add_u64 v[22:23], v[18:19], 0, s[42:43]
	global_load_ubyte v33, v[20:21], off
	global_load_ubyte v34, v[22:23], off
	s_waitcnt vmcnt(1)
	v_cmp_ne_u16_e64 s[0:1], 0, v33
	s_waitcnt vmcnt(0)
	v_cmp_ne_u16_e64 s[6:7], 0, v34
	s_xor_b64 s[6:7], s[0:1], s[6:7]
	s_add_u32 s0, s42, 1
	s_addc_u32 s1, s43, 0
	s_andn2_b64 s[40:41], s[40:41], exec
	s_and_b64 s[6:7], s[6:7], exec
	s_or_b64 s[40:41], s[40:41], s[6:7]
.LBB1068_182:                           ;   in Loop: Header=BB1068_183 Depth=1
	s_and_b64 s[6:7], exec, s[40:41]
	s_or_b64 s[38:39], s[6:7], s[38:39]
	v_mov_b64_e32 v[20:21], s[42:43]
	s_mov_b64 s[42:43], s[0:1]
	s_andn2_b64 exec, exec, s[38:39]
	s_cbranch_execz .LBB1068_186
.LBB1068_183:                           ; =>This Inner Loop Header: Depth=1
	s_or_b64 s[40:41], s[40:41], exec
	s_cmp_eq_u64 s[26:27], s[42:43]
	s_cbranch_scc0 .LBB1068_181
; %bb.184:                              ;   in Loop: Header=BB1068_183 Depth=1
                                        ; implicit-def: $sgpr0_sgpr1
	s_mov_b64 s[42:43], s[26:27]
	s_branch .LBB1068_182
.LBB1068_185:
                                        ; implicit-def: $sgpr0_sgpr1
                                        ; implicit-def: $vgpr18_vgpr19
	s_cbranch_execnz .LBB1068_195
	s_branch .LBB1068_196
.LBB1068_186:
	s_or_b64 exec, exec, s[38:39]
	v_cmp_gt_i64_e64 s[0:1], s[26:27], v[20:21]
	s_orn2_b64 s[0:1], s[0:1], exec
.LBB1068_187:
	s_or_b64 exec, exec, s[14:15]
	v_mov_b64_e32 v[18:19], s[28:29]
	v_mad_u64_u32 v[20:21], s[6:7], v6, s26, v[18:19]
	v_mul_lo_u32 v18, v6, s27
	v_mul_lo_u32 v19, v7, s26
	v_add3_u32 v21, v19, v21, v18
	global_load_ubyte v22, v[20:21], off
	v_mov_b32_e32 v18, 8
	v_cndmask_b32_e64 v19, 0, 1, s[0:1]
	s_mov_b32 s0, 0x3020104
	v_lshrrev_b32_sdwa v33, v18, v32 dst_sel:BYTE_1 dst_unused:UNUSED_PAD src0_sel:DWORD src1_sel:DWORD
	v_perm_b32 v18, v25, v25, s0
	v_or_b32_e32 v19, v19, v33
	v_bfe_u32 v23, v32, 16, 8
	v_and_b32_e32 v19, 0xffff, v19
	v_lshl_or_b32 v19, v23, 16, v19
	s_waitcnt vmcnt(0)
	v_cmp_ne_u16_e64 s[0:1], 0, v22
	s_xor_b64 s[6:7], vcc, s[0:1]
	s_mov_b64 s[0:1], -1
	s_xor_b64 s[14:15], s[6:7], -1
	s_and_saveexec_b64 s[6:7], s[14:15]
	s_cbranch_execz .LBB1068_194
; %bb.188:
	s_mov_b64 s[40:41], 1
	s_mov_b64 s[14:15], 0
                                        ; implicit-def: $sgpr38_sgpr39
	s_branch .LBB1068_191
.LBB1068_189:                           ;   in Loop: Header=BB1068_191 Depth=1
	v_lshl_add_u64 v[22:23], v[20:21], 0, s[40:41]
	v_lshl_add_u64 v[34:35], v[16:17], 0, s[40:41]
	global_load_ubyte v33, v[22:23], off
	global_load_ubyte v36, v[34:35], off
	s_waitcnt vmcnt(1)
	v_cmp_ne_u16_e32 vcc, 0, v33
	s_waitcnt vmcnt(0)
	v_cmp_ne_u16_e64 s[0:1], 0, v36
	s_xor_b64 s[42:43], vcc, s[0:1]
	s_add_u32 s0, s40, 1
	s_addc_u32 s1, s41, 0
	s_andn2_b64 s[38:39], s[38:39], exec
	s_and_b64 s[42:43], s[42:43], exec
	s_or_b64 s[38:39], s[38:39], s[42:43]
.LBB1068_190:                           ;   in Loop: Header=BB1068_191 Depth=1
	s_and_b64 s[42:43], exec, s[38:39]
	s_or_b64 s[14:15], s[42:43], s[14:15]
	v_mov_b64_e32 v[22:23], s[40:41]
	s_mov_b64 s[40:41], s[0:1]
	s_andn2_b64 exec, exec, s[14:15]
	s_cbranch_execz .LBB1068_193
.LBB1068_191:                           ; =>This Inner Loop Header: Depth=1
	s_or_b64 s[38:39], s[38:39], exec
	s_cmp_eq_u64 s[26:27], s[40:41]
	s_cbranch_scc0 .LBB1068_189
; %bb.192:                              ;   in Loop: Header=BB1068_191 Depth=1
                                        ; implicit-def: $sgpr0_sgpr1
	s_mov_b64 s[40:41], s[26:27]
	s_branch .LBB1068_190
.LBB1068_193:
	s_or_b64 exec, exec, s[14:15]
	v_cmp_gt_i64_e32 vcc, s[26:27], v[22:23]
	s_orn2_b64 s[0:1], vcc, exec
.LBB1068_194:
	s_or_b64 exec, exec, s[6:7]
	s_branch .LBB1068_196
.LBB1068_195:
	v_mov_b32_e32 v16, 8
	v_lshrrev_b32_sdwa v16, v16, v32 dst_sel:BYTE_1 dst_unused:UNUSED_PAD src0_sel:DWORD src1_sel:DWORD
	v_bfe_u32 v17, v32, 16, 8
	s_mov_b32 s6, 0x3020104
	v_lshl_or_b32 v19, v17, 16, v16
	v_perm_b32 v18, v25, v25, s6
	s_andn2_b64 s[0:1], s[0:1], exec
.LBB1068_196:
	v_mov_b32_e32 v17, 8
	v_cndmask_b32_e64 v16, 0, 1, s[0:1]
	s_movk_i32 s0, 0xff
	v_lshrrev_b32_sdwa v20, v17, v18 dst_sel:BYTE_1 dst_unused:UNUSED_PAD src0_sel:DWORD src1_sel:DWORD
	v_lshlrev_b16_e32 v16, 8, v16
	v_or_b32_sdwa v20, v18, v20 dst_sel:DWORD dst_unused:UNUSED_PAD src0_sel:BYTE_0 src1_sel:DWORD
	v_and_b32_sdwa v18, v18, s0 dst_sel:DWORD dst_unused:UNUSED_PAD src0_sel:WORD_1 src1_sel:DWORD
	v_or_b32_sdwa v16, v18, v16 dst_sel:WORD_1 dst_unused:UNUSED_PAD src0_sel:DWORD src1_sel:DWORD
	s_and_b64 vcc, exec, s[4:5]
	v_or_b32_sdwa v25, v20, v16 dst_sel:DWORD dst_unused:UNUSED_PAD src0_sel:WORD_0 src1_sel:DWORD
	v_lshrrev_b32_sdwa v16, v17, v19 dst_sel:BYTE_1 dst_unused:UNUSED_PAD src0_sel:DWORD src1_sel:DWORD
	v_bfe_u32 v17, v19, 16, 8
	v_or_b32_sdwa v16, v19, v16 dst_sel:DWORD dst_unused:UNUSED_PAD src0_sel:BYTE_0 src1_sel:DWORD
	v_and_b32_e32 v16, 0xffff, v16
	v_lshl_or_b32 v32, v17, 16, v16
	s_cbranch_vccnz .LBB1068_203
; %bb.197:
	v_mov_b64_e32 v[18:19], s[28:29]
	v_mad_u64_u32 v[16:17], s[0:1], v12, s26, v[18:19]
	v_mul_lo_u32 v20, v12, s27
	v_mul_lo_u32 v21, v13, s26
	v_add3_u32 v17, v21, v17, v20
	v_mad_u64_u32 v[18:19], s[0:1], v6, s26, v[18:19]
	v_mul_lo_u32 v20, v6, s27
	v_mul_lo_u32 v21, v7, s26
	v_add3_u32 v19, v21, v19, v20
	global_load_ubyte v20, v[16:17], off
	global_load_ubyte v21, v[18:19], off
	s_waitcnt vmcnt(1)
	v_cmp_ne_u16_e32 vcc, 0, v20
	s_waitcnt vmcnt(0)
	v_cmp_ne_u16_e64 s[0:1], 0, v21
	s_xor_b64 s[6:7], vcc, s[0:1]
	s_mov_b64 s[0:1], -1
	s_xor_b64 s[6:7], s[6:7], -1
	s_and_saveexec_b64 s[14:15], s[6:7]
	s_cbranch_execz .LBB1068_205
; %bb.198:
	s_mov_b64 s[42:43], 1
	s_mov_b64 s[38:39], 0
                                        ; implicit-def: $sgpr40_sgpr41
	s_branch .LBB1068_201
.LBB1068_199:                           ;   in Loop: Header=BB1068_201 Depth=1
	v_lshl_add_u64 v[20:21], v[16:17], 0, s[42:43]
	v_lshl_add_u64 v[22:23], v[18:19], 0, s[42:43]
	global_load_ubyte v33, v[20:21], off
	global_load_ubyte v34, v[22:23], off
	s_waitcnt vmcnt(1)
	v_cmp_ne_u16_e64 s[0:1], 0, v33
	s_waitcnt vmcnt(0)
	v_cmp_ne_u16_e64 s[6:7], 0, v34
	s_xor_b64 s[6:7], s[0:1], s[6:7]
	s_add_u32 s0, s42, 1
	s_addc_u32 s1, s43, 0
	s_andn2_b64 s[40:41], s[40:41], exec
	s_and_b64 s[6:7], s[6:7], exec
	s_or_b64 s[40:41], s[40:41], s[6:7]
.LBB1068_200:                           ;   in Loop: Header=BB1068_201 Depth=1
	s_and_b64 s[6:7], exec, s[40:41]
	s_or_b64 s[38:39], s[6:7], s[38:39]
	v_mov_b64_e32 v[20:21], s[42:43]
	s_mov_b64 s[42:43], s[0:1]
	s_andn2_b64 exec, exec, s[38:39]
	s_cbranch_execz .LBB1068_204
.LBB1068_201:                           ; =>This Inner Loop Header: Depth=1
	s_or_b64 s[40:41], s[40:41], exec
	s_cmp_eq_u64 s[26:27], s[42:43]
	s_cbranch_scc0 .LBB1068_199
; %bb.202:                              ;   in Loop: Header=BB1068_201 Depth=1
                                        ; implicit-def: $sgpr0_sgpr1
	s_mov_b64 s[42:43], s[26:27]
	s_branch .LBB1068_200
.LBB1068_203:
                                        ; implicit-def: $sgpr0_sgpr1
                                        ; implicit-def: $vgpr18_vgpr19
	s_cbranch_execnz .LBB1068_213
	s_branch .LBB1068_214
.LBB1068_204:
	s_or_b64 exec, exec, s[38:39]
	v_cmp_gt_i64_e64 s[0:1], s[26:27], v[20:21]
	s_orn2_b64 s[0:1], s[0:1], exec
.LBB1068_205:
	s_or_b64 exec, exec, s[14:15]
	v_mov_b64_e32 v[18:19], s[28:29]
	v_mad_u64_u32 v[20:21], s[6:7], v10, s26, v[18:19]
	v_mul_lo_u32 v18, v10, s27
	v_mul_lo_u32 v19, v11, s26
	v_add3_u32 v21, v19, v21, v18
	global_load_ubyte v22, v[20:21], off
	v_mov_b32_e32 v19, 8
	v_lshrrev_b32_e32 v33, 24, v25
	v_lshrrev_b32_sdwa v34, v19, v32 dst_sel:BYTE_1 dst_unused:UNUSED_PAD src0_sel:DWORD src1_sel:DWORD
	v_cndmask_b32_e64 v18, 0, 1, s[0:1]
	v_lshrrev_b32_sdwa v19, v19, v25 dst_sel:BYTE_1 dst_unused:UNUSED_PAD src0_sel:DWORD src1_sel:DWORD
	v_lshlrev_b16_e32 v33, 8, v33
	v_or_b32_sdwa v34, v32, v34 dst_sel:DWORD dst_unused:UNUSED_PAD src0_sel:BYTE_0 src1_sel:DWORD
	v_bfe_u32 v23, v32, 16, 8
	v_or_b32_sdwa v19, v25, v19 dst_sel:DWORD dst_unused:UNUSED_PAD src0_sel:BYTE_0 src1_sel:DWORD
	v_or_b32_sdwa v18, v18, v33 dst_sel:WORD_1 dst_unused:UNUSED_PAD src0_sel:DWORD src1_sel:DWORD
	v_and_b32_e32 v33, 0xffff, v34
	v_or_b32_sdwa v18, v19, v18 dst_sel:DWORD dst_unused:UNUSED_PAD src0_sel:WORD_0 src1_sel:DWORD
	v_lshl_or_b32 v19, v23, 16, v33
	s_waitcnt vmcnt(0)
	v_cmp_ne_u16_e64 s[0:1], 0, v22
	s_xor_b64 s[6:7], vcc, s[0:1]
	s_mov_b64 s[0:1], -1
	s_xor_b64 s[14:15], s[6:7], -1
	s_and_saveexec_b64 s[6:7], s[14:15]
	s_cbranch_execz .LBB1068_212
; %bb.206:
	s_mov_b64 s[40:41], 1
	s_mov_b64 s[14:15], 0
                                        ; implicit-def: $sgpr38_sgpr39
	s_branch .LBB1068_209
.LBB1068_207:                           ;   in Loop: Header=BB1068_209 Depth=1
	v_lshl_add_u64 v[22:23], v[20:21], 0, s[40:41]
	v_lshl_add_u64 v[34:35], v[16:17], 0, s[40:41]
	global_load_ubyte v33, v[22:23], off
	global_load_ubyte v36, v[34:35], off
	s_waitcnt vmcnt(1)
	v_cmp_ne_u16_e32 vcc, 0, v33
	s_waitcnt vmcnt(0)
	v_cmp_ne_u16_e64 s[0:1], 0, v36
	s_xor_b64 s[42:43], vcc, s[0:1]
	s_add_u32 s0, s40, 1
	s_addc_u32 s1, s41, 0
	s_andn2_b64 s[38:39], s[38:39], exec
	s_and_b64 s[42:43], s[42:43], exec
	s_or_b64 s[38:39], s[38:39], s[42:43]
.LBB1068_208:                           ;   in Loop: Header=BB1068_209 Depth=1
	s_and_b64 s[42:43], exec, s[38:39]
	s_or_b64 s[14:15], s[42:43], s[14:15]
	v_mov_b64_e32 v[22:23], s[40:41]
	s_mov_b64 s[40:41], s[0:1]
	s_andn2_b64 exec, exec, s[14:15]
	s_cbranch_execz .LBB1068_211
.LBB1068_209:                           ; =>This Inner Loop Header: Depth=1
	s_or_b64 s[38:39], s[38:39], exec
	s_cmp_eq_u64 s[26:27], s[40:41]
	s_cbranch_scc0 .LBB1068_207
; %bb.210:                              ;   in Loop: Header=BB1068_209 Depth=1
                                        ; implicit-def: $sgpr0_sgpr1
	s_mov_b64 s[40:41], s[26:27]
	s_branch .LBB1068_208
.LBB1068_211:
	s_or_b64 exec, exec, s[14:15]
	v_cmp_gt_i64_e32 vcc, s[26:27], v[22:23]
	s_orn2_b64 s[0:1], vcc, exec
.LBB1068_212:
	s_or_b64 exec, exec, s[6:7]
	s_branch .LBB1068_214
.LBB1068_213:
	v_mov_b32_e32 v16, 8
	v_lshrrev_b32_sdwa v17, v16, v32 dst_sel:BYTE_1 dst_unused:UNUSED_PAD src0_sel:DWORD src1_sel:DWORD
	v_lshrrev_b32_sdwa v16, v16, v25 dst_sel:BYTE_1 dst_unused:UNUSED_PAD src0_sel:DWORD src1_sel:DWORD
	v_or_b32_sdwa v17, v32, v17 dst_sel:DWORD dst_unused:UNUSED_PAD src0_sel:BYTE_0 src1_sel:DWORD
	v_or_b32_sdwa v16, v25, v16 dst_sel:DWORD dst_unused:UNUSED_PAD src0_sel:BYTE_0 src1_sel:DWORD
	v_and_b32_e32 v17, 0xffff, v17
	v_bfe_u32 v18, v32, 16, 8
	v_and_b32_e32 v16, 0xffff, v16
	s_mov_b32 s6, 0xff000000
	v_lshl_or_b32 v19, v18, 16, v17
	v_and_or_b32 v18, v25, s6, v16
	s_andn2_b64 s[0:1], s[0:1], exec
.LBB1068_214:
	v_mov_b32_e32 v17, 8
	v_lshrrev_b32_sdwa v17, v17, v19 dst_sel:BYTE_1 dst_unused:UNUSED_PAD src0_sel:DWORD src1_sel:DWORD
	v_cndmask_b32_e64 v16, 0, 1, s[0:1]
	v_or_b32_sdwa v17, v19, v17 dst_sel:DWORD dst_unused:UNUSED_PAD src0_sel:BYTE_0 src1_sel:DWORD
	v_and_b32_e32 v17, 0xffff, v17
	v_bfe_u32 v19, v19, 16, 8
	s_movk_i32 s0, 0xff
	v_lshl_or_b32 v17, v19, 16, v17
	v_lshrrev_b32_e32 v19, 24, v18
	v_lshlrev_b16_e32 v19, 8, v19
	v_and_b32_sdwa v18, v18, s0 dst_sel:DWORD dst_unused:UNUSED_PAD src0_sel:WORD_1 src1_sel:DWORD
	v_lshlrev_b16_e32 v16, 8, v16
	v_or_b32_sdwa v18, v18, v19 dst_sel:WORD_1 dst_unused:UNUSED_PAD src0_sel:DWORD src1_sel:DWORD
	v_or_b32_e32 v16, 1, v16
	v_or_b32_sdwa v16, v16, v18 dst_sel:DWORD dst_unused:UNUSED_PAD src0_sel:WORD_0 src1_sel:DWORD
	s_waitcnt lgkmcnt(0)
	s_barrier
	s_waitcnt lgkmcnt(0)
                                        ; implicit-def: $sgpr0_sgpr1
                                        ; implicit-def: $vgpr34
                                        ; implicit-def: $vgpr18
                                        ; implicit-def: $vgpr19
                                        ; implicit-def: $vgpr20
	s_and_saveexec_b64 s[6:7], s[2:3]
	s_xor_b64 s[6:7], exec, s[6:7]
	s_cbranch_execz .LBB1068_225
; %bb.215:
	s_mov_b32 s42, 0x3020104
	s_and_b64 vcc, exec, s[4:5]
	s_mov_b64 s[0:1], 0
	s_cbranch_vccnz .LBB1068_224
; %bb.216:
	v_add_u32_e32 v18, -8, v24
	ds_read_b64 v[18:19], v18
	v_mov_b64_e32 v[20:21], s[28:29]
	s_waitcnt lgkmcnt(0)
	v_mul_lo_u32 v22, v18, s27
	v_mul_lo_u32 v23, v19, s26
	v_mad_u64_u32 v[18:19], s[0:1], v18, s26, v[20:21]
	v_add3_u32 v19, v23, v19, v22
	v_mad_u64_u32 v[20:21], s[0:1], v10, s26, v[20:21]
	v_mul_lo_u32 v22, v10, s27
	v_mul_lo_u32 v23, v11, s26
	v_add3_u32 v21, v23, v21, v22
	global_load_ubyte v22, v[18:19], off
	global_load_ubyte v23, v[20:21], off
	s_waitcnt vmcnt(1)
	v_cmp_ne_u16_e32 vcc, 0, v22
	s_waitcnt vmcnt(0)
	v_cmp_ne_u16_e64 s[0:1], 0, v23
	s_xor_b64 s[4:5], vcc, s[0:1]
	s_mov_b64 s[0:1], -1
	s_xor_b64 s[14:15], s[4:5], -1
	s_and_saveexec_b64 s[4:5], s[14:15]
	s_cbranch_execz .LBB1068_223
; %bb.217:
	s_mov_b64 s[40:41], 1
	s_mov_b64 s[14:15], 0
                                        ; implicit-def: $sgpr38_sgpr39
	s_branch .LBB1068_220
.LBB1068_218:                           ;   in Loop: Header=BB1068_220 Depth=1
	v_lshl_add_u64 v[22:23], v[18:19], 0, s[40:41]
	v_lshl_add_u64 v[32:33], v[20:21], 0, s[40:41]
	global_load_ubyte v25, v[22:23], off
	global_load_ubyte v34, v[32:33], off
	s_waitcnt vmcnt(1)
	v_cmp_ne_u16_e32 vcc, 0, v25
	s_waitcnt vmcnt(0)
	v_cmp_ne_u16_e64 s[0:1], 0, v34
	s_xor_b64 s[44:45], vcc, s[0:1]
	s_add_u32 s0, s40, 1
	s_addc_u32 s1, s41, 0
	s_andn2_b64 s[38:39], s[38:39], exec
	s_and_b64 s[44:45], s[44:45], exec
	s_or_b64 s[38:39], s[38:39], s[44:45]
.LBB1068_219:                           ;   in Loop: Header=BB1068_220 Depth=1
	s_and_b64 s[44:45], exec, s[38:39]
	s_or_b64 s[14:15], s[44:45], s[14:15]
	v_mov_b64_e32 v[22:23], s[40:41]
	s_mov_b64 s[40:41], s[0:1]
	s_andn2_b64 exec, exec, s[14:15]
	s_cbranch_execz .LBB1068_222
.LBB1068_220:                           ; =>This Inner Loop Header: Depth=1
	s_or_b64 s[38:39], s[38:39], exec
	s_cmp_eq_u64 s[26:27], s[40:41]
	s_cbranch_scc0 .LBB1068_218
; %bb.221:                              ;   in Loop: Header=BB1068_220 Depth=1
                                        ; implicit-def: $sgpr0_sgpr1
	s_mov_b64 s[40:41], s[26:27]
	s_branch .LBB1068_219
.LBB1068_222:
	s_or_b64 exec, exec, s[14:15]
	v_cmp_gt_i64_e32 vcc, s[26:27], v[22:23]
	s_orn2_b64 s[0:1], vcc, exec
.LBB1068_223:
	s_or_b64 exec, exec, s[4:5]
.LBB1068_224:
	v_perm_b32 v20, v16, v16, s42
	v_lshrrev_b32_e32 v18, 8, v17
	v_lshrrev_b32_e32 v34, 16, v17
	s_and_b64 s[0:1], s[0:1], exec
	s_or_b64 s[10:11], s[10:11], exec
	v_mov_b32_e32 v19, v17
                                        ; implicit-def: $vgpr16_vgpr17
.LBB1068_225:
	s_or_b64 exec, exec, s[6:7]
	s_branch .LBB1068_292
.LBB1068_226:
	v_cmp_gt_u32_e32 vcc, s52, v29
	s_xor_b64 s[4:5], s[12:13], -1
	s_mov_b64 s[38:39], -1
	s_and_b64 s[0:1], vcc, s[4:5]
	s_mov_b64 s[12:13], 0
	v_mul_lo_u32 v25, v4, s27
	v_mul_lo_u32 v32, v5, s26
	s_mov_b64 s[6:7], 0
	s_and_saveexec_b64 s[14:15], s[0:1]
	s_cbranch_execz .LBB1068_235
; %bb.227:
	v_mov_b64_e32 v[18:19], s[28:29]
	s_waitcnt vmcnt(0) lgkmcnt(1)
	v_mad_u64_u32 v[16:17], s[0:1], v4, s26, v[18:19]
	v_add3_u32 v17, v32, v17, v25
	v_mad_u64_u32 v[18:19], s[0:1], v14, s26, v[18:19]
	v_mul_lo_u32 v20, v14, s27
	v_mul_lo_u32 v21, v15, s26
	v_add3_u32 v19, v21, v19, v20
	global_load_ubyte v20, v[16:17], off
	global_load_ubyte v21, v[18:19], off
	s_waitcnt vmcnt(1)
	v_cmp_ne_u16_e32 vcc, 0, v20
	s_waitcnt vmcnt(0)
	v_cmp_ne_u16_e64 s[0:1], 0, v21
	s_xor_b64 s[0:1], vcc, s[0:1]
	s_xor_b64 s[0:1], s[0:1], -1
	s_and_saveexec_b64 s[6:7], s[0:1]
	s_cbranch_execz .LBB1068_234
; %bb.228:
	s_mov_b64 s[42:43], 1
	s_mov_b64 s[38:39], 0
                                        ; implicit-def: $sgpr40_sgpr41
	s_branch .LBB1068_231
.LBB1068_229:                           ;   in Loop: Header=BB1068_231 Depth=1
	v_lshl_add_u64 v[20:21], v[16:17], 0, s[42:43]
	v_lshl_add_u64 v[22:23], v[18:19], 0, s[42:43]
	global_load_ubyte v33, v[20:21], off
	global_load_ubyte v34, v[22:23], off
	s_waitcnt vmcnt(1)
	v_cmp_ne_u16_e32 vcc, 0, v33
	s_waitcnt vmcnt(0)
	v_cmp_ne_u16_e64 s[0:1], 0, v34
	s_xor_b64 s[44:45], vcc, s[0:1]
	s_add_u32 s0, s42, 1
	s_addc_u32 s1, s43, 0
	s_andn2_b64 s[40:41], s[40:41], exec
	s_and_b64 s[44:45], s[44:45], exec
	s_or_b64 s[40:41], s[40:41], s[44:45]
.LBB1068_230:                           ;   in Loop: Header=BB1068_231 Depth=1
	s_and_b64 s[44:45], exec, s[40:41]
	s_or_b64 s[38:39], s[44:45], s[38:39]
	v_mov_b64_e32 v[20:21], s[42:43]
	s_mov_b64 s[42:43], s[0:1]
	s_andn2_b64 exec, exec, s[38:39]
	s_cbranch_execz .LBB1068_233
.LBB1068_231:                           ; =>This Inner Loop Header: Depth=1
	s_or_b64 s[40:41], s[40:41], exec
	s_cmp_eq_u64 s[26:27], s[42:43]
	s_cbranch_scc0 .LBB1068_229
; %bb.232:                              ;   in Loop: Header=BB1068_231 Depth=1
                                        ; implicit-def: $sgpr0_sgpr1
	s_mov_b64 s[42:43], s[26:27]
	s_branch .LBB1068_230
.LBB1068_233:
	s_or_b64 exec, exec, s[38:39]
	v_cmp_gt_i64_e32 vcc, s[26:27], v[20:21]
	s_orn2_b64 s[38:39], vcc, exec
.LBB1068_234:
	s_or_b64 exec, exec, s[6:7]
	s_and_b64 s[6:7], s[38:39], exec
.LBB1068_235:
	s_or_b64 exec, exec, s[14:15]
	v_cmp_gt_u32_e32 vcc, s52, v31
	s_and_b64 s[0:1], vcc, s[4:5]
	s_waitcnt lgkmcnt(1)
	v_mul_lo_u32 v22, v2, s27
	v_mul_lo_u32 v23, v3, s26
	s_and_saveexec_b64 s[14:15], s[0:1]
	s_cbranch_execz .LBB1068_244
; %bb.236:
	v_mov_b64_e32 v[18:19], s[28:29]
	s_waitcnt vmcnt(0)
	v_mad_u64_u32 v[16:17], s[0:1], v2, s26, v[18:19]
	v_add3_u32 v17, v23, v17, v22
	v_mad_u64_u32 v[18:19], s[0:1], v4, s26, v[18:19]
	v_add3_u32 v19, v32, v19, v25
	global_load_ubyte v20, v[16:17], off
	global_load_ubyte v21, v[18:19], off
	s_waitcnt vmcnt(1)
	v_cmp_ne_u16_e32 vcc, 0, v20
	s_waitcnt vmcnt(0)
	v_cmp_ne_u16_e64 s[0:1], 0, v21
	s_xor_b64 s[12:13], vcc, s[0:1]
	s_mov_b64 s[0:1], -1
	s_xor_b64 s[38:39], s[12:13], -1
	s_and_saveexec_b64 s[12:13], s[38:39]
	s_cbranch_execz .LBB1068_243
; %bb.237:
	s_mov_b64 s[42:43], 1
	s_mov_b64 s[38:39], 0
                                        ; implicit-def: $sgpr40_sgpr41
	s_branch .LBB1068_240
.LBB1068_238:                           ;   in Loop: Header=BB1068_240 Depth=1
	v_lshl_add_u64 v[20:21], v[16:17], 0, s[42:43]
	v_lshl_add_u64 v[32:33], v[18:19], 0, s[42:43]
	global_load_ubyte v25, v[20:21], off
	global_load_ubyte v34, v[32:33], off
	s_waitcnt vmcnt(1)
	v_cmp_ne_u16_e32 vcc, 0, v25
	s_waitcnt vmcnt(0)
	v_cmp_ne_u16_e64 s[0:1], 0, v34
	s_xor_b64 s[44:45], vcc, s[0:1]
	s_add_u32 s0, s42, 1
	s_addc_u32 s1, s43, 0
	s_andn2_b64 s[40:41], s[40:41], exec
	s_and_b64 s[44:45], s[44:45], exec
	s_or_b64 s[40:41], s[40:41], s[44:45]
.LBB1068_239:                           ;   in Loop: Header=BB1068_240 Depth=1
	s_and_b64 s[44:45], exec, s[40:41]
	s_or_b64 s[38:39], s[44:45], s[38:39]
	v_mov_b64_e32 v[20:21], s[42:43]
	s_mov_b64 s[42:43], s[0:1]
	s_andn2_b64 exec, exec, s[38:39]
	s_cbranch_execz .LBB1068_242
.LBB1068_240:                           ; =>This Inner Loop Header: Depth=1
	s_or_b64 s[40:41], s[40:41], exec
	s_cmp_eq_u64 s[26:27], s[42:43]
	s_cbranch_scc0 .LBB1068_238
; %bb.241:                              ;   in Loop: Header=BB1068_240 Depth=1
                                        ; implicit-def: $sgpr0_sgpr1
	s_mov_b64 s[42:43], s[26:27]
	s_branch .LBB1068_239
.LBB1068_242:
	s_or_b64 exec, exec, s[38:39]
	v_cmp_gt_i64_e32 vcc, s[26:27], v[20:21]
	s_orn2_b64 s[0:1], vcc, exec
.LBB1068_243:
	s_or_b64 exec, exec, s[12:13]
	s_and_b64 s[12:13], s[0:1], exec
.LBB1068_244:
	s_or_b64 exec, exec, s[14:15]
	v_cmp_gt_u32_e32 vcc, s52, v28
	s_mov_b64 s[42:43], -1
	s_and_b64 s[0:1], vcc, s[4:5]
	s_mov_b64 s[14:15], 0
	v_mul_lo_u32 v25, v8, s27
	v_mul_lo_u32 v32, v9, s26
	s_mov_b64 s[38:39], 0
	s_and_saveexec_b64 s[40:41], s[0:1]
	s_cbranch_execz .LBB1068_253
; %bb.245:
	v_mov_b64_e32 v[18:19], s[28:29]
	s_waitcnt vmcnt(0)
	v_mad_u64_u32 v[16:17], s[0:1], v8, s26, v[18:19]
	v_add3_u32 v17, v32, v17, v25
	v_mad_u64_u32 v[18:19], s[0:1], v2, s26, v[18:19]
	v_add3_u32 v19, v23, v19, v22
	global_load_ubyte v20, v[16:17], off
	global_load_ubyte v21, v[18:19], off
	s_waitcnt vmcnt(1)
	v_cmp_ne_u16_e32 vcc, 0, v20
	s_waitcnt vmcnt(0)
	v_cmp_ne_u16_e64 s[0:1], 0, v21
	s_xor_b64 s[0:1], vcc, s[0:1]
	s_xor_b64 s[0:1], s[0:1], -1
	s_and_saveexec_b64 s[38:39], s[0:1]
	s_cbranch_execz .LBB1068_252
; %bb.246:
	s_mov_b64 s[46:47], 1
	s_mov_b64 s[42:43], 0
                                        ; implicit-def: $sgpr44_sgpr45
	s_branch .LBB1068_249
.LBB1068_247:                           ;   in Loop: Header=BB1068_249 Depth=1
	v_lshl_add_u64 v[20:21], v[16:17], 0, s[46:47]
	v_lshl_add_u64 v[22:23], v[18:19], 0, s[46:47]
	global_load_ubyte v33, v[20:21], off
	global_load_ubyte v34, v[22:23], off
	s_waitcnt vmcnt(1)
	v_cmp_ne_u16_e32 vcc, 0, v33
	s_waitcnt vmcnt(0)
	v_cmp_ne_u16_e64 s[0:1], 0, v34
	s_xor_b64 s[48:49], vcc, s[0:1]
	s_add_u32 s0, s46, 1
	s_addc_u32 s1, s47, 0
	s_andn2_b64 s[44:45], s[44:45], exec
	s_and_b64 s[48:49], s[48:49], exec
	s_or_b64 s[44:45], s[44:45], s[48:49]
.LBB1068_248:                           ;   in Loop: Header=BB1068_249 Depth=1
	s_and_b64 s[48:49], exec, s[44:45]
	s_or_b64 s[42:43], s[48:49], s[42:43]
	v_mov_b64_e32 v[20:21], s[46:47]
	s_mov_b64 s[46:47], s[0:1]
	s_andn2_b64 exec, exec, s[42:43]
	s_cbranch_execz .LBB1068_251
.LBB1068_249:                           ; =>This Inner Loop Header: Depth=1
	s_or_b64 s[44:45], s[44:45], exec
	s_cmp_eq_u64 s[26:27], s[46:47]
	s_cbranch_scc0 .LBB1068_247
; %bb.250:                              ;   in Loop: Header=BB1068_249 Depth=1
                                        ; implicit-def: $sgpr0_sgpr1
	s_mov_b64 s[46:47], s[26:27]
	s_branch .LBB1068_248
.LBB1068_251:
	s_or_b64 exec, exec, s[42:43]
	v_cmp_gt_i64_e32 vcc, s[26:27], v[20:21]
	s_orn2_b64 s[42:43], vcc, exec
.LBB1068_252:
	s_or_b64 exec, exec, s[38:39]
	s_and_b64 s[38:39], s[42:43], exec
.LBB1068_253:
	s_or_b64 exec, exec, s[40:41]
	v_cmp_gt_u32_e32 vcc, s52, v30
	s_and_b64 s[0:1], vcc, s[4:5]
	v_mul_lo_u32 v22, v6, s27
	v_mul_lo_u32 v23, v7, s26
	s_and_saveexec_b64 s[40:41], s[0:1]
	s_cbranch_execz .LBB1068_262
; %bb.254:
	v_mov_b64_e32 v[18:19], s[28:29]
	s_waitcnt vmcnt(0)
	v_mad_u64_u32 v[16:17], s[0:1], v6, s26, v[18:19]
	v_add3_u32 v17, v23, v17, v22
	v_mad_u64_u32 v[18:19], s[0:1], v8, s26, v[18:19]
	v_add3_u32 v19, v32, v19, v25
	global_load_ubyte v20, v[16:17], off
	global_load_ubyte v21, v[18:19], off
	s_waitcnt vmcnt(1)
	v_cmp_ne_u16_e32 vcc, 0, v20
	s_waitcnt vmcnt(0)
	v_cmp_ne_u16_e64 s[0:1], 0, v21
	s_xor_b64 s[14:15], vcc, s[0:1]
	s_mov_b64 s[0:1], -1
	s_xor_b64 s[42:43], s[14:15], -1
	s_and_saveexec_b64 s[14:15], s[42:43]
	s_cbranch_execz .LBB1068_261
; %bb.255:
	s_mov_b64 s[46:47], 1
	s_mov_b64 s[42:43], 0
                                        ; implicit-def: $sgpr44_sgpr45
	s_branch .LBB1068_258
.LBB1068_256:                           ;   in Loop: Header=BB1068_258 Depth=1
	v_lshl_add_u64 v[20:21], v[16:17], 0, s[46:47]
	v_lshl_add_u64 v[32:33], v[18:19], 0, s[46:47]
	global_load_ubyte v25, v[20:21], off
	global_load_ubyte v34, v[32:33], off
	s_waitcnt vmcnt(1)
	v_cmp_ne_u16_e32 vcc, 0, v25
	s_waitcnt vmcnt(0)
	v_cmp_ne_u16_e64 s[0:1], 0, v34
	s_xor_b64 s[48:49], vcc, s[0:1]
	s_add_u32 s0, s46, 1
	s_addc_u32 s1, s47, 0
	s_andn2_b64 s[44:45], s[44:45], exec
	s_and_b64 s[48:49], s[48:49], exec
	s_or_b64 s[44:45], s[44:45], s[48:49]
.LBB1068_257:                           ;   in Loop: Header=BB1068_258 Depth=1
	s_and_b64 s[48:49], exec, s[44:45]
	s_or_b64 s[42:43], s[48:49], s[42:43]
	v_mov_b64_e32 v[20:21], s[46:47]
	s_mov_b64 s[46:47], s[0:1]
	s_andn2_b64 exec, exec, s[42:43]
	s_cbranch_execz .LBB1068_260
.LBB1068_258:                           ; =>This Inner Loop Header: Depth=1
	s_or_b64 s[44:45], s[44:45], exec
	s_cmp_eq_u64 s[26:27], s[46:47]
	s_cbranch_scc0 .LBB1068_256
; %bb.259:                              ;   in Loop: Header=BB1068_258 Depth=1
                                        ; implicit-def: $sgpr0_sgpr1
	s_mov_b64 s[46:47], s[26:27]
	s_branch .LBB1068_257
.LBB1068_260:
	s_or_b64 exec, exec, s[42:43]
	v_cmp_gt_i64_e32 vcc, s[26:27], v[20:21]
	s_orn2_b64 s[0:1], vcc, exec
.LBB1068_261:
	s_or_b64 exec, exec, s[14:15]
	s_and_b64 s[14:15], s[0:1], exec
.LBB1068_262:
	s_or_b64 exec, exec, s[40:41]
	v_cmp_gt_u32_e32 vcc, s52, v26
	s_mov_b64 s[46:47], -1
	s_and_b64 s[0:1], vcc, s[4:5]
	s_mov_b64 s[40:41], 0
	v_mul_lo_u32 v25, v12, s27
	v_mul_lo_u32 v32, v13, s26
	s_mov_b64 s[42:43], 0
	s_and_saveexec_b64 s[44:45], s[0:1]
	s_cbranch_execz .LBB1068_271
; %bb.263:
	v_mov_b64_e32 v[18:19], s[28:29]
	s_waitcnt vmcnt(0)
	v_mad_u64_u32 v[16:17], s[0:1], v12, s26, v[18:19]
	v_add3_u32 v17, v32, v17, v25
	v_mad_u64_u32 v[18:19], s[0:1], v6, s26, v[18:19]
	v_add3_u32 v19, v23, v19, v22
	global_load_ubyte v20, v[16:17], off
	global_load_ubyte v21, v[18:19], off
	s_waitcnt vmcnt(1)
	v_cmp_ne_u16_e32 vcc, 0, v20
	s_waitcnt vmcnt(0)
	v_cmp_ne_u16_e64 s[0:1], 0, v21
	s_xor_b64 s[0:1], vcc, s[0:1]
	s_xor_b64 s[0:1], s[0:1], -1
	s_and_saveexec_b64 s[42:43], s[0:1]
	s_cbranch_execz .LBB1068_270
; %bb.264:
	s_mov_b64 s[50:51], 1
	s_mov_b64 s[46:47], 0
                                        ; implicit-def: $sgpr48_sgpr49
	s_branch .LBB1068_267
.LBB1068_265:                           ;   in Loop: Header=BB1068_267 Depth=1
	v_lshl_add_u64 v[20:21], v[16:17], 0, s[50:51]
	v_lshl_add_u64 v[22:23], v[18:19], 0, s[50:51]
	global_load_ubyte v20, v[20:21], off
	s_nop 0
	global_load_ubyte v21, v[22:23], off
	s_waitcnt vmcnt(1)
	v_cmp_ne_u16_e32 vcc, 0, v20
	s_waitcnt vmcnt(0)
	v_cmp_ne_u16_e64 s[0:1], 0, v21
	s_xor_b64 s[54:55], vcc, s[0:1]
	s_add_u32 s0, s50, 1
	s_addc_u32 s1, s51, 0
	s_andn2_b64 s[48:49], s[48:49], exec
	s_and_b64 s[54:55], s[54:55], exec
	s_or_b64 s[48:49], s[48:49], s[54:55]
.LBB1068_266:                           ;   in Loop: Header=BB1068_267 Depth=1
	s_and_b64 s[54:55], exec, s[48:49]
	s_or_b64 s[46:47], s[54:55], s[46:47]
	v_mov_b64_e32 v[20:21], s[50:51]
	s_mov_b64 s[50:51], s[0:1]
	s_andn2_b64 exec, exec, s[46:47]
	s_cbranch_execz .LBB1068_269
.LBB1068_267:                           ; =>This Inner Loop Header: Depth=1
	s_or_b64 s[48:49], s[48:49], exec
	s_cmp_eq_u64 s[26:27], s[50:51]
	s_cbranch_scc0 .LBB1068_265
; %bb.268:                              ;   in Loop: Header=BB1068_267 Depth=1
                                        ; implicit-def: $sgpr0_sgpr1
	s_mov_b64 s[50:51], s[26:27]
	s_branch .LBB1068_266
.LBB1068_269:
	s_or_b64 exec, exec, s[46:47]
	v_cmp_gt_i64_e32 vcc, s[26:27], v[20:21]
	s_orn2_b64 s[46:47], vcc, exec
.LBB1068_270:
	s_or_b64 exec, exec, s[42:43]
	s_and_b64 s[42:43], s[46:47], exec
.LBB1068_271:
	s_or_b64 exec, exec, s[44:45]
	v_cmp_gt_u32_e32 vcc, s52, v27
	s_and_b64 s[0:1], vcc, s[4:5]
	s_and_saveexec_b64 s[44:45], s[0:1]
	s_cbranch_execz .LBB1068_280
; %bb.272:
	v_mov_b64_e32 v[18:19], s[28:29]
	s_waitcnt vmcnt(0)
	v_mad_u64_u32 v[16:17], s[0:1], v10, s26, v[18:19]
	v_mul_lo_u32 v20, v10, s27
	v_mul_lo_u32 v21, v11, s26
	v_add3_u32 v17, v21, v17, v20
	v_mad_u64_u32 v[18:19], s[0:1], v12, s26, v[18:19]
	v_add3_u32 v19, v32, v19, v25
	global_load_ubyte v20, v[16:17], off
	global_load_ubyte v21, v[18:19], off
	s_waitcnt vmcnt(1)
	v_cmp_ne_u16_e32 vcc, 0, v20
	s_waitcnt vmcnt(0)
	v_cmp_ne_u16_e64 s[0:1], 0, v21
	s_xor_b64 s[40:41], vcc, s[0:1]
	s_mov_b64 s[0:1], -1
	s_xor_b64 s[46:47], s[40:41], -1
	s_and_saveexec_b64 s[40:41], s[46:47]
	s_cbranch_execz .LBB1068_279
; %bb.273:
	s_mov_b64 s[50:51], 1
	s_mov_b64 s[46:47], 0
                                        ; implicit-def: $sgpr48_sgpr49
	s_branch .LBB1068_276
.LBB1068_274:                           ;   in Loop: Header=BB1068_276 Depth=1
	v_lshl_add_u64 v[20:21], v[16:17], 0, s[50:51]
	v_lshl_add_u64 v[22:23], v[18:19], 0, s[50:51]
	global_load_ubyte v20, v[20:21], off
	s_nop 0
	global_load_ubyte v21, v[22:23], off
	s_waitcnt vmcnt(1)
	v_cmp_ne_u16_e32 vcc, 0, v20
	s_waitcnt vmcnt(0)
	v_cmp_ne_u16_e64 s[0:1], 0, v21
	s_xor_b64 s[54:55], vcc, s[0:1]
	s_add_u32 s0, s50, 1
	s_addc_u32 s1, s51, 0
	s_andn2_b64 s[48:49], s[48:49], exec
	s_and_b64 s[54:55], s[54:55], exec
	s_or_b64 s[48:49], s[48:49], s[54:55]
.LBB1068_275:                           ;   in Loop: Header=BB1068_276 Depth=1
	s_and_b64 s[54:55], exec, s[48:49]
	s_or_b64 s[46:47], s[54:55], s[46:47]
	v_mov_b64_e32 v[20:21], s[50:51]
	s_mov_b64 s[50:51], s[0:1]
	s_andn2_b64 exec, exec, s[46:47]
	s_cbranch_execz .LBB1068_278
.LBB1068_276:                           ; =>This Inner Loop Header: Depth=1
	s_or_b64 s[48:49], s[48:49], exec
	s_cmp_eq_u64 s[26:27], s[50:51]
	s_cbranch_scc0 .LBB1068_274
; %bb.277:                              ;   in Loop: Header=BB1068_276 Depth=1
                                        ; implicit-def: $sgpr0_sgpr1
	s_mov_b64 s[50:51], s[26:27]
	s_branch .LBB1068_275
.LBB1068_278:
	s_or_b64 exec, exec, s[46:47]
	v_cmp_gt_i64_e32 vcc, s[26:27], v[20:21]
	s_orn2_b64 s[0:1], vcc, exec
.LBB1068_279:
	s_or_b64 exec, exec, s[40:41]
	s_and_b64 s[40:41], s[0:1], exec
.LBB1068_280:
	s_or_b64 exec, exec, s[44:45]
	s_waitcnt vmcnt(0)
	v_cndmask_b32_e64 v17, 0, 1, s[14:15]
	v_cndmask_b32_e64 v16, 0, 1, s[42:43]
	;; [unrolled: 1-line block ×3, first 2 shown]
	v_lshlrev_b16_e32 v17, 8, v17
	v_cndmask_b32_e64 v19, 0, 1, s[38:39]
	v_cndmask_b32_e64 v20, 0, 1, s[40:41]
	v_or_b32_sdwa v16, v16, v17 dst_sel:WORD_1 dst_unused:UNUSED_PAD src0_sel:DWORD src1_sel:DWORD
	v_lshlrev_b16_e32 v17, 8, v18
	v_lshlrev_b16_e32 v20, 8, v20
	v_or_b32_e32 v17, v19, v17
	v_or_b32_e32 v20, 1, v20
	v_and_b32_e32 v17, 0xffff, v17
	v_cndmask_b32_e64 v34, 0, 1, s[6:7]
	v_or_b32_sdwa v16, v20, v16 dst_sel:DWORD dst_unused:UNUSED_PAD src0_sel:WORD_0 src1_sel:DWORD
	v_lshl_or_b32 v17, v34, 16, v17
	s_waitcnt lgkmcnt(0)
	s_barrier
	s_waitcnt lgkmcnt(0)
                                        ; implicit-def: $sgpr0_sgpr1
                                        ; implicit-def: $vgpr20
	s_and_saveexec_b64 s[6:7], s[2:3]
	s_cbranch_execz .LBB1068_291
; %bb.281:
	v_cmp_gt_u32_e32 vcc, s52, v1
	s_mov_b64 s[12:13], -1
	s_and_b64 s[4:5], vcc, s[4:5]
	s_mov_b32 s38, 0x3020104
	s_mov_b64 s[0:1], 0
	s_and_saveexec_b64 s[2:3], s[4:5]
	s_cbranch_execz .LBB1068_290
; %bb.282:
	v_add_u32_e32 v17, -8, v24
	ds_read_b64 v[20:21], v17
	v_mov_b64_e32 v[22:23], s[28:29]
	s_waitcnt lgkmcnt(0)
	v_mul_lo_u32 v17, v20, s27
	v_mul_lo_u32 v24, v21, s26
	v_mad_u64_u32 v[20:21], s[0:1], v20, s26, v[22:23]
	v_add3_u32 v21, v24, v21, v17
	v_mad_u64_u32 v[22:23], s[0:1], v10, s26, v[22:23]
	v_mul_lo_u32 v17, v10, s27
	v_mul_lo_u32 v24, v11, s26
	v_add3_u32 v23, v24, v23, v17
	global_load_ubyte v17, v[20:21], off
	global_load_ubyte v24, v[22:23], off
	s_waitcnt vmcnt(1)
	v_cmp_ne_u16_e32 vcc, 0, v17
	s_waitcnt vmcnt(0)
	v_cmp_ne_u16_e64 s[0:1], 0, v24
	s_xor_b64 s[0:1], vcc, s[0:1]
	s_xor_b64 s[0:1], s[0:1], -1
	s_and_saveexec_b64 s[4:5], s[0:1]
	s_cbranch_execz .LBB1068_289
; %bb.283:
	s_mov_b64 s[28:29], 1
	s_mov_b64 s[12:13], 0
                                        ; implicit-def: $sgpr14_sgpr15
	s_branch .LBB1068_286
.LBB1068_284:                           ;   in Loop: Header=BB1068_286 Depth=1
	v_lshl_add_u64 v[24:25], v[20:21], 0, s[28:29]
	v_lshl_add_u64 v[32:33], v[22:23], 0, s[28:29]
	global_load_ubyte v17, v[24:25], off
	global_load_ubyte v35, v[32:33], off
	s_waitcnt vmcnt(1)
	v_cmp_ne_u16_e32 vcc, 0, v17
	s_waitcnt vmcnt(0)
	v_cmp_ne_u16_e64 s[0:1], 0, v35
	s_xor_b64 s[40:41], vcc, s[0:1]
	s_add_u32 s0, s28, 1
	s_addc_u32 s1, s29, 0
	s_andn2_b64 s[14:15], s[14:15], exec
	s_and_b64 s[40:41], s[40:41], exec
	s_or_b64 s[14:15], s[14:15], s[40:41]
.LBB1068_285:                           ;   in Loop: Header=BB1068_286 Depth=1
	s_and_b64 s[40:41], exec, s[14:15]
	s_or_b64 s[12:13], s[40:41], s[12:13]
	v_mov_b64_e32 v[24:25], s[28:29]
	s_mov_b64 s[28:29], s[0:1]
	s_andn2_b64 exec, exec, s[12:13]
	s_cbranch_execz .LBB1068_288
.LBB1068_286:                           ; =>This Inner Loop Header: Depth=1
	s_or_b64 s[14:15], s[14:15], exec
	s_cmp_eq_u64 s[26:27], s[28:29]
	s_cbranch_scc0 .LBB1068_284
; %bb.287:                              ;   in Loop: Header=BB1068_286 Depth=1
                                        ; implicit-def: $sgpr0_sgpr1
	s_mov_b64 s[28:29], s[26:27]
	s_branch .LBB1068_285
.LBB1068_288:
	s_or_b64 exec, exec, s[12:13]
	v_cmp_gt_i64_e32 vcc, s[26:27], v[24:25]
	s_orn2_b64 s[12:13], vcc, exec
.LBB1068_289:
	s_or_b64 exec, exec, s[4:5]
	s_and_b64 s[0:1], s[12:13], exec
.LBB1068_290:
	s_or_b64 exec, exec, s[2:3]
	v_perm_b32 v20, v16, v16, s38
	s_and_b64 s[0:1], s[0:1], exec
	s_or_b64 s[10:11], s[10:11], exec
                                        ; implicit-def: $vgpr16_vgpr17
.LBB1068_291:
	s_or_b64 exec, exec, s[6:7]
.LBB1068_292:
	s_and_saveexec_b64 s[2:3], s[10:11]
	s_cbranch_execz .LBB1068_294
; %bb.293:
	s_waitcnt vmcnt(0) lgkmcnt(0)
	v_lshlrev_b16_e32 v17, 8, v18
	v_and_b32_e32 v18, 0xff, v34
	v_or_b32_sdwa v17, v19, v17 dst_sel:DWORD dst_unused:UNUSED_PAD src0_sel:BYTE_0 src1_sel:DWORD
	v_lshlrev_b32_e32 v18, 16, v18
	v_cndmask_b32_e64 v16, 0, 1, s[0:1]
	s_movk_i32 s0, 0xff
	v_or_b32_sdwa v17, v17, v18 dst_sel:DWORD dst_unused:UNUSED_PAD src0_sel:WORD_0 src1_sel:DWORD
	v_lshrrev_b32_e32 v18, 24, v20
	v_lshlrev_b16_e32 v18, 8, v18
	v_and_b32_sdwa v19, v20, s0 dst_sel:DWORD dst_unused:UNUSED_PAD src0_sel:WORD_1 src1_sel:DWORD
	v_or_b32_sdwa v18, v19, v18 dst_sel:WORD_1 dst_unused:UNUSED_PAD src0_sel:DWORD src1_sel:DWORD
	v_mov_b32_e32 v19, 8
	v_lshrrev_b32_sdwa v19, v19, v20 dst_sel:BYTE_1 dst_unused:UNUSED_PAD src0_sel:DWORD src1_sel:DWORD
	s_nop 0
	v_or_b32_e32 v16, v16, v19
	v_or_b32_sdwa v16, v16, v18 dst_sel:DWORD dst_unused:UNUSED_PAD src0_sel:WORD_0 src1_sel:DWORD
.LBB1068_294:
	s_or_b64 exec, exec, s[2:3]
	s_andn2_b64 vcc, exec, s[8:9]
	s_cbranch_vccnz .LBB1068_296
; %bb.295:
	s_waitcnt vmcnt(0) lgkmcnt(0)
	v_and_b32_e32 v18, 0xffff0000, v16
	v_cmp_gt_u32_e32 vcc, s52, v1
	s_mov_b32 s0, 0x40c0100
	s_nop 0
	v_cndmask_b32_e32 v1, v18, v16, vcc
	v_and_b32_e32 v1, 0xffff00ff, v1
	v_cmp_gt_u32_e32 vcc, s52, v27
	s_nop 1
	v_cndmask_b32_e32 v1, v1, v16, vcc
	v_lshrrev_b32_e32 v18, 24, v1
	v_perm_b32 v1, v18, v1, s0
	v_cmp_gt_u32_e32 vcc, s52, v26
	v_and_b32_e32 v18, 0xffffff00, v17
	s_nop 0
	v_cndmask_b32_e32 v1, v1, v16, vcc
	v_and_b32_e32 v1, 0xffffff, v1
	v_cmp_gt_u32_e32 vcc, s52, v30
	s_nop 1
	v_cndmask_b32_e32 v1, v1, v16, vcc
	v_cmp_gt_u32_e32 vcc, s52, v28
	s_nop 1
	v_cndmask_b32_e32 v18, v18, v17, vcc
	v_and_b32_e32 v18, 0xffff00ff, v18
	v_cndmask_b32_e32 v1, v1, v16, vcc
	v_cmp_gt_u32_e32 vcc, s52, v31
	s_nop 1
	v_cndmask_b32_e32 v18, v18, v17, vcc
	v_lshrrev_b32_e32 v19, 24, v18
	v_cndmask_b32_e32 v1, v1, v16, vcc
	v_perm_b32 v18, v19, v18, s0
	v_cmp_gt_u32_e32 vcc, s52, v29
	s_mov_b32 s0, 0x3020104
	s_nop 0
	v_cndmask_b32_e32 v1, v1, v16, vcc
	v_cndmask_b32_e32 v16, v18, v17, vcc
	v_mov_b32_e32 v17, 8
	v_lshrrev_b32_sdwa v17, v17, v16 dst_sel:BYTE_1 dst_unused:UNUSED_PAD src0_sel:DWORD src1_sel:DWORD
	s_nop 0
	v_or_b32_sdwa v17, v16, v17 dst_sel:DWORD dst_unused:UNUSED_PAD src0_sel:BYTE_0 src1_sel:DWORD
	v_and_b32_e32 v17, 0xffff, v17
	v_bfe_u32 v16, v16, 16, 8
	v_lshl_or_b32 v17, v16, 16, v17
	v_perm_b32 v16, v1, v1, s0
.LBB1068_296:
	s_waitcnt vmcnt(0) lgkmcnt(0)
	v_and_b32_e32 v1, 0xff, v16
	v_bfe_u32 v29, v16, 8, 8
	v_bfe_u32 v31, v16, 16, 8
	v_alignbit_b32 v18, v17, v16, 24
	v_and_b32_e32 v33, 0xff, v18
	v_and_b32_e32 v35, 0xff, v17
	v_add3_u32 v19, v29, v1, v31
	v_bfe_u32 v36, v17, 8, 8
	v_bfe_u32 v18, v17, 16, 8
	v_add3_u32 v19, v19, v33, v35
	v_add3_u32 v39, v19, v36, v18
	v_mbcnt_lo_u32_b32 v18, -1, 0
	v_mbcnt_hi_u32_b32 v37, -1, v18
	v_and_b32_e32 v18, 15, v37
	v_cmp_eq_u32_e64 s[14:15], 0, v18
	v_cmp_lt_u32_e64 s[12:13], 1, v18
	v_cmp_lt_u32_e64 s[10:11], 3, v18
	;; [unrolled: 1-line block ×3, first 2 shown]
	v_and_b32_e32 v18, 16, v37
	v_cmp_eq_u32_e64 s[6:7], 0, v18
	v_or_b32_e32 v18, 63, v0
	v_cmp_lt_u32_e64 s[2:3], 31, v37
	v_lshrrev_b32_e32 v38, 6, v0
	v_cmp_eq_u32_e64 s[4:5], v18, v0
	s_and_b64 vcc, exec, s[16:17]
	s_barrier
	s_cbranch_vccz .LBB1068_327
; %bb.297:
	v_mov_b32_dpp v18, v39 row_shr:1 row_mask:0xf bank_mask:0xf
	v_cndmask_b32_e64 v18, v18, 0, s[14:15]
	v_add_u32_e32 v18, v18, v39
	s_nop 1
	v_mov_b32_dpp v19, v18 row_shr:2 row_mask:0xf bank_mask:0xf
	v_cndmask_b32_e64 v19, 0, v19, s[12:13]
	v_add_u32_e32 v18, v18, v19
	s_nop 1
	;; [unrolled: 4-line block ×4, first 2 shown]
	v_mov_b32_dpp v19, v18 row_bcast:15 row_mask:0xf bank_mask:0xf
	v_cndmask_b32_e64 v19, v19, 0, s[6:7]
	v_add_u32_e32 v18, v18, v19
	s_nop 1
	v_mov_b32_dpp v19, v18 row_bcast:31 row_mask:0xf bank_mask:0xf
	v_cndmask_b32_e64 v19, 0, v19, s[2:3]
	v_add_u32_e32 v18, v18, v19
	s_and_saveexec_b64 s[0:1], s[4:5]
	s_cbranch_execz .LBB1068_299
; %bb.298:
	v_lshlrev_b32_e32 v19, 2, v38
	ds_write_b32 v19, v18
.LBB1068_299:
	s_or_b64 exec, exec, s[0:1]
	v_cmp_gt_u32_e32 vcc, 8, v0
	s_waitcnt lgkmcnt(0)
	s_barrier
	s_and_saveexec_b64 s[0:1], vcc
	s_cbranch_execz .LBB1068_301
; %bb.300:
	v_lshlrev_b32_e32 v19, 2, v0
	ds_read_b32 v20, v19
	v_and_b32_e32 v21, 7, v37
	v_cmp_ne_u32_e32 vcc, 0, v21
	s_waitcnt lgkmcnt(0)
	v_mov_b32_dpp v22, v20 row_shr:1 row_mask:0xf bank_mask:0xf
	v_cndmask_b32_e32 v22, 0, v22, vcc
	v_add_u32_e32 v20, v22, v20
	v_cmp_lt_u32_e32 vcc, 1, v21
	s_nop 0
	v_mov_b32_dpp v22, v20 row_shr:2 row_mask:0xf bank_mask:0xf
	v_cndmask_b32_e32 v22, 0, v22, vcc
	v_add_u32_e32 v20, v20, v22
	v_cmp_lt_u32_e32 vcc, 3, v21
	s_nop 0
	v_mov_b32_dpp v22, v20 row_shr:4 row_mask:0xf bank_mask:0xf
	v_cndmask_b32_e32 v21, 0, v22, vcc
	v_add_u32_e32 v20, v20, v21
	ds_write_b32 v19, v20
.LBB1068_301:
	s_or_b64 exec, exec, s[0:1]
	v_cmp_gt_u32_e32 vcc, 64, v0
	v_cmp_lt_u32_e64 s[0:1], 63, v0
	s_waitcnt lgkmcnt(0)
	s_barrier
	s_waitcnt lgkmcnt(0)
                                        ; implicit-def: $vgpr28
	s_and_saveexec_b64 s[16:17], s[0:1]
	s_cbranch_execz .LBB1068_303
; %bb.302:
	v_lshl_add_u32 v19, v38, 2, -4
	ds_read_b32 v28, v19
	s_waitcnt lgkmcnt(0)
	v_add_u32_e32 v18, v28, v18
.LBB1068_303:
	s_or_b64 exec, exec, s[16:17]
	v_add_u32_e32 v19, -1, v37
	v_and_b32_e32 v20, 64, v37
	v_cmp_lt_i32_e64 s[0:1], v19, v20
	v_cmp_eq_u32_e64 s[16:17], 0, v37
	s_nop 0
	v_cndmask_b32_e64 v19, v19, v37, s[0:1]
	v_lshlrev_b32_e32 v19, 2, v19
	ds_bpermute_b32 v30, v19, v18
	s_and_saveexec_b64 s[0:1], vcc
	s_cbranch_execz .LBB1068_326
; %bb.304:
	v_mov_b32_e32 v27, 0
	ds_read_b32 v18, v27 offset:28
	s_and_saveexec_b64 s[26:27], s[16:17]
	s_cbranch_execz .LBB1068_306
; %bb.305:
	s_add_i32 s28, s33, 64
	s_mov_b32 s29, 0
	s_lshl_b64 s[28:29], s[28:29], 3
	s_add_u32 s28, s30, s28
	v_mov_b32_e32 v19, 1
	s_addc_u32 s29, s31, s29
	s_waitcnt lgkmcnt(0)
	global_store_dwordx2 v27, v[18:19], s[28:29] sc1
.LBB1068_306:
	s_or_b64 exec, exec, s[26:27]
	v_xad_u32 v20, v37, -1, s33
	v_add_u32_e32 v26, 64, v20
	v_lshl_add_u64 v[22:23], v[26:27], 3, s[30:31]
	global_load_dwordx2 v[24:25], v[22:23], off sc1
	s_waitcnt vmcnt(0)
	v_cmp_eq_u16_sdwa s[28:29], v25, v27 src0_sel:BYTE_0 src1_sel:DWORD
	s_and_saveexec_b64 s[26:27], s[28:29]
	s_cbranch_execz .LBB1068_312
; %bb.307:
	s_mov_b32 s38, 1
	s_mov_b64 s[28:29], 0
	v_mov_b32_e32 v19, 0
.LBB1068_308:                           ; =>This Loop Header: Depth=1
                                        ;     Child Loop BB1068_309 Depth 2
	s_max_u32 s39, s38, 1
.LBB1068_309:                           ;   Parent Loop BB1068_308 Depth=1
                                        ; =>  This Inner Loop Header: Depth=2
	s_add_i32 s39, s39, -1
	s_cmp_eq_u32 s39, 0
	s_sleep 1
	s_cbranch_scc0 .LBB1068_309
; %bb.310:                              ;   in Loop: Header=BB1068_308 Depth=1
	global_load_dwordx2 v[24:25], v[22:23], off sc1
	s_cmp_lt_u32 s38, 32
	s_cselect_b64 s[40:41], -1, 0
	s_cmp_lg_u64 s[40:41], 0
	s_addc_u32 s38, s38, 0
	s_waitcnt vmcnt(0)
	v_cmp_ne_u16_sdwa s[40:41], v25, v19 src0_sel:BYTE_0 src1_sel:DWORD
	s_or_b64 s[28:29], s[40:41], s[28:29]
	s_andn2_b64 exec, exec, s[28:29]
	s_cbranch_execnz .LBB1068_308
; %bb.311:
	s_or_b64 exec, exec, s[28:29]
.LBB1068_312:
	s_or_b64 exec, exec, s[26:27]
	v_and_b32_e32 v32, 63, v37
	v_mov_b32_e32 v19, 2
	v_cmp_ne_u32_e32 vcc, 63, v32
	v_cmp_eq_u16_sdwa s[26:27], v25, v19 src0_sel:BYTE_0 src1_sel:DWORD
	v_lshlrev_b64 v[22:23], v37, -1
	v_addc_co_u32_e32 v27, vcc, 0, v37, vcc
	v_and_b32_e32 v21, s27, v23
	v_lshlrev_b32_e32 v34, 2, v27
	v_or_b32_e32 v21, 0x80000000, v21
	ds_bpermute_b32 v27, v34, v24
	v_and_b32_e32 v26, s26, v22
	v_ffbl_b32_e32 v21, v21
	v_add_u32_e32 v21, 32, v21
	v_ffbl_b32_e32 v26, v26
	v_min_u32_e32 v21, v26, v21
	v_cmp_lt_u32_e32 vcc, v32, v21
	v_add_u32_e32 v41, 2, v32
	v_add_u32_e32 v43, 4, v32
	s_waitcnt lgkmcnt(0)
	v_cndmask_b32_e32 v26, 0, v27, vcc
	v_cmp_gt_u32_e32 vcc, 62, v32
	v_add_u32_e32 v24, v26, v24
	v_add_u32_e32 v45, 8, v32
	v_cndmask_b32_e64 v26, 0, 1, vcc
	v_lshlrev_b32_e32 v26, 1, v26
	v_add_lshl_u32 v40, v26, v37, 2
	ds_bpermute_b32 v26, v40, v24
	v_cmp_le_u32_e32 vcc, v41, v21
	v_add_u32_e32 v48, 16, v32
	v_add_u32_e32 v50, 32, v32
	s_waitcnt lgkmcnt(0)
	v_cndmask_b32_e32 v26, 0, v26, vcc
	v_cmp_gt_u32_e32 vcc, 60, v32
	v_add_u32_e32 v24, v24, v26
	s_nop 0
	v_cndmask_b32_e64 v26, 0, 1, vcc
	v_lshlrev_b32_e32 v26, 2, v26
	v_add_lshl_u32 v42, v26, v37, 2
	ds_bpermute_b32 v26, v42, v24
	v_cmp_le_u32_e32 vcc, v43, v21
	s_waitcnt lgkmcnt(0)
	s_nop 0
	v_cndmask_b32_e32 v26, 0, v26, vcc
	v_cmp_gt_u32_e32 vcc, 56, v32
	v_add_u32_e32 v24, v24, v26
	s_nop 0
	v_cndmask_b32_e64 v26, 0, 1, vcc
	v_lshlrev_b32_e32 v26, 3, v26
	v_add_lshl_u32 v44, v26, v37, 2
	ds_bpermute_b32 v26, v44, v24
	v_cmp_le_u32_e32 vcc, v45, v21
	s_waitcnt lgkmcnt(0)
	s_nop 0
	;; [unrolled: 11-line block ×4, first 2 shown]
	v_cndmask_b32_e32 v21, 0, v26, vcc
	v_add_u32_e32 v24, v24, v21
	v_mov_b32_e32 v21, 0
	s_branch .LBB1068_314
.LBB1068_313:                           ;   in Loop: Header=BB1068_314 Depth=1
	s_or_b64 exec, exec, s[26:27]
	v_cmp_eq_u16_sdwa s[26:27], v25, v19 src0_sel:BYTE_0 src1_sel:DWORD
	ds_bpermute_b32 v51, v34, v24
	v_subrev_u32_e32 v20, 64, v20
	v_and_b32_e32 v26, s27, v23
	v_or_b32_e32 v26, 0x80000000, v26
	v_and_b32_e32 v27, s26, v22
	v_ffbl_b32_e32 v26, v26
	v_add_u32_e32 v26, 32, v26
	v_ffbl_b32_e32 v27, v27
	v_min_u32_e32 v26, v27, v26
	v_cmp_lt_u32_e32 vcc, v32, v26
	s_waitcnt lgkmcnt(0)
	s_nop 0
	v_cndmask_b32_e32 v27, 0, v51, vcc
	v_add_u32_e32 v24, v27, v24
	ds_bpermute_b32 v27, v40, v24
	v_cmp_le_u32_e32 vcc, v41, v26
	s_waitcnt lgkmcnt(0)
	s_nop 0
	v_cndmask_b32_e32 v27, 0, v27, vcc
	v_add_u32_e32 v24, v24, v27
	ds_bpermute_b32 v27, v42, v24
	v_cmp_le_u32_e32 vcc, v43, v26
	;; [unrolled: 6-line block ×5, first 2 shown]
	s_waitcnt lgkmcnt(0)
	s_nop 0
	v_cndmask_b32_e32 v26, 0, v27, vcc
	v_add3_u32 v24, v26, v46, v24
.LBB1068_314:                           ; =>This Loop Header: Depth=1
                                        ;     Child Loop BB1068_317 Depth 2
                                        ;       Child Loop BB1068_318 Depth 3
	v_cmp_ne_u16_sdwa s[26:27], v25, v19 src0_sel:BYTE_0 src1_sel:DWORD
	v_mov_b32_e32 v46, v24
	s_nop 0
	v_cndmask_b32_e64 v25, 0, 1, s[26:27]
	;;#ASMSTART
	;;#ASMEND
	s_nop 0
	v_cmp_ne_u32_e32 vcc, 0, v25
	s_cmp_lg_u64 vcc, exec
	s_cbranch_scc1 .LBB1068_321
; %bb.315:                              ;   in Loop: Header=BB1068_314 Depth=1
	v_lshl_add_u64 v[26:27], v[20:21], 3, s[30:31]
	global_load_dwordx2 v[24:25], v[26:27], off sc1
	s_waitcnt vmcnt(0)
	v_cmp_eq_u16_sdwa s[28:29], v25, v21 src0_sel:BYTE_0 src1_sel:DWORD
	s_and_saveexec_b64 s[26:27], s[28:29]
	s_cbranch_execz .LBB1068_313
; %bb.316:                              ;   in Loop: Header=BB1068_314 Depth=1
	s_mov_b32 s38, 1
	s_mov_b64 s[28:29], 0
.LBB1068_317:                           ;   Parent Loop BB1068_314 Depth=1
                                        ; =>  This Loop Header: Depth=2
                                        ;       Child Loop BB1068_318 Depth 3
	s_max_u32 s39, s38, 1
.LBB1068_318:                           ;   Parent Loop BB1068_314 Depth=1
                                        ;     Parent Loop BB1068_317 Depth=2
                                        ; =>    This Inner Loop Header: Depth=3
	s_add_i32 s39, s39, -1
	s_cmp_eq_u32 s39, 0
	s_sleep 1
	s_cbranch_scc0 .LBB1068_318
; %bb.319:                              ;   in Loop: Header=BB1068_317 Depth=2
	global_load_dwordx2 v[24:25], v[26:27], off sc1
	s_cmp_lt_u32 s38, 32
	s_cselect_b64 s[40:41], -1, 0
	s_cmp_lg_u64 s[40:41], 0
	s_addc_u32 s38, s38, 0
	s_waitcnt vmcnt(0)
	v_cmp_ne_u16_sdwa s[40:41], v25, v21 src0_sel:BYTE_0 src1_sel:DWORD
	s_or_b64 s[28:29], s[40:41], s[28:29]
	s_andn2_b64 exec, exec, s[28:29]
	s_cbranch_execnz .LBB1068_317
; %bb.320:                              ;   in Loop: Header=BB1068_314 Depth=1
	s_or_b64 exec, exec, s[28:29]
	s_branch .LBB1068_313
.LBB1068_321:                           ;   in Loop: Header=BB1068_314 Depth=1
                                        ; implicit-def: $vgpr24
                                        ; implicit-def: $vgpr25
	s_cbranch_execz .LBB1068_314
; %bb.322:
	s_and_saveexec_b64 s[26:27], s[16:17]
	s_cbranch_execz .LBB1068_324
; %bb.323:
	s_add_i32 s28, s33, 64
	s_mov_b32 s29, 0
	s_lshl_b64 s[28:29], s[28:29], 3
	s_add_u32 s28, s30, s28
	v_add_u32_e32 v20, v46, v18
	v_mov_b32_e32 v21, 2
	s_addc_u32 s29, s31, s29
	v_mov_b32_e32 v19, 0
	global_store_dwordx2 v19, v[20:21], s[28:29] sc1
	s_movk_i32 s28, 0x7000
	v_add_u32_e64 v19, s28, 0
	ds_write2_b32 v19, v18, v46 offset1:2
.LBB1068_324:
	s_or_b64 exec, exec, s[26:27]
	s_and_b64 exec, exec, s[18:19]
	s_cbranch_execz .LBB1068_326
; %bb.325:
	v_mov_b32_e32 v18, 0
	ds_write_b32 v18, v46 offset:28
.LBB1068_326:
	s_or_b64 exec, exec, s[0:1]
	v_mov_b32_e32 v18, 0
	s_waitcnt lgkmcnt(0)
	s_barrier
	ds_read_b32 v18, v18 offset:28
	v_cndmask_b32_e64 v19, v30, v28, s[16:17]
	v_cndmask_b32_e64 v19, v19, 0, s[18:19]
	s_movk_i32 s0, 0x7000
	s_waitcnt lgkmcnt(0)
	v_add_u32_e32 v34, v18, v19
	v_add_u32_e32 v32, v34, v1
	v_add_u32_e64 v18, s0, 0
	v_add_u32_e32 v30, v32, v29
	s_barrier
	ds_read2_b32 v[18:19], v18 offset1:2
	v_add_u32_e32 v28, v30, v31
	v_add_u32_e32 v26, v28, v33
	;; [unrolled: 1-line block ×4, first 2 shown]
	v_lshrrev_b64 v[20:21], 24, v[16:17]
	s_branch .LBB1068_337
.LBB1068_327:
                                        ; implicit-def: $vgpr22
                                        ; implicit-def: $vgpr24
                                        ; implicit-def: $vgpr26
                                        ; implicit-def: $vgpr28
                                        ; implicit-def: $vgpr30
                                        ; implicit-def: $vgpr32
                                        ; implicit-def: $vgpr34
                                        ; implicit-def: $vgpr19
	v_lshrrev_b64 v[20:21], 24, v[16:17]
	s_cbranch_execz .LBB1068_337
; %bb.328:
	s_waitcnt lgkmcnt(0)
	v_mov_b32_dpp v18, v39 row_shr:1 row_mask:0xf bank_mask:0xf
	v_cndmask_b32_e64 v18, v18, 0, s[14:15]
	v_add_u32_e32 v18, v18, v39
	s_nop 1
	v_mov_b32_dpp v19, v18 row_shr:2 row_mask:0xf bank_mask:0xf
	v_cndmask_b32_e64 v19, 0, v19, s[12:13]
	v_add_u32_e32 v18, v18, v19
	s_nop 1
	;; [unrolled: 4-line block ×4, first 2 shown]
	v_mov_b32_dpp v19, v18 row_bcast:15 row_mask:0xf bank_mask:0xf
	v_cndmask_b32_e64 v19, v19, 0, s[6:7]
	v_add_u32_e32 v18, v18, v19
	s_nop 1
	v_mov_b32_dpp v19, v18 row_bcast:31 row_mask:0xf bank_mask:0xf
	v_cndmask_b32_e64 v19, 0, v19, s[2:3]
	v_add_u32_e32 v18, v18, v19
	s_and_saveexec_b64 s[0:1], s[4:5]
	s_cbranch_execz .LBB1068_330
; %bb.329:
	v_lshlrev_b32_e32 v19, 2, v38
	ds_write_b32 v19, v18
.LBB1068_330:
	s_or_b64 exec, exec, s[0:1]
	v_cmp_gt_u32_e32 vcc, 8, v0
	s_waitcnt lgkmcnt(0)
	s_barrier
	s_and_saveexec_b64 s[0:1], vcc
	s_cbranch_execz .LBB1068_332
; %bb.331:
	v_lshlrev_b32_e32 v19, 2, v0
	ds_read_b32 v21, v19
	v_and_b32_e32 v22, 7, v37
	v_cmp_ne_u32_e32 vcc, 0, v22
	s_waitcnt lgkmcnt(0)
	v_mov_b32_dpp v23, v21 row_shr:1 row_mask:0xf bank_mask:0xf
	v_cndmask_b32_e32 v23, 0, v23, vcc
	v_add_u32_e32 v21, v23, v21
	v_cmp_lt_u32_e32 vcc, 1, v22
	s_nop 0
	v_mov_b32_dpp v23, v21 row_shr:2 row_mask:0xf bank_mask:0xf
	v_cndmask_b32_e32 v23, 0, v23, vcc
	v_add_u32_e32 v21, v21, v23
	v_cmp_lt_u32_e32 vcc, 3, v22
	s_nop 0
	v_mov_b32_dpp v23, v21 row_shr:4 row_mask:0xf bank_mask:0xf
	v_cndmask_b32_e32 v22, 0, v23, vcc
	v_add_u32_e32 v21, v21, v22
	ds_write_b32 v19, v21
.LBB1068_332:
	s_or_b64 exec, exec, s[0:1]
	v_cmp_lt_u32_e32 vcc, 63, v0
	v_mov_b32_e32 v19, 0
	v_mov_b32_e32 v21, 0
	s_waitcnt lgkmcnt(0)
	s_barrier
	s_and_saveexec_b64 s[0:1], vcc
	s_cbranch_execz .LBB1068_334
; %bb.333:
	v_lshl_add_u32 v21, v38, 2, -4
	ds_read_b32 v21, v21
.LBB1068_334:
	s_or_b64 exec, exec, s[0:1]
	v_add_u32_e32 v22, -1, v37
	v_and_b32_e32 v23, 64, v37
	v_cmp_lt_i32_e32 vcc, v22, v23
	s_waitcnt lgkmcnt(0)
	v_add_u32_e32 v18, v21, v18
	v_cndmask_b32_e32 v22, v22, v37, vcc
	v_lshlrev_b32_e32 v22, 2, v22
	ds_bpermute_b32 v22, v22, v18
	ds_read_b32 v18, v19 offset:28
	s_and_saveexec_b64 s[0:1], s[18:19]
	s_cbranch_execz .LBB1068_336
; %bb.335:
	v_mov_b32_e32 v23, 0
	v_mov_b32_e32 v19, 2
	s_waitcnt lgkmcnt(0)
	global_store_dwordx2 v23, v[18:19], s[30:31] offset:512 sc1
.LBB1068_336:
	s_or_b64 exec, exec, s[0:1]
	v_cmp_eq_u32_e32 vcc, 0, v37
	v_mov_b32_e32 v19, 0
	s_waitcnt lgkmcnt(0)
	v_cndmask_b32_e32 v21, v22, v21, vcc
	v_cndmask_b32_e64 v34, v21, 0, s[18:19]
	v_add_u32_e32 v32, v34, v1
	v_add_u32_e32 v30, v32, v29
	;; [unrolled: 1-line block ×6, first 2 shown]
	s_barrier
.LBB1068_337:
	s_movk_i32 s0, 0x201
	s_waitcnt lgkmcnt(0)
	v_cmp_gt_u32_e32 vcc, s0, v18
	v_lshrrev_b32_e32 v21, 8, v16
	v_lshrrev_b32_e32 v1, 8, v17
	s_mov_b64 s[0:1], -1
	s_cbranch_vccnz .LBB1068_341
; %bb.338:
	s_and_b64 vcc, exec, s[0:1]
	s_cbranch_vccnz .LBB1068_363
.LBB1068_339:
	s_and_b64 s[0:1], s[18:19], s[24:25]
	s_and_saveexec_b64 s[2:3], s[0:1]
	s_cbranch_execnz .LBB1068_381
.LBB1068_340:
	s_endpgm
.LBB1068_341:
	v_add_u32_e32 v23, v19, v18
	v_cmp_lt_u32_e32 vcc, v34, v23
	s_or_b64 s[2:3], s[36:37], vcc
	s_and_saveexec_b64 s[0:1], s[2:3]
	s_cbranch_execz .LBB1068_344
; %bb.342:
	v_and_b32_e32 v25, 1, v16
	v_cmp_eq_u32_e32 vcc, 1, v25
	s_and_b64 exec, exec, vcc
	s_cbranch_execz .LBB1068_344
; %bb.343:
	s_lshl_b64 s[2:3], s[22:23], 3
	s_add_u32 s2, s34, s2
	s_addc_u32 s3, s35, s3
	v_mov_b32_e32 v35, 0
	v_lshl_add_u64 v[36:37], v[34:35], 3, s[2:3]
	global_store_dwordx2 v[36:37], v[10:11], off
.LBB1068_344:
	s_or_b64 exec, exec, s[0:1]
	v_cmp_lt_u32_e32 vcc, v32, v23
	s_or_b64 s[2:3], s[36:37], vcc
	s_and_saveexec_b64 s[0:1], s[2:3]
	s_cbranch_execz .LBB1068_347
; %bb.345:
	v_and_b32_e32 v25, 1, v21
	v_cmp_eq_u32_e32 vcc, 1, v25
	s_and_b64 exec, exec, vcc
	s_cbranch_execz .LBB1068_347
; %bb.346:
	s_lshl_b64 s[2:3], s[22:23], 3
	s_add_u32 s2, s34, s2
	s_addc_u32 s3, s35, s3
	v_mov_b32_e32 v33, 0
	v_lshl_add_u64 v[36:37], v[32:33], 3, s[2:3]
	global_store_dwordx2 v[36:37], v[12:13], off
.LBB1068_347:
	s_or_b64 exec, exec, s[0:1]
	v_cmp_lt_u32_e32 vcc, v30, v23
	s_or_b64 s[2:3], s[36:37], vcc
	s_and_saveexec_b64 s[0:1], s[2:3]
	s_cbranch_execz .LBB1068_350
; %bb.348:
	v_mov_b32_e32 v25, 1
	v_and_b32_sdwa v25, v25, v16 dst_sel:DWORD dst_unused:UNUSED_PAD src0_sel:DWORD src1_sel:WORD_1
	v_cmp_eq_u32_e32 vcc, 1, v25
	s_and_b64 exec, exec, vcc
	s_cbranch_execz .LBB1068_350
; %bb.349:
	s_lshl_b64 s[2:3], s[22:23], 3
	s_add_u32 s2, s34, s2
	s_addc_u32 s3, s35, s3
	v_mov_b32_e32 v31, 0
	v_lshl_add_u64 v[36:37], v[30:31], 3, s[2:3]
	global_store_dwordx2 v[36:37], v[6:7], off
.LBB1068_350:
	s_or_b64 exec, exec, s[0:1]
	v_cmp_lt_u32_e32 vcc, v28, v23
	s_or_b64 s[2:3], s[36:37], vcc
	s_and_saveexec_b64 s[0:1], s[2:3]
	s_cbranch_execz .LBB1068_353
; %bb.351:
	v_and_b32_e32 v25, 1, v20
	v_cmp_eq_u32_e32 vcc, 1, v25
	s_and_b64 exec, exec, vcc
	s_cbranch_execz .LBB1068_353
; %bb.352:
	s_lshl_b64 s[2:3], s[22:23], 3
	s_add_u32 s2, s34, s2
	s_addc_u32 s3, s35, s3
	v_mov_b32_e32 v29, 0
	v_lshl_add_u64 v[36:37], v[28:29], 3, s[2:3]
	global_store_dwordx2 v[36:37], v[8:9], off
.LBB1068_353:
	s_or_b64 exec, exec, s[0:1]
	v_cmp_lt_u32_e32 vcc, v26, v23
	s_or_b64 s[2:3], s[36:37], vcc
	s_and_saveexec_b64 s[0:1], s[2:3]
	s_cbranch_execz .LBB1068_356
; %bb.354:
	v_and_b32_e32 v25, 1, v17
	v_cmp_eq_u32_e32 vcc, 1, v25
	s_and_b64 exec, exec, vcc
	s_cbranch_execz .LBB1068_356
; %bb.355:
	s_lshl_b64 s[2:3], s[22:23], 3
	s_add_u32 s2, s34, s2
	s_addc_u32 s3, s35, s3
	v_mov_b32_e32 v27, 0
	v_lshl_add_u64 v[36:37], v[26:27], 3, s[2:3]
	global_store_dwordx2 v[36:37], v[2:3], off
.LBB1068_356:
	;; [unrolled: 18-line block ×3, first 2 shown]
	s_or_b64 exec, exec, s[0:1]
	v_cmp_lt_u32_e32 vcc, v22, v23
	s_or_b64 s[2:3], s[36:37], vcc
	s_and_saveexec_b64 s[0:1], s[2:3]
	s_cbranch_execz .LBB1068_362
; %bb.360:
	v_mov_b32_e32 v23, 1
	v_and_b32_sdwa v23, v23, v17 dst_sel:DWORD dst_unused:UNUSED_PAD src0_sel:DWORD src1_sel:WORD_1
	v_cmp_eq_u32_e32 vcc, 1, v23
	s_and_b64 exec, exec, vcc
	s_cbranch_execz .LBB1068_362
; %bb.361:
	s_lshl_b64 s[2:3], s[22:23], 3
	s_add_u32 s2, s34, s2
	s_addc_u32 s3, s35, s3
	v_mov_b32_e32 v23, 0
	v_lshl_add_u64 v[36:37], v[22:23], 3, s[2:3]
	global_store_dwordx2 v[36:37], v[14:15], off
.LBB1068_362:
	s_or_b64 exec, exec, s[0:1]
	s_branch .LBB1068_339
.LBB1068_363:
	v_and_b32_e32 v23, 1, v16
	v_cmp_eq_u32_e32 vcc, 1, v23
	s_and_saveexec_b64 s[0:1], vcc
	s_cbranch_execz .LBB1068_365
; %bb.364:
	v_sub_u32_e32 v23, v34, v19
	v_lshlrev_b32_e32 v23, 3, v23
	ds_write_b64 v23, v[10:11]
.LBB1068_365:
	s_or_b64 exec, exec, s[0:1]
	v_and_b32_e32 v10, 1, v21
	v_cmp_eq_u32_e32 vcc, 1, v10
	s_and_saveexec_b64 s[0:1], vcc
	s_cbranch_execz .LBB1068_367
; %bb.366:
	v_sub_u32_e32 v10, v32, v19
	v_lshlrev_b32_e32 v10, 3, v10
	ds_write_b64 v10, v[12:13]
.LBB1068_367:
	s_or_b64 exec, exec, s[0:1]
	v_mov_b32_e32 v10, 1
	v_and_b32_sdwa v10, v10, v16 dst_sel:DWORD dst_unused:UNUSED_PAD src0_sel:DWORD src1_sel:WORD_1
	v_cmp_eq_u32_e32 vcc, 1, v10
	s_and_saveexec_b64 s[0:1], vcc
	s_cbranch_execz .LBB1068_369
; %bb.368:
	v_sub_u32_e32 v10, v30, v19
	v_lshlrev_b32_e32 v10, 3, v10
	ds_write_b64 v10, v[6:7]
.LBB1068_369:
	s_or_b64 exec, exec, s[0:1]
	v_and_b32_e32 v6, 1, v20
	v_cmp_eq_u32_e32 vcc, 1, v6
	s_and_saveexec_b64 s[0:1], vcc
	s_cbranch_execz .LBB1068_371
; %bb.370:
	v_sub_u32_e32 v6, v28, v19
	v_lshlrev_b32_e32 v6, 3, v6
	ds_write_b64 v6, v[8:9]
.LBB1068_371:
	s_or_b64 exec, exec, s[0:1]
	v_and_b32_e32 v6, 1, v17
	;; [unrolled: 10-line block ×3, first 2 shown]
	v_cmp_eq_u32_e32 vcc, 1, v1
	s_and_saveexec_b64 s[0:1], vcc
	s_cbranch_execz .LBB1068_375
; %bb.374:
	v_sub_u32_e32 v1, v24, v19
	v_lshlrev_b32_e32 v1, 3, v1
	ds_write_b64 v1, v[4:5]
.LBB1068_375:
	s_or_b64 exec, exec, s[0:1]
	v_mov_b32_e32 v1, 1
	v_and_b32_sdwa v1, v1, v17 dst_sel:DWORD dst_unused:UNUSED_PAD src0_sel:DWORD src1_sel:WORD_1
	v_cmp_eq_u32_e32 vcc, 1, v1
	s_and_saveexec_b64 s[0:1], vcc
	s_cbranch_execz .LBB1068_377
; %bb.376:
	v_sub_u32_e32 v1, v22, v19
	v_lshlrev_b32_e32 v1, 3, v1
	ds_write_b64 v1, v[14:15]
.LBB1068_377:
	s_or_b64 exec, exec, s[0:1]
	v_cmp_lt_u32_e32 vcc, v0, v18
	s_waitcnt lgkmcnt(0)
	s_barrier
	s_and_saveexec_b64 s[0:1], vcc
	s_cbranch_execz .LBB1068_380
; %bb.378:
	v_mov_b32_e32 v5, 0
	v_mov_b32_e32 v4, v19
	s_lshl_b64 s[2:3], s[22:23], 3
	v_lshlrev_b64 v[6:7], 3, v[4:5]
	v_lshl_add_u64 v[6:7], s[2:3], 0, v[6:7]
	v_lshlrev_b32_e32 v2, 3, v0
	v_mov_b32_e32 v3, v5
	v_lshl_add_u64 v[4:5], s[34:35], 0, v[6:7]
	v_lshl_add_u64 v[4:5], v[4:5], 0, v[2:3]
	s_mov_b64 s[2:3], 0
	s_mov_b64 s[4:5], 0x1000
.LBB1068_379:                           ; =>This Inner Loop Header: Depth=1
	ds_read_b64 v[6:7], v2
	v_add_u32_e32 v0, 0x200, v0
	v_cmp_ge_u32_e32 vcc, v0, v18
	v_add_u32_e32 v2, 0x1000, v2
	s_or_b64 s[2:3], vcc, s[2:3]
	s_waitcnt lgkmcnt(0)
	global_store_dwordx2 v[4:5], v[6:7], off
	v_lshl_add_u64 v[4:5], v[4:5], 0, s[4:5]
	s_andn2_b64 exec, exec, s[2:3]
	s_cbranch_execnz .LBB1068_379
.LBB1068_380:
	s_or_b64 exec, exec, s[0:1]
	s_and_b64 s[0:1], s[18:19], s[24:25]
	s_and_saveexec_b64 s[2:3], s[0:1]
	s_cbranch_execz .LBB1068_340
.LBB1068_381:
	v_mov_b32_e32 v1, 0
	v_mov_b32_e32 v0, v18
	v_lshl_add_u64 v[2:3], s[22:23], 0, v[0:1]
	v_mov_b32_e32 v0, v19
	v_lshl_add_u64 v[2:3], v[2:3], 0, v[0:1]
	global_store_dwordx2 v1, v[2:3], s[20:21]
	s_endpgm
	.section	.rodata,"a",@progbits
	.p2align	6, 0x0
	.amdhsa_kernel _ZN7rocprim17ROCPRIM_400000_NS6detail17trampoline_kernelINS0_14default_configENS1_25partition_config_selectorILNS1_17partition_subalgoE8ElNS0_10empty_typeEbEEZZNS1_14partition_implILS5_8ELb0ES3_jPlPS6_PKS6_NS0_5tupleIJS9_S6_EEENSD_IJSA_SA_EEENS0_18inequality_wrapperIZN2at6native12_GLOBAL__N_124unique_dim_cuda_templateIbEESt5tupleIJNSH_6TensorESM_SM_EERKSM_lbbbEUlllE0_EEPmJS6_EEE10hipError_tPvRmT3_T4_T5_T6_T7_T9_mT8_P12ihipStream_tbDpT10_ENKUlT_T0_E_clISt17integral_constantIbLb1EES1C_EEDaS17_S18_EUlS17_E_NS1_11comp_targetILNS1_3genE5ELNS1_11target_archE942ELNS1_3gpuE9ELNS1_3repE0EEENS1_30default_config_static_selectorELNS0_4arch9wavefront6targetE1EEEvT1_
		.amdhsa_group_segment_fixed_size 28684
		.amdhsa_private_segment_fixed_size 0
		.amdhsa_kernarg_size 136
		.amdhsa_user_sgpr_count 2
		.amdhsa_user_sgpr_dispatch_ptr 0
		.amdhsa_user_sgpr_queue_ptr 0
		.amdhsa_user_sgpr_kernarg_segment_ptr 1
		.amdhsa_user_sgpr_dispatch_id 0
		.amdhsa_user_sgpr_kernarg_preload_length 0
		.amdhsa_user_sgpr_kernarg_preload_offset 0
		.amdhsa_user_sgpr_private_segment_size 0
		.amdhsa_uses_dynamic_stack 0
		.amdhsa_enable_private_segment 0
		.amdhsa_system_sgpr_workgroup_id_x 1
		.amdhsa_system_sgpr_workgroup_id_y 0
		.amdhsa_system_sgpr_workgroup_id_z 0
		.amdhsa_system_sgpr_workgroup_info 0
		.amdhsa_system_vgpr_workitem_id 0
		.amdhsa_next_free_vgpr 52
		.amdhsa_next_free_sgpr 56
		.amdhsa_accum_offset 52
		.amdhsa_reserve_vcc 1
		.amdhsa_float_round_mode_32 0
		.amdhsa_float_round_mode_16_64 0
		.amdhsa_float_denorm_mode_32 3
		.amdhsa_float_denorm_mode_16_64 3
		.amdhsa_dx10_clamp 1
		.amdhsa_ieee_mode 1
		.amdhsa_fp16_overflow 0
		.amdhsa_tg_split 0
		.amdhsa_exception_fp_ieee_invalid_op 0
		.amdhsa_exception_fp_denorm_src 0
		.amdhsa_exception_fp_ieee_div_zero 0
		.amdhsa_exception_fp_ieee_overflow 0
		.amdhsa_exception_fp_ieee_underflow 0
		.amdhsa_exception_fp_ieee_inexact 0
		.amdhsa_exception_int_div_zero 0
	.end_amdhsa_kernel
	.section	.text._ZN7rocprim17ROCPRIM_400000_NS6detail17trampoline_kernelINS0_14default_configENS1_25partition_config_selectorILNS1_17partition_subalgoE8ElNS0_10empty_typeEbEEZZNS1_14partition_implILS5_8ELb0ES3_jPlPS6_PKS6_NS0_5tupleIJS9_S6_EEENSD_IJSA_SA_EEENS0_18inequality_wrapperIZN2at6native12_GLOBAL__N_124unique_dim_cuda_templateIbEESt5tupleIJNSH_6TensorESM_SM_EERKSM_lbbbEUlllE0_EEPmJS6_EEE10hipError_tPvRmT3_T4_T5_T6_T7_T9_mT8_P12ihipStream_tbDpT10_ENKUlT_T0_E_clISt17integral_constantIbLb1EES1C_EEDaS17_S18_EUlS17_E_NS1_11comp_targetILNS1_3genE5ELNS1_11target_archE942ELNS1_3gpuE9ELNS1_3repE0EEENS1_30default_config_static_selectorELNS0_4arch9wavefront6targetE1EEEvT1_,"axG",@progbits,_ZN7rocprim17ROCPRIM_400000_NS6detail17trampoline_kernelINS0_14default_configENS1_25partition_config_selectorILNS1_17partition_subalgoE8ElNS0_10empty_typeEbEEZZNS1_14partition_implILS5_8ELb0ES3_jPlPS6_PKS6_NS0_5tupleIJS9_S6_EEENSD_IJSA_SA_EEENS0_18inequality_wrapperIZN2at6native12_GLOBAL__N_124unique_dim_cuda_templateIbEESt5tupleIJNSH_6TensorESM_SM_EERKSM_lbbbEUlllE0_EEPmJS6_EEE10hipError_tPvRmT3_T4_T5_T6_T7_T9_mT8_P12ihipStream_tbDpT10_ENKUlT_T0_E_clISt17integral_constantIbLb1EES1C_EEDaS17_S18_EUlS17_E_NS1_11comp_targetILNS1_3genE5ELNS1_11target_archE942ELNS1_3gpuE9ELNS1_3repE0EEENS1_30default_config_static_selectorELNS0_4arch9wavefront6targetE1EEEvT1_,comdat
.Lfunc_end1068:
	.size	_ZN7rocprim17ROCPRIM_400000_NS6detail17trampoline_kernelINS0_14default_configENS1_25partition_config_selectorILNS1_17partition_subalgoE8ElNS0_10empty_typeEbEEZZNS1_14partition_implILS5_8ELb0ES3_jPlPS6_PKS6_NS0_5tupleIJS9_S6_EEENSD_IJSA_SA_EEENS0_18inequality_wrapperIZN2at6native12_GLOBAL__N_124unique_dim_cuda_templateIbEESt5tupleIJNSH_6TensorESM_SM_EERKSM_lbbbEUlllE0_EEPmJS6_EEE10hipError_tPvRmT3_T4_T5_T6_T7_T9_mT8_P12ihipStream_tbDpT10_ENKUlT_T0_E_clISt17integral_constantIbLb1EES1C_EEDaS17_S18_EUlS17_E_NS1_11comp_targetILNS1_3genE5ELNS1_11target_archE942ELNS1_3gpuE9ELNS1_3repE0EEENS1_30default_config_static_selectorELNS0_4arch9wavefront6targetE1EEEvT1_, .Lfunc_end1068-_ZN7rocprim17ROCPRIM_400000_NS6detail17trampoline_kernelINS0_14default_configENS1_25partition_config_selectorILNS1_17partition_subalgoE8ElNS0_10empty_typeEbEEZZNS1_14partition_implILS5_8ELb0ES3_jPlPS6_PKS6_NS0_5tupleIJS9_S6_EEENSD_IJSA_SA_EEENS0_18inequality_wrapperIZN2at6native12_GLOBAL__N_124unique_dim_cuda_templateIbEESt5tupleIJNSH_6TensorESM_SM_EERKSM_lbbbEUlllE0_EEPmJS6_EEE10hipError_tPvRmT3_T4_T5_T6_T7_T9_mT8_P12ihipStream_tbDpT10_ENKUlT_T0_E_clISt17integral_constantIbLb1EES1C_EEDaS17_S18_EUlS17_E_NS1_11comp_targetILNS1_3genE5ELNS1_11target_archE942ELNS1_3gpuE9ELNS1_3repE0EEENS1_30default_config_static_selectorELNS0_4arch9wavefront6targetE1EEEvT1_
                                        ; -- End function
	.section	.AMDGPU.csdata,"",@progbits
; Kernel info:
; codeLenInByte = 14264
; NumSgprs: 62
; NumVgprs: 52
; NumAgprs: 0
; TotalNumVgprs: 52
; ScratchSize: 0
; MemoryBound: 0
; FloatMode: 240
; IeeeMode: 1
; LDSByteSize: 28684 bytes/workgroup (compile time only)
; SGPRBlocks: 7
; VGPRBlocks: 6
; NumSGPRsForWavesPerEU: 62
; NumVGPRsForWavesPerEU: 52
; AccumOffset: 52
; Occupancy: 4
; WaveLimiterHint : 1
; COMPUTE_PGM_RSRC2:SCRATCH_EN: 0
; COMPUTE_PGM_RSRC2:USER_SGPR: 2
; COMPUTE_PGM_RSRC2:TRAP_HANDLER: 0
; COMPUTE_PGM_RSRC2:TGID_X_EN: 1
; COMPUTE_PGM_RSRC2:TGID_Y_EN: 0
; COMPUTE_PGM_RSRC2:TGID_Z_EN: 0
; COMPUTE_PGM_RSRC2:TIDIG_COMP_CNT: 0
; COMPUTE_PGM_RSRC3_GFX90A:ACCUM_OFFSET: 12
; COMPUTE_PGM_RSRC3_GFX90A:TG_SPLIT: 0
	.section	.text._ZN7rocprim17ROCPRIM_400000_NS6detail17trampoline_kernelINS0_14default_configENS1_25partition_config_selectorILNS1_17partition_subalgoE8ElNS0_10empty_typeEbEEZZNS1_14partition_implILS5_8ELb0ES3_jPlPS6_PKS6_NS0_5tupleIJS9_S6_EEENSD_IJSA_SA_EEENS0_18inequality_wrapperIZN2at6native12_GLOBAL__N_124unique_dim_cuda_templateIbEESt5tupleIJNSH_6TensorESM_SM_EERKSM_lbbbEUlllE0_EEPmJS6_EEE10hipError_tPvRmT3_T4_T5_T6_T7_T9_mT8_P12ihipStream_tbDpT10_ENKUlT_T0_E_clISt17integral_constantIbLb1EES1C_EEDaS17_S18_EUlS17_E_NS1_11comp_targetILNS1_3genE4ELNS1_11target_archE910ELNS1_3gpuE8ELNS1_3repE0EEENS1_30default_config_static_selectorELNS0_4arch9wavefront6targetE1EEEvT1_,"axG",@progbits,_ZN7rocprim17ROCPRIM_400000_NS6detail17trampoline_kernelINS0_14default_configENS1_25partition_config_selectorILNS1_17partition_subalgoE8ElNS0_10empty_typeEbEEZZNS1_14partition_implILS5_8ELb0ES3_jPlPS6_PKS6_NS0_5tupleIJS9_S6_EEENSD_IJSA_SA_EEENS0_18inequality_wrapperIZN2at6native12_GLOBAL__N_124unique_dim_cuda_templateIbEESt5tupleIJNSH_6TensorESM_SM_EERKSM_lbbbEUlllE0_EEPmJS6_EEE10hipError_tPvRmT3_T4_T5_T6_T7_T9_mT8_P12ihipStream_tbDpT10_ENKUlT_T0_E_clISt17integral_constantIbLb1EES1C_EEDaS17_S18_EUlS17_E_NS1_11comp_targetILNS1_3genE4ELNS1_11target_archE910ELNS1_3gpuE8ELNS1_3repE0EEENS1_30default_config_static_selectorELNS0_4arch9wavefront6targetE1EEEvT1_,comdat
	.globl	_ZN7rocprim17ROCPRIM_400000_NS6detail17trampoline_kernelINS0_14default_configENS1_25partition_config_selectorILNS1_17partition_subalgoE8ElNS0_10empty_typeEbEEZZNS1_14partition_implILS5_8ELb0ES3_jPlPS6_PKS6_NS0_5tupleIJS9_S6_EEENSD_IJSA_SA_EEENS0_18inequality_wrapperIZN2at6native12_GLOBAL__N_124unique_dim_cuda_templateIbEESt5tupleIJNSH_6TensorESM_SM_EERKSM_lbbbEUlllE0_EEPmJS6_EEE10hipError_tPvRmT3_T4_T5_T6_T7_T9_mT8_P12ihipStream_tbDpT10_ENKUlT_T0_E_clISt17integral_constantIbLb1EES1C_EEDaS17_S18_EUlS17_E_NS1_11comp_targetILNS1_3genE4ELNS1_11target_archE910ELNS1_3gpuE8ELNS1_3repE0EEENS1_30default_config_static_selectorELNS0_4arch9wavefront6targetE1EEEvT1_ ; -- Begin function _ZN7rocprim17ROCPRIM_400000_NS6detail17trampoline_kernelINS0_14default_configENS1_25partition_config_selectorILNS1_17partition_subalgoE8ElNS0_10empty_typeEbEEZZNS1_14partition_implILS5_8ELb0ES3_jPlPS6_PKS6_NS0_5tupleIJS9_S6_EEENSD_IJSA_SA_EEENS0_18inequality_wrapperIZN2at6native12_GLOBAL__N_124unique_dim_cuda_templateIbEESt5tupleIJNSH_6TensorESM_SM_EERKSM_lbbbEUlllE0_EEPmJS6_EEE10hipError_tPvRmT3_T4_T5_T6_T7_T9_mT8_P12ihipStream_tbDpT10_ENKUlT_T0_E_clISt17integral_constantIbLb1EES1C_EEDaS17_S18_EUlS17_E_NS1_11comp_targetILNS1_3genE4ELNS1_11target_archE910ELNS1_3gpuE8ELNS1_3repE0EEENS1_30default_config_static_selectorELNS0_4arch9wavefront6targetE1EEEvT1_
	.p2align	8
	.type	_ZN7rocprim17ROCPRIM_400000_NS6detail17trampoline_kernelINS0_14default_configENS1_25partition_config_selectorILNS1_17partition_subalgoE8ElNS0_10empty_typeEbEEZZNS1_14partition_implILS5_8ELb0ES3_jPlPS6_PKS6_NS0_5tupleIJS9_S6_EEENSD_IJSA_SA_EEENS0_18inequality_wrapperIZN2at6native12_GLOBAL__N_124unique_dim_cuda_templateIbEESt5tupleIJNSH_6TensorESM_SM_EERKSM_lbbbEUlllE0_EEPmJS6_EEE10hipError_tPvRmT3_T4_T5_T6_T7_T9_mT8_P12ihipStream_tbDpT10_ENKUlT_T0_E_clISt17integral_constantIbLb1EES1C_EEDaS17_S18_EUlS17_E_NS1_11comp_targetILNS1_3genE4ELNS1_11target_archE910ELNS1_3gpuE8ELNS1_3repE0EEENS1_30default_config_static_selectorELNS0_4arch9wavefront6targetE1EEEvT1_,@function
_ZN7rocprim17ROCPRIM_400000_NS6detail17trampoline_kernelINS0_14default_configENS1_25partition_config_selectorILNS1_17partition_subalgoE8ElNS0_10empty_typeEbEEZZNS1_14partition_implILS5_8ELb0ES3_jPlPS6_PKS6_NS0_5tupleIJS9_S6_EEENSD_IJSA_SA_EEENS0_18inequality_wrapperIZN2at6native12_GLOBAL__N_124unique_dim_cuda_templateIbEESt5tupleIJNSH_6TensorESM_SM_EERKSM_lbbbEUlllE0_EEPmJS6_EEE10hipError_tPvRmT3_T4_T5_T6_T7_T9_mT8_P12ihipStream_tbDpT10_ENKUlT_T0_E_clISt17integral_constantIbLb1EES1C_EEDaS17_S18_EUlS17_E_NS1_11comp_targetILNS1_3genE4ELNS1_11target_archE910ELNS1_3gpuE8ELNS1_3repE0EEENS1_30default_config_static_selectorELNS0_4arch9wavefront6targetE1EEEvT1_: ; @_ZN7rocprim17ROCPRIM_400000_NS6detail17trampoline_kernelINS0_14default_configENS1_25partition_config_selectorILNS1_17partition_subalgoE8ElNS0_10empty_typeEbEEZZNS1_14partition_implILS5_8ELb0ES3_jPlPS6_PKS6_NS0_5tupleIJS9_S6_EEENSD_IJSA_SA_EEENS0_18inequality_wrapperIZN2at6native12_GLOBAL__N_124unique_dim_cuda_templateIbEESt5tupleIJNSH_6TensorESM_SM_EERKSM_lbbbEUlllE0_EEPmJS6_EEE10hipError_tPvRmT3_T4_T5_T6_T7_T9_mT8_P12ihipStream_tbDpT10_ENKUlT_T0_E_clISt17integral_constantIbLb1EES1C_EEDaS17_S18_EUlS17_E_NS1_11comp_targetILNS1_3genE4ELNS1_11target_archE910ELNS1_3gpuE8ELNS1_3repE0EEENS1_30default_config_static_selectorELNS0_4arch9wavefront6targetE1EEEvT1_
; %bb.0:
	.section	.rodata,"a",@progbits
	.p2align	6, 0x0
	.amdhsa_kernel _ZN7rocprim17ROCPRIM_400000_NS6detail17trampoline_kernelINS0_14default_configENS1_25partition_config_selectorILNS1_17partition_subalgoE8ElNS0_10empty_typeEbEEZZNS1_14partition_implILS5_8ELb0ES3_jPlPS6_PKS6_NS0_5tupleIJS9_S6_EEENSD_IJSA_SA_EEENS0_18inequality_wrapperIZN2at6native12_GLOBAL__N_124unique_dim_cuda_templateIbEESt5tupleIJNSH_6TensorESM_SM_EERKSM_lbbbEUlllE0_EEPmJS6_EEE10hipError_tPvRmT3_T4_T5_T6_T7_T9_mT8_P12ihipStream_tbDpT10_ENKUlT_T0_E_clISt17integral_constantIbLb1EES1C_EEDaS17_S18_EUlS17_E_NS1_11comp_targetILNS1_3genE4ELNS1_11target_archE910ELNS1_3gpuE8ELNS1_3repE0EEENS1_30default_config_static_selectorELNS0_4arch9wavefront6targetE1EEEvT1_
		.amdhsa_group_segment_fixed_size 0
		.amdhsa_private_segment_fixed_size 0
		.amdhsa_kernarg_size 136
		.amdhsa_user_sgpr_count 2
		.amdhsa_user_sgpr_dispatch_ptr 0
		.amdhsa_user_sgpr_queue_ptr 0
		.amdhsa_user_sgpr_kernarg_segment_ptr 1
		.amdhsa_user_sgpr_dispatch_id 0
		.amdhsa_user_sgpr_kernarg_preload_length 0
		.amdhsa_user_sgpr_kernarg_preload_offset 0
		.amdhsa_user_sgpr_private_segment_size 0
		.amdhsa_uses_dynamic_stack 0
		.amdhsa_enable_private_segment 0
		.amdhsa_system_sgpr_workgroup_id_x 1
		.amdhsa_system_sgpr_workgroup_id_y 0
		.amdhsa_system_sgpr_workgroup_id_z 0
		.amdhsa_system_sgpr_workgroup_info 0
		.amdhsa_system_vgpr_workitem_id 0
		.amdhsa_next_free_vgpr 1
		.amdhsa_next_free_sgpr 0
		.amdhsa_accum_offset 4
		.amdhsa_reserve_vcc 0
		.amdhsa_float_round_mode_32 0
		.amdhsa_float_round_mode_16_64 0
		.amdhsa_float_denorm_mode_32 3
		.amdhsa_float_denorm_mode_16_64 3
		.amdhsa_dx10_clamp 1
		.amdhsa_ieee_mode 1
		.amdhsa_fp16_overflow 0
		.amdhsa_tg_split 0
		.amdhsa_exception_fp_ieee_invalid_op 0
		.amdhsa_exception_fp_denorm_src 0
		.amdhsa_exception_fp_ieee_div_zero 0
		.amdhsa_exception_fp_ieee_overflow 0
		.amdhsa_exception_fp_ieee_underflow 0
		.amdhsa_exception_fp_ieee_inexact 0
		.amdhsa_exception_int_div_zero 0
	.end_amdhsa_kernel
	.section	.text._ZN7rocprim17ROCPRIM_400000_NS6detail17trampoline_kernelINS0_14default_configENS1_25partition_config_selectorILNS1_17partition_subalgoE8ElNS0_10empty_typeEbEEZZNS1_14partition_implILS5_8ELb0ES3_jPlPS6_PKS6_NS0_5tupleIJS9_S6_EEENSD_IJSA_SA_EEENS0_18inequality_wrapperIZN2at6native12_GLOBAL__N_124unique_dim_cuda_templateIbEESt5tupleIJNSH_6TensorESM_SM_EERKSM_lbbbEUlllE0_EEPmJS6_EEE10hipError_tPvRmT3_T4_T5_T6_T7_T9_mT8_P12ihipStream_tbDpT10_ENKUlT_T0_E_clISt17integral_constantIbLb1EES1C_EEDaS17_S18_EUlS17_E_NS1_11comp_targetILNS1_3genE4ELNS1_11target_archE910ELNS1_3gpuE8ELNS1_3repE0EEENS1_30default_config_static_selectorELNS0_4arch9wavefront6targetE1EEEvT1_,"axG",@progbits,_ZN7rocprim17ROCPRIM_400000_NS6detail17trampoline_kernelINS0_14default_configENS1_25partition_config_selectorILNS1_17partition_subalgoE8ElNS0_10empty_typeEbEEZZNS1_14partition_implILS5_8ELb0ES3_jPlPS6_PKS6_NS0_5tupleIJS9_S6_EEENSD_IJSA_SA_EEENS0_18inequality_wrapperIZN2at6native12_GLOBAL__N_124unique_dim_cuda_templateIbEESt5tupleIJNSH_6TensorESM_SM_EERKSM_lbbbEUlllE0_EEPmJS6_EEE10hipError_tPvRmT3_T4_T5_T6_T7_T9_mT8_P12ihipStream_tbDpT10_ENKUlT_T0_E_clISt17integral_constantIbLb1EES1C_EEDaS17_S18_EUlS17_E_NS1_11comp_targetILNS1_3genE4ELNS1_11target_archE910ELNS1_3gpuE8ELNS1_3repE0EEENS1_30default_config_static_selectorELNS0_4arch9wavefront6targetE1EEEvT1_,comdat
.Lfunc_end1069:
	.size	_ZN7rocprim17ROCPRIM_400000_NS6detail17trampoline_kernelINS0_14default_configENS1_25partition_config_selectorILNS1_17partition_subalgoE8ElNS0_10empty_typeEbEEZZNS1_14partition_implILS5_8ELb0ES3_jPlPS6_PKS6_NS0_5tupleIJS9_S6_EEENSD_IJSA_SA_EEENS0_18inequality_wrapperIZN2at6native12_GLOBAL__N_124unique_dim_cuda_templateIbEESt5tupleIJNSH_6TensorESM_SM_EERKSM_lbbbEUlllE0_EEPmJS6_EEE10hipError_tPvRmT3_T4_T5_T6_T7_T9_mT8_P12ihipStream_tbDpT10_ENKUlT_T0_E_clISt17integral_constantIbLb1EES1C_EEDaS17_S18_EUlS17_E_NS1_11comp_targetILNS1_3genE4ELNS1_11target_archE910ELNS1_3gpuE8ELNS1_3repE0EEENS1_30default_config_static_selectorELNS0_4arch9wavefront6targetE1EEEvT1_, .Lfunc_end1069-_ZN7rocprim17ROCPRIM_400000_NS6detail17trampoline_kernelINS0_14default_configENS1_25partition_config_selectorILNS1_17partition_subalgoE8ElNS0_10empty_typeEbEEZZNS1_14partition_implILS5_8ELb0ES3_jPlPS6_PKS6_NS0_5tupleIJS9_S6_EEENSD_IJSA_SA_EEENS0_18inequality_wrapperIZN2at6native12_GLOBAL__N_124unique_dim_cuda_templateIbEESt5tupleIJNSH_6TensorESM_SM_EERKSM_lbbbEUlllE0_EEPmJS6_EEE10hipError_tPvRmT3_T4_T5_T6_T7_T9_mT8_P12ihipStream_tbDpT10_ENKUlT_T0_E_clISt17integral_constantIbLb1EES1C_EEDaS17_S18_EUlS17_E_NS1_11comp_targetILNS1_3genE4ELNS1_11target_archE910ELNS1_3gpuE8ELNS1_3repE0EEENS1_30default_config_static_selectorELNS0_4arch9wavefront6targetE1EEEvT1_
                                        ; -- End function
	.section	.AMDGPU.csdata,"",@progbits
; Kernel info:
; codeLenInByte = 0
; NumSgprs: 6
; NumVgprs: 0
; NumAgprs: 0
; TotalNumVgprs: 0
; ScratchSize: 0
; MemoryBound: 0
; FloatMode: 240
; IeeeMode: 1
; LDSByteSize: 0 bytes/workgroup (compile time only)
; SGPRBlocks: 0
; VGPRBlocks: 0
; NumSGPRsForWavesPerEU: 6
; NumVGPRsForWavesPerEU: 1
; AccumOffset: 4
; Occupancy: 8
; WaveLimiterHint : 0
; COMPUTE_PGM_RSRC2:SCRATCH_EN: 0
; COMPUTE_PGM_RSRC2:USER_SGPR: 2
; COMPUTE_PGM_RSRC2:TRAP_HANDLER: 0
; COMPUTE_PGM_RSRC2:TGID_X_EN: 1
; COMPUTE_PGM_RSRC2:TGID_Y_EN: 0
; COMPUTE_PGM_RSRC2:TGID_Z_EN: 0
; COMPUTE_PGM_RSRC2:TIDIG_COMP_CNT: 0
; COMPUTE_PGM_RSRC3_GFX90A:ACCUM_OFFSET: 0
; COMPUTE_PGM_RSRC3_GFX90A:TG_SPLIT: 0
	.section	.text._ZN7rocprim17ROCPRIM_400000_NS6detail17trampoline_kernelINS0_14default_configENS1_25partition_config_selectorILNS1_17partition_subalgoE8ElNS0_10empty_typeEbEEZZNS1_14partition_implILS5_8ELb0ES3_jPlPS6_PKS6_NS0_5tupleIJS9_S6_EEENSD_IJSA_SA_EEENS0_18inequality_wrapperIZN2at6native12_GLOBAL__N_124unique_dim_cuda_templateIbEESt5tupleIJNSH_6TensorESM_SM_EERKSM_lbbbEUlllE0_EEPmJS6_EEE10hipError_tPvRmT3_T4_T5_T6_T7_T9_mT8_P12ihipStream_tbDpT10_ENKUlT_T0_E_clISt17integral_constantIbLb1EES1C_EEDaS17_S18_EUlS17_E_NS1_11comp_targetILNS1_3genE3ELNS1_11target_archE908ELNS1_3gpuE7ELNS1_3repE0EEENS1_30default_config_static_selectorELNS0_4arch9wavefront6targetE1EEEvT1_,"axG",@progbits,_ZN7rocprim17ROCPRIM_400000_NS6detail17trampoline_kernelINS0_14default_configENS1_25partition_config_selectorILNS1_17partition_subalgoE8ElNS0_10empty_typeEbEEZZNS1_14partition_implILS5_8ELb0ES3_jPlPS6_PKS6_NS0_5tupleIJS9_S6_EEENSD_IJSA_SA_EEENS0_18inequality_wrapperIZN2at6native12_GLOBAL__N_124unique_dim_cuda_templateIbEESt5tupleIJNSH_6TensorESM_SM_EERKSM_lbbbEUlllE0_EEPmJS6_EEE10hipError_tPvRmT3_T4_T5_T6_T7_T9_mT8_P12ihipStream_tbDpT10_ENKUlT_T0_E_clISt17integral_constantIbLb1EES1C_EEDaS17_S18_EUlS17_E_NS1_11comp_targetILNS1_3genE3ELNS1_11target_archE908ELNS1_3gpuE7ELNS1_3repE0EEENS1_30default_config_static_selectorELNS0_4arch9wavefront6targetE1EEEvT1_,comdat
	.globl	_ZN7rocprim17ROCPRIM_400000_NS6detail17trampoline_kernelINS0_14default_configENS1_25partition_config_selectorILNS1_17partition_subalgoE8ElNS0_10empty_typeEbEEZZNS1_14partition_implILS5_8ELb0ES3_jPlPS6_PKS6_NS0_5tupleIJS9_S6_EEENSD_IJSA_SA_EEENS0_18inequality_wrapperIZN2at6native12_GLOBAL__N_124unique_dim_cuda_templateIbEESt5tupleIJNSH_6TensorESM_SM_EERKSM_lbbbEUlllE0_EEPmJS6_EEE10hipError_tPvRmT3_T4_T5_T6_T7_T9_mT8_P12ihipStream_tbDpT10_ENKUlT_T0_E_clISt17integral_constantIbLb1EES1C_EEDaS17_S18_EUlS17_E_NS1_11comp_targetILNS1_3genE3ELNS1_11target_archE908ELNS1_3gpuE7ELNS1_3repE0EEENS1_30default_config_static_selectorELNS0_4arch9wavefront6targetE1EEEvT1_ ; -- Begin function _ZN7rocprim17ROCPRIM_400000_NS6detail17trampoline_kernelINS0_14default_configENS1_25partition_config_selectorILNS1_17partition_subalgoE8ElNS0_10empty_typeEbEEZZNS1_14partition_implILS5_8ELb0ES3_jPlPS6_PKS6_NS0_5tupleIJS9_S6_EEENSD_IJSA_SA_EEENS0_18inequality_wrapperIZN2at6native12_GLOBAL__N_124unique_dim_cuda_templateIbEESt5tupleIJNSH_6TensorESM_SM_EERKSM_lbbbEUlllE0_EEPmJS6_EEE10hipError_tPvRmT3_T4_T5_T6_T7_T9_mT8_P12ihipStream_tbDpT10_ENKUlT_T0_E_clISt17integral_constantIbLb1EES1C_EEDaS17_S18_EUlS17_E_NS1_11comp_targetILNS1_3genE3ELNS1_11target_archE908ELNS1_3gpuE7ELNS1_3repE0EEENS1_30default_config_static_selectorELNS0_4arch9wavefront6targetE1EEEvT1_
	.p2align	8
	.type	_ZN7rocprim17ROCPRIM_400000_NS6detail17trampoline_kernelINS0_14default_configENS1_25partition_config_selectorILNS1_17partition_subalgoE8ElNS0_10empty_typeEbEEZZNS1_14partition_implILS5_8ELb0ES3_jPlPS6_PKS6_NS0_5tupleIJS9_S6_EEENSD_IJSA_SA_EEENS0_18inequality_wrapperIZN2at6native12_GLOBAL__N_124unique_dim_cuda_templateIbEESt5tupleIJNSH_6TensorESM_SM_EERKSM_lbbbEUlllE0_EEPmJS6_EEE10hipError_tPvRmT3_T4_T5_T6_T7_T9_mT8_P12ihipStream_tbDpT10_ENKUlT_T0_E_clISt17integral_constantIbLb1EES1C_EEDaS17_S18_EUlS17_E_NS1_11comp_targetILNS1_3genE3ELNS1_11target_archE908ELNS1_3gpuE7ELNS1_3repE0EEENS1_30default_config_static_selectorELNS0_4arch9wavefront6targetE1EEEvT1_,@function
_ZN7rocprim17ROCPRIM_400000_NS6detail17trampoline_kernelINS0_14default_configENS1_25partition_config_selectorILNS1_17partition_subalgoE8ElNS0_10empty_typeEbEEZZNS1_14partition_implILS5_8ELb0ES3_jPlPS6_PKS6_NS0_5tupleIJS9_S6_EEENSD_IJSA_SA_EEENS0_18inequality_wrapperIZN2at6native12_GLOBAL__N_124unique_dim_cuda_templateIbEESt5tupleIJNSH_6TensorESM_SM_EERKSM_lbbbEUlllE0_EEPmJS6_EEE10hipError_tPvRmT3_T4_T5_T6_T7_T9_mT8_P12ihipStream_tbDpT10_ENKUlT_T0_E_clISt17integral_constantIbLb1EES1C_EEDaS17_S18_EUlS17_E_NS1_11comp_targetILNS1_3genE3ELNS1_11target_archE908ELNS1_3gpuE7ELNS1_3repE0EEENS1_30default_config_static_selectorELNS0_4arch9wavefront6targetE1EEEvT1_: ; @_ZN7rocprim17ROCPRIM_400000_NS6detail17trampoline_kernelINS0_14default_configENS1_25partition_config_selectorILNS1_17partition_subalgoE8ElNS0_10empty_typeEbEEZZNS1_14partition_implILS5_8ELb0ES3_jPlPS6_PKS6_NS0_5tupleIJS9_S6_EEENSD_IJSA_SA_EEENS0_18inequality_wrapperIZN2at6native12_GLOBAL__N_124unique_dim_cuda_templateIbEESt5tupleIJNSH_6TensorESM_SM_EERKSM_lbbbEUlllE0_EEPmJS6_EEE10hipError_tPvRmT3_T4_T5_T6_T7_T9_mT8_P12ihipStream_tbDpT10_ENKUlT_T0_E_clISt17integral_constantIbLb1EES1C_EEDaS17_S18_EUlS17_E_NS1_11comp_targetILNS1_3genE3ELNS1_11target_archE908ELNS1_3gpuE7ELNS1_3repE0EEENS1_30default_config_static_selectorELNS0_4arch9wavefront6targetE1EEEvT1_
; %bb.0:
	.section	.rodata,"a",@progbits
	.p2align	6, 0x0
	.amdhsa_kernel _ZN7rocprim17ROCPRIM_400000_NS6detail17trampoline_kernelINS0_14default_configENS1_25partition_config_selectorILNS1_17partition_subalgoE8ElNS0_10empty_typeEbEEZZNS1_14partition_implILS5_8ELb0ES3_jPlPS6_PKS6_NS0_5tupleIJS9_S6_EEENSD_IJSA_SA_EEENS0_18inequality_wrapperIZN2at6native12_GLOBAL__N_124unique_dim_cuda_templateIbEESt5tupleIJNSH_6TensorESM_SM_EERKSM_lbbbEUlllE0_EEPmJS6_EEE10hipError_tPvRmT3_T4_T5_T6_T7_T9_mT8_P12ihipStream_tbDpT10_ENKUlT_T0_E_clISt17integral_constantIbLb1EES1C_EEDaS17_S18_EUlS17_E_NS1_11comp_targetILNS1_3genE3ELNS1_11target_archE908ELNS1_3gpuE7ELNS1_3repE0EEENS1_30default_config_static_selectorELNS0_4arch9wavefront6targetE1EEEvT1_
		.amdhsa_group_segment_fixed_size 0
		.amdhsa_private_segment_fixed_size 0
		.amdhsa_kernarg_size 136
		.amdhsa_user_sgpr_count 2
		.amdhsa_user_sgpr_dispatch_ptr 0
		.amdhsa_user_sgpr_queue_ptr 0
		.amdhsa_user_sgpr_kernarg_segment_ptr 1
		.amdhsa_user_sgpr_dispatch_id 0
		.amdhsa_user_sgpr_kernarg_preload_length 0
		.amdhsa_user_sgpr_kernarg_preload_offset 0
		.amdhsa_user_sgpr_private_segment_size 0
		.amdhsa_uses_dynamic_stack 0
		.amdhsa_enable_private_segment 0
		.amdhsa_system_sgpr_workgroup_id_x 1
		.amdhsa_system_sgpr_workgroup_id_y 0
		.amdhsa_system_sgpr_workgroup_id_z 0
		.amdhsa_system_sgpr_workgroup_info 0
		.amdhsa_system_vgpr_workitem_id 0
		.amdhsa_next_free_vgpr 1
		.amdhsa_next_free_sgpr 0
		.amdhsa_accum_offset 4
		.amdhsa_reserve_vcc 0
		.amdhsa_float_round_mode_32 0
		.amdhsa_float_round_mode_16_64 0
		.amdhsa_float_denorm_mode_32 3
		.amdhsa_float_denorm_mode_16_64 3
		.amdhsa_dx10_clamp 1
		.amdhsa_ieee_mode 1
		.amdhsa_fp16_overflow 0
		.amdhsa_tg_split 0
		.amdhsa_exception_fp_ieee_invalid_op 0
		.amdhsa_exception_fp_denorm_src 0
		.amdhsa_exception_fp_ieee_div_zero 0
		.amdhsa_exception_fp_ieee_overflow 0
		.amdhsa_exception_fp_ieee_underflow 0
		.amdhsa_exception_fp_ieee_inexact 0
		.amdhsa_exception_int_div_zero 0
	.end_amdhsa_kernel
	.section	.text._ZN7rocprim17ROCPRIM_400000_NS6detail17trampoline_kernelINS0_14default_configENS1_25partition_config_selectorILNS1_17partition_subalgoE8ElNS0_10empty_typeEbEEZZNS1_14partition_implILS5_8ELb0ES3_jPlPS6_PKS6_NS0_5tupleIJS9_S6_EEENSD_IJSA_SA_EEENS0_18inequality_wrapperIZN2at6native12_GLOBAL__N_124unique_dim_cuda_templateIbEESt5tupleIJNSH_6TensorESM_SM_EERKSM_lbbbEUlllE0_EEPmJS6_EEE10hipError_tPvRmT3_T4_T5_T6_T7_T9_mT8_P12ihipStream_tbDpT10_ENKUlT_T0_E_clISt17integral_constantIbLb1EES1C_EEDaS17_S18_EUlS17_E_NS1_11comp_targetILNS1_3genE3ELNS1_11target_archE908ELNS1_3gpuE7ELNS1_3repE0EEENS1_30default_config_static_selectorELNS0_4arch9wavefront6targetE1EEEvT1_,"axG",@progbits,_ZN7rocprim17ROCPRIM_400000_NS6detail17trampoline_kernelINS0_14default_configENS1_25partition_config_selectorILNS1_17partition_subalgoE8ElNS0_10empty_typeEbEEZZNS1_14partition_implILS5_8ELb0ES3_jPlPS6_PKS6_NS0_5tupleIJS9_S6_EEENSD_IJSA_SA_EEENS0_18inequality_wrapperIZN2at6native12_GLOBAL__N_124unique_dim_cuda_templateIbEESt5tupleIJNSH_6TensorESM_SM_EERKSM_lbbbEUlllE0_EEPmJS6_EEE10hipError_tPvRmT3_T4_T5_T6_T7_T9_mT8_P12ihipStream_tbDpT10_ENKUlT_T0_E_clISt17integral_constantIbLb1EES1C_EEDaS17_S18_EUlS17_E_NS1_11comp_targetILNS1_3genE3ELNS1_11target_archE908ELNS1_3gpuE7ELNS1_3repE0EEENS1_30default_config_static_selectorELNS0_4arch9wavefront6targetE1EEEvT1_,comdat
.Lfunc_end1070:
	.size	_ZN7rocprim17ROCPRIM_400000_NS6detail17trampoline_kernelINS0_14default_configENS1_25partition_config_selectorILNS1_17partition_subalgoE8ElNS0_10empty_typeEbEEZZNS1_14partition_implILS5_8ELb0ES3_jPlPS6_PKS6_NS0_5tupleIJS9_S6_EEENSD_IJSA_SA_EEENS0_18inequality_wrapperIZN2at6native12_GLOBAL__N_124unique_dim_cuda_templateIbEESt5tupleIJNSH_6TensorESM_SM_EERKSM_lbbbEUlllE0_EEPmJS6_EEE10hipError_tPvRmT3_T4_T5_T6_T7_T9_mT8_P12ihipStream_tbDpT10_ENKUlT_T0_E_clISt17integral_constantIbLb1EES1C_EEDaS17_S18_EUlS17_E_NS1_11comp_targetILNS1_3genE3ELNS1_11target_archE908ELNS1_3gpuE7ELNS1_3repE0EEENS1_30default_config_static_selectorELNS0_4arch9wavefront6targetE1EEEvT1_, .Lfunc_end1070-_ZN7rocprim17ROCPRIM_400000_NS6detail17trampoline_kernelINS0_14default_configENS1_25partition_config_selectorILNS1_17partition_subalgoE8ElNS0_10empty_typeEbEEZZNS1_14partition_implILS5_8ELb0ES3_jPlPS6_PKS6_NS0_5tupleIJS9_S6_EEENSD_IJSA_SA_EEENS0_18inequality_wrapperIZN2at6native12_GLOBAL__N_124unique_dim_cuda_templateIbEESt5tupleIJNSH_6TensorESM_SM_EERKSM_lbbbEUlllE0_EEPmJS6_EEE10hipError_tPvRmT3_T4_T5_T6_T7_T9_mT8_P12ihipStream_tbDpT10_ENKUlT_T0_E_clISt17integral_constantIbLb1EES1C_EEDaS17_S18_EUlS17_E_NS1_11comp_targetILNS1_3genE3ELNS1_11target_archE908ELNS1_3gpuE7ELNS1_3repE0EEENS1_30default_config_static_selectorELNS0_4arch9wavefront6targetE1EEEvT1_
                                        ; -- End function
	.section	.AMDGPU.csdata,"",@progbits
; Kernel info:
; codeLenInByte = 0
; NumSgprs: 6
; NumVgprs: 0
; NumAgprs: 0
; TotalNumVgprs: 0
; ScratchSize: 0
; MemoryBound: 0
; FloatMode: 240
; IeeeMode: 1
; LDSByteSize: 0 bytes/workgroup (compile time only)
; SGPRBlocks: 0
; VGPRBlocks: 0
; NumSGPRsForWavesPerEU: 6
; NumVGPRsForWavesPerEU: 1
; AccumOffset: 4
; Occupancy: 8
; WaveLimiterHint : 0
; COMPUTE_PGM_RSRC2:SCRATCH_EN: 0
; COMPUTE_PGM_RSRC2:USER_SGPR: 2
; COMPUTE_PGM_RSRC2:TRAP_HANDLER: 0
; COMPUTE_PGM_RSRC2:TGID_X_EN: 1
; COMPUTE_PGM_RSRC2:TGID_Y_EN: 0
; COMPUTE_PGM_RSRC2:TGID_Z_EN: 0
; COMPUTE_PGM_RSRC2:TIDIG_COMP_CNT: 0
; COMPUTE_PGM_RSRC3_GFX90A:ACCUM_OFFSET: 0
; COMPUTE_PGM_RSRC3_GFX90A:TG_SPLIT: 0
	.section	.text._ZN7rocprim17ROCPRIM_400000_NS6detail17trampoline_kernelINS0_14default_configENS1_25partition_config_selectorILNS1_17partition_subalgoE8ElNS0_10empty_typeEbEEZZNS1_14partition_implILS5_8ELb0ES3_jPlPS6_PKS6_NS0_5tupleIJS9_S6_EEENSD_IJSA_SA_EEENS0_18inequality_wrapperIZN2at6native12_GLOBAL__N_124unique_dim_cuda_templateIbEESt5tupleIJNSH_6TensorESM_SM_EERKSM_lbbbEUlllE0_EEPmJS6_EEE10hipError_tPvRmT3_T4_T5_T6_T7_T9_mT8_P12ihipStream_tbDpT10_ENKUlT_T0_E_clISt17integral_constantIbLb1EES1C_EEDaS17_S18_EUlS17_E_NS1_11comp_targetILNS1_3genE2ELNS1_11target_archE906ELNS1_3gpuE6ELNS1_3repE0EEENS1_30default_config_static_selectorELNS0_4arch9wavefront6targetE1EEEvT1_,"axG",@progbits,_ZN7rocprim17ROCPRIM_400000_NS6detail17trampoline_kernelINS0_14default_configENS1_25partition_config_selectorILNS1_17partition_subalgoE8ElNS0_10empty_typeEbEEZZNS1_14partition_implILS5_8ELb0ES3_jPlPS6_PKS6_NS0_5tupleIJS9_S6_EEENSD_IJSA_SA_EEENS0_18inequality_wrapperIZN2at6native12_GLOBAL__N_124unique_dim_cuda_templateIbEESt5tupleIJNSH_6TensorESM_SM_EERKSM_lbbbEUlllE0_EEPmJS6_EEE10hipError_tPvRmT3_T4_T5_T6_T7_T9_mT8_P12ihipStream_tbDpT10_ENKUlT_T0_E_clISt17integral_constantIbLb1EES1C_EEDaS17_S18_EUlS17_E_NS1_11comp_targetILNS1_3genE2ELNS1_11target_archE906ELNS1_3gpuE6ELNS1_3repE0EEENS1_30default_config_static_selectorELNS0_4arch9wavefront6targetE1EEEvT1_,comdat
	.globl	_ZN7rocprim17ROCPRIM_400000_NS6detail17trampoline_kernelINS0_14default_configENS1_25partition_config_selectorILNS1_17partition_subalgoE8ElNS0_10empty_typeEbEEZZNS1_14partition_implILS5_8ELb0ES3_jPlPS6_PKS6_NS0_5tupleIJS9_S6_EEENSD_IJSA_SA_EEENS0_18inequality_wrapperIZN2at6native12_GLOBAL__N_124unique_dim_cuda_templateIbEESt5tupleIJNSH_6TensorESM_SM_EERKSM_lbbbEUlllE0_EEPmJS6_EEE10hipError_tPvRmT3_T4_T5_T6_T7_T9_mT8_P12ihipStream_tbDpT10_ENKUlT_T0_E_clISt17integral_constantIbLb1EES1C_EEDaS17_S18_EUlS17_E_NS1_11comp_targetILNS1_3genE2ELNS1_11target_archE906ELNS1_3gpuE6ELNS1_3repE0EEENS1_30default_config_static_selectorELNS0_4arch9wavefront6targetE1EEEvT1_ ; -- Begin function _ZN7rocprim17ROCPRIM_400000_NS6detail17trampoline_kernelINS0_14default_configENS1_25partition_config_selectorILNS1_17partition_subalgoE8ElNS0_10empty_typeEbEEZZNS1_14partition_implILS5_8ELb0ES3_jPlPS6_PKS6_NS0_5tupleIJS9_S6_EEENSD_IJSA_SA_EEENS0_18inequality_wrapperIZN2at6native12_GLOBAL__N_124unique_dim_cuda_templateIbEESt5tupleIJNSH_6TensorESM_SM_EERKSM_lbbbEUlllE0_EEPmJS6_EEE10hipError_tPvRmT3_T4_T5_T6_T7_T9_mT8_P12ihipStream_tbDpT10_ENKUlT_T0_E_clISt17integral_constantIbLb1EES1C_EEDaS17_S18_EUlS17_E_NS1_11comp_targetILNS1_3genE2ELNS1_11target_archE906ELNS1_3gpuE6ELNS1_3repE0EEENS1_30default_config_static_selectorELNS0_4arch9wavefront6targetE1EEEvT1_
	.p2align	8
	.type	_ZN7rocprim17ROCPRIM_400000_NS6detail17trampoline_kernelINS0_14default_configENS1_25partition_config_selectorILNS1_17partition_subalgoE8ElNS0_10empty_typeEbEEZZNS1_14partition_implILS5_8ELb0ES3_jPlPS6_PKS6_NS0_5tupleIJS9_S6_EEENSD_IJSA_SA_EEENS0_18inequality_wrapperIZN2at6native12_GLOBAL__N_124unique_dim_cuda_templateIbEESt5tupleIJNSH_6TensorESM_SM_EERKSM_lbbbEUlllE0_EEPmJS6_EEE10hipError_tPvRmT3_T4_T5_T6_T7_T9_mT8_P12ihipStream_tbDpT10_ENKUlT_T0_E_clISt17integral_constantIbLb1EES1C_EEDaS17_S18_EUlS17_E_NS1_11comp_targetILNS1_3genE2ELNS1_11target_archE906ELNS1_3gpuE6ELNS1_3repE0EEENS1_30default_config_static_selectorELNS0_4arch9wavefront6targetE1EEEvT1_,@function
_ZN7rocprim17ROCPRIM_400000_NS6detail17trampoline_kernelINS0_14default_configENS1_25partition_config_selectorILNS1_17partition_subalgoE8ElNS0_10empty_typeEbEEZZNS1_14partition_implILS5_8ELb0ES3_jPlPS6_PKS6_NS0_5tupleIJS9_S6_EEENSD_IJSA_SA_EEENS0_18inequality_wrapperIZN2at6native12_GLOBAL__N_124unique_dim_cuda_templateIbEESt5tupleIJNSH_6TensorESM_SM_EERKSM_lbbbEUlllE0_EEPmJS6_EEE10hipError_tPvRmT3_T4_T5_T6_T7_T9_mT8_P12ihipStream_tbDpT10_ENKUlT_T0_E_clISt17integral_constantIbLb1EES1C_EEDaS17_S18_EUlS17_E_NS1_11comp_targetILNS1_3genE2ELNS1_11target_archE906ELNS1_3gpuE6ELNS1_3repE0EEENS1_30default_config_static_selectorELNS0_4arch9wavefront6targetE1EEEvT1_: ; @_ZN7rocprim17ROCPRIM_400000_NS6detail17trampoline_kernelINS0_14default_configENS1_25partition_config_selectorILNS1_17partition_subalgoE8ElNS0_10empty_typeEbEEZZNS1_14partition_implILS5_8ELb0ES3_jPlPS6_PKS6_NS0_5tupleIJS9_S6_EEENSD_IJSA_SA_EEENS0_18inequality_wrapperIZN2at6native12_GLOBAL__N_124unique_dim_cuda_templateIbEESt5tupleIJNSH_6TensorESM_SM_EERKSM_lbbbEUlllE0_EEPmJS6_EEE10hipError_tPvRmT3_T4_T5_T6_T7_T9_mT8_P12ihipStream_tbDpT10_ENKUlT_T0_E_clISt17integral_constantIbLb1EES1C_EEDaS17_S18_EUlS17_E_NS1_11comp_targetILNS1_3genE2ELNS1_11target_archE906ELNS1_3gpuE6ELNS1_3repE0EEENS1_30default_config_static_selectorELNS0_4arch9wavefront6targetE1EEEvT1_
; %bb.0:
	.section	.rodata,"a",@progbits
	.p2align	6, 0x0
	.amdhsa_kernel _ZN7rocprim17ROCPRIM_400000_NS6detail17trampoline_kernelINS0_14default_configENS1_25partition_config_selectorILNS1_17partition_subalgoE8ElNS0_10empty_typeEbEEZZNS1_14partition_implILS5_8ELb0ES3_jPlPS6_PKS6_NS0_5tupleIJS9_S6_EEENSD_IJSA_SA_EEENS0_18inequality_wrapperIZN2at6native12_GLOBAL__N_124unique_dim_cuda_templateIbEESt5tupleIJNSH_6TensorESM_SM_EERKSM_lbbbEUlllE0_EEPmJS6_EEE10hipError_tPvRmT3_T4_T5_T6_T7_T9_mT8_P12ihipStream_tbDpT10_ENKUlT_T0_E_clISt17integral_constantIbLb1EES1C_EEDaS17_S18_EUlS17_E_NS1_11comp_targetILNS1_3genE2ELNS1_11target_archE906ELNS1_3gpuE6ELNS1_3repE0EEENS1_30default_config_static_selectorELNS0_4arch9wavefront6targetE1EEEvT1_
		.amdhsa_group_segment_fixed_size 0
		.amdhsa_private_segment_fixed_size 0
		.amdhsa_kernarg_size 136
		.amdhsa_user_sgpr_count 2
		.amdhsa_user_sgpr_dispatch_ptr 0
		.amdhsa_user_sgpr_queue_ptr 0
		.amdhsa_user_sgpr_kernarg_segment_ptr 1
		.amdhsa_user_sgpr_dispatch_id 0
		.amdhsa_user_sgpr_kernarg_preload_length 0
		.amdhsa_user_sgpr_kernarg_preload_offset 0
		.amdhsa_user_sgpr_private_segment_size 0
		.amdhsa_uses_dynamic_stack 0
		.amdhsa_enable_private_segment 0
		.amdhsa_system_sgpr_workgroup_id_x 1
		.amdhsa_system_sgpr_workgroup_id_y 0
		.amdhsa_system_sgpr_workgroup_id_z 0
		.amdhsa_system_sgpr_workgroup_info 0
		.amdhsa_system_vgpr_workitem_id 0
		.amdhsa_next_free_vgpr 1
		.amdhsa_next_free_sgpr 0
		.amdhsa_accum_offset 4
		.amdhsa_reserve_vcc 0
		.amdhsa_float_round_mode_32 0
		.amdhsa_float_round_mode_16_64 0
		.amdhsa_float_denorm_mode_32 3
		.amdhsa_float_denorm_mode_16_64 3
		.amdhsa_dx10_clamp 1
		.amdhsa_ieee_mode 1
		.amdhsa_fp16_overflow 0
		.amdhsa_tg_split 0
		.amdhsa_exception_fp_ieee_invalid_op 0
		.amdhsa_exception_fp_denorm_src 0
		.amdhsa_exception_fp_ieee_div_zero 0
		.amdhsa_exception_fp_ieee_overflow 0
		.amdhsa_exception_fp_ieee_underflow 0
		.amdhsa_exception_fp_ieee_inexact 0
		.amdhsa_exception_int_div_zero 0
	.end_amdhsa_kernel
	.section	.text._ZN7rocprim17ROCPRIM_400000_NS6detail17trampoline_kernelINS0_14default_configENS1_25partition_config_selectorILNS1_17partition_subalgoE8ElNS0_10empty_typeEbEEZZNS1_14partition_implILS5_8ELb0ES3_jPlPS6_PKS6_NS0_5tupleIJS9_S6_EEENSD_IJSA_SA_EEENS0_18inequality_wrapperIZN2at6native12_GLOBAL__N_124unique_dim_cuda_templateIbEESt5tupleIJNSH_6TensorESM_SM_EERKSM_lbbbEUlllE0_EEPmJS6_EEE10hipError_tPvRmT3_T4_T5_T6_T7_T9_mT8_P12ihipStream_tbDpT10_ENKUlT_T0_E_clISt17integral_constantIbLb1EES1C_EEDaS17_S18_EUlS17_E_NS1_11comp_targetILNS1_3genE2ELNS1_11target_archE906ELNS1_3gpuE6ELNS1_3repE0EEENS1_30default_config_static_selectorELNS0_4arch9wavefront6targetE1EEEvT1_,"axG",@progbits,_ZN7rocprim17ROCPRIM_400000_NS6detail17trampoline_kernelINS0_14default_configENS1_25partition_config_selectorILNS1_17partition_subalgoE8ElNS0_10empty_typeEbEEZZNS1_14partition_implILS5_8ELb0ES3_jPlPS6_PKS6_NS0_5tupleIJS9_S6_EEENSD_IJSA_SA_EEENS0_18inequality_wrapperIZN2at6native12_GLOBAL__N_124unique_dim_cuda_templateIbEESt5tupleIJNSH_6TensorESM_SM_EERKSM_lbbbEUlllE0_EEPmJS6_EEE10hipError_tPvRmT3_T4_T5_T6_T7_T9_mT8_P12ihipStream_tbDpT10_ENKUlT_T0_E_clISt17integral_constantIbLb1EES1C_EEDaS17_S18_EUlS17_E_NS1_11comp_targetILNS1_3genE2ELNS1_11target_archE906ELNS1_3gpuE6ELNS1_3repE0EEENS1_30default_config_static_selectorELNS0_4arch9wavefront6targetE1EEEvT1_,comdat
.Lfunc_end1071:
	.size	_ZN7rocprim17ROCPRIM_400000_NS6detail17trampoline_kernelINS0_14default_configENS1_25partition_config_selectorILNS1_17partition_subalgoE8ElNS0_10empty_typeEbEEZZNS1_14partition_implILS5_8ELb0ES3_jPlPS6_PKS6_NS0_5tupleIJS9_S6_EEENSD_IJSA_SA_EEENS0_18inequality_wrapperIZN2at6native12_GLOBAL__N_124unique_dim_cuda_templateIbEESt5tupleIJNSH_6TensorESM_SM_EERKSM_lbbbEUlllE0_EEPmJS6_EEE10hipError_tPvRmT3_T4_T5_T6_T7_T9_mT8_P12ihipStream_tbDpT10_ENKUlT_T0_E_clISt17integral_constantIbLb1EES1C_EEDaS17_S18_EUlS17_E_NS1_11comp_targetILNS1_3genE2ELNS1_11target_archE906ELNS1_3gpuE6ELNS1_3repE0EEENS1_30default_config_static_selectorELNS0_4arch9wavefront6targetE1EEEvT1_, .Lfunc_end1071-_ZN7rocprim17ROCPRIM_400000_NS6detail17trampoline_kernelINS0_14default_configENS1_25partition_config_selectorILNS1_17partition_subalgoE8ElNS0_10empty_typeEbEEZZNS1_14partition_implILS5_8ELb0ES3_jPlPS6_PKS6_NS0_5tupleIJS9_S6_EEENSD_IJSA_SA_EEENS0_18inequality_wrapperIZN2at6native12_GLOBAL__N_124unique_dim_cuda_templateIbEESt5tupleIJNSH_6TensorESM_SM_EERKSM_lbbbEUlllE0_EEPmJS6_EEE10hipError_tPvRmT3_T4_T5_T6_T7_T9_mT8_P12ihipStream_tbDpT10_ENKUlT_T0_E_clISt17integral_constantIbLb1EES1C_EEDaS17_S18_EUlS17_E_NS1_11comp_targetILNS1_3genE2ELNS1_11target_archE906ELNS1_3gpuE6ELNS1_3repE0EEENS1_30default_config_static_selectorELNS0_4arch9wavefront6targetE1EEEvT1_
                                        ; -- End function
	.section	.AMDGPU.csdata,"",@progbits
; Kernel info:
; codeLenInByte = 0
; NumSgprs: 6
; NumVgprs: 0
; NumAgprs: 0
; TotalNumVgprs: 0
; ScratchSize: 0
; MemoryBound: 0
; FloatMode: 240
; IeeeMode: 1
; LDSByteSize: 0 bytes/workgroup (compile time only)
; SGPRBlocks: 0
; VGPRBlocks: 0
; NumSGPRsForWavesPerEU: 6
; NumVGPRsForWavesPerEU: 1
; AccumOffset: 4
; Occupancy: 8
; WaveLimiterHint : 0
; COMPUTE_PGM_RSRC2:SCRATCH_EN: 0
; COMPUTE_PGM_RSRC2:USER_SGPR: 2
; COMPUTE_PGM_RSRC2:TRAP_HANDLER: 0
; COMPUTE_PGM_RSRC2:TGID_X_EN: 1
; COMPUTE_PGM_RSRC2:TGID_Y_EN: 0
; COMPUTE_PGM_RSRC2:TGID_Z_EN: 0
; COMPUTE_PGM_RSRC2:TIDIG_COMP_CNT: 0
; COMPUTE_PGM_RSRC3_GFX90A:ACCUM_OFFSET: 0
; COMPUTE_PGM_RSRC3_GFX90A:TG_SPLIT: 0
	.section	.text._ZN7rocprim17ROCPRIM_400000_NS6detail17trampoline_kernelINS0_14default_configENS1_25partition_config_selectorILNS1_17partition_subalgoE8ElNS0_10empty_typeEbEEZZNS1_14partition_implILS5_8ELb0ES3_jPlPS6_PKS6_NS0_5tupleIJS9_S6_EEENSD_IJSA_SA_EEENS0_18inequality_wrapperIZN2at6native12_GLOBAL__N_124unique_dim_cuda_templateIbEESt5tupleIJNSH_6TensorESM_SM_EERKSM_lbbbEUlllE0_EEPmJS6_EEE10hipError_tPvRmT3_T4_T5_T6_T7_T9_mT8_P12ihipStream_tbDpT10_ENKUlT_T0_E_clISt17integral_constantIbLb1EES1C_EEDaS17_S18_EUlS17_E_NS1_11comp_targetILNS1_3genE10ELNS1_11target_archE1200ELNS1_3gpuE4ELNS1_3repE0EEENS1_30default_config_static_selectorELNS0_4arch9wavefront6targetE1EEEvT1_,"axG",@progbits,_ZN7rocprim17ROCPRIM_400000_NS6detail17trampoline_kernelINS0_14default_configENS1_25partition_config_selectorILNS1_17partition_subalgoE8ElNS0_10empty_typeEbEEZZNS1_14partition_implILS5_8ELb0ES3_jPlPS6_PKS6_NS0_5tupleIJS9_S6_EEENSD_IJSA_SA_EEENS0_18inequality_wrapperIZN2at6native12_GLOBAL__N_124unique_dim_cuda_templateIbEESt5tupleIJNSH_6TensorESM_SM_EERKSM_lbbbEUlllE0_EEPmJS6_EEE10hipError_tPvRmT3_T4_T5_T6_T7_T9_mT8_P12ihipStream_tbDpT10_ENKUlT_T0_E_clISt17integral_constantIbLb1EES1C_EEDaS17_S18_EUlS17_E_NS1_11comp_targetILNS1_3genE10ELNS1_11target_archE1200ELNS1_3gpuE4ELNS1_3repE0EEENS1_30default_config_static_selectorELNS0_4arch9wavefront6targetE1EEEvT1_,comdat
	.globl	_ZN7rocprim17ROCPRIM_400000_NS6detail17trampoline_kernelINS0_14default_configENS1_25partition_config_selectorILNS1_17partition_subalgoE8ElNS0_10empty_typeEbEEZZNS1_14partition_implILS5_8ELb0ES3_jPlPS6_PKS6_NS0_5tupleIJS9_S6_EEENSD_IJSA_SA_EEENS0_18inequality_wrapperIZN2at6native12_GLOBAL__N_124unique_dim_cuda_templateIbEESt5tupleIJNSH_6TensorESM_SM_EERKSM_lbbbEUlllE0_EEPmJS6_EEE10hipError_tPvRmT3_T4_T5_T6_T7_T9_mT8_P12ihipStream_tbDpT10_ENKUlT_T0_E_clISt17integral_constantIbLb1EES1C_EEDaS17_S18_EUlS17_E_NS1_11comp_targetILNS1_3genE10ELNS1_11target_archE1200ELNS1_3gpuE4ELNS1_3repE0EEENS1_30default_config_static_selectorELNS0_4arch9wavefront6targetE1EEEvT1_ ; -- Begin function _ZN7rocprim17ROCPRIM_400000_NS6detail17trampoline_kernelINS0_14default_configENS1_25partition_config_selectorILNS1_17partition_subalgoE8ElNS0_10empty_typeEbEEZZNS1_14partition_implILS5_8ELb0ES3_jPlPS6_PKS6_NS0_5tupleIJS9_S6_EEENSD_IJSA_SA_EEENS0_18inequality_wrapperIZN2at6native12_GLOBAL__N_124unique_dim_cuda_templateIbEESt5tupleIJNSH_6TensorESM_SM_EERKSM_lbbbEUlllE0_EEPmJS6_EEE10hipError_tPvRmT3_T4_T5_T6_T7_T9_mT8_P12ihipStream_tbDpT10_ENKUlT_T0_E_clISt17integral_constantIbLb1EES1C_EEDaS17_S18_EUlS17_E_NS1_11comp_targetILNS1_3genE10ELNS1_11target_archE1200ELNS1_3gpuE4ELNS1_3repE0EEENS1_30default_config_static_selectorELNS0_4arch9wavefront6targetE1EEEvT1_
	.p2align	8
	.type	_ZN7rocprim17ROCPRIM_400000_NS6detail17trampoline_kernelINS0_14default_configENS1_25partition_config_selectorILNS1_17partition_subalgoE8ElNS0_10empty_typeEbEEZZNS1_14partition_implILS5_8ELb0ES3_jPlPS6_PKS6_NS0_5tupleIJS9_S6_EEENSD_IJSA_SA_EEENS0_18inequality_wrapperIZN2at6native12_GLOBAL__N_124unique_dim_cuda_templateIbEESt5tupleIJNSH_6TensorESM_SM_EERKSM_lbbbEUlllE0_EEPmJS6_EEE10hipError_tPvRmT3_T4_T5_T6_T7_T9_mT8_P12ihipStream_tbDpT10_ENKUlT_T0_E_clISt17integral_constantIbLb1EES1C_EEDaS17_S18_EUlS17_E_NS1_11comp_targetILNS1_3genE10ELNS1_11target_archE1200ELNS1_3gpuE4ELNS1_3repE0EEENS1_30default_config_static_selectorELNS0_4arch9wavefront6targetE1EEEvT1_,@function
_ZN7rocprim17ROCPRIM_400000_NS6detail17trampoline_kernelINS0_14default_configENS1_25partition_config_selectorILNS1_17partition_subalgoE8ElNS0_10empty_typeEbEEZZNS1_14partition_implILS5_8ELb0ES3_jPlPS6_PKS6_NS0_5tupleIJS9_S6_EEENSD_IJSA_SA_EEENS0_18inequality_wrapperIZN2at6native12_GLOBAL__N_124unique_dim_cuda_templateIbEESt5tupleIJNSH_6TensorESM_SM_EERKSM_lbbbEUlllE0_EEPmJS6_EEE10hipError_tPvRmT3_T4_T5_T6_T7_T9_mT8_P12ihipStream_tbDpT10_ENKUlT_T0_E_clISt17integral_constantIbLb1EES1C_EEDaS17_S18_EUlS17_E_NS1_11comp_targetILNS1_3genE10ELNS1_11target_archE1200ELNS1_3gpuE4ELNS1_3repE0EEENS1_30default_config_static_selectorELNS0_4arch9wavefront6targetE1EEEvT1_: ; @_ZN7rocprim17ROCPRIM_400000_NS6detail17trampoline_kernelINS0_14default_configENS1_25partition_config_selectorILNS1_17partition_subalgoE8ElNS0_10empty_typeEbEEZZNS1_14partition_implILS5_8ELb0ES3_jPlPS6_PKS6_NS0_5tupleIJS9_S6_EEENSD_IJSA_SA_EEENS0_18inequality_wrapperIZN2at6native12_GLOBAL__N_124unique_dim_cuda_templateIbEESt5tupleIJNSH_6TensorESM_SM_EERKSM_lbbbEUlllE0_EEPmJS6_EEE10hipError_tPvRmT3_T4_T5_T6_T7_T9_mT8_P12ihipStream_tbDpT10_ENKUlT_T0_E_clISt17integral_constantIbLb1EES1C_EEDaS17_S18_EUlS17_E_NS1_11comp_targetILNS1_3genE10ELNS1_11target_archE1200ELNS1_3gpuE4ELNS1_3repE0EEENS1_30default_config_static_selectorELNS0_4arch9wavefront6targetE1EEEvT1_
; %bb.0:
	.section	.rodata,"a",@progbits
	.p2align	6, 0x0
	.amdhsa_kernel _ZN7rocprim17ROCPRIM_400000_NS6detail17trampoline_kernelINS0_14default_configENS1_25partition_config_selectorILNS1_17partition_subalgoE8ElNS0_10empty_typeEbEEZZNS1_14partition_implILS5_8ELb0ES3_jPlPS6_PKS6_NS0_5tupleIJS9_S6_EEENSD_IJSA_SA_EEENS0_18inequality_wrapperIZN2at6native12_GLOBAL__N_124unique_dim_cuda_templateIbEESt5tupleIJNSH_6TensorESM_SM_EERKSM_lbbbEUlllE0_EEPmJS6_EEE10hipError_tPvRmT3_T4_T5_T6_T7_T9_mT8_P12ihipStream_tbDpT10_ENKUlT_T0_E_clISt17integral_constantIbLb1EES1C_EEDaS17_S18_EUlS17_E_NS1_11comp_targetILNS1_3genE10ELNS1_11target_archE1200ELNS1_3gpuE4ELNS1_3repE0EEENS1_30default_config_static_selectorELNS0_4arch9wavefront6targetE1EEEvT1_
		.amdhsa_group_segment_fixed_size 0
		.amdhsa_private_segment_fixed_size 0
		.amdhsa_kernarg_size 136
		.amdhsa_user_sgpr_count 2
		.amdhsa_user_sgpr_dispatch_ptr 0
		.amdhsa_user_sgpr_queue_ptr 0
		.amdhsa_user_sgpr_kernarg_segment_ptr 1
		.amdhsa_user_sgpr_dispatch_id 0
		.amdhsa_user_sgpr_kernarg_preload_length 0
		.amdhsa_user_sgpr_kernarg_preload_offset 0
		.amdhsa_user_sgpr_private_segment_size 0
		.amdhsa_uses_dynamic_stack 0
		.amdhsa_enable_private_segment 0
		.amdhsa_system_sgpr_workgroup_id_x 1
		.amdhsa_system_sgpr_workgroup_id_y 0
		.amdhsa_system_sgpr_workgroup_id_z 0
		.amdhsa_system_sgpr_workgroup_info 0
		.amdhsa_system_vgpr_workitem_id 0
		.amdhsa_next_free_vgpr 1
		.amdhsa_next_free_sgpr 0
		.amdhsa_accum_offset 4
		.amdhsa_reserve_vcc 0
		.amdhsa_float_round_mode_32 0
		.amdhsa_float_round_mode_16_64 0
		.amdhsa_float_denorm_mode_32 3
		.amdhsa_float_denorm_mode_16_64 3
		.amdhsa_dx10_clamp 1
		.amdhsa_ieee_mode 1
		.amdhsa_fp16_overflow 0
		.amdhsa_tg_split 0
		.amdhsa_exception_fp_ieee_invalid_op 0
		.amdhsa_exception_fp_denorm_src 0
		.amdhsa_exception_fp_ieee_div_zero 0
		.amdhsa_exception_fp_ieee_overflow 0
		.amdhsa_exception_fp_ieee_underflow 0
		.amdhsa_exception_fp_ieee_inexact 0
		.amdhsa_exception_int_div_zero 0
	.end_amdhsa_kernel
	.section	.text._ZN7rocprim17ROCPRIM_400000_NS6detail17trampoline_kernelINS0_14default_configENS1_25partition_config_selectorILNS1_17partition_subalgoE8ElNS0_10empty_typeEbEEZZNS1_14partition_implILS5_8ELb0ES3_jPlPS6_PKS6_NS0_5tupleIJS9_S6_EEENSD_IJSA_SA_EEENS0_18inequality_wrapperIZN2at6native12_GLOBAL__N_124unique_dim_cuda_templateIbEESt5tupleIJNSH_6TensorESM_SM_EERKSM_lbbbEUlllE0_EEPmJS6_EEE10hipError_tPvRmT3_T4_T5_T6_T7_T9_mT8_P12ihipStream_tbDpT10_ENKUlT_T0_E_clISt17integral_constantIbLb1EES1C_EEDaS17_S18_EUlS17_E_NS1_11comp_targetILNS1_3genE10ELNS1_11target_archE1200ELNS1_3gpuE4ELNS1_3repE0EEENS1_30default_config_static_selectorELNS0_4arch9wavefront6targetE1EEEvT1_,"axG",@progbits,_ZN7rocprim17ROCPRIM_400000_NS6detail17trampoline_kernelINS0_14default_configENS1_25partition_config_selectorILNS1_17partition_subalgoE8ElNS0_10empty_typeEbEEZZNS1_14partition_implILS5_8ELb0ES3_jPlPS6_PKS6_NS0_5tupleIJS9_S6_EEENSD_IJSA_SA_EEENS0_18inequality_wrapperIZN2at6native12_GLOBAL__N_124unique_dim_cuda_templateIbEESt5tupleIJNSH_6TensorESM_SM_EERKSM_lbbbEUlllE0_EEPmJS6_EEE10hipError_tPvRmT3_T4_T5_T6_T7_T9_mT8_P12ihipStream_tbDpT10_ENKUlT_T0_E_clISt17integral_constantIbLb1EES1C_EEDaS17_S18_EUlS17_E_NS1_11comp_targetILNS1_3genE10ELNS1_11target_archE1200ELNS1_3gpuE4ELNS1_3repE0EEENS1_30default_config_static_selectorELNS0_4arch9wavefront6targetE1EEEvT1_,comdat
.Lfunc_end1072:
	.size	_ZN7rocprim17ROCPRIM_400000_NS6detail17trampoline_kernelINS0_14default_configENS1_25partition_config_selectorILNS1_17partition_subalgoE8ElNS0_10empty_typeEbEEZZNS1_14partition_implILS5_8ELb0ES3_jPlPS6_PKS6_NS0_5tupleIJS9_S6_EEENSD_IJSA_SA_EEENS0_18inequality_wrapperIZN2at6native12_GLOBAL__N_124unique_dim_cuda_templateIbEESt5tupleIJNSH_6TensorESM_SM_EERKSM_lbbbEUlllE0_EEPmJS6_EEE10hipError_tPvRmT3_T4_T5_T6_T7_T9_mT8_P12ihipStream_tbDpT10_ENKUlT_T0_E_clISt17integral_constantIbLb1EES1C_EEDaS17_S18_EUlS17_E_NS1_11comp_targetILNS1_3genE10ELNS1_11target_archE1200ELNS1_3gpuE4ELNS1_3repE0EEENS1_30default_config_static_selectorELNS0_4arch9wavefront6targetE1EEEvT1_, .Lfunc_end1072-_ZN7rocprim17ROCPRIM_400000_NS6detail17trampoline_kernelINS0_14default_configENS1_25partition_config_selectorILNS1_17partition_subalgoE8ElNS0_10empty_typeEbEEZZNS1_14partition_implILS5_8ELb0ES3_jPlPS6_PKS6_NS0_5tupleIJS9_S6_EEENSD_IJSA_SA_EEENS0_18inequality_wrapperIZN2at6native12_GLOBAL__N_124unique_dim_cuda_templateIbEESt5tupleIJNSH_6TensorESM_SM_EERKSM_lbbbEUlllE0_EEPmJS6_EEE10hipError_tPvRmT3_T4_T5_T6_T7_T9_mT8_P12ihipStream_tbDpT10_ENKUlT_T0_E_clISt17integral_constantIbLb1EES1C_EEDaS17_S18_EUlS17_E_NS1_11comp_targetILNS1_3genE10ELNS1_11target_archE1200ELNS1_3gpuE4ELNS1_3repE0EEENS1_30default_config_static_selectorELNS0_4arch9wavefront6targetE1EEEvT1_
                                        ; -- End function
	.section	.AMDGPU.csdata,"",@progbits
; Kernel info:
; codeLenInByte = 0
; NumSgprs: 6
; NumVgprs: 0
; NumAgprs: 0
; TotalNumVgprs: 0
; ScratchSize: 0
; MemoryBound: 0
; FloatMode: 240
; IeeeMode: 1
; LDSByteSize: 0 bytes/workgroup (compile time only)
; SGPRBlocks: 0
; VGPRBlocks: 0
; NumSGPRsForWavesPerEU: 6
; NumVGPRsForWavesPerEU: 1
; AccumOffset: 4
; Occupancy: 8
; WaveLimiterHint : 0
; COMPUTE_PGM_RSRC2:SCRATCH_EN: 0
; COMPUTE_PGM_RSRC2:USER_SGPR: 2
; COMPUTE_PGM_RSRC2:TRAP_HANDLER: 0
; COMPUTE_PGM_RSRC2:TGID_X_EN: 1
; COMPUTE_PGM_RSRC2:TGID_Y_EN: 0
; COMPUTE_PGM_RSRC2:TGID_Z_EN: 0
; COMPUTE_PGM_RSRC2:TIDIG_COMP_CNT: 0
; COMPUTE_PGM_RSRC3_GFX90A:ACCUM_OFFSET: 0
; COMPUTE_PGM_RSRC3_GFX90A:TG_SPLIT: 0
	.section	.text._ZN7rocprim17ROCPRIM_400000_NS6detail17trampoline_kernelINS0_14default_configENS1_25partition_config_selectorILNS1_17partition_subalgoE8ElNS0_10empty_typeEbEEZZNS1_14partition_implILS5_8ELb0ES3_jPlPS6_PKS6_NS0_5tupleIJS9_S6_EEENSD_IJSA_SA_EEENS0_18inequality_wrapperIZN2at6native12_GLOBAL__N_124unique_dim_cuda_templateIbEESt5tupleIJNSH_6TensorESM_SM_EERKSM_lbbbEUlllE0_EEPmJS6_EEE10hipError_tPvRmT3_T4_T5_T6_T7_T9_mT8_P12ihipStream_tbDpT10_ENKUlT_T0_E_clISt17integral_constantIbLb1EES1C_EEDaS17_S18_EUlS17_E_NS1_11comp_targetILNS1_3genE9ELNS1_11target_archE1100ELNS1_3gpuE3ELNS1_3repE0EEENS1_30default_config_static_selectorELNS0_4arch9wavefront6targetE1EEEvT1_,"axG",@progbits,_ZN7rocprim17ROCPRIM_400000_NS6detail17trampoline_kernelINS0_14default_configENS1_25partition_config_selectorILNS1_17partition_subalgoE8ElNS0_10empty_typeEbEEZZNS1_14partition_implILS5_8ELb0ES3_jPlPS6_PKS6_NS0_5tupleIJS9_S6_EEENSD_IJSA_SA_EEENS0_18inequality_wrapperIZN2at6native12_GLOBAL__N_124unique_dim_cuda_templateIbEESt5tupleIJNSH_6TensorESM_SM_EERKSM_lbbbEUlllE0_EEPmJS6_EEE10hipError_tPvRmT3_T4_T5_T6_T7_T9_mT8_P12ihipStream_tbDpT10_ENKUlT_T0_E_clISt17integral_constantIbLb1EES1C_EEDaS17_S18_EUlS17_E_NS1_11comp_targetILNS1_3genE9ELNS1_11target_archE1100ELNS1_3gpuE3ELNS1_3repE0EEENS1_30default_config_static_selectorELNS0_4arch9wavefront6targetE1EEEvT1_,comdat
	.globl	_ZN7rocprim17ROCPRIM_400000_NS6detail17trampoline_kernelINS0_14default_configENS1_25partition_config_selectorILNS1_17partition_subalgoE8ElNS0_10empty_typeEbEEZZNS1_14partition_implILS5_8ELb0ES3_jPlPS6_PKS6_NS0_5tupleIJS9_S6_EEENSD_IJSA_SA_EEENS0_18inequality_wrapperIZN2at6native12_GLOBAL__N_124unique_dim_cuda_templateIbEESt5tupleIJNSH_6TensorESM_SM_EERKSM_lbbbEUlllE0_EEPmJS6_EEE10hipError_tPvRmT3_T4_T5_T6_T7_T9_mT8_P12ihipStream_tbDpT10_ENKUlT_T0_E_clISt17integral_constantIbLb1EES1C_EEDaS17_S18_EUlS17_E_NS1_11comp_targetILNS1_3genE9ELNS1_11target_archE1100ELNS1_3gpuE3ELNS1_3repE0EEENS1_30default_config_static_selectorELNS0_4arch9wavefront6targetE1EEEvT1_ ; -- Begin function _ZN7rocprim17ROCPRIM_400000_NS6detail17trampoline_kernelINS0_14default_configENS1_25partition_config_selectorILNS1_17partition_subalgoE8ElNS0_10empty_typeEbEEZZNS1_14partition_implILS5_8ELb0ES3_jPlPS6_PKS6_NS0_5tupleIJS9_S6_EEENSD_IJSA_SA_EEENS0_18inequality_wrapperIZN2at6native12_GLOBAL__N_124unique_dim_cuda_templateIbEESt5tupleIJNSH_6TensorESM_SM_EERKSM_lbbbEUlllE0_EEPmJS6_EEE10hipError_tPvRmT3_T4_T5_T6_T7_T9_mT8_P12ihipStream_tbDpT10_ENKUlT_T0_E_clISt17integral_constantIbLb1EES1C_EEDaS17_S18_EUlS17_E_NS1_11comp_targetILNS1_3genE9ELNS1_11target_archE1100ELNS1_3gpuE3ELNS1_3repE0EEENS1_30default_config_static_selectorELNS0_4arch9wavefront6targetE1EEEvT1_
	.p2align	8
	.type	_ZN7rocprim17ROCPRIM_400000_NS6detail17trampoline_kernelINS0_14default_configENS1_25partition_config_selectorILNS1_17partition_subalgoE8ElNS0_10empty_typeEbEEZZNS1_14partition_implILS5_8ELb0ES3_jPlPS6_PKS6_NS0_5tupleIJS9_S6_EEENSD_IJSA_SA_EEENS0_18inequality_wrapperIZN2at6native12_GLOBAL__N_124unique_dim_cuda_templateIbEESt5tupleIJNSH_6TensorESM_SM_EERKSM_lbbbEUlllE0_EEPmJS6_EEE10hipError_tPvRmT3_T4_T5_T6_T7_T9_mT8_P12ihipStream_tbDpT10_ENKUlT_T0_E_clISt17integral_constantIbLb1EES1C_EEDaS17_S18_EUlS17_E_NS1_11comp_targetILNS1_3genE9ELNS1_11target_archE1100ELNS1_3gpuE3ELNS1_3repE0EEENS1_30default_config_static_selectorELNS0_4arch9wavefront6targetE1EEEvT1_,@function
_ZN7rocprim17ROCPRIM_400000_NS6detail17trampoline_kernelINS0_14default_configENS1_25partition_config_selectorILNS1_17partition_subalgoE8ElNS0_10empty_typeEbEEZZNS1_14partition_implILS5_8ELb0ES3_jPlPS6_PKS6_NS0_5tupleIJS9_S6_EEENSD_IJSA_SA_EEENS0_18inequality_wrapperIZN2at6native12_GLOBAL__N_124unique_dim_cuda_templateIbEESt5tupleIJNSH_6TensorESM_SM_EERKSM_lbbbEUlllE0_EEPmJS6_EEE10hipError_tPvRmT3_T4_T5_T6_T7_T9_mT8_P12ihipStream_tbDpT10_ENKUlT_T0_E_clISt17integral_constantIbLb1EES1C_EEDaS17_S18_EUlS17_E_NS1_11comp_targetILNS1_3genE9ELNS1_11target_archE1100ELNS1_3gpuE3ELNS1_3repE0EEENS1_30default_config_static_selectorELNS0_4arch9wavefront6targetE1EEEvT1_: ; @_ZN7rocprim17ROCPRIM_400000_NS6detail17trampoline_kernelINS0_14default_configENS1_25partition_config_selectorILNS1_17partition_subalgoE8ElNS0_10empty_typeEbEEZZNS1_14partition_implILS5_8ELb0ES3_jPlPS6_PKS6_NS0_5tupleIJS9_S6_EEENSD_IJSA_SA_EEENS0_18inequality_wrapperIZN2at6native12_GLOBAL__N_124unique_dim_cuda_templateIbEESt5tupleIJNSH_6TensorESM_SM_EERKSM_lbbbEUlllE0_EEPmJS6_EEE10hipError_tPvRmT3_T4_T5_T6_T7_T9_mT8_P12ihipStream_tbDpT10_ENKUlT_T0_E_clISt17integral_constantIbLb1EES1C_EEDaS17_S18_EUlS17_E_NS1_11comp_targetILNS1_3genE9ELNS1_11target_archE1100ELNS1_3gpuE3ELNS1_3repE0EEENS1_30default_config_static_selectorELNS0_4arch9wavefront6targetE1EEEvT1_
; %bb.0:
	.section	.rodata,"a",@progbits
	.p2align	6, 0x0
	.amdhsa_kernel _ZN7rocprim17ROCPRIM_400000_NS6detail17trampoline_kernelINS0_14default_configENS1_25partition_config_selectorILNS1_17partition_subalgoE8ElNS0_10empty_typeEbEEZZNS1_14partition_implILS5_8ELb0ES3_jPlPS6_PKS6_NS0_5tupleIJS9_S6_EEENSD_IJSA_SA_EEENS0_18inequality_wrapperIZN2at6native12_GLOBAL__N_124unique_dim_cuda_templateIbEESt5tupleIJNSH_6TensorESM_SM_EERKSM_lbbbEUlllE0_EEPmJS6_EEE10hipError_tPvRmT3_T4_T5_T6_T7_T9_mT8_P12ihipStream_tbDpT10_ENKUlT_T0_E_clISt17integral_constantIbLb1EES1C_EEDaS17_S18_EUlS17_E_NS1_11comp_targetILNS1_3genE9ELNS1_11target_archE1100ELNS1_3gpuE3ELNS1_3repE0EEENS1_30default_config_static_selectorELNS0_4arch9wavefront6targetE1EEEvT1_
		.amdhsa_group_segment_fixed_size 0
		.amdhsa_private_segment_fixed_size 0
		.amdhsa_kernarg_size 136
		.amdhsa_user_sgpr_count 2
		.amdhsa_user_sgpr_dispatch_ptr 0
		.amdhsa_user_sgpr_queue_ptr 0
		.amdhsa_user_sgpr_kernarg_segment_ptr 1
		.amdhsa_user_sgpr_dispatch_id 0
		.amdhsa_user_sgpr_kernarg_preload_length 0
		.amdhsa_user_sgpr_kernarg_preload_offset 0
		.amdhsa_user_sgpr_private_segment_size 0
		.amdhsa_uses_dynamic_stack 0
		.amdhsa_enable_private_segment 0
		.amdhsa_system_sgpr_workgroup_id_x 1
		.amdhsa_system_sgpr_workgroup_id_y 0
		.amdhsa_system_sgpr_workgroup_id_z 0
		.amdhsa_system_sgpr_workgroup_info 0
		.amdhsa_system_vgpr_workitem_id 0
		.amdhsa_next_free_vgpr 1
		.amdhsa_next_free_sgpr 0
		.amdhsa_accum_offset 4
		.amdhsa_reserve_vcc 0
		.amdhsa_float_round_mode_32 0
		.amdhsa_float_round_mode_16_64 0
		.amdhsa_float_denorm_mode_32 3
		.amdhsa_float_denorm_mode_16_64 3
		.amdhsa_dx10_clamp 1
		.amdhsa_ieee_mode 1
		.amdhsa_fp16_overflow 0
		.amdhsa_tg_split 0
		.amdhsa_exception_fp_ieee_invalid_op 0
		.amdhsa_exception_fp_denorm_src 0
		.amdhsa_exception_fp_ieee_div_zero 0
		.amdhsa_exception_fp_ieee_overflow 0
		.amdhsa_exception_fp_ieee_underflow 0
		.amdhsa_exception_fp_ieee_inexact 0
		.amdhsa_exception_int_div_zero 0
	.end_amdhsa_kernel
	.section	.text._ZN7rocprim17ROCPRIM_400000_NS6detail17trampoline_kernelINS0_14default_configENS1_25partition_config_selectorILNS1_17partition_subalgoE8ElNS0_10empty_typeEbEEZZNS1_14partition_implILS5_8ELb0ES3_jPlPS6_PKS6_NS0_5tupleIJS9_S6_EEENSD_IJSA_SA_EEENS0_18inequality_wrapperIZN2at6native12_GLOBAL__N_124unique_dim_cuda_templateIbEESt5tupleIJNSH_6TensorESM_SM_EERKSM_lbbbEUlllE0_EEPmJS6_EEE10hipError_tPvRmT3_T4_T5_T6_T7_T9_mT8_P12ihipStream_tbDpT10_ENKUlT_T0_E_clISt17integral_constantIbLb1EES1C_EEDaS17_S18_EUlS17_E_NS1_11comp_targetILNS1_3genE9ELNS1_11target_archE1100ELNS1_3gpuE3ELNS1_3repE0EEENS1_30default_config_static_selectorELNS0_4arch9wavefront6targetE1EEEvT1_,"axG",@progbits,_ZN7rocprim17ROCPRIM_400000_NS6detail17trampoline_kernelINS0_14default_configENS1_25partition_config_selectorILNS1_17partition_subalgoE8ElNS0_10empty_typeEbEEZZNS1_14partition_implILS5_8ELb0ES3_jPlPS6_PKS6_NS0_5tupleIJS9_S6_EEENSD_IJSA_SA_EEENS0_18inequality_wrapperIZN2at6native12_GLOBAL__N_124unique_dim_cuda_templateIbEESt5tupleIJNSH_6TensorESM_SM_EERKSM_lbbbEUlllE0_EEPmJS6_EEE10hipError_tPvRmT3_T4_T5_T6_T7_T9_mT8_P12ihipStream_tbDpT10_ENKUlT_T0_E_clISt17integral_constantIbLb1EES1C_EEDaS17_S18_EUlS17_E_NS1_11comp_targetILNS1_3genE9ELNS1_11target_archE1100ELNS1_3gpuE3ELNS1_3repE0EEENS1_30default_config_static_selectorELNS0_4arch9wavefront6targetE1EEEvT1_,comdat
.Lfunc_end1073:
	.size	_ZN7rocprim17ROCPRIM_400000_NS6detail17trampoline_kernelINS0_14default_configENS1_25partition_config_selectorILNS1_17partition_subalgoE8ElNS0_10empty_typeEbEEZZNS1_14partition_implILS5_8ELb0ES3_jPlPS6_PKS6_NS0_5tupleIJS9_S6_EEENSD_IJSA_SA_EEENS0_18inequality_wrapperIZN2at6native12_GLOBAL__N_124unique_dim_cuda_templateIbEESt5tupleIJNSH_6TensorESM_SM_EERKSM_lbbbEUlllE0_EEPmJS6_EEE10hipError_tPvRmT3_T4_T5_T6_T7_T9_mT8_P12ihipStream_tbDpT10_ENKUlT_T0_E_clISt17integral_constantIbLb1EES1C_EEDaS17_S18_EUlS17_E_NS1_11comp_targetILNS1_3genE9ELNS1_11target_archE1100ELNS1_3gpuE3ELNS1_3repE0EEENS1_30default_config_static_selectorELNS0_4arch9wavefront6targetE1EEEvT1_, .Lfunc_end1073-_ZN7rocprim17ROCPRIM_400000_NS6detail17trampoline_kernelINS0_14default_configENS1_25partition_config_selectorILNS1_17partition_subalgoE8ElNS0_10empty_typeEbEEZZNS1_14partition_implILS5_8ELb0ES3_jPlPS6_PKS6_NS0_5tupleIJS9_S6_EEENSD_IJSA_SA_EEENS0_18inequality_wrapperIZN2at6native12_GLOBAL__N_124unique_dim_cuda_templateIbEESt5tupleIJNSH_6TensorESM_SM_EERKSM_lbbbEUlllE0_EEPmJS6_EEE10hipError_tPvRmT3_T4_T5_T6_T7_T9_mT8_P12ihipStream_tbDpT10_ENKUlT_T0_E_clISt17integral_constantIbLb1EES1C_EEDaS17_S18_EUlS17_E_NS1_11comp_targetILNS1_3genE9ELNS1_11target_archE1100ELNS1_3gpuE3ELNS1_3repE0EEENS1_30default_config_static_selectorELNS0_4arch9wavefront6targetE1EEEvT1_
                                        ; -- End function
	.section	.AMDGPU.csdata,"",@progbits
; Kernel info:
; codeLenInByte = 0
; NumSgprs: 6
; NumVgprs: 0
; NumAgprs: 0
; TotalNumVgprs: 0
; ScratchSize: 0
; MemoryBound: 0
; FloatMode: 240
; IeeeMode: 1
; LDSByteSize: 0 bytes/workgroup (compile time only)
; SGPRBlocks: 0
; VGPRBlocks: 0
; NumSGPRsForWavesPerEU: 6
; NumVGPRsForWavesPerEU: 1
; AccumOffset: 4
; Occupancy: 8
; WaveLimiterHint : 0
; COMPUTE_PGM_RSRC2:SCRATCH_EN: 0
; COMPUTE_PGM_RSRC2:USER_SGPR: 2
; COMPUTE_PGM_RSRC2:TRAP_HANDLER: 0
; COMPUTE_PGM_RSRC2:TGID_X_EN: 1
; COMPUTE_PGM_RSRC2:TGID_Y_EN: 0
; COMPUTE_PGM_RSRC2:TGID_Z_EN: 0
; COMPUTE_PGM_RSRC2:TIDIG_COMP_CNT: 0
; COMPUTE_PGM_RSRC3_GFX90A:ACCUM_OFFSET: 0
; COMPUTE_PGM_RSRC3_GFX90A:TG_SPLIT: 0
	.section	.text._ZN7rocprim17ROCPRIM_400000_NS6detail17trampoline_kernelINS0_14default_configENS1_25partition_config_selectorILNS1_17partition_subalgoE8ElNS0_10empty_typeEbEEZZNS1_14partition_implILS5_8ELb0ES3_jPlPS6_PKS6_NS0_5tupleIJS9_S6_EEENSD_IJSA_SA_EEENS0_18inequality_wrapperIZN2at6native12_GLOBAL__N_124unique_dim_cuda_templateIbEESt5tupleIJNSH_6TensorESM_SM_EERKSM_lbbbEUlllE0_EEPmJS6_EEE10hipError_tPvRmT3_T4_T5_T6_T7_T9_mT8_P12ihipStream_tbDpT10_ENKUlT_T0_E_clISt17integral_constantIbLb1EES1C_EEDaS17_S18_EUlS17_E_NS1_11comp_targetILNS1_3genE8ELNS1_11target_archE1030ELNS1_3gpuE2ELNS1_3repE0EEENS1_30default_config_static_selectorELNS0_4arch9wavefront6targetE1EEEvT1_,"axG",@progbits,_ZN7rocprim17ROCPRIM_400000_NS6detail17trampoline_kernelINS0_14default_configENS1_25partition_config_selectorILNS1_17partition_subalgoE8ElNS0_10empty_typeEbEEZZNS1_14partition_implILS5_8ELb0ES3_jPlPS6_PKS6_NS0_5tupleIJS9_S6_EEENSD_IJSA_SA_EEENS0_18inequality_wrapperIZN2at6native12_GLOBAL__N_124unique_dim_cuda_templateIbEESt5tupleIJNSH_6TensorESM_SM_EERKSM_lbbbEUlllE0_EEPmJS6_EEE10hipError_tPvRmT3_T4_T5_T6_T7_T9_mT8_P12ihipStream_tbDpT10_ENKUlT_T0_E_clISt17integral_constantIbLb1EES1C_EEDaS17_S18_EUlS17_E_NS1_11comp_targetILNS1_3genE8ELNS1_11target_archE1030ELNS1_3gpuE2ELNS1_3repE0EEENS1_30default_config_static_selectorELNS0_4arch9wavefront6targetE1EEEvT1_,comdat
	.globl	_ZN7rocprim17ROCPRIM_400000_NS6detail17trampoline_kernelINS0_14default_configENS1_25partition_config_selectorILNS1_17partition_subalgoE8ElNS0_10empty_typeEbEEZZNS1_14partition_implILS5_8ELb0ES3_jPlPS6_PKS6_NS0_5tupleIJS9_S6_EEENSD_IJSA_SA_EEENS0_18inequality_wrapperIZN2at6native12_GLOBAL__N_124unique_dim_cuda_templateIbEESt5tupleIJNSH_6TensorESM_SM_EERKSM_lbbbEUlllE0_EEPmJS6_EEE10hipError_tPvRmT3_T4_T5_T6_T7_T9_mT8_P12ihipStream_tbDpT10_ENKUlT_T0_E_clISt17integral_constantIbLb1EES1C_EEDaS17_S18_EUlS17_E_NS1_11comp_targetILNS1_3genE8ELNS1_11target_archE1030ELNS1_3gpuE2ELNS1_3repE0EEENS1_30default_config_static_selectorELNS0_4arch9wavefront6targetE1EEEvT1_ ; -- Begin function _ZN7rocprim17ROCPRIM_400000_NS6detail17trampoline_kernelINS0_14default_configENS1_25partition_config_selectorILNS1_17partition_subalgoE8ElNS0_10empty_typeEbEEZZNS1_14partition_implILS5_8ELb0ES3_jPlPS6_PKS6_NS0_5tupleIJS9_S6_EEENSD_IJSA_SA_EEENS0_18inequality_wrapperIZN2at6native12_GLOBAL__N_124unique_dim_cuda_templateIbEESt5tupleIJNSH_6TensorESM_SM_EERKSM_lbbbEUlllE0_EEPmJS6_EEE10hipError_tPvRmT3_T4_T5_T6_T7_T9_mT8_P12ihipStream_tbDpT10_ENKUlT_T0_E_clISt17integral_constantIbLb1EES1C_EEDaS17_S18_EUlS17_E_NS1_11comp_targetILNS1_3genE8ELNS1_11target_archE1030ELNS1_3gpuE2ELNS1_3repE0EEENS1_30default_config_static_selectorELNS0_4arch9wavefront6targetE1EEEvT1_
	.p2align	8
	.type	_ZN7rocprim17ROCPRIM_400000_NS6detail17trampoline_kernelINS0_14default_configENS1_25partition_config_selectorILNS1_17partition_subalgoE8ElNS0_10empty_typeEbEEZZNS1_14partition_implILS5_8ELb0ES3_jPlPS6_PKS6_NS0_5tupleIJS9_S6_EEENSD_IJSA_SA_EEENS0_18inequality_wrapperIZN2at6native12_GLOBAL__N_124unique_dim_cuda_templateIbEESt5tupleIJNSH_6TensorESM_SM_EERKSM_lbbbEUlllE0_EEPmJS6_EEE10hipError_tPvRmT3_T4_T5_T6_T7_T9_mT8_P12ihipStream_tbDpT10_ENKUlT_T0_E_clISt17integral_constantIbLb1EES1C_EEDaS17_S18_EUlS17_E_NS1_11comp_targetILNS1_3genE8ELNS1_11target_archE1030ELNS1_3gpuE2ELNS1_3repE0EEENS1_30default_config_static_selectorELNS0_4arch9wavefront6targetE1EEEvT1_,@function
_ZN7rocprim17ROCPRIM_400000_NS6detail17trampoline_kernelINS0_14default_configENS1_25partition_config_selectorILNS1_17partition_subalgoE8ElNS0_10empty_typeEbEEZZNS1_14partition_implILS5_8ELb0ES3_jPlPS6_PKS6_NS0_5tupleIJS9_S6_EEENSD_IJSA_SA_EEENS0_18inequality_wrapperIZN2at6native12_GLOBAL__N_124unique_dim_cuda_templateIbEESt5tupleIJNSH_6TensorESM_SM_EERKSM_lbbbEUlllE0_EEPmJS6_EEE10hipError_tPvRmT3_T4_T5_T6_T7_T9_mT8_P12ihipStream_tbDpT10_ENKUlT_T0_E_clISt17integral_constantIbLb1EES1C_EEDaS17_S18_EUlS17_E_NS1_11comp_targetILNS1_3genE8ELNS1_11target_archE1030ELNS1_3gpuE2ELNS1_3repE0EEENS1_30default_config_static_selectorELNS0_4arch9wavefront6targetE1EEEvT1_: ; @_ZN7rocprim17ROCPRIM_400000_NS6detail17trampoline_kernelINS0_14default_configENS1_25partition_config_selectorILNS1_17partition_subalgoE8ElNS0_10empty_typeEbEEZZNS1_14partition_implILS5_8ELb0ES3_jPlPS6_PKS6_NS0_5tupleIJS9_S6_EEENSD_IJSA_SA_EEENS0_18inequality_wrapperIZN2at6native12_GLOBAL__N_124unique_dim_cuda_templateIbEESt5tupleIJNSH_6TensorESM_SM_EERKSM_lbbbEUlllE0_EEPmJS6_EEE10hipError_tPvRmT3_T4_T5_T6_T7_T9_mT8_P12ihipStream_tbDpT10_ENKUlT_T0_E_clISt17integral_constantIbLb1EES1C_EEDaS17_S18_EUlS17_E_NS1_11comp_targetILNS1_3genE8ELNS1_11target_archE1030ELNS1_3gpuE2ELNS1_3repE0EEENS1_30default_config_static_selectorELNS0_4arch9wavefront6targetE1EEEvT1_
; %bb.0:
	.section	.rodata,"a",@progbits
	.p2align	6, 0x0
	.amdhsa_kernel _ZN7rocprim17ROCPRIM_400000_NS6detail17trampoline_kernelINS0_14default_configENS1_25partition_config_selectorILNS1_17partition_subalgoE8ElNS0_10empty_typeEbEEZZNS1_14partition_implILS5_8ELb0ES3_jPlPS6_PKS6_NS0_5tupleIJS9_S6_EEENSD_IJSA_SA_EEENS0_18inequality_wrapperIZN2at6native12_GLOBAL__N_124unique_dim_cuda_templateIbEESt5tupleIJNSH_6TensorESM_SM_EERKSM_lbbbEUlllE0_EEPmJS6_EEE10hipError_tPvRmT3_T4_T5_T6_T7_T9_mT8_P12ihipStream_tbDpT10_ENKUlT_T0_E_clISt17integral_constantIbLb1EES1C_EEDaS17_S18_EUlS17_E_NS1_11comp_targetILNS1_3genE8ELNS1_11target_archE1030ELNS1_3gpuE2ELNS1_3repE0EEENS1_30default_config_static_selectorELNS0_4arch9wavefront6targetE1EEEvT1_
		.amdhsa_group_segment_fixed_size 0
		.amdhsa_private_segment_fixed_size 0
		.amdhsa_kernarg_size 136
		.amdhsa_user_sgpr_count 2
		.amdhsa_user_sgpr_dispatch_ptr 0
		.amdhsa_user_sgpr_queue_ptr 0
		.amdhsa_user_sgpr_kernarg_segment_ptr 1
		.amdhsa_user_sgpr_dispatch_id 0
		.amdhsa_user_sgpr_kernarg_preload_length 0
		.amdhsa_user_sgpr_kernarg_preload_offset 0
		.amdhsa_user_sgpr_private_segment_size 0
		.amdhsa_uses_dynamic_stack 0
		.amdhsa_enable_private_segment 0
		.amdhsa_system_sgpr_workgroup_id_x 1
		.amdhsa_system_sgpr_workgroup_id_y 0
		.amdhsa_system_sgpr_workgroup_id_z 0
		.amdhsa_system_sgpr_workgroup_info 0
		.amdhsa_system_vgpr_workitem_id 0
		.amdhsa_next_free_vgpr 1
		.amdhsa_next_free_sgpr 0
		.amdhsa_accum_offset 4
		.amdhsa_reserve_vcc 0
		.amdhsa_float_round_mode_32 0
		.amdhsa_float_round_mode_16_64 0
		.amdhsa_float_denorm_mode_32 3
		.amdhsa_float_denorm_mode_16_64 3
		.amdhsa_dx10_clamp 1
		.amdhsa_ieee_mode 1
		.amdhsa_fp16_overflow 0
		.amdhsa_tg_split 0
		.amdhsa_exception_fp_ieee_invalid_op 0
		.amdhsa_exception_fp_denorm_src 0
		.amdhsa_exception_fp_ieee_div_zero 0
		.amdhsa_exception_fp_ieee_overflow 0
		.amdhsa_exception_fp_ieee_underflow 0
		.amdhsa_exception_fp_ieee_inexact 0
		.amdhsa_exception_int_div_zero 0
	.end_amdhsa_kernel
	.section	.text._ZN7rocprim17ROCPRIM_400000_NS6detail17trampoline_kernelINS0_14default_configENS1_25partition_config_selectorILNS1_17partition_subalgoE8ElNS0_10empty_typeEbEEZZNS1_14partition_implILS5_8ELb0ES3_jPlPS6_PKS6_NS0_5tupleIJS9_S6_EEENSD_IJSA_SA_EEENS0_18inequality_wrapperIZN2at6native12_GLOBAL__N_124unique_dim_cuda_templateIbEESt5tupleIJNSH_6TensorESM_SM_EERKSM_lbbbEUlllE0_EEPmJS6_EEE10hipError_tPvRmT3_T4_T5_T6_T7_T9_mT8_P12ihipStream_tbDpT10_ENKUlT_T0_E_clISt17integral_constantIbLb1EES1C_EEDaS17_S18_EUlS17_E_NS1_11comp_targetILNS1_3genE8ELNS1_11target_archE1030ELNS1_3gpuE2ELNS1_3repE0EEENS1_30default_config_static_selectorELNS0_4arch9wavefront6targetE1EEEvT1_,"axG",@progbits,_ZN7rocprim17ROCPRIM_400000_NS6detail17trampoline_kernelINS0_14default_configENS1_25partition_config_selectorILNS1_17partition_subalgoE8ElNS0_10empty_typeEbEEZZNS1_14partition_implILS5_8ELb0ES3_jPlPS6_PKS6_NS0_5tupleIJS9_S6_EEENSD_IJSA_SA_EEENS0_18inequality_wrapperIZN2at6native12_GLOBAL__N_124unique_dim_cuda_templateIbEESt5tupleIJNSH_6TensorESM_SM_EERKSM_lbbbEUlllE0_EEPmJS6_EEE10hipError_tPvRmT3_T4_T5_T6_T7_T9_mT8_P12ihipStream_tbDpT10_ENKUlT_T0_E_clISt17integral_constantIbLb1EES1C_EEDaS17_S18_EUlS17_E_NS1_11comp_targetILNS1_3genE8ELNS1_11target_archE1030ELNS1_3gpuE2ELNS1_3repE0EEENS1_30default_config_static_selectorELNS0_4arch9wavefront6targetE1EEEvT1_,comdat
.Lfunc_end1074:
	.size	_ZN7rocprim17ROCPRIM_400000_NS6detail17trampoline_kernelINS0_14default_configENS1_25partition_config_selectorILNS1_17partition_subalgoE8ElNS0_10empty_typeEbEEZZNS1_14partition_implILS5_8ELb0ES3_jPlPS6_PKS6_NS0_5tupleIJS9_S6_EEENSD_IJSA_SA_EEENS0_18inequality_wrapperIZN2at6native12_GLOBAL__N_124unique_dim_cuda_templateIbEESt5tupleIJNSH_6TensorESM_SM_EERKSM_lbbbEUlllE0_EEPmJS6_EEE10hipError_tPvRmT3_T4_T5_T6_T7_T9_mT8_P12ihipStream_tbDpT10_ENKUlT_T0_E_clISt17integral_constantIbLb1EES1C_EEDaS17_S18_EUlS17_E_NS1_11comp_targetILNS1_3genE8ELNS1_11target_archE1030ELNS1_3gpuE2ELNS1_3repE0EEENS1_30default_config_static_selectorELNS0_4arch9wavefront6targetE1EEEvT1_, .Lfunc_end1074-_ZN7rocprim17ROCPRIM_400000_NS6detail17trampoline_kernelINS0_14default_configENS1_25partition_config_selectorILNS1_17partition_subalgoE8ElNS0_10empty_typeEbEEZZNS1_14partition_implILS5_8ELb0ES3_jPlPS6_PKS6_NS0_5tupleIJS9_S6_EEENSD_IJSA_SA_EEENS0_18inequality_wrapperIZN2at6native12_GLOBAL__N_124unique_dim_cuda_templateIbEESt5tupleIJNSH_6TensorESM_SM_EERKSM_lbbbEUlllE0_EEPmJS6_EEE10hipError_tPvRmT3_T4_T5_T6_T7_T9_mT8_P12ihipStream_tbDpT10_ENKUlT_T0_E_clISt17integral_constantIbLb1EES1C_EEDaS17_S18_EUlS17_E_NS1_11comp_targetILNS1_3genE8ELNS1_11target_archE1030ELNS1_3gpuE2ELNS1_3repE0EEENS1_30default_config_static_selectorELNS0_4arch9wavefront6targetE1EEEvT1_
                                        ; -- End function
	.section	.AMDGPU.csdata,"",@progbits
; Kernel info:
; codeLenInByte = 0
; NumSgprs: 6
; NumVgprs: 0
; NumAgprs: 0
; TotalNumVgprs: 0
; ScratchSize: 0
; MemoryBound: 0
; FloatMode: 240
; IeeeMode: 1
; LDSByteSize: 0 bytes/workgroup (compile time only)
; SGPRBlocks: 0
; VGPRBlocks: 0
; NumSGPRsForWavesPerEU: 6
; NumVGPRsForWavesPerEU: 1
; AccumOffset: 4
; Occupancy: 8
; WaveLimiterHint : 0
; COMPUTE_PGM_RSRC2:SCRATCH_EN: 0
; COMPUTE_PGM_RSRC2:USER_SGPR: 2
; COMPUTE_PGM_RSRC2:TRAP_HANDLER: 0
; COMPUTE_PGM_RSRC2:TGID_X_EN: 1
; COMPUTE_PGM_RSRC2:TGID_Y_EN: 0
; COMPUTE_PGM_RSRC2:TGID_Z_EN: 0
; COMPUTE_PGM_RSRC2:TIDIG_COMP_CNT: 0
; COMPUTE_PGM_RSRC3_GFX90A:ACCUM_OFFSET: 0
; COMPUTE_PGM_RSRC3_GFX90A:TG_SPLIT: 0
	.section	.text._ZN7rocprim17ROCPRIM_400000_NS6detail17trampoline_kernelINS0_14default_configENS1_25partition_config_selectorILNS1_17partition_subalgoE8ElNS0_10empty_typeEbEEZZNS1_14partition_implILS5_8ELb0ES3_jPlPS6_PKS6_NS0_5tupleIJS9_S6_EEENSD_IJSA_SA_EEENS0_18inequality_wrapperIZN2at6native12_GLOBAL__N_124unique_dim_cuda_templateIbEESt5tupleIJNSH_6TensorESM_SM_EERKSM_lbbbEUlllE0_EEPmJS6_EEE10hipError_tPvRmT3_T4_T5_T6_T7_T9_mT8_P12ihipStream_tbDpT10_ENKUlT_T0_E_clISt17integral_constantIbLb1EES1B_IbLb0EEEEDaS17_S18_EUlS17_E_NS1_11comp_targetILNS1_3genE0ELNS1_11target_archE4294967295ELNS1_3gpuE0ELNS1_3repE0EEENS1_30default_config_static_selectorELNS0_4arch9wavefront6targetE1EEEvT1_,"axG",@progbits,_ZN7rocprim17ROCPRIM_400000_NS6detail17trampoline_kernelINS0_14default_configENS1_25partition_config_selectorILNS1_17partition_subalgoE8ElNS0_10empty_typeEbEEZZNS1_14partition_implILS5_8ELb0ES3_jPlPS6_PKS6_NS0_5tupleIJS9_S6_EEENSD_IJSA_SA_EEENS0_18inequality_wrapperIZN2at6native12_GLOBAL__N_124unique_dim_cuda_templateIbEESt5tupleIJNSH_6TensorESM_SM_EERKSM_lbbbEUlllE0_EEPmJS6_EEE10hipError_tPvRmT3_T4_T5_T6_T7_T9_mT8_P12ihipStream_tbDpT10_ENKUlT_T0_E_clISt17integral_constantIbLb1EES1B_IbLb0EEEEDaS17_S18_EUlS17_E_NS1_11comp_targetILNS1_3genE0ELNS1_11target_archE4294967295ELNS1_3gpuE0ELNS1_3repE0EEENS1_30default_config_static_selectorELNS0_4arch9wavefront6targetE1EEEvT1_,comdat
	.globl	_ZN7rocprim17ROCPRIM_400000_NS6detail17trampoline_kernelINS0_14default_configENS1_25partition_config_selectorILNS1_17partition_subalgoE8ElNS0_10empty_typeEbEEZZNS1_14partition_implILS5_8ELb0ES3_jPlPS6_PKS6_NS0_5tupleIJS9_S6_EEENSD_IJSA_SA_EEENS0_18inequality_wrapperIZN2at6native12_GLOBAL__N_124unique_dim_cuda_templateIbEESt5tupleIJNSH_6TensorESM_SM_EERKSM_lbbbEUlllE0_EEPmJS6_EEE10hipError_tPvRmT3_T4_T5_T6_T7_T9_mT8_P12ihipStream_tbDpT10_ENKUlT_T0_E_clISt17integral_constantIbLb1EES1B_IbLb0EEEEDaS17_S18_EUlS17_E_NS1_11comp_targetILNS1_3genE0ELNS1_11target_archE4294967295ELNS1_3gpuE0ELNS1_3repE0EEENS1_30default_config_static_selectorELNS0_4arch9wavefront6targetE1EEEvT1_ ; -- Begin function _ZN7rocprim17ROCPRIM_400000_NS6detail17trampoline_kernelINS0_14default_configENS1_25partition_config_selectorILNS1_17partition_subalgoE8ElNS0_10empty_typeEbEEZZNS1_14partition_implILS5_8ELb0ES3_jPlPS6_PKS6_NS0_5tupleIJS9_S6_EEENSD_IJSA_SA_EEENS0_18inequality_wrapperIZN2at6native12_GLOBAL__N_124unique_dim_cuda_templateIbEESt5tupleIJNSH_6TensorESM_SM_EERKSM_lbbbEUlllE0_EEPmJS6_EEE10hipError_tPvRmT3_T4_T5_T6_T7_T9_mT8_P12ihipStream_tbDpT10_ENKUlT_T0_E_clISt17integral_constantIbLb1EES1B_IbLb0EEEEDaS17_S18_EUlS17_E_NS1_11comp_targetILNS1_3genE0ELNS1_11target_archE4294967295ELNS1_3gpuE0ELNS1_3repE0EEENS1_30default_config_static_selectorELNS0_4arch9wavefront6targetE1EEEvT1_
	.p2align	8
	.type	_ZN7rocprim17ROCPRIM_400000_NS6detail17trampoline_kernelINS0_14default_configENS1_25partition_config_selectorILNS1_17partition_subalgoE8ElNS0_10empty_typeEbEEZZNS1_14partition_implILS5_8ELb0ES3_jPlPS6_PKS6_NS0_5tupleIJS9_S6_EEENSD_IJSA_SA_EEENS0_18inequality_wrapperIZN2at6native12_GLOBAL__N_124unique_dim_cuda_templateIbEESt5tupleIJNSH_6TensorESM_SM_EERKSM_lbbbEUlllE0_EEPmJS6_EEE10hipError_tPvRmT3_T4_T5_T6_T7_T9_mT8_P12ihipStream_tbDpT10_ENKUlT_T0_E_clISt17integral_constantIbLb1EES1B_IbLb0EEEEDaS17_S18_EUlS17_E_NS1_11comp_targetILNS1_3genE0ELNS1_11target_archE4294967295ELNS1_3gpuE0ELNS1_3repE0EEENS1_30default_config_static_selectorELNS0_4arch9wavefront6targetE1EEEvT1_,@function
_ZN7rocprim17ROCPRIM_400000_NS6detail17trampoline_kernelINS0_14default_configENS1_25partition_config_selectorILNS1_17partition_subalgoE8ElNS0_10empty_typeEbEEZZNS1_14partition_implILS5_8ELb0ES3_jPlPS6_PKS6_NS0_5tupleIJS9_S6_EEENSD_IJSA_SA_EEENS0_18inequality_wrapperIZN2at6native12_GLOBAL__N_124unique_dim_cuda_templateIbEESt5tupleIJNSH_6TensorESM_SM_EERKSM_lbbbEUlllE0_EEPmJS6_EEE10hipError_tPvRmT3_T4_T5_T6_T7_T9_mT8_P12ihipStream_tbDpT10_ENKUlT_T0_E_clISt17integral_constantIbLb1EES1B_IbLb0EEEEDaS17_S18_EUlS17_E_NS1_11comp_targetILNS1_3genE0ELNS1_11target_archE4294967295ELNS1_3gpuE0ELNS1_3repE0EEENS1_30default_config_static_selectorELNS0_4arch9wavefront6targetE1EEEvT1_: ; @_ZN7rocprim17ROCPRIM_400000_NS6detail17trampoline_kernelINS0_14default_configENS1_25partition_config_selectorILNS1_17partition_subalgoE8ElNS0_10empty_typeEbEEZZNS1_14partition_implILS5_8ELb0ES3_jPlPS6_PKS6_NS0_5tupleIJS9_S6_EEENSD_IJSA_SA_EEENS0_18inequality_wrapperIZN2at6native12_GLOBAL__N_124unique_dim_cuda_templateIbEESt5tupleIJNSH_6TensorESM_SM_EERKSM_lbbbEUlllE0_EEPmJS6_EEE10hipError_tPvRmT3_T4_T5_T6_T7_T9_mT8_P12ihipStream_tbDpT10_ENKUlT_T0_E_clISt17integral_constantIbLb1EES1B_IbLb0EEEEDaS17_S18_EUlS17_E_NS1_11comp_targetILNS1_3genE0ELNS1_11target_archE4294967295ELNS1_3gpuE0ELNS1_3repE0EEENS1_30default_config_static_selectorELNS0_4arch9wavefront6targetE1EEEvT1_
; %bb.0:
	.section	.rodata,"a",@progbits
	.p2align	6, 0x0
	.amdhsa_kernel _ZN7rocprim17ROCPRIM_400000_NS6detail17trampoline_kernelINS0_14default_configENS1_25partition_config_selectorILNS1_17partition_subalgoE8ElNS0_10empty_typeEbEEZZNS1_14partition_implILS5_8ELb0ES3_jPlPS6_PKS6_NS0_5tupleIJS9_S6_EEENSD_IJSA_SA_EEENS0_18inequality_wrapperIZN2at6native12_GLOBAL__N_124unique_dim_cuda_templateIbEESt5tupleIJNSH_6TensorESM_SM_EERKSM_lbbbEUlllE0_EEPmJS6_EEE10hipError_tPvRmT3_T4_T5_T6_T7_T9_mT8_P12ihipStream_tbDpT10_ENKUlT_T0_E_clISt17integral_constantIbLb1EES1B_IbLb0EEEEDaS17_S18_EUlS17_E_NS1_11comp_targetILNS1_3genE0ELNS1_11target_archE4294967295ELNS1_3gpuE0ELNS1_3repE0EEENS1_30default_config_static_selectorELNS0_4arch9wavefront6targetE1EEEvT1_
		.amdhsa_group_segment_fixed_size 0
		.amdhsa_private_segment_fixed_size 0
		.amdhsa_kernarg_size 120
		.amdhsa_user_sgpr_count 2
		.amdhsa_user_sgpr_dispatch_ptr 0
		.amdhsa_user_sgpr_queue_ptr 0
		.amdhsa_user_sgpr_kernarg_segment_ptr 1
		.amdhsa_user_sgpr_dispatch_id 0
		.amdhsa_user_sgpr_kernarg_preload_length 0
		.amdhsa_user_sgpr_kernarg_preload_offset 0
		.amdhsa_user_sgpr_private_segment_size 0
		.amdhsa_uses_dynamic_stack 0
		.amdhsa_enable_private_segment 0
		.amdhsa_system_sgpr_workgroup_id_x 1
		.amdhsa_system_sgpr_workgroup_id_y 0
		.amdhsa_system_sgpr_workgroup_id_z 0
		.amdhsa_system_sgpr_workgroup_info 0
		.amdhsa_system_vgpr_workitem_id 0
		.amdhsa_next_free_vgpr 1
		.amdhsa_next_free_sgpr 0
		.amdhsa_accum_offset 4
		.amdhsa_reserve_vcc 0
		.amdhsa_float_round_mode_32 0
		.amdhsa_float_round_mode_16_64 0
		.amdhsa_float_denorm_mode_32 3
		.amdhsa_float_denorm_mode_16_64 3
		.amdhsa_dx10_clamp 1
		.amdhsa_ieee_mode 1
		.amdhsa_fp16_overflow 0
		.amdhsa_tg_split 0
		.amdhsa_exception_fp_ieee_invalid_op 0
		.amdhsa_exception_fp_denorm_src 0
		.amdhsa_exception_fp_ieee_div_zero 0
		.amdhsa_exception_fp_ieee_overflow 0
		.amdhsa_exception_fp_ieee_underflow 0
		.amdhsa_exception_fp_ieee_inexact 0
		.amdhsa_exception_int_div_zero 0
	.end_amdhsa_kernel
	.section	.text._ZN7rocprim17ROCPRIM_400000_NS6detail17trampoline_kernelINS0_14default_configENS1_25partition_config_selectorILNS1_17partition_subalgoE8ElNS0_10empty_typeEbEEZZNS1_14partition_implILS5_8ELb0ES3_jPlPS6_PKS6_NS0_5tupleIJS9_S6_EEENSD_IJSA_SA_EEENS0_18inequality_wrapperIZN2at6native12_GLOBAL__N_124unique_dim_cuda_templateIbEESt5tupleIJNSH_6TensorESM_SM_EERKSM_lbbbEUlllE0_EEPmJS6_EEE10hipError_tPvRmT3_T4_T5_T6_T7_T9_mT8_P12ihipStream_tbDpT10_ENKUlT_T0_E_clISt17integral_constantIbLb1EES1B_IbLb0EEEEDaS17_S18_EUlS17_E_NS1_11comp_targetILNS1_3genE0ELNS1_11target_archE4294967295ELNS1_3gpuE0ELNS1_3repE0EEENS1_30default_config_static_selectorELNS0_4arch9wavefront6targetE1EEEvT1_,"axG",@progbits,_ZN7rocprim17ROCPRIM_400000_NS6detail17trampoline_kernelINS0_14default_configENS1_25partition_config_selectorILNS1_17partition_subalgoE8ElNS0_10empty_typeEbEEZZNS1_14partition_implILS5_8ELb0ES3_jPlPS6_PKS6_NS0_5tupleIJS9_S6_EEENSD_IJSA_SA_EEENS0_18inequality_wrapperIZN2at6native12_GLOBAL__N_124unique_dim_cuda_templateIbEESt5tupleIJNSH_6TensorESM_SM_EERKSM_lbbbEUlllE0_EEPmJS6_EEE10hipError_tPvRmT3_T4_T5_T6_T7_T9_mT8_P12ihipStream_tbDpT10_ENKUlT_T0_E_clISt17integral_constantIbLb1EES1B_IbLb0EEEEDaS17_S18_EUlS17_E_NS1_11comp_targetILNS1_3genE0ELNS1_11target_archE4294967295ELNS1_3gpuE0ELNS1_3repE0EEENS1_30default_config_static_selectorELNS0_4arch9wavefront6targetE1EEEvT1_,comdat
.Lfunc_end1075:
	.size	_ZN7rocprim17ROCPRIM_400000_NS6detail17trampoline_kernelINS0_14default_configENS1_25partition_config_selectorILNS1_17partition_subalgoE8ElNS0_10empty_typeEbEEZZNS1_14partition_implILS5_8ELb0ES3_jPlPS6_PKS6_NS0_5tupleIJS9_S6_EEENSD_IJSA_SA_EEENS0_18inequality_wrapperIZN2at6native12_GLOBAL__N_124unique_dim_cuda_templateIbEESt5tupleIJNSH_6TensorESM_SM_EERKSM_lbbbEUlllE0_EEPmJS6_EEE10hipError_tPvRmT3_T4_T5_T6_T7_T9_mT8_P12ihipStream_tbDpT10_ENKUlT_T0_E_clISt17integral_constantIbLb1EES1B_IbLb0EEEEDaS17_S18_EUlS17_E_NS1_11comp_targetILNS1_3genE0ELNS1_11target_archE4294967295ELNS1_3gpuE0ELNS1_3repE0EEENS1_30default_config_static_selectorELNS0_4arch9wavefront6targetE1EEEvT1_, .Lfunc_end1075-_ZN7rocprim17ROCPRIM_400000_NS6detail17trampoline_kernelINS0_14default_configENS1_25partition_config_selectorILNS1_17partition_subalgoE8ElNS0_10empty_typeEbEEZZNS1_14partition_implILS5_8ELb0ES3_jPlPS6_PKS6_NS0_5tupleIJS9_S6_EEENSD_IJSA_SA_EEENS0_18inequality_wrapperIZN2at6native12_GLOBAL__N_124unique_dim_cuda_templateIbEESt5tupleIJNSH_6TensorESM_SM_EERKSM_lbbbEUlllE0_EEPmJS6_EEE10hipError_tPvRmT3_T4_T5_T6_T7_T9_mT8_P12ihipStream_tbDpT10_ENKUlT_T0_E_clISt17integral_constantIbLb1EES1B_IbLb0EEEEDaS17_S18_EUlS17_E_NS1_11comp_targetILNS1_3genE0ELNS1_11target_archE4294967295ELNS1_3gpuE0ELNS1_3repE0EEENS1_30default_config_static_selectorELNS0_4arch9wavefront6targetE1EEEvT1_
                                        ; -- End function
	.section	.AMDGPU.csdata,"",@progbits
; Kernel info:
; codeLenInByte = 0
; NumSgprs: 6
; NumVgprs: 0
; NumAgprs: 0
; TotalNumVgprs: 0
; ScratchSize: 0
; MemoryBound: 0
; FloatMode: 240
; IeeeMode: 1
; LDSByteSize: 0 bytes/workgroup (compile time only)
; SGPRBlocks: 0
; VGPRBlocks: 0
; NumSGPRsForWavesPerEU: 6
; NumVGPRsForWavesPerEU: 1
; AccumOffset: 4
; Occupancy: 8
; WaveLimiterHint : 0
; COMPUTE_PGM_RSRC2:SCRATCH_EN: 0
; COMPUTE_PGM_RSRC2:USER_SGPR: 2
; COMPUTE_PGM_RSRC2:TRAP_HANDLER: 0
; COMPUTE_PGM_RSRC2:TGID_X_EN: 1
; COMPUTE_PGM_RSRC2:TGID_Y_EN: 0
; COMPUTE_PGM_RSRC2:TGID_Z_EN: 0
; COMPUTE_PGM_RSRC2:TIDIG_COMP_CNT: 0
; COMPUTE_PGM_RSRC3_GFX90A:ACCUM_OFFSET: 0
; COMPUTE_PGM_RSRC3_GFX90A:TG_SPLIT: 0
	.section	.text._ZN7rocprim17ROCPRIM_400000_NS6detail17trampoline_kernelINS0_14default_configENS1_25partition_config_selectorILNS1_17partition_subalgoE8ElNS0_10empty_typeEbEEZZNS1_14partition_implILS5_8ELb0ES3_jPlPS6_PKS6_NS0_5tupleIJS9_S6_EEENSD_IJSA_SA_EEENS0_18inequality_wrapperIZN2at6native12_GLOBAL__N_124unique_dim_cuda_templateIbEESt5tupleIJNSH_6TensorESM_SM_EERKSM_lbbbEUlllE0_EEPmJS6_EEE10hipError_tPvRmT3_T4_T5_T6_T7_T9_mT8_P12ihipStream_tbDpT10_ENKUlT_T0_E_clISt17integral_constantIbLb1EES1B_IbLb0EEEEDaS17_S18_EUlS17_E_NS1_11comp_targetILNS1_3genE5ELNS1_11target_archE942ELNS1_3gpuE9ELNS1_3repE0EEENS1_30default_config_static_selectorELNS0_4arch9wavefront6targetE1EEEvT1_,"axG",@progbits,_ZN7rocprim17ROCPRIM_400000_NS6detail17trampoline_kernelINS0_14default_configENS1_25partition_config_selectorILNS1_17partition_subalgoE8ElNS0_10empty_typeEbEEZZNS1_14partition_implILS5_8ELb0ES3_jPlPS6_PKS6_NS0_5tupleIJS9_S6_EEENSD_IJSA_SA_EEENS0_18inequality_wrapperIZN2at6native12_GLOBAL__N_124unique_dim_cuda_templateIbEESt5tupleIJNSH_6TensorESM_SM_EERKSM_lbbbEUlllE0_EEPmJS6_EEE10hipError_tPvRmT3_T4_T5_T6_T7_T9_mT8_P12ihipStream_tbDpT10_ENKUlT_T0_E_clISt17integral_constantIbLb1EES1B_IbLb0EEEEDaS17_S18_EUlS17_E_NS1_11comp_targetILNS1_3genE5ELNS1_11target_archE942ELNS1_3gpuE9ELNS1_3repE0EEENS1_30default_config_static_selectorELNS0_4arch9wavefront6targetE1EEEvT1_,comdat
	.globl	_ZN7rocprim17ROCPRIM_400000_NS6detail17trampoline_kernelINS0_14default_configENS1_25partition_config_selectorILNS1_17partition_subalgoE8ElNS0_10empty_typeEbEEZZNS1_14partition_implILS5_8ELb0ES3_jPlPS6_PKS6_NS0_5tupleIJS9_S6_EEENSD_IJSA_SA_EEENS0_18inequality_wrapperIZN2at6native12_GLOBAL__N_124unique_dim_cuda_templateIbEESt5tupleIJNSH_6TensorESM_SM_EERKSM_lbbbEUlllE0_EEPmJS6_EEE10hipError_tPvRmT3_T4_T5_T6_T7_T9_mT8_P12ihipStream_tbDpT10_ENKUlT_T0_E_clISt17integral_constantIbLb1EES1B_IbLb0EEEEDaS17_S18_EUlS17_E_NS1_11comp_targetILNS1_3genE5ELNS1_11target_archE942ELNS1_3gpuE9ELNS1_3repE0EEENS1_30default_config_static_selectorELNS0_4arch9wavefront6targetE1EEEvT1_ ; -- Begin function _ZN7rocprim17ROCPRIM_400000_NS6detail17trampoline_kernelINS0_14default_configENS1_25partition_config_selectorILNS1_17partition_subalgoE8ElNS0_10empty_typeEbEEZZNS1_14partition_implILS5_8ELb0ES3_jPlPS6_PKS6_NS0_5tupleIJS9_S6_EEENSD_IJSA_SA_EEENS0_18inequality_wrapperIZN2at6native12_GLOBAL__N_124unique_dim_cuda_templateIbEESt5tupleIJNSH_6TensorESM_SM_EERKSM_lbbbEUlllE0_EEPmJS6_EEE10hipError_tPvRmT3_T4_T5_T6_T7_T9_mT8_P12ihipStream_tbDpT10_ENKUlT_T0_E_clISt17integral_constantIbLb1EES1B_IbLb0EEEEDaS17_S18_EUlS17_E_NS1_11comp_targetILNS1_3genE5ELNS1_11target_archE942ELNS1_3gpuE9ELNS1_3repE0EEENS1_30default_config_static_selectorELNS0_4arch9wavefront6targetE1EEEvT1_
	.p2align	8
	.type	_ZN7rocprim17ROCPRIM_400000_NS6detail17trampoline_kernelINS0_14default_configENS1_25partition_config_selectorILNS1_17partition_subalgoE8ElNS0_10empty_typeEbEEZZNS1_14partition_implILS5_8ELb0ES3_jPlPS6_PKS6_NS0_5tupleIJS9_S6_EEENSD_IJSA_SA_EEENS0_18inequality_wrapperIZN2at6native12_GLOBAL__N_124unique_dim_cuda_templateIbEESt5tupleIJNSH_6TensorESM_SM_EERKSM_lbbbEUlllE0_EEPmJS6_EEE10hipError_tPvRmT3_T4_T5_T6_T7_T9_mT8_P12ihipStream_tbDpT10_ENKUlT_T0_E_clISt17integral_constantIbLb1EES1B_IbLb0EEEEDaS17_S18_EUlS17_E_NS1_11comp_targetILNS1_3genE5ELNS1_11target_archE942ELNS1_3gpuE9ELNS1_3repE0EEENS1_30default_config_static_selectorELNS0_4arch9wavefront6targetE1EEEvT1_,@function
_ZN7rocprim17ROCPRIM_400000_NS6detail17trampoline_kernelINS0_14default_configENS1_25partition_config_selectorILNS1_17partition_subalgoE8ElNS0_10empty_typeEbEEZZNS1_14partition_implILS5_8ELb0ES3_jPlPS6_PKS6_NS0_5tupleIJS9_S6_EEENSD_IJSA_SA_EEENS0_18inequality_wrapperIZN2at6native12_GLOBAL__N_124unique_dim_cuda_templateIbEESt5tupleIJNSH_6TensorESM_SM_EERKSM_lbbbEUlllE0_EEPmJS6_EEE10hipError_tPvRmT3_T4_T5_T6_T7_T9_mT8_P12ihipStream_tbDpT10_ENKUlT_T0_E_clISt17integral_constantIbLb1EES1B_IbLb0EEEEDaS17_S18_EUlS17_E_NS1_11comp_targetILNS1_3genE5ELNS1_11target_archE942ELNS1_3gpuE9ELNS1_3repE0EEENS1_30default_config_static_selectorELNS0_4arch9wavefront6targetE1EEEvT1_: ; @_ZN7rocprim17ROCPRIM_400000_NS6detail17trampoline_kernelINS0_14default_configENS1_25partition_config_selectorILNS1_17partition_subalgoE8ElNS0_10empty_typeEbEEZZNS1_14partition_implILS5_8ELb0ES3_jPlPS6_PKS6_NS0_5tupleIJS9_S6_EEENSD_IJSA_SA_EEENS0_18inequality_wrapperIZN2at6native12_GLOBAL__N_124unique_dim_cuda_templateIbEESt5tupleIJNSH_6TensorESM_SM_EERKSM_lbbbEUlllE0_EEPmJS6_EEE10hipError_tPvRmT3_T4_T5_T6_T7_T9_mT8_P12ihipStream_tbDpT10_ENKUlT_T0_E_clISt17integral_constantIbLb1EES1B_IbLb0EEEEDaS17_S18_EUlS17_E_NS1_11comp_targetILNS1_3genE5ELNS1_11target_archE942ELNS1_3gpuE9ELNS1_3repE0EEENS1_30default_config_static_selectorELNS0_4arch9wavefront6targetE1EEEvT1_
; %bb.0:
	s_load_dwordx8 s[20:27], s[0:1], 0x40
	s_load_dwordx4 s[4:7], s[0:1], 0x8
	s_load_dwordx4 s[28:31], s[0:1], 0x60
	s_load_dword s3, s[0:1], 0x70
	s_waitcnt lgkmcnt(0)
	v_mov_b32_e32 v2, s24
	s_lshl_b64 s[8:9], s[6:7], 3
	s_add_u32 s12, s4, s8
	s_mul_i32 s8, s3, 0xe00
	s_addc_u32 s13, s5, s9
	s_add_i32 s10, s3, -1
	s_add_i32 s3, s8, s6
	s_sub_i32 s3, s24, s3
	s_add_u32 s8, s6, s8
	s_addc_u32 s9, s7, 0
	v_mov_b32_e32 v3, s25
	s_cmp_eq_u32 s2, s10
	s_load_dwordx2 s[22:23], s[22:23], 0x0
	v_cmp_ge_u64_e32 vcc, s[8:9], v[2:3]
	s_cselect_b64 s[24:25], -1, 0
	s_mul_i32 s4, s2, 0xe00
	s_mov_b32 s5, 0
	s_and_b64 s[10:11], s[24:25], vcc
	s_xor_b64 s[34:35], s[10:11], -1
	s_lshl_b64 s[4:5], s[4:5], 3
	s_add_u32 s4, s12, s4
	s_mov_b64 s[8:9], -1
	s_addc_u32 s5, s13, s5
	s_and_b64 vcc, exec, s[34:35]
	s_cbranch_vccz .LBB1076_2
; %bb.1:
	v_lshlrev_b32_e32 v2, 3, v0
	v_mov_b32_e32 v3, 0
	v_lshl_add_u64 v[4:5], s[4:5], 0, v[2:3]
	v_add_co_u32_e32 v8, vcc, 0x1000, v4
	global_load_dwordx2 v[6:7], v2, s[4:5]
	s_nop 0
	v_addc_co_u32_e32 v9, vcc, 0, v5, vcc
	v_add_co_u32_e32 v10, vcc, 0x2000, v4
	s_mov_b64 s[8:9], 0
	s_nop 0
	v_addc_co_u32_e32 v11, vcc, 0, v5, vcc
	v_add_co_u32_e32 v12, vcc, 0x3000, v4
	s_nop 1
	v_addc_co_u32_e32 v13, vcc, 0, v5, vcc
	v_add_co_u32_e32 v14, vcc, 0x4000, v4
	s_nop 1
	v_addc_co_u32_e32 v15, vcc, 0, v5, vcc
	global_load_dwordx2 v[16:17], v[8:9], off
	global_load_dwordx2 v[18:19], v[10:11], off
	;; [unrolled: 1-line block ×4, first 2 shown]
	v_add_co_u32_e32 v8, vcc, 0x5000, v4
	s_nop 1
	v_addc_co_u32_e32 v9, vcc, 0, v5, vcc
	v_add_co_u32_e32 v4, vcc, 0x6000, v4
	global_load_dwordx2 v[8:9], v[8:9], off
	s_nop 0
	v_addc_co_u32_e32 v5, vcc, 0, v5, vcc
	global_load_dwordx2 v[4:5], v[4:5], off
	s_waitcnt vmcnt(5)
	ds_write2st64_b64 v2, v[6:7], v[16:17] offset1:8
	s_waitcnt vmcnt(3)
	ds_write2st64_b64 v2, v[18:19], v[20:21] offset0:16 offset1:24
	s_waitcnt vmcnt(1)
	ds_write2st64_b64 v2, v[22:23], v[8:9] offset0:32 offset1:40
	s_waitcnt vmcnt(0)
	ds_write_b64 v2, v[4:5] offset:24576
	s_waitcnt lgkmcnt(0)
	s_barrier
.LBB1076_2:
	s_andn2_b64 vcc, exec, s[8:9]
	s_addk_i32 s3, 0xe00
	s_cbranch_vccnz .LBB1076_18
; %bb.3:
	v_cmp_gt_u32_e32 vcc, s3, v0
                                        ; implicit-def: $vgpr2_vgpr3_vgpr4_vgpr5_vgpr6_vgpr7_vgpr8_vgpr9_vgpr10_vgpr11_vgpr12_vgpr13_vgpr14_vgpr15_vgpr16_vgpr17
	s_and_saveexec_b64 s[8:9], vcc
	s_cbranch_execz .LBB1076_5
; %bb.4:
	v_lshlrev_b32_e32 v1, 3, v0
	global_load_dwordx2 v[2:3], v1, s[4:5]
.LBB1076_5:
	s_or_b64 exec, exec, s[8:9]
	v_or_b32_e32 v1, 0x200, v0
	v_cmp_gt_u32_e32 vcc, s3, v1
	s_and_saveexec_b64 s[8:9], vcc
	s_cbranch_execz .LBB1076_7
; %bb.6:
	v_lshlrev_b32_e32 v1, 3, v1
	global_load_dwordx2 v[4:5], v1, s[4:5]
.LBB1076_7:
	s_or_b64 exec, exec, s[8:9]
	v_or_b32_e32 v1, 0x400, v0
	v_cmp_gt_u32_e32 vcc, s3, v1
	;; [unrolled: 9-line block ×6, first 2 shown]
	s_and_saveexec_b64 s[8:9], vcc
	s_cbranch_execz .LBB1076_17
; %bb.16:
	v_lshlrev_b32_e32 v1, 3, v1
	global_load_dwordx2 v[14:15], v1, s[4:5]
.LBB1076_17:
	s_or_b64 exec, exec, s[8:9]
	v_lshlrev_b32_e32 v1, 3, v0
	s_waitcnt vmcnt(0)
	ds_write2st64_b64 v1, v[2:3], v[4:5] offset1:8
	ds_write2st64_b64 v1, v[6:7], v[8:9] offset0:16 offset1:24
	ds_write2st64_b64 v1, v[10:11], v[12:13] offset0:32 offset1:40
	ds_write_b64 v1, v[14:15] offset:24576
	s_waitcnt lgkmcnt(0)
	s_barrier
.LBB1076_18:
	v_mul_u32_u24_e32 v1, 7, v0
	v_lshlrev_b32_e32 v24, 3, v1
	s_waitcnt lgkmcnt(0)
	ds_read2_b64 v[10:13], v24 offset1:1
	ds_read2_b64 v[6:9], v24 offset0:2 offset1:3
	ds_read2_b64 v[2:5], v24 offset0:4 offset1:5
	ds_read_b64 v[14:15], v24 offset:48
	s_cmp_lg_u32 s2, 0
	s_cselect_b64 s[16:17], -1, 0
	s_cmp_lg_u64 s[6:7], 0
	s_cselect_b64 s[6:7], -1, 0
	s_or_b64 s[6:7], s[16:17], s[6:7]
	v_mad_u32_u24 v27, v0, 7, 1
	v_mad_u32_u24 v26, v0, 7, 2
	;; [unrolled: 1-line block ×6, first 2 shown]
	s_mov_b64 s[12:13], 0
	s_and_b64 vcc, exec, s[6:7]
	v_cmp_lt_i64_e64 s[14:15], s[26:27], 1
	v_cmp_gt_i64_e64 s[8:9], s[26:27], 0
	s_waitcnt lgkmcnt(0)
	s_barrier
	s_cbranch_vccz .LBB1076_27
; %bb.19:
	s_add_u32 s4, s4, -8
	s_addc_u32 s5, s5, -1
	s_load_dwordx2 s[12:13], s[4:5], 0x0
	v_lshlrev_b32_e32 v25, 3, v0
	s_mov_b64 s[6:7], 0
	s_and_b64 vcc, exec, s[34:35]
	ds_write_b64 v25, v[14:15]
	s_cbranch_vccz .LBB1076_29
; %bb.20:
	v_cndmask_b32_e64 v16, 0, 1, s[8:9]
	v_cmp_ne_u32_e64 s[4:5], 1, v16
	s_andn2_b64 vcc, exec, s[8:9]
	s_cbranch_vccnz .LBB1076_30
; %bb.21:
	v_mov_b64_e32 v[18:19], s[28:29]
	v_mad_u64_u32 v[16:17], s[6:7], v4, s26, v[18:19]
	v_mul_lo_u32 v20, v4, s27
	v_mul_lo_u32 v21, v5, s26
	v_add3_u32 v17, v21, v17, v20
	v_mad_u64_u32 v[18:19], s[6:7], v14, s26, v[18:19]
	v_mul_lo_u32 v20, v14, s27
	v_mul_lo_u32 v21, v15, s26
	v_add3_u32 v19, v21, v19, v20
	global_load_ubyte v20, v[16:17], off
	global_load_ubyte v21, v[18:19], off
	s_mov_b64 s[8:9], -1
	s_waitcnt vmcnt(1)
	v_cmp_ne_u16_e32 vcc, 0, v20
	s_waitcnt vmcnt(0)
	v_cmp_ne_u16_e64 s[6:7], 0, v21
	s_xor_b64 s[6:7], vcc, s[6:7]
	s_xor_b64 s[6:7], s[6:7], -1
	s_and_saveexec_b64 s[18:19], s[6:7]
	s_cbranch_execz .LBB1076_32
; %bb.22:
	s_mov_b64 s[40:41], 1
	s_mov_b64 s[36:37], 0
                                        ; implicit-def: $sgpr38_sgpr39
	s_branch .LBB1076_25
.LBB1076_23:                            ;   in Loop: Header=BB1076_25 Depth=1
	v_lshl_add_u64 v[20:21], v[16:17], 0, s[40:41]
	v_lshl_add_u64 v[22:23], v[18:19], 0, s[40:41]
	global_load_ubyte v32, v[20:21], off
	global_load_ubyte v33, v[22:23], off
	s_waitcnt vmcnt(1)
	v_cmp_ne_u16_e64 s[6:7], 0, v32
	s_waitcnt vmcnt(0)
	v_cmp_ne_u16_e64 s[8:9], 0, v33
	s_xor_b64 s[8:9], s[6:7], s[8:9]
	s_add_u32 s6, s40, 1
	s_addc_u32 s7, s41, 0
	s_andn2_b64 s[38:39], s[38:39], exec
	s_and_b64 s[8:9], s[8:9], exec
	s_or_b64 s[38:39], s[38:39], s[8:9]
.LBB1076_24:                            ;   in Loop: Header=BB1076_25 Depth=1
	s_and_b64 s[8:9], exec, s[38:39]
	s_or_b64 s[36:37], s[8:9], s[36:37]
	v_mov_b64_e32 v[20:21], s[40:41]
	s_mov_b64 s[40:41], s[6:7]
	s_andn2_b64 exec, exec, s[36:37]
	s_cbranch_execz .LBB1076_31
.LBB1076_25:                            ; =>This Inner Loop Header: Depth=1
	s_or_b64 s[38:39], s[38:39], exec
	s_cmp_eq_u64 s[26:27], s[40:41]
	s_cbranch_scc0 .LBB1076_23
; %bb.26:                               ;   in Loop: Header=BB1076_25 Depth=1
                                        ; implicit-def: $sgpr6_sgpr7
	s_mov_b64 s[40:41], s[26:27]
	s_branch .LBB1076_24
.LBB1076_27:
                                        ; implicit-def: $sgpr36_sgpr37
                                        ; implicit-def: $vgpr32
                                        ; implicit-def: $vgpr18
                                        ; implicit-def: $vgpr19
                                        ; implicit-def: $vgpr20
	s_branch .LBB1076_155
.LBB1076_28:
                                        ; implicit-def: $vgpr16_vgpr17
	s_branch .LBB1076_288
.LBB1076_29:
                                        ; implicit-def: $sgpr36_sgpr37
                                        ; implicit-def: $vgpr32
                                        ; implicit-def: $vgpr18
                                        ; implicit-def: $vgpr19
                                        ; implicit-def: $vgpr20
	s_cbranch_execnz .LBB1076_88
	s_branch .LBB1076_154
.LBB1076_30:
	v_mov_b32_e32 v16, 0
	s_branch .LBB1076_40
.LBB1076_31:
	s_or_b64 exec, exec, s[36:37]
	v_cmp_gt_i64_e64 s[6:7], s[26:27], v[20:21]
	s_orn2_b64 s[8:9], s[6:7], exec
.LBB1076_32:
	s_or_b64 exec, exec, s[18:19]
	v_mov_b64_e32 v[18:19], s[28:29]
	v_mad_u64_u32 v[18:19], s[6:7], v2, s26, v[18:19]
	v_mul_lo_u32 v20, v2, s27
	v_mul_lo_u32 v21, v3, s26
	v_add3_u32 v19, v21, v19, v20
	global_load_ubyte v20, v[18:19], off
	s_waitcnt vmcnt(0)
	v_cmp_ne_u16_e64 s[6:7], 0, v20
	s_xor_b64 s[18:19], vcc, s[6:7]
	s_mov_b64 s[6:7], -1
	s_xor_b64 s[36:37], s[18:19], -1
	s_and_saveexec_b64 s[18:19], s[36:37]
	s_cbranch_execz .LBB1076_39
; %bb.33:
	s_mov_b64 s[40:41], 1
	s_mov_b64 s[36:37], 0
                                        ; implicit-def: $sgpr38_sgpr39
	s_branch .LBB1076_36
.LBB1076_34:                            ;   in Loop: Header=BB1076_36 Depth=1
	v_lshl_add_u64 v[20:21], v[18:19], 0, s[40:41]
	v_lshl_add_u64 v[22:23], v[16:17], 0, s[40:41]
	global_load_ubyte v32, v[20:21], off
	global_load_ubyte v33, v[22:23], off
	s_waitcnt vmcnt(1)
	v_cmp_ne_u16_e32 vcc, 0, v32
	s_waitcnt vmcnt(0)
	v_cmp_ne_u16_e64 s[6:7], 0, v33
	s_xor_b64 s[42:43], vcc, s[6:7]
	s_add_u32 s6, s40, 1
	s_addc_u32 s7, s41, 0
	s_andn2_b64 s[38:39], s[38:39], exec
	s_and_b64 s[42:43], s[42:43], exec
	s_or_b64 s[38:39], s[38:39], s[42:43]
.LBB1076_35:                            ;   in Loop: Header=BB1076_36 Depth=1
	s_and_b64 s[42:43], exec, s[38:39]
	s_or_b64 s[36:37], s[42:43], s[36:37]
	v_mov_b64_e32 v[20:21], s[40:41]
	s_mov_b64 s[40:41], s[6:7]
	s_andn2_b64 exec, exec, s[36:37]
	s_cbranch_execz .LBB1076_38
.LBB1076_36:                            ; =>This Inner Loop Header: Depth=1
	s_or_b64 s[38:39], s[38:39], exec
	s_cmp_eq_u64 s[26:27], s[40:41]
	s_cbranch_scc0 .LBB1076_34
; %bb.37:                               ;   in Loop: Header=BB1076_36 Depth=1
                                        ; implicit-def: $sgpr6_sgpr7
	s_mov_b64 s[40:41], s[26:27]
	s_branch .LBB1076_35
.LBB1076_38:
	s_or_b64 exec, exec, s[36:37]
	v_cmp_gt_i64_e32 vcc, s[26:27], v[20:21]
	s_orn2_b64 s[6:7], vcc, exec
.LBB1076_39:
	s_or_b64 exec, exec, s[18:19]
	v_cndmask_b32_e64 v16, 0, 1, s[8:9]
.LBB1076_40:
	v_lshlrev_b16_e32 v17, 8, v0
	v_lshlrev_b16_e32 v18, 8, v0
	v_mov_b32_e32 v20, 8
	v_lshrrev_b32_sdwa v18, v20, v18 dst_sel:BYTE_1 dst_unused:UNUSED_PAD src0_sel:DWORD src1_sel:DWORD
	v_lshrrev_b32_sdwa v17, v20, v17 dst_sel:BYTE_1 dst_unused:UNUSED_PAD src0_sel:DWORD src1_sel:DWORD
	v_cndmask_b32_e64 v19, 0, 1, s[6:7]
	v_or_b32_sdwa v18, v0, v18 dst_sel:DWORD dst_unused:UNUSED_PAD src0_sel:BYTE_0 src1_sel:DWORD
	v_or_b32_sdwa v17, v0, v17 dst_sel:WORD_1 dst_unused:UNUSED_PAD src0_sel:BYTE_0 src1_sel:DWORD
	v_lshlrev_b32_e32 v16, 16, v16
	v_or_b32_sdwa v32, v18, v17 dst_sel:DWORD dst_unused:UNUSED_PAD src0_sel:WORD_0 src1_sel:DWORD
	v_lshlrev_b16_e32 v17, 8, v19
	s_and_b64 vcc, exec, s[4:5]
	v_or_b32_e32 v33, v17, v16
	s_cbranch_vccnz .LBB1076_47
; %bb.41:
	v_mov_b64_e32 v[18:19], s[28:29]
	v_mad_u64_u32 v[16:17], s[6:7], v8, s26, v[18:19]
	v_mul_lo_u32 v20, v8, s27
	v_mul_lo_u32 v21, v9, s26
	v_add3_u32 v17, v21, v17, v20
	v_mad_u64_u32 v[18:19], s[6:7], v2, s26, v[18:19]
	v_mul_lo_u32 v20, v2, s27
	v_mul_lo_u32 v21, v3, s26
	v_add3_u32 v19, v21, v19, v20
	global_load_ubyte v20, v[16:17], off
	global_load_ubyte v21, v[18:19], off
	s_waitcnt vmcnt(1)
	v_cmp_ne_u16_e32 vcc, 0, v20
	s_waitcnt vmcnt(0)
	v_cmp_ne_u16_e64 s[6:7], 0, v21
	s_xor_b64 s[8:9], vcc, s[6:7]
	s_mov_b64 s[6:7], -1
	s_xor_b64 s[8:9], s[8:9], -1
	s_and_saveexec_b64 s[18:19], s[8:9]
	s_cbranch_execz .LBB1076_49
; %bb.42:
	s_mov_b64 s[40:41], 1
	s_mov_b64 s[36:37], 0
                                        ; implicit-def: $sgpr38_sgpr39
	s_branch .LBB1076_45
.LBB1076_43:                            ;   in Loop: Header=BB1076_45 Depth=1
	v_lshl_add_u64 v[20:21], v[16:17], 0, s[40:41]
	v_lshl_add_u64 v[22:23], v[18:19], 0, s[40:41]
	global_load_ubyte v34, v[20:21], off
	global_load_ubyte v35, v[22:23], off
	s_waitcnt vmcnt(1)
	v_cmp_ne_u16_e64 s[6:7], 0, v34
	s_waitcnt vmcnt(0)
	v_cmp_ne_u16_e64 s[8:9], 0, v35
	s_xor_b64 s[8:9], s[6:7], s[8:9]
	s_add_u32 s6, s40, 1
	s_addc_u32 s7, s41, 0
	s_andn2_b64 s[38:39], s[38:39], exec
	s_and_b64 s[8:9], s[8:9], exec
	s_or_b64 s[38:39], s[38:39], s[8:9]
.LBB1076_44:                            ;   in Loop: Header=BB1076_45 Depth=1
	s_and_b64 s[8:9], exec, s[38:39]
	s_or_b64 s[36:37], s[8:9], s[36:37]
	v_mov_b64_e32 v[20:21], s[40:41]
	s_mov_b64 s[40:41], s[6:7]
	s_andn2_b64 exec, exec, s[36:37]
	s_cbranch_execz .LBB1076_48
.LBB1076_45:                            ; =>This Inner Loop Header: Depth=1
	s_or_b64 s[38:39], s[38:39], exec
	s_cmp_eq_u64 s[26:27], s[40:41]
	s_cbranch_scc0 .LBB1076_43
; %bb.46:                               ;   in Loop: Header=BB1076_45 Depth=1
                                        ; implicit-def: $sgpr6_sgpr7
	s_mov_b64 s[40:41], s[26:27]
	s_branch .LBB1076_44
.LBB1076_47:
                                        ; implicit-def: $sgpr6_sgpr7
                                        ; implicit-def: $vgpr18_vgpr19
	s_cbranch_execnz .LBB1076_57
	s_branch .LBB1076_58
.LBB1076_48:
	s_or_b64 exec, exec, s[36:37]
	v_cmp_gt_i64_e64 s[6:7], s[26:27], v[20:21]
	s_orn2_b64 s[6:7], s[6:7], exec
.LBB1076_49:
	s_or_b64 exec, exec, s[18:19]
	v_mov_b64_e32 v[18:19], s[28:29]
	v_mad_u64_u32 v[20:21], s[8:9], v6, s26, v[18:19]
	v_mul_lo_u32 v18, v6, s27
	v_mul_lo_u32 v19, v7, s26
	v_add3_u32 v21, v19, v21, v18
	global_load_ubyte v22, v[20:21], off
	v_mov_b32_e32 v18, 8
	v_cndmask_b32_e64 v19, 0, 1, s[6:7]
	s_mov_b32 s6, 0x3020104
	v_lshrrev_b32_sdwa v34, v18, v33 dst_sel:BYTE_1 dst_unused:UNUSED_PAD src0_sel:DWORD src1_sel:DWORD
	v_perm_b32 v18, v32, v32, s6
	v_or_b32_e32 v19, v19, v34
	v_bfe_u32 v23, v33, 16, 8
	v_and_b32_e32 v19, 0xffff, v19
	v_lshl_or_b32 v19, v23, 16, v19
	s_waitcnt vmcnt(0)
	v_cmp_ne_u16_e64 s[6:7], 0, v22
	s_xor_b64 s[8:9], vcc, s[6:7]
	s_mov_b64 s[6:7], -1
	s_xor_b64 s[18:19], s[8:9], -1
	s_and_saveexec_b64 s[8:9], s[18:19]
	s_cbranch_execz .LBB1076_56
; %bb.50:
	s_mov_b64 s[38:39], 1
	s_mov_b64 s[18:19], 0
                                        ; implicit-def: $sgpr36_sgpr37
	s_branch .LBB1076_53
.LBB1076_51:                            ;   in Loop: Header=BB1076_53 Depth=1
	v_lshl_add_u64 v[22:23], v[20:21], 0, s[38:39]
	v_lshl_add_u64 v[34:35], v[16:17], 0, s[38:39]
	global_load_ubyte v36, v[22:23], off
	global_load_ubyte v37, v[34:35], off
	s_waitcnt vmcnt(1)
	v_cmp_ne_u16_e32 vcc, 0, v36
	s_waitcnt vmcnt(0)
	v_cmp_ne_u16_e64 s[6:7], 0, v37
	s_xor_b64 s[40:41], vcc, s[6:7]
	s_add_u32 s6, s38, 1
	s_addc_u32 s7, s39, 0
	s_andn2_b64 s[36:37], s[36:37], exec
	s_and_b64 s[40:41], s[40:41], exec
	s_or_b64 s[36:37], s[36:37], s[40:41]
.LBB1076_52:                            ;   in Loop: Header=BB1076_53 Depth=1
	s_and_b64 s[40:41], exec, s[36:37]
	s_or_b64 s[18:19], s[40:41], s[18:19]
	v_mov_b64_e32 v[22:23], s[38:39]
	s_mov_b64 s[38:39], s[6:7]
	s_andn2_b64 exec, exec, s[18:19]
	s_cbranch_execz .LBB1076_55
.LBB1076_53:                            ; =>This Inner Loop Header: Depth=1
	s_or_b64 s[36:37], s[36:37], exec
	s_cmp_eq_u64 s[26:27], s[38:39]
	s_cbranch_scc0 .LBB1076_51
; %bb.54:                               ;   in Loop: Header=BB1076_53 Depth=1
                                        ; implicit-def: $sgpr6_sgpr7
	s_mov_b64 s[38:39], s[26:27]
	s_branch .LBB1076_52
.LBB1076_55:
	s_or_b64 exec, exec, s[18:19]
	v_cmp_gt_i64_e32 vcc, s[26:27], v[22:23]
	s_orn2_b64 s[6:7], vcc, exec
.LBB1076_56:
	s_or_b64 exec, exec, s[8:9]
	s_branch .LBB1076_58
.LBB1076_57:
	v_mov_b32_e32 v16, 8
	v_lshrrev_b32_sdwa v16, v16, v33 dst_sel:BYTE_1 dst_unused:UNUSED_PAD src0_sel:DWORD src1_sel:DWORD
	v_bfe_u32 v17, v33, 16, 8
	s_mov_b32 s8, 0x3020104
	v_lshl_or_b32 v19, v17, 16, v16
	v_perm_b32 v18, v32, v32, s8
	s_andn2_b64 s[6:7], s[6:7], exec
.LBB1076_58:
	v_mov_b32_e32 v17, 8
	v_cndmask_b32_e64 v16, 0, 1, s[6:7]
	s_movk_i32 s6, 0xff
	v_lshrrev_b32_sdwa v20, v17, v18 dst_sel:BYTE_1 dst_unused:UNUSED_PAD src0_sel:DWORD src1_sel:DWORD
	v_lshlrev_b16_e32 v16, 8, v16
	v_or_b32_sdwa v20, v18, v20 dst_sel:DWORD dst_unused:UNUSED_PAD src0_sel:BYTE_0 src1_sel:DWORD
	v_and_b32_sdwa v18, v18, s6 dst_sel:DWORD dst_unused:UNUSED_PAD src0_sel:WORD_1 src1_sel:DWORD
	v_or_b32_sdwa v16, v18, v16 dst_sel:WORD_1 dst_unused:UNUSED_PAD src0_sel:DWORD src1_sel:DWORD
	s_and_b64 vcc, exec, s[4:5]
	v_or_b32_sdwa v32, v20, v16 dst_sel:DWORD dst_unused:UNUSED_PAD src0_sel:WORD_0 src1_sel:DWORD
	v_lshrrev_b32_sdwa v16, v17, v19 dst_sel:BYTE_1 dst_unused:UNUSED_PAD src0_sel:DWORD src1_sel:DWORD
	v_bfe_u32 v17, v19, 16, 8
	v_or_b32_sdwa v16, v19, v16 dst_sel:DWORD dst_unused:UNUSED_PAD src0_sel:BYTE_0 src1_sel:DWORD
	v_and_b32_e32 v16, 0xffff, v16
	v_lshl_or_b32 v33, v17, 16, v16
	s_cbranch_vccnz .LBB1076_65
; %bb.59:
	v_mov_b64_e32 v[18:19], s[28:29]
	v_mad_u64_u32 v[16:17], s[6:7], v12, s26, v[18:19]
	v_mul_lo_u32 v20, v12, s27
	v_mul_lo_u32 v21, v13, s26
	v_add3_u32 v17, v21, v17, v20
	v_mad_u64_u32 v[18:19], s[6:7], v6, s26, v[18:19]
	v_mul_lo_u32 v20, v6, s27
	v_mul_lo_u32 v21, v7, s26
	v_add3_u32 v19, v21, v19, v20
	global_load_ubyte v20, v[16:17], off
	global_load_ubyte v21, v[18:19], off
	s_waitcnt vmcnt(1)
	v_cmp_ne_u16_e32 vcc, 0, v20
	s_waitcnt vmcnt(0)
	v_cmp_ne_u16_e64 s[6:7], 0, v21
	s_xor_b64 s[8:9], vcc, s[6:7]
	s_mov_b64 s[6:7], -1
	s_xor_b64 s[8:9], s[8:9], -1
	s_and_saveexec_b64 s[18:19], s[8:9]
	s_cbranch_execz .LBB1076_67
; %bb.60:
	s_mov_b64 s[40:41], 1
	s_mov_b64 s[36:37], 0
                                        ; implicit-def: $sgpr38_sgpr39
	s_branch .LBB1076_63
.LBB1076_61:                            ;   in Loop: Header=BB1076_63 Depth=1
	v_lshl_add_u64 v[20:21], v[16:17], 0, s[40:41]
	v_lshl_add_u64 v[22:23], v[18:19], 0, s[40:41]
	global_load_ubyte v34, v[20:21], off
	global_load_ubyte v35, v[22:23], off
	s_waitcnt vmcnt(1)
	v_cmp_ne_u16_e64 s[6:7], 0, v34
	s_waitcnt vmcnt(0)
	v_cmp_ne_u16_e64 s[8:9], 0, v35
	s_xor_b64 s[8:9], s[6:7], s[8:9]
	s_add_u32 s6, s40, 1
	s_addc_u32 s7, s41, 0
	s_andn2_b64 s[38:39], s[38:39], exec
	s_and_b64 s[8:9], s[8:9], exec
	s_or_b64 s[38:39], s[38:39], s[8:9]
.LBB1076_62:                            ;   in Loop: Header=BB1076_63 Depth=1
	s_and_b64 s[8:9], exec, s[38:39]
	s_or_b64 s[36:37], s[8:9], s[36:37]
	v_mov_b64_e32 v[20:21], s[40:41]
	s_mov_b64 s[40:41], s[6:7]
	s_andn2_b64 exec, exec, s[36:37]
	s_cbranch_execz .LBB1076_66
.LBB1076_63:                            ; =>This Inner Loop Header: Depth=1
	s_or_b64 s[38:39], s[38:39], exec
	s_cmp_eq_u64 s[26:27], s[40:41]
	s_cbranch_scc0 .LBB1076_61
; %bb.64:                               ;   in Loop: Header=BB1076_63 Depth=1
                                        ; implicit-def: $sgpr6_sgpr7
	s_mov_b64 s[40:41], s[26:27]
	s_branch .LBB1076_62
.LBB1076_65:
                                        ; implicit-def: $sgpr6_sgpr7
                                        ; implicit-def: $vgpr18_vgpr19
	s_cbranch_execnz .LBB1076_75
	s_branch .LBB1076_76
.LBB1076_66:
	s_or_b64 exec, exec, s[36:37]
	v_cmp_gt_i64_e64 s[6:7], s[26:27], v[20:21]
	s_orn2_b64 s[6:7], s[6:7], exec
.LBB1076_67:
	s_or_b64 exec, exec, s[18:19]
	v_mov_b64_e32 v[18:19], s[28:29]
	v_mad_u64_u32 v[20:21], s[8:9], v10, s26, v[18:19]
	v_mul_lo_u32 v18, v10, s27
	v_mul_lo_u32 v19, v11, s26
	v_add3_u32 v21, v19, v21, v18
	global_load_ubyte v22, v[20:21], off
	v_mov_b32_e32 v19, 8
	v_lshrrev_b32_e32 v34, 24, v32
	v_lshrrev_b32_sdwa v35, v19, v33 dst_sel:BYTE_1 dst_unused:UNUSED_PAD src0_sel:DWORD src1_sel:DWORD
	v_cndmask_b32_e64 v18, 0, 1, s[6:7]
	v_lshrrev_b32_sdwa v19, v19, v32 dst_sel:BYTE_1 dst_unused:UNUSED_PAD src0_sel:DWORD src1_sel:DWORD
	v_lshlrev_b16_e32 v34, 8, v34
	v_or_b32_sdwa v35, v33, v35 dst_sel:DWORD dst_unused:UNUSED_PAD src0_sel:BYTE_0 src1_sel:DWORD
	v_bfe_u32 v23, v33, 16, 8
	v_or_b32_sdwa v19, v32, v19 dst_sel:DWORD dst_unused:UNUSED_PAD src0_sel:BYTE_0 src1_sel:DWORD
	v_or_b32_sdwa v18, v18, v34 dst_sel:WORD_1 dst_unused:UNUSED_PAD src0_sel:DWORD src1_sel:DWORD
	v_and_b32_e32 v34, 0xffff, v35
	v_or_b32_sdwa v18, v19, v18 dst_sel:DWORD dst_unused:UNUSED_PAD src0_sel:WORD_0 src1_sel:DWORD
	v_lshl_or_b32 v19, v23, 16, v34
	s_waitcnt vmcnt(0)
	v_cmp_ne_u16_e64 s[6:7], 0, v22
	s_xor_b64 s[8:9], vcc, s[6:7]
	s_mov_b64 s[6:7], -1
	s_xor_b64 s[18:19], s[8:9], -1
	s_and_saveexec_b64 s[8:9], s[18:19]
	s_cbranch_execz .LBB1076_74
; %bb.68:
	s_mov_b64 s[38:39], 1
	s_mov_b64 s[18:19], 0
                                        ; implicit-def: $sgpr36_sgpr37
	s_branch .LBB1076_71
.LBB1076_69:                            ;   in Loop: Header=BB1076_71 Depth=1
	v_lshl_add_u64 v[22:23], v[20:21], 0, s[38:39]
	v_lshl_add_u64 v[34:35], v[16:17], 0, s[38:39]
	global_load_ubyte v36, v[22:23], off
	global_load_ubyte v37, v[34:35], off
	s_waitcnt vmcnt(1)
	v_cmp_ne_u16_e32 vcc, 0, v36
	s_waitcnt vmcnt(0)
	v_cmp_ne_u16_e64 s[6:7], 0, v37
	s_xor_b64 s[40:41], vcc, s[6:7]
	s_add_u32 s6, s38, 1
	s_addc_u32 s7, s39, 0
	s_andn2_b64 s[36:37], s[36:37], exec
	s_and_b64 s[40:41], s[40:41], exec
	s_or_b64 s[36:37], s[36:37], s[40:41]
.LBB1076_70:                            ;   in Loop: Header=BB1076_71 Depth=1
	s_and_b64 s[40:41], exec, s[36:37]
	s_or_b64 s[18:19], s[40:41], s[18:19]
	v_mov_b64_e32 v[22:23], s[38:39]
	s_mov_b64 s[38:39], s[6:7]
	s_andn2_b64 exec, exec, s[18:19]
	s_cbranch_execz .LBB1076_73
.LBB1076_71:                            ; =>This Inner Loop Header: Depth=1
	s_or_b64 s[36:37], s[36:37], exec
	s_cmp_eq_u64 s[26:27], s[38:39]
	s_cbranch_scc0 .LBB1076_69
; %bb.72:                               ;   in Loop: Header=BB1076_71 Depth=1
                                        ; implicit-def: $sgpr6_sgpr7
	s_mov_b64 s[38:39], s[26:27]
	s_branch .LBB1076_70
.LBB1076_73:
	s_or_b64 exec, exec, s[18:19]
	v_cmp_gt_i64_e32 vcc, s[26:27], v[22:23]
	s_orn2_b64 s[6:7], vcc, exec
.LBB1076_74:
	s_or_b64 exec, exec, s[8:9]
	s_branch .LBB1076_76
.LBB1076_75:
	v_mov_b32_e32 v16, 8
	v_lshrrev_b32_sdwa v17, v16, v33 dst_sel:BYTE_1 dst_unused:UNUSED_PAD src0_sel:DWORD src1_sel:DWORD
	v_lshrrev_b32_sdwa v16, v16, v32 dst_sel:BYTE_1 dst_unused:UNUSED_PAD src0_sel:DWORD src1_sel:DWORD
	v_or_b32_sdwa v17, v33, v17 dst_sel:DWORD dst_unused:UNUSED_PAD src0_sel:BYTE_0 src1_sel:DWORD
	v_or_b32_sdwa v16, v32, v16 dst_sel:DWORD dst_unused:UNUSED_PAD src0_sel:BYTE_0 src1_sel:DWORD
	v_and_b32_e32 v17, 0xffff, v17
	v_bfe_u32 v18, v33, 16, 8
	v_and_b32_e32 v16, 0xffff, v16
	s_mov_b32 s8, 0xff000000
	v_lshl_or_b32 v19, v18, 16, v17
	v_and_or_b32 v18, v32, s8, v16
	s_andn2_b64 s[6:7], s[6:7], exec
.LBB1076_76:
	v_cmp_ne_u32_e32 vcc, 0, v0
	s_waitcnt lgkmcnt(0)
	v_mov_b64_e32 v[20:21], s[12:13]
	s_barrier
	s_and_saveexec_b64 s[8:9], vcc
	s_cbranch_execz .LBB1076_78
; %bb.77:
	v_add_u32_e32 v16, -8, v25
	ds_read_b64 v[20:21], v16
.LBB1076_78:
	s_or_b64 exec, exec, s[8:9]
	v_cndmask_b32_e64 v16, 0, 1, s[6:7]
	v_lshlrev_b16_e32 v16, 8, v16
	s_movk_i32 s6, 0xff
	v_or_b32_sdwa v32, v18, v16 dst_sel:DWORD dst_unused:UNUSED_PAD src0_sel:BYTE_0 src1_sel:DWORD
	v_lshrrev_b32_e32 v16, 24, v18
	v_lshlrev_b16_e32 v16, 8, v16
	v_and_b32_sdwa v17, v18, s6 dst_sel:DWORD dst_unused:UNUSED_PAD src0_sel:WORD_1 src1_sel:DWORD
	v_or_b32_sdwa v18, v17, v16 dst_sel:WORD_1 dst_unused:UNUSED_PAD src0_sel:DWORD src1_sel:DWORD
	s_mov_b64 s[6:7], 0
	s_and_b64 vcc, exec, s[4:5]
	s_mov_b64 s[36:37], 0
	s_cbranch_vccnz .LBB1076_87
; %bb.79:
	v_mov_b64_e32 v[22:23], s[28:29]
	s_waitcnt lgkmcnt(0)
	v_mad_u64_u32 v[16:17], s[4:5], v20, s26, v[22:23]
	v_mul_lo_u32 v20, v20, s27
	v_mul_lo_u32 v21, v21, s26
	v_add3_u32 v17, v21, v17, v20
	v_mad_u64_u32 v[20:21], s[4:5], v10, s26, v[22:23]
	v_mul_lo_u32 v22, v10, s27
	v_mul_lo_u32 v23, v11, s26
	v_add3_u32 v21, v23, v21, v22
	global_load_ubyte v22, v[16:17], off
	global_load_ubyte v23, v[20:21], off
	s_mov_b64 s[36:37], -1
	s_waitcnt vmcnt(1)
	v_cmp_ne_u16_e32 vcc, 0, v22
	s_waitcnt vmcnt(0)
	v_cmp_ne_u16_e64 s[4:5], 0, v23
	s_xor_b64 s[4:5], vcc, s[4:5]
	s_xor_b64 s[4:5], s[4:5], -1
	s_and_saveexec_b64 s[8:9], s[4:5]
	s_cbranch_execz .LBB1076_86
; %bb.80:
	s_mov_b64 s[38:39], 1
	s_mov_b64 s[18:19], 0
                                        ; implicit-def: $sgpr36_sgpr37
	s_branch .LBB1076_83
.LBB1076_81:                            ;   in Loop: Header=BB1076_83 Depth=1
	v_lshl_add_u64 v[22:23], v[16:17], 0, s[38:39]
	v_lshl_add_u64 v[34:35], v[20:21], 0, s[38:39]
	global_load_ubyte v33, v[22:23], off
	global_load_ubyte v36, v[34:35], off
	s_waitcnt vmcnt(1)
	v_cmp_ne_u16_e32 vcc, 0, v33
	s_waitcnt vmcnt(0)
	v_cmp_ne_u16_e64 s[4:5], 0, v36
	s_xor_b64 s[40:41], vcc, s[4:5]
	s_add_u32 s4, s38, 1
	s_addc_u32 s5, s39, 0
	s_andn2_b64 s[36:37], s[36:37], exec
	s_and_b64 s[40:41], s[40:41], exec
	s_or_b64 s[36:37], s[36:37], s[40:41]
.LBB1076_82:                            ;   in Loop: Header=BB1076_83 Depth=1
	s_and_b64 s[40:41], exec, s[36:37]
	s_or_b64 s[18:19], s[40:41], s[18:19]
	v_mov_b64_e32 v[22:23], s[38:39]
	s_mov_b64 s[38:39], s[4:5]
	s_andn2_b64 exec, exec, s[18:19]
	s_cbranch_execz .LBB1076_85
.LBB1076_83:                            ; =>This Inner Loop Header: Depth=1
	s_or_b64 s[36:37], s[36:37], exec
	s_cmp_eq_u64 s[26:27], s[38:39]
	s_cbranch_scc0 .LBB1076_81
; %bb.84:                               ;   in Loop: Header=BB1076_83 Depth=1
                                        ; implicit-def: $sgpr4_sgpr5
	s_mov_b64 s[38:39], s[26:27]
	s_branch .LBB1076_82
.LBB1076_85:
	s_or_b64 exec, exec, s[18:19]
	v_cmp_gt_i64_e32 vcc, s[26:27], v[22:23]
	s_orn2_b64 s[36:37], vcc, exec
.LBB1076_86:
	s_or_b64 exec, exec, s[8:9]
.LBB1076_87:
	s_waitcnt lgkmcnt(0)
	v_or_b32_sdwa v20, v32, v18 dst_sel:DWORD dst_unused:UNUSED_PAD src0_sel:WORD_0 src1_sel:DWORD
	v_lshrrev_b32_e32 v18, 8, v19
	v_lshrrev_b32_e32 v32, 16, v19
	s_and_b64 vcc, exec, s[6:7]
	s_cbranch_vccz .LBB1076_154
.LBB1076_88:
	v_cmp_gt_u32_e32 vcc, s3, v29
	s_xor_b64 s[14:15], s[14:15], -1
	s_mov_b64 s[36:37], -1
	s_and_b64 s[4:5], vcc, s[14:15]
	s_mov_b64 s[8:9], 0
	s_mov_b64 s[6:7], 0
	s_and_saveexec_b64 s[18:19], s[4:5]
	s_cbranch_execz .LBB1076_97
; %bb.89:
	v_mov_b64_e32 v[18:19], s[28:29]
	v_mad_u64_u32 v[16:17], s[4:5], v4, s26, v[18:19]
	v_mul_lo_u32 v20, v4, s27
	v_mul_lo_u32 v21, v5, s26
	v_add3_u32 v17, v21, v17, v20
	v_mad_u64_u32 v[18:19], s[4:5], v14, s26, v[18:19]
	v_mul_lo_u32 v20, v14, s27
	v_mul_lo_u32 v21, v15, s26
	v_add3_u32 v19, v21, v19, v20
	global_load_ubyte v20, v[16:17], off
	global_load_ubyte v21, v[18:19], off
	s_waitcnt vmcnt(1)
	v_cmp_ne_u16_e32 vcc, 0, v20
	s_waitcnt vmcnt(0)
	v_cmp_ne_u16_e64 s[4:5], 0, v21
	s_xor_b64 s[4:5], vcc, s[4:5]
	s_xor_b64 s[4:5], s[4:5], -1
	s_and_saveexec_b64 s[6:7], s[4:5]
	s_cbranch_execz .LBB1076_96
; %bb.90:
	s_mov_b64 s[40:41], 1
	s_mov_b64 s[36:37], 0
                                        ; implicit-def: $sgpr38_sgpr39
	s_branch .LBB1076_93
.LBB1076_91:                            ;   in Loop: Header=BB1076_93 Depth=1
	v_lshl_add_u64 v[20:21], v[16:17], 0, s[40:41]
	v_lshl_add_u64 v[22:23], v[18:19], 0, s[40:41]
	global_load_ubyte v32, v[20:21], off
	global_load_ubyte v33, v[22:23], off
	s_waitcnt vmcnt(1)
	v_cmp_ne_u16_e32 vcc, 0, v32
	s_waitcnt vmcnt(0)
	v_cmp_ne_u16_e64 s[4:5], 0, v33
	s_xor_b64 s[42:43], vcc, s[4:5]
	s_add_u32 s4, s40, 1
	s_addc_u32 s5, s41, 0
	s_andn2_b64 s[38:39], s[38:39], exec
	s_and_b64 s[42:43], s[42:43], exec
	s_or_b64 s[38:39], s[38:39], s[42:43]
.LBB1076_92:                            ;   in Loop: Header=BB1076_93 Depth=1
	s_and_b64 s[42:43], exec, s[38:39]
	s_or_b64 s[36:37], s[42:43], s[36:37]
	v_mov_b64_e32 v[20:21], s[40:41]
	s_mov_b64 s[40:41], s[4:5]
	s_andn2_b64 exec, exec, s[36:37]
	s_cbranch_execz .LBB1076_95
.LBB1076_93:                            ; =>This Inner Loop Header: Depth=1
	s_or_b64 s[38:39], s[38:39], exec
	s_cmp_eq_u64 s[26:27], s[40:41]
	s_cbranch_scc0 .LBB1076_91
; %bb.94:                               ;   in Loop: Header=BB1076_93 Depth=1
                                        ; implicit-def: $sgpr4_sgpr5
	s_mov_b64 s[40:41], s[26:27]
	s_branch .LBB1076_92
.LBB1076_95:
	s_or_b64 exec, exec, s[36:37]
	v_cmp_gt_i64_e32 vcc, s[26:27], v[20:21]
	s_orn2_b64 s[36:37], vcc, exec
.LBB1076_96:
	s_or_b64 exec, exec, s[6:7]
	s_and_b64 s[6:7], s[36:37], exec
.LBB1076_97:
	s_or_b64 exec, exec, s[18:19]
	v_cmp_gt_u32_e32 vcc, s3, v31
	s_and_b64 s[4:5], vcc, s[14:15]
	s_and_saveexec_b64 s[18:19], s[4:5]
	s_cbranch_execz .LBB1076_106
; %bb.98:
	v_mov_b64_e32 v[18:19], s[28:29]
	v_mad_u64_u32 v[16:17], s[4:5], v2, s26, v[18:19]
	v_mul_lo_u32 v20, v2, s27
	v_mul_lo_u32 v21, v3, s26
	v_add3_u32 v17, v21, v17, v20
	v_mad_u64_u32 v[18:19], s[4:5], v4, s26, v[18:19]
	v_mul_lo_u32 v20, v4, s27
	v_mul_lo_u32 v21, v5, s26
	v_add3_u32 v19, v21, v19, v20
	global_load_ubyte v20, v[16:17], off
	global_load_ubyte v21, v[18:19], off
	s_waitcnt vmcnt(1)
	v_cmp_ne_u16_e32 vcc, 0, v20
	s_waitcnt vmcnt(0)
	v_cmp_ne_u16_e64 s[4:5], 0, v21
	s_xor_b64 s[8:9], vcc, s[4:5]
	s_mov_b64 s[4:5], -1
	s_xor_b64 s[36:37], s[8:9], -1
	s_and_saveexec_b64 s[8:9], s[36:37]
	s_cbranch_execz .LBB1076_105
; %bb.99:
	s_mov_b64 s[40:41], 1
	s_mov_b64 s[36:37], 0
                                        ; implicit-def: $sgpr38_sgpr39
	s_branch .LBB1076_102
.LBB1076_100:                           ;   in Loop: Header=BB1076_102 Depth=1
	v_lshl_add_u64 v[20:21], v[16:17], 0, s[40:41]
	v_lshl_add_u64 v[22:23], v[18:19], 0, s[40:41]
	global_load_ubyte v32, v[20:21], off
	global_load_ubyte v33, v[22:23], off
	s_waitcnt vmcnt(1)
	v_cmp_ne_u16_e32 vcc, 0, v32
	s_waitcnt vmcnt(0)
	v_cmp_ne_u16_e64 s[4:5], 0, v33
	s_xor_b64 s[42:43], vcc, s[4:5]
	s_add_u32 s4, s40, 1
	s_addc_u32 s5, s41, 0
	s_andn2_b64 s[38:39], s[38:39], exec
	s_and_b64 s[42:43], s[42:43], exec
	s_or_b64 s[38:39], s[38:39], s[42:43]
.LBB1076_101:                           ;   in Loop: Header=BB1076_102 Depth=1
	s_and_b64 s[42:43], exec, s[38:39]
	s_or_b64 s[36:37], s[42:43], s[36:37]
	v_mov_b64_e32 v[20:21], s[40:41]
	s_mov_b64 s[40:41], s[4:5]
	s_andn2_b64 exec, exec, s[36:37]
	s_cbranch_execz .LBB1076_104
.LBB1076_102:                           ; =>This Inner Loop Header: Depth=1
	s_or_b64 s[38:39], s[38:39], exec
	s_cmp_eq_u64 s[26:27], s[40:41]
	s_cbranch_scc0 .LBB1076_100
; %bb.103:                              ;   in Loop: Header=BB1076_102 Depth=1
                                        ; implicit-def: $sgpr4_sgpr5
	s_mov_b64 s[40:41], s[26:27]
	s_branch .LBB1076_101
.LBB1076_104:
	s_or_b64 exec, exec, s[36:37]
	v_cmp_gt_i64_e32 vcc, s[26:27], v[20:21]
	s_orn2_b64 s[4:5], vcc, exec
.LBB1076_105:
	s_or_b64 exec, exec, s[8:9]
	s_and_b64 s[8:9], s[4:5], exec
.LBB1076_106:
	s_or_b64 exec, exec, s[18:19]
	v_cmp_gt_u32_e32 vcc, s3, v28
	s_mov_b64 s[40:41], -1
	s_and_b64 s[4:5], vcc, s[14:15]
	s_mov_b64 s[36:37], 0
	s_mov_b64 s[18:19], 0
	s_and_saveexec_b64 s[38:39], s[4:5]
	s_cbranch_execz .LBB1076_115
; %bb.107:
	v_mov_b64_e32 v[18:19], s[28:29]
	v_mad_u64_u32 v[16:17], s[4:5], v8, s26, v[18:19]
	v_mul_lo_u32 v20, v8, s27
	v_mul_lo_u32 v21, v9, s26
	v_add3_u32 v17, v21, v17, v20
	v_mad_u64_u32 v[18:19], s[4:5], v2, s26, v[18:19]
	v_mul_lo_u32 v20, v2, s27
	v_mul_lo_u32 v21, v3, s26
	v_add3_u32 v19, v21, v19, v20
	global_load_ubyte v20, v[16:17], off
	global_load_ubyte v21, v[18:19], off
	s_waitcnt vmcnt(1)
	v_cmp_ne_u16_e32 vcc, 0, v20
	s_waitcnt vmcnt(0)
	v_cmp_ne_u16_e64 s[4:5], 0, v21
	s_xor_b64 s[4:5], vcc, s[4:5]
	s_xor_b64 s[4:5], s[4:5], -1
	s_and_saveexec_b64 s[18:19], s[4:5]
	s_cbranch_execz .LBB1076_114
; %bb.108:
	s_mov_b64 s[44:45], 1
	s_mov_b64 s[40:41], 0
                                        ; implicit-def: $sgpr42_sgpr43
	s_branch .LBB1076_111
.LBB1076_109:                           ;   in Loop: Header=BB1076_111 Depth=1
	v_lshl_add_u64 v[20:21], v[16:17], 0, s[44:45]
	v_lshl_add_u64 v[22:23], v[18:19], 0, s[44:45]
	global_load_ubyte v32, v[20:21], off
	global_load_ubyte v33, v[22:23], off
	s_waitcnt vmcnt(1)
	v_cmp_ne_u16_e32 vcc, 0, v32
	s_waitcnt vmcnt(0)
	v_cmp_ne_u16_e64 s[4:5], 0, v33
	s_xor_b64 s[46:47], vcc, s[4:5]
	s_add_u32 s4, s44, 1
	s_addc_u32 s5, s45, 0
	s_andn2_b64 s[42:43], s[42:43], exec
	s_and_b64 s[46:47], s[46:47], exec
	s_or_b64 s[42:43], s[42:43], s[46:47]
.LBB1076_110:                           ;   in Loop: Header=BB1076_111 Depth=1
	s_and_b64 s[46:47], exec, s[42:43]
	s_or_b64 s[40:41], s[46:47], s[40:41]
	v_mov_b64_e32 v[20:21], s[44:45]
	s_mov_b64 s[44:45], s[4:5]
	s_andn2_b64 exec, exec, s[40:41]
	s_cbranch_execz .LBB1076_113
.LBB1076_111:                           ; =>This Inner Loop Header: Depth=1
	s_or_b64 s[42:43], s[42:43], exec
	s_cmp_eq_u64 s[26:27], s[44:45]
	s_cbranch_scc0 .LBB1076_109
; %bb.112:                              ;   in Loop: Header=BB1076_111 Depth=1
                                        ; implicit-def: $sgpr4_sgpr5
	s_mov_b64 s[44:45], s[26:27]
	s_branch .LBB1076_110
.LBB1076_113:
	s_or_b64 exec, exec, s[40:41]
	v_cmp_gt_i64_e32 vcc, s[26:27], v[20:21]
	s_orn2_b64 s[40:41], vcc, exec
.LBB1076_114:
	s_or_b64 exec, exec, s[18:19]
	s_and_b64 s[18:19], s[40:41], exec
.LBB1076_115:
	s_or_b64 exec, exec, s[38:39]
	v_cmp_gt_u32_e32 vcc, s3, v30
	s_and_b64 s[4:5], vcc, s[14:15]
	s_and_saveexec_b64 s[38:39], s[4:5]
	s_cbranch_execz .LBB1076_124
; %bb.116:
	v_mov_b64_e32 v[18:19], s[28:29]
	v_mad_u64_u32 v[16:17], s[4:5], v6, s26, v[18:19]
	v_mul_lo_u32 v20, v6, s27
	v_mul_lo_u32 v21, v7, s26
	v_add3_u32 v17, v21, v17, v20
	v_mad_u64_u32 v[18:19], s[4:5], v8, s26, v[18:19]
	v_mul_lo_u32 v20, v8, s27
	v_mul_lo_u32 v21, v9, s26
	v_add3_u32 v19, v21, v19, v20
	global_load_ubyte v20, v[16:17], off
	global_load_ubyte v21, v[18:19], off
	s_waitcnt vmcnt(1)
	v_cmp_ne_u16_e32 vcc, 0, v20
	s_waitcnt vmcnt(0)
	v_cmp_ne_u16_e64 s[4:5], 0, v21
	s_xor_b64 s[36:37], vcc, s[4:5]
	s_mov_b64 s[4:5], -1
	s_xor_b64 s[40:41], s[36:37], -1
	s_and_saveexec_b64 s[36:37], s[40:41]
	s_cbranch_execz .LBB1076_123
; %bb.117:
	s_mov_b64 s[44:45], 1
	s_mov_b64 s[40:41], 0
                                        ; implicit-def: $sgpr42_sgpr43
	s_branch .LBB1076_120
.LBB1076_118:                           ;   in Loop: Header=BB1076_120 Depth=1
	v_lshl_add_u64 v[20:21], v[16:17], 0, s[44:45]
	v_lshl_add_u64 v[22:23], v[18:19], 0, s[44:45]
	global_load_ubyte v32, v[20:21], off
	global_load_ubyte v33, v[22:23], off
	s_waitcnt vmcnt(1)
	v_cmp_ne_u16_e32 vcc, 0, v32
	s_waitcnt vmcnt(0)
	v_cmp_ne_u16_e64 s[4:5], 0, v33
	s_xor_b64 s[46:47], vcc, s[4:5]
	s_add_u32 s4, s44, 1
	s_addc_u32 s5, s45, 0
	s_andn2_b64 s[42:43], s[42:43], exec
	s_and_b64 s[46:47], s[46:47], exec
	s_or_b64 s[42:43], s[42:43], s[46:47]
.LBB1076_119:                           ;   in Loop: Header=BB1076_120 Depth=1
	s_and_b64 s[46:47], exec, s[42:43]
	s_or_b64 s[40:41], s[46:47], s[40:41]
	v_mov_b64_e32 v[20:21], s[44:45]
	s_mov_b64 s[44:45], s[4:5]
	s_andn2_b64 exec, exec, s[40:41]
	s_cbranch_execz .LBB1076_122
.LBB1076_120:                           ; =>This Inner Loop Header: Depth=1
	s_or_b64 s[42:43], s[42:43], exec
	s_cmp_eq_u64 s[26:27], s[44:45]
	s_cbranch_scc0 .LBB1076_118
; %bb.121:                              ;   in Loop: Header=BB1076_120 Depth=1
                                        ; implicit-def: $sgpr4_sgpr5
	s_mov_b64 s[44:45], s[26:27]
	s_branch .LBB1076_119
.LBB1076_122:
	s_or_b64 exec, exec, s[40:41]
	v_cmp_gt_i64_e32 vcc, s[26:27], v[20:21]
	s_orn2_b64 s[4:5], vcc, exec
.LBB1076_123:
	s_or_b64 exec, exec, s[36:37]
	s_and_b64 s[36:37], s[4:5], exec
.LBB1076_124:
	s_or_b64 exec, exec, s[38:39]
	v_cmp_gt_u32_e32 vcc, s3, v26
	s_mov_b64 s[44:45], -1
	s_and_b64 s[4:5], vcc, s[14:15]
	s_mov_b64 s[38:39], 0
	s_mov_b64 s[40:41], 0
	s_and_saveexec_b64 s[42:43], s[4:5]
	s_cbranch_execz .LBB1076_133
; %bb.125:
	v_mov_b64_e32 v[18:19], s[28:29]
	v_mad_u64_u32 v[16:17], s[4:5], v12, s26, v[18:19]
	v_mul_lo_u32 v20, v12, s27
	v_mul_lo_u32 v21, v13, s26
	v_add3_u32 v17, v21, v17, v20
	v_mad_u64_u32 v[18:19], s[4:5], v6, s26, v[18:19]
	v_mul_lo_u32 v20, v6, s27
	v_mul_lo_u32 v21, v7, s26
	v_add3_u32 v19, v21, v19, v20
	global_load_ubyte v20, v[16:17], off
	global_load_ubyte v21, v[18:19], off
	s_waitcnt vmcnt(1)
	v_cmp_ne_u16_e32 vcc, 0, v20
	s_waitcnt vmcnt(0)
	v_cmp_ne_u16_e64 s[4:5], 0, v21
	s_xor_b64 s[4:5], vcc, s[4:5]
	s_xor_b64 s[4:5], s[4:5], -1
	s_and_saveexec_b64 s[40:41], s[4:5]
	s_cbranch_execz .LBB1076_132
; %bb.126:
	s_mov_b64 s[48:49], 1
	s_mov_b64 s[44:45], 0
                                        ; implicit-def: $sgpr46_sgpr47
	s_branch .LBB1076_129
.LBB1076_127:                           ;   in Loop: Header=BB1076_129 Depth=1
	v_lshl_add_u64 v[20:21], v[16:17], 0, s[48:49]
	v_lshl_add_u64 v[22:23], v[18:19], 0, s[48:49]
	global_load_ubyte v32, v[20:21], off
	global_load_ubyte v33, v[22:23], off
	s_waitcnt vmcnt(1)
	v_cmp_ne_u16_e32 vcc, 0, v32
	s_waitcnt vmcnt(0)
	v_cmp_ne_u16_e64 s[4:5], 0, v33
	s_xor_b64 s[50:51], vcc, s[4:5]
	s_add_u32 s4, s48, 1
	s_addc_u32 s5, s49, 0
	s_andn2_b64 s[46:47], s[46:47], exec
	s_and_b64 s[50:51], s[50:51], exec
	s_or_b64 s[46:47], s[46:47], s[50:51]
.LBB1076_128:                           ;   in Loop: Header=BB1076_129 Depth=1
	s_and_b64 s[50:51], exec, s[46:47]
	s_or_b64 s[44:45], s[50:51], s[44:45]
	v_mov_b64_e32 v[20:21], s[48:49]
	s_mov_b64 s[48:49], s[4:5]
	s_andn2_b64 exec, exec, s[44:45]
	s_cbranch_execz .LBB1076_131
.LBB1076_129:                           ; =>This Inner Loop Header: Depth=1
	s_or_b64 s[46:47], s[46:47], exec
	s_cmp_eq_u64 s[26:27], s[48:49]
	s_cbranch_scc0 .LBB1076_127
; %bb.130:                              ;   in Loop: Header=BB1076_129 Depth=1
                                        ; implicit-def: $sgpr4_sgpr5
	s_mov_b64 s[48:49], s[26:27]
	s_branch .LBB1076_128
.LBB1076_131:
	s_or_b64 exec, exec, s[44:45]
	v_cmp_gt_i64_e32 vcc, s[26:27], v[20:21]
	s_orn2_b64 s[44:45], vcc, exec
.LBB1076_132:
	s_or_b64 exec, exec, s[40:41]
	s_and_b64 s[40:41], s[44:45], exec
.LBB1076_133:
	s_or_b64 exec, exec, s[42:43]
	v_cmp_gt_u32_e32 vcc, s3, v27
	s_and_b64 s[4:5], vcc, s[14:15]
	s_and_saveexec_b64 s[42:43], s[4:5]
	s_cbranch_execz .LBB1076_142
; %bb.134:
	v_mov_b64_e32 v[18:19], s[28:29]
	v_mad_u64_u32 v[16:17], s[4:5], v10, s26, v[18:19]
	v_mul_lo_u32 v20, v10, s27
	v_mul_lo_u32 v21, v11, s26
	v_add3_u32 v17, v21, v17, v20
	v_mad_u64_u32 v[18:19], s[4:5], v12, s26, v[18:19]
	v_mul_lo_u32 v20, v12, s27
	v_mul_lo_u32 v21, v13, s26
	v_add3_u32 v19, v21, v19, v20
	global_load_ubyte v20, v[16:17], off
	global_load_ubyte v21, v[18:19], off
	s_waitcnt vmcnt(1)
	v_cmp_ne_u16_e32 vcc, 0, v20
	s_waitcnt vmcnt(0)
	v_cmp_ne_u16_e64 s[4:5], 0, v21
	s_xor_b64 s[38:39], vcc, s[4:5]
	s_mov_b64 s[4:5], -1
	s_xor_b64 s[44:45], s[38:39], -1
	s_and_saveexec_b64 s[38:39], s[44:45]
	s_cbranch_execz .LBB1076_141
; %bb.135:
	s_mov_b64 s[48:49], 1
	s_mov_b64 s[44:45], 0
                                        ; implicit-def: $sgpr46_sgpr47
	s_branch .LBB1076_138
.LBB1076_136:                           ;   in Loop: Header=BB1076_138 Depth=1
	v_lshl_add_u64 v[20:21], v[16:17], 0, s[48:49]
	v_lshl_add_u64 v[22:23], v[18:19], 0, s[48:49]
	global_load_ubyte v32, v[20:21], off
	global_load_ubyte v33, v[22:23], off
	s_waitcnt vmcnt(1)
	v_cmp_ne_u16_e32 vcc, 0, v32
	s_waitcnt vmcnt(0)
	v_cmp_ne_u16_e64 s[4:5], 0, v33
	s_xor_b64 s[50:51], vcc, s[4:5]
	s_add_u32 s4, s48, 1
	s_addc_u32 s5, s49, 0
	s_andn2_b64 s[46:47], s[46:47], exec
	s_and_b64 s[50:51], s[50:51], exec
	s_or_b64 s[46:47], s[46:47], s[50:51]
.LBB1076_137:                           ;   in Loop: Header=BB1076_138 Depth=1
	s_and_b64 s[50:51], exec, s[46:47]
	s_or_b64 s[44:45], s[50:51], s[44:45]
	v_mov_b64_e32 v[20:21], s[48:49]
	s_mov_b64 s[48:49], s[4:5]
	s_andn2_b64 exec, exec, s[44:45]
	s_cbranch_execz .LBB1076_140
.LBB1076_138:                           ; =>This Inner Loop Header: Depth=1
	s_or_b64 s[46:47], s[46:47], exec
	s_cmp_eq_u64 s[26:27], s[48:49]
	s_cbranch_scc0 .LBB1076_136
; %bb.139:                              ;   in Loop: Header=BB1076_138 Depth=1
                                        ; implicit-def: $sgpr4_sgpr5
	s_mov_b64 s[48:49], s[26:27]
	s_branch .LBB1076_137
.LBB1076_140:
	s_or_b64 exec, exec, s[44:45]
	v_cmp_gt_i64_e32 vcc, s[26:27], v[20:21]
	s_orn2_b64 s[4:5], vcc, exec
.LBB1076_141:
	s_or_b64 exec, exec, s[38:39]
	s_and_b64 s[38:39], s[4:5], exec
.LBB1076_142:
	s_or_b64 exec, exec, s[42:43]
	v_cmp_ne_u32_e32 vcc, 0, v0
	s_waitcnt lgkmcnt(0)
	v_mov_b64_e32 v[18:19], s[12:13]
	s_barrier
	s_and_saveexec_b64 s[4:5], vcc
	s_cbranch_execz .LBB1076_144
; %bb.143:
	v_add_u32_e32 v16, -8, v25
	ds_read_b64 v[18:19], v16
.LBB1076_144:
	s_or_b64 exec, exec, s[4:5]
	v_cndmask_b32_e64 v17, 0, 1, s[36:37]
	v_cndmask_b32_e64 v16, 0, 1, s[40:41]
	;; [unrolled: 1-line block ×3, first 2 shown]
	v_cmp_gt_u32_e32 vcc, s3, v1
	v_lshlrev_b16_e32 v17, 8, v17
	s_mov_b64 s[38:39], -1
	s_and_b64 s[4:5], vcc, s[14:15]
	v_lshlrev_b16_e32 v22, 8, v20
	v_or_b32_sdwa v23, v16, v17 dst_sel:WORD_1 dst_unused:UNUSED_PAD src0_sel:DWORD src1_sel:DWORD
	s_mov_b64 s[36:37], 0
	s_and_saveexec_b64 s[12:13], s[4:5]
	s_cbranch_execz .LBB1076_153
; %bb.145:
	v_mov_b64_e32 v[20:21], s[28:29]
	s_waitcnt lgkmcnt(0)
	v_mad_u64_u32 v[16:17], s[4:5], v18, s26, v[20:21]
	v_mul_lo_u32 v18, v18, s27
	v_mul_lo_u32 v19, v19, s26
	v_add3_u32 v17, v19, v17, v18
	v_mad_u64_u32 v[18:19], s[4:5], v10, s26, v[20:21]
	v_mul_lo_u32 v20, v10, s27
	v_mul_lo_u32 v21, v11, s26
	v_add3_u32 v19, v21, v19, v20
	global_load_ubyte v20, v[16:17], off
	global_load_ubyte v21, v[18:19], off
	s_waitcnt vmcnt(1)
	v_cmp_ne_u16_e32 vcc, 0, v20
	s_waitcnt vmcnt(0)
	v_cmp_ne_u16_e64 s[4:5], 0, v21
	s_xor_b64 s[4:5], vcc, s[4:5]
	s_xor_b64 s[4:5], s[4:5], -1
	s_and_saveexec_b64 s[14:15], s[4:5]
	s_cbranch_execz .LBB1076_152
; %bb.146:
	s_mov_b64 s[40:41], 1
                                        ; implicit-def: $sgpr38_sgpr39
	s_branch .LBB1076_149
.LBB1076_147:                           ;   in Loop: Header=BB1076_149 Depth=1
	v_lshl_add_u64 v[20:21], v[16:17], 0, s[40:41]
	v_lshl_add_u64 v[32:33], v[18:19], 0, s[40:41]
	global_load_ubyte v25, v[20:21], off
	global_load_ubyte v34, v[32:33], off
	s_waitcnt vmcnt(1)
	v_cmp_ne_u16_e32 vcc, 0, v25
	s_waitcnt vmcnt(0)
	v_cmp_ne_u16_e64 s[4:5], 0, v34
	s_xor_b64 s[42:43], vcc, s[4:5]
	s_add_u32 s4, s40, 1
	s_addc_u32 s5, s41, 0
	s_andn2_b64 s[38:39], s[38:39], exec
	s_and_b64 s[42:43], s[42:43], exec
	s_or_b64 s[38:39], s[38:39], s[42:43]
.LBB1076_148:                           ;   in Loop: Header=BB1076_149 Depth=1
	s_and_b64 s[42:43], exec, s[38:39]
	s_or_b64 s[36:37], s[42:43], s[36:37]
	v_mov_b64_e32 v[20:21], s[40:41]
	s_mov_b64 s[40:41], s[4:5]
	s_andn2_b64 exec, exec, s[36:37]
	s_cbranch_execz .LBB1076_151
.LBB1076_149:                           ; =>This Inner Loop Header: Depth=1
	s_or_b64 s[38:39], s[38:39], exec
	s_cmp_eq_u64 s[26:27], s[40:41]
	s_cbranch_scc0 .LBB1076_147
; %bb.150:                              ;   in Loop: Header=BB1076_149 Depth=1
                                        ; implicit-def: $sgpr4_sgpr5
	s_mov_b64 s[40:41], s[26:27]
	s_branch .LBB1076_148
.LBB1076_151:
	s_or_b64 exec, exec, s[36:37]
	v_cmp_gt_i64_e32 vcc, s[26:27], v[20:21]
	s_orn2_b64 s[38:39], vcc, exec
.LBB1076_152:
	s_or_b64 exec, exec, s[14:15]
	s_and_b64 s[36:37], s[38:39], exec
.LBB1076_153:
	s_or_b64 exec, exec, s[12:13]
	s_waitcnt lgkmcnt(0)
	v_cndmask_b32_e64 v19, 0, 1, s[18:19]
	v_cndmask_b32_e64 v18, 0, 1, s[8:9]
	;; [unrolled: 1-line block ×3, first 2 shown]
	v_or_b32_e32 v20, v22, v23
.LBB1076_154:
	s_waitcnt lgkmcnt(0)
	s_mov_b64 s[12:13], -1
	s_cbranch_execnz .LBB1076_28
.LBB1076_155:
	s_movk_i32 s4, 0xffd0
	v_mad_i32_i24 v24, v0, s4, v24
	v_cmp_lt_i64_e64 s[14:15], s[26:27], 1
	s_mov_b64 s[6:7], 0
	v_cmp_gt_i64_e64 s[8:9], s[26:27], 0
	s_and_b64 vcc, exec, s[34:35]
	ds_write_b64 v24, v[14:15]
	s_cbranch_vccz .LBB1076_163
; %bb.156:
	v_cndmask_b32_e64 v16, 0, 1, s[8:9]
	v_cmp_ne_u32_e64 s[4:5], 1, v16
	s_andn2_b64 vcc, exec, s[8:9]
	s_cbranch_vccnz .LBB1076_164
; %bb.157:
	v_mov_b64_e32 v[18:19], s[28:29]
	v_mad_u64_u32 v[16:17], s[6:7], v4, s26, v[18:19]
	v_mul_lo_u32 v20, v4, s27
	v_mul_lo_u32 v21, v5, s26
	v_add3_u32 v17, v21, v17, v20
	v_mad_u64_u32 v[18:19], s[6:7], v14, s26, v[18:19]
	v_mul_lo_u32 v20, v14, s27
	v_mul_lo_u32 v21, v15, s26
	v_add3_u32 v19, v21, v19, v20
	global_load_ubyte v20, v[16:17], off
	global_load_ubyte v21, v[18:19], off
	s_mov_b64 s[8:9], -1
	s_waitcnt vmcnt(1)
	v_cmp_ne_u16_e32 vcc, 0, v20
	s_waitcnt vmcnt(0)
	v_cmp_ne_u16_e64 s[6:7], 0, v21
	s_xor_b64 s[6:7], vcc, s[6:7]
	s_xor_b64 s[6:7], s[6:7], -1
	s_and_saveexec_b64 s[18:19], s[6:7]
	s_cbranch_execz .LBB1076_166
; %bb.158:
	s_mov_b64 s[40:41], 1
	s_mov_b64 s[36:37], 0
                                        ; implicit-def: $sgpr38_sgpr39
	s_branch .LBB1076_161
.LBB1076_159:                           ;   in Loop: Header=BB1076_161 Depth=1
	v_lshl_add_u64 v[20:21], v[16:17], 0, s[40:41]
	v_lshl_add_u64 v[22:23], v[18:19], 0, s[40:41]
	global_load_ubyte v25, v[20:21], off
	global_load_ubyte v32, v[22:23], off
	s_waitcnt vmcnt(1)
	v_cmp_ne_u16_e64 s[6:7], 0, v25
	s_waitcnt vmcnt(0)
	v_cmp_ne_u16_e64 s[8:9], 0, v32
	s_xor_b64 s[8:9], s[6:7], s[8:9]
	s_add_u32 s6, s40, 1
	s_addc_u32 s7, s41, 0
	s_andn2_b64 s[38:39], s[38:39], exec
	s_and_b64 s[8:9], s[8:9], exec
	s_or_b64 s[38:39], s[38:39], s[8:9]
.LBB1076_160:                           ;   in Loop: Header=BB1076_161 Depth=1
	s_and_b64 s[8:9], exec, s[38:39]
	s_or_b64 s[36:37], s[8:9], s[36:37]
	v_mov_b64_e32 v[20:21], s[40:41]
	s_mov_b64 s[40:41], s[6:7]
	s_andn2_b64 exec, exec, s[36:37]
	s_cbranch_execz .LBB1076_165
.LBB1076_161:                           ; =>This Inner Loop Header: Depth=1
	s_or_b64 s[38:39], s[38:39], exec
	s_cmp_eq_u64 s[26:27], s[40:41]
	s_cbranch_scc0 .LBB1076_159
; %bb.162:                              ;   in Loop: Header=BB1076_161 Depth=1
                                        ; implicit-def: $sgpr6_sgpr7
	s_mov_b64 s[40:41], s[26:27]
	s_branch .LBB1076_160
.LBB1076_163:
                                        ; implicit-def: $sgpr36_sgpr37
                                        ; implicit-def: $vgpr32
                                        ; implicit-def: $vgpr18
                                        ; implicit-def: $vgpr19
                                        ; implicit-def: $vgpr20
                                        ; implicit-def: $vgpr16_vgpr17
	s_cbranch_execnz .LBB1076_222
	s_branch .LBB1076_288
.LBB1076_164:
	v_mov_b32_e32 v16, 0
	s_branch .LBB1076_174
.LBB1076_165:
	s_or_b64 exec, exec, s[36:37]
	v_cmp_gt_i64_e64 s[6:7], s[26:27], v[20:21]
	s_orn2_b64 s[8:9], s[6:7], exec
.LBB1076_166:
	s_or_b64 exec, exec, s[18:19]
	v_mov_b64_e32 v[18:19], s[28:29]
	v_mad_u64_u32 v[18:19], s[6:7], v2, s26, v[18:19]
	v_mul_lo_u32 v20, v2, s27
	v_mul_lo_u32 v21, v3, s26
	v_add3_u32 v19, v21, v19, v20
	global_load_ubyte v20, v[18:19], off
	s_waitcnt vmcnt(0)
	v_cmp_ne_u16_e64 s[6:7], 0, v20
	s_xor_b64 s[18:19], vcc, s[6:7]
	s_mov_b64 s[6:7], -1
	s_xor_b64 s[36:37], s[18:19], -1
	s_and_saveexec_b64 s[18:19], s[36:37]
	s_cbranch_execz .LBB1076_173
; %bb.167:
	s_mov_b64 s[40:41], 1
	s_mov_b64 s[36:37], 0
                                        ; implicit-def: $sgpr38_sgpr39
	s_branch .LBB1076_170
.LBB1076_168:                           ;   in Loop: Header=BB1076_170 Depth=1
	v_lshl_add_u64 v[20:21], v[18:19], 0, s[40:41]
	v_lshl_add_u64 v[22:23], v[16:17], 0, s[40:41]
	global_load_ubyte v25, v[20:21], off
	global_load_ubyte v32, v[22:23], off
	s_waitcnt vmcnt(1)
	v_cmp_ne_u16_e32 vcc, 0, v25
	s_waitcnt vmcnt(0)
	v_cmp_ne_u16_e64 s[6:7], 0, v32
	s_xor_b64 s[42:43], vcc, s[6:7]
	s_add_u32 s6, s40, 1
	s_addc_u32 s7, s41, 0
	s_andn2_b64 s[38:39], s[38:39], exec
	s_and_b64 s[42:43], s[42:43], exec
	s_or_b64 s[38:39], s[38:39], s[42:43]
.LBB1076_169:                           ;   in Loop: Header=BB1076_170 Depth=1
	s_and_b64 s[42:43], exec, s[38:39]
	s_or_b64 s[36:37], s[42:43], s[36:37]
	v_mov_b64_e32 v[20:21], s[40:41]
	s_mov_b64 s[40:41], s[6:7]
	s_andn2_b64 exec, exec, s[36:37]
	s_cbranch_execz .LBB1076_172
.LBB1076_170:                           ; =>This Inner Loop Header: Depth=1
	s_or_b64 s[38:39], s[38:39], exec
	s_cmp_eq_u64 s[26:27], s[40:41]
	s_cbranch_scc0 .LBB1076_168
; %bb.171:                              ;   in Loop: Header=BB1076_170 Depth=1
                                        ; implicit-def: $sgpr6_sgpr7
	s_mov_b64 s[40:41], s[26:27]
	s_branch .LBB1076_169
.LBB1076_172:
	s_or_b64 exec, exec, s[36:37]
	v_cmp_gt_i64_e32 vcc, s[26:27], v[20:21]
	s_orn2_b64 s[6:7], vcc, exec
.LBB1076_173:
	s_or_b64 exec, exec, s[18:19]
	v_cndmask_b32_e64 v16, 0, 1, s[8:9]
.LBB1076_174:
	v_lshlrev_b16_e32 v17, 8, v0
	v_lshlrev_b16_e32 v18, 8, v0
	v_mov_b32_e32 v20, 8
	v_lshrrev_b32_sdwa v18, v20, v18 dst_sel:BYTE_1 dst_unused:UNUSED_PAD src0_sel:DWORD src1_sel:DWORD
	v_lshrrev_b32_sdwa v17, v20, v17 dst_sel:BYTE_1 dst_unused:UNUSED_PAD src0_sel:DWORD src1_sel:DWORD
	v_cndmask_b32_e64 v19, 0, 1, s[6:7]
	v_or_b32_sdwa v18, v0, v18 dst_sel:DWORD dst_unused:UNUSED_PAD src0_sel:BYTE_0 src1_sel:DWORD
	v_or_b32_sdwa v17, v0, v17 dst_sel:WORD_1 dst_unused:UNUSED_PAD src0_sel:BYTE_0 src1_sel:DWORD
	v_lshlrev_b32_e32 v16, 16, v16
	v_or_b32_sdwa v25, v18, v17 dst_sel:DWORD dst_unused:UNUSED_PAD src0_sel:WORD_0 src1_sel:DWORD
	v_lshlrev_b16_e32 v17, 8, v19
	s_and_b64 vcc, exec, s[4:5]
	v_or_b32_e32 v32, v17, v16
	s_cbranch_vccnz .LBB1076_181
; %bb.175:
	v_mov_b64_e32 v[18:19], s[28:29]
	v_mad_u64_u32 v[16:17], s[6:7], v8, s26, v[18:19]
	v_mul_lo_u32 v20, v8, s27
	v_mul_lo_u32 v21, v9, s26
	v_add3_u32 v17, v21, v17, v20
	v_mad_u64_u32 v[18:19], s[6:7], v2, s26, v[18:19]
	v_mul_lo_u32 v20, v2, s27
	v_mul_lo_u32 v21, v3, s26
	v_add3_u32 v19, v21, v19, v20
	global_load_ubyte v20, v[16:17], off
	global_load_ubyte v21, v[18:19], off
	s_waitcnt vmcnt(1)
	v_cmp_ne_u16_e32 vcc, 0, v20
	s_waitcnt vmcnt(0)
	v_cmp_ne_u16_e64 s[6:7], 0, v21
	s_xor_b64 s[8:9], vcc, s[6:7]
	s_mov_b64 s[6:7], -1
	s_xor_b64 s[8:9], s[8:9], -1
	s_and_saveexec_b64 s[18:19], s[8:9]
	s_cbranch_execz .LBB1076_183
; %bb.176:
	s_mov_b64 s[40:41], 1
	s_mov_b64 s[36:37], 0
                                        ; implicit-def: $sgpr38_sgpr39
	s_branch .LBB1076_179
.LBB1076_177:                           ;   in Loop: Header=BB1076_179 Depth=1
	v_lshl_add_u64 v[20:21], v[16:17], 0, s[40:41]
	v_lshl_add_u64 v[22:23], v[18:19], 0, s[40:41]
	global_load_ubyte v33, v[20:21], off
	global_load_ubyte v34, v[22:23], off
	s_waitcnt vmcnt(1)
	v_cmp_ne_u16_e64 s[6:7], 0, v33
	s_waitcnt vmcnt(0)
	v_cmp_ne_u16_e64 s[8:9], 0, v34
	s_xor_b64 s[8:9], s[6:7], s[8:9]
	s_add_u32 s6, s40, 1
	s_addc_u32 s7, s41, 0
	s_andn2_b64 s[38:39], s[38:39], exec
	s_and_b64 s[8:9], s[8:9], exec
	s_or_b64 s[38:39], s[38:39], s[8:9]
.LBB1076_178:                           ;   in Loop: Header=BB1076_179 Depth=1
	s_and_b64 s[8:9], exec, s[38:39]
	s_or_b64 s[36:37], s[8:9], s[36:37]
	v_mov_b64_e32 v[20:21], s[40:41]
	s_mov_b64 s[40:41], s[6:7]
	s_andn2_b64 exec, exec, s[36:37]
	s_cbranch_execz .LBB1076_182
.LBB1076_179:                           ; =>This Inner Loop Header: Depth=1
	s_or_b64 s[38:39], s[38:39], exec
	s_cmp_eq_u64 s[26:27], s[40:41]
	s_cbranch_scc0 .LBB1076_177
; %bb.180:                              ;   in Loop: Header=BB1076_179 Depth=1
                                        ; implicit-def: $sgpr6_sgpr7
	s_mov_b64 s[40:41], s[26:27]
	s_branch .LBB1076_178
.LBB1076_181:
                                        ; implicit-def: $sgpr6_sgpr7
                                        ; implicit-def: $vgpr18_vgpr19
	s_cbranch_execnz .LBB1076_191
	s_branch .LBB1076_192
.LBB1076_182:
	s_or_b64 exec, exec, s[36:37]
	v_cmp_gt_i64_e64 s[6:7], s[26:27], v[20:21]
	s_orn2_b64 s[6:7], s[6:7], exec
.LBB1076_183:
	s_or_b64 exec, exec, s[18:19]
	v_mov_b64_e32 v[18:19], s[28:29]
	v_mad_u64_u32 v[20:21], s[8:9], v6, s26, v[18:19]
	v_mul_lo_u32 v18, v6, s27
	v_mul_lo_u32 v19, v7, s26
	v_add3_u32 v21, v19, v21, v18
	global_load_ubyte v22, v[20:21], off
	v_mov_b32_e32 v18, 8
	v_cndmask_b32_e64 v19, 0, 1, s[6:7]
	s_mov_b32 s6, 0x3020104
	v_lshrrev_b32_sdwa v33, v18, v32 dst_sel:BYTE_1 dst_unused:UNUSED_PAD src0_sel:DWORD src1_sel:DWORD
	v_perm_b32 v18, v25, v25, s6
	v_or_b32_e32 v19, v19, v33
	v_bfe_u32 v23, v32, 16, 8
	v_and_b32_e32 v19, 0xffff, v19
	v_lshl_or_b32 v19, v23, 16, v19
	s_waitcnt vmcnt(0)
	v_cmp_ne_u16_e64 s[6:7], 0, v22
	s_xor_b64 s[8:9], vcc, s[6:7]
	s_mov_b64 s[6:7], -1
	s_xor_b64 s[18:19], s[8:9], -1
	s_and_saveexec_b64 s[8:9], s[18:19]
	s_cbranch_execz .LBB1076_190
; %bb.184:
	s_mov_b64 s[38:39], 1
	s_mov_b64 s[18:19], 0
                                        ; implicit-def: $sgpr36_sgpr37
	s_branch .LBB1076_187
.LBB1076_185:                           ;   in Loop: Header=BB1076_187 Depth=1
	v_lshl_add_u64 v[22:23], v[20:21], 0, s[38:39]
	v_lshl_add_u64 v[34:35], v[16:17], 0, s[38:39]
	global_load_ubyte v33, v[22:23], off
	global_load_ubyte v36, v[34:35], off
	s_waitcnt vmcnt(1)
	v_cmp_ne_u16_e32 vcc, 0, v33
	s_waitcnt vmcnt(0)
	v_cmp_ne_u16_e64 s[6:7], 0, v36
	s_xor_b64 s[40:41], vcc, s[6:7]
	s_add_u32 s6, s38, 1
	s_addc_u32 s7, s39, 0
	s_andn2_b64 s[36:37], s[36:37], exec
	s_and_b64 s[40:41], s[40:41], exec
	s_or_b64 s[36:37], s[36:37], s[40:41]
.LBB1076_186:                           ;   in Loop: Header=BB1076_187 Depth=1
	s_and_b64 s[40:41], exec, s[36:37]
	s_or_b64 s[18:19], s[40:41], s[18:19]
	v_mov_b64_e32 v[22:23], s[38:39]
	s_mov_b64 s[38:39], s[6:7]
	s_andn2_b64 exec, exec, s[18:19]
	s_cbranch_execz .LBB1076_189
.LBB1076_187:                           ; =>This Inner Loop Header: Depth=1
	s_or_b64 s[36:37], s[36:37], exec
	s_cmp_eq_u64 s[26:27], s[38:39]
	s_cbranch_scc0 .LBB1076_185
; %bb.188:                              ;   in Loop: Header=BB1076_187 Depth=1
                                        ; implicit-def: $sgpr6_sgpr7
	s_mov_b64 s[38:39], s[26:27]
	s_branch .LBB1076_186
.LBB1076_189:
	s_or_b64 exec, exec, s[18:19]
	v_cmp_gt_i64_e32 vcc, s[26:27], v[22:23]
	s_orn2_b64 s[6:7], vcc, exec
.LBB1076_190:
	s_or_b64 exec, exec, s[8:9]
	s_branch .LBB1076_192
.LBB1076_191:
	v_mov_b32_e32 v16, 8
	v_lshrrev_b32_sdwa v16, v16, v32 dst_sel:BYTE_1 dst_unused:UNUSED_PAD src0_sel:DWORD src1_sel:DWORD
	v_bfe_u32 v17, v32, 16, 8
	s_mov_b32 s8, 0x3020104
	v_lshl_or_b32 v19, v17, 16, v16
	v_perm_b32 v18, v25, v25, s8
	s_andn2_b64 s[6:7], s[6:7], exec
.LBB1076_192:
	v_mov_b32_e32 v17, 8
	v_cndmask_b32_e64 v16, 0, 1, s[6:7]
	s_movk_i32 s6, 0xff
	v_lshrrev_b32_sdwa v20, v17, v18 dst_sel:BYTE_1 dst_unused:UNUSED_PAD src0_sel:DWORD src1_sel:DWORD
	v_lshlrev_b16_e32 v16, 8, v16
	v_or_b32_sdwa v20, v18, v20 dst_sel:DWORD dst_unused:UNUSED_PAD src0_sel:BYTE_0 src1_sel:DWORD
	v_and_b32_sdwa v18, v18, s6 dst_sel:DWORD dst_unused:UNUSED_PAD src0_sel:WORD_1 src1_sel:DWORD
	v_or_b32_sdwa v16, v18, v16 dst_sel:WORD_1 dst_unused:UNUSED_PAD src0_sel:DWORD src1_sel:DWORD
	s_and_b64 vcc, exec, s[4:5]
	v_or_b32_sdwa v25, v20, v16 dst_sel:DWORD dst_unused:UNUSED_PAD src0_sel:WORD_0 src1_sel:DWORD
	v_lshrrev_b32_sdwa v16, v17, v19 dst_sel:BYTE_1 dst_unused:UNUSED_PAD src0_sel:DWORD src1_sel:DWORD
	v_bfe_u32 v17, v19, 16, 8
	v_or_b32_sdwa v16, v19, v16 dst_sel:DWORD dst_unused:UNUSED_PAD src0_sel:BYTE_0 src1_sel:DWORD
	v_and_b32_e32 v16, 0xffff, v16
	v_lshl_or_b32 v32, v17, 16, v16
	s_cbranch_vccnz .LBB1076_199
; %bb.193:
	v_mov_b64_e32 v[18:19], s[28:29]
	v_mad_u64_u32 v[16:17], s[6:7], v12, s26, v[18:19]
	v_mul_lo_u32 v20, v12, s27
	v_mul_lo_u32 v21, v13, s26
	v_add3_u32 v17, v21, v17, v20
	v_mad_u64_u32 v[18:19], s[6:7], v6, s26, v[18:19]
	v_mul_lo_u32 v20, v6, s27
	v_mul_lo_u32 v21, v7, s26
	v_add3_u32 v19, v21, v19, v20
	global_load_ubyte v20, v[16:17], off
	global_load_ubyte v21, v[18:19], off
	s_waitcnt vmcnt(1)
	v_cmp_ne_u16_e32 vcc, 0, v20
	s_waitcnt vmcnt(0)
	v_cmp_ne_u16_e64 s[6:7], 0, v21
	s_xor_b64 s[8:9], vcc, s[6:7]
	s_mov_b64 s[6:7], -1
	s_xor_b64 s[8:9], s[8:9], -1
	s_and_saveexec_b64 s[18:19], s[8:9]
	s_cbranch_execz .LBB1076_201
; %bb.194:
	s_mov_b64 s[40:41], 1
	s_mov_b64 s[36:37], 0
                                        ; implicit-def: $sgpr38_sgpr39
	s_branch .LBB1076_197
.LBB1076_195:                           ;   in Loop: Header=BB1076_197 Depth=1
	v_lshl_add_u64 v[20:21], v[16:17], 0, s[40:41]
	v_lshl_add_u64 v[22:23], v[18:19], 0, s[40:41]
	global_load_ubyte v33, v[20:21], off
	global_load_ubyte v34, v[22:23], off
	s_waitcnt vmcnt(1)
	v_cmp_ne_u16_e64 s[6:7], 0, v33
	s_waitcnt vmcnt(0)
	v_cmp_ne_u16_e64 s[8:9], 0, v34
	s_xor_b64 s[8:9], s[6:7], s[8:9]
	s_add_u32 s6, s40, 1
	s_addc_u32 s7, s41, 0
	s_andn2_b64 s[38:39], s[38:39], exec
	s_and_b64 s[8:9], s[8:9], exec
	s_or_b64 s[38:39], s[38:39], s[8:9]
.LBB1076_196:                           ;   in Loop: Header=BB1076_197 Depth=1
	s_and_b64 s[8:9], exec, s[38:39]
	s_or_b64 s[36:37], s[8:9], s[36:37]
	v_mov_b64_e32 v[20:21], s[40:41]
	s_mov_b64 s[40:41], s[6:7]
	s_andn2_b64 exec, exec, s[36:37]
	s_cbranch_execz .LBB1076_200
.LBB1076_197:                           ; =>This Inner Loop Header: Depth=1
	s_or_b64 s[38:39], s[38:39], exec
	s_cmp_eq_u64 s[26:27], s[40:41]
	s_cbranch_scc0 .LBB1076_195
; %bb.198:                              ;   in Loop: Header=BB1076_197 Depth=1
                                        ; implicit-def: $sgpr6_sgpr7
	s_mov_b64 s[40:41], s[26:27]
	s_branch .LBB1076_196
.LBB1076_199:
                                        ; implicit-def: $sgpr6_sgpr7
                                        ; implicit-def: $vgpr18_vgpr19
	s_cbranch_execnz .LBB1076_209
	s_branch .LBB1076_210
.LBB1076_200:
	s_or_b64 exec, exec, s[36:37]
	v_cmp_gt_i64_e64 s[6:7], s[26:27], v[20:21]
	s_orn2_b64 s[6:7], s[6:7], exec
.LBB1076_201:
	s_or_b64 exec, exec, s[18:19]
	v_mov_b64_e32 v[18:19], s[28:29]
	v_mad_u64_u32 v[20:21], s[8:9], v10, s26, v[18:19]
	v_mul_lo_u32 v18, v10, s27
	v_mul_lo_u32 v19, v11, s26
	v_add3_u32 v21, v19, v21, v18
	global_load_ubyte v22, v[20:21], off
	v_mov_b32_e32 v19, 8
	v_lshrrev_b32_e32 v33, 24, v25
	v_lshrrev_b32_sdwa v34, v19, v32 dst_sel:BYTE_1 dst_unused:UNUSED_PAD src0_sel:DWORD src1_sel:DWORD
	v_cndmask_b32_e64 v18, 0, 1, s[6:7]
	v_lshrrev_b32_sdwa v19, v19, v25 dst_sel:BYTE_1 dst_unused:UNUSED_PAD src0_sel:DWORD src1_sel:DWORD
	v_lshlrev_b16_e32 v33, 8, v33
	v_or_b32_sdwa v34, v32, v34 dst_sel:DWORD dst_unused:UNUSED_PAD src0_sel:BYTE_0 src1_sel:DWORD
	v_bfe_u32 v23, v32, 16, 8
	v_or_b32_sdwa v19, v25, v19 dst_sel:DWORD dst_unused:UNUSED_PAD src0_sel:BYTE_0 src1_sel:DWORD
	v_or_b32_sdwa v18, v18, v33 dst_sel:WORD_1 dst_unused:UNUSED_PAD src0_sel:DWORD src1_sel:DWORD
	v_and_b32_e32 v33, 0xffff, v34
	v_or_b32_sdwa v18, v19, v18 dst_sel:DWORD dst_unused:UNUSED_PAD src0_sel:WORD_0 src1_sel:DWORD
	v_lshl_or_b32 v19, v23, 16, v33
	s_waitcnt vmcnt(0)
	v_cmp_ne_u16_e64 s[6:7], 0, v22
	s_xor_b64 s[8:9], vcc, s[6:7]
	s_mov_b64 s[6:7], -1
	s_xor_b64 s[18:19], s[8:9], -1
	s_and_saveexec_b64 s[8:9], s[18:19]
	s_cbranch_execz .LBB1076_208
; %bb.202:
	s_mov_b64 s[38:39], 1
	s_mov_b64 s[18:19], 0
                                        ; implicit-def: $sgpr36_sgpr37
	s_branch .LBB1076_205
.LBB1076_203:                           ;   in Loop: Header=BB1076_205 Depth=1
	v_lshl_add_u64 v[22:23], v[20:21], 0, s[38:39]
	v_lshl_add_u64 v[34:35], v[16:17], 0, s[38:39]
	global_load_ubyte v33, v[22:23], off
	global_load_ubyte v36, v[34:35], off
	s_waitcnt vmcnt(1)
	v_cmp_ne_u16_e32 vcc, 0, v33
	s_waitcnt vmcnt(0)
	v_cmp_ne_u16_e64 s[6:7], 0, v36
	s_xor_b64 s[40:41], vcc, s[6:7]
	s_add_u32 s6, s38, 1
	s_addc_u32 s7, s39, 0
	s_andn2_b64 s[36:37], s[36:37], exec
	s_and_b64 s[40:41], s[40:41], exec
	s_or_b64 s[36:37], s[36:37], s[40:41]
.LBB1076_204:                           ;   in Loop: Header=BB1076_205 Depth=1
	s_and_b64 s[40:41], exec, s[36:37]
	s_or_b64 s[18:19], s[40:41], s[18:19]
	v_mov_b64_e32 v[22:23], s[38:39]
	s_mov_b64 s[38:39], s[6:7]
	s_andn2_b64 exec, exec, s[18:19]
	s_cbranch_execz .LBB1076_207
.LBB1076_205:                           ; =>This Inner Loop Header: Depth=1
	s_or_b64 s[36:37], s[36:37], exec
	s_cmp_eq_u64 s[26:27], s[38:39]
	s_cbranch_scc0 .LBB1076_203
; %bb.206:                              ;   in Loop: Header=BB1076_205 Depth=1
                                        ; implicit-def: $sgpr6_sgpr7
	s_mov_b64 s[38:39], s[26:27]
	s_branch .LBB1076_204
.LBB1076_207:
	s_or_b64 exec, exec, s[18:19]
	v_cmp_gt_i64_e32 vcc, s[26:27], v[22:23]
	s_orn2_b64 s[6:7], vcc, exec
.LBB1076_208:
	s_or_b64 exec, exec, s[8:9]
	s_branch .LBB1076_210
.LBB1076_209:
	v_mov_b32_e32 v16, 8
	v_lshrrev_b32_sdwa v17, v16, v32 dst_sel:BYTE_1 dst_unused:UNUSED_PAD src0_sel:DWORD src1_sel:DWORD
	v_lshrrev_b32_sdwa v16, v16, v25 dst_sel:BYTE_1 dst_unused:UNUSED_PAD src0_sel:DWORD src1_sel:DWORD
	v_or_b32_sdwa v17, v32, v17 dst_sel:DWORD dst_unused:UNUSED_PAD src0_sel:BYTE_0 src1_sel:DWORD
	v_or_b32_sdwa v16, v25, v16 dst_sel:DWORD dst_unused:UNUSED_PAD src0_sel:BYTE_0 src1_sel:DWORD
	v_and_b32_e32 v17, 0xffff, v17
	v_bfe_u32 v18, v32, 16, 8
	v_and_b32_e32 v16, 0xffff, v16
	s_mov_b32 s8, 0xff000000
	v_lshl_or_b32 v19, v18, 16, v17
	v_and_or_b32 v18, v25, s8, v16
	s_andn2_b64 s[6:7], s[6:7], exec
.LBB1076_210:
	v_mov_b32_e32 v17, 8
	v_lshrrev_b32_sdwa v17, v17, v19 dst_sel:BYTE_1 dst_unused:UNUSED_PAD src0_sel:DWORD src1_sel:DWORD
	v_cndmask_b32_e64 v16, 0, 1, s[6:7]
	v_or_b32_sdwa v17, v19, v17 dst_sel:DWORD dst_unused:UNUSED_PAD src0_sel:BYTE_0 src1_sel:DWORD
	v_and_b32_e32 v17, 0xffff, v17
	v_bfe_u32 v19, v19, 16, 8
	s_movk_i32 s6, 0xff
	v_lshl_or_b32 v17, v19, 16, v17
	v_lshrrev_b32_e32 v19, 24, v18
	v_lshlrev_b16_e32 v19, 8, v19
	v_and_b32_sdwa v18, v18, s6 dst_sel:DWORD dst_unused:UNUSED_PAD src0_sel:WORD_1 src1_sel:DWORD
	v_lshlrev_b16_e32 v16, 8, v16
	v_or_b32_sdwa v18, v18, v19 dst_sel:WORD_1 dst_unused:UNUSED_PAD src0_sel:DWORD src1_sel:DWORD
	v_or_b32_e32 v16, 1, v16
	v_or_b32_sdwa v16, v16, v18 dst_sel:DWORD dst_unused:UNUSED_PAD src0_sel:WORD_0 src1_sel:DWORD
	v_cmp_ne_u32_e32 vcc, 0, v0
	s_waitcnt lgkmcnt(0)
	s_barrier
	s_waitcnt lgkmcnt(0)
                                        ; implicit-def: $sgpr36_sgpr37
                                        ; implicit-def: $vgpr32
                                        ; implicit-def: $vgpr18
                                        ; implicit-def: $vgpr19
                                        ; implicit-def: $vgpr20
	s_and_saveexec_b64 s[6:7], vcc
	s_xor_b64 s[6:7], exec, s[6:7]
	s_cbranch_execz .LBB1076_221
; %bb.211:
	s_mov_b32 s33, 0x3020104
	s_and_b64 vcc, exec, s[4:5]
	s_mov_b64 s[4:5], 0
	s_cbranch_vccnz .LBB1076_220
; %bb.212:
	v_add_u32_e32 v18, -8, v24
	ds_read_b64 v[18:19], v18
	v_mov_b64_e32 v[20:21], s[28:29]
	s_waitcnt lgkmcnt(0)
	v_mul_lo_u32 v22, v18, s27
	v_mul_lo_u32 v23, v19, s26
	v_mad_u64_u32 v[18:19], s[4:5], v18, s26, v[20:21]
	v_add3_u32 v19, v23, v19, v22
	v_mad_u64_u32 v[20:21], s[4:5], v10, s26, v[20:21]
	v_mul_lo_u32 v22, v10, s27
	v_mul_lo_u32 v23, v11, s26
	v_add3_u32 v21, v23, v21, v22
	global_load_ubyte v22, v[18:19], off
	global_load_ubyte v23, v[20:21], off
	s_waitcnt vmcnt(1)
	v_cmp_ne_u16_e32 vcc, 0, v22
	s_waitcnt vmcnt(0)
	v_cmp_ne_u16_e64 s[4:5], 0, v23
	s_xor_b64 s[8:9], vcc, s[4:5]
	s_mov_b64 s[4:5], -1
	s_xor_b64 s[18:19], s[8:9], -1
	s_and_saveexec_b64 s[8:9], s[18:19]
	s_cbranch_execz .LBB1076_219
; %bb.213:
	s_mov_b64 s[38:39], 1
	s_mov_b64 s[18:19], 0
                                        ; implicit-def: $sgpr36_sgpr37
	s_branch .LBB1076_216
.LBB1076_214:                           ;   in Loop: Header=BB1076_216 Depth=1
	v_lshl_add_u64 v[22:23], v[18:19], 0, s[38:39]
	v_lshl_add_u64 v[32:33], v[20:21], 0, s[38:39]
	global_load_ubyte v25, v[22:23], off
	global_load_ubyte v34, v[32:33], off
	s_waitcnt vmcnt(1)
	v_cmp_ne_u16_e32 vcc, 0, v25
	s_waitcnt vmcnt(0)
	v_cmp_ne_u16_e64 s[4:5], 0, v34
	s_xor_b64 s[40:41], vcc, s[4:5]
	s_add_u32 s4, s38, 1
	s_addc_u32 s5, s39, 0
	s_andn2_b64 s[36:37], s[36:37], exec
	s_and_b64 s[40:41], s[40:41], exec
	s_or_b64 s[36:37], s[36:37], s[40:41]
.LBB1076_215:                           ;   in Loop: Header=BB1076_216 Depth=1
	s_and_b64 s[40:41], exec, s[36:37]
	s_or_b64 s[18:19], s[40:41], s[18:19]
	v_mov_b64_e32 v[22:23], s[38:39]
	s_mov_b64 s[38:39], s[4:5]
	s_andn2_b64 exec, exec, s[18:19]
	s_cbranch_execz .LBB1076_218
.LBB1076_216:                           ; =>This Inner Loop Header: Depth=1
	s_or_b64 s[36:37], s[36:37], exec
	s_cmp_eq_u64 s[26:27], s[38:39]
	s_cbranch_scc0 .LBB1076_214
; %bb.217:                              ;   in Loop: Header=BB1076_216 Depth=1
                                        ; implicit-def: $sgpr4_sgpr5
	s_mov_b64 s[38:39], s[26:27]
	s_branch .LBB1076_215
.LBB1076_218:
	s_or_b64 exec, exec, s[18:19]
	v_cmp_gt_i64_e32 vcc, s[26:27], v[22:23]
	s_orn2_b64 s[4:5], vcc, exec
.LBB1076_219:
	s_or_b64 exec, exec, s[8:9]
.LBB1076_220:
	v_perm_b32 v20, v16, v16, s33
	v_lshrrev_b32_e32 v18, 8, v17
	v_lshrrev_b32_e32 v32, 16, v17
	s_and_b64 s[36:37], s[4:5], exec
	s_or_b64 s[12:13], s[12:13], exec
	v_mov_b32_e32 v19, v17
                                        ; implicit-def: $vgpr16_vgpr17
.LBB1076_221:
	s_or_b64 exec, exec, s[6:7]
	s_branch .LBB1076_288
.LBB1076_222:
	v_cmp_gt_u32_e32 vcc, s3, v29
	s_xor_b64 s[6:7], s[14:15], -1
	s_mov_b64 s[36:37], -1
	s_and_b64 s[4:5], vcc, s[6:7]
	s_mov_b64 s[14:15], 0
	v_mul_lo_u32 v25, v4, s27
	v_mul_lo_u32 v32, v5, s26
	s_mov_b64 s[8:9], 0
	s_and_saveexec_b64 s[18:19], s[4:5]
	s_cbranch_execz .LBB1076_231
; %bb.223:
	v_mov_b64_e32 v[18:19], s[28:29]
	v_mad_u64_u32 v[16:17], s[4:5], v4, s26, v[18:19]
	v_add3_u32 v17, v32, v17, v25
	v_mad_u64_u32 v[18:19], s[4:5], v14, s26, v[18:19]
	v_mul_lo_u32 v20, v14, s27
	v_mul_lo_u32 v21, v15, s26
	v_add3_u32 v19, v21, v19, v20
	global_load_ubyte v20, v[16:17], off
	global_load_ubyte v21, v[18:19], off
	s_waitcnt vmcnt(1)
	v_cmp_ne_u16_e32 vcc, 0, v20
	s_waitcnt vmcnt(0)
	v_cmp_ne_u16_e64 s[4:5], 0, v21
	s_xor_b64 s[4:5], vcc, s[4:5]
	s_xor_b64 s[4:5], s[4:5], -1
	s_and_saveexec_b64 s[8:9], s[4:5]
	s_cbranch_execz .LBB1076_230
; %bb.224:
	s_mov_b64 s[40:41], 1
	s_mov_b64 s[36:37], 0
                                        ; implicit-def: $sgpr38_sgpr39
	s_branch .LBB1076_227
.LBB1076_225:                           ;   in Loop: Header=BB1076_227 Depth=1
	v_lshl_add_u64 v[20:21], v[16:17], 0, s[40:41]
	v_lshl_add_u64 v[22:23], v[18:19], 0, s[40:41]
	global_load_ubyte v33, v[20:21], off
	global_load_ubyte v34, v[22:23], off
	s_waitcnt vmcnt(1)
	v_cmp_ne_u16_e32 vcc, 0, v33
	s_waitcnt vmcnt(0)
	v_cmp_ne_u16_e64 s[4:5], 0, v34
	s_xor_b64 s[42:43], vcc, s[4:5]
	s_add_u32 s4, s40, 1
	s_addc_u32 s5, s41, 0
	s_andn2_b64 s[38:39], s[38:39], exec
	s_and_b64 s[42:43], s[42:43], exec
	s_or_b64 s[38:39], s[38:39], s[42:43]
.LBB1076_226:                           ;   in Loop: Header=BB1076_227 Depth=1
	s_and_b64 s[42:43], exec, s[38:39]
	s_or_b64 s[36:37], s[42:43], s[36:37]
	v_mov_b64_e32 v[20:21], s[40:41]
	s_mov_b64 s[40:41], s[4:5]
	s_andn2_b64 exec, exec, s[36:37]
	s_cbranch_execz .LBB1076_229
.LBB1076_227:                           ; =>This Inner Loop Header: Depth=1
	s_or_b64 s[38:39], s[38:39], exec
	s_cmp_eq_u64 s[26:27], s[40:41]
	s_cbranch_scc0 .LBB1076_225
; %bb.228:                              ;   in Loop: Header=BB1076_227 Depth=1
                                        ; implicit-def: $sgpr4_sgpr5
	s_mov_b64 s[40:41], s[26:27]
	s_branch .LBB1076_226
.LBB1076_229:
	s_or_b64 exec, exec, s[36:37]
	v_cmp_gt_i64_e32 vcc, s[26:27], v[20:21]
	s_orn2_b64 s[36:37], vcc, exec
.LBB1076_230:
	s_or_b64 exec, exec, s[8:9]
	s_and_b64 s[8:9], s[36:37], exec
.LBB1076_231:
	s_or_b64 exec, exec, s[18:19]
	v_cmp_gt_u32_e32 vcc, s3, v31
	s_and_b64 s[4:5], vcc, s[6:7]
	v_mul_lo_u32 v22, v2, s27
	v_mul_lo_u32 v23, v3, s26
	s_and_saveexec_b64 s[18:19], s[4:5]
	s_cbranch_execz .LBB1076_240
; %bb.232:
	v_mov_b64_e32 v[18:19], s[28:29]
	v_mad_u64_u32 v[16:17], s[4:5], v2, s26, v[18:19]
	v_add3_u32 v17, v23, v17, v22
	v_mad_u64_u32 v[18:19], s[4:5], v4, s26, v[18:19]
	v_add3_u32 v19, v32, v19, v25
	global_load_ubyte v20, v[16:17], off
	global_load_ubyte v21, v[18:19], off
	s_waitcnt vmcnt(1)
	v_cmp_ne_u16_e32 vcc, 0, v20
	s_waitcnt vmcnt(0)
	v_cmp_ne_u16_e64 s[4:5], 0, v21
	s_xor_b64 s[14:15], vcc, s[4:5]
	s_mov_b64 s[4:5], -1
	s_xor_b64 s[36:37], s[14:15], -1
	s_and_saveexec_b64 s[14:15], s[36:37]
	s_cbranch_execz .LBB1076_239
; %bb.233:
	s_mov_b64 s[40:41], 1
	s_mov_b64 s[36:37], 0
                                        ; implicit-def: $sgpr38_sgpr39
	s_branch .LBB1076_236
.LBB1076_234:                           ;   in Loop: Header=BB1076_236 Depth=1
	v_lshl_add_u64 v[20:21], v[16:17], 0, s[40:41]
	v_lshl_add_u64 v[32:33], v[18:19], 0, s[40:41]
	global_load_ubyte v25, v[20:21], off
	global_load_ubyte v34, v[32:33], off
	s_waitcnt vmcnt(1)
	v_cmp_ne_u16_e32 vcc, 0, v25
	s_waitcnt vmcnt(0)
	v_cmp_ne_u16_e64 s[4:5], 0, v34
	s_xor_b64 s[42:43], vcc, s[4:5]
	s_add_u32 s4, s40, 1
	s_addc_u32 s5, s41, 0
	s_andn2_b64 s[38:39], s[38:39], exec
	s_and_b64 s[42:43], s[42:43], exec
	s_or_b64 s[38:39], s[38:39], s[42:43]
.LBB1076_235:                           ;   in Loop: Header=BB1076_236 Depth=1
	s_and_b64 s[42:43], exec, s[38:39]
	s_or_b64 s[36:37], s[42:43], s[36:37]
	v_mov_b64_e32 v[20:21], s[40:41]
	s_mov_b64 s[40:41], s[4:5]
	s_andn2_b64 exec, exec, s[36:37]
	s_cbranch_execz .LBB1076_238
.LBB1076_236:                           ; =>This Inner Loop Header: Depth=1
	s_or_b64 s[38:39], s[38:39], exec
	s_cmp_eq_u64 s[26:27], s[40:41]
	s_cbranch_scc0 .LBB1076_234
; %bb.237:                              ;   in Loop: Header=BB1076_236 Depth=1
                                        ; implicit-def: $sgpr4_sgpr5
	s_mov_b64 s[40:41], s[26:27]
	s_branch .LBB1076_235
.LBB1076_238:
	s_or_b64 exec, exec, s[36:37]
	v_cmp_gt_i64_e32 vcc, s[26:27], v[20:21]
	s_orn2_b64 s[4:5], vcc, exec
.LBB1076_239:
	s_or_b64 exec, exec, s[14:15]
	s_and_b64 s[14:15], s[4:5], exec
.LBB1076_240:
	s_or_b64 exec, exec, s[18:19]
	v_cmp_gt_u32_e32 vcc, s3, v28
	s_mov_b64 s[40:41], -1
	s_and_b64 s[4:5], vcc, s[6:7]
	s_mov_b64 s[18:19], 0
	v_mul_lo_u32 v25, v8, s27
	v_mul_lo_u32 v32, v9, s26
	s_mov_b64 s[36:37], 0
	s_and_saveexec_b64 s[38:39], s[4:5]
	s_cbranch_execz .LBB1076_249
; %bb.241:
	v_mov_b64_e32 v[18:19], s[28:29]
	v_mad_u64_u32 v[16:17], s[4:5], v8, s26, v[18:19]
	v_add3_u32 v17, v32, v17, v25
	v_mad_u64_u32 v[18:19], s[4:5], v2, s26, v[18:19]
	v_add3_u32 v19, v23, v19, v22
	global_load_ubyte v20, v[16:17], off
	global_load_ubyte v21, v[18:19], off
	s_waitcnt vmcnt(1)
	v_cmp_ne_u16_e32 vcc, 0, v20
	s_waitcnt vmcnt(0)
	v_cmp_ne_u16_e64 s[4:5], 0, v21
	s_xor_b64 s[4:5], vcc, s[4:5]
	s_xor_b64 s[4:5], s[4:5], -1
	s_and_saveexec_b64 s[36:37], s[4:5]
	s_cbranch_execz .LBB1076_248
; %bb.242:
	s_mov_b64 s[44:45], 1
	s_mov_b64 s[40:41], 0
                                        ; implicit-def: $sgpr42_sgpr43
	s_branch .LBB1076_245
.LBB1076_243:                           ;   in Loop: Header=BB1076_245 Depth=1
	v_lshl_add_u64 v[20:21], v[16:17], 0, s[44:45]
	v_lshl_add_u64 v[22:23], v[18:19], 0, s[44:45]
	global_load_ubyte v33, v[20:21], off
	global_load_ubyte v34, v[22:23], off
	s_waitcnt vmcnt(1)
	v_cmp_ne_u16_e32 vcc, 0, v33
	s_waitcnt vmcnt(0)
	v_cmp_ne_u16_e64 s[4:5], 0, v34
	s_xor_b64 s[46:47], vcc, s[4:5]
	s_add_u32 s4, s44, 1
	s_addc_u32 s5, s45, 0
	s_andn2_b64 s[42:43], s[42:43], exec
	s_and_b64 s[46:47], s[46:47], exec
	s_or_b64 s[42:43], s[42:43], s[46:47]
.LBB1076_244:                           ;   in Loop: Header=BB1076_245 Depth=1
	s_and_b64 s[46:47], exec, s[42:43]
	s_or_b64 s[40:41], s[46:47], s[40:41]
	v_mov_b64_e32 v[20:21], s[44:45]
	s_mov_b64 s[44:45], s[4:5]
	s_andn2_b64 exec, exec, s[40:41]
	s_cbranch_execz .LBB1076_247
.LBB1076_245:                           ; =>This Inner Loop Header: Depth=1
	s_or_b64 s[42:43], s[42:43], exec
	s_cmp_eq_u64 s[26:27], s[44:45]
	s_cbranch_scc0 .LBB1076_243
; %bb.246:                              ;   in Loop: Header=BB1076_245 Depth=1
                                        ; implicit-def: $sgpr4_sgpr5
	s_mov_b64 s[44:45], s[26:27]
	s_branch .LBB1076_244
.LBB1076_247:
	s_or_b64 exec, exec, s[40:41]
	v_cmp_gt_i64_e32 vcc, s[26:27], v[20:21]
	s_orn2_b64 s[40:41], vcc, exec
.LBB1076_248:
	s_or_b64 exec, exec, s[36:37]
	s_and_b64 s[36:37], s[40:41], exec
.LBB1076_249:
	s_or_b64 exec, exec, s[38:39]
	v_cmp_gt_u32_e32 vcc, s3, v30
	s_and_b64 s[4:5], vcc, s[6:7]
	v_mul_lo_u32 v22, v6, s27
	v_mul_lo_u32 v23, v7, s26
	s_and_saveexec_b64 s[38:39], s[4:5]
	s_cbranch_execz .LBB1076_258
; %bb.250:
	v_mov_b64_e32 v[18:19], s[28:29]
	v_mad_u64_u32 v[16:17], s[4:5], v6, s26, v[18:19]
	v_add3_u32 v17, v23, v17, v22
	v_mad_u64_u32 v[18:19], s[4:5], v8, s26, v[18:19]
	v_add3_u32 v19, v32, v19, v25
	global_load_ubyte v20, v[16:17], off
	global_load_ubyte v21, v[18:19], off
	s_waitcnt vmcnt(1)
	v_cmp_ne_u16_e32 vcc, 0, v20
	s_waitcnt vmcnt(0)
	v_cmp_ne_u16_e64 s[4:5], 0, v21
	s_xor_b64 s[18:19], vcc, s[4:5]
	s_mov_b64 s[4:5], -1
	s_xor_b64 s[40:41], s[18:19], -1
	s_and_saveexec_b64 s[18:19], s[40:41]
	s_cbranch_execz .LBB1076_257
; %bb.251:
	s_mov_b64 s[44:45], 1
	s_mov_b64 s[40:41], 0
                                        ; implicit-def: $sgpr42_sgpr43
	s_branch .LBB1076_254
.LBB1076_252:                           ;   in Loop: Header=BB1076_254 Depth=1
	v_lshl_add_u64 v[20:21], v[16:17], 0, s[44:45]
	v_lshl_add_u64 v[32:33], v[18:19], 0, s[44:45]
	global_load_ubyte v25, v[20:21], off
	global_load_ubyte v34, v[32:33], off
	s_waitcnt vmcnt(1)
	v_cmp_ne_u16_e32 vcc, 0, v25
	s_waitcnt vmcnt(0)
	v_cmp_ne_u16_e64 s[4:5], 0, v34
	s_xor_b64 s[46:47], vcc, s[4:5]
	s_add_u32 s4, s44, 1
	s_addc_u32 s5, s45, 0
	s_andn2_b64 s[42:43], s[42:43], exec
	s_and_b64 s[46:47], s[46:47], exec
	s_or_b64 s[42:43], s[42:43], s[46:47]
.LBB1076_253:                           ;   in Loop: Header=BB1076_254 Depth=1
	s_and_b64 s[46:47], exec, s[42:43]
	s_or_b64 s[40:41], s[46:47], s[40:41]
	v_mov_b64_e32 v[20:21], s[44:45]
	s_mov_b64 s[44:45], s[4:5]
	s_andn2_b64 exec, exec, s[40:41]
	s_cbranch_execz .LBB1076_256
.LBB1076_254:                           ; =>This Inner Loop Header: Depth=1
	s_or_b64 s[42:43], s[42:43], exec
	s_cmp_eq_u64 s[26:27], s[44:45]
	s_cbranch_scc0 .LBB1076_252
; %bb.255:                              ;   in Loop: Header=BB1076_254 Depth=1
                                        ; implicit-def: $sgpr4_sgpr5
	s_mov_b64 s[44:45], s[26:27]
	s_branch .LBB1076_253
.LBB1076_256:
	s_or_b64 exec, exec, s[40:41]
	v_cmp_gt_i64_e32 vcc, s[26:27], v[20:21]
	s_orn2_b64 s[4:5], vcc, exec
.LBB1076_257:
	s_or_b64 exec, exec, s[18:19]
	s_and_b64 s[18:19], s[4:5], exec
.LBB1076_258:
	s_or_b64 exec, exec, s[38:39]
	v_cmp_gt_u32_e32 vcc, s3, v26
	s_mov_b64 s[44:45], -1
	s_and_b64 s[4:5], vcc, s[6:7]
	s_mov_b64 s[38:39], 0
	v_mul_lo_u32 v25, v12, s27
	v_mul_lo_u32 v32, v13, s26
	s_mov_b64 s[40:41], 0
	s_and_saveexec_b64 s[42:43], s[4:5]
	s_cbranch_execz .LBB1076_267
; %bb.259:
	v_mov_b64_e32 v[18:19], s[28:29]
	v_mad_u64_u32 v[16:17], s[4:5], v12, s26, v[18:19]
	v_add3_u32 v17, v32, v17, v25
	v_mad_u64_u32 v[18:19], s[4:5], v6, s26, v[18:19]
	v_add3_u32 v19, v23, v19, v22
	global_load_ubyte v20, v[16:17], off
	global_load_ubyte v21, v[18:19], off
	s_waitcnt vmcnt(1)
	v_cmp_ne_u16_e32 vcc, 0, v20
	s_waitcnt vmcnt(0)
	v_cmp_ne_u16_e64 s[4:5], 0, v21
	s_xor_b64 s[4:5], vcc, s[4:5]
	s_xor_b64 s[4:5], s[4:5], -1
	s_and_saveexec_b64 s[40:41], s[4:5]
	s_cbranch_execz .LBB1076_266
; %bb.260:
	s_mov_b64 s[48:49], 1
	s_mov_b64 s[44:45], 0
                                        ; implicit-def: $sgpr46_sgpr47
	s_branch .LBB1076_263
.LBB1076_261:                           ;   in Loop: Header=BB1076_263 Depth=1
	v_lshl_add_u64 v[20:21], v[16:17], 0, s[48:49]
	v_lshl_add_u64 v[22:23], v[18:19], 0, s[48:49]
	global_load_ubyte v33, v[20:21], off
	global_load_ubyte v34, v[22:23], off
	s_waitcnt vmcnt(1)
	v_cmp_ne_u16_e32 vcc, 0, v33
	s_waitcnt vmcnt(0)
	v_cmp_ne_u16_e64 s[4:5], 0, v34
	s_xor_b64 s[50:51], vcc, s[4:5]
	s_add_u32 s4, s48, 1
	s_addc_u32 s5, s49, 0
	s_andn2_b64 s[46:47], s[46:47], exec
	s_and_b64 s[50:51], s[50:51], exec
	s_or_b64 s[46:47], s[46:47], s[50:51]
.LBB1076_262:                           ;   in Loop: Header=BB1076_263 Depth=1
	s_and_b64 s[50:51], exec, s[46:47]
	s_or_b64 s[44:45], s[50:51], s[44:45]
	v_mov_b64_e32 v[20:21], s[48:49]
	s_mov_b64 s[48:49], s[4:5]
	s_andn2_b64 exec, exec, s[44:45]
	s_cbranch_execz .LBB1076_265
.LBB1076_263:                           ; =>This Inner Loop Header: Depth=1
	s_or_b64 s[46:47], s[46:47], exec
	s_cmp_eq_u64 s[26:27], s[48:49]
	s_cbranch_scc0 .LBB1076_261
; %bb.264:                              ;   in Loop: Header=BB1076_263 Depth=1
                                        ; implicit-def: $sgpr4_sgpr5
	s_mov_b64 s[48:49], s[26:27]
	s_branch .LBB1076_262
.LBB1076_265:
	s_or_b64 exec, exec, s[44:45]
	v_cmp_gt_i64_e32 vcc, s[26:27], v[20:21]
	s_orn2_b64 s[44:45], vcc, exec
.LBB1076_266:
	s_or_b64 exec, exec, s[40:41]
	s_and_b64 s[40:41], s[44:45], exec
.LBB1076_267:
	s_or_b64 exec, exec, s[42:43]
	v_cmp_gt_u32_e32 vcc, s3, v27
	s_and_b64 s[4:5], vcc, s[6:7]
	s_and_saveexec_b64 s[42:43], s[4:5]
	s_cbranch_execz .LBB1076_276
; %bb.268:
	v_mov_b64_e32 v[18:19], s[28:29]
	v_mad_u64_u32 v[16:17], s[4:5], v10, s26, v[18:19]
	v_mul_lo_u32 v20, v10, s27
	v_mul_lo_u32 v21, v11, s26
	v_add3_u32 v17, v21, v17, v20
	v_mad_u64_u32 v[18:19], s[4:5], v12, s26, v[18:19]
	v_add3_u32 v19, v32, v19, v25
	global_load_ubyte v20, v[16:17], off
	global_load_ubyte v21, v[18:19], off
	s_waitcnt vmcnt(1)
	v_cmp_ne_u16_e32 vcc, 0, v20
	s_waitcnt vmcnt(0)
	v_cmp_ne_u16_e64 s[4:5], 0, v21
	s_xor_b64 s[38:39], vcc, s[4:5]
	s_mov_b64 s[4:5], -1
	s_xor_b64 s[44:45], s[38:39], -1
	s_and_saveexec_b64 s[38:39], s[44:45]
	s_cbranch_execz .LBB1076_275
; %bb.269:
	s_mov_b64 s[48:49], 1
	s_mov_b64 s[44:45], 0
                                        ; implicit-def: $sgpr46_sgpr47
	s_branch .LBB1076_272
.LBB1076_270:                           ;   in Loop: Header=BB1076_272 Depth=1
	v_lshl_add_u64 v[20:21], v[16:17], 0, s[48:49]
	v_lshl_add_u64 v[22:23], v[18:19], 0, s[48:49]
	global_load_ubyte v25, v[20:21], off
	global_load_ubyte v32, v[22:23], off
	s_waitcnt vmcnt(1)
	v_cmp_ne_u16_e32 vcc, 0, v25
	s_waitcnt vmcnt(0)
	v_cmp_ne_u16_e64 s[4:5], 0, v32
	s_xor_b64 s[50:51], vcc, s[4:5]
	s_add_u32 s4, s48, 1
	s_addc_u32 s5, s49, 0
	s_andn2_b64 s[46:47], s[46:47], exec
	s_and_b64 s[50:51], s[50:51], exec
	s_or_b64 s[46:47], s[46:47], s[50:51]
.LBB1076_271:                           ;   in Loop: Header=BB1076_272 Depth=1
	s_and_b64 s[50:51], exec, s[46:47]
	s_or_b64 s[44:45], s[50:51], s[44:45]
	v_mov_b64_e32 v[20:21], s[48:49]
	s_mov_b64 s[48:49], s[4:5]
	s_andn2_b64 exec, exec, s[44:45]
	s_cbranch_execz .LBB1076_274
.LBB1076_272:                           ; =>This Inner Loop Header: Depth=1
	s_or_b64 s[46:47], s[46:47], exec
	s_cmp_eq_u64 s[26:27], s[48:49]
	s_cbranch_scc0 .LBB1076_270
; %bb.273:                              ;   in Loop: Header=BB1076_272 Depth=1
                                        ; implicit-def: $sgpr4_sgpr5
	s_mov_b64 s[48:49], s[26:27]
	s_branch .LBB1076_271
.LBB1076_274:
	s_or_b64 exec, exec, s[44:45]
	v_cmp_gt_i64_e32 vcc, s[26:27], v[20:21]
	s_orn2_b64 s[4:5], vcc, exec
.LBB1076_275:
	s_or_b64 exec, exec, s[38:39]
	s_and_b64 s[38:39], s[4:5], exec
.LBB1076_276:
	s_or_b64 exec, exec, s[42:43]
	v_cndmask_b32_e64 v17, 0, 1, s[18:19]
	v_cndmask_b32_e64 v16, 0, 1, s[40:41]
	;; [unrolled: 1-line block ×3, first 2 shown]
	v_lshlrev_b16_e32 v17, 8, v17
	v_cndmask_b32_e64 v19, 0, 1, s[36:37]
	v_cndmask_b32_e64 v20, 0, 1, s[38:39]
	v_or_b32_sdwa v16, v16, v17 dst_sel:WORD_1 dst_unused:UNUSED_PAD src0_sel:DWORD src1_sel:DWORD
	v_lshlrev_b16_e32 v17, 8, v18
	v_lshlrev_b16_e32 v20, 8, v20
	v_or_b32_e32 v17, v19, v17
	v_or_b32_e32 v20, 1, v20
	v_and_b32_e32 v17, 0xffff, v17
	v_cndmask_b32_e64 v32, 0, 1, s[8:9]
	v_or_b32_sdwa v16, v20, v16 dst_sel:DWORD dst_unused:UNUSED_PAD src0_sel:WORD_0 src1_sel:DWORD
	v_lshl_or_b32 v17, v32, 16, v17
	v_cmp_ne_u32_e32 vcc, 0, v0
	s_waitcnt lgkmcnt(0)
	s_barrier
	s_waitcnt lgkmcnt(0)
                                        ; implicit-def: $sgpr36_sgpr37
                                        ; implicit-def: $vgpr20
	s_and_saveexec_b64 s[8:9], vcc
	s_cbranch_execz .LBB1076_287
; %bb.277:
	v_cmp_gt_u32_e32 vcc, s3, v1
	s_mov_b64 s[18:19], -1
	s_and_b64 s[14:15], vcc, s[6:7]
	s_mov_b32 s33, 0x3020104
	s_mov_b64 s[4:5], 0
	s_and_saveexec_b64 s[6:7], s[14:15]
	s_cbranch_execz .LBB1076_286
; %bb.278:
	v_add_u32_e32 v17, -8, v24
	ds_read_b64 v[20:21], v17
	v_mov_b64_e32 v[22:23], s[28:29]
	s_waitcnt lgkmcnt(0)
	v_mul_lo_u32 v17, v20, s27
	v_mul_lo_u32 v24, v21, s26
	v_mad_u64_u32 v[20:21], s[4:5], v20, s26, v[22:23]
	v_add3_u32 v21, v24, v21, v17
	v_mad_u64_u32 v[22:23], s[4:5], v10, s26, v[22:23]
	v_mul_lo_u32 v17, v10, s27
	v_mul_lo_u32 v24, v11, s26
	v_add3_u32 v23, v24, v23, v17
	global_load_ubyte v17, v[20:21], off
	global_load_ubyte v24, v[22:23], off
	s_waitcnt vmcnt(1)
	v_cmp_ne_u16_e32 vcc, 0, v17
	s_waitcnt vmcnt(0)
	v_cmp_ne_u16_e64 s[4:5], 0, v24
	s_xor_b64 s[4:5], vcc, s[4:5]
	s_xor_b64 s[4:5], s[4:5], -1
	s_and_saveexec_b64 s[14:15], s[4:5]
	s_cbranch_execz .LBB1076_285
; %bb.279:
	s_mov_b64 s[36:37], 1
	s_mov_b64 s[18:19], 0
                                        ; implicit-def: $sgpr28_sgpr29
	s_branch .LBB1076_282
.LBB1076_280:                           ;   in Loop: Header=BB1076_282 Depth=1
	v_lshl_add_u64 v[24:25], v[20:21], 0, s[36:37]
	v_lshl_add_u64 v[34:35], v[22:23], 0, s[36:37]
	global_load_ubyte v17, v[24:25], off
	global_load_ubyte v33, v[34:35], off
	s_waitcnt vmcnt(1)
	v_cmp_ne_u16_e32 vcc, 0, v17
	s_waitcnt vmcnt(0)
	v_cmp_ne_u16_e64 s[4:5], 0, v33
	s_xor_b64 s[38:39], vcc, s[4:5]
	s_add_u32 s4, s36, 1
	s_addc_u32 s5, s37, 0
	s_andn2_b64 s[28:29], s[28:29], exec
	s_and_b64 s[38:39], s[38:39], exec
	s_or_b64 s[28:29], s[28:29], s[38:39]
.LBB1076_281:                           ;   in Loop: Header=BB1076_282 Depth=1
	s_and_b64 s[38:39], exec, s[28:29]
	s_or_b64 s[18:19], s[38:39], s[18:19]
	v_mov_b64_e32 v[24:25], s[36:37]
	s_mov_b64 s[36:37], s[4:5]
	s_andn2_b64 exec, exec, s[18:19]
	s_cbranch_execz .LBB1076_284
.LBB1076_282:                           ; =>This Inner Loop Header: Depth=1
	s_or_b64 s[28:29], s[28:29], exec
	s_cmp_eq_u64 s[26:27], s[36:37]
	s_cbranch_scc0 .LBB1076_280
; %bb.283:                              ;   in Loop: Header=BB1076_282 Depth=1
                                        ; implicit-def: $sgpr4_sgpr5
	s_mov_b64 s[36:37], s[26:27]
	s_branch .LBB1076_281
.LBB1076_284:
	s_or_b64 exec, exec, s[18:19]
	v_cmp_gt_i64_e32 vcc, s[26:27], v[24:25]
	s_orn2_b64 s[18:19], vcc, exec
.LBB1076_285:
	s_or_b64 exec, exec, s[14:15]
	s_and_b64 s[4:5], s[18:19], exec
.LBB1076_286:
	s_or_b64 exec, exec, s[6:7]
	v_perm_b32 v20, v16, v16, s33
	s_and_b64 s[36:37], s[4:5], exec
	s_or_b64 s[12:13], s[12:13], exec
                                        ; implicit-def: $vgpr16_vgpr17
.LBB1076_287:
	s_or_b64 exec, exec, s[8:9]
.LBB1076_288:
	s_and_saveexec_b64 s[4:5], s[12:13]
	s_cbranch_execz .LBB1076_290
; %bb.289:
	v_lshlrev_b16_e32 v17, 8, v18
	v_and_b32_e32 v18, 0xff, v32
	v_or_b32_sdwa v17, v19, v17 dst_sel:DWORD dst_unused:UNUSED_PAD src0_sel:BYTE_0 src1_sel:DWORD
	v_lshlrev_b32_e32 v18, 16, v18
	s_movk_i32 s6, 0xff
	v_or_b32_sdwa v17, v17, v18 dst_sel:DWORD dst_unused:UNUSED_PAD src0_sel:WORD_0 src1_sel:DWORD
	v_lshrrev_b32_e32 v18, 24, v20
	v_lshlrev_b16_e32 v18, 8, v18
	v_and_b32_sdwa v19, v20, s6 dst_sel:DWORD dst_unused:UNUSED_PAD src0_sel:WORD_1 src1_sel:DWORD
	v_or_b32_sdwa v18, v19, v18 dst_sel:WORD_1 dst_unused:UNUSED_PAD src0_sel:DWORD src1_sel:DWORD
	v_mov_b32_e32 v19, 8
	v_cndmask_b32_e64 v16, 0, 1, s[36:37]
	v_lshrrev_b32_sdwa v19, v19, v20 dst_sel:BYTE_1 dst_unused:UNUSED_PAD src0_sel:DWORD src1_sel:DWORD
	s_nop 0
	v_or_b32_e32 v16, v16, v19
	v_or_b32_sdwa v16, v16, v18 dst_sel:DWORD dst_unused:UNUSED_PAD src0_sel:WORD_0 src1_sel:DWORD
.LBB1076_290:
	s_or_b64 exec, exec, s[4:5]
	s_andn2_b64 vcc, exec, s[10:11]
	s_cbranch_vccnz .LBB1076_292
; %bb.291:
	v_and_b32_e32 v18, 0xffff0000, v16
	v_cmp_gt_u32_e32 vcc, s3, v1
	s_mov_b32 s4, 0x40c0100
	s_nop 0
	v_cndmask_b32_e32 v1, v18, v16, vcc
	v_and_b32_e32 v1, 0xffff00ff, v1
	v_cmp_gt_u32_e32 vcc, s3, v27
	s_nop 1
	v_cndmask_b32_e32 v1, v1, v16, vcc
	v_lshrrev_b32_e32 v18, 24, v1
	v_perm_b32 v1, v18, v1, s4
	v_cmp_gt_u32_e32 vcc, s3, v26
	v_and_b32_e32 v18, 0xffffff00, v17
	s_nop 0
	v_cndmask_b32_e32 v1, v1, v16, vcc
	v_and_b32_e32 v1, 0xffffff, v1
	v_cmp_gt_u32_e32 vcc, s3, v30
	s_nop 1
	v_cndmask_b32_e32 v1, v1, v16, vcc
	v_cmp_gt_u32_e32 vcc, s3, v28
	s_nop 1
	v_cndmask_b32_e32 v18, v18, v17, vcc
	v_and_b32_e32 v18, 0xffff00ff, v18
	v_cndmask_b32_e32 v1, v1, v16, vcc
	v_cmp_gt_u32_e32 vcc, s3, v31
	s_nop 1
	v_cndmask_b32_e32 v18, v18, v17, vcc
	v_lshrrev_b32_e32 v19, 24, v18
	v_cndmask_b32_e32 v1, v1, v16, vcc
	v_perm_b32 v18, v19, v18, s4
	v_cmp_gt_u32_e32 vcc, s3, v29
	s_mov_b32 s3, 0x3020104
	s_nop 0
	v_cndmask_b32_e32 v1, v1, v16, vcc
	v_cndmask_b32_e32 v16, v18, v17, vcc
	v_mov_b32_e32 v17, 8
	v_lshrrev_b32_sdwa v17, v17, v16 dst_sel:BYTE_1 dst_unused:UNUSED_PAD src0_sel:DWORD src1_sel:DWORD
	s_nop 0
	v_or_b32_sdwa v17, v16, v17 dst_sel:DWORD dst_unused:UNUSED_PAD src0_sel:BYTE_0 src1_sel:DWORD
	v_and_b32_e32 v17, 0xffff, v17
	v_bfe_u32 v16, v16, 16, 8
	v_lshl_or_b32 v17, v16, 16, v17
	v_perm_b32 v16, v1, v1, s3
.LBB1076_292:
	v_and_b32_e32 v1, 0xff, v16
	v_bfe_u32 v29, v16, 8, 8
	v_bfe_u32 v31, v16, 16, 8
	v_alignbit_b32 v18, v17, v16, 24
	v_and_b32_e32 v33, 0xff, v18
	v_and_b32_e32 v35, 0xff, v17
	v_add3_u32 v19, v29, v1, v31
	v_bfe_u32 v36, v17, 8, 8
	v_bfe_u32 v18, v17, 16, 8
	v_add3_u32 v19, v19, v33, v35
	v_add3_u32 v39, v19, v36, v18
	v_mbcnt_lo_u32_b32 v18, -1, 0
	v_mbcnt_hi_u32_b32 v37, -1, v18
	v_and_b32_e32 v18, 15, v37
	v_cmp_eq_u32_e64 s[14:15], 0, v18
	v_cmp_lt_u32_e64 s[12:13], 1, v18
	v_cmp_lt_u32_e64 s[10:11], 3, v18
	v_cmp_lt_u32_e64 s[8:9], 7, v18
	v_and_b32_e32 v18, 16, v37
	v_cmp_eq_u32_e64 s[6:7], 0, v18
	v_or_b32_e32 v18, 63, v0
	v_cmp_lt_u32_e64 s[18:19], 31, v37
	v_lshrrev_b32_e32 v38, 6, v0
	v_cmp_eq_u32_e64 s[4:5], v18, v0
	s_and_b64 vcc, exec, s[16:17]
	s_waitcnt lgkmcnt(0)
	s_barrier
	s_cbranch_vccz .LBB1076_323
; %bb.293:
	v_mov_b32_dpp v18, v39 row_shr:1 row_mask:0xf bank_mask:0xf
	v_cndmask_b32_e64 v18, v18, 0, s[14:15]
	v_add_u32_e32 v18, v18, v39
	s_nop 1
	v_mov_b32_dpp v19, v18 row_shr:2 row_mask:0xf bank_mask:0xf
	v_cndmask_b32_e64 v19, 0, v19, s[12:13]
	v_add_u32_e32 v18, v18, v19
	s_nop 1
	;; [unrolled: 4-line block ×4, first 2 shown]
	v_mov_b32_dpp v19, v18 row_bcast:15 row_mask:0xf bank_mask:0xf
	v_cndmask_b32_e64 v19, v19, 0, s[6:7]
	v_add_u32_e32 v18, v18, v19
	s_nop 1
	v_mov_b32_dpp v19, v18 row_bcast:31 row_mask:0xf bank_mask:0xf
	v_cndmask_b32_e64 v19, 0, v19, s[18:19]
	v_add_u32_e32 v18, v18, v19
	s_and_saveexec_b64 s[16:17], s[4:5]
	s_cbranch_execz .LBB1076_295
; %bb.294:
	v_lshlrev_b32_e32 v19, 2, v38
	ds_write_b32 v19, v18
.LBB1076_295:
	s_or_b64 exec, exec, s[16:17]
	v_cmp_gt_u32_e32 vcc, 8, v0
	s_waitcnt lgkmcnt(0)
	s_barrier
	s_and_saveexec_b64 s[16:17], vcc
	s_cbranch_execz .LBB1076_297
; %bb.296:
	v_lshlrev_b32_e32 v19, 2, v0
	ds_read_b32 v20, v19
	v_and_b32_e32 v21, 7, v37
	v_cmp_ne_u32_e32 vcc, 0, v21
	s_waitcnt lgkmcnt(0)
	v_mov_b32_dpp v22, v20 row_shr:1 row_mask:0xf bank_mask:0xf
	v_cndmask_b32_e32 v22, 0, v22, vcc
	v_add_u32_e32 v20, v22, v20
	v_cmp_lt_u32_e32 vcc, 1, v21
	s_nop 0
	v_mov_b32_dpp v22, v20 row_shr:2 row_mask:0xf bank_mask:0xf
	v_cndmask_b32_e32 v22, 0, v22, vcc
	v_add_u32_e32 v20, v20, v22
	v_cmp_lt_u32_e32 vcc, 3, v21
	s_nop 0
	v_mov_b32_dpp v22, v20 row_shr:4 row_mask:0xf bank_mask:0xf
	v_cndmask_b32_e32 v21, 0, v22, vcc
	v_add_u32_e32 v20, v20, v21
	ds_write_b32 v19, v20
.LBB1076_297:
	s_or_b64 exec, exec, s[16:17]
	v_cmp_gt_u32_e32 vcc, 64, v0
	v_cmp_lt_u32_e64 s[16:17], 63, v0
	s_waitcnt lgkmcnt(0)
	s_barrier
	s_waitcnt lgkmcnt(0)
                                        ; implicit-def: $vgpr28
	s_and_saveexec_b64 s[26:27], s[16:17]
	s_cbranch_execz .LBB1076_299
; %bb.298:
	v_lshl_add_u32 v19, v38, 2, -4
	ds_read_b32 v28, v19
	s_waitcnt lgkmcnt(0)
	v_add_u32_e32 v18, v28, v18
.LBB1076_299:
	s_or_b64 exec, exec, s[26:27]
	v_add_u32_e32 v19, -1, v37
	v_and_b32_e32 v20, 64, v37
	v_cmp_lt_i32_e64 s[16:17], v19, v20
	s_nop 1
	v_cndmask_b32_e64 v19, v19, v37, s[16:17]
	v_lshlrev_b32_e32 v19, 2, v19
	ds_bpermute_b32 v30, v19, v18
	v_cmp_eq_u32_e64 s[16:17], 0, v37
	s_and_saveexec_b64 s[26:27], vcc
	s_cbranch_execz .LBB1076_322
; %bb.300:
	v_mov_b32_e32 v27, 0
	ds_read_b32 v18, v27 offset:28
	s_and_saveexec_b64 s[28:29], s[16:17]
	s_cbranch_execz .LBB1076_302
; %bb.301:
	s_add_i32 s36, s2, 64
	s_mov_b32 s37, 0
	s_lshl_b64 s[36:37], s[36:37], 3
	s_add_u32 s36, s30, s36
	v_mov_b32_e32 v19, 1
	s_addc_u32 s37, s31, s37
	s_waitcnt lgkmcnt(0)
	global_store_dwordx2 v27, v[18:19], s[36:37] sc1
.LBB1076_302:
	s_or_b64 exec, exec, s[28:29]
	v_xad_u32 v20, v37, -1, s2
	v_add_u32_e32 v26, 64, v20
	v_lshl_add_u64 v[22:23], v[26:27], 3, s[30:31]
	global_load_dwordx2 v[24:25], v[22:23], off sc1
	s_waitcnt vmcnt(0)
	v_cmp_eq_u16_sdwa s[36:37], v25, v27 src0_sel:BYTE_0 src1_sel:DWORD
	s_and_saveexec_b64 s[28:29], s[36:37]
	s_cbranch_execz .LBB1076_308
; %bb.303:
	s_mov_b32 s3, 1
	s_mov_b64 s[36:37], 0
	v_mov_b32_e32 v19, 0
.LBB1076_304:                           ; =>This Loop Header: Depth=1
                                        ;     Child Loop BB1076_305 Depth 2
	s_max_u32 s33, s3, 1
.LBB1076_305:                           ;   Parent Loop BB1076_304 Depth=1
                                        ; =>  This Inner Loop Header: Depth=2
	s_add_i32 s33, s33, -1
	s_cmp_eq_u32 s33, 0
	s_sleep 1
	s_cbranch_scc0 .LBB1076_305
; %bb.306:                              ;   in Loop: Header=BB1076_304 Depth=1
	global_load_dwordx2 v[24:25], v[22:23], off sc1
	s_cmp_lt_u32 s3, 32
	s_cselect_b64 s[38:39], -1, 0
	s_cmp_lg_u64 s[38:39], 0
	s_addc_u32 s3, s3, 0
	s_waitcnt vmcnt(0)
	v_cmp_ne_u16_sdwa s[38:39], v25, v19 src0_sel:BYTE_0 src1_sel:DWORD
	s_or_b64 s[36:37], s[38:39], s[36:37]
	s_andn2_b64 exec, exec, s[36:37]
	s_cbranch_execnz .LBB1076_304
; %bb.307:
	s_or_b64 exec, exec, s[36:37]
.LBB1076_308:
	s_or_b64 exec, exec, s[28:29]
	v_and_b32_e32 v32, 63, v37
	v_mov_b32_e32 v19, 2
	v_cmp_ne_u32_e32 vcc, 63, v32
	v_cmp_eq_u16_sdwa s[28:29], v25, v19 src0_sel:BYTE_0 src1_sel:DWORD
	v_lshlrev_b64 v[22:23], v37, -1
	v_addc_co_u32_e32 v27, vcc, 0, v37, vcc
	v_and_b32_e32 v21, s29, v23
	v_lshlrev_b32_e32 v34, 2, v27
	v_or_b32_e32 v21, 0x80000000, v21
	ds_bpermute_b32 v27, v34, v24
	v_and_b32_e32 v26, s28, v22
	v_ffbl_b32_e32 v21, v21
	v_add_u32_e32 v21, 32, v21
	v_ffbl_b32_e32 v26, v26
	v_min_u32_e32 v21, v26, v21
	v_cmp_lt_u32_e32 vcc, v32, v21
	v_add_u32_e32 v41, 2, v32
	v_add_u32_e32 v43, 4, v32
	s_waitcnt lgkmcnt(0)
	v_cndmask_b32_e32 v26, 0, v27, vcc
	v_cmp_gt_u32_e32 vcc, 62, v32
	v_add_u32_e32 v24, v26, v24
	v_add_u32_e32 v45, 8, v32
	v_cndmask_b32_e64 v26, 0, 1, vcc
	v_lshlrev_b32_e32 v26, 1, v26
	v_add_lshl_u32 v40, v26, v37, 2
	ds_bpermute_b32 v26, v40, v24
	v_cmp_le_u32_e32 vcc, v41, v21
	v_add_u32_e32 v48, 16, v32
	v_add_u32_e32 v50, 32, v32
	s_waitcnt lgkmcnt(0)
	v_cndmask_b32_e32 v26, 0, v26, vcc
	v_cmp_gt_u32_e32 vcc, 60, v32
	v_add_u32_e32 v24, v24, v26
	s_nop 0
	v_cndmask_b32_e64 v26, 0, 1, vcc
	v_lshlrev_b32_e32 v26, 2, v26
	v_add_lshl_u32 v42, v26, v37, 2
	ds_bpermute_b32 v26, v42, v24
	v_cmp_le_u32_e32 vcc, v43, v21
	s_waitcnt lgkmcnt(0)
	s_nop 0
	v_cndmask_b32_e32 v26, 0, v26, vcc
	v_cmp_gt_u32_e32 vcc, 56, v32
	v_add_u32_e32 v24, v24, v26
	s_nop 0
	v_cndmask_b32_e64 v26, 0, 1, vcc
	v_lshlrev_b32_e32 v26, 3, v26
	v_add_lshl_u32 v44, v26, v37, 2
	ds_bpermute_b32 v26, v44, v24
	v_cmp_le_u32_e32 vcc, v45, v21
	s_waitcnt lgkmcnt(0)
	s_nop 0
	;; [unrolled: 11-line block ×4, first 2 shown]
	v_cndmask_b32_e32 v21, 0, v26, vcc
	v_add_u32_e32 v24, v24, v21
	v_mov_b32_e32 v21, 0
	s_branch .LBB1076_310
.LBB1076_309:                           ;   in Loop: Header=BB1076_310 Depth=1
	s_or_b64 exec, exec, s[28:29]
	v_cmp_eq_u16_sdwa s[28:29], v25, v19 src0_sel:BYTE_0 src1_sel:DWORD
	ds_bpermute_b32 v51, v34, v24
	v_subrev_u32_e32 v20, 64, v20
	v_and_b32_e32 v26, s29, v23
	v_or_b32_e32 v26, 0x80000000, v26
	v_and_b32_e32 v27, s28, v22
	v_ffbl_b32_e32 v26, v26
	v_add_u32_e32 v26, 32, v26
	v_ffbl_b32_e32 v27, v27
	v_min_u32_e32 v26, v27, v26
	v_cmp_lt_u32_e32 vcc, v32, v26
	s_waitcnt lgkmcnt(0)
	s_nop 0
	v_cndmask_b32_e32 v27, 0, v51, vcc
	v_add_u32_e32 v24, v27, v24
	ds_bpermute_b32 v27, v40, v24
	v_cmp_le_u32_e32 vcc, v41, v26
	s_waitcnt lgkmcnt(0)
	s_nop 0
	v_cndmask_b32_e32 v27, 0, v27, vcc
	v_add_u32_e32 v24, v24, v27
	ds_bpermute_b32 v27, v42, v24
	v_cmp_le_u32_e32 vcc, v43, v26
	s_waitcnt lgkmcnt(0)
	s_nop 0
	v_cndmask_b32_e32 v27, 0, v27, vcc
	v_add_u32_e32 v24, v24, v27
	ds_bpermute_b32 v27, v44, v24
	v_cmp_le_u32_e32 vcc, v45, v26
	s_waitcnt lgkmcnt(0)
	s_nop 0
	v_cndmask_b32_e32 v27, 0, v27, vcc
	v_add_u32_e32 v24, v24, v27
	ds_bpermute_b32 v27, v47, v24
	v_cmp_le_u32_e32 vcc, v48, v26
	s_waitcnt lgkmcnt(0)
	s_nop 0
	v_cndmask_b32_e32 v27, 0, v27, vcc
	v_add_u32_e32 v24, v24, v27
	ds_bpermute_b32 v27, v49, v24
	v_cmp_le_u32_e32 vcc, v50, v26
	s_waitcnt lgkmcnt(0)
	s_nop 0
	v_cndmask_b32_e32 v26, 0, v27, vcc
	v_add3_u32 v24, v26, v46, v24
.LBB1076_310:                           ; =>This Loop Header: Depth=1
                                        ;     Child Loop BB1076_313 Depth 2
                                        ;       Child Loop BB1076_314 Depth 3
	v_cmp_ne_u16_sdwa s[28:29], v25, v19 src0_sel:BYTE_0 src1_sel:DWORD
	v_mov_b32_e32 v46, v24
	s_nop 0
	v_cndmask_b32_e64 v25, 0, 1, s[28:29]
	;;#ASMSTART
	;;#ASMEND
	s_nop 0
	v_cmp_ne_u32_e32 vcc, 0, v25
	s_cmp_lg_u64 vcc, exec
	s_cbranch_scc1 .LBB1076_317
; %bb.311:                              ;   in Loop: Header=BB1076_310 Depth=1
	v_lshl_add_u64 v[26:27], v[20:21], 3, s[30:31]
	global_load_dwordx2 v[24:25], v[26:27], off sc1
	s_waitcnt vmcnt(0)
	v_cmp_eq_u16_sdwa s[36:37], v25, v21 src0_sel:BYTE_0 src1_sel:DWORD
	s_and_saveexec_b64 s[28:29], s[36:37]
	s_cbranch_execz .LBB1076_309
; %bb.312:                              ;   in Loop: Header=BB1076_310 Depth=1
	s_mov_b32 s3, 1
	s_mov_b64 s[36:37], 0
.LBB1076_313:                           ;   Parent Loop BB1076_310 Depth=1
                                        ; =>  This Loop Header: Depth=2
                                        ;       Child Loop BB1076_314 Depth 3
	s_max_u32 s33, s3, 1
.LBB1076_314:                           ;   Parent Loop BB1076_310 Depth=1
                                        ;     Parent Loop BB1076_313 Depth=2
                                        ; =>    This Inner Loop Header: Depth=3
	s_add_i32 s33, s33, -1
	s_cmp_eq_u32 s33, 0
	s_sleep 1
	s_cbranch_scc0 .LBB1076_314
; %bb.315:                              ;   in Loop: Header=BB1076_313 Depth=2
	global_load_dwordx2 v[24:25], v[26:27], off sc1
	s_cmp_lt_u32 s3, 32
	s_cselect_b64 s[38:39], -1, 0
	s_cmp_lg_u64 s[38:39], 0
	s_addc_u32 s3, s3, 0
	s_waitcnt vmcnt(0)
	v_cmp_ne_u16_sdwa s[38:39], v25, v21 src0_sel:BYTE_0 src1_sel:DWORD
	s_or_b64 s[36:37], s[38:39], s[36:37]
	s_andn2_b64 exec, exec, s[36:37]
	s_cbranch_execnz .LBB1076_313
; %bb.316:                              ;   in Loop: Header=BB1076_310 Depth=1
	s_or_b64 exec, exec, s[36:37]
	s_branch .LBB1076_309
.LBB1076_317:                           ;   in Loop: Header=BB1076_310 Depth=1
                                        ; implicit-def: $vgpr24
                                        ; implicit-def: $vgpr25
	s_cbranch_execz .LBB1076_310
; %bb.318:
	s_and_saveexec_b64 s[28:29], s[16:17]
	s_cbranch_execz .LBB1076_320
; %bb.319:
	s_add_i32 s2, s2, 64
	s_mov_b32 s3, 0
	s_lshl_b64 s[2:3], s[2:3], 3
	s_add_u32 s2, s30, s2
	v_add_u32_e32 v20, v46, v18
	v_mov_b32_e32 v21, 2
	s_addc_u32 s3, s31, s3
	v_mov_b32_e32 v19, 0
	global_store_dwordx2 v19, v[20:21], s[2:3] sc1
	s_movk_i32 s2, 0x7000
	v_add_u32_e64 v19, s2, 0
	ds_write2_b32 v19, v18, v46 offset1:2
.LBB1076_320:
	s_or_b64 exec, exec, s[28:29]
	v_cmp_eq_u32_e32 vcc, 0, v0
	s_and_b64 exec, exec, vcc
	s_cbranch_execz .LBB1076_322
; %bb.321:
	v_mov_b32_e32 v18, 0
	ds_write_b32 v18, v46 offset:28
.LBB1076_322:
	s_or_b64 exec, exec, s[26:27]
	v_mov_b32_e32 v18, 0
	s_waitcnt lgkmcnt(0)
	s_barrier
	ds_read_b32 v18, v18 offset:28
	v_cndmask_b32_e64 v19, v30, v28, s[16:17]
	v_cmp_ne_u32_e32 vcc, 0, v0
	s_movk_i32 s2, 0x7000
	s_waitcnt lgkmcnt(0)
	v_cndmask_b32_e32 v19, 0, v19, vcc
	v_add_u32_e32 v34, v18, v19
	v_add_u32_e32 v32, v34, v1
	v_add_u32_e64 v18, s2, 0
	v_add_u32_e32 v30, v32, v29
	s_barrier
	ds_read2_b32 v[18:19], v18 offset1:2
	v_add_u32_e32 v28, v30, v31
	v_add_u32_e32 v26, v28, v33
	;; [unrolled: 1-line block ×4, first 2 shown]
	s_load_dwordx2 s[2:3], s[0:1], 0x28
	v_lshrrev_b64 v[20:21], 24, v[16:17]
	s_branch .LBB1076_333
.LBB1076_323:
                                        ; implicit-def: $vgpr22
                                        ; implicit-def: $vgpr24
                                        ; implicit-def: $vgpr26
                                        ; implicit-def: $vgpr28
                                        ; implicit-def: $vgpr30
                                        ; implicit-def: $vgpr32
                                        ; implicit-def: $vgpr34
                                        ; implicit-def: $vgpr19
	s_load_dwordx2 s[2:3], s[0:1], 0x28
	v_lshrrev_b64 v[20:21], 24, v[16:17]
	s_cbranch_execz .LBB1076_333
; %bb.324:
	s_waitcnt lgkmcnt(0)
	v_mov_b32_dpp v18, v39 row_shr:1 row_mask:0xf bank_mask:0xf
	v_cndmask_b32_e64 v18, v18, 0, s[14:15]
	v_add_u32_e32 v18, v18, v39
	s_nop 1
	v_mov_b32_dpp v19, v18 row_shr:2 row_mask:0xf bank_mask:0xf
	v_cndmask_b32_e64 v19, 0, v19, s[12:13]
	v_add_u32_e32 v18, v18, v19
	s_nop 1
	;; [unrolled: 4-line block ×4, first 2 shown]
	v_mov_b32_dpp v19, v18 row_bcast:15 row_mask:0xf bank_mask:0xf
	v_cndmask_b32_e64 v19, v19, 0, s[6:7]
	v_add_u32_e32 v18, v18, v19
	s_nop 1
	v_mov_b32_dpp v19, v18 row_bcast:31 row_mask:0xf bank_mask:0xf
	v_cndmask_b32_e64 v19, 0, v19, s[18:19]
	v_add_u32_e32 v18, v18, v19
	s_and_saveexec_b64 s[0:1], s[4:5]
	s_cbranch_execz .LBB1076_326
; %bb.325:
	v_lshlrev_b32_e32 v19, 2, v38
	ds_write_b32 v19, v18
.LBB1076_326:
	s_or_b64 exec, exec, s[0:1]
	v_cmp_gt_u32_e32 vcc, 8, v0
	s_waitcnt lgkmcnt(0)
	s_barrier
	s_and_saveexec_b64 s[0:1], vcc
	s_cbranch_execz .LBB1076_328
; %bb.327:
	v_lshlrev_b32_e32 v19, 2, v0
	ds_read_b32 v21, v19
	v_and_b32_e32 v22, 7, v37
	v_cmp_ne_u32_e32 vcc, 0, v22
	s_waitcnt lgkmcnt(0)
	v_mov_b32_dpp v23, v21 row_shr:1 row_mask:0xf bank_mask:0xf
	v_cndmask_b32_e32 v23, 0, v23, vcc
	v_add_u32_e32 v21, v23, v21
	v_cmp_lt_u32_e32 vcc, 1, v22
	s_nop 0
	v_mov_b32_dpp v23, v21 row_shr:2 row_mask:0xf bank_mask:0xf
	v_cndmask_b32_e32 v23, 0, v23, vcc
	v_add_u32_e32 v21, v21, v23
	v_cmp_lt_u32_e32 vcc, 3, v22
	s_nop 0
	v_mov_b32_dpp v23, v21 row_shr:4 row_mask:0xf bank_mask:0xf
	v_cndmask_b32_e32 v22, 0, v23, vcc
	v_add_u32_e32 v21, v21, v22
	ds_write_b32 v19, v21
.LBB1076_328:
	s_or_b64 exec, exec, s[0:1]
	v_cmp_lt_u32_e32 vcc, 63, v0
	v_mov_b32_e32 v19, 0
	v_mov_b32_e32 v21, 0
	s_waitcnt lgkmcnt(0)
	s_barrier
	s_and_saveexec_b64 s[0:1], vcc
	s_cbranch_execz .LBB1076_330
; %bb.329:
	v_lshl_add_u32 v21, v38, 2, -4
	ds_read_b32 v21, v21
.LBB1076_330:
	s_or_b64 exec, exec, s[0:1]
	v_add_u32_e32 v22, -1, v37
	v_and_b32_e32 v23, 64, v37
	v_cmp_lt_i32_e32 vcc, v22, v23
	s_waitcnt lgkmcnt(0)
	v_add_u32_e32 v18, v21, v18
	v_cndmask_b32_e32 v22, v22, v37, vcc
	v_lshlrev_b32_e32 v22, 2, v22
	ds_bpermute_b32 v22, v22, v18
	ds_read_b32 v18, v19 offset:28
	v_cmp_eq_u32_e32 vcc, 0, v0
	s_and_saveexec_b64 s[0:1], vcc
	s_cbranch_execz .LBB1076_332
; %bb.331:
	v_mov_b32_e32 v23, 0
	v_mov_b32_e32 v19, 2
	s_waitcnt lgkmcnt(0)
	global_store_dwordx2 v23, v[18:19], s[30:31] offset:512 sc1
.LBB1076_332:
	s_or_b64 exec, exec, s[0:1]
	v_cmp_eq_u32_e64 s[0:1], 0, v37
	v_mov_b32_e32 v19, 0
	s_waitcnt lgkmcnt(0)
	v_cndmask_b32_e64 v21, v22, v21, s[0:1]
	v_cndmask_b32_e64 v34, v21, 0, vcc
	v_add_u32_e32 v32, v34, v1
	v_add_u32_e32 v30, v32, v29
	;; [unrolled: 1-line block ×6, first 2 shown]
	s_barrier
.LBB1076_333:
	s_movk_i32 s0, 0x201
	s_waitcnt lgkmcnt(0)
	v_cmp_gt_u32_e32 vcc, s0, v18
	v_lshrrev_b32_e32 v21, 8, v16
	v_lshrrev_b32_e32 v1, 8, v17
	s_mov_b64 s[0:1], -1
	s_cbranch_vccnz .LBB1076_337
; %bb.334:
	s_and_b64 vcc, exec, s[0:1]
	s_cbranch_vccnz .LBB1076_359
.LBB1076_335:
	v_cmp_eq_u32_e32 vcc, 0, v0
	s_and_b64 s[0:1], vcc, s[24:25]
	s_and_saveexec_b64 s[2:3], s[0:1]
	s_cbranch_execnz .LBB1076_377
.LBB1076_336:
	s_endpgm
.LBB1076_337:
	v_add_u32_e32 v23, v19, v18
	v_cmp_lt_u32_e32 vcc, v34, v23
	s_or_b64 s[4:5], s[34:35], vcc
	s_and_saveexec_b64 s[0:1], s[4:5]
	s_cbranch_execz .LBB1076_340
; %bb.338:
	v_and_b32_e32 v25, 1, v16
	v_cmp_eq_u32_e32 vcc, 1, v25
	s_and_b64 exec, exec, vcc
	s_cbranch_execz .LBB1076_340
; %bb.339:
	s_lshl_b64 s[4:5], s[22:23], 3
	s_add_u32 s4, s2, s4
	s_addc_u32 s5, s3, s5
	v_mov_b32_e32 v35, 0
	v_lshl_add_u64 v[36:37], v[34:35], 3, s[4:5]
	global_store_dwordx2 v[36:37], v[10:11], off
.LBB1076_340:
	s_or_b64 exec, exec, s[0:1]
	v_cmp_lt_u32_e32 vcc, v32, v23
	s_or_b64 s[4:5], s[34:35], vcc
	s_and_saveexec_b64 s[0:1], s[4:5]
	s_cbranch_execz .LBB1076_343
; %bb.341:
	v_and_b32_e32 v25, 1, v21
	v_cmp_eq_u32_e32 vcc, 1, v25
	s_and_b64 exec, exec, vcc
	s_cbranch_execz .LBB1076_343
; %bb.342:
	s_lshl_b64 s[4:5], s[22:23], 3
	s_add_u32 s4, s2, s4
	s_addc_u32 s5, s3, s5
	v_mov_b32_e32 v33, 0
	v_lshl_add_u64 v[36:37], v[32:33], 3, s[4:5]
	global_store_dwordx2 v[36:37], v[12:13], off
.LBB1076_343:
	s_or_b64 exec, exec, s[0:1]
	v_cmp_lt_u32_e32 vcc, v30, v23
	s_or_b64 s[4:5], s[34:35], vcc
	s_and_saveexec_b64 s[0:1], s[4:5]
	s_cbranch_execz .LBB1076_346
; %bb.344:
	v_mov_b32_e32 v25, 1
	v_and_b32_sdwa v25, v25, v16 dst_sel:DWORD dst_unused:UNUSED_PAD src0_sel:DWORD src1_sel:WORD_1
	v_cmp_eq_u32_e32 vcc, 1, v25
	s_and_b64 exec, exec, vcc
	s_cbranch_execz .LBB1076_346
; %bb.345:
	s_lshl_b64 s[4:5], s[22:23], 3
	s_add_u32 s4, s2, s4
	s_addc_u32 s5, s3, s5
	v_mov_b32_e32 v31, 0
	v_lshl_add_u64 v[36:37], v[30:31], 3, s[4:5]
	global_store_dwordx2 v[36:37], v[6:7], off
.LBB1076_346:
	s_or_b64 exec, exec, s[0:1]
	v_cmp_lt_u32_e32 vcc, v28, v23
	s_or_b64 s[4:5], s[34:35], vcc
	s_and_saveexec_b64 s[0:1], s[4:5]
	s_cbranch_execz .LBB1076_349
; %bb.347:
	v_and_b32_e32 v25, 1, v20
	v_cmp_eq_u32_e32 vcc, 1, v25
	s_and_b64 exec, exec, vcc
	s_cbranch_execz .LBB1076_349
; %bb.348:
	s_lshl_b64 s[4:5], s[22:23], 3
	s_add_u32 s4, s2, s4
	s_addc_u32 s5, s3, s5
	v_mov_b32_e32 v29, 0
	v_lshl_add_u64 v[36:37], v[28:29], 3, s[4:5]
	global_store_dwordx2 v[36:37], v[8:9], off
.LBB1076_349:
	s_or_b64 exec, exec, s[0:1]
	v_cmp_lt_u32_e32 vcc, v26, v23
	s_or_b64 s[4:5], s[34:35], vcc
	s_and_saveexec_b64 s[0:1], s[4:5]
	s_cbranch_execz .LBB1076_352
; %bb.350:
	v_and_b32_e32 v25, 1, v17
	v_cmp_eq_u32_e32 vcc, 1, v25
	s_and_b64 exec, exec, vcc
	s_cbranch_execz .LBB1076_352
; %bb.351:
	s_lshl_b64 s[4:5], s[22:23], 3
	s_add_u32 s4, s2, s4
	s_addc_u32 s5, s3, s5
	v_mov_b32_e32 v27, 0
	v_lshl_add_u64 v[36:37], v[26:27], 3, s[4:5]
	global_store_dwordx2 v[36:37], v[2:3], off
.LBB1076_352:
	;; [unrolled: 18-line block ×3, first 2 shown]
	s_or_b64 exec, exec, s[0:1]
	v_cmp_lt_u32_e32 vcc, v22, v23
	s_or_b64 s[4:5], s[34:35], vcc
	s_and_saveexec_b64 s[0:1], s[4:5]
	s_cbranch_execz .LBB1076_358
; %bb.356:
	v_mov_b32_e32 v23, 1
	v_and_b32_sdwa v23, v23, v17 dst_sel:DWORD dst_unused:UNUSED_PAD src0_sel:DWORD src1_sel:WORD_1
	v_cmp_eq_u32_e32 vcc, 1, v23
	s_and_b64 exec, exec, vcc
	s_cbranch_execz .LBB1076_358
; %bb.357:
	s_lshl_b64 s[4:5], s[22:23], 3
	s_add_u32 s4, s2, s4
	s_addc_u32 s5, s3, s5
	v_mov_b32_e32 v23, 0
	v_lshl_add_u64 v[36:37], v[22:23], 3, s[4:5]
	global_store_dwordx2 v[36:37], v[14:15], off
.LBB1076_358:
	s_or_b64 exec, exec, s[0:1]
	s_branch .LBB1076_335
.LBB1076_359:
	v_and_b32_e32 v23, 1, v16
	v_cmp_eq_u32_e32 vcc, 1, v23
	s_and_saveexec_b64 s[0:1], vcc
	s_cbranch_execz .LBB1076_361
; %bb.360:
	v_sub_u32_e32 v23, v34, v19
	v_lshlrev_b32_e32 v23, 3, v23
	ds_write_b64 v23, v[10:11]
.LBB1076_361:
	s_or_b64 exec, exec, s[0:1]
	v_and_b32_e32 v10, 1, v21
	v_cmp_eq_u32_e32 vcc, 1, v10
	s_and_saveexec_b64 s[0:1], vcc
	s_cbranch_execz .LBB1076_363
; %bb.362:
	v_sub_u32_e32 v10, v32, v19
	v_lshlrev_b32_e32 v10, 3, v10
	ds_write_b64 v10, v[12:13]
.LBB1076_363:
	s_or_b64 exec, exec, s[0:1]
	v_mov_b32_e32 v10, 1
	v_and_b32_sdwa v10, v10, v16 dst_sel:DWORD dst_unused:UNUSED_PAD src0_sel:DWORD src1_sel:WORD_1
	v_cmp_eq_u32_e32 vcc, 1, v10
	s_and_saveexec_b64 s[0:1], vcc
	s_cbranch_execz .LBB1076_365
; %bb.364:
	v_sub_u32_e32 v10, v30, v19
	v_lshlrev_b32_e32 v10, 3, v10
	ds_write_b64 v10, v[6:7]
.LBB1076_365:
	s_or_b64 exec, exec, s[0:1]
	v_and_b32_e32 v6, 1, v20
	v_cmp_eq_u32_e32 vcc, 1, v6
	s_and_saveexec_b64 s[0:1], vcc
	s_cbranch_execz .LBB1076_367
; %bb.366:
	v_sub_u32_e32 v6, v28, v19
	v_lshlrev_b32_e32 v6, 3, v6
	ds_write_b64 v6, v[8:9]
.LBB1076_367:
	s_or_b64 exec, exec, s[0:1]
	v_and_b32_e32 v6, 1, v17
	;; [unrolled: 10-line block ×3, first 2 shown]
	v_cmp_eq_u32_e32 vcc, 1, v1
	s_and_saveexec_b64 s[0:1], vcc
	s_cbranch_execz .LBB1076_371
; %bb.370:
	v_sub_u32_e32 v1, v24, v19
	v_lshlrev_b32_e32 v1, 3, v1
	ds_write_b64 v1, v[4:5]
.LBB1076_371:
	s_or_b64 exec, exec, s[0:1]
	v_mov_b32_e32 v1, 1
	v_and_b32_sdwa v1, v1, v17 dst_sel:DWORD dst_unused:UNUSED_PAD src0_sel:DWORD src1_sel:WORD_1
	v_cmp_eq_u32_e32 vcc, 1, v1
	s_and_saveexec_b64 s[0:1], vcc
	s_cbranch_execz .LBB1076_373
; %bb.372:
	v_sub_u32_e32 v1, v22, v19
	v_lshlrev_b32_e32 v1, 3, v1
	ds_write_b64 v1, v[14:15]
.LBB1076_373:
	s_or_b64 exec, exec, s[0:1]
	v_cmp_lt_u32_e32 vcc, v0, v18
	s_waitcnt lgkmcnt(0)
	s_barrier
	s_and_saveexec_b64 s[0:1], vcc
	s_cbranch_execz .LBB1076_376
; %bb.374:
	v_mov_b32_e32 v5, 0
	v_mov_b32_e32 v4, v19
	s_lshl_b64 s[4:5], s[22:23], 3
	v_lshlrev_b64 v[6:7], 3, v[4:5]
	v_lshl_add_u64 v[6:7], s[4:5], 0, v[6:7]
	v_lshlrev_b32_e32 v2, 3, v0
	v_mov_b32_e32 v3, v5
	v_lshl_add_u64 v[4:5], s[2:3], 0, v[6:7]
	v_lshl_add_u64 v[4:5], v[4:5], 0, v[2:3]
	s_mov_b64 s[2:3], 0
	s_mov_b64 s[4:5], 0x1000
	v_mov_b32_e32 v1, v0
.LBB1076_375:                           ; =>This Inner Loop Header: Depth=1
	ds_read_b64 v[6:7], v2
	v_add_u32_e32 v1, 0x200, v1
	v_cmp_ge_u32_e32 vcc, v1, v18
	v_add_u32_e32 v2, 0x1000, v2
	s_or_b64 s[2:3], vcc, s[2:3]
	s_waitcnt lgkmcnt(0)
	global_store_dwordx2 v[4:5], v[6:7], off
	v_lshl_add_u64 v[4:5], v[4:5], 0, s[4:5]
	s_andn2_b64 exec, exec, s[2:3]
	s_cbranch_execnz .LBB1076_375
.LBB1076_376:
	s_or_b64 exec, exec, s[0:1]
	v_cmp_eq_u32_e32 vcc, 0, v0
	s_and_b64 s[0:1], vcc, s[24:25]
	s_and_saveexec_b64 s[2:3], s[0:1]
	s_cbranch_execz .LBB1076_336
.LBB1076_377:
	v_mov_b32_e32 v1, 0
	v_mov_b32_e32 v0, v18
	v_lshl_add_u64 v[2:3], s[22:23], 0, v[0:1]
	v_mov_b32_e32 v0, v19
	v_lshl_add_u64 v[2:3], v[2:3], 0, v[0:1]
	global_store_dwordx2 v1, v[2:3], s[20:21]
	s_endpgm
	.section	.rodata,"a",@progbits
	.p2align	6, 0x0
	.amdhsa_kernel _ZN7rocprim17ROCPRIM_400000_NS6detail17trampoline_kernelINS0_14default_configENS1_25partition_config_selectorILNS1_17partition_subalgoE8ElNS0_10empty_typeEbEEZZNS1_14partition_implILS5_8ELb0ES3_jPlPS6_PKS6_NS0_5tupleIJS9_S6_EEENSD_IJSA_SA_EEENS0_18inequality_wrapperIZN2at6native12_GLOBAL__N_124unique_dim_cuda_templateIbEESt5tupleIJNSH_6TensorESM_SM_EERKSM_lbbbEUlllE0_EEPmJS6_EEE10hipError_tPvRmT3_T4_T5_T6_T7_T9_mT8_P12ihipStream_tbDpT10_ENKUlT_T0_E_clISt17integral_constantIbLb1EES1B_IbLb0EEEEDaS17_S18_EUlS17_E_NS1_11comp_targetILNS1_3genE5ELNS1_11target_archE942ELNS1_3gpuE9ELNS1_3repE0EEENS1_30default_config_static_selectorELNS0_4arch9wavefront6targetE1EEEvT1_
		.amdhsa_group_segment_fixed_size 28684
		.amdhsa_private_segment_fixed_size 0
		.amdhsa_kernarg_size 120
		.amdhsa_user_sgpr_count 2
		.amdhsa_user_sgpr_dispatch_ptr 0
		.amdhsa_user_sgpr_queue_ptr 0
		.amdhsa_user_sgpr_kernarg_segment_ptr 1
		.amdhsa_user_sgpr_dispatch_id 0
		.amdhsa_user_sgpr_kernarg_preload_length 0
		.amdhsa_user_sgpr_kernarg_preload_offset 0
		.amdhsa_user_sgpr_private_segment_size 0
		.amdhsa_uses_dynamic_stack 0
		.amdhsa_enable_private_segment 0
		.amdhsa_system_sgpr_workgroup_id_x 1
		.amdhsa_system_sgpr_workgroup_id_y 0
		.amdhsa_system_sgpr_workgroup_id_z 0
		.amdhsa_system_sgpr_workgroup_info 0
		.amdhsa_system_vgpr_workitem_id 0
		.amdhsa_next_free_vgpr 52
		.amdhsa_next_free_sgpr 52
		.amdhsa_accum_offset 52
		.amdhsa_reserve_vcc 1
		.amdhsa_float_round_mode_32 0
		.amdhsa_float_round_mode_16_64 0
		.amdhsa_float_denorm_mode_32 3
		.amdhsa_float_denorm_mode_16_64 3
		.amdhsa_dx10_clamp 1
		.amdhsa_ieee_mode 1
		.amdhsa_fp16_overflow 0
		.amdhsa_tg_split 0
		.amdhsa_exception_fp_ieee_invalid_op 0
		.amdhsa_exception_fp_denorm_src 0
		.amdhsa_exception_fp_ieee_div_zero 0
		.amdhsa_exception_fp_ieee_overflow 0
		.amdhsa_exception_fp_ieee_underflow 0
		.amdhsa_exception_fp_ieee_inexact 0
		.amdhsa_exception_int_div_zero 0
	.end_amdhsa_kernel
	.section	.text._ZN7rocprim17ROCPRIM_400000_NS6detail17trampoline_kernelINS0_14default_configENS1_25partition_config_selectorILNS1_17partition_subalgoE8ElNS0_10empty_typeEbEEZZNS1_14partition_implILS5_8ELb0ES3_jPlPS6_PKS6_NS0_5tupleIJS9_S6_EEENSD_IJSA_SA_EEENS0_18inequality_wrapperIZN2at6native12_GLOBAL__N_124unique_dim_cuda_templateIbEESt5tupleIJNSH_6TensorESM_SM_EERKSM_lbbbEUlllE0_EEPmJS6_EEE10hipError_tPvRmT3_T4_T5_T6_T7_T9_mT8_P12ihipStream_tbDpT10_ENKUlT_T0_E_clISt17integral_constantIbLb1EES1B_IbLb0EEEEDaS17_S18_EUlS17_E_NS1_11comp_targetILNS1_3genE5ELNS1_11target_archE942ELNS1_3gpuE9ELNS1_3repE0EEENS1_30default_config_static_selectorELNS0_4arch9wavefront6targetE1EEEvT1_,"axG",@progbits,_ZN7rocprim17ROCPRIM_400000_NS6detail17trampoline_kernelINS0_14default_configENS1_25partition_config_selectorILNS1_17partition_subalgoE8ElNS0_10empty_typeEbEEZZNS1_14partition_implILS5_8ELb0ES3_jPlPS6_PKS6_NS0_5tupleIJS9_S6_EEENSD_IJSA_SA_EEENS0_18inequality_wrapperIZN2at6native12_GLOBAL__N_124unique_dim_cuda_templateIbEESt5tupleIJNSH_6TensorESM_SM_EERKSM_lbbbEUlllE0_EEPmJS6_EEE10hipError_tPvRmT3_T4_T5_T6_T7_T9_mT8_P12ihipStream_tbDpT10_ENKUlT_T0_E_clISt17integral_constantIbLb1EES1B_IbLb0EEEEDaS17_S18_EUlS17_E_NS1_11comp_targetILNS1_3genE5ELNS1_11target_archE942ELNS1_3gpuE9ELNS1_3repE0EEENS1_30default_config_static_selectorELNS0_4arch9wavefront6targetE1EEEvT1_,comdat
.Lfunc_end1076:
	.size	_ZN7rocprim17ROCPRIM_400000_NS6detail17trampoline_kernelINS0_14default_configENS1_25partition_config_selectorILNS1_17partition_subalgoE8ElNS0_10empty_typeEbEEZZNS1_14partition_implILS5_8ELb0ES3_jPlPS6_PKS6_NS0_5tupleIJS9_S6_EEENSD_IJSA_SA_EEENS0_18inequality_wrapperIZN2at6native12_GLOBAL__N_124unique_dim_cuda_templateIbEESt5tupleIJNSH_6TensorESM_SM_EERKSM_lbbbEUlllE0_EEPmJS6_EEE10hipError_tPvRmT3_T4_T5_T6_T7_T9_mT8_P12ihipStream_tbDpT10_ENKUlT_T0_E_clISt17integral_constantIbLb1EES1B_IbLb0EEEEDaS17_S18_EUlS17_E_NS1_11comp_targetILNS1_3genE5ELNS1_11target_archE942ELNS1_3gpuE9ELNS1_3repE0EEENS1_30default_config_static_selectorELNS0_4arch9wavefront6targetE1EEEvT1_, .Lfunc_end1076-_ZN7rocprim17ROCPRIM_400000_NS6detail17trampoline_kernelINS0_14default_configENS1_25partition_config_selectorILNS1_17partition_subalgoE8ElNS0_10empty_typeEbEEZZNS1_14partition_implILS5_8ELb0ES3_jPlPS6_PKS6_NS0_5tupleIJS9_S6_EEENSD_IJSA_SA_EEENS0_18inequality_wrapperIZN2at6native12_GLOBAL__N_124unique_dim_cuda_templateIbEESt5tupleIJNSH_6TensorESM_SM_EERKSM_lbbbEUlllE0_EEPmJS6_EEE10hipError_tPvRmT3_T4_T5_T6_T7_T9_mT8_P12ihipStream_tbDpT10_ENKUlT_T0_E_clISt17integral_constantIbLb1EES1B_IbLb0EEEEDaS17_S18_EUlS17_E_NS1_11comp_targetILNS1_3genE5ELNS1_11target_archE942ELNS1_3gpuE9ELNS1_3repE0EEENS1_30default_config_static_selectorELNS0_4arch9wavefront6targetE1EEEvT1_
                                        ; -- End function
	.section	.AMDGPU.csdata,"",@progbits
; Kernel info:
; codeLenInByte = 14000
; NumSgprs: 58
; NumVgprs: 52
; NumAgprs: 0
; TotalNumVgprs: 52
; ScratchSize: 0
; MemoryBound: 0
; FloatMode: 240
; IeeeMode: 1
; LDSByteSize: 28684 bytes/workgroup (compile time only)
; SGPRBlocks: 7
; VGPRBlocks: 6
; NumSGPRsForWavesPerEU: 58
; NumVGPRsForWavesPerEU: 52
; AccumOffset: 52
; Occupancy: 4
; WaveLimiterHint : 1
; COMPUTE_PGM_RSRC2:SCRATCH_EN: 0
; COMPUTE_PGM_RSRC2:USER_SGPR: 2
; COMPUTE_PGM_RSRC2:TRAP_HANDLER: 0
; COMPUTE_PGM_RSRC2:TGID_X_EN: 1
; COMPUTE_PGM_RSRC2:TGID_Y_EN: 0
; COMPUTE_PGM_RSRC2:TGID_Z_EN: 0
; COMPUTE_PGM_RSRC2:TIDIG_COMP_CNT: 0
; COMPUTE_PGM_RSRC3_GFX90A:ACCUM_OFFSET: 12
; COMPUTE_PGM_RSRC3_GFX90A:TG_SPLIT: 0
	.section	.text._ZN7rocprim17ROCPRIM_400000_NS6detail17trampoline_kernelINS0_14default_configENS1_25partition_config_selectorILNS1_17partition_subalgoE8ElNS0_10empty_typeEbEEZZNS1_14partition_implILS5_8ELb0ES3_jPlPS6_PKS6_NS0_5tupleIJS9_S6_EEENSD_IJSA_SA_EEENS0_18inequality_wrapperIZN2at6native12_GLOBAL__N_124unique_dim_cuda_templateIbEESt5tupleIJNSH_6TensorESM_SM_EERKSM_lbbbEUlllE0_EEPmJS6_EEE10hipError_tPvRmT3_T4_T5_T6_T7_T9_mT8_P12ihipStream_tbDpT10_ENKUlT_T0_E_clISt17integral_constantIbLb1EES1B_IbLb0EEEEDaS17_S18_EUlS17_E_NS1_11comp_targetILNS1_3genE4ELNS1_11target_archE910ELNS1_3gpuE8ELNS1_3repE0EEENS1_30default_config_static_selectorELNS0_4arch9wavefront6targetE1EEEvT1_,"axG",@progbits,_ZN7rocprim17ROCPRIM_400000_NS6detail17trampoline_kernelINS0_14default_configENS1_25partition_config_selectorILNS1_17partition_subalgoE8ElNS0_10empty_typeEbEEZZNS1_14partition_implILS5_8ELb0ES3_jPlPS6_PKS6_NS0_5tupleIJS9_S6_EEENSD_IJSA_SA_EEENS0_18inequality_wrapperIZN2at6native12_GLOBAL__N_124unique_dim_cuda_templateIbEESt5tupleIJNSH_6TensorESM_SM_EERKSM_lbbbEUlllE0_EEPmJS6_EEE10hipError_tPvRmT3_T4_T5_T6_T7_T9_mT8_P12ihipStream_tbDpT10_ENKUlT_T0_E_clISt17integral_constantIbLb1EES1B_IbLb0EEEEDaS17_S18_EUlS17_E_NS1_11comp_targetILNS1_3genE4ELNS1_11target_archE910ELNS1_3gpuE8ELNS1_3repE0EEENS1_30default_config_static_selectorELNS0_4arch9wavefront6targetE1EEEvT1_,comdat
	.globl	_ZN7rocprim17ROCPRIM_400000_NS6detail17trampoline_kernelINS0_14default_configENS1_25partition_config_selectorILNS1_17partition_subalgoE8ElNS0_10empty_typeEbEEZZNS1_14partition_implILS5_8ELb0ES3_jPlPS6_PKS6_NS0_5tupleIJS9_S6_EEENSD_IJSA_SA_EEENS0_18inequality_wrapperIZN2at6native12_GLOBAL__N_124unique_dim_cuda_templateIbEESt5tupleIJNSH_6TensorESM_SM_EERKSM_lbbbEUlllE0_EEPmJS6_EEE10hipError_tPvRmT3_T4_T5_T6_T7_T9_mT8_P12ihipStream_tbDpT10_ENKUlT_T0_E_clISt17integral_constantIbLb1EES1B_IbLb0EEEEDaS17_S18_EUlS17_E_NS1_11comp_targetILNS1_3genE4ELNS1_11target_archE910ELNS1_3gpuE8ELNS1_3repE0EEENS1_30default_config_static_selectorELNS0_4arch9wavefront6targetE1EEEvT1_ ; -- Begin function _ZN7rocprim17ROCPRIM_400000_NS6detail17trampoline_kernelINS0_14default_configENS1_25partition_config_selectorILNS1_17partition_subalgoE8ElNS0_10empty_typeEbEEZZNS1_14partition_implILS5_8ELb0ES3_jPlPS6_PKS6_NS0_5tupleIJS9_S6_EEENSD_IJSA_SA_EEENS0_18inequality_wrapperIZN2at6native12_GLOBAL__N_124unique_dim_cuda_templateIbEESt5tupleIJNSH_6TensorESM_SM_EERKSM_lbbbEUlllE0_EEPmJS6_EEE10hipError_tPvRmT3_T4_T5_T6_T7_T9_mT8_P12ihipStream_tbDpT10_ENKUlT_T0_E_clISt17integral_constantIbLb1EES1B_IbLb0EEEEDaS17_S18_EUlS17_E_NS1_11comp_targetILNS1_3genE4ELNS1_11target_archE910ELNS1_3gpuE8ELNS1_3repE0EEENS1_30default_config_static_selectorELNS0_4arch9wavefront6targetE1EEEvT1_
	.p2align	8
	.type	_ZN7rocprim17ROCPRIM_400000_NS6detail17trampoline_kernelINS0_14default_configENS1_25partition_config_selectorILNS1_17partition_subalgoE8ElNS0_10empty_typeEbEEZZNS1_14partition_implILS5_8ELb0ES3_jPlPS6_PKS6_NS0_5tupleIJS9_S6_EEENSD_IJSA_SA_EEENS0_18inequality_wrapperIZN2at6native12_GLOBAL__N_124unique_dim_cuda_templateIbEESt5tupleIJNSH_6TensorESM_SM_EERKSM_lbbbEUlllE0_EEPmJS6_EEE10hipError_tPvRmT3_T4_T5_T6_T7_T9_mT8_P12ihipStream_tbDpT10_ENKUlT_T0_E_clISt17integral_constantIbLb1EES1B_IbLb0EEEEDaS17_S18_EUlS17_E_NS1_11comp_targetILNS1_3genE4ELNS1_11target_archE910ELNS1_3gpuE8ELNS1_3repE0EEENS1_30default_config_static_selectorELNS0_4arch9wavefront6targetE1EEEvT1_,@function
_ZN7rocprim17ROCPRIM_400000_NS6detail17trampoline_kernelINS0_14default_configENS1_25partition_config_selectorILNS1_17partition_subalgoE8ElNS0_10empty_typeEbEEZZNS1_14partition_implILS5_8ELb0ES3_jPlPS6_PKS6_NS0_5tupleIJS9_S6_EEENSD_IJSA_SA_EEENS0_18inequality_wrapperIZN2at6native12_GLOBAL__N_124unique_dim_cuda_templateIbEESt5tupleIJNSH_6TensorESM_SM_EERKSM_lbbbEUlllE0_EEPmJS6_EEE10hipError_tPvRmT3_T4_T5_T6_T7_T9_mT8_P12ihipStream_tbDpT10_ENKUlT_T0_E_clISt17integral_constantIbLb1EES1B_IbLb0EEEEDaS17_S18_EUlS17_E_NS1_11comp_targetILNS1_3genE4ELNS1_11target_archE910ELNS1_3gpuE8ELNS1_3repE0EEENS1_30default_config_static_selectorELNS0_4arch9wavefront6targetE1EEEvT1_: ; @_ZN7rocprim17ROCPRIM_400000_NS6detail17trampoline_kernelINS0_14default_configENS1_25partition_config_selectorILNS1_17partition_subalgoE8ElNS0_10empty_typeEbEEZZNS1_14partition_implILS5_8ELb0ES3_jPlPS6_PKS6_NS0_5tupleIJS9_S6_EEENSD_IJSA_SA_EEENS0_18inequality_wrapperIZN2at6native12_GLOBAL__N_124unique_dim_cuda_templateIbEESt5tupleIJNSH_6TensorESM_SM_EERKSM_lbbbEUlllE0_EEPmJS6_EEE10hipError_tPvRmT3_T4_T5_T6_T7_T9_mT8_P12ihipStream_tbDpT10_ENKUlT_T0_E_clISt17integral_constantIbLb1EES1B_IbLb0EEEEDaS17_S18_EUlS17_E_NS1_11comp_targetILNS1_3genE4ELNS1_11target_archE910ELNS1_3gpuE8ELNS1_3repE0EEENS1_30default_config_static_selectorELNS0_4arch9wavefront6targetE1EEEvT1_
; %bb.0:
	.section	.rodata,"a",@progbits
	.p2align	6, 0x0
	.amdhsa_kernel _ZN7rocprim17ROCPRIM_400000_NS6detail17trampoline_kernelINS0_14default_configENS1_25partition_config_selectorILNS1_17partition_subalgoE8ElNS0_10empty_typeEbEEZZNS1_14partition_implILS5_8ELb0ES3_jPlPS6_PKS6_NS0_5tupleIJS9_S6_EEENSD_IJSA_SA_EEENS0_18inequality_wrapperIZN2at6native12_GLOBAL__N_124unique_dim_cuda_templateIbEESt5tupleIJNSH_6TensorESM_SM_EERKSM_lbbbEUlllE0_EEPmJS6_EEE10hipError_tPvRmT3_T4_T5_T6_T7_T9_mT8_P12ihipStream_tbDpT10_ENKUlT_T0_E_clISt17integral_constantIbLb1EES1B_IbLb0EEEEDaS17_S18_EUlS17_E_NS1_11comp_targetILNS1_3genE4ELNS1_11target_archE910ELNS1_3gpuE8ELNS1_3repE0EEENS1_30default_config_static_selectorELNS0_4arch9wavefront6targetE1EEEvT1_
		.amdhsa_group_segment_fixed_size 0
		.amdhsa_private_segment_fixed_size 0
		.amdhsa_kernarg_size 120
		.amdhsa_user_sgpr_count 2
		.amdhsa_user_sgpr_dispatch_ptr 0
		.amdhsa_user_sgpr_queue_ptr 0
		.amdhsa_user_sgpr_kernarg_segment_ptr 1
		.amdhsa_user_sgpr_dispatch_id 0
		.amdhsa_user_sgpr_kernarg_preload_length 0
		.amdhsa_user_sgpr_kernarg_preload_offset 0
		.amdhsa_user_sgpr_private_segment_size 0
		.amdhsa_uses_dynamic_stack 0
		.amdhsa_enable_private_segment 0
		.amdhsa_system_sgpr_workgroup_id_x 1
		.amdhsa_system_sgpr_workgroup_id_y 0
		.amdhsa_system_sgpr_workgroup_id_z 0
		.amdhsa_system_sgpr_workgroup_info 0
		.amdhsa_system_vgpr_workitem_id 0
		.amdhsa_next_free_vgpr 1
		.amdhsa_next_free_sgpr 0
		.amdhsa_accum_offset 4
		.amdhsa_reserve_vcc 0
		.amdhsa_float_round_mode_32 0
		.amdhsa_float_round_mode_16_64 0
		.amdhsa_float_denorm_mode_32 3
		.amdhsa_float_denorm_mode_16_64 3
		.amdhsa_dx10_clamp 1
		.amdhsa_ieee_mode 1
		.amdhsa_fp16_overflow 0
		.amdhsa_tg_split 0
		.amdhsa_exception_fp_ieee_invalid_op 0
		.amdhsa_exception_fp_denorm_src 0
		.amdhsa_exception_fp_ieee_div_zero 0
		.amdhsa_exception_fp_ieee_overflow 0
		.amdhsa_exception_fp_ieee_underflow 0
		.amdhsa_exception_fp_ieee_inexact 0
		.amdhsa_exception_int_div_zero 0
	.end_amdhsa_kernel
	.section	.text._ZN7rocprim17ROCPRIM_400000_NS6detail17trampoline_kernelINS0_14default_configENS1_25partition_config_selectorILNS1_17partition_subalgoE8ElNS0_10empty_typeEbEEZZNS1_14partition_implILS5_8ELb0ES3_jPlPS6_PKS6_NS0_5tupleIJS9_S6_EEENSD_IJSA_SA_EEENS0_18inequality_wrapperIZN2at6native12_GLOBAL__N_124unique_dim_cuda_templateIbEESt5tupleIJNSH_6TensorESM_SM_EERKSM_lbbbEUlllE0_EEPmJS6_EEE10hipError_tPvRmT3_T4_T5_T6_T7_T9_mT8_P12ihipStream_tbDpT10_ENKUlT_T0_E_clISt17integral_constantIbLb1EES1B_IbLb0EEEEDaS17_S18_EUlS17_E_NS1_11comp_targetILNS1_3genE4ELNS1_11target_archE910ELNS1_3gpuE8ELNS1_3repE0EEENS1_30default_config_static_selectorELNS0_4arch9wavefront6targetE1EEEvT1_,"axG",@progbits,_ZN7rocprim17ROCPRIM_400000_NS6detail17trampoline_kernelINS0_14default_configENS1_25partition_config_selectorILNS1_17partition_subalgoE8ElNS0_10empty_typeEbEEZZNS1_14partition_implILS5_8ELb0ES3_jPlPS6_PKS6_NS0_5tupleIJS9_S6_EEENSD_IJSA_SA_EEENS0_18inequality_wrapperIZN2at6native12_GLOBAL__N_124unique_dim_cuda_templateIbEESt5tupleIJNSH_6TensorESM_SM_EERKSM_lbbbEUlllE0_EEPmJS6_EEE10hipError_tPvRmT3_T4_T5_T6_T7_T9_mT8_P12ihipStream_tbDpT10_ENKUlT_T0_E_clISt17integral_constantIbLb1EES1B_IbLb0EEEEDaS17_S18_EUlS17_E_NS1_11comp_targetILNS1_3genE4ELNS1_11target_archE910ELNS1_3gpuE8ELNS1_3repE0EEENS1_30default_config_static_selectorELNS0_4arch9wavefront6targetE1EEEvT1_,comdat
.Lfunc_end1077:
	.size	_ZN7rocprim17ROCPRIM_400000_NS6detail17trampoline_kernelINS0_14default_configENS1_25partition_config_selectorILNS1_17partition_subalgoE8ElNS0_10empty_typeEbEEZZNS1_14partition_implILS5_8ELb0ES3_jPlPS6_PKS6_NS0_5tupleIJS9_S6_EEENSD_IJSA_SA_EEENS0_18inequality_wrapperIZN2at6native12_GLOBAL__N_124unique_dim_cuda_templateIbEESt5tupleIJNSH_6TensorESM_SM_EERKSM_lbbbEUlllE0_EEPmJS6_EEE10hipError_tPvRmT3_T4_T5_T6_T7_T9_mT8_P12ihipStream_tbDpT10_ENKUlT_T0_E_clISt17integral_constantIbLb1EES1B_IbLb0EEEEDaS17_S18_EUlS17_E_NS1_11comp_targetILNS1_3genE4ELNS1_11target_archE910ELNS1_3gpuE8ELNS1_3repE0EEENS1_30default_config_static_selectorELNS0_4arch9wavefront6targetE1EEEvT1_, .Lfunc_end1077-_ZN7rocprim17ROCPRIM_400000_NS6detail17trampoline_kernelINS0_14default_configENS1_25partition_config_selectorILNS1_17partition_subalgoE8ElNS0_10empty_typeEbEEZZNS1_14partition_implILS5_8ELb0ES3_jPlPS6_PKS6_NS0_5tupleIJS9_S6_EEENSD_IJSA_SA_EEENS0_18inequality_wrapperIZN2at6native12_GLOBAL__N_124unique_dim_cuda_templateIbEESt5tupleIJNSH_6TensorESM_SM_EERKSM_lbbbEUlllE0_EEPmJS6_EEE10hipError_tPvRmT3_T4_T5_T6_T7_T9_mT8_P12ihipStream_tbDpT10_ENKUlT_T0_E_clISt17integral_constantIbLb1EES1B_IbLb0EEEEDaS17_S18_EUlS17_E_NS1_11comp_targetILNS1_3genE4ELNS1_11target_archE910ELNS1_3gpuE8ELNS1_3repE0EEENS1_30default_config_static_selectorELNS0_4arch9wavefront6targetE1EEEvT1_
                                        ; -- End function
	.section	.AMDGPU.csdata,"",@progbits
; Kernel info:
; codeLenInByte = 0
; NumSgprs: 6
; NumVgprs: 0
; NumAgprs: 0
; TotalNumVgprs: 0
; ScratchSize: 0
; MemoryBound: 0
; FloatMode: 240
; IeeeMode: 1
; LDSByteSize: 0 bytes/workgroup (compile time only)
; SGPRBlocks: 0
; VGPRBlocks: 0
; NumSGPRsForWavesPerEU: 6
; NumVGPRsForWavesPerEU: 1
; AccumOffset: 4
; Occupancy: 8
; WaveLimiterHint : 0
; COMPUTE_PGM_RSRC2:SCRATCH_EN: 0
; COMPUTE_PGM_RSRC2:USER_SGPR: 2
; COMPUTE_PGM_RSRC2:TRAP_HANDLER: 0
; COMPUTE_PGM_RSRC2:TGID_X_EN: 1
; COMPUTE_PGM_RSRC2:TGID_Y_EN: 0
; COMPUTE_PGM_RSRC2:TGID_Z_EN: 0
; COMPUTE_PGM_RSRC2:TIDIG_COMP_CNT: 0
; COMPUTE_PGM_RSRC3_GFX90A:ACCUM_OFFSET: 0
; COMPUTE_PGM_RSRC3_GFX90A:TG_SPLIT: 0
	.section	.text._ZN7rocprim17ROCPRIM_400000_NS6detail17trampoline_kernelINS0_14default_configENS1_25partition_config_selectorILNS1_17partition_subalgoE8ElNS0_10empty_typeEbEEZZNS1_14partition_implILS5_8ELb0ES3_jPlPS6_PKS6_NS0_5tupleIJS9_S6_EEENSD_IJSA_SA_EEENS0_18inequality_wrapperIZN2at6native12_GLOBAL__N_124unique_dim_cuda_templateIbEESt5tupleIJNSH_6TensorESM_SM_EERKSM_lbbbEUlllE0_EEPmJS6_EEE10hipError_tPvRmT3_T4_T5_T6_T7_T9_mT8_P12ihipStream_tbDpT10_ENKUlT_T0_E_clISt17integral_constantIbLb1EES1B_IbLb0EEEEDaS17_S18_EUlS17_E_NS1_11comp_targetILNS1_3genE3ELNS1_11target_archE908ELNS1_3gpuE7ELNS1_3repE0EEENS1_30default_config_static_selectorELNS0_4arch9wavefront6targetE1EEEvT1_,"axG",@progbits,_ZN7rocprim17ROCPRIM_400000_NS6detail17trampoline_kernelINS0_14default_configENS1_25partition_config_selectorILNS1_17partition_subalgoE8ElNS0_10empty_typeEbEEZZNS1_14partition_implILS5_8ELb0ES3_jPlPS6_PKS6_NS0_5tupleIJS9_S6_EEENSD_IJSA_SA_EEENS0_18inequality_wrapperIZN2at6native12_GLOBAL__N_124unique_dim_cuda_templateIbEESt5tupleIJNSH_6TensorESM_SM_EERKSM_lbbbEUlllE0_EEPmJS6_EEE10hipError_tPvRmT3_T4_T5_T6_T7_T9_mT8_P12ihipStream_tbDpT10_ENKUlT_T0_E_clISt17integral_constantIbLb1EES1B_IbLb0EEEEDaS17_S18_EUlS17_E_NS1_11comp_targetILNS1_3genE3ELNS1_11target_archE908ELNS1_3gpuE7ELNS1_3repE0EEENS1_30default_config_static_selectorELNS0_4arch9wavefront6targetE1EEEvT1_,comdat
	.globl	_ZN7rocprim17ROCPRIM_400000_NS6detail17trampoline_kernelINS0_14default_configENS1_25partition_config_selectorILNS1_17partition_subalgoE8ElNS0_10empty_typeEbEEZZNS1_14partition_implILS5_8ELb0ES3_jPlPS6_PKS6_NS0_5tupleIJS9_S6_EEENSD_IJSA_SA_EEENS0_18inequality_wrapperIZN2at6native12_GLOBAL__N_124unique_dim_cuda_templateIbEESt5tupleIJNSH_6TensorESM_SM_EERKSM_lbbbEUlllE0_EEPmJS6_EEE10hipError_tPvRmT3_T4_T5_T6_T7_T9_mT8_P12ihipStream_tbDpT10_ENKUlT_T0_E_clISt17integral_constantIbLb1EES1B_IbLb0EEEEDaS17_S18_EUlS17_E_NS1_11comp_targetILNS1_3genE3ELNS1_11target_archE908ELNS1_3gpuE7ELNS1_3repE0EEENS1_30default_config_static_selectorELNS0_4arch9wavefront6targetE1EEEvT1_ ; -- Begin function _ZN7rocprim17ROCPRIM_400000_NS6detail17trampoline_kernelINS0_14default_configENS1_25partition_config_selectorILNS1_17partition_subalgoE8ElNS0_10empty_typeEbEEZZNS1_14partition_implILS5_8ELb0ES3_jPlPS6_PKS6_NS0_5tupleIJS9_S6_EEENSD_IJSA_SA_EEENS0_18inequality_wrapperIZN2at6native12_GLOBAL__N_124unique_dim_cuda_templateIbEESt5tupleIJNSH_6TensorESM_SM_EERKSM_lbbbEUlllE0_EEPmJS6_EEE10hipError_tPvRmT3_T4_T5_T6_T7_T9_mT8_P12ihipStream_tbDpT10_ENKUlT_T0_E_clISt17integral_constantIbLb1EES1B_IbLb0EEEEDaS17_S18_EUlS17_E_NS1_11comp_targetILNS1_3genE3ELNS1_11target_archE908ELNS1_3gpuE7ELNS1_3repE0EEENS1_30default_config_static_selectorELNS0_4arch9wavefront6targetE1EEEvT1_
	.p2align	8
	.type	_ZN7rocprim17ROCPRIM_400000_NS6detail17trampoline_kernelINS0_14default_configENS1_25partition_config_selectorILNS1_17partition_subalgoE8ElNS0_10empty_typeEbEEZZNS1_14partition_implILS5_8ELb0ES3_jPlPS6_PKS6_NS0_5tupleIJS9_S6_EEENSD_IJSA_SA_EEENS0_18inequality_wrapperIZN2at6native12_GLOBAL__N_124unique_dim_cuda_templateIbEESt5tupleIJNSH_6TensorESM_SM_EERKSM_lbbbEUlllE0_EEPmJS6_EEE10hipError_tPvRmT3_T4_T5_T6_T7_T9_mT8_P12ihipStream_tbDpT10_ENKUlT_T0_E_clISt17integral_constantIbLb1EES1B_IbLb0EEEEDaS17_S18_EUlS17_E_NS1_11comp_targetILNS1_3genE3ELNS1_11target_archE908ELNS1_3gpuE7ELNS1_3repE0EEENS1_30default_config_static_selectorELNS0_4arch9wavefront6targetE1EEEvT1_,@function
_ZN7rocprim17ROCPRIM_400000_NS6detail17trampoline_kernelINS0_14default_configENS1_25partition_config_selectorILNS1_17partition_subalgoE8ElNS0_10empty_typeEbEEZZNS1_14partition_implILS5_8ELb0ES3_jPlPS6_PKS6_NS0_5tupleIJS9_S6_EEENSD_IJSA_SA_EEENS0_18inequality_wrapperIZN2at6native12_GLOBAL__N_124unique_dim_cuda_templateIbEESt5tupleIJNSH_6TensorESM_SM_EERKSM_lbbbEUlllE0_EEPmJS6_EEE10hipError_tPvRmT3_T4_T5_T6_T7_T9_mT8_P12ihipStream_tbDpT10_ENKUlT_T0_E_clISt17integral_constantIbLb1EES1B_IbLb0EEEEDaS17_S18_EUlS17_E_NS1_11comp_targetILNS1_3genE3ELNS1_11target_archE908ELNS1_3gpuE7ELNS1_3repE0EEENS1_30default_config_static_selectorELNS0_4arch9wavefront6targetE1EEEvT1_: ; @_ZN7rocprim17ROCPRIM_400000_NS6detail17trampoline_kernelINS0_14default_configENS1_25partition_config_selectorILNS1_17partition_subalgoE8ElNS0_10empty_typeEbEEZZNS1_14partition_implILS5_8ELb0ES3_jPlPS6_PKS6_NS0_5tupleIJS9_S6_EEENSD_IJSA_SA_EEENS0_18inequality_wrapperIZN2at6native12_GLOBAL__N_124unique_dim_cuda_templateIbEESt5tupleIJNSH_6TensorESM_SM_EERKSM_lbbbEUlllE0_EEPmJS6_EEE10hipError_tPvRmT3_T4_T5_T6_T7_T9_mT8_P12ihipStream_tbDpT10_ENKUlT_T0_E_clISt17integral_constantIbLb1EES1B_IbLb0EEEEDaS17_S18_EUlS17_E_NS1_11comp_targetILNS1_3genE3ELNS1_11target_archE908ELNS1_3gpuE7ELNS1_3repE0EEENS1_30default_config_static_selectorELNS0_4arch9wavefront6targetE1EEEvT1_
; %bb.0:
	.section	.rodata,"a",@progbits
	.p2align	6, 0x0
	.amdhsa_kernel _ZN7rocprim17ROCPRIM_400000_NS6detail17trampoline_kernelINS0_14default_configENS1_25partition_config_selectorILNS1_17partition_subalgoE8ElNS0_10empty_typeEbEEZZNS1_14partition_implILS5_8ELb0ES3_jPlPS6_PKS6_NS0_5tupleIJS9_S6_EEENSD_IJSA_SA_EEENS0_18inequality_wrapperIZN2at6native12_GLOBAL__N_124unique_dim_cuda_templateIbEESt5tupleIJNSH_6TensorESM_SM_EERKSM_lbbbEUlllE0_EEPmJS6_EEE10hipError_tPvRmT3_T4_T5_T6_T7_T9_mT8_P12ihipStream_tbDpT10_ENKUlT_T0_E_clISt17integral_constantIbLb1EES1B_IbLb0EEEEDaS17_S18_EUlS17_E_NS1_11comp_targetILNS1_3genE3ELNS1_11target_archE908ELNS1_3gpuE7ELNS1_3repE0EEENS1_30default_config_static_selectorELNS0_4arch9wavefront6targetE1EEEvT1_
		.amdhsa_group_segment_fixed_size 0
		.amdhsa_private_segment_fixed_size 0
		.amdhsa_kernarg_size 120
		.amdhsa_user_sgpr_count 2
		.amdhsa_user_sgpr_dispatch_ptr 0
		.amdhsa_user_sgpr_queue_ptr 0
		.amdhsa_user_sgpr_kernarg_segment_ptr 1
		.amdhsa_user_sgpr_dispatch_id 0
		.amdhsa_user_sgpr_kernarg_preload_length 0
		.amdhsa_user_sgpr_kernarg_preload_offset 0
		.amdhsa_user_sgpr_private_segment_size 0
		.amdhsa_uses_dynamic_stack 0
		.amdhsa_enable_private_segment 0
		.amdhsa_system_sgpr_workgroup_id_x 1
		.amdhsa_system_sgpr_workgroup_id_y 0
		.amdhsa_system_sgpr_workgroup_id_z 0
		.amdhsa_system_sgpr_workgroup_info 0
		.amdhsa_system_vgpr_workitem_id 0
		.amdhsa_next_free_vgpr 1
		.amdhsa_next_free_sgpr 0
		.amdhsa_accum_offset 4
		.amdhsa_reserve_vcc 0
		.amdhsa_float_round_mode_32 0
		.amdhsa_float_round_mode_16_64 0
		.amdhsa_float_denorm_mode_32 3
		.amdhsa_float_denorm_mode_16_64 3
		.amdhsa_dx10_clamp 1
		.amdhsa_ieee_mode 1
		.amdhsa_fp16_overflow 0
		.amdhsa_tg_split 0
		.amdhsa_exception_fp_ieee_invalid_op 0
		.amdhsa_exception_fp_denorm_src 0
		.amdhsa_exception_fp_ieee_div_zero 0
		.amdhsa_exception_fp_ieee_overflow 0
		.amdhsa_exception_fp_ieee_underflow 0
		.amdhsa_exception_fp_ieee_inexact 0
		.amdhsa_exception_int_div_zero 0
	.end_amdhsa_kernel
	.section	.text._ZN7rocprim17ROCPRIM_400000_NS6detail17trampoline_kernelINS0_14default_configENS1_25partition_config_selectorILNS1_17partition_subalgoE8ElNS0_10empty_typeEbEEZZNS1_14partition_implILS5_8ELb0ES3_jPlPS6_PKS6_NS0_5tupleIJS9_S6_EEENSD_IJSA_SA_EEENS0_18inequality_wrapperIZN2at6native12_GLOBAL__N_124unique_dim_cuda_templateIbEESt5tupleIJNSH_6TensorESM_SM_EERKSM_lbbbEUlllE0_EEPmJS6_EEE10hipError_tPvRmT3_T4_T5_T6_T7_T9_mT8_P12ihipStream_tbDpT10_ENKUlT_T0_E_clISt17integral_constantIbLb1EES1B_IbLb0EEEEDaS17_S18_EUlS17_E_NS1_11comp_targetILNS1_3genE3ELNS1_11target_archE908ELNS1_3gpuE7ELNS1_3repE0EEENS1_30default_config_static_selectorELNS0_4arch9wavefront6targetE1EEEvT1_,"axG",@progbits,_ZN7rocprim17ROCPRIM_400000_NS6detail17trampoline_kernelINS0_14default_configENS1_25partition_config_selectorILNS1_17partition_subalgoE8ElNS0_10empty_typeEbEEZZNS1_14partition_implILS5_8ELb0ES3_jPlPS6_PKS6_NS0_5tupleIJS9_S6_EEENSD_IJSA_SA_EEENS0_18inequality_wrapperIZN2at6native12_GLOBAL__N_124unique_dim_cuda_templateIbEESt5tupleIJNSH_6TensorESM_SM_EERKSM_lbbbEUlllE0_EEPmJS6_EEE10hipError_tPvRmT3_T4_T5_T6_T7_T9_mT8_P12ihipStream_tbDpT10_ENKUlT_T0_E_clISt17integral_constantIbLb1EES1B_IbLb0EEEEDaS17_S18_EUlS17_E_NS1_11comp_targetILNS1_3genE3ELNS1_11target_archE908ELNS1_3gpuE7ELNS1_3repE0EEENS1_30default_config_static_selectorELNS0_4arch9wavefront6targetE1EEEvT1_,comdat
.Lfunc_end1078:
	.size	_ZN7rocprim17ROCPRIM_400000_NS6detail17trampoline_kernelINS0_14default_configENS1_25partition_config_selectorILNS1_17partition_subalgoE8ElNS0_10empty_typeEbEEZZNS1_14partition_implILS5_8ELb0ES3_jPlPS6_PKS6_NS0_5tupleIJS9_S6_EEENSD_IJSA_SA_EEENS0_18inequality_wrapperIZN2at6native12_GLOBAL__N_124unique_dim_cuda_templateIbEESt5tupleIJNSH_6TensorESM_SM_EERKSM_lbbbEUlllE0_EEPmJS6_EEE10hipError_tPvRmT3_T4_T5_T6_T7_T9_mT8_P12ihipStream_tbDpT10_ENKUlT_T0_E_clISt17integral_constantIbLb1EES1B_IbLb0EEEEDaS17_S18_EUlS17_E_NS1_11comp_targetILNS1_3genE3ELNS1_11target_archE908ELNS1_3gpuE7ELNS1_3repE0EEENS1_30default_config_static_selectorELNS0_4arch9wavefront6targetE1EEEvT1_, .Lfunc_end1078-_ZN7rocprim17ROCPRIM_400000_NS6detail17trampoline_kernelINS0_14default_configENS1_25partition_config_selectorILNS1_17partition_subalgoE8ElNS0_10empty_typeEbEEZZNS1_14partition_implILS5_8ELb0ES3_jPlPS6_PKS6_NS0_5tupleIJS9_S6_EEENSD_IJSA_SA_EEENS0_18inequality_wrapperIZN2at6native12_GLOBAL__N_124unique_dim_cuda_templateIbEESt5tupleIJNSH_6TensorESM_SM_EERKSM_lbbbEUlllE0_EEPmJS6_EEE10hipError_tPvRmT3_T4_T5_T6_T7_T9_mT8_P12ihipStream_tbDpT10_ENKUlT_T0_E_clISt17integral_constantIbLb1EES1B_IbLb0EEEEDaS17_S18_EUlS17_E_NS1_11comp_targetILNS1_3genE3ELNS1_11target_archE908ELNS1_3gpuE7ELNS1_3repE0EEENS1_30default_config_static_selectorELNS0_4arch9wavefront6targetE1EEEvT1_
                                        ; -- End function
	.section	.AMDGPU.csdata,"",@progbits
; Kernel info:
; codeLenInByte = 0
; NumSgprs: 6
; NumVgprs: 0
; NumAgprs: 0
; TotalNumVgprs: 0
; ScratchSize: 0
; MemoryBound: 0
; FloatMode: 240
; IeeeMode: 1
; LDSByteSize: 0 bytes/workgroup (compile time only)
; SGPRBlocks: 0
; VGPRBlocks: 0
; NumSGPRsForWavesPerEU: 6
; NumVGPRsForWavesPerEU: 1
; AccumOffset: 4
; Occupancy: 8
; WaveLimiterHint : 0
; COMPUTE_PGM_RSRC2:SCRATCH_EN: 0
; COMPUTE_PGM_RSRC2:USER_SGPR: 2
; COMPUTE_PGM_RSRC2:TRAP_HANDLER: 0
; COMPUTE_PGM_RSRC2:TGID_X_EN: 1
; COMPUTE_PGM_RSRC2:TGID_Y_EN: 0
; COMPUTE_PGM_RSRC2:TGID_Z_EN: 0
; COMPUTE_PGM_RSRC2:TIDIG_COMP_CNT: 0
; COMPUTE_PGM_RSRC3_GFX90A:ACCUM_OFFSET: 0
; COMPUTE_PGM_RSRC3_GFX90A:TG_SPLIT: 0
	.section	.text._ZN7rocprim17ROCPRIM_400000_NS6detail17trampoline_kernelINS0_14default_configENS1_25partition_config_selectorILNS1_17partition_subalgoE8ElNS0_10empty_typeEbEEZZNS1_14partition_implILS5_8ELb0ES3_jPlPS6_PKS6_NS0_5tupleIJS9_S6_EEENSD_IJSA_SA_EEENS0_18inequality_wrapperIZN2at6native12_GLOBAL__N_124unique_dim_cuda_templateIbEESt5tupleIJNSH_6TensorESM_SM_EERKSM_lbbbEUlllE0_EEPmJS6_EEE10hipError_tPvRmT3_T4_T5_T6_T7_T9_mT8_P12ihipStream_tbDpT10_ENKUlT_T0_E_clISt17integral_constantIbLb1EES1B_IbLb0EEEEDaS17_S18_EUlS17_E_NS1_11comp_targetILNS1_3genE2ELNS1_11target_archE906ELNS1_3gpuE6ELNS1_3repE0EEENS1_30default_config_static_selectorELNS0_4arch9wavefront6targetE1EEEvT1_,"axG",@progbits,_ZN7rocprim17ROCPRIM_400000_NS6detail17trampoline_kernelINS0_14default_configENS1_25partition_config_selectorILNS1_17partition_subalgoE8ElNS0_10empty_typeEbEEZZNS1_14partition_implILS5_8ELb0ES3_jPlPS6_PKS6_NS0_5tupleIJS9_S6_EEENSD_IJSA_SA_EEENS0_18inequality_wrapperIZN2at6native12_GLOBAL__N_124unique_dim_cuda_templateIbEESt5tupleIJNSH_6TensorESM_SM_EERKSM_lbbbEUlllE0_EEPmJS6_EEE10hipError_tPvRmT3_T4_T5_T6_T7_T9_mT8_P12ihipStream_tbDpT10_ENKUlT_T0_E_clISt17integral_constantIbLb1EES1B_IbLb0EEEEDaS17_S18_EUlS17_E_NS1_11comp_targetILNS1_3genE2ELNS1_11target_archE906ELNS1_3gpuE6ELNS1_3repE0EEENS1_30default_config_static_selectorELNS0_4arch9wavefront6targetE1EEEvT1_,comdat
	.globl	_ZN7rocprim17ROCPRIM_400000_NS6detail17trampoline_kernelINS0_14default_configENS1_25partition_config_selectorILNS1_17partition_subalgoE8ElNS0_10empty_typeEbEEZZNS1_14partition_implILS5_8ELb0ES3_jPlPS6_PKS6_NS0_5tupleIJS9_S6_EEENSD_IJSA_SA_EEENS0_18inequality_wrapperIZN2at6native12_GLOBAL__N_124unique_dim_cuda_templateIbEESt5tupleIJNSH_6TensorESM_SM_EERKSM_lbbbEUlllE0_EEPmJS6_EEE10hipError_tPvRmT3_T4_T5_T6_T7_T9_mT8_P12ihipStream_tbDpT10_ENKUlT_T0_E_clISt17integral_constantIbLb1EES1B_IbLb0EEEEDaS17_S18_EUlS17_E_NS1_11comp_targetILNS1_3genE2ELNS1_11target_archE906ELNS1_3gpuE6ELNS1_3repE0EEENS1_30default_config_static_selectorELNS0_4arch9wavefront6targetE1EEEvT1_ ; -- Begin function _ZN7rocprim17ROCPRIM_400000_NS6detail17trampoline_kernelINS0_14default_configENS1_25partition_config_selectorILNS1_17partition_subalgoE8ElNS0_10empty_typeEbEEZZNS1_14partition_implILS5_8ELb0ES3_jPlPS6_PKS6_NS0_5tupleIJS9_S6_EEENSD_IJSA_SA_EEENS0_18inequality_wrapperIZN2at6native12_GLOBAL__N_124unique_dim_cuda_templateIbEESt5tupleIJNSH_6TensorESM_SM_EERKSM_lbbbEUlllE0_EEPmJS6_EEE10hipError_tPvRmT3_T4_T5_T6_T7_T9_mT8_P12ihipStream_tbDpT10_ENKUlT_T0_E_clISt17integral_constantIbLb1EES1B_IbLb0EEEEDaS17_S18_EUlS17_E_NS1_11comp_targetILNS1_3genE2ELNS1_11target_archE906ELNS1_3gpuE6ELNS1_3repE0EEENS1_30default_config_static_selectorELNS0_4arch9wavefront6targetE1EEEvT1_
	.p2align	8
	.type	_ZN7rocprim17ROCPRIM_400000_NS6detail17trampoline_kernelINS0_14default_configENS1_25partition_config_selectorILNS1_17partition_subalgoE8ElNS0_10empty_typeEbEEZZNS1_14partition_implILS5_8ELb0ES3_jPlPS6_PKS6_NS0_5tupleIJS9_S6_EEENSD_IJSA_SA_EEENS0_18inequality_wrapperIZN2at6native12_GLOBAL__N_124unique_dim_cuda_templateIbEESt5tupleIJNSH_6TensorESM_SM_EERKSM_lbbbEUlllE0_EEPmJS6_EEE10hipError_tPvRmT3_T4_T5_T6_T7_T9_mT8_P12ihipStream_tbDpT10_ENKUlT_T0_E_clISt17integral_constantIbLb1EES1B_IbLb0EEEEDaS17_S18_EUlS17_E_NS1_11comp_targetILNS1_3genE2ELNS1_11target_archE906ELNS1_3gpuE6ELNS1_3repE0EEENS1_30default_config_static_selectorELNS0_4arch9wavefront6targetE1EEEvT1_,@function
_ZN7rocprim17ROCPRIM_400000_NS6detail17trampoline_kernelINS0_14default_configENS1_25partition_config_selectorILNS1_17partition_subalgoE8ElNS0_10empty_typeEbEEZZNS1_14partition_implILS5_8ELb0ES3_jPlPS6_PKS6_NS0_5tupleIJS9_S6_EEENSD_IJSA_SA_EEENS0_18inequality_wrapperIZN2at6native12_GLOBAL__N_124unique_dim_cuda_templateIbEESt5tupleIJNSH_6TensorESM_SM_EERKSM_lbbbEUlllE0_EEPmJS6_EEE10hipError_tPvRmT3_T4_T5_T6_T7_T9_mT8_P12ihipStream_tbDpT10_ENKUlT_T0_E_clISt17integral_constantIbLb1EES1B_IbLb0EEEEDaS17_S18_EUlS17_E_NS1_11comp_targetILNS1_3genE2ELNS1_11target_archE906ELNS1_3gpuE6ELNS1_3repE0EEENS1_30default_config_static_selectorELNS0_4arch9wavefront6targetE1EEEvT1_: ; @_ZN7rocprim17ROCPRIM_400000_NS6detail17trampoline_kernelINS0_14default_configENS1_25partition_config_selectorILNS1_17partition_subalgoE8ElNS0_10empty_typeEbEEZZNS1_14partition_implILS5_8ELb0ES3_jPlPS6_PKS6_NS0_5tupleIJS9_S6_EEENSD_IJSA_SA_EEENS0_18inequality_wrapperIZN2at6native12_GLOBAL__N_124unique_dim_cuda_templateIbEESt5tupleIJNSH_6TensorESM_SM_EERKSM_lbbbEUlllE0_EEPmJS6_EEE10hipError_tPvRmT3_T4_T5_T6_T7_T9_mT8_P12ihipStream_tbDpT10_ENKUlT_T0_E_clISt17integral_constantIbLb1EES1B_IbLb0EEEEDaS17_S18_EUlS17_E_NS1_11comp_targetILNS1_3genE2ELNS1_11target_archE906ELNS1_3gpuE6ELNS1_3repE0EEENS1_30default_config_static_selectorELNS0_4arch9wavefront6targetE1EEEvT1_
; %bb.0:
	.section	.rodata,"a",@progbits
	.p2align	6, 0x0
	.amdhsa_kernel _ZN7rocprim17ROCPRIM_400000_NS6detail17trampoline_kernelINS0_14default_configENS1_25partition_config_selectorILNS1_17partition_subalgoE8ElNS0_10empty_typeEbEEZZNS1_14partition_implILS5_8ELb0ES3_jPlPS6_PKS6_NS0_5tupleIJS9_S6_EEENSD_IJSA_SA_EEENS0_18inequality_wrapperIZN2at6native12_GLOBAL__N_124unique_dim_cuda_templateIbEESt5tupleIJNSH_6TensorESM_SM_EERKSM_lbbbEUlllE0_EEPmJS6_EEE10hipError_tPvRmT3_T4_T5_T6_T7_T9_mT8_P12ihipStream_tbDpT10_ENKUlT_T0_E_clISt17integral_constantIbLb1EES1B_IbLb0EEEEDaS17_S18_EUlS17_E_NS1_11comp_targetILNS1_3genE2ELNS1_11target_archE906ELNS1_3gpuE6ELNS1_3repE0EEENS1_30default_config_static_selectorELNS0_4arch9wavefront6targetE1EEEvT1_
		.amdhsa_group_segment_fixed_size 0
		.amdhsa_private_segment_fixed_size 0
		.amdhsa_kernarg_size 120
		.amdhsa_user_sgpr_count 2
		.amdhsa_user_sgpr_dispatch_ptr 0
		.amdhsa_user_sgpr_queue_ptr 0
		.amdhsa_user_sgpr_kernarg_segment_ptr 1
		.amdhsa_user_sgpr_dispatch_id 0
		.amdhsa_user_sgpr_kernarg_preload_length 0
		.amdhsa_user_sgpr_kernarg_preload_offset 0
		.amdhsa_user_sgpr_private_segment_size 0
		.amdhsa_uses_dynamic_stack 0
		.amdhsa_enable_private_segment 0
		.amdhsa_system_sgpr_workgroup_id_x 1
		.amdhsa_system_sgpr_workgroup_id_y 0
		.amdhsa_system_sgpr_workgroup_id_z 0
		.amdhsa_system_sgpr_workgroup_info 0
		.amdhsa_system_vgpr_workitem_id 0
		.amdhsa_next_free_vgpr 1
		.amdhsa_next_free_sgpr 0
		.amdhsa_accum_offset 4
		.amdhsa_reserve_vcc 0
		.amdhsa_float_round_mode_32 0
		.amdhsa_float_round_mode_16_64 0
		.amdhsa_float_denorm_mode_32 3
		.amdhsa_float_denorm_mode_16_64 3
		.amdhsa_dx10_clamp 1
		.amdhsa_ieee_mode 1
		.amdhsa_fp16_overflow 0
		.amdhsa_tg_split 0
		.amdhsa_exception_fp_ieee_invalid_op 0
		.amdhsa_exception_fp_denorm_src 0
		.amdhsa_exception_fp_ieee_div_zero 0
		.amdhsa_exception_fp_ieee_overflow 0
		.amdhsa_exception_fp_ieee_underflow 0
		.amdhsa_exception_fp_ieee_inexact 0
		.amdhsa_exception_int_div_zero 0
	.end_amdhsa_kernel
	.section	.text._ZN7rocprim17ROCPRIM_400000_NS6detail17trampoline_kernelINS0_14default_configENS1_25partition_config_selectorILNS1_17partition_subalgoE8ElNS0_10empty_typeEbEEZZNS1_14partition_implILS5_8ELb0ES3_jPlPS6_PKS6_NS0_5tupleIJS9_S6_EEENSD_IJSA_SA_EEENS0_18inequality_wrapperIZN2at6native12_GLOBAL__N_124unique_dim_cuda_templateIbEESt5tupleIJNSH_6TensorESM_SM_EERKSM_lbbbEUlllE0_EEPmJS6_EEE10hipError_tPvRmT3_T4_T5_T6_T7_T9_mT8_P12ihipStream_tbDpT10_ENKUlT_T0_E_clISt17integral_constantIbLb1EES1B_IbLb0EEEEDaS17_S18_EUlS17_E_NS1_11comp_targetILNS1_3genE2ELNS1_11target_archE906ELNS1_3gpuE6ELNS1_3repE0EEENS1_30default_config_static_selectorELNS0_4arch9wavefront6targetE1EEEvT1_,"axG",@progbits,_ZN7rocprim17ROCPRIM_400000_NS6detail17trampoline_kernelINS0_14default_configENS1_25partition_config_selectorILNS1_17partition_subalgoE8ElNS0_10empty_typeEbEEZZNS1_14partition_implILS5_8ELb0ES3_jPlPS6_PKS6_NS0_5tupleIJS9_S6_EEENSD_IJSA_SA_EEENS0_18inequality_wrapperIZN2at6native12_GLOBAL__N_124unique_dim_cuda_templateIbEESt5tupleIJNSH_6TensorESM_SM_EERKSM_lbbbEUlllE0_EEPmJS6_EEE10hipError_tPvRmT3_T4_T5_T6_T7_T9_mT8_P12ihipStream_tbDpT10_ENKUlT_T0_E_clISt17integral_constantIbLb1EES1B_IbLb0EEEEDaS17_S18_EUlS17_E_NS1_11comp_targetILNS1_3genE2ELNS1_11target_archE906ELNS1_3gpuE6ELNS1_3repE0EEENS1_30default_config_static_selectorELNS0_4arch9wavefront6targetE1EEEvT1_,comdat
.Lfunc_end1079:
	.size	_ZN7rocprim17ROCPRIM_400000_NS6detail17trampoline_kernelINS0_14default_configENS1_25partition_config_selectorILNS1_17partition_subalgoE8ElNS0_10empty_typeEbEEZZNS1_14partition_implILS5_8ELb0ES3_jPlPS6_PKS6_NS0_5tupleIJS9_S6_EEENSD_IJSA_SA_EEENS0_18inequality_wrapperIZN2at6native12_GLOBAL__N_124unique_dim_cuda_templateIbEESt5tupleIJNSH_6TensorESM_SM_EERKSM_lbbbEUlllE0_EEPmJS6_EEE10hipError_tPvRmT3_T4_T5_T6_T7_T9_mT8_P12ihipStream_tbDpT10_ENKUlT_T0_E_clISt17integral_constantIbLb1EES1B_IbLb0EEEEDaS17_S18_EUlS17_E_NS1_11comp_targetILNS1_3genE2ELNS1_11target_archE906ELNS1_3gpuE6ELNS1_3repE0EEENS1_30default_config_static_selectorELNS0_4arch9wavefront6targetE1EEEvT1_, .Lfunc_end1079-_ZN7rocprim17ROCPRIM_400000_NS6detail17trampoline_kernelINS0_14default_configENS1_25partition_config_selectorILNS1_17partition_subalgoE8ElNS0_10empty_typeEbEEZZNS1_14partition_implILS5_8ELb0ES3_jPlPS6_PKS6_NS0_5tupleIJS9_S6_EEENSD_IJSA_SA_EEENS0_18inequality_wrapperIZN2at6native12_GLOBAL__N_124unique_dim_cuda_templateIbEESt5tupleIJNSH_6TensorESM_SM_EERKSM_lbbbEUlllE0_EEPmJS6_EEE10hipError_tPvRmT3_T4_T5_T6_T7_T9_mT8_P12ihipStream_tbDpT10_ENKUlT_T0_E_clISt17integral_constantIbLb1EES1B_IbLb0EEEEDaS17_S18_EUlS17_E_NS1_11comp_targetILNS1_3genE2ELNS1_11target_archE906ELNS1_3gpuE6ELNS1_3repE0EEENS1_30default_config_static_selectorELNS0_4arch9wavefront6targetE1EEEvT1_
                                        ; -- End function
	.section	.AMDGPU.csdata,"",@progbits
; Kernel info:
; codeLenInByte = 0
; NumSgprs: 6
; NumVgprs: 0
; NumAgprs: 0
; TotalNumVgprs: 0
; ScratchSize: 0
; MemoryBound: 0
; FloatMode: 240
; IeeeMode: 1
; LDSByteSize: 0 bytes/workgroup (compile time only)
; SGPRBlocks: 0
; VGPRBlocks: 0
; NumSGPRsForWavesPerEU: 6
; NumVGPRsForWavesPerEU: 1
; AccumOffset: 4
; Occupancy: 8
; WaveLimiterHint : 0
; COMPUTE_PGM_RSRC2:SCRATCH_EN: 0
; COMPUTE_PGM_RSRC2:USER_SGPR: 2
; COMPUTE_PGM_RSRC2:TRAP_HANDLER: 0
; COMPUTE_PGM_RSRC2:TGID_X_EN: 1
; COMPUTE_PGM_RSRC2:TGID_Y_EN: 0
; COMPUTE_PGM_RSRC2:TGID_Z_EN: 0
; COMPUTE_PGM_RSRC2:TIDIG_COMP_CNT: 0
; COMPUTE_PGM_RSRC3_GFX90A:ACCUM_OFFSET: 0
; COMPUTE_PGM_RSRC3_GFX90A:TG_SPLIT: 0
	.section	.text._ZN7rocprim17ROCPRIM_400000_NS6detail17trampoline_kernelINS0_14default_configENS1_25partition_config_selectorILNS1_17partition_subalgoE8ElNS0_10empty_typeEbEEZZNS1_14partition_implILS5_8ELb0ES3_jPlPS6_PKS6_NS0_5tupleIJS9_S6_EEENSD_IJSA_SA_EEENS0_18inequality_wrapperIZN2at6native12_GLOBAL__N_124unique_dim_cuda_templateIbEESt5tupleIJNSH_6TensorESM_SM_EERKSM_lbbbEUlllE0_EEPmJS6_EEE10hipError_tPvRmT3_T4_T5_T6_T7_T9_mT8_P12ihipStream_tbDpT10_ENKUlT_T0_E_clISt17integral_constantIbLb1EES1B_IbLb0EEEEDaS17_S18_EUlS17_E_NS1_11comp_targetILNS1_3genE10ELNS1_11target_archE1200ELNS1_3gpuE4ELNS1_3repE0EEENS1_30default_config_static_selectorELNS0_4arch9wavefront6targetE1EEEvT1_,"axG",@progbits,_ZN7rocprim17ROCPRIM_400000_NS6detail17trampoline_kernelINS0_14default_configENS1_25partition_config_selectorILNS1_17partition_subalgoE8ElNS0_10empty_typeEbEEZZNS1_14partition_implILS5_8ELb0ES3_jPlPS6_PKS6_NS0_5tupleIJS9_S6_EEENSD_IJSA_SA_EEENS0_18inequality_wrapperIZN2at6native12_GLOBAL__N_124unique_dim_cuda_templateIbEESt5tupleIJNSH_6TensorESM_SM_EERKSM_lbbbEUlllE0_EEPmJS6_EEE10hipError_tPvRmT3_T4_T5_T6_T7_T9_mT8_P12ihipStream_tbDpT10_ENKUlT_T0_E_clISt17integral_constantIbLb1EES1B_IbLb0EEEEDaS17_S18_EUlS17_E_NS1_11comp_targetILNS1_3genE10ELNS1_11target_archE1200ELNS1_3gpuE4ELNS1_3repE0EEENS1_30default_config_static_selectorELNS0_4arch9wavefront6targetE1EEEvT1_,comdat
	.globl	_ZN7rocprim17ROCPRIM_400000_NS6detail17trampoline_kernelINS0_14default_configENS1_25partition_config_selectorILNS1_17partition_subalgoE8ElNS0_10empty_typeEbEEZZNS1_14partition_implILS5_8ELb0ES3_jPlPS6_PKS6_NS0_5tupleIJS9_S6_EEENSD_IJSA_SA_EEENS0_18inequality_wrapperIZN2at6native12_GLOBAL__N_124unique_dim_cuda_templateIbEESt5tupleIJNSH_6TensorESM_SM_EERKSM_lbbbEUlllE0_EEPmJS6_EEE10hipError_tPvRmT3_T4_T5_T6_T7_T9_mT8_P12ihipStream_tbDpT10_ENKUlT_T0_E_clISt17integral_constantIbLb1EES1B_IbLb0EEEEDaS17_S18_EUlS17_E_NS1_11comp_targetILNS1_3genE10ELNS1_11target_archE1200ELNS1_3gpuE4ELNS1_3repE0EEENS1_30default_config_static_selectorELNS0_4arch9wavefront6targetE1EEEvT1_ ; -- Begin function _ZN7rocprim17ROCPRIM_400000_NS6detail17trampoline_kernelINS0_14default_configENS1_25partition_config_selectorILNS1_17partition_subalgoE8ElNS0_10empty_typeEbEEZZNS1_14partition_implILS5_8ELb0ES3_jPlPS6_PKS6_NS0_5tupleIJS9_S6_EEENSD_IJSA_SA_EEENS0_18inequality_wrapperIZN2at6native12_GLOBAL__N_124unique_dim_cuda_templateIbEESt5tupleIJNSH_6TensorESM_SM_EERKSM_lbbbEUlllE0_EEPmJS6_EEE10hipError_tPvRmT3_T4_T5_T6_T7_T9_mT8_P12ihipStream_tbDpT10_ENKUlT_T0_E_clISt17integral_constantIbLb1EES1B_IbLb0EEEEDaS17_S18_EUlS17_E_NS1_11comp_targetILNS1_3genE10ELNS1_11target_archE1200ELNS1_3gpuE4ELNS1_3repE0EEENS1_30default_config_static_selectorELNS0_4arch9wavefront6targetE1EEEvT1_
	.p2align	8
	.type	_ZN7rocprim17ROCPRIM_400000_NS6detail17trampoline_kernelINS0_14default_configENS1_25partition_config_selectorILNS1_17partition_subalgoE8ElNS0_10empty_typeEbEEZZNS1_14partition_implILS5_8ELb0ES3_jPlPS6_PKS6_NS0_5tupleIJS9_S6_EEENSD_IJSA_SA_EEENS0_18inequality_wrapperIZN2at6native12_GLOBAL__N_124unique_dim_cuda_templateIbEESt5tupleIJNSH_6TensorESM_SM_EERKSM_lbbbEUlllE0_EEPmJS6_EEE10hipError_tPvRmT3_T4_T5_T6_T7_T9_mT8_P12ihipStream_tbDpT10_ENKUlT_T0_E_clISt17integral_constantIbLb1EES1B_IbLb0EEEEDaS17_S18_EUlS17_E_NS1_11comp_targetILNS1_3genE10ELNS1_11target_archE1200ELNS1_3gpuE4ELNS1_3repE0EEENS1_30default_config_static_selectorELNS0_4arch9wavefront6targetE1EEEvT1_,@function
_ZN7rocprim17ROCPRIM_400000_NS6detail17trampoline_kernelINS0_14default_configENS1_25partition_config_selectorILNS1_17partition_subalgoE8ElNS0_10empty_typeEbEEZZNS1_14partition_implILS5_8ELb0ES3_jPlPS6_PKS6_NS0_5tupleIJS9_S6_EEENSD_IJSA_SA_EEENS0_18inequality_wrapperIZN2at6native12_GLOBAL__N_124unique_dim_cuda_templateIbEESt5tupleIJNSH_6TensorESM_SM_EERKSM_lbbbEUlllE0_EEPmJS6_EEE10hipError_tPvRmT3_T4_T5_T6_T7_T9_mT8_P12ihipStream_tbDpT10_ENKUlT_T0_E_clISt17integral_constantIbLb1EES1B_IbLb0EEEEDaS17_S18_EUlS17_E_NS1_11comp_targetILNS1_3genE10ELNS1_11target_archE1200ELNS1_3gpuE4ELNS1_3repE0EEENS1_30default_config_static_selectorELNS0_4arch9wavefront6targetE1EEEvT1_: ; @_ZN7rocprim17ROCPRIM_400000_NS6detail17trampoline_kernelINS0_14default_configENS1_25partition_config_selectorILNS1_17partition_subalgoE8ElNS0_10empty_typeEbEEZZNS1_14partition_implILS5_8ELb0ES3_jPlPS6_PKS6_NS0_5tupleIJS9_S6_EEENSD_IJSA_SA_EEENS0_18inequality_wrapperIZN2at6native12_GLOBAL__N_124unique_dim_cuda_templateIbEESt5tupleIJNSH_6TensorESM_SM_EERKSM_lbbbEUlllE0_EEPmJS6_EEE10hipError_tPvRmT3_T4_T5_T6_T7_T9_mT8_P12ihipStream_tbDpT10_ENKUlT_T0_E_clISt17integral_constantIbLb1EES1B_IbLb0EEEEDaS17_S18_EUlS17_E_NS1_11comp_targetILNS1_3genE10ELNS1_11target_archE1200ELNS1_3gpuE4ELNS1_3repE0EEENS1_30default_config_static_selectorELNS0_4arch9wavefront6targetE1EEEvT1_
; %bb.0:
	.section	.rodata,"a",@progbits
	.p2align	6, 0x0
	.amdhsa_kernel _ZN7rocprim17ROCPRIM_400000_NS6detail17trampoline_kernelINS0_14default_configENS1_25partition_config_selectorILNS1_17partition_subalgoE8ElNS0_10empty_typeEbEEZZNS1_14partition_implILS5_8ELb0ES3_jPlPS6_PKS6_NS0_5tupleIJS9_S6_EEENSD_IJSA_SA_EEENS0_18inequality_wrapperIZN2at6native12_GLOBAL__N_124unique_dim_cuda_templateIbEESt5tupleIJNSH_6TensorESM_SM_EERKSM_lbbbEUlllE0_EEPmJS6_EEE10hipError_tPvRmT3_T4_T5_T6_T7_T9_mT8_P12ihipStream_tbDpT10_ENKUlT_T0_E_clISt17integral_constantIbLb1EES1B_IbLb0EEEEDaS17_S18_EUlS17_E_NS1_11comp_targetILNS1_3genE10ELNS1_11target_archE1200ELNS1_3gpuE4ELNS1_3repE0EEENS1_30default_config_static_selectorELNS0_4arch9wavefront6targetE1EEEvT1_
		.amdhsa_group_segment_fixed_size 0
		.amdhsa_private_segment_fixed_size 0
		.amdhsa_kernarg_size 120
		.amdhsa_user_sgpr_count 2
		.amdhsa_user_sgpr_dispatch_ptr 0
		.amdhsa_user_sgpr_queue_ptr 0
		.amdhsa_user_sgpr_kernarg_segment_ptr 1
		.amdhsa_user_sgpr_dispatch_id 0
		.amdhsa_user_sgpr_kernarg_preload_length 0
		.amdhsa_user_sgpr_kernarg_preload_offset 0
		.amdhsa_user_sgpr_private_segment_size 0
		.amdhsa_uses_dynamic_stack 0
		.amdhsa_enable_private_segment 0
		.amdhsa_system_sgpr_workgroup_id_x 1
		.amdhsa_system_sgpr_workgroup_id_y 0
		.amdhsa_system_sgpr_workgroup_id_z 0
		.amdhsa_system_sgpr_workgroup_info 0
		.amdhsa_system_vgpr_workitem_id 0
		.amdhsa_next_free_vgpr 1
		.amdhsa_next_free_sgpr 0
		.amdhsa_accum_offset 4
		.amdhsa_reserve_vcc 0
		.amdhsa_float_round_mode_32 0
		.amdhsa_float_round_mode_16_64 0
		.amdhsa_float_denorm_mode_32 3
		.amdhsa_float_denorm_mode_16_64 3
		.amdhsa_dx10_clamp 1
		.amdhsa_ieee_mode 1
		.amdhsa_fp16_overflow 0
		.amdhsa_tg_split 0
		.amdhsa_exception_fp_ieee_invalid_op 0
		.amdhsa_exception_fp_denorm_src 0
		.amdhsa_exception_fp_ieee_div_zero 0
		.amdhsa_exception_fp_ieee_overflow 0
		.amdhsa_exception_fp_ieee_underflow 0
		.amdhsa_exception_fp_ieee_inexact 0
		.amdhsa_exception_int_div_zero 0
	.end_amdhsa_kernel
	.section	.text._ZN7rocprim17ROCPRIM_400000_NS6detail17trampoline_kernelINS0_14default_configENS1_25partition_config_selectorILNS1_17partition_subalgoE8ElNS0_10empty_typeEbEEZZNS1_14partition_implILS5_8ELb0ES3_jPlPS6_PKS6_NS0_5tupleIJS9_S6_EEENSD_IJSA_SA_EEENS0_18inequality_wrapperIZN2at6native12_GLOBAL__N_124unique_dim_cuda_templateIbEESt5tupleIJNSH_6TensorESM_SM_EERKSM_lbbbEUlllE0_EEPmJS6_EEE10hipError_tPvRmT3_T4_T5_T6_T7_T9_mT8_P12ihipStream_tbDpT10_ENKUlT_T0_E_clISt17integral_constantIbLb1EES1B_IbLb0EEEEDaS17_S18_EUlS17_E_NS1_11comp_targetILNS1_3genE10ELNS1_11target_archE1200ELNS1_3gpuE4ELNS1_3repE0EEENS1_30default_config_static_selectorELNS0_4arch9wavefront6targetE1EEEvT1_,"axG",@progbits,_ZN7rocprim17ROCPRIM_400000_NS6detail17trampoline_kernelINS0_14default_configENS1_25partition_config_selectorILNS1_17partition_subalgoE8ElNS0_10empty_typeEbEEZZNS1_14partition_implILS5_8ELb0ES3_jPlPS6_PKS6_NS0_5tupleIJS9_S6_EEENSD_IJSA_SA_EEENS0_18inequality_wrapperIZN2at6native12_GLOBAL__N_124unique_dim_cuda_templateIbEESt5tupleIJNSH_6TensorESM_SM_EERKSM_lbbbEUlllE0_EEPmJS6_EEE10hipError_tPvRmT3_T4_T5_T6_T7_T9_mT8_P12ihipStream_tbDpT10_ENKUlT_T0_E_clISt17integral_constantIbLb1EES1B_IbLb0EEEEDaS17_S18_EUlS17_E_NS1_11comp_targetILNS1_3genE10ELNS1_11target_archE1200ELNS1_3gpuE4ELNS1_3repE0EEENS1_30default_config_static_selectorELNS0_4arch9wavefront6targetE1EEEvT1_,comdat
.Lfunc_end1080:
	.size	_ZN7rocprim17ROCPRIM_400000_NS6detail17trampoline_kernelINS0_14default_configENS1_25partition_config_selectorILNS1_17partition_subalgoE8ElNS0_10empty_typeEbEEZZNS1_14partition_implILS5_8ELb0ES3_jPlPS6_PKS6_NS0_5tupleIJS9_S6_EEENSD_IJSA_SA_EEENS0_18inequality_wrapperIZN2at6native12_GLOBAL__N_124unique_dim_cuda_templateIbEESt5tupleIJNSH_6TensorESM_SM_EERKSM_lbbbEUlllE0_EEPmJS6_EEE10hipError_tPvRmT3_T4_T5_T6_T7_T9_mT8_P12ihipStream_tbDpT10_ENKUlT_T0_E_clISt17integral_constantIbLb1EES1B_IbLb0EEEEDaS17_S18_EUlS17_E_NS1_11comp_targetILNS1_3genE10ELNS1_11target_archE1200ELNS1_3gpuE4ELNS1_3repE0EEENS1_30default_config_static_selectorELNS0_4arch9wavefront6targetE1EEEvT1_, .Lfunc_end1080-_ZN7rocprim17ROCPRIM_400000_NS6detail17trampoline_kernelINS0_14default_configENS1_25partition_config_selectorILNS1_17partition_subalgoE8ElNS0_10empty_typeEbEEZZNS1_14partition_implILS5_8ELb0ES3_jPlPS6_PKS6_NS0_5tupleIJS9_S6_EEENSD_IJSA_SA_EEENS0_18inequality_wrapperIZN2at6native12_GLOBAL__N_124unique_dim_cuda_templateIbEESt5tupleIJNSH_6TensorESM_SM_EERKSM_lbbbEUlllE0_EEPmJS6_EEE10hipError_tPvRmT3_T4_T5_T6_T7_T9_mT8_P12ihipStream_tbDpT10_ENKUlT_T0_E_clISt17integral_constantIbLb1EES1B_IbLb0EEEEDaS17_S18_EUlS17_E_NS1_11comp_targetILNS1_3genE10ELNS1_11target_archE1200ELNS1_3gpuE4ELNS1_3repE0EEENS1_30default_config_static_selectorELNS0_4arch9wavefront6targetE1EEEvT1_
                                        ; -- End function
	.section	.AMDGPU.csdata,"",@progbits
; Kernel info:
; codeLenInByte = 0
; NumSgprs: 6
; NumVgprs: 0
; NumAgprs: 0
; TotalNumVgprs: 0
; ScratchSize: 0
; MemoryBound: 0
; FloatMode: 240
; IeeeMode: 1
; LDSByteSize: 0 bytes/workgroup (compile time only)
; SGPRBlocks: 0
; VGPRBlocks: 0
; NumSGPRsForWavesPerEU: 6
; NumVGPRsForWavesPerEU: 1
; AccumOffset: 4
; Occupancy: 8
; WaveLimiterHint : 0
; COMPUTE_PGM_RSRC2:SCRATCH_EN: 0
; COMPUTE_PGM_RSRC2:USER_SGPR: 2
; COMPUTE_PGM_RSRC2:TRAP_HANDLER: 0
; COMPUTE_PGM_RSRC2:TGID_X_EN: 1
; COMPUTE_PGM_RSRC2:TGID_Y_EN: 0
; COMPUTE_PGM_RSRC2:TGID_Z_EN: 0
; COMPUTE_PGM_RSRC2:TIDIG_COMP_CNT: 0
; COMPUTE_PGM_RSRC3_GFX90A:ACCUM_OFFSET: 0
; COMPUTE_PGM_RSRC3_GFX90A:TG_SPLIT: 0
	.section	.text._ZN7rocprim17ROCPRIM_400000_NS6detail17trampoline_kernelINS0_14default_configENS1_25partition_config_selectorILNS1_17partition_subalgoE8ElNS0_10empty_typeEbEEZZNS1_14partition_implILS5_8ELb0ES3_jPlPS6_PKS6_NS0_5tupleIJS9_S6_EEENSD_IJSA_SA_EEENS0_18inequality_wrapperIZN2at6native12_GLOBAL__N_124unique_dim_cuda_templateIbEESt5tupleIJNSH_6TensorESM_SM_EERKSM_lbbbEUlllE0_EEPmJS6_EEE10hipError_tPvRmT3_T4_T5_T6_T7_T9_mT8_P12ihipStream_tbDpT10_ENKUlT_T0_E_clISt17integral_constantIbLb1EES1B_IbLb0EEEEDaS17_S18_EUlS17_E_NS1_11comp_targetILNS1_3genE9ELNS1_11target_archE1100ELNS1_3gpuE3ELNS1_3repE0EEENS1_30default_config_static_selectorELNS0_4arch9wavefront6targetE1EEEvT1_,"axG",@progbits,_ZN7rocprim17ROCPRIM_400000_NS6detail17trampoline_kernelINS0_14default_configENS1_25partition_config_selectorILNS1_17partition_subalgoE8ElNS0_10empty_typeEbEEZZNS1_14partition_implILS5_8ELb0ES3_jPlPS6_PKS6_NS0_5tupleIJS9_S6_EEENSD_IJSA_SA_EEENS0_18inequality_wrapperIZN2at6native12_GLOBAL__N_124unique_dim_cuda_templateIbEESt5tupleIJNSH_6TensorESM_SM_EERKSM_lbbbEUlllE0_EEPmJS6_EEE10hipError_tPvRmT3_T4_T5_T6_T7_T9_mT8_P12ihipStream_tbDpT10_ENKUlT_T0_E_clISt17integral_constantIbLb1EES1B_IbLb0EEEEDaS17_S18_EUlS17_E_NS1_11comp_targetILNS1_3genE9ELNS1_11target_archE1100ELNS1_3gpuE3ELNS1_3repE0EEENS1_30default_config_static_selectorELNS0_4arch9wavefront6targetE1EEEvT1_,comdat
	.globl	_ZN7rocprim17ROCPRIM_400000_NS6detail17trampoline_kernelINS0_14default_configENS1_25partition_config_selectorILNS1_17partition_subalgoE8ElNS0_10empty_typeEbEEZZNS1_14partition_implILS5_8ELb0ES3_jPlPS6_PKS6_NS0_5tupleIJS9_S6_EEENSD_IJSA_SA_EEENS0_18inequality_wrapperIZN2at6native12_GLOBAL__N_124unique_dim_cuda_templateIbEESt5tupleIJNSH_6TensorESM_SM_EERKSM_lbbbEUlllE0_EEPmJS6_EEE10hipError_tPvRmT3_T4_T5_T6_T7_T9_mT8_P12ihipStream_tbDpT10_ENKUlT_T0_E_clISt17integral_constantIbLb1EES1B_IbLb0EEEEDaS17_S18_EUlS17_E_NS1_11comp_targetILNS1_3genE9ELNS1_11target_archE1100ELNS1_3gpuE3ELNS1_3repE0EEENS1_30default_config_static_selectorELNS0_4arch9wavefront6targetE1EEEvT1_ ; -- Begin function _ZN7rocprim17ROCPRIM_400000_NS6detail17trampoline_kernelINS0_14default_configENS1_25partition_config_selectorILNS1_17partition_subalgoE8ElNS0_10empty_typeEbEEZZNS1_14partition_implILS5_8ELb0ES3_jPlPS6_PKS6_NS0_5tupleIJS9_S6_EEENSD_IJSA_SA_EEENS0_18inequality_wrapperIZN2at6native12_GLOBAL__N_124unique_dim_cuda_templateIbEESt5tupleIJNSH_6TensorESM_SM_EERKSM_lbbbEUlllE0_EEPmJS6_EEE10hipError_tPvRmT3_T4_T5_T6_T7_T9_mT8_P12ihipStream_tbDpT10_ENKUlT_T0_E_clISt17integral_constantIbLb1EES1B_IbLb0EEEEDaS17_S18_EUlS17_E_NS1_11comp_targetILNS1_3genE9ELNS1_11target_archE1100ELNS1_3gpuE3ELNS1_3repE0EEENS1_30default_config_static_selectorELNS0_4arch9wavefront6targetE1EEEvT1_
	.p2align	8
	.type	_ZN7rocprim17ROCPRIM_400000_NS6detail17trampoline_kernelINS0_14default_configENS1_25partition_config_selectorILNS1_17partition_subalgoE8ElNS0_10empty_typeEbEEZZNS1_14partition_implILS5_8ELb0ES3_jPlPS6_PKS6_NS0_5tupleIJS9_S6_EEENSD_IJSA_SA_EEENS0_18inequality_wrapperIZN2at6native12_GLOBAL__N_124unique_dim_cuda_templateIbEESt5tupleIJNSH_6TensorESM_SM_EERKSM_lbbbEUlllE0_EEPmJS6_EEE10hipError_tPvRmT3_T4_T5_T6_T7_T9_mT8_P12ihipStream_tbDpT10_ENKUlT_T0_E_clISt17integral_constantIbLb1EES1B_IbLb0EEEEDaS17_S18_EUlS17_E_NS1_11comp_targetILNS1_3genE9ELNS1_11target_archE1100ELNS1_3gpuE3ELNS1_3repE0EEENS1_30default_config_static_selectorELNS0_4arch9wavefront6targetE1EEEvT1_,@function
_ZN7rocprim17ROCPRIM_400000_NS6detail17trampoline_kernelINS0_14default_configENS1_25partition_config_selectorILNS1_17partition_subalgoE8ElNS0_10empty_typeEbEEZZNS1_14partition_implILS5_8ELb0ES3_jPlPS6_PKS6_NS0_5tupleIJS9_S6_EEENSD_IJSA_SA_EEENS0_18inequality_wrapperIZN2at6native12_GLOBAL__N_124unique_dim_cuda_templateIbEESt5tupleIJNSH_6TensorESM_SM_EERKSM_lbbbEUlllE0_EEPmJS6_EEE10hipError_tPvRmT3_T4_T5_T6_T7_T9_mT8_P12ihipStream_tbDpT10_ENKUlT_T0_E_clISt17integral_constantIbLb1EES1B_IbLb0EEEEDaS17_S18_EUlS17_E_NS1_11comp_targetILNS1_3genE9ELNS1_11target_archE1100ELNS1_3gpuE3ELNS1_3repE0EEENS1_30default_config_static_selectorELNS0_4arch9wavefront6targetE1EEEvT1_: ; @_ZN7rocprim17ROCPRIM_400000_NS6detail17trampoline_kernelINS0_14default_configENS1_25partition_config_selectorILNS1_17partition_subalgoE8ElNS0_10empty_typeEbEEZZNS1_14partition_implILS5_8ELb0ES3_jPlPS6_PKS6_NS0_5tupleIJS9_S6_EEENSD_IJSA_SA_EEENS0_18inequality_wrapperIZN2at6native12_GLOBAL__N_124unique_dim_cuda_templateIbEESt5tupleIJNSH_6TensorESM_SM_EERKSM_lbbbEUlllE0_EEPmJS6_EEE10hipError_tPvRmT3_T4_T5_T6_T7_T9_mT8_P12ihipStream_tbDpT10_ENKUlT_T0_E_clISt17integral_constantIbLb1EES1B_IbLb0EEEEDaS17_S18_EUlS17_E_NS1_11comp_targetILNS1_3genE9ELNS1_11target_archE1100ELNS1_3gpuE3ELNS1_3repE0EEENS1_30default_config_static_selectorELNS0_4arch9wavefront6targetE1EEEvT1_
; %bb.0:
	.section	.rodata,"a",@progbits
	.p2align	6, 0x0
	.amdhsa_kernel _ZN7rocprim17ROCPRIM_400000_NS6detail17trampoline_kernelINS0_14default_configENS1_25partition_config_selectorILNS1_17partition_subalgoE8ElNS0_10empty_typeEbEEZZNS1_14partition_implILS5_8ELb0ES3_jPlPS6_PKS6_NS0_5tupleIJS9_S6_EEENSD_IJSA_SA_EEENS0_18inequality_wrapperIZN2at6native12_GLOBAL__N_124unique_dim_cuda_templateIbEESt5tupleIJNSH_6TensorESM_SM_EERKSM_lbbbEUlllE0_EEPmJS6_EEE10hipError_tPvRmT3_T4_T5_T6_T7_T9_mT8_P12ihipStream_tbDpT10_ENKUlT_T0_E_clISt17integral_constantIbLb1EES1B_IbLb0EEEEDaS17_S18_EUlS17_E_NS1_11comp_targetILNS1_3genE9ELNS1_11target_archE1100ELNS1_3gpuE3ELNS1_3repE0EEENS1_30default_config_static_selectorELNS0_4arch9wavefront6targetE1EEEvT1_
		.amdhsa_group_segment_fixed_size 0
		.amdhsa_private_segment_fixed_size 0
		.amdhsa_kernarg_size 120
		.amdhsa_user_sgpr_count 2
		.amdhsa_user_sgpr_dispatch_ptr 0
		.amdhsa_user_sgpr_queue_ptr 0
		.amdhsa_user_sgpr_kernarg_segment_ptr 1
		.amdhsa_user_sgpr_dispatch_id 0
		.amdhsa_user_sgpr_kernarg_preload_length 0
		.amdhsa_user_sgpr_kernarg_preload_offset 0
		.amdhsa_user_sgpr_private_segment_size 0
		.amdhsa_uses_dynamic_stack 0
		.amdhsa_enable_private_segment 0
		.amdhsa_system_sgpr_workgroup_id_x 1
		.amdhsa_system_sgpr_workgroup_id_y 0
		.amdhsa_system_sgpr_workgroup_id_z 0
		.amdhsa_system_sgpr_workgroup_info 0
		.amdhsa_system_vgpr_workitem_id 0
		.amdhsa_next_free_vgpr 1
		.amdhsa_next_free_sgpr 0
		.amdhsa_accum_offset 4
		.amdhsa_reserve_vcc 0
		.amdhsa_float_round_mode_32 0
		.amdhsa_float_round_mode_16_64 0
		.amdhsa_float_denorm_mode_32 3
		.amdhsa_float_denorm_mode_16_64 3
		.amdhsa_dx10_clamp 1
		.amdhsa_ieee_mode 1
		.amdhsa_fp16_overflow 0
		.amdhsa_tg_split 0
		.amdhsa_exception_fp_ieee_invalid_op 0
		.amdhsa_exception_fp_denorm_src 0
		.amdhsa_exception_fp_ieee_div_zero 0
		.amdhsa_exception_fp_ieee_overflow 0
		.amdhsa_exception_fp_ieee_underflow 0
		.amdhsa_exception_fp_ieee_inexact 0
		.amdhsa_exception_int_div_zero 0
	.end_amdhsa_kernel
	.section	.text._ZN7rocprim17ROCPRIM_400000_NS6detail17trampoline_kernelINS0_14default_configENS1_25partition_config_selectorILNS1_17partition_subalgoE8ElNS0_10empty_typeEbEEZZNS1_14partition_implILS5_8ELb0ES3_jPlPS6_PKS6_NS0_5tupleIJS9_S6_EEENSD_IJSA_SA_EEENS0_18inequality_wrapperIZN2at6native12_GLOBAL__N_124unique_dim_cuda_templateIbEESt5tupleIJNSH_6TensorESM_SM_EERKSM_lbbbEUlllE0_EEPmJS6_EEE10hipError_tPvRmT3_T4_T5_T6_T7_T9_mT8_P12ihipStream_tbDpT10_ENKUlT_T0_E_clISt17integral_constantIbLb1EES1B_IbLb0EEEEDaS17_S18_EUlS17_E_NS1_11comp_targetILNS1_3genE9ELNS1_11target_archE1100ELNS1_3gpuE3ELNS1_3repE0EEENS1_30default_config_static_selectorELNS0_4arch9wavefront6targetE1EEEvT1_,"axG",@progbits,_ZN7rocprim17ROCPRIM_400000_NS6detail17trampoline_kernelINS0_14default_configENS1_25partition_config_selectorILNS1_17partition_subalgoE8ElNS0_10empty_typeEbEEZZNS1_14partition_implILS5_8ELb0ES3_jPlPS6_PKS6_NS0_5tupleIJS9_S6_EEENSD_IJSA_SA_EEENS0_18inequality_wrapperIZN2at6native12_GLOBAL__N_124unique_dim_cuda_templateIbEESt5tupleIJNSH_6TensorESM_SM_EERKSM_lbbbEUlllE0_EEPmJS6_EEE10hipError_tPvRmT3_T4_T5_T6_T7_T9_mT8_P12ihipStream_tbDpT10_ENKUlT_T0_E_clISt17integral_constantIbLb1EES1B_IbLb0EEEEDaS17_S18_EUlS17_E_NS1_11comp_targetILNS1_3genE9ELNS1_11target_archE1100ELNS1_3gpuE3ELNS1_3repE0EEENS1_30default_config_static_selectorELNS0_4arch9wavefront6targetE1EEEvT1_,comdat
.Lfunc_end1081:
	.size	_ZN7rocprim17ROCPRIM_400000_NS6detail17trampoline_kernelINS0_14default_configENS1_25partition_config_selectorILNS1_17partition_subalgoE8ElNS0_10empty_typeEbEEZZNS1_14partition_implILS5_8ELb0ES3_jPlPS6_PKS6_NS0_5tupleIJS9_S6_EEENSD_IJSA_SA_EEENS0_18inequality_wrapperIZN2at6native12_GLOBAL__N_124unique_dim_cuda_templateIbEESt5tupleIJNSH_6TensorESM_SM_EERKSM_lbbbEUlllE0_EEPmJS6_EEE10hipError_tPvRmT3_T4_T5_T6_T7_T9_mT8_P12ihipStream_tbDpT10_ENKUlT_T0_E_clISt17integral_constantIbLb1EES1B_IbLb0EEEEDaS17_S18_EUlS17_E_NS1_11comp_targetILNS1_3genE9ELNS1_11target_archE1100ELNS1_3gpuE3ELNS1_3repE0EEENS1_30default_config_static_selectorELNS0_4arch9wavefront6targetE1EEEvT1_, .Lfunc_end1081-_ZN7rocprim17ROCPRIM_400000_NS6detail17trampoline_kernelINS0_14default_configENS1_25partition_config_selectorILNS1_17partition_subalgoE8ElNS0_10empty_typeEbEEZZNS1_14partition_implILS5_8ELb0ES3_jPlPS6_PKS6_NS0_5tupleIJS9_S6_EEENSD_IJSA_SA_EEENS0_18inequality_wrapperIZN2at6native12_GLOBAL__N_124unique_dim_cuda_templateIbEESt5tupleIJNSH_6TensorESM_SM_EERKSM_lbbbEUlllE0_EEPmJS6_EEE10hipError_tPvRmT3_T4_T5_T6_T7_T9_mT8_P12ihipStream_tbDpT10_ENKUlT_T0_E_clISt17integral_constantIbLb1EES1B_IbLb0EEEEDaS17_S18_EUlS17_E_NS1_11comp_targetILNS1_3genE9ELNS1_11target_archE1100ELNS1_3gpuE3ELNS1_3repE0EEENS1_30default_config_static_selectorELNS0_4arch9wavefront6targetE1EEEvT1_
                                        ; -- End function
	.section	.AMDGPU.csdata,"",@progbits
; Kernel info:
; codeLenInByte = 0
; NumSgprs: 6
; NumVgprs: 0
; NumAgprs: 0
; TotalNumVgprs: 0
; ScratchSize: 0
; MemoryBound: 0
; FloatMode: 240
; IeeeMode: 1
; LDSByteSize: 0 bytes/workgroup (compile time only)
; SGPRBlocks: 0
; VGPRBlocks: 0
; NumSGPRsForWavesPerEU: 6
; NumVGPRsForWavesPerEU: 1
; AccumOffset: 4
; Occupancy: 8
; WaveLimiterHint : 0
; COMPUTE_PGM_RSRC2:SCRATCH_EN: 0
; COMPUTE_PGM_RSRC2:USER_SGPR: 2
; COMPUTE_PGM_RSRC2:TRAP_HANDLER: 0
; COMPUTE_PGM_RSRC2:TGID_X_EN: 1
; COMPUTE_PGM_RSRC2:TGID_Y_EN: 0
; COMPUTE_PGM_RSRC2:TGID_Z_EN: 0
; COMPUTE_PGM_RSRC2:TIDIG_COMP_CNT: 0
; COMPUTE_PGM_RSRC3_GFX90A:ACCUM_OFFSET: 0
; COMPUTE_PGM_RSRC3_GFX90A:TG_SPLIT: 0
	.section	.text._ZN7rocprim17ROCPRIM_400000_NS6detail17trampoline_kernelINS0_14default_configENS1_25partition_config_selectorILNS1_17partition_subalgoE8ElNS0_10empty_typeEbEEZZNS1_14partition_implILS5_8ELb0ES3_jPlPS6_PKS6_NS0_5tupleIJS9_S6_EEENSD_IJSA_SA_EEENS0_18inequality_wrapperIZN2at6native12_GLOBAL__N_124unique_dim_cuda_templateIbEESt5tupleIJNSH_6TensorESM_SM_EERKSM_lbbbEUlllE0_EEPmJS6_EEE10hipError_tPvRmT3_T4_T5_T6_T7_T9_mT8_P12ihipStream_tbDpT10_ENKUlT_T0_E_clISt17integral_constantIbLb1EES1B_IbLb0EEEEDaS17_S18_EUlS17_E_NS1_11comp_targetILNS1_3genE8ELNS1_11target_archE1030ELNS1_3gpuE2ELNS1_3repE0EEENS1_30default_config_static_selectorELNS0_4arch9wavefront6targetE1EEEvT1_,"axG",@progbits,_ZN7rocprim17ROCPRIM_400000_NS6detail17trampoline_kernelINS0_14default_configENS1_25partition_config_selectorILNS1_17partition_subalgoE8ElNS0_10empty_typeEbEEZZNS1_14partition_implILS5_8ELb0ES3_jPlPS6_PKS6_NS0_5tupleIJS9_S6_EEENSD_IJSA_SA_EEENS0_18inequality_wrapperIZN2at6native12_GLOBAL__N_124unique_dim_cuda_templateIbEESt5tupleIJNSH_6TensorESM_SM_EERKSM_lbbbEUlllE0_EEPmJS6_EEE10hipError_tPvRmT3_T4_T5_T6_T7_T9_mT8_P12ihipStream_tbDpT10_ENKUlT_T0_E_clISt17integral_constantIbLb1EES1B_IbLb0EEEEDaS17_S18_EUlS17_E_NS1_11comp_targetILNS1_3genE8ELNS1_11target_archE1030ELNS1_3gpuE2ELNS1_3repE0EEENS1_30default_config_static_selectorELNS0_4arch9wavefront6targetE1EEEvT1_,comdat
	.globl	_ZN7rocprim17ROCPRIM_400000_NS6detail17trampoline_kernelINS0_14default_configENS1_25partition_config_selectorILNS1_17partition_subalgoE8ElNS0_10empty_typeEbEEZZNS1_14partition_implILS5_8ELb0ES3_jPlPS6_PKS6_NS0_5tupleIJS9_S6_EEENSD_IJSA_SA_EEENS0_18inequality_wrapperIZN2at6native12_GLOBAL__N_124unique_dim_cuda_templateIbEESt5tupleIJNSH_6TensorESM_SM_EERKSM_lbbbEUlllE0_EEPmJS6_EEE10hipError_tPvRmT3_T4_T5_T6_T7_T9_mT8_P12ihipStream_tbDpT10_ENKUlT_T0_E_clISt17integral_constantIbLb1EES1B_IbLb0EEEEDaS17_S18_EUlS17_E_NS1_11comp_targetILNS1_3genE8ELNS1_11target_archE1030ELNS1_3gpuE2ELNS1_3repE0EEENS1_30default_config_static_selectorELNS0_4arch9wavefront6targetE1EEEvT1_ ; -- Begin function _ZN7rocprim17ROCPRIM_400000_NS6detail17trampoline_kernelINS0_14default_configENS1_25partition_config_selectorILNS1_17partition_subalgoE8ElNS0_10empty_typeEbEEZZNS1_14partition_implILS5_8ELb0ES3_jPlPS6_PKS6_NS0_5tupleIJS9_S6_EEENSD_IJSA_SA_EEENS0_18inequality_wrapperIZN2at6native12_GLOBAL__N_124unique_dim_cuda_templateIbEESt5tupleIJNSH_6TensorESM_SM_EERKSM_lbbbEUlllE0_EEPmJS6_EEE10hipError_tPvRmT3_T4_T5_T6_T7_T9_mT8_P12ihipStream_tbDpT10_ENKUlT_T0_E_clISt17integral_constantIbLb1EES1B_IbLb0EEEEDaS17_S18_EUlS17_E_NS1_11comp_targetILNS1_3genE8ELNS1_11target_archE1030ELNS1_3gpuE2ELNS1_3repE0EEENS1_30default_config_static_selectorELNS0_4arch9wavefront6targetE1EEEvT1_
	.p2align	8
	.type	_ZN7rocprim17ROCPRIM_400000_NS6detail17trampoline_kernelINS0_14default_configENS1_25partition_config_selectorILNS1_17partition_subalgoE8ElNS0_10empty_typeEbEEZZNS1_14partition_implILS5_8ELb0ES3_jPlPS6_PKS6_NS0_5tupleIJS9_S6_EEENSD_IJSA_SA_EEENS0_18inequality_wrapperIZN2at6native12_GLOBAL__N_124unique_dim_cuda_templateIbEESt5tupleIJNSH_6TensorESM_SM_EERKSM_lbbbEUlllE0_EEPmJS6_EEE10hipError_tPvRmT3_T4_T5_T6_T7_T9_mT8_P12ihipStream_tbDpT10_ENKUlT_T0_E_clISt17integral_constantIbLb1EES1B_IbLb0EEEEDaS17_S18_EUlS17_E_NS1_11comp_targetILNS1_3genE8ELNS1_11target_archE1030ELNS1_3gpuE2ELNS1_3repE0EEENS1_30default_config_static_selectorELNS0_4arch9wavefront6targetE1EEEvT1_,@function
_ZN7rocprim17ROCPRIM_400000_NS6detail17trampoline_kernelINS0_14default_configENS1_25partition_config_selectorILNS1_17partition_subalgoE8ElNS0_10empty_typeEbEEZZNS1_14partition_implILS5_8ELb0ES3_jPlPS6_PKS6_NS0_5tupleIJS9_S6_EEENSD_IJSA_SA_EEENS0_18inequality_wrapperIZN2at6native12_GLOBAL__N_124unique_dim_cuda_templateIbEESt5tupleIJNSH_6TensorESM_SM_EERKSM_lbbbEUlllE0_EEPmJS6_EEE10hipError_tPvRmT3_T4_T5_T6_T7_T9_mT8_P12ihipStream_tbDpT10_ENKUlT_T0_E_clISt17integral_constantIbLb1EES1B_IbLb0EEEEDaS17_S18_EUlS17_E_NS1_11comp_targetILNS1_3genE8ELNS1_11target_archE1030ELNS1_3gpuE2ELNS1_3repE0EEENS1_30default_config_static_selectorELNS0_4arch9wavefront6targetE1EEEvT1_: ; @_ZN7rocprim17ROCPRIM_400000_NS6detail17trampoline_kernelINS0_14default_configENS1_25partition_config_selectorILNS1_17partition_subalgoE8ElNS0_10empty_typeEbEEZZNS1_14partition_implILS5_8ELb0ES3_jPlPS6_PKS6_NS0_5tupleIJS9_S6_EEENSD_IJSA_SA_EEENS0_18inequality_wrapperIZN2at6native12_GLOBAL__N_124unique_dim_cuda_templateIbEESt5tupleIJNSH_6TensorESM_SM_EERKSM_lbbbEUlllE0_EEPmJS6_EEE10hipError_tPvRmT3_T4_T5_T6_T7_T9_mT8_P12ihipStream_tbDpT10_ENKUlT_T0_E_clISt17integral_constantIbLb1EES1B_IbLb0EEEEDaS17_S18_EUlS17_E_NS1_11comp_targetILNS1_3genE8ELNS1_11target_archE1030ELNS1_3gpuE2ELNS1_3repE0EEENS1_30default_config_static_selectorELNS0_4arch9wavefront6targetE1EEEvT1_
; %bb.0:
	.section	.rodata,"a",@progbits
	.p2align	6, 0x0
	.amdhsa_kernel _ZN7rocprim17ROCPRIM_400000_NS6detail17trampoline_kernelINS0_14default_configENS1_25partition_config_selectorILNS1_17partition_subalgoE8ElNS0_10empty_typeEbEEZZNS1_14partition_implILS5_8ELb0ES3_jPlPS6_PKS6_NS0_5tupleIJS9_S6_EEENSD_IJSA_SA_EEENS0_18inequality_wrapperIZN2at6native12_GLOBAL__N_124unique_dim_cuda_templateIbEESt5tupleIJNSH_6TensorESM_SM_EERKSM_lbbbEUlllE0_EEPmJS6_EEE10hipError_tPvRmT3_T4_T5_T6_T7_T9_mT8_P12ihipStream_tbDpT10_ENKUlT_T0_E_clISt17integral_constantIbLb1EES1B_IbLb0EEEEDaS17_S18_EUlS17_E_NS1_11comp_targetILNS1_3genE8ELNS1_11target_archE1030ELNS1_3gpuE2ELNS1_3repE0EEENS1_30default_config_static_selectorELNS0_4arch9wavefront6targetE1EEEvT1_
		.amdhsa_group_segment_fixed_size 0
		.amdhsa_private_segment_fixed_size 0
		.amdhsa_kernarg_size 120
		.amdhsa_user_sgpr_count 2
		.amdhsa_user_sgpr_dispatch_ptr 0
		.amdhsa_user_sgpr_queue_ptr 0
		.amdhsa_user_sgpr_kernarg_segment_ptr 1
		.amdhsa_user_sgpr_dispatch_id 0
		.amdhsa_user_sgpr_kernarg_preload_length 0
		.amdhsa_user_sgpr_kernarg_preload_offset 0
		.amdhsa_user_sgpr_private_segment_size 0
		.amdhsa_uses_dynamic_stack 0
		.amdhsa_enable_private_segment 0
		.amdhsa_system_sgpr_workgroup_id_x 1
		.amdhsa_system_sgpr_workgroup_id_y 0
		.amdhsa_system_sgpr_workgroup_id_z 0
		.amdhsa_system_sgpr_workgroup_info 0
		.amdhsa_system_vgpr_workitem_id 0
		.amdhsa_next_free_vgpr 1
		.amdhsa_next_free_sgpr 0
		.amdhsa_accum_offset 4
		.amdhsa_reserve_vcc 0
		.amdhsa_float_round_mode_32 0
		.amdhsa_float_round_mode_16_64 0
		.amdhsa_float_denorm_mode_32 3
		.amdhsa_float_denorm_mode_16_64 3
		.amdhsa_dx10_clamp 1
		.amdhsa_ieee_mode 1
		.amdhsa_fp16_overflow 0
		.amdhsa_tg_split 0
		.amdhsa_exception_fp_ieee_invalid_op 0
		.amdhsa_exception_fp_denorm_src 0
		.amdhsa_exception_fp_ieee_div_zero 0
		.amdhsa_exception_fp_ieee_overflow 0
		.amdhsa_exception_fp_ieee_underflow 0
		.amdhsa_exception_fp_ieee_inexact 0
		.amdhsa_exception_int_div_zero 0
	.end_amdhsa_kernel
	.section	.text._ZN7rocprim17ROCPRIM_400000_NS6detail17trampoline_kernelINS0_14default_configENS1_25partition_config_selectorILNS1_17partition_subalgoE8ElNS0_10empty_typeEbEEZZNS1_14partition_implILS5_8ELb0ES3_jPlPS6_PKS6_NS0_5tupleIJS9_S6_EEENSD_IJSA_SA_EEENS0_18inequality_wrapperIZN2at6native12_GLOBAL__N_124unique_dim_cuda_templateIbEESt5tupleIJNSH_6TensorESM_SM_EERKSM_lbbbEUlllE0_EEPmJS6_EEE10hipError_tPvRmT3_T4_T5_T6_T7_T9_mT8_P12ihipStream_tbDpT10_ENKUlT_T0_E_clISt17integral_constantIbLb1EES1B_IbLb0EEEEDaS17_S18_EUlS17_E_NS1_11comp_targetILNS1_3genE8ELNS1_11target_archE1030ELNS1_3gpuE2ELNS1_3repE0EEENS1_30default_config_static_selectorELNS0_4arch9wavefront6targetE1EEEvT1_,"axG",@progbits,_ZN7rocprim17ROCPRIM_400000_NS6detail17trampoline_kernelINS0_14default_configENS1_25partition_config_selectorILNS1_17partition_subalgoE8ElNS0_10empty_typeEbEEZZNS1_14partition_implILS5_8ELb0ES3_jPlPS6_PKS6_NS0_5tupleIJS9_S6_EEENSD_IJSA_SA_EEENS0_18inequality_wrapperIZN2at6native12_GLOBAL__N_124unique_dim_cuda_templateIbEESt5tupleIJNSH_6TensorESM_SM_EERKSM_lbbbEUlllE0_EEPmJS6_EEE10hipError_tPvRmT3_T4_T5_T6_T7_T9_mT8_P12ihipStream_tbDpT10_ENKUlT_T0_E_clISt17integral_constantIbLb1EES1B_IbLb0EEEEDaS17_S18_EUlS17_E_NS1_11comp_targetILNS1_3genE8ELNS1_11target_archE1030ELNS1_3gpuE2ELNS1_3repE0EEENS1_30default_config_static_selectorELNS0_4arch9wavefront6targetE1EEEvT1_,comdat
.Lfunc_end1082:
	.size	_ZN7rocprim17ROCPRIM_400000_NS6detail17trampoline_kernelINS0_14default_configENS1_25partition_config_selectorILNS1_17partition_subalgoE8ElNS0_10empty_typeEbEEZZNS1_14partition_implILS5_8ELb0ES3_jPlPS6_PKS6_NS0_5tupleIJS9_S6_EEENSD_IJSA_SA_EEENS0_18inequality_wrapperIZN2at6native12_GLOBAL__N_124unique_dim_cuda_templateIbEESt5tupleIJNSH_6TensorESM_SM_EERKSM_lbbbEUlllE0_EEPmJS6_EEE10hipError_tPvRmT3_T4_T5_T6_T7_T9_mT8_P12ihipStream_tbDpT10_ENKUlT_T0_E_clISt17integral_constantIbLb1EES1B_IbLb0EEEEDaS17_S18_EUlS17_E_NS1_11comp_targetILNS1_3genE8ELNS1_11target_archE1030ELNS1_3gpuE2ELNS1_3repE0EEENS1_30default_config_static_selectorELNS0_4arch9wavefront6targetE1EEEvT1_, .Lfunc_end1082-_ZN7rocprim17ROCPRIM_400000_NS6detail17trampoline_kernelINS0_14default_configENS1_25partition_config_selectorILNS1_17partition_subalgoE8ElNS0_10empty_typeEbEEZZNS1_14partition_implILS5_8ELb0ES3_jPlPS6_PKS6_NS0_5tupleIJS9_S6_EEENSD_IJSA_SA_EEENS0_18inequality_wrapperIZN2at6native12_GLOBAL__N_124unique_dim_cuda_templateIbEESt5tupleIJNSH_6TensorESM_SM_EERKSM_lbbbEUlllE0_EEPmJS6_EEE10hipError_tPvRmT3_T4_T5_T6_T7_T9_mT8_P12ihipStream_tbDpT10_ENKUlT_T0_E_clISt17integral_constantIbLb1EES1B_IbLb0EEEEDaS17_S18_EUlS17_E_NS1_11comp_targetILNS1_3genE8ELNS1_11target_archE1030ELNS1_3gpuE2ELNS1_3repE0EEENS1_30default_config_static_selectorELNS0_4arch9wavefront6targetE1EEEvT1_
                                        ; -- End function
	.section	.AMDGPU.csdata,"",@progbits
; Kernel info:
; codeLenInByte = 0
; NumSgprs: 6
; NumVgprs: 0
; NumAgprs: 0
; TotalNumVgprs: 0
; ScratchSize: 0
; MemoryBound: 0
; FloatMode: 240
; IeeeMode: 1
; LDSByteSize: 0 bytes/workgroup (compile time only)
; SGPRBlocks: 0
; VGPRBlocks: 0
; NumSGPRsForWavesPerEU: 6
; NumVGPRsForWavesPerEU: 1
; AccumOffset: 4
; Occupancy: 8
; WaveLimiterHint : 0
; COMPUTE_PGM_RSRC2:SCRATCH_EN: 0
; COMPUTE_PGM_RSRC2:USER_SGPR: 2
; COMPUTE_PGM_RSRC2:TRAP_HANDLER: 0
; COMPUTE_PGM_RSRC2:TGID_X_EN: 1
; COMPUTE_PGM_RSRC2:TGID_Y_EN: 0
; COMPUTE_PGM_RSRC2:TGID_Z_EN: 0
; COMPUTE_PGM_RSRC2:TIDIG_COMP_CNT: 0
; COMPUTE_PGM_RSRC3_GFX90A:ACCUM_OFFSET: 0
; COMPUTE_PGM_RSRC3_GFX90A:TG_SPLIT: 0
	.section	.text._ZN7rocprim17ROCPRIM_400000_NS6detail17trampoline_kernelINS0_14default_configENS1_25partition_config_selectorILNS1_17partition_subalgoE8ElNS0_10empty_typeEbEEZZNS1_14partition_implILS5_8ELb0ES3_jPlPS6_PKS6_NS0_5tupleIJS9_S6_EEENSD_IJSA_SA_EEENS0_18inequality_wrapperIZN2at6native12_GLOBAL__N_124unique_dim_cuda_templateIbEESt5tupleIJNSH_6TensorESM_SM_EERKSM_lbbbEUlllE0_EEPmJS6_EEE10hipError_tPvRmT3_T4_T5_T6_T7_T9_mT8_P12ihipStream_tbDpT10_ENKUlT_T0_E_clISt17integral_constantIbLb0EES1B_IbLb1EEEEDaS17_S18_EUlS17_E_NS1_11comp_targetILNS1_3genE0ELNS1_11target_archE4294967295ELNS1_3gpuE0ELNS1_3repE0EEENS1_30default_config_static_selectorELNS0_4arch9wavefront6targetE1EEEvT1_,"axG",@progbits,_ZN7rocprim17ROCPRIM_400000_NS6detail17trampoline_kernelINS0_14default_configENS1_25partition_config_selectorILNS1_17partition_subalgoE8ElNS0_10empty_typeEbEEZZNS1_14partition_implILS5_8ELb0ES3_jPlPS6_PKS6_NS0_5tupleIJS9_S6_EEENSD_IJSA_SA_EEENS0_18inequality_wrapperIZN2at6native12_GLOBAL__N_124unique_dim_cuda_templateIbEESt5tupleIJNSH_6TensorESM_SM_EERKSM_lbbbEUlllE0_EEPmJS6_EEE10hipError_tPvRmT3_T4_T5_T6_T7_T9_mT8_P12ihipStream_tbDpT10_ENKUlT_T0_E_clISt17integral_constantIbLb0EES1B_IbLb1EEEEDaS17_S18_EUlS17_E_NS1_11comp_targetILNS1_3genE0ELNS1_11target_archE4294967295ELNS1_3gpuE0ELNS1_3repE0EEENS1_30default_config_static_selectorELNS0_4arch9wavefront6targetE1EEEvT1_,comdat
	.globl	_ZN7rocprim17ROCPRIM_400000_NS6detail17trampoline_kernelINS0_14default_configENS1_25partition_config_selectorILNS1_17partition_subalgoE8ElNS0_10empty_typeEbEEZZNS1_14partition_implILS5_8ELb0ES3_jPlPS6_PKS6_NS0_5tupleIJS9_S6_EEENSD_IJSA_SA_EEENS0_18inequality_wrapperIZN2at6native12_GLOBAL__N_124unique_dim_cuda_templateIbEESt5tupleIJNSH_6TensorESM_SM_EERKSM_lbbbEUlllE0_EEPmJS6_EEE10hipError_tPvRmT3_T4_T5_T6_T7_T9_mT8_P12ihipStream_tbDpT10_ENKUlT_T0_E_clISt17integral_constantIbLb0EES1B_IbLb1EEEEDaS17_S18_EUlS17_E_NS1_11comp_targetILNS1_3genE0ELNS1_11target_archE4294967295ELNS1_3gpuE0ELNS1_3repE0EEENS1_30default_config_static_selectorELNS0_4arch9wavefront6targetE1EEEvT1_ ; -- Begin function _ZN7rocprim17ROCPRIM_400000_NS6detail17trampoline_kernelINS0_14default_configENS1_25partition_config_selectorILNS1_17partition_subalgoE8ElNS0_10empty_typeEbEEZZNS1_14partition_implILS5_8ELb0ES3_jPlPS6_PKS6_NS0_5tupleIJS9_S6_EEENSD_IJSA_SA_EEENS0_18inequality_wrapperIZN2at6native12_GLOBAL__N_124unique_dim_cuda_templateIbEESt5tupleIJNSH_6TensorESM_SM_EERKSM_lbbbEUlllE0_EEPmJS6_EEE10hipError_tPvRmT3_T4_T5_T6_T7_T9_mT8_P12ihipStream_tbDpT10_ENKUlT_T0_E_clISt17integral_constantIbLb0EES1B_IbLb1EEEEDaS17_S18_EUlS17_E_NS1_11comp_targetILNS1_3genE0ELNS1_11target_archE4294967295ELNS1_3gpuE0ELNS1_3repE0EEENS1_30default_config_static_selectorELNS0_4arch9wavefront6targetE1EEEvT1_
	.p2align	8
	.type	_ZN7rocprim17ROCPRIM_400000_NS6detail17trampoline_kernelINS0_14default_configENS1_25partition_config_selectorILNS1_17partition_subalgoE8ElNS0_10empty_typeEbEEZZNS1_14partition_implILS5_8ELb0ES3_jPlPS6_PKS6_NS0_5tupleIJS9_S6_EEENSD_IJSA_SA_EEENS0_18inequality_wrapperIZN2at6native12_GLOBAL__N_124unique_dim_cuda_templateIbEESt5tupleIJNSH_6TensorESM_SM_EERKSM_lbbbEUlllE0_EEPmJS6_EEE10hipError_tPvRmT3_T4_T5_T6_T7_T9_mT8_P12ihipStream_tbDpT10_ENKUlT_T0_E_clISt17integral_constantIbLb0EES1B_IbLb1EEEEDaS17_S18_EUlS17_E_NS1_11comp_targetILNS1_3genE0ELNS1_11target_archE4294967295ELNS1_3gpuE0ELNS1_3repE0EEENS1_30default_config_static_selectorELNS0_4arch9wavefront6targetE1EEEvT1_,@function
_ZN7rocprim17ROCPRIM_400000_NS6detail17trampoline_kernelINS0_14default_configENS1_25partition_config_selectorILNS1_17partition_subalgoE8ElNS0_10empty_typeEbEEZZNS1_14partition_implILS5_8ELb0ES3_jPlPS6_PKS6_NS0_5tupleIJS9_S6_EEENSD_IJSA_SA_EEENS0_18inequality_wrapperIZN2at6native12_GLOBAL__N_124unique_dim_cuda_templateIbEESt5tupleIJNSH_6TensorESM_SM_EERKSM_lbbbEUlllE0_EEPmJS6_EEE10hipError_tPvRmT3_T4_T5_T6_T7_T9_mT8_P12ihipStream_tbDpT10_ENKUlT_T0_E_clISt17integral_constantIbLb0EES1B_IbLb1EEEEDaS17_S18_EUlS17_E_NS1_11comp_targetILNS1_3genE0ELNS1_11target_archE4294967295ELNS1_3gpuE0ELNS1_3repE0EEENS1_30default_config_static_selectorELNS0_4arch9wavefront6targetE1EEEvT1_: ; @_ZN7rocprim17ROCPRIM_400000_NS6detail17trampoline_kernelINS0_14default_configENS1_25partition_config_selectorILNS1_17partition_subalgoE8ElNS0_10empty_typeEbEEZZNS1_14partition_implILS5_8ELb0ES3_jPlPS6_PKS6_NS0_5tupleIJS9_S6_EEENSD_IJSA_SA_EEENS0_18inequality_wrapperIZN2at6native12_GLOBAL__N_124unique_dim_cuda_templateIbEESt5tupleIJNSH_6TensorESM_SM_EERKSM_lbbbEUlllE0_EEPmJS6_EEE10hipError_tPvRmT3_T4_T5_T6_T7_T9_mT8_P12ihipStream_tbDpT10_ENKUlT_T0_E_clISt17integral_constantIbLb0EES1B_IbLb1EEEEDaS17_S18_EUlS17_E_NS1_11comp_targetILNS1_3genE0ELNS1_11target_archE4294967295ELNS1_3gpuE0ELNS1_3repE0EEENS1_30default_config_static_selectorELNS0_4arch9wavefront6targetE1EEEvT1_
; %bb.0:
	.section	.rodata,"a",@progbits
	.p2align	6, 0x0
	.amdhsa_kernel _ZN7rocprim17ROCPRIM_400000_NS6detail17trampoline_kernelINS0_14default_configENS1_25partition_config_selectorILNS1_17partition_subalgoE8ElNS0_10empty_typeEbEEZZNS1_14partition_implILS5_8ELb0ES3_jPlPS6_PKS6_NS0_5tupleIJS9_S6_EEENSD_IJSA_SA_EEENS0_18inequality_wrapperIZN2at6native12_GLOBAL__N_124unique_dim_cuda_templateIbEESt5tupleIJNSH_6TensorESM_SM_EERKSM_lbbbEUlllE0_EEPmJS6_EEE10hipError_tPvRmT3_T4_T5_T6_T7_T9_mT8_P12ihipStream_tbDpT10_ENKUlT_T0_E_clISt17integral_constantIbLb0EES1B_IbLb1EEEEDaS17_S18_EUlS17_E_NS1_11comp_targetILNS1_3genE0ELNS1_11target_archE4294967295ELNS1_3gpuE0ELNS1_3repE0EEENS1_30default_config_static_selectorELNS0_4arch9wavefront6targetE1EEEvT1_
		.amdhsa_group_segment_fixed_size 0
		.amdhsa_private_segment_fixed_size 0
		.amdhsa_kernarg_size 136
		.amdhsa_user_sgpr_count 2
		.amdhsa_user_sgpr_dispatch_ptr 0
		.amdhsa_user_sgpr_queue_ptr 0
		.amdhsa_user_sgpr_kernarg_segment_ptr 1
		.amdhsa_user_sgpr_dispatch_id 0
		.amdhsa_user_sgpr_kernarg_preload_length 0
		.amdhsa_user_sgpr_kernarg_preload_offset 0
		.amdhsa_user_sgpr_private_segment_size 0
		.amdhsa_uses_dynamic_stack 0
		.amdhsa_enable_private_segment 0
		.amdhsa_system_sgpr_workgroup_id_x 1
		.amdhsa_system_sgpr_workgroup_id_y 0
		.amdhsa_system_sgpr_workgroup_id_z 0
		.amdhsa_system_sgpr_workgroup_info 0
		.amdhsa_system_vgpr_workitem_id 0
		.amdhsa_next_free_vgpr 1
		.amdhsa_next_free_sgpr 0
		.amdhsa_accum_offset 4
		.amdhsa_reserve_vcc 0
		.amdhsa_float_round_mode_32 0
		.amdhsa_float_round_mode_16_64 0
		.amdhsa_float_denorm_mode_32 3
		.amdhsa_float_denorm_mode_16_64 3
		.amdhsa_dx10_clamp 1
		.amdhsa_ieee_mode 1
		.amdhsa_fp16_overflow 0
		.amdhsa_tg_split 0
		.amdhsa_exception_fp_ieee_invalid_op 0
		.amdhsa_exception_fp_denorm_src 0
		.amdhsa_exception_fp_ieee_div_zero 0
		.amdhsa_exception_fp_ieee_overflow 0
		.amdhsa_exception_fp_ieee_underflow 0
		.amdhsa_exception_fp_ieee_inexact 0
		.amdhsa_exception_int_div_zero 0
	.end_amdhsa_kernel
	.section	.text._ZN7rocprim17ROCPRIM_400000_NS6detail17trampoline_kernelINS0_14default_configENS1_25partition_config_selectorILNS1_17partition_subalgoE8ElNS0_10empty_typeEbEEZZNS1_14partition_implILS5_8ELb0ES3_jPlPS6_PKS6_NS0_5tupleIJS9_S6_EEENSD_IJSA_SA_EEENS0_18inequality_wrapperIZN2at6native12_GLOBAL__N_124unique_dim_cuda_templateIbEESt5tupleIJNSH_6TensorESM_SM_EERKSM_lbbbEUlllE0_EEPmJS6_EEE10hipError_tPvRmT3_T4_T5_T6_T7_T9_mT8_P12ihipStream_tbDpT10_ENKUlT_T0_E_clISt17integral_constantIbLb0EES1B_IbLb1EEEEDaS17_S18_EUlS17_E_NS1_11comp_targetILNS1_3genE0ELNS1_11target_archE4294967295ELNS1_3gpuE0ELNS1_3repE0EEENS1_30default_config_static_selectorELNS0_4arch9wavefront6targetE1EEEvT1_,"axG",@progbits,_ZN7rocprim17ROCPRIM_400000_NS6detail17trampoline_kernelINS0_14default_configENS1_25partition_config_selectorILNS1_17partition_subalgoE8ElNS0_10empty_typeEbEEZZNS1_14partition_implILS5_8ELb0ES3_jPlPS6_PKS6_NS0_5tupleIJS9_S6_EEENSD_IJSA_SA_EEENS0_18inequality_wrapperIZN2at6native12_GLOBAL__N_124unique_dim_cuda_templateIbEESt5tupleIJNSH_6TensorESM_SM_EERKSM_lbbbEUlllE0_EEPmJS6_EEE10hipError_tPvRmT3_T4_T5_T6_T7_T9_mT8_P12ihipStream_tbDpT10_ENKUlT_T0_E_clISt17integral_constantIbLb0EES1B_IbLb1EEEEDaS17_S18_EUlS17_E_NS1_11comp_targetILNS1_3genE0ELNS1_11target_archE4294967295ELNS1_3gpuE0ELNS1_3repE0EEENS1_30default_config_static_selectorELNS0_4arch9wavefront6targetE1EEEvT1_,comdat
.Lfunc_end1083:
	.size	_ZN7rocprim17ROCPRIM_400000_NS6detail17trampoline_kernelINS0_14default_configENS1_25partition_config_selectorILNS1_17partition_subalgoE8ElNS0_10empty_typeEbEEZZNS1_14partition_implILS5_8ELb0ES3_jPlPS6_PKS6_NS0_5tupleIJS9_S6_EEENSD_IJSA_SA_EEENS0_18inequality_wrapperIZN2at6native12_GLOBAL__N_124unique_dim_cuda_templateIbEESt5tupleIJNSH_6TensorESM_SM_EERKSM_lbbbEUlllE0_EEPmJS6_EEE10hipError_tPvRmT3_T4_T5_T6_T7_T9_mT8_P12ihipStream_tbDpT10_ENKUlT_T0_E_clISt17integral_constantIbLb0EES1B_IbLb1EEEEDaS17_S18_EUlS17_E_NS1_11comp_targetILNS1_3genE0ELNS1_11target_archE4294967295ELNS1_3gpuE0ELNS1_3repE0EEENS1_30default_config_static_selectorELNS0_4arch9wavefront6targetE1EEEvT1_, .Lfunc_end1083-_ZN7rocprim17ROCPRIM_400000_NS6detail17trampoline_kernelINS0_14default_configENS1_25partition_config_selectorILNS1_17partition_subalgoE8ElNS0_10empty_typeEbEEZZNS1_14partition_implILS5_8ELb0ES3_jPlPS6_PKS6_NS0_5tupleIJS9_S6_EEENSD_IJSA_SA_EEENS0_18inequality_wrapperIZN2at6native12_GLOBAL__N_124unique_dim_cuda_templateIbEESt5tupleIJNSH_6TensorESM_SM_EERKSM_lbbbEUlllE0_EEPmJS6_EEE10hipError_tPvRmT3_T4_T5_T6_T7_T9_mT8_P12ihipStream_tbDpT10_ENKUlT_T0_E_clISt17integral_constantIbLb0EES1B_IbLb1EEEEDaS17_S18_EUlS17_E_NS1_11comp_targetILNS1_3genE0ELNS1_11target_archE4294967295ELNS1_3gpuE0ELNS1_3repE0EEENS1_30default_config_static_selectorELNS0_4arch9wavefront6targetE1EEEvT1_
                                        ; -- End function
	.section	.AMDGPU.csdata,"",@progbits
; Kernel info:
; codeLenInByte = 0
; NumSgprs: 6
; NumVgprs: 0
; NumAgprs: 0
; TotalNumVgprs: 0
; ScratchSize: 0
; MemoryBound: 0
; FloatMode: 240
; IeeeMode: 1
; LDSByteSize: 0 bytes/workgroup (compile time only)
; SGPRBlocks: 0
; VGPRBlocks: 0
; NumSGPRsForWavesPerEU: 6
; NumVGPRsForWavesPerEU: 1
; AccumOffset: 4
; Occupancy: 8
; WaveLimiterHint : 0
; COMPUTE_PGM_RSRC2:SCRATCH_EN: 0
; COMPUTE_PGM_RSRC2:USER_SGPR: 2
; COMPUTE_PGM_RSRC2:TRAP_HANDLER: 0
; COMPUTE_PGM_RSRC2:TGID_X_EN: 1
; COMPUTE_PGM_RSRC2:TGID_Y_EN: 0
; COMPUTE_PGM_RSRC2:TGID_Z_EN: 0
; COMPUTE_PGM_RSRC2:TIDIG_COMP_CNT: 0
; COMPUTE_PGM_RSRC3_GFX90A:ACCUM_OFFSET: 0
; COMPUTE_PGM_RSRC3_GFX90A:TG_SPLIT: 0
	.section	.text._ZN7rocprim17ROCPRIM_400000_NS6detail17trampoline_kernelINS0_14default_configENS1_25partition_config_selectorILNS1_17partition_subalgoE8ElNS0_10empty_typeEbEEZZNS1_14partition_implILS5_8ELb0ES3_jPlPS6_PKS6_NS0_5tupleIJS9_S6_EEENSD_IJSA_SA_EEENS0_18inequality_wrapperIZN2at6native12_GLOBAL__N_124unique_dim_cuda_templateIbEESt5tupleIJNSH_6TensorESM_SM_EERKSM_lbbbEUlllE0_EEPmJS6_EEE10hipError_tPvRmT3_T4_T5_T6_T7_T9_mT8_P12ihipStream_tbDpT10_ENKUlT_T0_E_clISt17integral_constantIbLb0EES1B_IbLb1EEEEDaS17_S18_EUlS17_E_NS1_11comp_targetILNS1_3genE5ELNS1_11target_archE942ELNS1_3gpuE9ELNS1_3repE0EEENS1_30default_config_static_selectorELNS0_4arch9wavefront6targetE1EEEvT1_,"axG",@progbits,_ZN7rocprim17ROCPRIM_400000_NS6detail17trampoline_kernelINS0_14default_configENS1_25partition_config_selectorILNS1_17partition_subalgoE8ElNS0_10empty_typeEbEEZZNS1_14partition_implILS5_8ELb0ES3_jPlPS6_PKS6_NS0_5tupleIJS9_S6_EEENSD_IJSA_SA_EEENS0_18inequality_wrapperIZN2at6native12_GLOBAL__N_124unique_dim_cuda_templateIbEESt5tupleIJNSH_6TensorESM_SM_EERKSM_lbbbEUlllE0_EEPmJS6_EEE10hipError_tPvRmT3_T4_T5_T6_T7_T9_mT8_P12ihipStream_tbDpT10_ENKUlT_T0_E_clISt17integral_constantIbLb0EES1B_IbLb1EEEEDaS17_S18_EUlS17_E_NS1_11comp_targetILNS1_3genE5ELNS1_11target_archE942ELNS1_3gpuE9ELNS1_3repE0EEENS1_30default_config_static_selectorELNS0_4arch9wavefront6targetE1EEEvT1_,comdat
	.globl	_ZN7rocprim17ROCPRIM_400000_NS6detail17trampoline_kernelINS0_14default_configENS1_25partition_config_selectorILNS1_17partition_subalgoE8ElNS0_10empty_typeEbEEZZNS1_14partition_implILS5_8ELb0ES3_jPlPS6_PKS6_NS0_5tupleIJS9_S6_EEENSD_IJSA_SA_EEENS0_18inequality_wrapperIZN2at6native12_GLOBAL__N_124unique_dim_cuda_templateIbEESt5tupleIJNSH_6TensorESM_SM_EERKSM_lbbbEUlllE0_EEPmJS6_EEE10hipError_tPvRmT3_T4_T5_T6_T7_T9_mT8_P12ihipStream_tbDpT10_ENKUlT_T0_E_clISt17integral_constantIbLb0EES1B_IbLb1EEEEDaS17_S18_EUlS17_E_NS1_11comp_targetILNS1_3genE5ELNS1_11target_archE942ELNS1_3gpuE9ELNS1_3repE0EEENS1_30default_config_static_selectorELNS0_4arch9wavefront6targetE1EEEvT1_ ; -- Begin function _ZN7rocprim17ROCPRIM_400000_NS6detail17trampoline_kernelINS0_14default_configENS1_25partition_config_selectorILNS1_17partition_subalgoE8ElNS0_10empty_typeEbEEZZNS1_14partition_implILS5_8ELb0ES3_jPlPS6_PKS6_NS0_5tupleIJS9_S6_EEENSD_IJSA_SA_EEENS0_18inequality_wrapperIZN2at6native12_GLOBAL__N_124unique_dim_cuda_templateIbEESt5tupleIJNSH_6TensorESM_SM_EERKSM_lbbbEUlllE0_EEPmJS6_EEE10hipError_tPvRmT3_T4_T5_T6_T7_T9_mT8_P12ihipStream_tbDpT10_ENKUlT_T0_E_clISt17integral_constantIbLb0EES1B_IbLb1EEEEDaS17_S18_EUlS17_E_NS1_11comp_targetILNS1_3genE5ELNS1_11target_archE942ELNS1_3gpuE9ELNS1_3repE0EEENS1_30default_config_static_selectorELNS0_4arch9wavefront6targetE1EEEvT1_
	.p2align	8
	.type	_ZN7rocprim17ROCPRIM_400000_NS6detail17trampoline_kernelINS0_14default_configENS1_25partition_config_selectorILNS1_17partition_subalgoE8ElNS0_10empty_typeEbEEZZNS1_14partition_implILS5_8ELb0ES3_jPlPS6_PKS6_NS0_5tupleIJS9_S6_EEENSD_IJSA_SA_EEENS0_18inequality_wrapperIZN2at6native12_GLOBAL__N_124unique_dim_cuda_templateIbEESt5tupleIJNSH_6TensorESM_SM_EERKSM_lbbbEUlllE0_EEPmJS6_EEE10hipError_tPvRmT3_T4_T5_T6_T7_T9_mT8_P12ihipStream_tbDpT10_ENKUlT_T0_E_clISt17integral_constantIbLb0EES1B_IbLb1EEEEDaS17_S18_EUlS17_E_NS1_11comp_targetILNS1_3genE5ELNS1_11target_archE942ELNS1_3gpuE9ELNS1_3repE0EEENS1_30default_config_static_selectorELNS0_4arch9wavefront6targetE1EEEvT1_,@function
_ZN7rocprim17ROCPRIM_400000_NS6detail17trampoline_kernelINS0_14default_configENS1_25partition_config_selectorILNS1_17partition_subalgoE8ElNS0_10empty_typeEbEEZZNS1_14partition_implILS5_8ELb0ES3_jPlPS6_PKS6_NS0_5tupleIJS9_S6_EEENSD_IJSA_SA_EEENS0_18inequality_wrapperIZN2at6native12_GLOBAL__N_124unique_dim_cuda_templateIbEESt5tupleIJNSH_6TensorESM_SM_EERKSM_lbbbEUlllE0_EEPmJS6_EEE10hipError_tPvRmT3_T4_T5_T6_T7_T9_mT8_P12ihipStream_tbDpT10_ENKUlT_T0_E_clISt17integral_constantIbLb0EES1B_IbLb1EEEEDaS17_S18_EUlS17_E_NS1_11comp_targetILNS1_3genE5ELNS1_11target_archE942ELNS1_3gpuE9ELNS1_3repE0EEENS1_30default_config_static_selectorELNS0_4arch9wavefront6targetE1EEEvT1_: ; @_ZN7rocprim17ROCPRIM_400000_NS6detail17trampoline_kernelINS0_14default_configENS1_25partition_config_selectorILNS1_17partition_subalgoE8ElNS0_10empty_typeEbEEZZNS1_14partition_implILS5_8ELb0ES3_jPlPS6_PKS6_NS0_5tupleIJS9_S6_EEENSD_IJSA_SA_EEENS0_18inequality_wrapperIZN2at6native12_GLOBAL__N_124unique_dim_cuda_templateIbEESt5tupleIJNSH_6TensorESM_SM_EERKSM_lbbbEUlllE0_EEPmJS6_EEE10hipError_tPvRmT3_T4_T5_T6_T7_T9_mT8_P12ihipStream_tbDpT10_ENKUlT_T0_E_clISt17integral_constantIbLb0EES1B_IbLb1EEEEDaS17_S18_EUlS17_E_NS1_11comp_targetILNS1_3genE5ELNS1_11target_archE942ELNS1_3gpuE9ELNS1_3repE0EEENS1_30default_config_static_selectorELNS0_4arch9wavefront6targetE1EEEvT1_
; %bb.0:
	s_load_dwordx2 s[34:35], s[0:1], 0x28
	s_load_dwordx8 s[20:27], s[0:1], 0x40
	s_load_dwordx4 s[28:31], s[0:1], 0x60
	v_cmp_ne_u32_e64 s[2:3], 0, v0
	v_cmp_eq_u32_e64 s[18:19], 0, v0
	s_and_saveexec_b64 s[4:5], s[18:19]
	s_cbranch_execz .LBB1084_4
; %bb.1:
	s_mov_b64 s[8:9], exec
	v_mbcnt_lo_u32_b32 v1, s8, 0
	v_mbcnt_hi_u32_b32 v1, s9, v1
	v_cmp_eq_u32_e32 vcc, 0, v1
                                        ; implicit-def: $vgpr2
	s_and_saveexec_b64 s[6:7], vcc
	s_cbranch_execz .LBB1084_3
; %bb.2:
	s_load_dwordx2 s[10:11], s[0:1], 0x78
	s_bcnt1_i32_b64 s8, s[8:9]
	v_mov_b32_e32 v2, 0
	v_mov_b32_e32 v3, s8
	s_waitcnt lgkmcnt(0)
	global_atomic_add v2, v2, v3, s[10:11] sc0
.LBB1084_3:
	s_or_b64 exec, exec, s[6:7]
	s_waitcnt vmcnt(0)
	v_readfirstlane_b32 s6, v2
	v_mov_b32_e32 v2, 0
	s_nop 0
	v_add_u32_e32 v1, s6, v1
	ds_write_b32 v2, v1
.LBB1084_4:
	s_or_b64 exec, exec, s[4:5]
	v_mov_b32_e32 v3, 0
	s_load_dwordx4 s[4:7], s[0:1], 0x8
	s_load_dword s8, s[0:1], 0x70
	s_waitcnt lgkmcnt(0)
	s_barrier
	ds_read_b32 v1, v3
	s_waitcnt lgkmcnt(0)
	s_barrier
	global_load_dwordx2 v[4:5], v3, s[22:23]
	s_lshl_b64 s[10:11], s[6:7], 3
	s_mul_i32 s9, s8, 0xe00
	s_add_u32 s4, s4, s10
	s_addc_u32 s5, s5, s11
	s_add_i32 s10, s8, -1
	s_add_i32 s8, s9, s6
	s_sub_i32 s52, s24, s8
	s_add_u32 s8, s6, s9
	s_addc_u32 s9, s7, 0
	v_readfirstlane_b32 s33, v1
	v_mov_b32_e32 v6, s24
	v_mov_b32_e32 v7, s25
	s_cmp_eq_u32 s33, s10
	s_movk_i32 s12, 0xe00
	v_cmp_ge_u64_e32 vcc, s[8:9], v[6:7]
	s_cselect_b64 s[24:25], -1, 0
	v_mul_lo_u32 v2, v1, s12
	s_and_b64 s[8:9], vcc, s[24:25]
	v_lshlrev_b64 v[6:7], 3, v[2:3]
	s_xor_b64 s[36:37], s[8:9], -1
	s_mov_b64 s[0:1], -1
	v_lshl_add_u64 v[18:19], s[4:5], 0, v[6:7]
	s_and_b64 vcc, exec, s[36:37]
	s_waitcnt vmcnt(0)
	v_readfirstlane_b32 s22, v4
	v_readfirstlane_b32 s23, v5
	s_cbranch_vccz .LBB1084_6
; %bb.5:
	v_lshlrev_b32_e32 v2, 3, v0
	v_lshl_add_u64 v[4:5], v[18:19], 0, v[2:3]
	v_add_co_u32_e32 v8, vcc, 0x1000, v4
	v_readfirstlane_b32 s0, v18
	s_nop 0
	v_addc_co_u32_e32 v9, vcc, 0, v5, vcc
	v_add_co_u32_e32 v10, vcc, 0x2000, v4
	v_readfirstlane_b32 s1, v19
	s_nop 0
	v_addc_co_u32_e32 v11, vcc, 0, v5, vcc
	v_add_co_u32_e32 v12, vcc, 0x3000, v4
	s_nop 1
	v_addc_co_u32_e32 v13, vcc, 0, v5, vcc
	v_add_co_u32_e32 v14, vcc, 0x4000, v4
	global_load_dwordx2 v[6:7], v2, s[0:1]
	s_nop 0
	v_addc_co_u32_e32 v15, vcc, 0, v5, vcc
	global_load_dwordx2 v[16:17], v[8:9], off
	global_load_dwordx2 v[20:21], v[10:11], off
	;; [unrolled: 1-line block ×4, first 2 shown]
	v_add_co_u32_e32 v8, vcc, 0x5000, v4
	s_mov_b64 s[0:1], 0
	s_nop 0
	v_addc_co_u32_e32 v9, vcc, 0, v5, vcc
	v_add_co_u32_e32 v4, vcc, 0x6000, v4
	global_load_dwordx2 v[8:9], v[8:9], off
	s_nop 0
	v_addc_co_u32_e32 v5, vcc, 0, v5, vcc
	global_load_dwordx2 v[4:5], v[4:5], off
	s_waitcnt vmcnt(5)
	ds_write2st64_b64 v2, v[6:7], v[16:17] offset1:8
	s_waitcnt vmcnt(3)
	ds_write2st64_b64 v2, v[20:21], v[22:23] offset0:16 offset1:24
	s_waitcnt vmcnt(1)
	ds_write2st64_b64 v2, v[24:25], v[8:9] offset0:32 offset1:40
	s_waitcnt vmcnt(0)
	ds_write_b64 v2, v[4:5] offset:24576
	s_waitcnt lgkmcnt(0)
	s_barrier
.LBB1084_6:
	s_andn2_b64 vcc, exec, s[0:1]
	s_addk_i32 s52, 0xe00
	s_cbranch_vccnz .LBB1084_22
; %bb.7:
	v_cmp_gt_u32_e32 vcc, s52, v0
                                        ; implicit-def: $vgpr2_vgpr3_vgpr4_vgpr5_vgpr6_vgpr7_vgpr8_vgpr9_vgpr10_vgpr11_vgpr12_vgpr13_vgpr14_vgpr15_vgpr16_vgpr17
	s_and_saveexec_b64 s[0:1], vcc
	s_cbranch_execz .LBB1084_9
; %bb.8:
	v_lshlrev_b32_e32 v1, 3, v0
	v_readfirstlane_b32 s4, v18
	v_readfirstlane_b32 s5, v19
	s_nop 4
	global_load_dwordx2 v[2:3], v1, s[4:5]
.LBB1084_9:
	s_or_b64 exec, exec, s[0:1]
	v_or_b32_e32 v1, 0x200, v0
	v_cmp_gt_u32_e32 vcc, s52, v1
	s_and_saveexec_b64 s[0:1], vcc
	s_cbranch_execz .LBB1084_11
; %bb.10:
	v_lshlrev_b32_e32 v1, 3, v1
	v_readfirstlane_b32 s4, v18
	v_readfirstlane_b32 s5, v19
	s_nop 4
	global_load_dwordx2 v[4:5], v1, s[4:5]
.LBB1084_11:
	s_or_b64 exec, exec, s[0:1]
	v_or_b32_e32 v1, 0x400, v0
	v_cmp_gt_u32_e32 vcc, s52, v1
	;; [unrolled: 12-line block ×6, first 2 shown]
	s_and_saveexec_b64 s[0:1], vcc
	s_cbranch_execz .LBB1084_21
; %bb.20:
	v_lshlrev_b32_e32 v1, 3, v1
	v_readfirstlane_b32 s4, v18
	v_readfirstlane_b32 s5, v19
	s_nop 4
	global_load_dwordx2 v[14:15], v1, s[4:5]
.LBB1084_21:
	s_or_b64 exec, exec, s[0:1]
	v_lshlrev_b32_e32 v1, 3, v0
	s_waitcnt vmcnt(0)
	ds_write2st64_b64 v1, v[2:3], v[4:5] offset1:8
	ds_write2st64_b64 v1, v[6:7], v[8:9] offset0:16 offset1:24
	ds_write2st64_b64 v1, v[10:11], v[12:13] offset0:32 offset1:40
	ds_write_b64 v1, v[14:15] offset:24576
	s_waitcnt lgkmcnt(0)
	s_barrier
.LBB1084_22:
	v_mul_u32_u24_e32 v1, 7, v0
	v_lshlrev_b32_e32 v32, 3, v1
	ds_read2_b64 v[10:13], v32 offset1:1
	ds_read2_b64 v[6:9], v32 offset0:2 offset1:3
	ds_read2_b64 v[2:5], v32 offset0:4 offset1:5
	ds_read_b64 v[14:15], v32 offset:48
	s_cmp_lg_u32 s33, 0
	s_cselect_b64 s[16:17], -1, 0
	s_cmp_lg_u64 s[6:7], 0
	s_cselect_b64 s[0:1], -1, 0
	s_or_b64 s[0:1], s[0:1], s[16:17]
	v_mad_u32_u24 v27, v0, 7, 1
	v_mad_u32_u24 v26, v0, 7, 2
	;; [unrolled: 1-line block ×6, first 2 shown]
	s_mov_b64 s[10:11], 0
	s_and_b64 vcc, exec, s[0:1]
	v_cmp_lt_i64_e64 s[12:13], s[26:27], 1
	v_cmp_gt_i64_e64 s[6:7], s[26:27], 0
	s_waitcnt lgkmcnt(0)
	s_barrier
	s_cbranch_vccz .LBB1084_31
; %bb.23:
	global_load_dwordx2 v[16:17], v[18:19], off offset:-8
	v_lshlrev_b32_e32 v33, 3, v0
	s_mov_b64 s[0:1], 0
	s_and_b64 vcc, exec, s[36:37]
	ds_write_b64 v33, v[14:15]
	s_cbranch_vccz .LBB1084_33
; %bb.24:
	v_cndmask_b32_e64 v18, 0, 1, s[6:7]
	v_cmp_ne_u32_e64 s[4:5], 1, v18
	s_andn2_b64 vcc, exec, s[6:7]
	s_cbranch_vccnz .LBB1084_34
; %bb.25:
	v_mov_b64_e32 v[20:21], s[28:29]
	v_mad_u64_u32 v[18:19], s[0:1], v4, s26, v[20:21]
	v_mul_lo_u32 v22, v4, s27
	v_mul_lo_u32 v23, v5, s26
	v_add3_u32 v19, v23, v19, v22
	v_mad_u64_u32 v[20:21], s[0:1], v14, s26, v[20:21]
	v_mul_lo_u32 v22, v14, s27
	v_mul_lo_u32 v23, v15, s26
	v_add3_u32 v21, v23, v21, v22
	global_load_ubyte v22, v[18:19], off
	global_load_ubyte v23, v[20:21], off
	s_mov_b64 s[6:7], -1
	s_waitcnt vmcnt(1)
	v_cmp_ne_u16_e32 vcc, 0, v22
	s_waitcnt vmcnt(0)
	v_cmp_ne_u16_e64 s[0:1], 0, v23
	s_xor_b64 s[0:1], vcc, s[0:1]
	s_xor_b64 s[0:1], s[0:1], -1
	s_and_saveexec_b64 s[10:11], s[0:1]
	s_cbranch_execz .LBB1084_36
; %bb.26:
	s_mov_b64 s[40:41], 1
	s_mov_b64 s[14:15], 0
                                        ; implicit-def: $sgpr38_sgpr39
	s_branch .LBB1084_29
.LBB1084_27:                            ;   in Loop: Header=BB1084_29 Depth=1
	v_lshl_add_u64 v[22:23], v[18:19], 0, s[40:41]
	v_lshl_add_u64 v[24:25], v[20:21], 0, s[40:41]
	global_load_ubyte v34, v[22:23], off
	global_load_ubyte v35, v[24:25], off
	s_waitcnt vmcnt(1)
	v_cmp_ne_u16_e64 s[0:1], 0, v34
	s_waitcnt vmcnt(0)
	v_cmp_ne_u16_e64 s[6:7], 0, v35
	s_xor_b64 s[6:7], s[0:1], s[6:7]
	s_add_u32 s0, s40, 1
	s_addc_u32 s1, s41, 0
	s_andn2_b64 s[38:39], s[38:39], exec
	s_and_b64 s[6:7], s[6:7], exec
	s_or_b64 s[38:39], s[38:39], s[6:7]
.LBB1084_28:                            ;   in Loop: Header=BB1084_29 Depth=1
	s_and_b64 s[6:7], exec, s[38:39]
	s_or_b64 s[14:15], s[6:7], s[14:15]
	v_mov_b64_e32 v[22:23], s[40:41]
	s_mov_b64 s[40:41], s[0:1]
	s_andn2_b64 exec, exec, s[14:15]
	s_cbranch_execz .LBB1084_35
.LBB1084_29:                            ; =>This Inner Loop Header: Depth=1
	s_or_b64 s[38:39], s[38:39], exec
	s_cmp_eq_u64 s[26:27], s[40:41]
	s_cbranch_scc0 .LBB1084_27
; %bb.30:                               ;   in Loop: Header=BB1084_29 Depth=1
                                        ; implicit-def: $sgpr0_sgpr1
	s_mov_b64 s[40:41], s[26:27]
	s_branch .LBB1084_28
.LBB1084_31:
                                        ; implicit-def: $sgpr0_sgpr1
                                        ; implicit-def: $vgpr34
                                        ; implicit-def: $vgpr18
                                        ; implicit-def: $vgpr19
                                        ; implicit-def: $vgpr20
	s_branch .LBB1084_159
.LBB1084_32:
                                        ; implicit-def: $vgpr16_vgpr17
	s_branch .LBB1084_292
.LBB1084_33:
                                        ; implicit-def: $sgpr0_sgpr1
                                        ; implicit-def: $vgpr34
                                        ; implicit-def: $vgpr18
                                        ; implicit-def: $vgpr19
                                        ; implicit-def: $vgpr20
	s_cbranch_execnz .LBB1084_92
	s_branch .LBB1084_158
.LBB1084_34:
	v_mov_b32_e32 v18, 0
	s_branch .LBB1084_44
.LBB1084_35:
	s_or_b64 exec, exec, s[14:15]
	v_cmp_gt_i64_e64 s[0:1], s[26:27], v[22:23]
	s_orn2_b64 s[6:7], s[0:1], exec
.LBB1084_36:
	s_or_b64 exec, exec, s[10:11]
	v_mov_b64_e32 v[20:21], s[28:29]
	v_mad_u64_u32 v[20:21], s[0:1], v2, s26, v[20:21]
	v_mul_lo_u32 v22, v2, s27
	v_mul_lo_u32 v23, v3, s26
	v_add3_u32 v21, v23, v21, v22
	global_load_ubyte v22, v[20:21], off
	s_waitcnt vmcnt(0)
	v_cmp_ne_u16_e64 s[0:1], 0, v22
	s_xor_b64 s[10:11], vcc, s[0:1]
	s_mov_b64 s[0:1], -1
	s_xor_b64 s[14:15], s[10:11], -1
	s_and_saveexec_b64 s[10:11], s[14:15]
	s_cbranch_execz .LBB1084_43
; %bb.37:
	s_mov_b64 s[40:41], 1
	s_mov_b64 s[14:15], 0
                                        ; implicit-def: $sgpr38_sgpr39
	s_branch .LBB1084_40
.LBB1084_38:                            ;   in Loop: Header=BB1084_40 Depth=1
	v_lshl_add_u64 v[22:23], v[20:21], 0, s[40:41]
	v_lshl_add_u64 v[24:25], v[18:19], 0, s[40:41]
	global_load_ubyte v34, v[22:23], off
	global_load_ubyte v35, v[24:25], off
	s_waitcnt vmcnt(1)
	v_cmp_ne_u16_e32 vcc, 0, v34
	s_waitcnt vmcnt(0)
	v_cmp_ne_u16_e64 s[0:1], 0, v35
	s_xor_b64 s[42:43], vcc, s[0:1]
	s_add_u32 s0, s40, 1
	s_addc_u32 s1, s41, 0
	s_andn2_b64 s[38:39], s[38:39], exec
	s_and_b64 s[42:43], s[42:43], exec
	s_or_b64 s[38:39], s[38:39], s[42:43]
.LBB1084_39:                            ;   in Loop: Header=BB1084_40 Depth=1
	s_and_b64 s[42:43], exec, s[38:39]
	s_or_b64 s[14:15], s[42:43], s[14:15]
	v_mov_b64_e32 v[22:23], s[40:41]
	s_mov_b64 s[40:41], s[0:1]
	s_andn2_b64 exec, exec, s[14:15]
	s_cbranch_execz .LBB1084_42
.LBB1084_40:                            ; =>This Inner Loop Header: Depth=1
	s_or_b64 s[38:39], s[38:39], exec
	s_cmp_eq_u64 s[26:27], s[40:41]
	s_cbranch_scc0 .LBB1084_38
; %bb.41:                               ;   in Loop: Header=BB1084_40 Depth=1
                                        ; implicit-def: $sgpr0_sgpr1
	s_mov_b64 s[40:41], s[26:27]
	s_branch .LBB1084_39
.LBB1084_42:
	s_or_b64 exec, exec, s[14:15]
	v_cmp_gt_i64_e32 vcc, s[26:27], v[22:23]
	s_orn2_b64 s[0:1], vcc, exec
.LBB1084_43:
	s_or_b64 exec, exec, s[10:11]
	v_cndmask_b32_e64 v18, 0, 1, s[6:7]
.LBB1084_44:
	v_lshlrev_b16_e32 v19, 8, v0
	v_lshlrev_b16_e32 v20, 8, v0
	v_mov_b32_e32 v22, 8
	v_lshrrev_b32_sdwa v20, v22, v20 dst_sel:BYTE_1 dst_unused:UNUSED_PAD src0_sel:DWORD src1_sel:DWORD
	v_lshrrev_b32_sdwa v19, v22, v19 dst_sel:BYTE_1 dst_unused:UNUSED_PAD src0_sel:DWORD src1_sel:DWORD
	v_cndmask_b32_e64 v21, 0, 1, s[0:1]
	v_or_b32_sdwa v20, v0, v20 dst_sel:DWORD dst_unused:UNUSED_PAD src0_sel:BYTE_0 src1_sel:DWORD
	v_or_b32_sdwa v19, v0, v19 dst_sel:WORD_1 dst_unused:UNUSED_PAD src0_sel:BYTE_0 src1_sel:DWORD
	v_lshlrev_b32_e32 v18, 16, v18
	v_or_b32_sdwa v34, v20, v19 dst_sel:DWORD dst_unused:UNUSED_PAD src0_sel:WORD_0 src1_sel:DWORD
	v_lshlrev_b16_e32 v19, 8, v21
	s_and_b64 vcc, exec, s[4:5]
	v_or_b32_e32 v35, v19, v18
	s_cbranch_vccnz .LBB1084_51
; %bb.45:
	v_mov_b64_e32 v[20:21], s[28:29]
	v_mad_u64_u32 v[18:19], s[0:1], v8, s26, v[20:21]
	v_mul_lo_u32 v22, v8, s27
	v_mul_lo_u32 v23, v9, s26
	v_add3_u32 v19, v23, v19, v22
	v_mad_u64_u32 v[20:21], s[0:1], v2, s26, v[20:21]
	v_mul_lo_u32 v22, v2, s27
	v_mul_lo_u32 v23, v3, s26
	v_add3_u32 v21, v23, v21, v22
	global_load_ubyte v22, v[18:19], off
	global_load_ubyte v23, v[20:21], off
	s_waitcnt vmcnt(1)
	v_cmp_ne_u16_e32 vcc, 0, v22
	s_waitcnt vmcnt(0)
	v_cmp_ne_u16_e64 s[0:1], 0, v23
	s_xor_b64 s[6:7], vcc, s[0:1]
	s_mov_b64 s[0:1], -1
	s_xor_b64 s[6:7], s[6:7], -1
	s_and_saveexec_b64 s[10:11], s[6:7]
	s_cbranch_execz .LBB1084_53
; %bb.46:
	s_mov_b64 s[40:41], 1
	s_mov_b64 s[14:15], 0
                                        ; implicit-def: $sgpr38_sgpr39
	s_branch .LBB1084_49
.LBB1084_47:                            ;   in Loop: Header=BB1084_49 Depth=1
	v_lshl_add_u64 v[22:23], v[18:19], 0, s[40:41]
	v_lshl_add_u64 v[24:25], v[20:21], 0, s[40:41]
	global_load_ubyte v36, v[22:23], off
	global_load_ubyte v37, v[24:25], off
	s_waitcnt vmcnt(1)
	v_cmp_ne_u16_e64 s[0:1], 0, v36
	s_waitcnt vmcnt(0)
	v_cmp_ne_u16_e64 s[6:7], 0, v37
	s_xor_b64 s[6:7], s[0:1], s[6:7]
	s_add_u32 s0, s40, 1
	s_addc_u32 s1, s41, 0
	s_andn2_b64 s[38:39], s[38:39], exec
	s_and_b64 s[6:7], s[6:7], exec
	s_or_b64 s[38:39], s[38:39], s[6:7]
.LBB1084_48:                            ;   in Loop: Header=BB1084_49 Depth=1
	s_and_b64 s[6:7], exec, s[38:39]
	s_or_b64 s[14:15], s[6:7], s[14:15]
	v_mov_b64_e32 v[22:23], s[40:41]
	s_mov_b64 s[40:41], s[0:1]
	s_andn2_b64 exec, exec, s[14:15]
	s_cbranch_execz .LBB1084_52
.LBB1084_49:                            ; =>This Inner Loop Header: Depth=1
	s_or_b64 s[38:39], s[38:39], exec
	s_cmp_eq_u64 s[26:27], s[40:41]
	s_cbranch_scc0 .LBB1084_47
; %bb.50:                               ;   in Loop: Header=BB1084_49 Depth=1
                                        ; implicit-def: $sgpr0_sgpr1
	s_mov_b64 s[40:41], s[26:27]
	s_branch .LBB1084_48
.LBB1084_51:
                                        ; implicit-def: $sgpr0_sgpr1
                                        ; implicit-def: $vgpr20_vgpr21
	s_cbranch_execnz .LBB1084_61
	s_branch .LBB1084_62
.LBB1084_52:
	s_or_b64 exec, exec, s[14:15]
	v_cmp_gt_i64_e64 s[0:1], s[26:27], v[22:23]
	s_orn2_b64 s[0:1], s[0:1], exec
.LBB1084_53:
	s_or_b64 exec, exec, s[10:11]
	v_mov_b64_e32 v[20:21], s[28:29]
	v_mad_u64_u32 v[22:23], s[6:7], v6, s26, v[20:21]
	v_mul_lo_u32 v20, v6, s27
	v_mul_lo_u32 v21, v7, s26
	v_add3_u32 v23, v21, v23, v20
	global_load_ubyte v24, v[22:23], off
	v_mov_b32_e32 v20, 8
	v_cndmask_b32_e64 v21, 0, 1, s[0:1]
	s_mov_b32 s0, 0x3020104
	v_lshrrev_b32_sdwa v36, v20, v35 dst_sel:BYTE_1 dst_unused:UNUSED_PAD src0_sel:DWORD src1_sel:DWORD
	v_perm_b32 v20, v34, v34, s0
	v_or_b32_e32 v21, v21, v36
	v_bfe_u32 v25, v35, 16, 8
	v_and_b32_e32 v21, 0xffff, v21
	v_lshl_or_b32 v21, v25, 16, v21
	s_waitcnt vmcnt(0)
	v_cmp_ne_u16_e64 s[0:1], 0, v24
	s_xor_b64 s[6:7], vcc, s[0:1]
	s_mov_b64 s[0:1], -1
	s_xor_b64 s[10:11], s[6:7], -1
	s_and_saveexec_b64 s[6:7], s[10:11]
	s_cbranch_execz .LBB1084_60
; %bb.54:
	s_mov_b64 s[38:39], 1
	s_mov_b64 s[10:11], 0
                                        ; implicit-def: $sgpr14_sgpr15
	s_branch .LBB1084_57
.LBB1084_55:                            ;   in Loop: Header=BB1084_57 Depth=1
	v_lshl_add_u64 v[24:25], v[22:23], 0, s[38:39]
	v_lshl_add_u64 v[36:37], v[18:19], 0, s[38:39]
	global_load_ubyte v38, v[24:25], off
	global_load_ubyte v39, v[36:37], off
	s_waitcnt vmcnt(1)
	v_cmp_ne_u16_e32 vcc, 0, v38
	s_waitcnt vmcnt(0)
	v_cmp_ne_u16_e64 s[0:1], 0, v39
	s_xor_b64 s[40:41], vcc, s[0:1]
	s_add_u32 s0, s38, 1
	s_addc_u32 s1, s39, 0
	s_andn2_b64 s[14:15], s[14:15], exec
	s_and_b64 s[40:41], s[40:41], exec
	s_or_b64 s[14:15], s[14:15], s[40:41]
.LBB1084_56:                            ;   in Loop: Header=BB1084_57 Depth=1
	s_and_b64 s[40:41], exec, s[14:15]
	s_or_b64 s[10:11], s[40:41], s[10:11]
	v_mov_b64_e32 v[24:25], s[38:39]
	s_mov_b64 s[38:39], s[0:1]
	s_andn2_b64 exec, exec, s[10:11]
	s_cbranch_execz .LBB1084_59
.LBB1084_57:                            ; =>This Inner Loop Header: Depth=1
	s_or_b64 s[14:15], s[14:15], exec
	s_cmp_eq_u64 s[26:27], s[38:39]
	s_cbranch_scc0 .LBB1084_55
; %bb.58:                               ;   in Loop: Header=BB1084_57 Depth=1
                                        ; implicit-def: $sgpr0_sgpr1
	s_mov_b64 s[38:39], s[26:27]
	s_branch .LBB1084_56
.LBB1084_59:
	s_or_b64 exec, exec, s[10:11]
	v_cmp_gt_i64_e32 vcc, s[26:27], v[24:25]
	s_orn2_b64 s[0:1], vcc, exec
.LBB1084_60:
	s_or_b64 exec, exec, s[6:7]
	s_branch .LBB1084_62
.LBB1084_61:
	v_mov_b32_e32 v18, 8
	v_lshrrev_b32_sdwa v18, v18, v35 dst_sel:BYTE_1 dst_unused:UNUSED_PAD src0_sel:DWORD src1_sel:DWORD
	v_bfe_u32 v19, v35, 16, 8
	s_mov_b32 s6, 0x3020104
	v_lshl_or_b32 v21, v19, 16, v18
	v_perm_b32 v20, v34, v34, s6
	s_andn2_b64 s[0:1], s[0:1], exec
.LBB1084_62:
	v_mov_b32_e32 v19, 8
	v_cndmask_b32_e64 v18, 0, 1, s[0:1]
	s_movk_i32 s0, 0xff
	v_lshrrev_b32_sdwa v22, v19, v20 dst_sel:BYTE_1 dst_unused:UNUSED_PAD src0_sel:DWORD src1_sel:DWORD
	v_lshlrev_b16_e32 v18, 8, v18
	v_or_b32_sdwa v22, v20, v22 dst_sel:DWORD dst_unused:UNUSED_PAD src0_sel:BYTE_0 src1_sel:DWORD
	v_and_b32_sdwa v20, v20, s0 dst_sel:DWORD dst_unused:UNUSED_PAD src0_sel:WORD_1 src1_sel:DWORD
	v_or_b32_sdwa v18, v20, v18 dst_sel:WORD_1 dst_unused:UNUSED_PAD src0_sel:DWORD src1_sel:DWORD
	s_and_b64 vcc, exec, s[4:5]
	v_or_b32_sdwa v34, v22, v18 dst_sel:DWORD dst_unused:UNUSED_PAD src0_sel:WORD_0 src1_sel:DWORD
	v_lshrrev_b32_sdwa v18, v19, v21 dst_sel:BYTE_1 dst_unused:UNUSED_PAD src0_sel:DWORD src1_sel:DWORD
	v_bfe_u32 v19, v21, 16, 8
	v_or_b32_sdwa v18, v21, v18 dst_sel:DWORD dst_unused:UNUSED_PAD src0_sel:BYTE_0 src1_sel:DWORD
	v_and_b32_e32 v18, 0xffff, v18
	v_lshl_or_b32 v35, v19, 16, v18
	s_cbranch_vccnz .LBB1084_69
; %bb.63:
	v_mov_b64_e32 v[18:19], s[28:29]
	v_mad_u64_u32 v[20:21], s[0:1], v12, s26, v[18:19]
	v_mul_lo_u32 v22, v12, s27
	v_mul_lo_u32 v23, v13, s26
	v_add3_u32 v21, v23, v21, v22
	v_mad_u64_u32 v[18:19], s[0:1], v6, s26, v[18:19]
	v_mul_lo_u32 v22, v6, s27
	v_mul_lo_u32 v23, v7, s26
	v_add3_u32 v19, v23, v19, v22
	global_load_ubyte v22, v[20:21], off
	global_load_ubyte v23, v[18:19], off
	s_waitcnt vmcnt(1)
	v_cmp_ne_u16_e32 vcc, 0, v22
	s_waitcnt vmcnt(0)
	v_cmp_ne_u16_e64 s[0:1], 0, v23
	s_xor_b64 s[6:7], vcc, s[0:1]
	s_mov_b64 s[0:1], -1
	s_xor_b64 s[6:7], s[6:7], -1
	s_and_saveexec_b64 s[10:11], s[6:7]
	s_cbranch_execz .LBB1084_71
; %bb.64:
	s_mov_b64 s[40:41], 1
	s_mov_b64 s[14:15], 0
                                        ; implicit-def: $sgpr38_sgpr39
	s_branch .LBB1084_67
.LBB1084_65:                            ;   in Loop: Header=BB1084_67 Depth=1
	v_lshl_add_u64 v[22:23], v[20:21], 0, s[40:41]
	v_lshl_add_u64 v[24:25], v[18:19], 0, s[40:41]
	global_load_ubyte v36, v[22:23], off
	global_load_ubyte v37, v[24:25], off
	s_waitcnt vmcnt(1)
	v_cmp_ne_u16_e64 s[0:1], 0, v36
	s_waitcnt vmcnt(0)
	v_cmp_ne_u16_e64 s[6:7], 0, v37
	s_xor_b64 s[6:7], s[0:1], s[6:7]
	s_add_u32 s0, s40, 1
	s_addc_u32 s1, s41, 0
	s_andn2_b64 s[38:39], s[38:39], exec
	s_and_b64 s[6:7], s[6:7], exec
	s_or_b64 s[38:39], s[38:39], s[6:7]
.LBB1084_66:                            ;   in Loop: Header=BB1084_67 Depth=1
	s_and_b64 s[6:7], exec, s[38:39]
	s_or_b64 s[14:15], s[6:7], s[14:15]
	v_mov_b64_e32 v[22:23], s[40:41]
	s_mov_b64 s[40:41], s[0:1]
	s_andn2_b64 exec, exec, s[14:15]
	s_cbranch_execz .LBB1084_70
.LBB1084_67:                            ; =>This Inner Loop Header: Depth=1
	s_or_b64 s[38:39], s[38:39], exec
	s_cmp_eq_u64 s[26:27], s[40:41]
	s_cbranch_scc0 .LBB1084_65
; %bb.68:                               ;   in Loop: Header=BB1084_67 Depth=1
                                        ; implicit-def: $sgpr0_sgpr1
	s_mov_b64 s[40:41], s[26:27]
	s_branch .LBB1084_66
.LBB1084_69:
                                        ; implicit-def: $sgpr0_sgpr1
                                        ; implicit-def: $vgpr18_vgpr19
	s_cbranch_execnz .LBB1084_79
	s_branch .LBB1084_80
.LBB1084_70:
	s_or_b64 exec, exec, s[14:15]
	v_cmp_gt_i64_e64 s[0:1], s[26:27], v[22:23]
	s_orn2_b64 s[0:1], s[0:1], exec
.LBB1084_71:
	s_or_b64 exec, exec, s[10:11]
	v_mov_b64_e32 v[18:19], s[28:29]
	v_mad_u64_u32 v[22:23], s[6:7], v10, s26, v[18:19]
	v_mul_lo_u32 v18, v10, s27
	v_mul_lo_u32 v19, v11, s26
	v_add3_u32 v23, v19, v23, v18
	global_load_ubyte v24, v[22:23], off
	v_mov_b32_e32 v19, 8
	v_lshrrev_b32_e32 v36, 24, v34
	v_lshrrev_b32_sdwa v37, v19, v35 dst_sel:BYTE_1 dst_unused:UNUSED_PAD src0_sel:DWORD src1_sel:DWORD
	v_cndmask_b32_e64 v18, 0, 1, s[0:1]
	v_lshrrev_b32_sdwa v19, v19, v34 dst_sel:BYTE_1 dst_unused:UNUSED_PAD src0_sel:DWORD src1_sel:DWORD
	v_lshlrev_b16_e32 v36, 8, v36
	v_or_b32_sdwa v37, v35, v37 dst_sel:DWORD dst_unused:UNUSED_PAD src0_sel:BYTE_0 src1_sel:DWORD
	v_bfe_u32 v25, v35, 16, 8
	v_or_b32_sdwa v19, v34, v19 dst_sel:DWORD dst_unused:UNUSED_PAD src0_sel:BYTE_0 src1_sel:DWORD
	v_or_b32_sdwa v18, v18, v36 dst_sel:WORD_1 dst_unused:UNUSED_PAD src0_sel:DWORD src1_sel:DWORD
	v_and_b32_e32 v36, 0xffff, v37
	v_or_b32_sdwa v18, v19, v18 dst_sel:DWORD dst_unused:UNUSED_PAD src0_sel:WORD_0 src1_sel:DWORD
	v_lshl_or_b32 v19, v25, 16, v36
	s_waitcnt vmcnt(0)
	v_cmp_ne_u16_e64 s[0:1], 0, v24
	s_xor_b64 s[6:7], vcc, s[0:1]
	s_mov_b64 s[0:1], -1
	s_xor_b64 s[10:11], s[6:7], -1
	s_and_saveexec_b64 s[6:7], s[10:11]
	s_cbranch_execz .LBB1084_78
; %bb.72:
	s_mov_b64 s[38:39], 1
	s_mov_b64 s[10:11], 0
                                        ; implicit-def: $sgpr14_sgpr15
	s_branch .LBB1084_75
.LBB1084_73:                            ;   in Loop: Header=BB1084_75 Depth=1
	v_lshl_add_u64 v[24:25], v[22:23], 0, s[38:39]
	v_lshl_add_u64 v[36:37], v[20:21], 0, s[38:39]
	global_load_ubyte v38, v[24:25], off
	global_load_ubyte v39, v[36:37], off
	s_waitcnt vmcnt(1)
	v_cmp_ne_u16_e32 vcc, 0, v38
	s_waitcnt vmcnt(0)
	v_cmp_ne_u16_e64 s[0:1], 0, v39
	s_xor_b64 s[40:41], vcc, s[0:1]
	s_add_u32 s0, s38, 1
	s_addc_u32 s1, s39, 0
	s_andn2_b64 s[14:15], s[14:15], exec
	s_and_b64 s[40:41], s[40:41], exec
	s_or_b64 s[14:15], s[14:15], s[40:41]
.LBB1084_74:                            ;   in Loop: Header=BB1084_75 Depth=1
	s_and_b64 s[40:41], exec, s[14:15]
	s_or_b64 s[10:11], s[40:41], s[10:11]
	v_mov_b64_e32 v[24:25], s[38:39]
	s_mov_b64 s[38:39], s[0:1]
	s_andn2_b64 exec, exec, s[10:11]
	s_cbranch_execz .LBB1084_77
.LBB1084_75:                            ; =>This Inner Loop Header: Depth=1
	s_or_b64 s[14:15], s[14:15], exec
	s_cmp_eq_u64 s[26:27], s[38:39]
	s_cbranch_scc0 .LBB1084_73
; %bb.76:                               ;   in Loop: Header=BB1084_75 Depth=1
                                        ; implicit-def: $sgpr0_sgpr1
	s_mov_b64 s[38:39], s[26:27]
	s_branch .LBB1084_74
.LBB1084_77:
	s_or_b64 exec, exec, s[10:11]
	v_cmp_gt_i64_e32 vcc, s[26:27], v[24:25]
	s_orn2_b64 s[0:1], vcc, exec
.LBB1084_78:
	s_or_b64 exec, exec, s[6:7]
	s_branch .LBB1084_80
.LBB1084_79:
	v_mov_b32_e32 v18, 8
	v_lshrrev_b32_sdwa v19, v18, v35 dst_sel:BYTE_1 dst_unused:UNUSED_PAD src0_sel:DWORD src1_sel:DWORD
	v_lshrrev_b32_sdwa v18, v18, v34 dst_sel:BYTE_1 dst_unused:UNUSED_PAD src0_sel:DWORD src1_sel:DWORD
	v_or_b32_sdwa v19, v35, v19 dst_sel:DWORD dst_unused:UNUSED_PAD src0_sel:BYTE_0 src1_sel:DWORD
	v_or_b32_sdwa v18, v34, v18 dst_sel:DWORD dst_unused:UNUSED_PAD src0_sel:BYTE_0 src1_sel:DWORD
	v_and_b32_e32 v19, 0xffff, v19
	v_bfe_u32 v20, v35, 16, 8
	v_and_b32_e32 v18, 0xffff, v18
	s_mov_b32 s6, 0xff000000
	v_lshl_or_b32 v19, v20, 16, v19
	v_and_or_b32 v18, v34, s6, v18
	s_andn2_b64 s[0:1], s[0:1], exec
.LBB1084_80:
	s_waitcnt vmcnt(0)
	v_mov_b64_e32 v[22:23], v[16:17]
	s_waitcnt lgkmcnt(0)
	s_barrier
	s_and_saveexec_b64 s[6:7], s[2:3]
	s_cbranch_execz .LBB1084_82
; %bb.81:
	v_add_u32_e32 v20, -8, v33
	ds_read_b64 v[22:23], v20
.LBB1084_82:
	s_or_b64 exec, exec, s[6:7]
	v_cndmask_b32_e64 v20, 0, 1, s[0:1]
	v_lshlrev_b16_e32 v20, 8, v20
	s_movk_i32 s0, 0xff
	v_or_b32_sdwa v34, v18, v20 dst_sel:DWORD dst_unused:UNUSED_PAD src0_sel:BYTE_0 src1_sel:DWORD
	v_lshrrev_b32_e32 v20, 24, v18
	v_lshlrev_b16_e32 v20, 8, v20
	v_and_b32_sdwa v18, v18, s0 dst_sel:DWORD dst_unused:UNUSED_PAD src0_sel:WORD_1 src1_sel:DWORD
	v_or_b32_sdwa v18, v18, v20 dst_sel:WORD_1 dst_unused:UNUSED_PAD src0_sel:DWORD src1_sel:DWORD
	s_mov_b64 s[6:7], 0
	s_and_b64 vcc, exec, s[4:5]
	s_mov_b64 s[0:1], 0
	s_cbranch_vccnz .LBB1084_91
; %bb.83:
	v_mov_b64_e32 v[24:25], s[28:29]
	s_waitcnt lgkmcnt(0)
	v_mad_u64_u32 v[20:21], s[0:1], v22, s26, v[24:25]
	v_mul_lo_u32 v22, v22, s27
	v_mul_lo_u32 v23, v23, s26
	v_add3_u32 v21, v23, v21, v22
	v_mad_u64_u32 v[22:23], s[0:1], v10, s26, v[24:25]
	v_mul_lo_u32 v24, v10, s27
	v_mul_lo_u32 v25, v11, s26
	v_add3_u32 v23, v25, v23, v24
	global_load_ubyte v24, v[20:21], off
	global_load_ubyte v25, v[22:23], off
	s_waitcnt vmcnt(1)
	v_cmp_ne_u16_e32 vcc, 0, v24
	s_waitcnt vmcnt(0)
	v_cmp_ne_u16_e64 s[0:1], 0, v25
	s_xor_b64 s[4:5], vcc, s[0:1]
	s_mov_b64 s[0:1], -1
	s_xor_b64 s[10:11], s[4:5], -1
	s_and_saveexec_b64 s[4:5], s[10:11]
	s_cbranch_execz .LBB1084_90
; %bb.84:
	s_mov_b64 s[38:39], 1
	s_mov_b64 s[10:11], 0
                                        ; implicit-def: $sgpr14_sgpr15
	s_branch .LBB1084_87
.LBB1084_85:                            ;   in Loop: Header=BB1084_87 Depth=1
	v_lshl_add_u64 v[24:25], v[20:21], 0, s[38:39]
	v_lshl_add_u64 v[36:37], v[22:23], 0, s[38:39]
	global_load_ubyte v35, v[24:25], off
	global_load_ubyte v38, v[36:37], off
	s_waitcnt vmcnt(1)
	v_cmp_ne_u16_e32 vcc, 0, v35
	s_waitcnt vmcnt(0)
	v_cmp_ne_u16_e64 s[0:1], 0, v38
	s_xor_b64 s[40:41], vcc, s[0:1]
	s_add_u32 s0, s38, 1
	s_addc_u32 s1, s39, 0
	s_andn2_b64 s[14:15], s[14:15], exec
	s_and_b64 s[40:41], s[40:41], exec
	s_or_b64 s[14:15], s[14:15], s[40:41]
.LBB1084_86:                            ;   in Loop: Header=BB1084_87 Depth=1
	s_and_b64 s[40:41], exec, s[14:15]
	s_or_b64 s[10:11], s[40:41], s[10:11]
	v_mov_b64_e32 v[24:25], s[38:39]
	s_mov_b64 s[38:39], s[0:1]
	s_andn2_b64 exec, exec, s[10:11]
	s_cbranch_execz .LBB1084_89
.LBB1084_87:                            ; =>This Inner Loop Header: Depth=1
	s_or_b64 s[14:15], s[14:15], exec
	s_cmp_eq_u64 s[26:27], s[38:39]
	s_cbranch_scc0 .LBB1084_85
; %bb.88:                               ;   in Loop: Header=BB1084_87 Depth=1
                                        ; implicit-def: $sgpr0_sgpr1
	s_mov_b64 s[38:39], s[26:27]
	s_branch .LBB1084_86
.LBB1084_89:
	s_or_b64 exec, exec, s[10:11]
	v_cmp_gt_i64_e32 vcc, s[26:27], v[24:25]
	s_orn2_b64 s[0:1], vcc, exec
.LBB1084_90:
	s_or_b64 exec, exec, s[4:5]
.LBB1084_91:
	v_or_b32_sdwa v20, v34, v18 dst_sel:DWORD dst_unused:UNUSED_PAD src0_sel:WORD_0 src1_sel:DWORD
	v_lshrrev_b32_e32 v18, 8, v19
	v_lshrrev_b32_e32 v34, 16, v19
	s_and_b64 vcc, exec, s[6:7]
	s_cbranch_vccz .LBB1084_158
.LBB1084_92:
	v_cmp_gt_u32_e32 vcc, s52, v29
	s_xor_b64 s[10:11], s[12:13], -1
	s_mov_b64 s[14:15], -1
	s_and_b64 s[0:1], vcc, s[10:11]
	s_mov_b64 s[6:7], 0
	s_mov_b64 s[4:5], 0
	s_and_saveexec_b64 s[12:13], s[0:1]
	s_cbranch_execz .LBB1084_101
; %bb.93:
	v_mov_b64_e32 v[20:21], s[28:29]
	v_mad_u64_u32 v[18:19], s[0:1], v4, s26, v[20:21]
	s_waitcnt lgkmcnt(0)
	v_mul_lo_u32 v22, v4, s27
	v_mul_lo_u32 v23, v5, s26
	v_add3_u32 v19, v23, v19, v22
	v_mad_u64_u32 v[20:21], s[0:1], v14, s26, v[20:21]
	v_mul_lo_u32 v22, v14, s27
	v_mul_lo_u32 v23, v15, s26
	v_add3_u32 v21, v23, v21, v22
	global_load_ubyte v22, v[18:19], off
	global_load_ubyte v23, v[20:21], off
	s_waitcnt vmcnt(1)
	v_cmp_ne_u16_e32 vcc, 0, v22
	s_waitcnt vmcnt(0)
	v_cmp_ne_u16_e64 s[0:1], 0, v23
	s_xor_b64 s[0:1], vcc, s[0:1]
	s_xor_b64 s[0:1], s[0:1], -1
	s_and_saveexec_b64 s[4:5], s[0:1]
	s_cbranch_execz .LBB1084_100
; %bb.94:
	s_mov_b64 s[40:41], 1
	s_mov_b64 s[14:15], 0
                                        ; implicit-def: $sgpr38_sgpr39
	s_branch .LBB1084_97
.LBB1084_95:                            ;   in Loop: Header=BB1084_97 Depth=1
	v_lshl_add_u64 v[22:23], v[18:19], 0, s[40:41]
	v_lshl_add_u64 v[24:25], v[20:21], 0, s[40:41]
	global_load_ubyte v34, v[22:23], off
	global_load_ubyte v35, v[24:25], off
	s_waitcnt vmcnt(1)
	v_cmp_ne_u16_e32 vcc, 0, v34
	s_waitcnt vmcnt(0)
	v_cmp_ne_u16_e64 s[0:1], 0, v35
	s_xor_b64 s[42:43], vcc, s[0:1]
	s_add_u32 s0, s40, 1
	s_addc_u32 s1, s41, 0
	s_andn2_b64 s[38:39], s[38:39], exec
	s_and_b64 s[42:43], s[42:43], exec
	s_or_b64 s[38:39], s[38:39], s[42:43]
.LBB1084_96:                            ;   in Loop: Header=BB1084_97 Depth=1
	s_and_b64 s[42:43], exec, s[38:39]
	s_or_b64 s[14:15], s[42:43], s[14:15]
	v_mov_b64_e32 v[22:23], s[40:41]
	s_mov_b64 s[40:41], s[0:1]
	s_andn2_b64 exec, exec, s[14:15]
	s_cbranch_execz .LBB1084_99
.LBB1084_97:                            ; =>This Inner Loop Header: Depth=1
	s_or_b64 s[38:39], s[38:39], exec
	s_cmp_eq_u64 s[26:27], s[40:41]
	s_cbranch_scc0 .LBB1084_95
; %bb.98:                               ;   in Loop: Header=BB1084_97 Depth=1
                                        ; implicit-def: $sgpr0_sgpr1
	s_mov_b64 s[40:41], s[26:27]
	s_branch .LBB1084_96
.LBB1084_99:
	s_or_b64 exec, exec, s[14:15]
	v_cmp_gt_i64_e32 vcc, s[26:27], v[22:23]
	s_orn2_b64 s[14:15], vcc, exec
.LBB1084_100:
	s_or_b64 exec, exec, s[4:5]
	s_and_b64 s[4:5], s[14:15], exec
.LBB1084_101:
	s_or_b64 exec, exec, s[12:13]
	v_cmp_gt_u32_e32 vcc, s52, v31
	s_and_b64 s[0:1], vcc, s[10:11]
	s_and_saveexec_b64 s[12:13], s[0:1]
	s_cbranch_execz .LBB1084_110
; %bb.102:
	v_mov_b64_e32 v[20:21], s[28:29]
	v_mad_u64_u32 v[18:19], s[0:1], v2, s26, v[20:21]
	s_waitcnt lgkmcnt(0)
	v_mul_lo_u32 v22, v2, s27
	v_mul_lo_u32 v23, v3, s26
	v_add3_u32 v19, v23, v19, v22
	v_mad_u64_u32 v[20:21], s[0:1], v4, s26, v[20:21]
	v_mul_lo_u32 v22, v4, s27
	v_mul_lo_u32 v23, v5, s26
	v_add3_u32 v21, v23, v21, v22
	global_load_ubyte v22, v[18:19], off
	global_load_ubyte v23, v[20:21], off
	s_waitcnt vmcnt(1)
	v_cmp_ne_u16_e32 vcc, 0, v22
	s_waitcnt vmcnt(0)
	v_cmp_ne_u16_e64 s[0:1], 0, v23
	s_xor_b64 s[6:7], vcc, s[0:1]
	s_mov_b64 s[0:1], -1
	s_xor_b64 s[14:15], s[6:7], -1
	s_and_saveexec_b64 s[6:7], s[14:15]
	s_cbranch_execz .LBB1084_109
; %bb.103:
	s_mov_b64 s[40:41], 1
	s_mov_b64 s[14:15], 0
                                        ; implicit-def: $sgpr38_sgpr39
	s_branch .LBB1084_106
.LBB1084_104:                           ;   in Loop: Header=BB1084_106 Depth=1
	v_lshl_add_u64 v[22:23], v[18:19], 0, s[40:41]
	v_lshl_add_u64 v[24:25], v[20:21], 0, s[40:41]
	global_load_ubyte v34, v[22:23], off
	global_load_ubyte v35, v[24:25], off
	s_waitcnt vmcnt(1)
	v_cmp_ne_u16_e32 vcc, 0, v34
	s_waitcnt vmcnt(0)
	v_cmp_ne_u16_e64 s[0:1], 0, v35
	s_xor_b64 s[42:43], vcc, s[0:1]
	s_add_u32 s0, s40, 1
	s_addc_u32 s1, s41, 0
	s_andn2_b64 s[38:39], s[38:39], exec
	s_and_b64 s[42:43], s[42:43], exec
	s_or_b64 s[38:39], s[38:39], s[42:43]
.LBB1084_105:                           ;   in Loop: Header=BB1084_106 Depth=1
	s_and_b64 s[42:43], exec, s[38:39]
	s_or_b64 s[14:15], s[42:43], s[14:15]
	v_mov_b64_e32 v[22:23], s[40:41]
	s_mov_b64 s[40:41], s[0:1]
	s_andn2_b64 exec, exec, s[14:15]
	s_cbranch_execz .LBB1084_108
.LBB1084_106:                           ; =>This Inner Loop Header: Depth=1
	s_or_b64 s[38:39], s[38:39], exec
	s_cmp_eq_u64 s[26:27], s[40:41]
	s_cbranch_scc0 .LBB1084_104
; %bb.107:                              ;   in Loop: Header=BB1084_106 Depth=1
                                        ; implicit-def: $sgpr0_sgpr1
	s_mov_b64 s[40:41], s[26:27]
	s_branch .LBB1084_105
.LBB1084_108:
	s_or_b64 exec, exec, s[14:15]
	v_cmp_gt_i64_e32 vcc, s[26:27], v[22:23]
	s_orn2_b64 s[0:1], vcc, exec
.LBB1084_109:
	s_or_b64 exec, exec, s[6:7]
	s_and_b64 s[6:7], s[0:1], exec
.LBB1084_110:
	s_or_b64 exec, exec, s[12:13]
	v_cmp_gt_u32_e32 vcc, s52, v28
	s_mov_b64 s[40:41], -1
	s_and_b64 s[0:1], vcc, s[10:11]
	s_mov_b64 s[14:15], 0
	s_mov_b64 s[12:13], 0
	s_and_saveexec_b64 s[38:39], s[0:1]
	s_cbranch_execz .LBB1084_119
; %bb.111:
	v_mov_b64_e32 v[20:21], s[28:29]
	v_mad_u64_u32 v[18:19], s[0:1], v8, s26, v[20:21]
	s_waitcnt lgkmcnt(0)
	v_mul_lo_u32 v22, v8, s27
	v_mul_lo_u32 v23, v9, s26
	v_add3_u32 v19, v23, v19, v22
	v_mad_u64_u32 v[20:21], s[0:1], v2, s26, v[20:21]
	v_mul_lo_u32 v22, v2, s27
	v_mul_lo_u32 v23, v3, s26
	v_add3_u32 v21, v23, v21, v22
	global_load_ubyte v22, v[18:19], off
	global_load_ubyte v23, v[20:21], off
	s_waitcnt vmcnt(1)
	v_cmp_ne_u16_e32 vcc, 0, v22
	s_waitcnt vmcnt(0)
	v_cmp_ne_u16_e64 s[0:1], 0, v23
	s_xor_b64 s[0:1], vcc, s[0:1]
	s_xor_b64 s[0:1], s[0:1], -1
	s_and_saveexec_b64 s[12:13], s[0:1]
	s_cbranch_execz .LBB1084_118
; %bb.112:
	s_mov_b64 s[44:45], 1
	s_mov_b64 s[40:41], 0
                                        ; implicit-def: $sgpr42_sgpr43
	s_branch .LBB1084_115
.LBB1084_113:                           ;   in Loop: Header=BB1084_115 Depth=1
	v_lshl_add_u64 v[22:23], v[18:19], 0, s[44:45]
	v_lshl_add_u64 v[24:25], v[20:21], 0, s[44:45]
	global_load_ubyte v34, v[22:23], off
	global_load_ubyte v35, v[24:25], off
	s_waitcnt vmcnt(1)
	v_cmp_ne_u16_e32 vcc, 0, v34
	s_waitcnt vmcnt(0)
	v_cmp_ne_u16_e64 s[0:1], 0, v35
	s_xor_b64 s[46:47], vcc, s[0:1]
	s_add_u32 s0, s44, 1
	s_addc_u32 s1, s45, 0
	s_andn2_b64 s[42:43], s[42:43], exec
	s_and_b64 s[46:47], s[46:47], exec
	s_or_b64 s[42:43], s[42:43], s[46:47]
.LBB1084_114:                           ;   in Loop: Header=BB1084_115 Depth=1
	s_and_b64 s[46:47], exec, s[42:43]
	s_or_b64 s[40:41], s[46:47], s[40:41]
	v_mov_b64_e32 v[22:23], s[44:45]
	s_mov_b64 s[44:45], s[0:1]
	s_andn2_b64 exec, exec, s[40:41]
	s_cbranch_execz .LBB1084_117
.LBB1084_115:                           ; =>This Inner Loop Header: Depth=1
	s_or_b64 s[42:43], s[42:43], exec
	s_cmp_eq_u64 s[26:27], s[44:45]
	s_cbranch_scc0 .LBB1084_113
; %bb.116:                              ;   in Loop: Header=BB1084_115 Depth=1
                                        ; implicit-def: $sgpr0_sgpr1
	s_mov_b64 s[44:45], s[26:27]
	s_branch .LBB1084_114
.LBB1084_117:
	s_or_b64 exec, exec, s[40:41]
	v_cmp_gt_i64_e32 vcc, s[26:27], v[22:23]
	s_orn2_b64 s[40:41], vcc, exec
.LBB1084_118:
	s_or_b64 exec, exec, s[12:13]
	s_and_b64 s[12:13], s[40:41], exec
.LBB1084_119:
	s_or_b64 exec, exec, s[38:39]
	v_cmp_gt_u32_e32 vcc, s52, v30
	s_and_b64 s[0:1], vcc, s[10:11]
	s_and_saveexec_b64 s[38:39], s[0:1]
	s_cbranch_execz .LBB1084_128
; %bb.120:
	v_mov_b64_e32 v[20:21], s[28:29]
	v_mad_u64_u32 v[18:19], s[0:1], v6, s26, v[20:21]
	s_waitcnt lgkmcnt(0)
	v_mul_lo_u32 v22, v6, s27
	v_mul_lo_u32 v23, v7, s26
	v_add3_u32 v19, v23, v19, v22
	v_mad_u64_u32 v[20:21], s[0:1], v8, s26, v[20:21]
	v_mul_lo_u32 v22, v8, s27
	v_mul_lo_u32 v23, v9, s26
	v_add3_u32 v21, v23, v21, v22
	global_load_ubyte v22, v[18:19], off
	global_load_ubyte v23, v[20:21], off
	s_waitcnt vmcnt(1)
	v_cmp_ne_u16_e32 vcc, 0, v22
	s_waitcnt vmcnt(0)
	v_cmp_ne_u16_e64 s[0:1], 0, v23
	s_xor_b64 s[14:15], vcc, s[0:1]
	s_mov_b64 s[0:1], -1
	s_xor_b64 s[40:41], s[14:15], -1
	s_and_saveexec_b64 s[14:15], s[40:41]
	s_cbranch_execz .LBB1084_127
; %bb.121:
	s_mov_b64 s[44:45], 1
	s_mov_b64 s[40:41], 0
                                        ; implicit-def: $sgpr42_sgpr43
	s_branch .LBB1084_124
.LBB1084_122:                           ;   in Loop: Header=BB1084_124 Depth=1
	v_lshl_add_u64 v[22:23], v[18:19], 0, s[44:45]
	v_lshl_add_u64 v[24:25], v[20:21], 0, s[44:45]
	global_load_ubyte v34, v[22:23], off
	global_load_ubyte v35, v[24:25], off
	s_waitcnt vmcnt(1)
	v_cmp_ne_u16_e32 vcc, 0, v34
	s_waitcnt vmcnt(0)
	v_cmp_ne_u16_e64 s[0:1], 0, v35
	s_xor_b64 s[46:47], vcc, s[0:1]
	s_add_u32 s0, s44, 1
	s_addc_u32 s1, s45, 0
	s_andn2_b64 s[42:43], s[42:43], exec
	s_and_b64 s[46:47], s[46:47], exec
	s_or_b64 s[42:43], s[42:43], s[46:47]
.LBB1084_123:                           ;   in Loop: Header=BB1084_124 Depth=1
	s_and_b64 s[46:47], exec, s[42:43]
	s_or_b64 s[40:41], s[46:47], s[40:41]
	v_mov_b64_e32 v[22:23], s[44:45]
	s_mov_b64 s[44:45], s[0:1]
	s_andn2_b64 exec, exec, s[40:41]
	s_cbranch_execz .LBB1084_126
.LBB1084_124:                           ; =>This Inner Loop Header: Depth=1
	s_or_b64 s[42:43], s[42:43], exec
	s_cmp_eq_u64 s[26:27], s[44:45]
	s_cbranch_scc0 .LBB1084_122
; %bb.125:                              ;   in Loop: Header=BB1084_124 Depth=1
                                        ; implicit-def: $sgpr0_sgpr1
	s_mov_b64 s[44:45], s[26:27]
	s_branch .LBB1084_123
.LBB1084_126:
	s_or_b64 exec, exec, s[40:41]
	v_cmp_gt_i64_e32 vcc, s[26:27], v[22:23]
	s_orn2_b64 s[0:1], vcc, exec
.LBB1084_127:
	s_or_b64 exec, exec, s[14:15]
	s_and_b64 s[14:15], s[0:1], exec
.LBB1084_128:
	s_or_b64 exec, exec, s[38:39]
	v_cmp_gt_u32_e32 vcc, s52, v26
	s_mov_b64 s[44:45], -1
	s_and_b64 s[0:1], vcc, s[10:11]
	s_mov_b64 s[38:39], 0
	s_mov_b64 s[40:41], 0
	s_and_saveexec_b64 s[42:43], s[0:1]
	s_cbranch_execz .LBB1084_137
; %bb.129:
	v_mov_b64_e32 v[20:21], s[28:29]
	v_mad_u64_u32 v[18:19], s[0:1], v12, s26, v[20:21]
	s_waitcnt lgkmcnt(0)
	v_mul_lo_u32 v22, v12, s27
	v_mul_lo_u32 v23, v13, s26
	v_add3_u32 v19, v23, v19, v22
	v_mad_u64_u32 v[20:21], s[0:1], v6, s26, v[20:21]
	v_mul_lo_u32 v22, v6, s27
	v_mul_lo_u32 v23, v7, s26
	v_add3_u32 v21, v23, v21, v22
	global_load_ubyte v22, v[18:19], off
	global_load_ubyte v23, v[20:21], off
	s_waitcnt vmcnt(1)
	v_cmp_ne_u16_e32 vcc, 0, v22
	s_waitcnt vmcnt(0)
	v_cmp_ne_u16_e64 s[0:1], 0, v23
	s_xor_b64 s[0:1], vcc, s[0:1]
	s_xor_b64 s[0:1], s[0:1], -1
	s_and_saveexec_b64 s[40:41], s[0:1]
	s_cbranch_execz .LBB1084_136
; %bb.130:
	s_mov_b64 s[48:49], 1
	s_mov_b64 s[44:45], 0
                                        ; implicit-def: $sgpr46_sgpr47
	s_branch .LBB1084_133
.LBB1084_131:                           ;   in Loop: Header=BB1084_133 Depth=1
	v_lshl_add_u64 v[22:23], v[18:19], 0, s[48:49]
	v_lshl_add_u64 v[24:25], v[20:21], 0, s[48:49]
	global_load_ubyte v34, v[22:23], off
	global_load_ubyte v35, v[24:25], off
	s_waitcnt vmcnt(1)
	v_cmp_ne_u16_e32 vcc, 0, v34
	s_waitcnt vmcnt(0)
	v_cmp_ne_u16_e64 s[0:1], 0, v35
	s_xor_b64 s[50:51], vcc, s[0:1]
	s_add_u32 s0, s48, 1
	s_addc_u32 s1, s49, 0
	s_andn2_b64 s[46:47], s[46:47], exec
	s_and_b64 s[50:51], s[50:51], exec
	s_or_b64 s[46:47], s[46:47], s[50:51]
.LBB1084_132:                           ;   in Loop: Header=BB1084_133 Depth=1
	s_and_b64 s[50:51], exec, s[46:47]
	s_or_b64 s[44:45], s[50:51], s[44:45]
	v_mov_b64_e32 v[22:23], s[48:49]
	s_mov_b64 s[48:49], s[0:1]
	s_andn2_b64 exec, exec, s[44:45]
	s_cbranch_execz .LBB1084_135
.LBB1084_133:                           ; =>This Inner Loop Header: Depth=1
	s_or_b64 s[46:47], s[46:47], exec
	s_cmp_eq_u64 s[26:27], s[48:49]
	s_cbranch_scc0 .LBB1084_131
; %bb.134:                              ;   in Loop: Header=BB1084_133 Depth=1
                                        ; implicit-def: $sgpr0_sgpr1
	s_mov_b64 s[48:49], s[26:27]
	s_branch .LBB1084_132
.LBB1084_135:
	s_or_b64 exec, exec, s[44:45]
	v_cmp_gt_i64_e32 vcc, s[26:27], v[22:23]
	s_orn2_b64 s[44:45], vcc, exec
.LBB1084_136:
	s_or_b64 exec, exec, s[40:41]
	s_and_b64 s[40:41], s[44:45], exec
.LBB1084_137:
	s_or_b64 exec, exec, s[42:43]
	v_cmp_gt_u32_e32 vcc, s52, v27
	s_and_b64 s[0:1], vcc, s[10:11]
	s_and_saveexec_b64 s[42:43], s[0:1]
	s_cbranch_execz .LBB1084_146
; %bb.138:
	v_mov_b64_e32 v[20:21], s[28:29]
	v_mad_u64_u32 v[18:19], s[0:1], v10, s26, v[20:21]
	s_waitcnt lgkmcnt(0)
	v_mul_lo_u32 v22, v10, s27
	v_mul_lo_u32 v23, v11, s26
	v_add3_u32 v19, v23, v19, v22
	v_mad_u64_u32 v[20:21], s[0:1], v12, s26, v[20:21]
	v_mul_lo_u32 v22, v12, s27
	v_mul_lo_u32 v23, v13, s26
	v_add3_u32 v21, v23, v21, v22
	global_load_ubyte v22, v[18:19], off
	global_load_ubyte v23, v[20:21], off
	s_waitcnt vmcnt(1)
	v_cmp_ne_u16_e32 vcc, 0, v22
	s_waitcnt vmcnt(0)
	v_cmp_ne_u16_e64 s[0:1], 0, v23
	s_xor_b64 s[38:39], vcc, s[0:1]
	s_mov_b64 s[0:1], -1
	s_xor_b64 s[44:45], s[38:39], -1
	s_and_saveexec_b64 s[38:39], s[44:45]
	s_cbranch_execz .LBB1084_145
; %bb.139:
	s_mov_b64 s[48:49], 1
	s_mov_b64 s[44:45], 0
                                        ; implicit-def: $sgpr46_sgpr47
	s_branch .LBB1084_142
.LBB1084_140:                           ;   in Loop: Header=BB1084_142 Depth=1
	v_lshl_add_u64 v[22:23], v[18:19], 0, s[48:49]
	v_lshl_add_u64 v[24:25], v[20:21], 0, s[48:49]
	global_load_ubyte v34, v[22:23], off
	global_load_ubyte v35, v[24:25], off
	s_waitcnt vmcnt(1)
	v_cmp_ne_u16_e32 vcc, 0, v34
	s_waitcnt vmcnt(0)
	v_cmp_ne_u16_e64 s[0:1], 0, v35
	s_xor_b64 s[50:51], vcc, s[0:1]
	s_add_u32 s0, s48, 1
	s_addc_u32 s1, s49, 0
	s_andn2_b64 s[46:47], s[46:47], exec
	s_and_b64 s[50:51], s[50:51], exec
	s_or_b64 s[46:47], s[46:47], s[50:51]
.LBB1084_141:                           ;   in Loop: Header=BB1084_142 Depth=1
	s_and_b64 s[50:51], exec, s[46:47]
	s_or_b64 s[44:45], s[50:51], s[44:45]
	v_mov_b64_e32 v[22:23], s[48:49]
	s_mov_b64 s[48:49], s[0:1]
	s_andn2_b64 exec, exec, s[44:45]
	s_cbranch_execz .LBB1084_144
.LBB1084_142:                           ; =>This Inner Loop Header: Depth=1
	s_or_b64 s[46:47], s[46:47], exec
	s_cmp_eq_u64 s[26:27], s[48:49]
	s_cbranch_scc0 .LBB1084_140
; %bb.143:                              ;   in Loop: Header=BB1084_142 Depth=1
                                        ; implicit-def: $sgpr0_sgpr1
	s_mov_b64 s[48:49], s[26:27]
	s_branch .LBB1084_141
.LBB1084_144:
	s_or_b64 exec, exec, s[44:45]
	v_cmp_gt_i64_e32 vcc, s[26:27], v[22:23]
	s_orn2_b64 s[0:1], vcc, exec
.LBB1084_145:
	s_or_b64 exec, exec, s[38:39]
	s_and_b64 s[38:39], s[0:1], exec
.LBB1084_146:
	s_or_b64 exec, exec, s[42:43]
	s_waitcnt lgkmcnt(0)
	s_barrier
	s_and_saveexec_b64 s[0:1], s[2:3]
	s_cbranch_execz .LBB1084_148
; %bb.147:
	s_waitcnt vmcnt(0)
	v_add_u32_e32 v16, -8, v33
	ds_read_b64 v[16:17], v16
.LBB1084_148:
	s_or_b64 exec, exec, s[0:1]
	v_cndmask_b32_e64 v19, 0, 1, s[14:15]
	v_cndmask_b32_e64 v18, 0, 1, s[40:41]
	;; [unrolled: 1-line block ×3, first 2 shown]
	v_cmp_gt_u32_e32 vcc, s52, v1
	v_lshlrev_b16_e32 v19, 8, v19
	s_mov_b64 s[38:39], -1
	s_and_b64 s[14:15], vcc, s[10:11]
	v_lshlrev_b16_e32 v22, 8, v20
	v_or_b32_sdwa v23, v18, v19 dst_sel:WORD_1 dst_unused:UNUSED_PAD src0_sel:DWORD src1_sel:DWORD
	s_mov_b64 s[0:1], 0
	s_and_saveexec_b64 s[10:11], s[14:15]
	s_cbranch_execz .LBB1084_157
; %bb.149:
	v_mov_b64_e32 v[20:21], s[28:29]
	s_waitcnt vmcnt(0) lgkmcnt(0)
	v_mad_u64_u32 v[18:19], s[0:1], v16, s26, v[20:21]
	v_mul_lo_u32 v16, v16, s27
	v_mul_lo_u32 v17, v17, s26
	v_add3_u32 v19, v17, v19, v16
	v_mad_u64_u32 v[16:17], s[0:1], v10, s26, v[20:21]
	v_mul_lo_u32 v20, v10, s27
	v_mul_lo_u32 v21, v11, s26
	v_add3_u32 v17, v21, v17, v20
	global_load_ubyte v20, v[18:19], off
	global_load_ubyte v21, v[16:17], off
	s_waitcnt vmcnt(1)
	v_cmp_ne_u16_e32 vcc, 0, v20
	s_waitcnt vmcnt(0)
	v_cmp_ne_u16_e64 s[0:1], 0, v21
	s_xor_b64 s[0:1], vcc, s[0:1]
	s_xor_b64 s[0:1], s[0:1], -1
	s_and_saveexec_b64 s[14:15], s[0:1]
	s_cbranch_execz .LBB1084_156
; %bb.150:
	s_mov_b64 s[42:43], 1
	s_mov_b64 s[38:39], 0
                                        ; implicit-def: $sgpr40_sgpr41
	s_branch .LBB1084_153
.LBB1084_151:                           ;   in Loop: Header=BB1084_153 Depth=1
	v_lshl_add_u64 v[20:21], v[18:19], 0, s[42:43]
	v_lshl_add_u64 v[24:25], v[16:17], 0, s[42:43]
	global_load_ubyte v33, v[20:21], off
	global_load_ubyte v34, v[24:25], off
	s_waitcnt vmcnt(1)
	v_cmp_ne_u16_e32 vcc, 0, v33
	s_waitcnt vmcnt(0)
	v_cmp_ne_u16_e64 s[0:1], 0, v34
	s_xor_b64 s[44:45], vcc, s[0:1]
	s_add_u32 s0, s42, 1
	s_addc_u32 s1, s43, 0
	s_andn2_b64 s[40:41], s[40:41], exec
	s_and_b64 s[44:45], s[44:45], exec
	s_or_b64 s[40:41], s[40:41], s[44:45]
.LBB1084_152:                           ;   in Loop: Header=BB1084_153 Depth=1
	s_and_b64 s[44:45], exec, s[40:41]
	s_or_b64 s[38:39], s[44:45], s[38:39]
	v_mov_b64_e32 v[20:21], s[42:43]
	s_mov_b64 s[42:43], s[0:1]
	s_andn2_b64 exec, exec, s[38:39]
	s_cbranch_execz .LBB1084_155
.LBB1084_153:                           ; =>This Inner Loop Header: Depth=1
	s_or_b64 s[40:41], s[40:41], exec
	s_cmp_eq_u64 s[26:27], s[42:43]
	s_cbranch_scc0 .LBB1084_151
; %bb.154:                              ;   in Loop: Header=BB1084_153 Depth=1
                                        ; implicit-def: $sgpr0_sgpr1
	s_mov_b64 s[42:43], s[26:27]
	s_branch .LBB1084_152
.LBB1084_155:
	s_or_b64 exec, exec, s[38:39]
	v_cmp_gt_i64_e32 vcc, s[26:27], v[20:21]
	s_orn2_b64 s[38:39], vcc, exec
.LBB1084_156:
	s_or_b64 exec, exec, s[14:15]
	s_and_b64 s[0:1], s[38:39], exec
.LBB1084_157:
	s_or_b64 exec, exec, s[10:11]
	v_cndmask_b32_e64 v19, 0, 1, s[12:13]
	v_cndmask_b32_e64 v18, 0, 1, s[6:7]
	;; [unrolled: 1-line block ×3, first 2 shown]
	v_or_b32_e32 v20, v22, v23
.LBB1084_158:
	s_mov_b64 s[10:11], -1
	s_cbranch_execnz .LBB1084_32
.LBB1084_159:
	s_movk_i32 s0, 0xffd0
	v_mad_i32_i24 v24, v0, s0, v32
	v_cmp_lt_i64_e64 s[12:13], s[26:27], 1
	s_mov_b64 s[0:1], 0
	v_cmp_gt_i64_e64 s[6:7], s[26:27], 0
	s_and_b64 vcc, exec, s[36:37]
	ds_write_b64 v24, v[14:15]
	s_cbranch_vccz .LBB1084_167
; %bb.160:
	s_waitcnt vmcnt(0) lgkmcnt(1)
	v_cndmask_b32_e64 v16, 0, 1, s[6:7]
	v_cmp_ne_u32_e64 s[4:5], 1, v16
	s_andn2_b64 vcc, exec, s[6:7]
	s_cbranch_vccnz .LBB1084_168
; %bb.161:
	v_mov_b64_e32 v[18:19], s[28:29]
	v_mad_u64_u32 v[16:17], s[0:1], v4, s26, v[18:19]
	v_mul_lo_u32 v20, v4, s27
	v_mul_lo_u32 v21, v5, s26
	v_add3_u32 v17, v21, v17, v20
	v_mad_u64_u32 v[18:19], s[0:1], v14, s26, v[18:19]
	v_mul_lo_u32 v20, v14, s27
	v_mul_lo_u32 v21, v15, s26
	v_add3_u32 v19, v21, v19, v20
	global_load_ubyte v20, v[16:17], off
	global_load_ubyte v21, v[18:19], off
	s_mov_b64 s[6:7], -1
	s_waitcnt vmcnt(1)
	v_cmp_ne_u16_e32 vcc, 0, v20
	s_waitcnt vmcnt(0)
	v_cmp_ne_u16_e64 s[0:1], 0, v21
	s_xor_b64 s[0:1], vcc, s[0:1]
	s_xor_b64 s[0:1], s[0:1], -1
	s_and_saveexec_b64 s[14:15], s[0:1]
	s_cbranch_execz .LBB1084_170
; %bb.162:
	s_mov_b64 s[42:43], 1
	s_mov_b64 s[38:39], 0
                                        ; implicit-def: $sgpr40_sgpr41
	s_branch .LBB1084_165
.LBB1084_163:                           ;   in Loop: Header=BB1084_165 Depth=1
	v_lshl_add_u64 v[20:21], v[16:17], 0, s[42:43]
	v_lshl_add_u64 v[22:23], v[18:19], 0, s[42:43]
	global_load_ubyte v25, v[20:21], off
	global_load_ubyte v32, v[22:23], off
	s_waitcnt vmcnt(1)
	v_cmp_ne_u16_e64 s[0:1], 0, v25
	s_waitcnt vmcnt(0)
	v_cmp_ne_u16_e64 s[6:7], 0, v32
	s_xor_b64 s[6:7], s[0:1], s[6:7]
	s_add_u32 s0, s42, 1
	s_addc_u32 s1, s43, 0
	s_andn2_b64 s[40:41], s[40:41], exec
	s_and_b64 s[6:7], s[6:7], exec
	s_or_b64 s[40:41], s[40:41], s[6:7]
.LBB1084_164:                           ;   in Loop: Header=BB1084_165 Depth=1
	s_and_b64 s[6:7], exec, s[40:41]
	s_or_b64 s[38:39], s[6:7], s[38:39]
	v_mov_b64_e32 v[20:21], s[42:43]
	s_mov_b64 s[42:43], s[0:1]
	s_andn2_b64 exec, exec, s[38:39]
	s_cbranch_execz .LBB1084_169
.LBB1084_165:                           ; =>This Inner Loop Header: Depth=1
	s_or_b64 s[40:41], s[40:41], exec
	s_cmp_eq_u64 s[26:27], s[42:43]
	s_cbranch_scc0 .LBB1084_163
; %bb.166:                              ;   in Loop: Header=BB1084_165 Depth=1
                                        ; implicit-def: $sgpr0_sgpr1
	s_mov_b64 s[42:43], s[26:27]
	s_branch .LBB1084_164
.LBB1084_167:
                                        ; implicit-def: $sgpr0_sgpr1
                                        ; implicit-def: $vgpr34
                                        ; implicit-def: $vgpr18
                                        ; implicit-def: $vgpr19
                                        ; implicit-def: $vgpr20
                                        ; implicit-def: $vgpr16_vgpr17
	s_cbranch_execnz .LBB1084_226
	s_branch .LBB1084_292
.LBB1084_168:
	v_mov_b32_e32 v16, 0
	s_branch .LBB1084_178
.LBB1084_169:
	s_or_b64 exec, exec, s[38:39]
	v_cmp_gt_i64_e64 s[0:1], s[26:27], v[20:21]
	s_orn2_b64 s[6:7], s[0:1], exec
.LBB1084_170:
	s_or_b64 exec, exec, s[14:15]
	v_mov_b64_e32 v[18:19], s[28:29]
	v_mad_u64_u32 v[18:19], s[0:1], v2, s26, v[18:19]
	v_mul_lo_u32 v20, v2, s27
	v_mul_lo_u32 v21, v3, s26
	v_add3_u32 v19, v21, v19, v20
	global_load_ubyte v20, v[18:19], off
	s_waitcnt vmcnt(0)
	v_cmp_ne_u16_e64 s[0:1], 0, v20
	s_xor_b64 s[14:15], vcc, s[0:1]
	s_mov_b64 s[0:1], -1
	s_xor_b64 s[38:39], s[14:15], -1
	s_and_saveexec_b64 s[14:15], s[38:39]
	s_cbranch_execz .LBB1084_177
; %bb.171:
	s_mov_b64 s[42:43], 1
	s_mov_b64 s[38:39], 0
                                        ; implicit-def: $sgpr40_sgpr41
	s_branch .LBB1084_174
.LBB1084_172:                           ;   in Loop: Header=BB1084_174 Depth=1
	v_lshl_add_u64 v[20:21], v[18:19], 0, s[42:43]
	v_lshl_add_u64 v[22:23], v[16:17], 0, s[42:43]
	global_load_ubyte v25, v[20:21], off
	global_load_ubyte v32, v[22:23], off
	s_waitcnt vmcnt(1)
	v_cmp_ne_u16_e32 vcc, 0, v25
	s_waitcnt vmcnt(0)
	v_cmp_ne_u16_e64 s[0:1], 0, v32
	s_xor_b64 s[44:45], vcc, s[0:1]
	s_add_u32 s0, s42, 1
	s_addc_u32 s1, s43, 0
	s_andn2_b64 s[40:41], s[40:41], exec
	s_and_b64 s[44:45], s[44:45], exec
	s_or_b64 s[40:41], s[40:41], s[44:45]
.LBB1084_173:                           ;   in Loop: Header=BB1084_174 Depth=1
	s_and_b64 s[44:45], exec, s[40:41]
	s_or_b64 s[38:39], s[44:45], s[38:39]
	v_mov_b64_e32 v[20:21], s[42:43]
	s_mov_b64 s[42:43], s[0:1]
	s_andn2_b64 exec, exec, s[38:39]
	s_cbranch_execz .LBB1084_176
.LBB1084_174:                           ; =>This Inner Loop Header: Depth=1
	s_or_b64 s[40:41], s[40:41], exec
	s_cmp_eq_u64 s[26:27], s[42:43]
	s_cbranch_scc0 .LBB1084_172
; %bb.175:                              ;   in Loop: Header=BB1084_174 Depth=1
                                        ; implicit-def: $sgpr0_sgpr1
	s_mov_b64 s[42:43], s[26:27]
	s_branch .LBB1084_173
.LBB1084_176:
	s_or_b64 exec, exec, s[38:39]
	v_cmp_gt_i64_e32 vcc, s[26:27], v[20:21]
	s_orn2_b64 s[0:1], vcc, exec
.LBB1084_177:
	s_or_b64 exec, exec, s[14:15]
	v_cndmask_b32_e64 v16, 0, 1, s[6:7]
.LBB1084_178:
	v_lshlrev_b16_e32 v17, 8, v0
	v_lshlrev_b16_e32 v18, 8, v0
	v_mov_b32_e32 v20, 8
	v_lshrrev_b32_sdwa v18, v20, v18 dst_sel:BYTE_1 dst_unused:UNUSED_PAD src0_sel:DWORD src1_sel:DWORD
	v_lshrrev_b32_sdwa v17, v20, v17 dst_sel:BYTE_1 dst_unused:UNUSED_PAD src0_sel:DWORD src1_sel:DWORD
	v_cndmask_b32_e64 v19, 0, 1, s[0:1]
	v_or_b32_sdwa v18, v0, v18 dst_sel:DWORD dst_unused:UNUSED_PAD src0_sel:BYTE_0 src1_sel:DWORD
	v_or_b32_sdwa v17, v0, v17 dst_sel:WORD_1 dst_unused:UNUSED_PAD src0_sel:BYTE_0 src1_sel:DWORD
	v_lshlrev_b32_e32 v16, 16, v16
	v_or_b32_sdwa v25, v18, v17 dst_sel:DWORD dst_unused:UNUSED_PAD src0_sel:WORD_0 src1_sel:DWORD
	v_lshlrev_b16_e32 v17, 8, v19
	s_and_b64 vcc, exec, s[4:5]
	v_or_b32_e32 v32, v17, v16
	s_cbranch_vccnz .LBB1084_185
; %bb.179:
	v_mov_b64_e32 v[18:19], s[28:29]
	v_mad_u64_u32 v[16:17], s[0:1], v8, s26, v[18:19]
	v_mul_lo_u32 v20, v8, s27
	v_mul_lo_u32 v21, v9, s26
	v_add3_u32 v17, v21, v17, v20
	v_mad_u64_u32 v[18:19], s[0:1], v2, s26, v[18:19]
	v_mul_lo_u32 v20, v2, s27
	v_mul_lo_u32 v21, v3, s26
	v_add3_u32 v19, v21, v19, v20
	global_load_ubyte v20, v[16:17], off
	global_load_ubyte v21, v[18:19], off
	s_waitcnt vmcnt(1)
	v_cmp_ne_u16_e32 vcc, 0, v20
	s_waitcnt vmcnt(0)
	v_cmp_ne_u16_e64 s[0:1], 0, v21
	s_xor_b64 s[6:7], vcc, s[0:1]
	s_mov_b64 s[0:1], -1
	s_xor_b64 s[6:7], s[6:7], -1
	s_and_saveexec_b64 s[14:15], s[6:7]
	s_cbranch_execz .LBB1084_187
; %bb.180:
	s_mov_b64 s[42:43], 1
	s_mov_b64 s[38:39], 0
                                        ; implicit-def: $sgpr40_sgpr41
	s_branch .LBB1084_183
.LBB1084_181:                           ;   in Loop: Header=BB1084_183 Depth=1
	v_lshl_add_u64 v[20:21], v[16:17], 0, s[42:43]
	v_lshl_add_u64 v[22:23], v[18:19], 0, s[42:43]
	global_load_ubyte v33, v[20:21], off
	global_load_ubyte v34, v[22:23], off
	s_waitcnt vmcnt(1)
	v_cmp_ne_u16_e64 s[0:1], 0, v33
	s_waitcnt vmcnt(0)
	v_cmp_ne_u16_e64 s[6:7], 0, v34
	s_xor_b64 s[6:7], s[0:1], s[6:7]
	s_add_u32 s0, s42, 1
	s_addc_u32 s1, s43, 0
	s_andn2_b64 s[40:41], s[40:41], exec
	s_and_b64 s[6:7], s[6:7], exec
	s_or_b64 s[40:41], s[40:41], s[6:7]
.LBB1084_182:                           ;   in Loop: Header=BB1084_183 Depth=1
	s_and_b64 s[6:7], exec, s[40:41]
	s_or_b64 s[38:39], s[6:7], s[38:39]
	v_mov_b64_e32 v[20:21], s[42:43]
	s_mov_b64 s[42:43], s[0:1]
	s_andn2_b64 exec, exec, s[38:39]
	s_cbranch_execz .LBB1084_186
.LBB1084_183:                           ; =>This Inner Loop Header: Depth=1
	s_or_b64 s[40:41], s[40:41], exec
	s_cmp_eq_u64 s[26:27], s[42:43]
	s_cbranch_scc0 .LBB1084_181
; %bb.184:                              ;   in Loop: Header=BB1084_183 Depth=1
                                        ; implicit-def: $sgpr0_sgpr1
	s_mov_b64 s[42:43], s[26:27]
	s_branch .LBB1084_182
.LBB1084_185:
                                        ; implicit-def: $sgpr0_sgpr1
                                        ; implicit-def: $vgpr18_vgpr19
	s_cbranch_execnz .LBB1084_195
	s_branch .LBB1084_196
.LBB1084_186:
	s_or_b64 exec, exec, s[38:39]
	v_cmp_gt_i64_e64 s[0:1], s[26:27], v[20:21]
	s_orn2_b64 s[0:1], s[0:1], exec
.LBB1084_187:
	s_or_b64 exec, exec, s[14:15]
	v_mov_b64_e32 v[18:19], s[28:29]
	v_mad_u64_u32 v[20:21], s[6:7], v6, s26, v[18:19]
	v_mul_lo_u32 v18, v6, s27
	v_mul_lo_u32 v19, v7, s26
	v_add3_u32 v21, v19, v21, v18
	global_load_ubyte v22, v[20:21], off
	v_mov_b32_e32 v18, 8
	v_cndmask_b32_e64 v19, 0, 1, s[0:1]
	s_mov_b32 s0, 0x3020104
	v_lshrrev_b32_sdwa v33, v18, v32 dst_sel:BYTE_1 dst_unused:UNUSED_PAD src0_sel:DWORD src1_sel:DWORD
	v_perm_b32 v18, v25, v25, s0
	v_or_b32_e32 v19, v19, v33
	v_bfe_u32 v23, v32, 16, 8
	v_and_b32_e32 v19, 0xffff, v19
	v_lshl_or_b32 v19, v23, 16, v19
	s_waitcnt vmcnt(0)
	v_cmp_ne_u16_e64 s[0:1], 0, v22
	s_xor_b64 s[6:7], vcc, s[0:1]
	s_mov_b64 s[0:1], -1
	s_xor_b64 s[14:15], s[6:7], -1
	s_and_saveexec_b64 s[6:7], s[14:15]
	s_cbranch_execz .LBB1084_194
; %bb.188:
	s_mov_b64 s[40:41], 1
	s_mov_b64 s[14:15], 0
                                        ; implicit-def: $sgpr38_sgpr39
	s_branch .LBB1084_191
.LBB1084_189:                           ;   in Loop: Header=BB1084_191 Depth=1
	v_lshl_add_u64 v[22:23], v[20:21], 0, s[40:41]
	v_lshl_add_u64 v[34:35], v[16:17], 0, s[40:41]
	global_load_ubyte v33, v[22:23], off
	global_load_ubyte v36, v[34:35], off
	s_waitcnt vmcnt(1)
	v_cmp_ne_u16_e32 vcc, 0, v33
	s_waitcnt vmcnt(0)
	v_cmp_ne_u16_e64 s[0:1], 0, v36
	s_xor_b64 s[42:43], vcc, s[0:1]
	s_add_u32 s0, s40, 1
	s_addc_u32 s1, s41, 0
	s_andn2_b64 s[38:39], s[38:39], exec
	s_and_b64 s[42:43], s[42:43], exec
	s_or_b64 s[38:39], s[38:39], s[42:43]
.LBB1084_190:                           ;   in Loop: Header=BB1084_191 Depth=1
	s_and_b64 s[42:43], exec, s[38:39]
	s_or_b64 s[14:15], s[42:43], s[14:15]
	v_mov_b64_e32 v[22:23], s[40:41]
	s_mov_b64 s[40:41], s[0:1]
	s_andn2_b64 exec, exec, s[14:15]
	s_cbranch_execz .LBB1084_193
.LBB1084_191:                           ; =>This Inner Loop Header: Depth=1
	s_or_b64 s[38:39], s[38:39], exec
	s_cmp_eq_u64 s[26:27], s[40:41]
	s_cbranch_scc0 .LBB1084_189
; %bb.192:                              ;   in Loop: Header=BB1084_191 Depth=1
                                        ; implicit-def: $sgpr0_sgpr1
	s_mov_b64 s[40:41], s[26:27]
	s_branch .LBB1084_190
.LBB1084_193:
	s_or_b64 exec, exec, s[14:15]
	v_cmp_gt_i64_e32 vcc, s[26:27], v[22:23]
	s_orn2_b64 s[0:1], vcc, exec
.LBB1084_194:
	s_or_b64 exec, exec, s[6:7]
	s_branch .LBB1084_196
.LBB1084_195:
	v_mov_b32_e32 v16, 8
	v_lshrrev_b32_sdwa v16, v16, v32 dst_sel:BYTE_1 dst_unused:UNUSED_PAD src0_sel:DWORD src1_sel:DWORD
	v_bfe_u32 v17, v32, 16, 8
	s_mov_b32 s6, 0x3020104
	v_lshl_or_b32 v19, v17, 16, v16
	v_perm_b32 v18, v25, v25, s6
	s_andn2_b64 s[0:1], s[0:1], exec
.LBB1084_196:
	v_mov_b32_e32 v17, 8
	v_cndmask_b32_e64 v16, 0, 1, s[0:1]
	s_movk_i32 s0, 0xff
	v_lshrrev_b32_sdwa v20, v17, v18 dst_sel:BYTE_1 dst_unused:UNUSED_PAD src0_sel:DWORD src1_sel:DWORD
	v_lshlrev_b16_e32 v16, 8, v16
	v_or_b32_sdwa v20, v18, v20 dst_sel:DWORD dst_unused:UNUSED_PAD src0_sel:BYTE_0 src1_sel:DWORD
	v_and_b32_sdwa v18, v18, s0 dst_sel:DWORD dst_unused:UNUSED_PAD src0_sel:WORD_1 src1_sel:DWORD
	v_or_b32_sdwa v16, v18, v16 dst_sel:WORD_1 dst_unused:UNUSED_PAD src0_sel:DWORD src1_sel:DWORD
	s_and_b64 vcc, exec, s[4:5]
	v_or_b32_sdwa v25, v20, v16 dst_sel:DWORD dst_unused:UNUSED_PAD src0_sel:WORD_0 src1_sel:DWORD
	v_lshrrev_b32_sdwa v16, v17, v19 dst_sel:BYTE_1 dst_unused:UNUSED_PAD src0_sel:DWORD src1_sel:DWORD
	v_bfe_u32 v17, v19, 16, 8
	v_or_b32_sdwa v16, v19, v16 dst_sel:DWORD dst_unused:UNUSED_PAD src0_sel:BYTE_0 src1_sel:DWORD
	v_and_b32_e32 v16, 0xffff, v16
	v_lshl_or_b32 v32, v17, 16, v16
	s_cbranch_vccnz .LBB1084_203
; %bb.197:
	v_mov_b64_e32 v[18:19], s[28:29]
	v_mad_u64_u32 v[16:17], s[0:1], v12, s26, v[18:19]
	v_mul_lo_u32 v20, v12, s27
	v_mul_lo_u32 v21, v13, s26
	v_add3_u32 v17, v21, v17, v20
	v_mad_u64_u32 v[18:19], s[0:1], v6, s26, v[18:19]
	v_mul_lo_u32 v20, v6, s27
	v_mul_lo_u32 v21, v7, s26
	v_add3_u32 v19, v21, v19, v20
	global_load_ubyte v20, v[16:17], off
	global_load_ubyte v21, v[18:19], off
	s_waitcnt vmcnt(1)
	v_cmp_ne_u16_e32 vcc, 0, v20
	s_waitcnt vmcnt(0)
	v_cmp_ne_u16_e64 s[0:1], 0, v21
	s_xor_b64 s[6:7], vcc, s[0:1]
	s_mov_b64 s[0:1], -1
	s_xor_b64 s[6:7], s[6:7], -1
	s_and_saveexec_b64 s[14:15], s[6:7]
	s_cbranch_execz .LBB1084_205
; %bb.198:
	s_mov_b64 s[42:43], 1
	s_mov_b64 s[38:39], 0
                                        ; implicit-def: $sgpr40_sgpr41
	s_branch .LBB1084_201
.LBB1084_199:                           ;   in Loop: Header=BB1084_201 Depth=1
	v_lshl_add_u64 v[20:21], v[16:17], 0, s[42:43]
	v_lshl_add_u64 v[22:23], v[18:19], 0, s[42:43]
	global_load_ubyte v33, v[20:21], off
	global_load_ubyte v34, v[22:23], off
	s_waitcnt vmcnt(1)
	v_cmp_ne_u16_e64 s[0:1], 0, v33
	s_waitcnt vmcnt(0)
	v_cmp_ne_u16_e64 s[6:7], 0, v34
	s_xor_b64 s[6:7], s[0:1], s[6:7]
	s_add_u32 s0, s42, 1
	s_addc_u32 s1, s43, 0
	s_andn2_b64 s[40:41], s[40:41], exec
	s_and_b64 s[6:7], s[6:7], exec
	s_or_b64 s[40:41], s[40:41], s[6:7]
.LBB1084_200:                           ;   in Loop: Header=BB1084_201 Depth=1
	s_and_b64 s[6:7], exec, s[40:41]
	s_or_b64 s[38:39], s[6:7], s[38:39]
	v_mov_b64_e32 v[20:21], s[42:43]
	s_mov_b64 s[42:43], s[0:1]
	s_andn2_b64 exec, exec, s[38:39]
	s_cbranch_execz .LBB1084_204
.LBB1084_201:                           ; =>This Inner Loop Header: Depth=1
	s_or_b64 s[40:41], s[40:41], exec
	s_cmp_eq_u64 s[26:27], s[42:43]
	s_cbranch_scc0 .LBB1084_199
; %bb.202:                              ;   in Loop: Header=BB1084_201 Depth=1
                                        ; implicit-def: $sgpr0_sgpr1
	s_mov_b64 s[42:43], s[26:27]
	s_branch .LBB1084_200
.LBB1084_203:
                                        ; implicit-def: $sgpr0_sgpr1
                                        ; implicit-def: $vgpr18_vgpr19
	s_cbranch_execnz .LBB1084_213
	s_branch .LBB1084_214
.LBB1084_204:
	s_or_b64 exec, exec, s[38:39]
	v_cmp_gt_i64_e64 s[0:1], s[26:27], v[20:21]
	s_orn2_b64 s[0:1], s[0:1], exec
.LBB1084_205:
	s_or_b64 exec, exec, s[14:15]
	v_mov_b64_e32 v[18:19], s[28:29]
	v_mad_u64_u32 v[20:21], s[6:7], v10, s26, v[18:19]
	v_mul_lo_u32 v18, v10, s27
	v_mul_lo_u32 v19, v11, s26
	v_add3_u32 v21, v19, v21, v18
	global_load_ubyte v22, v[20:21], off
	v_mov_b32_e32 v19, 8
	v_lshrrev_b32_e32 v33, 24, v25
	v_lshrrev_b32_sdwa v34, v19, v32 dst_sel:BYTE_1 dst_unused:UNUSED_PAD src0_sel:DWORD src1_sel:DWORD
	v_cndmask_b32_e64 v18, 0, 1, s[0:1]
	v_lshrrev_b32_sdwa v19, v19, v25 dst_sel:BYTE_1 dst_unused:UNUSED_PAD src0_sel:DWORD src1_sel:DWORD
	v_lshlrev_b16_e32 v33, 8, v33
	v_or_b32_sdwa v34, v32, v34 dst_sel:DWORD dst_unused:UNUSED_PAD src0_sel:BYTE_0 src1_sel:DWORD
	v_bfe_u32 v23, v32, 16, 8
	v_or_b32_sdwa v19, v25, v19 dst_sel:DWORD dst_unused:UNUSED_PAD src0_sel:BYTE_0 src1_sel:DWORD
	v_or_b32_sdwa v18, v18, v33 dst_sel:WORD_1 dst_unused:UNUSED_PAD src0_sel:DWORD src1_sel:DWORD
	v_and_b32_e32 v33, 0xffff, v34
	v_or_b32_sdwa v18, v19, v18 dst_sel:DWORD dst_unused:UNUSED_PAD src0_sel:WORD_0 src1_sel:DWORD
	v_lshl_or_b32 v19, v23, 16, v33
	s_waitcnt vmcnt(0)
	v_cmp_ne_u16_e64 s[0:1], 0, v22
	s_xor_b64 s[6:7], vcc, s[0:1]
	s_mov_b64 s[0:1], -1
	s_xor_b64 s[14:15], s[6:7], -1
	s_and_saveexec_b64 s[6:7], s[14:15]
	s_cbranch_execz .LBB1084_212
; %bb.206:
	s_mov_b64 s[40:41], 1
	s_mov_b64 s[14:15], 0
                                        ; implicit-def: $sgpr38_sgpr39
	s_branch .LBB1084_209
.LBB1084_207:                           ;   in Loop: Header=BB1084_209 Depth=1
	v_lshl_add_u64 v[22:23], v[20:21], 0, s[40:41]
	v_lshl_add_u64 v[34:35], v[16:17], 0, s[40:41]
	global_load_ubyte v33, v[22:23], off
	global_load_ubyte v36, v[34:35], off
	s_waitcnt vmcnt(1)
	v_cmp_ne_u16_e32 vcc, 0, v33
	s_waitcnt vmcnt(0)
	v_cmp_ne_u16_e64 s[0:1], 0, v36
	s_xor_b64 s[42:43], vcc, s[0:1]
	s_add_u32 s0, s40, 1
	s_addc_u32 s1, s41, 0
	s_andn2_b64 s[38:39], s[38:39], exec
	s_and_b64 s[42:43], s[42:43], exec
	s_or_b64 s[38:39], s[38:39], s[42:43]
.LBB1084_208:                           ;   in Loop: Header=BB1084_209 Depth=1
	s_and_b64 s[42:43], exec, s[38:39]
	s_or_b64 s[14:15], s[42:43], s[14:15]
	v_mov_b64_e32 v[22:23], s[40:41]
	s_mov_b64 s[40:41], s[0:1]
	s_andn2_b64 exec, exec, s[14:15]
	s_cbranch_execz .LBB1084_211
.LBB1084_209:                           ; =>This Inner Loop Header: Depth=1
	s_or_b64 s[38:39], s[38:39], exec
	s_cmp_eq_u64 s[26:27], s[40:41]
	s_cbranch_scc0 .LBB1084_207
; %bb.210:                              ;   in Loop: Header=BB1084_209 Depth=1
                                        ; implicit-def: $sgpr0_sgpr1
	s_mov_b64 s[40:41], s[26:27]
	s_branch .LBB1084_208
.LBB1084_211:
	s_or_b64 exec, exec, s[14:15]
	v_cmp_gt_i64_e32 vcc, s[26:27], v[22:23]
	s_orn2_b64 s[0:1], vcc, exec
.LBB1084_212:
	s_or_b64 exec, exec, s[6:7]
	s_branch .LBB1084_214
.LBB1084_213:
	v_mov_b32_e32 v16, 8
	v_lshrrev_b32_sdwa v17, v16, v32 dst_sel:BYTE_1 dst_unused:UNUSED_PAD src0_sel:DWORD src1_sel:DWORD
	v_lshrrev_b32_sdwa v16, v16, v25 dst_sel:BYTE_1 dst_unused:UNUSED_PAD src0_sel:DWORD src1_sel:DWORD
	v_or_b32_sdwa v17, v32, v17 dst_sel:DWORD dst_unused:UNUSED_PAD src0_sel:BYTE_0 src1_sel:DWORD
	v_or_b32_sdwa v16, v25, v16 dst_sel:DWORD dst_unused:UNUSED_PAD src0_sel:BYTE_0 src1_sel:DWORD
	v_and_b32_e32 v17, 0xffff, v17
	v_bfe_u32 v18, v32, 16, 8
	v_and_b32_e32 v16, 0xffff, v16
	s_mov_b32 s6, 0xff000000
	v_lshl_or_b32 v19, v18, 16, v17
	v_and_or_b32 v18, v25, s6, v16
	s_andn2_b64 s[0:1], s[0:1], exec
.LBB1084_214:
	v_mov_b32_e32 v17, 8
	v_lshrrev_b32_sdwa v17, v17, v19 dst_sel:BYTE_1 dst_unused:UNUSED_PAD src0_sel:DWORD src1_sel:DWORD
	v_cndmask_b32_e64 v16, 0, 1, s[0:1]
	v_or_b32_sdwa v17, v19, v17 dst_sel:DWORD dst_unused:UNUSED_PAD src0_sel:BYTE_0 src1_sel:DWORD
	v_and_b32_e32 v17, 0xffff, v17
	v_bfe_u32 v19, v19, 16, 8
	s_movk_i32 s0, 0xff
	v_lshl_or_b32 v17, v19, 16, v17
	v_lshrrev_b32_e32 v19, 24, v18
	v_lshlrev_b16_e32 v19, 8, v19
	v_and_b32_sdwa v18, v18, s0 dst_sel:DWORD dst_unused:UNUSED_PAD src0_sel:WORD_1 src1_sel:DWORD
	v_lshlrev_b16_e32 v16, 8, v16
	v_or_b32_sdwa v18, v18, v19 dst_sel:WORD_1 dst_unused:UNUSED_PAD src0_sel:DWORD src1_sel:DWORD
	v_or_b32_e32 v16, 1, v16
	v_or_b32_sdwa v16, v16, v18 dst_sel:DWORD dst_unused:UNUSED_PAD src0_sel:WORD_0 src1_sel:DWORD
	s_waitcnt lgkmcnt(0)
	s_barrier
	s_waitcnt lgkmcnt(0)
                                        ; implicit-def: $sgpr0_sgpr1
                                        ; implicit-def: $vgpr34
                                        ; implicit-def: $vgpr18
                                        ; implicit-def: $vgpr19
                                        ; implicit-def: $vgpr20
	s_and_saveexec_b64 s[6:7], s[2:3]
	s_xor_b64 s[6:7], exec, s[6:7]
	s_cbranch_execz .LBB1084_225
; %bb.215:
	s_mov_b32 s42, 0x3020104
	s_and_b64 vcc, exec, s[4:5]
	s_mov_b64 s[0:1], 0
	s_cbranch_vccnz .LBB1084_224
; %bb.216:
	v_add_u32_e32 v18, -8, v24
	ds_read_b64 v[18:19], v18
	v_mov_b64_e32 v[20:21], s[28:29]
	s_waitcnt lgkmcnt(0)
	v_mul_lo_u32 v22, v18, s27
	v_mul_lo_u32 v23, v19, s26
	v_mad_u64_u32 v[18:19], s[0:1], v18, s26, v[20:21]
	v_add3_u32 v19, v23, v19, v22
	v_mad_u64_u32 v[20:21], s[0:1], v10, s26, v[20:21]
	v_mul_lo_u32 v22, v10, s27
	v_mul_lo_u32 v23, v11, s26
	v_add3_u32 v21, v23, v21, v22
	global_load_ubyte v22, v[18:19], off
	global_load_ubyte v23, v[20:21], off
	s_waitcnt vmcnt(1)
	v_cmp_ne_u16_e32 vcc, 0, v22
	s_waitcnt vmcnt(0)
	v_cmp_ne_u16_e64 s[0:1], 0, v23
	s_xor_b64 s[4:5], vcc, s[0:1]
	s_mov_b64 s[0:1], -1
	s_xor_b64 s[14:15], s[4:5], -1
	s_and_saveexec_b64 s[4:5], s[14:15]
	s_cbranch_execz .LBB1084_223
; %bb.217:
	s_mov_b64 s[40:41], 1
	s_mov_b64 s[14:15], 0
                                        ; implicit-def: $sgpr38_sgpr39
	s_branch .LBB1084_220
.LBB1084_218:                           ;   in Loop: Header=BB1084_220 Depth=1
	v_lshl_add_u64 v[22:23], v[18:19], 0, s[40:41]
	v_lshl_add_u64 v[32:33], v[20:21], 0, s[40:41]
	global_load_ubyte v25, v[22:23], off
	global_load_ubyte v34, v[32:33], off
	s_waitcnt vmcnt(1)
	v_cmp_ne_u16_e32 vcc, 0, v25
	s_waitcnt vmcnt(0)
	v_cmp_ne_u16_e64 s[0:1], 0, v34
	s_xor_b64 s[44:45], vcc, s[0:1]
	s_add_u32 s0, s40, 1
	s_addc_u32 s1, s41, 0
	s_andn2_b64 s[38:39], s[38:39], exec
	s_and_b64 s[44:45], s[44:45], exec
	s_or_b64 s[38:39], s[38:39], s[44:45]
.LBB1084_219:                           ;   in Loop: Header=BB1084_220 Depth=1
	s_and_b64 s[44:45], exec, s[38:39]
	s_or_b64 s[14:15], s[44:45], s[14:15]
	v_mov_b64_e32 v[22:23], s[40:41]
	s_mov_b64 s[40:41], s[0:1]
	s_andn2_b64 exec, exec, s[14:15]
	s_cbranch_execz .LBB1084_222
.LBB1084_220:                           ; =>This Inner Loop Header: Depth=1
	s_or_b64 s[38:39], s[38:39], exec
	s_cmp_eq_u64 s[26:27], s[40:41]
	s_cbranch_scc0 .LBB1084_218
; %bb.221:                              ;   in Loop: Header=BB1084_220 Depth=1
                                        ; implicit-def: $sgpr0_sgpr1
	s_mov_b64 s[40:41], s[26:27]
	s_branch .LBB1084_219
.LBB1084_222:
	s_or_b64 exec, exec, s[14:15]
	v_cmp_gt_i64_e32 vcc, s[26:27], v[22:23]
	s_orn2_b64 s[0:1], vcc, exec
.LBB1084_223:
	s_or_b64 exec, exec, s[4:5]
.LBB1084_224:
	v_perm_b32 v20, v16, v16, s42
	v_lshrrev_b32_e32 v18, 8, v17
	v_lshrrev_b32_e32 v34, 16, v17
	s_and_b64 s[0:1], s[0:1], exec
	s_or_b64 s[10:11], s[10:11], exec
	v_mov_b32_e32 v19, v17
                                        ; implicit-def: $vgpr16_vgpr17
.LBB1084_225:
	s_or_b64 exec, exec, s[6:7]
	s_branch .LBB1084_292
.LBB1084_226:
	v_cmp_gt_u32_e32 vcc, s52, v29
	s_xor_b64 s[4:5], s[12:13], -1
	s_mov_b64 s[38:39], -1
	s_and_b64 s[0:1], vcc, s[4:5]
	s_mov_b64 s[12:13], 0
	v_mul_lo_u32 v25, v4, s27
	v_mul_lo_u32 v32, v5, s26
	s_mov_b64 s[6:7], 0
	s_and_saveexec_b64 s[14:15], s[0:1]
	s_cbranch_execz .LBB1084_235
; %bb.227:
	v_mov_b64_e32 v[18:19], s[28:29]
	s_waitcnt vmcnt(0) lgkmcnt(1)
	v_mad_u64_u32 v[16:17], s[0:1], v4, s26, v[18:19]
	v_add3_u32 v17, v32, v17, v25
	v_mad_u64_u32 v[18:19], s[0:1], v14, s26, v[18:19]
	v_mul_lo_u32 v20, v14, s27
	v_mul_lo_u32 v21, v15, s26
	v_add3_u32 v19, v21, v19, v20
	global_load_ubyte v20, v[16:17], off
	global_load_ubyte v21, v[18:19], off
	s_waitcnt vmcnt(1)
	v_cmp_ne_u16_e32 vcc, 0, v20
	s_waitcnt vmcnt(0)
	v_cmp_ne_u16_e64 s[0:1], 0, v21
	s_xor_b64 s[0:1], vcc, s[0:1]
	s_xor_b64 s[0:1], s[0:1], -1
	s_and_saveexec_b64 s[6:7], s[0:1]
	s_cbranch_execz .LBB1084_234
; %bb.228:
	s_mov_b64 s[42:43], 1
	s_mov_b64 s[38:39], 0
                                        ; implicit-def: $sgpr40_sgpr41
	s_branch .LBB1084_231
.LBB1084_229:                           ;   in Loop: Header=BB1084_231 Depth=1
	v_lshl_add_u64 v[20:21], v[16:17], 0, s[42:43]
	v_lshl_add_u64 v[22:23], v[18:19], 0, s[42:43]
	global_load_ubyte v33, v[20:21], off
	global_load_ubyte v34, v[22:23], off
	s_waitcnt vmcnt(1)
	v_cmp_ne_u16_e32 vcc, 0, v33
	s_waitcnt vmcnt(0)
	v_cmp_ne_u16_e64 s[0:1], 0, v34
	s_xor_b64 s[44:45], vcc, s[0:1]
	s_add_u32 s0, s42, 1
	s_addc_u32 s1, s43, 0
	s_andn2_b64 s[40:41], s[40:41], exec
	s_and_b64 s[44:45], s[44:45], exec
	s_or_b64 s[40:41], s[40:41], s[44:45]
.LBB1084_230:                           ;   in Loop: Header=BB1084_231 Depth=1
	s_and_b64 s[44:45], exec, s[40:41]
	s_or_b64 s[38:39], s[44:45], s[38:39]
	v_mov_b64_e32 v[20:21], s[42:43]
	s_mov_b64 s[42:43], s[0:1]
	s_andn2_b64 exec, exec, s[38:39]
	s_cbranch_execz .LBB1084_233
.LBB1084_231:                           ; =>This Inner Loop Header: Depth=1
	s_or_b64 s[40:41], s[40:41], exec
	s_cmp_eq_u64 s[26:27], s[42:43]
	s_cbranch_scc0 .LBB1084_229
; %bb.232:                              ;   in Loop: Header=BB1084_231 Depth=1
                                        ; implicit-def: $sgpr0_sgpr1
	s_mov_b64 s[42:43], s[26:27]
	s_branch .LBB1084_230
.LBB1084_233:
	s_or_b64 exec, exec, s[38:39]
	v_cmp_gt_i64_e32 vcc, s[26:27], v[20:21]
	s_orn2_b64 s[38:39], vcc, exec
.LBB1084_234:
	s_or_b64 exec, exec, s[6:7]
	s_and_b64 s[6:7], s[38:39], exec
.LBB1084_235:
	s_or_b64 exec, exec, s[14:15]
	v_cmp_gt_u32_e32 vcc, s52, v31
	s_and_b64 s[0:1], vcc, s[4:5]
	s_waitcnt lgkmcnt(1)
	v_mul_lo_u32 v22, v2, s27
	v_mul_lo_u32 v23, v3, s26
	s_and_saveexec_b64 s[14:15], s[0:1]
	s_cbranch_execz .LBB1084_244
; %bb.236:
	v_mov_b64_e32 v[18:19], s[28:29]
	s_waitcnt vmcnt(0)
	v_mad_u64_u32 v[16:17], s[0:1], v2, s26, v[18:19]
	v_add3_u32 v17, v23, v17, v22
	v_mad_u64_u32 v[18:19], s[0:1], v4, s26, v[18:19]
	v_add3_u32 v19, v32, v19, v25
	global_load_ubyte v20, v[16:17], off
	global_load_ubyte v21, v[18:19], off
	s_waitcnt vmcnt(1)
	v_cmp_ne_u16_e32 vcc, 0, v20
	s_waitcnt vmcnt(0)
	v_cmp_ne_u16_e64 s[0:1], 0, v21
	s_xor_b64 s[12:13], vcc, s[0:1]
	s_mov_b64 s[0:1], -1
	s_xor_b64 s[38:39], s[12:13], -1
	s_and_saveexec_b64 s[12:13], s[38:39]
	s_cbranch_execz .LBB1084_243
; %bb.237:
	s_mov_b64 s[42:43], 1
	s_mov_b64 s[38:39], 0
                                        ; implicit-def: $sgpr40_sgpr41
	s_branch .LBB1084_240
.LBB1084_238:                           ;   in Loop: Header=BB1084_240 Depth=1
	v_lshl_add_u64 v[20:21], v[16:17], 0, s[42:43]
	v_lshl_add_u64 v[32:33], v[18:19], 0, s[42:43]
	global_load_ubyte v25, v[20:21], off
	global_load_ubyte v34, v[32:33], off
	s_waitcnt vmcnt(1)
	v_cmp_ne_u16_e32 vcc, 0, v25
	s_waitcnt vmcnt(0)
	v_cmp_ne_u16_e64 s[0:1], 0, v34
	s_xor_b64 s[44:45], vcc, s[0:1]
	s_add_u32 s0, s42, 1
	s_addc_u32 s1, s43, 0
	s_andn2_b64 s[40:41], s[40:41], exec
	s_and_b64 s[44:45], s[44:45], exec
	s_or_b64 s[40:41], s[40:41], s[44:45]
.LBB1084_239:                           ;   in Loop: Header=BB1084_240 Depth=1
	s_and_b64 s[44:45], exec, s[40:41]
	s_or_b64 s[38:39], s[44:45], s[38:39]
	v_mov_b64_e32 v[20:21], s[42:43]
	s_mov_b64 s[42:43], s[0:1]
	s_andn2_b64 exec, exec, s[38:39]
	s_cbranch_execz .LBB1084_242
.LBB1084_240:                           ; =>This Inner Loop Header: Depth=1
	s_or_b64 s[40:41], s[40:41], exec
	s_cmp_eq_u64 s[26:27], s[42:43]
	s_cbranch_scc0 .LBB1084_238
; %bb.241:                              ;   in Loop: Header=BB1084_240 Depth=1
                                        ; implicit-def: $sgpr0_sgpr1
	s_mov_b64 s[42:43], s[26:27]
	s_branch .LBB1084_239
.LBB1084_242:
	s_or_b64 exec, exec, s[38:39]
	v_cmp_gt_i64_e32 vcc, s[26:27], v[20:21]
	s_orn2_b64 s[0:1], vcc, exec
.LBB1084_243:
	s_or_b64 exec, exec, s[12:13]
	s_and_b64 s[12:13], s[0:1], exec
.LBB1084_244:
	s_or_b64 exec, exec, s[14:15]
	v_cmp_gt_u32_e32 vcc, s52, v28
	s_mov_b64 s[42:43], -1
	s_and_b64 s[0:1], vcc, s[4:5]
	s_mov_b64 s[14:15], 0
	v_mul_lo_u32 v25, v8, s27
	v_mul_lo_u32 v32, v9, s26
	s_mov_b64 s[38:39], 0
	s_and_saveexec_b64 s[40:41], s[0:1]
	s_cbranch_execz .LBB1084_253
; %bb.245:
	v_mov_b64_e32 v[18:19], s[28:29]
	s_waitcnt vmcnt(0)
	v_mad_u64_u32 v[16:17], s[0:1], v8, s26, v[18:19]
	v_add3_u32 v17, v32, v17, v25
	v_mad_u64_u32 v[18:19], s[0:1], v2, s26, v[18:19]
	v_add3_u32 v19, v23, v19, v22
	global_load_ubyte v20, v[16:17], off
	global_load_ubyte v21, v[18:19], off
	s_waitcnt vmcnt(1)
	v_cmp_ne_u16_e32 vcc, 0, v20
	s_waitcnt vmcnt(0)
	v_cmp_ne_u16_e64 s[0:1], 0, v21
	s_xor_b64 s[0:1], vcc, s[0:1]
	s_xor_b64 s[0:1], s[0:1], -1
	s_and_saveexec_b64 s[38:39], s[0:1]
	s_cbranch_execz .LBB1084_252
; %bb.246:
	s_mov_b64 s[46:47], 1
	s_mov_b64 s[42:43], 0
                                        ; implicit-def: $sgpr44_sgpr45
	s_branch .LBB1084_249
.LBB1084_247:                           ;   in Loop: Header=BB1084_249 Depth=1
	v_lshl_add_u64 v[20:21], v[16:17], 0, s[46:47]
	v_lshl_add_u64 v[22:23], v[18:19], 0, s[46:47]
	global_load_ubyte v33, v[20:21], off
	global_load_ubyte v34, v[22:23], off
	s_waitcnt vmcnt(1)
	v_cmp_ne_u16_e32 vcc, 0, v33
	s_waitcnt vmcnt(0)
	v_cmp_ne_u16_e64 s[0:1], 0, v34
	s_xor_b64 s[48:49], vcc, s[0:1]
	s_add_u32 s0, s46, 1
	s_addc_u32 s1, s47, 0
	s_andn2_b64 s[44:45], s[44:45], exec
	s_and_b64 s[48:49], s[48:49], exec
	s_or_b64 s[44:45], s[44:45], s[48:49]
.LBB1084_248:                           ;   in Loop: Header=BB1084_249 Depth=1
	s_and_b64 s[48:49], exec, s[44:45]
	s_or_b64 s[42:43], s[48:49], s[42:43]
	v_mov_b64_e32 v[20:21], s[46:47]
	s_mov_b64 s[46:47], s[0:1]
	s_andn2_b64 exec, exec, s[42:43]
	s_cbranch_execz .LBB1084_251
.LBB1084_249:                           ; =>This Inner Loop Header: Depth=1
	s_or_b64 s[44:45], s[44:45], exec
	s_cmp_eq_u64 s[26:27], s[46:47]
	s_cbranch_scc0 .LBB1084_247
; %bb.250:                              ;   in Loop: Header=BB1084_249 Depth=1
                                        ; implicit-def: $sgpr0_sgpr1
	s_mov_b64 s[46:47], s[26:27]
	s_branch .LBB1084_248
.LBB1084_251:
	s_or_b64 exec, exec, s[42:43]
	v_cmp_gt_i64_e32 vcc, s[26:27], v[20:21]
	s_orn2_b64 s[42:43], vcc, exec
.LBB1084_252:
	s_or_b64 exec, exec, s[38:39]
	s_and_b64 s[38:39], s[42:43], exec
.LBB1084_253:
	s_or_b64 exec, exec, s[40:41]
	v_cmp_gt_u32_e32 vcc, s52, v30
	s_and_b64 s[0:1], vcc, s[4:5]
	v_mul_lo_u32 v22, v6, s27
	v_mul_lo_u32 v23, v7, s26
	s_and_saveexec_b64 s[40:41], s[0:1]
	s_cbranch_execz .LBB1084_262
; %bb.254:
	v_mov_b64_e32 v[18:19], s[28:29]
	s_waitcnt vmcnt(0)
	v_mad_u64_u32 v[16:17], s[0:1], v6, s26, v[18:19]
	v_add3_u32 v17, v23, v17, v22
	v_mad_u64_u32 v[18:19], s[0:1], v8, s26, v[18:19]
	v_add3_u32 v19, v32, v19, v25
	global_load_ubyte v20, v[16:17], off
	global_load_ubyte v21, v[18:19], off
	s_waitcnt vmcnt(1)
	v_cmp_ne_u16_e32 vcc, 0, v20
	s_waitcnt vmcnt(0)
	v_cmp_ne_u16_e64 s[0:1], 0, v21
	s_xor_b64 s[14:15], vcc, s[0:1]
	s_mov_b64 s[0:1], -1
	s_xor_b64 s[42:43], s[14:15], -1
	s_and_saveexec_b64 s[14:15], s[42:43]
	s_cbranch_execz .LBB1084_261
; %bb.255:
	s_mov_b64 s[46:47], 1
	s_mov_b64 s[42:43], 0
                                        ; implicit-def: $sgpr44_sgpr45
	s_branch .LBB1084_258
.LBB1084_256:                           ;   in Loop: Header=BB1084_258 Depth=1
	v_lshl_add_u64 v[20:21], v[16:17], 0, s[46:47]
	v_lshl_add_u64 v[32:33], v[18:19], 0, s[46:47]
	global_load_ubyte v25, v[20:21], off
	global_load_ubyte v34, v[32:33], off
	s_waitcnt vmcnt(1)
	v_cmp_ne_u16_e32 vcc, 0, v25
	s_waitcnt vmcnt(0)
	v_cmp_ne_u16_e64 s[0:1], 0, v34
	s_xor_b64 s[48:49], vcc, s[0:1]
	s_add_u32 s0, s46, 1
	s_addc_u32 s1, s47, 0
	s_andn2_b64 s[44:45], s[44:45], exec
	s_and_b64 s[48:49], s[48:49], exec
	s_or_b64 s[44:45], s[44:45], s[48:49]
.LBB1084_257:                           ;   in Loop: Header=BB1084_258 Depth=1
	s_and_b64 s[48:49], exec, s[44:45]
	s_or_b64 s[42:43], s[48:49], s[42:43]
	v_mov_b64_e32 v[20:21], s[46:47]
	s_mov_b64 s[46:47], s[0:1]
	s_andn2_b64 exec, exec, s[42:43]
	s_cbranch_execz .LBB1084_260
.LBB1084_258:                           ; =>This Inner Loop Header: Depth=1
	s_or_b64 s[44:45], s[44:45], exec
	s_cmp_eq_u64 s[26:27], s[46:47]
	s_cbranch_scc0 .LBB1084_256
; %bb.259:                              ;   in Loop: Header=BB1084_258 Depth=1
                                        ; implicit-def: $sgpr0_sgpr1
	s_mov_b64 s[46:47], s[26:27]
	s_branch .LBB1084_257
.LBB1084_260:
	s_or_b64 exec, exec, s[42:43]
	v_cmp_gt_i64_e32 vcc, s[26:27], v[20:21]
	s_orn2_b64 s[0:1], vcc, exec
.LBB1084_261:
	s_or_b64 exec, exec, s[14:15]
	s_and_b64 s[14:15], s[0:1], exec
.LBB1084_262:
	s_or_b64 exec, exec, s[40:41]
	v_cmp_gt_u32_e32 vcc, s52, v26
	s_mov_b64 s[46:47], -1
	s_and_b64 s[0:1], vcc, s[4:5]
	s_mov_b64 s[40:41], 0
	v_mul_lo_u32 v25, v12, s27
	v_mul_lo_u32 v32, v13, s26
	s_mov_b64 s[42:43], 0
	s_and_saveexec_b64 s[44:45], s[0:1]
	s_cbranch_execz .LBB1084_271
; %bb.263:
	v_mov_b64_e32 v[18:19], s[28:29]
	s_waitcnt vmcnt(0)
	v_mad_u64_u32 v[16:17], s[0:1], v12, s26, v[18:19]
	v_add3_u32 v17, v32, v17, v25
	v_mad_u64_u32 v[18:19], s[0:1], v6, s26, v[18:19]
	v_add3_u32 v19, v23, v19, v22
	global_load_ubyte v20, v[16:17], off
	global_load_ubyte v21, v[18:19], off
	s_waitcnt vmcnt(1)
	v_cmp_ne_u16_e32 vcc, 0, v20
	s_waitcnt vmcnt(0)
	v_cmp_ne_u16_e64 s[0:1], 0, v21
	s_xor_b64 s[0:1], vcc, s[0:1]
	s_xor_b64 s[0:1], s[0:1], -1
	s_and_saveexec_b64 s[42:43], s[0:1]
	s_cbranch_execz .LBB1084_270
; %bb.264:
	s_mov_b64 s[50:51], 1
	s_mov_b64 s[46:47], 0
                                        ; implicit-def: $sgpr48_sgpr49
	s_branch .LBB1084_267
.LBB1084_265:                           ;   in Loop: Header=BB1084_267 Depth=1
	v_lshl_add_u64 v[20:21], v[16:17], 0, s[50:51]
	v_lshl_add_u64 v[22:23], v[18:19], 0, s[50:51]
	global_load_ubyte v20, v[20:21], off
	s_nop 0
	global_load_ubyte v21, v[22:23], off
	s_waitcnt vmcnt(1)
	v_cmp_ne_u16_e32 vcc, 0, v20
	s_waitcnt vmcnt(0)
	v_cmp_ne_u16_e64 s[0:1], 0, v21
	s_xor_b64 s[54:55], vcc, s[0:1]
	s_add_u32 s0, s50, 1
	s_addc_u32 s1, s51, 0
	s_andn2_b64 s[48:49], s[48:49], exec
	s_and_b64 s[54:55], s[54:55], exec
	s_or_b64 s[48:49], s[48:49], s[54:55]
.LBB1084_266:                           ;   in Loop: Header=BB1084_267 Depth=1
	s_and_b64 s[54:55], exec, s[48:49]
	s_or_b64 s[46:47], s[54:55], s[46:47]
	v_mov_b64_e32 v[20:21], s[50:51]
	s_mov_b64 s[50:51], s[0:1]
	s_andn2_b64 exec, exec, s[46:47]
	s_cbranch_execz .LBB1084_269
.LBB1084_267:                           ; =>This Inner Loop Header: Depth=1
	s_or_b64 s[48:49], s[48:49], exec
	s_cmp_eq_u64 s[26:27], s[50:51]
	s_cbranch_scc0 .LBB1084_265
; %bb.268:                              ;   in Loop: Header=BB1084_267 Depth=1
                                        ; implicit-def: $sgpr0_sgpr1
	s_mov_b64 s[50:51], s[26:27]
	s_branch .LBB1084_266
.LBB1084_269:
	s_or_b64 exec, exec, s[46:47]
	v_cmp_gt_i64_e32 vcc, s[26:27], v[20:21]
	s_orn2_b64 s[46:47], vcc, exec
.LBB1084_270:
	s_or_b64 exec, exec, s[42:43]
	s_and_b64 s[42:43], s[46:47], exec
.LBB1084_271:
	s_or_b64 exec, exec, s[44:45]
	v_cmp_gt_u32_e32 vcc, s52, v27
	s_and_b64 s[0:1], vcc, s[4:5]
	s_and_saveexec_b64 s[44:45], s[0:1]
	s_cbranch_execz .LBB1084_280
; %bb.272:
	v_mov_b64_e32 v[18:19], s[28:29]
	s_waitcnt vmcnt(0)
	v_mad_u64_u32 v[16:17], s[0:1], v10, s26, v[18:19]
	v_mul_lo_u32 v20, v10, s27
	v_mul_lo_u32 v21, v11, s26
	v_add3_u32 v17, v21, v17, v20
	v_mad_u64_u32 v[18:19], s[0:1], v12, s26, v[18:19]
	v_add3_u32 v19, v32, v19, v25
	global_load_ubyte v20, v[16:17], off
	global_load_ubyte v21, v[18:19], off
	s_waitcnt vmcnt(1)
	v_cmp_ne_u16_e32 vcc, 0, v20
	s_waitcnt vmcnt(0)
	v_cmp_ne_u16_e64 s[0:1], 0, v21
	s_xor_b64 s[40:41], vcc, s[0:1]
	s_mov_b64 s[0:1], -1
	s_xor_b64 s[46:47], s[40:41], -1
	s_and_saveexec_b64 s[40:41], s[46:47]
	s_cbranch_execz .LBB1084_279
; %bb.273:
	s_mov_b64 s[50:51], 1
	s_mov_b64 s[46:47], 0
                                        ; implicit-def: $sgpr48_sgpr49
	s_branch .LBB1084_276
.LBB1084_274:                           ;   in Loop: Header=BB1084_276 Depth=1
	v_lshl_add_u64 v[20:21], v[16:17], 0, s[50:51]
	v_lshl_add_u64 v[22:23], v[18:19], 0, s[50:51]
	global_load_ubyte v20, v[20:21], off
	s_nop 0
	global_load_ubyte v21, v[22:23], off
	s_waitcnt vmcnt(1)
	v_cmp_ne_u16_e32 vcc, 0, v20
	s_waitcnt vmcnt(0)
	v_cmp_ne_u16_e64 s[0:1], 0, v21
	s_xor_b64 s[54:55], vcc, s[0:1]
	s_add_u32 s0, s50, 1
	s_addc_u32 s1, s51, 0
	s_andn2_b64 s[48:49], s[48:49], exec
	s_and_b64 s[54:55], s[54:55], exec
	s_or_b64 s[48:49], s[48:49], s[54:55]
.LBB1084_275:                           ;   in Loop: Header=BB1084_276 Depth=1
	s_and_b64 s[54:55], exec, s[48:49]
	s_or_b64 s[46:47], s[54:55], s[46:47]
	v_mov_b64_e32 v[20:21], s[50:51]
	s_mov_b64 s[50:51], s[0:1]
	s_andn2_b64 exec, exec, s[46:47]
	s_cbranch_execz .LBB1084_278
.LBB1084_276:                           ; =>This Inner Loop Header: Depth=1
	s_or_b64 s[48:49], s[48:49], exec
	s_cmp_eq_u64 s[26:27], s[50:51]
	s_cbranch_scc0 .LBB1084_274
; %bb.277:                              ;   in Loop: Header=BB1084_276 Depth=1
                                        ; implicit-def: $sgpr0_sgpr1
	s_mov_b64 s[50:51], s[26:27]
	s_branch .LBB1084_275
.LBB1084_278:
	s_or_b64 exec, exec, s[46:47]
	v_cmp_gt_i64_e32 vcc, s[26:27], v[20:21]
	s_orn2_b64 s[0:1], vcc, exec
.LBB1084_279:
	s_or_b64 exec, exec, s[40:41]
	s_and_b64 s[40:41], s[0:1], exec
.LBB1084_280:
	s_or_b64 exec, exec, s[44:45]
	s_waitcnt vmcnt(0)
	v_cndmask_b32_e64 v17, 0, 1, s[14:15]
	v_cndmask_b32_e64 v16, 0, 1, s[42:43]
	;; [unrolled: 1-line block ×3, first 2 shown]
	v_lshlrev_b16_e32 v17, 8, v17
	v_cndmask_b32_e64 v19, 0, 1, s[38:39]
	v_cndmask_b32_e64 v20, 0, 1, s[40:41]
	v_or_b32_sdwa v16, v16, v17 dst_sel:WORD_1 dst_unused:UNUSED_PAD src0_sel:DWORD src1_sel:DWORD
	v_lshlrev_b16_e32 v17, 8, v18
	v_lshlrev_b16_e32 v20, 8, v20
	v_or_b32_e32 v17, v19, v17
	v_or_b32_e32 v20, 1, v20
	v_and_b32_e32 v17, 0xffff, v17
	v_cndmask_b32_e64 v34, 0, 1, s[6:7]
	v_or_b32_sdwa v16, v20, v16 dst_sel:DWORD dst_unused:UNUSED_PAD src0_sel:WORD_0 src1_sel:DWORD
	v_lshl_or_b32 v17, v34, 16, v17
	s_waitcnt lgkmcnt(0)
	s_barrier
	s_waitcnt lgkmcnt(0)
                                        ; implicit-def: $sgpr0_sgpr1
                                        ; implicit-def: $vgpr20
	s_and_saveexec_b64 s[6:7], s[2:3]
	s_cbranch_execz .LBB1084_291
; %bb.281:
	v_cmp_gt_u32_e32 vcc, s52, v1
	s_mov_b64 s[12:13], -1
	s_and_b64 s[4:5], vcc, s[4:5]
	s_mov_b32 s38, 0x3020104
	s_mov_b64 s[0:1], 0
	s_and_saveexec_b64 s[2:3], s[4:5]
	s_cbranch_execz .LBB1084_290
; %bb.282:
	v_add_u32_e32 v17, -8, v24
	ds_read_b64 v[20:21], v17
	v_mov_b64_e32 v[22:23], s[28:29]
	s_waitcnt lgkmcnt(0)
	v_mul_lo_u32 v17, v20, s27
	v_mul_lo_u32 v24, v21, s26
	v_mad_u64_u32 v[20:21], s[0:1], v20, s26, v[22:23]
	v_add3_u32 v21, v24, v21, v17
	v_mad_u64_u32 v[22:23], s[0:1], v10, s26, v[22:23]
	v_mul_lo_u32 v17, v10, s27
	v_mul_lo_u32 v24, v11, s26
	v_add3_u32 v23, v24, v23, v17
	global_load_ubyte v17, v[20:21], off
	global_load_ubyte v24, v[22:23], off
	s_waitcnt vmcnt(1)
	v_cmp_ne_u16_e32 vcc, 0, v17
	s_waitcnt vmcnt(0)
	v_cmp_ne_u16_e64 s[0:1], 0, v24
	s_xor_b64 s[0:1], vcc, s[0:1]
	s_xor_b64 s[0:1], s[0:1], -1
	s_and_saveexec_b64 s[4:5], s[0:1]
	s_cbranch_execz .LBB1084_289
; %bb.283:
	s_mov_b64 s[28:29], 1
	s_mov_b64 s[12:13], 0
                                        ; implicit-def: $sgpr14_sgpr15
	s_branch .LBB1084_286
.LBB1084_284:                           ;   in Loop: Header=BB1084_286 Depth=1
	v_lshl_add_u64 v[24:25], v[20:21], 0, s[28:29]
	v_lshl_add_u64 v[32:33], v[22:23], 0, s[28:29]
	global_load_ubyte v17, v[24:25], off
	global_load_ubyte v35, v[32:33], off
	s_waitcnt vmcnt(1)
	v_cmp_ne_u16_e32 vcc, 0, v17
	s_waitcnt vmcnt(0)
	v_cmp_ne_u16_e64 s[0:1], 0, v35
	s_xor_b64 s[40:41], vcc, s[0:1]
	s_add_u32 s0, s28, 1
	s_addc_u32 s1, s29, 0
	s_andn2_b64 s[14:15], s[14:15], exec
	s_and_b64 s[40:41], s[40:41], exec
	s_or_b64 s[14:15], s[14:15], s[40:41]
.LBB1084_285:                           ;   in Loop: Header=BB1084_286 Depth=1
	s_and_b64 s[40:41], exec, s[14:15]
	s_or_b64 s[12:13], s[40:41], s[12:13]
	v_mov_b64_e32 v[24:25], s[28:29]
	s_mov_b64 s[28:29], s[0:1]
	s_andn2_b64 exec, exec, s[12:13]
	s_cbranch_execz .LBB1084_288
.LBB1084_286:                           ; =>This Inner Loop Header: Depth=1
	s_or_b64 s[14:15], s[14:15], exec
	s_cmp_eq_u64 s[26:27], s[28:29]
	s_cbranch_scc0 .LBB1084_284
; %bb.287:                              ;   in Loop: Header=BB1084_286 Depth=1
                                        ; implicit-def: $sgpr0_sgpr1
	s_mov_b64 s[28:29], s[26:27]
	s_branch .LBB1084_285
.LBB1084_288:
	s_or_b64 exec, exec, s[12:13]
	v_cmp_gt_i64_e32 vcc, s[26:27], v[24:25]
	s_orn2_b64 s[12:13], vcc, exec
.LBB1084_289:
	s_or_b64 exec, exec, s[4:5]
	s_and_b64 s[0:1], s[12:13], exec
.LBB1084_290:
	s_or_b64 exec, exec, s[2:3]
	v_perm_b32 v20, v16, v16, s38
	s_and_b64 s[0:1], s[0:1], exec
	s_or_b64 s[10:11], s[10:11], exec
                                        ; implicit-def: $vgpr16_vgpr17
.LBB1084_291:
	s_or_b64 exec, exec, s[6:7]
.LBB1084_292:
	s_and_saveexec_b64 s[2:3], s[10:11]
	s_cbranch_execz .LBB1084_294
; %bb.293:
	s_waitcnt vmcnt(0) lgkmcnt(0)
	v_lshlrev_b16_e32 v17, 8, v18
	v_and_b32_e32 v18, 0xff, v34
	v_or_b32_sdwa v17, v19, v17 dst_sel:DWORD dst_unused:UNUSED_PAD src0_sel:BYTE_0 src1_sel:DWORD
	v_lshlrev_b32_e32 v18, 16, v18
	v_cndmask_b32_e64 v16, 0, 1, s[0:1]
	s_movk_i32 s0, 0xff
	v_or_b32_sdwa v17, v17, v18 dst_sel:DWORD dst_unused:UNUSED_PAD src0_sel:WORD_0 src1_sel:DWORD
	v_lshrrev_b32_e32 v18, 24, v20
	v_lshlrev_b16_e32 v18, 8, v18
	v_and_b32_sdwa v19, v20, s0 dst_sel:DWORD dst_unused:UNUSED_PAD src0_sel:WORD_1 src1_sel:DWORD
	v_or_b32_sdwa v18, v19, v18 dst_sel:WORD_1 dst_unused:UNUSED_PAD src0_sel:DWORD src1_sel:DWORD
	v_mov_b32_e32 v19, 8
	v_lshrrev_b32_sdwa v19, v19, v20 dst_sel:BYTE_1 dst_unused:UNUSED_PAD src0_sel:DWORD src1_sel:DWORD
	s_nop 0
	v_or_b32_e32 v16, v16, v19
	v_or_b32_sdwa v16, v16, v18 dst_sel:DWORD dst_unused:UNUSED_PAD src0_sel:WORD_0 src1_sel:DWORD
.LBB1084_294:
	s_or_b64 exec, exec, s[2:3]
	s_andn2_b64 vcc, exec, s[8:9]
	s_cbranch_vccnz .LBB1084_296
; %bb.295:
	s_waitcnt vmcnt(0) lgkmcnt(0)
	v_and_b32_e32 v18, 0xffff0000, v16
	v_cmp_gt_u32_e32 vcc, s52, v1
	s_mov_b32 s0, 0x40c0100
	s_nop 0
	v_cndmask_b32_e32 v1, v18, v16, vcc
	v_and_b32_e32 v1, 0xffff00ff, v1
	v_cmp_gt_u32_e32 vcc, s52, v27
	s_nop 1
	v_cndmask_b32_e32 v1, v1, v16, vcc
	v_lshrrev_b32_e32 v18, 24, v1
	v_perm_b32 v1, v18, v1, s0
	v_cmp_gt_u32_e32 vcc, s52, v26
	v_and_b32_e32 v18, 0xffffff00, v17
	s_nop 0
	v_cndmask_b32_e32 v1, v1, v16, vcc
	v_and_b32_e32 v1, 0xffffff, v1
	v_cmp_gt_u32_e32 vcc, s52, v30
	s_nop 1
	v_cndmask_b32_e32 v1, v1, v16, vcc
	v_cmp_gt_u32_e32 vcc, s52, v28
	s_nop 1
	v_cndmask_b32_e32 v18, v18, v17, vcc
	v_and_b32_e32 v18, 0xffff00ff, v18
	v_cndmask_b32_e32 v1, v1, v16, vcc
	v_cmp_gt_u32_e32 vcc, s52, v31
	s_nop 1
	v_cndmask_b32_e32 v18, v18, v17, vcc
	v_lshrrev_b32_e32 v19, 24, v18
	v_cndmask_b32_e32 v1, v1, v16, vcc
	v_perm_b32 v18, v19, v18, s0
	v_cmp_gt_u32_e32 vcc, s52, v29
	s_mov_b32 s0, 0x3020104
	s_nop 0
	v_cndmask_b32_e32 v1, v1, v16, vcc
	v_cndmask_b32_e32 v16, v18, v17, vcc
	v_mov_b32_e32 v17, 8
	v_lshrrev_b32_sdwa v17, v17, v16 dst_sel:BYTE_1 dst_unused:UNUSED_PAD src0_sel:DWORD src1_sel:DWORD
	s_nop 0
	v_or_b32_sdwa v17, v16, v17 dst_sel:DWORD dst_unused:UNUSED_PAD src0_sel:BYTE_0 src1_sel:DWORD
	v_and_b32_e32 v17, 0xffff, v17
	v_bfe_u32 v16, v16, 16, 8
	v_lshl_or_b32 v17, v16, 16, v17
	v_perm_b32 v16, v1, v1, s0
.LBB1084_296:
	s_waitcnt vmcnt(0) lgkmcnt(0)
	v_and_b32_e32 v1, 0xff, v16
	v_bfe_u32 v29, v16, 8, 8
	v_bfe_u32 v31, v16, 16, 8
	v_alignbit_b32 v18, v17, v16, 24
	v_and_b32_e32 v33, 0xff, v18
	v_and_b32_e32 v35, 0xff, v17
	v_add3_u32 v19, v29, v1, v31
	v_bfe_u32 v36, v17, 8, 8
	v_bfe_u32 v18, v17, 16, 8
	v_add3_u32 v19, v19, v33, v35
	v_add3_u32 v39, v19, v36, v18
	v_mbcnt_lo_u32_b32 v18, -1, 0
	v_mbcnt_hi_u32_b32 v37, -1, v18
	v_and_b32_e32 v18, 15, v37
	v_cmp_eq_u32_e64 s[14:15], 0, v18
	v_cmp_lt_u32_e64 s[12:13], 1, v18
	v_cmp_lt_u32_e64 s[10:11], 3, v18
	;; [unrolled: 1-line block ×3, first 2 shown]
	v_and_b32_e32 v18, 16, v37
	v_cmp_eq_u32_e64 s[6:7], 0, v18
	v_or_b32_e32 v18, 63, v0
	v_cmp_lt_u32_e64 s[2:3], 31, v37
	v_lshrrev_b32_e32 v38, 6, v0
	v_cmp_eq_u32_e64 s[4:5], v18, v0
	s_and_b64 vcc, exec, s[16:17]
	s_barrier
	s_cbranch_vccz .LBB1084_323
; %bb.297:
	v_mov_b32_dpp v18, v39 row_shr:1 row_mask:0xf bank_mask:0xf
	v_cndmask_b32_e64 v18, v18, 0, s[14:15]
	v_add_u32_e32 v18, v18, v39
	s_nop 1
	v_mov_b32_dpp v19, v18 row_shr:2 row_mask:0xf bank_mask:0xf
	v_cndmask_b32_e64 v19, 0, v19, s[12:13]
	v_add_u32_e32 v18, v18, v19
	s_nop 1
	;; [unrolled: 4-line block ×4, first 2 shown]
	v_mov_b32_dpp v19, v18 row_bcast:15 row_mask:0xf bank_mask:0xf
	v_cndmask_b32_e64 v19, v19, 0, s[6:7]
	v_add_u32_e32 v18, v18, v19
	s_nop 1
	v_mov_b32_dpp v19, v18 row_bcast:31 row_mask:0xf bank_mask:0xf
	v_cndmask_b32_e64 v19, 0, v19, s[2:3]
	v_add_u32_e32 v18, v18, v19
	s_and_saveexec_b64 s[0:1], s[4:5]
	s_cbranch_execz .LBB1084_299
; %bb.298:
	v_lshlrev_b32_e32 v19, 2, v38
	ds_write_b32 v19, v18
.LBB1084_299:
	s_or_b64 exec, exec, s[0:1]
	v_cmp_gt_u32_e32 vcc, 8, v0
	s_waitcnt lgkmcnt(0)
	s_barrier
	s_and_saveexec_b64 s[0:1], vcc
	s_cbranch_execz .LBB1084_301
; %bb.300:
	v_lshlrev_b32_e32 v19, 2, v0
	ds_read_b32 v20, v19
	v_and_b32_e32 v21, 7, v37
	v_cmp_ne_u32_e32 vcc, 0, v21
	s_waitcnt lgkmcnt(0)
	v_mov_b32_dpp v22, v20 row_shr:1 row_mask:0xf bank_mask:0xf
	v_cndmask_b32_e32 v22, 0, v22, vcc
	v_add_u32_e32 v20, v22, v20
	v_cmp_lt_u32_e32 vcc, 1, v21
	s_nop 0
	v_mov_b32_dpp v22, v20 row_shr:2 row_mask:0xf bank_mask:0xf
	v_cndmask_b32_e32 v22, 0, v22, vcc
	v_add_u32_e32 v20, v20, v22
	v_cmp_lt_u32_e32 vcc, 3, v21
	s_nop 0
	v_mov_b32_dpp v22, v20 row_shr:4 row_mask:0xf bank_mask:0xf
	v_cndmask_b32_e32 v21, 0, v22, vcc
	v_add_u32_e32 v20, v20, v21
	ds_write_b32 v19, v20
.LBB1084_301:
	s_or_b64 exec, exec, s[0:1]
	v_cmp_gt_u32_e32 vcc, 64, v0
	v_cmp_lt_u32_e64 s[0:1], 63, v0
	s_waitcnt lgkmcnt(0)
	s_barrier
	s_waitcnt lgkmcnt(0)
                                        ; implicit-def: $vgpr28
	s_and_saveexec_b64 s[16:17], s[0:1]
	s_cbranch_execz .LBB1084_303
; %bb.302:
	v_lshl_add_u32 v19, v38, 2, -4
	ds_read_b32 v28, v19
	s_waitcnt lgkmcnt(0)
	v_add_u32_e32 v18, v28, v18
.LBB1084_303:
	s_or_b64 exec, exec, s[16:17]
	v_add_u32_e32 v19, -1, v37
	v_and_b32_e32 v20, 64, v37
	v_cmp_lt_i32_e64 s[0:1], v19, v20
	v_cmp_eq_u32_e64 s[16:17], 0, v37
	s_nop 0
	v_cndmask_b32_e64 v19, v19, v37, s[0:1]
	v_lshlrev_b32_e32 v19, 2, v19
	ds_bpermute_b32 v30, v19, v18
	s_and_saveexec_b64 s[0:1], vcc
	s_cbranch_execz .LBB1084_322
; %bb.304:
	v_mov_b32_e32 v25, 0
	ds_read_b32 v18, v25 offset:28
	s_and_saveexec_b64 s[26:27], s[16:17]
	s_cbranch_execz .LBB1084_306
; %bb.305:
	s_add_i32 s28, s33, 64
	s_mov_b32 s29, 0
	s_lshl_b64 s[28:29], s[28:29], 3
	s_add_u32 s28, s30, s28
	v_mov_b32_e32 v19, 1
	s_addc_u32 s29, s31, s29
	s_waitcnt lgkmcnt(0)
	global_store_dwordx2 v25, v[18:19], s[28:29] sc1
.LBB1084_306:
	s_or_b64 exec, exec, s[26:27]
	v_xad_u32 v20, v37, -1, s33
	v_add_u32_e32 v24, 64, v20
	v_lshl_add_u64 v[26:27], v[24:25], 3, s[30:31]
	global_load_dwordx2 v[22:23], v[26:27], off sc1
	s_waitcnt vmcnt(0)
	v_cmp_eq_u16_sdwa s[28:29], v23, v25 src0_sel:BYTE_0 src1_sel:DWORD
	s_and_saveexec_b64 s[26:27], s[28:29]
	s_cbranch_execz .LBB1084_310
; %bb.307:
	s_mov_b64 s[28:29], 0
	v_mov_b32_e32 v19, 0
.LBB1084_308:                           ; =>This Inner Loop Header: Depth=1
	global_load_dwordx2 v[22:23], v[26:27], off sc1
	s_waitcnt vmcnt(0)
	v_cmp_ne_u16_sdwa s[38:39], v23, v19 src0_sel:BYTE_0 src1_sel:DWORD
	s_or_b64 s[28:29], s[38:39], s[28:29]
	s_andn2_b64 exec, exec, s[28:29]
	s_cbranch_execnz .LBB1084_308
; %bb.309:
	s_or_b64 exec, exec, s[28:29]
.LBB1084_310:
	s_or_b64 exec, exec, s[26:27]
	v_and_b32_e32 v32, 63, v37
	v_mov_b32_e32 v19, 2
	v_cmp_ne_u32_e32 vcc, 63, v32
	v_cmp_eq_u16_sdwa s[26:27], v23, v19 src0_sel:BYTE_0 src1_sel:DWORD
	v_lshlrev_b64 v[24:25], v37, -1
	v_addc_co_u32_e32 v27, vcc, 0, v37, vcc
	v_and_b32_e32 v21, s27, v25
	v_lshlrev_b32_e32 v34, 2, v27
	v_or_b32_e32 v21, 0x80000000, v21
	ds_bpermute_b32 v27, v34, v22
	v_and_b32_e32 v26, s26, v24
	v_ffbl_b32_e32 v21, v21
	v_add_u32_e32 v21, 32, v21
	v_ffbl_b32_e32 v26, v26
	v_min_u32_e32 v21, v26, v21
	v_cmp_lt_u32_e32 vcc, v32, v21
	v_add_u32_e32 v41, 2, v32
	v_add_u32_e32 v43, 4, v32
	s_waitcnt lgkmcnt(0)
	v_cndmask_b32_e32 v26, 0, v27, vcc
	v_cmp_gt_u32_e32 vcc, 62, v32
	v_add_u32_e32 v22, v26, v22
	v_add_u32_e32 v45, 8, v32
	v_cndmask_b32_e64 v26, 0, 1, vcc
	v_lshlrev_b32_e32 v26, 1, v26
	v_add_lshl_u32 v40, v26, v37, 2
	ds_bpermute_b32 v26, v40, v22
	v_cmp_le_u32_e32 vcc, v41, v21
	v_add_u32_e32 v48, 16, v32
	v_add_u32_e32 v50, 32, v32
	s_waitcnt lgkmcnt(0)
	v_cndmask_b32_e32 v26, 0, v26, vcc
	v_cmp_gt_u32_e32 vcc, 60, v32
	v_add_u32_e32 v22, v22, v26
	s_nop 0
	v_cndmask_b32_e64 v26, 0, 1, vcc
	v_lshlrev_b32_e32 v26, 2, v26
	v_add_lshl_u32 v42, v26, v37, 2
	ds_bpermute_b32 v26, v42, v22
	v_cmp_le_u32_e32 vcc, v43, v21
	s_waitcnt lgkmcnt(0)
	s_nop 0
	v_cndmask_b32_e32 v26, 0, v26, vcc
	v_cmp_gt_u32_e32 vcc, 56, v32
	v_add_u32_e32 v22, v22, v26
	s_nop 0
	v_cndmask_b32_e64 v26, 0, 1, vcc
	v_lshlrev_b32_e32 v26, 3, v26
	v_add_lshl_u32 v44, v26, v37, 2
	ds_bpermute_b32 v26, v44, v22
	v_cmp_le_u32_e32 vcc, v45, v21
	s_waitcnt lgkmcnt(0)
	s_nop 0
	;; [unrolled: 11-line block ×4, first 2 shown]
	v_cndmask_b32_e32 v21, 0, v26, vcc
	v_add_u32_e32 v22, v22, v21
	v_mov_b32_e32 v21, 0
	s_branch .LBB1084_312
.LBB1084_311:                           ;   in Loop: Header=BB1084_312 Depth=1
	s_or_b64 exec, exec, s[26:27]
	v_cmp_eq_u16_sdwa s[26:27], v23, v19 src0_sel:BYTE_0 src1_sel:DWORD
	ds_bpermute_b32 v51, v34, v22
	v_subrev_u32_e32 v20, 64, v20
	v_and_b32_e32 v26, s27, v25
	v_or_b32_e32 v26, 0x80000000, v26
	v_and_b32_e32 v27, s26, v24
	v_ffbl_b32_e32 v26, v26
	v_add_u32_e32 v26, 32, v26
	v_ffbl_b32_e32 v27, v27
	v_min_u32_e32 v26, v27, v26
	v_cmp_lt_u32_e32 vcc, v32, v26
	s_waitcnt lgkmcnt(0)
	s_nop 0
	v_cndmask_b32_e32 v27, 0, v51, vcc
	v_add_u32_e32 v22, v27, v22
	ds_bpermute_b32 v27, v40, v22
	v_cmp_le_u32_e32 vcc, v41, v26
	s_waitcnt lgkmcnt(0)
	s_nop 0
	v_cndmask_b32_e32 v27, 0, v27, vcc
	v_add_u32_e32 v22, v22, v27
	ds_bpermute_b32 v27, v42, v22
	v_cmp_le_u32_e32 vcc, v43, v26
	;; [unrolled: 6-line block ×5, first 2 shown]
	s_waitcnt lgkmcnt(0)
	s_nop 0
	v_cndmask_b32_e32 v26, 0, v27, vcc
	v_add3_u32 v22, v26, v46, v22
.LBB1084_312:                           ; =>This Loop Header: Depth=1
                                        ;     Child Loop BB1084_315 Depth 2
	v_cmp_ne_u16_sdwa s[26:27], v23, v19 src0_sel:BYTE_0 src1_sel:DWORD
	v_mov_b32_e32 v46, v22
	s_nop 0
	v_cndmask_b32_e64 v23, 0, 1, s[26:27]
	;;#ASMSTART
	;;#ASMEND
	s_nop 0
	v_cmp_ne_u32_e32 vcc, 0, v23
	s_cmp_lg_u64 vcc, exec
	s_cbranch_scc1 .LBB1084_317
; %bb.313:                              ;   in Loop: Header=BB1084_312 Depth=1
	v_lshl_add_u64 v[26:27], v[20:21], 3, s[30:31]
	global_load_dwordx2 v[22:23], v[26:27], off sc1
	s_waitcnt vmcnt(0)
	v_cmp_eq_u16_sdwa s[28:29], v23, v21 src0_sel:BYTE_0 src1_sel:DWORD
	s_and_saveexec_b64 s[26:27], s[28:29]
	s_cbranch_execz .LBB1084_311
; %bb.314:                              ;   in Loop: Header=BB1084_312 Depth=1
	s_mov_b64 s[28:29], 0
.LBB1084_315:                           ;   Parent Loop BB1084_312 Depth=1
                                        ; =>  This Inner Loop Header: Depth=2
	global_load_dwordx2 v[22:23], v[26:27], off sc1
	s_waitcnt vmcnt(0)
	v_cmp_ne_u16_sdwa s[38:39], v23, v21 src0_sel:BYTE_0 src1_sel:DWORD
	s_or_b64 s[28:29], s[38:39], s[28:29]
	s_andn2_b64 exec, exec, s[28:29]
	s_cbranch_execnz .LBB1084_315
; %bb.316:                              ;   in Loop: Header=BB1084_312 Depth=1
	s_or_b64 exec, exec, s[28:29]
	s_branch .LBB1084_311
.LBB1084_317:                           ;   in Loop: Header=BB1084_312 Depth=1
                                        ; implicit-def: $vgpr22
                                        ; implicit-def: $vgpr23
	s_cbranch_execz .LBB1084_312
; %bb.318:
	s_and_saveexec_b64 s[26:27], s[16:17]
	s_cbranch_execz .LBB1084_320
; %bb.319:
	s_add_i32 s28, s33, 64
	s_mov_b32 s29, 0
	s_lshl_b64 s[28:29], s[28:29], 3
	s_add_u32 s28, s30, s28
	v_add_u32_e32 v20, v46, v18
	v_mov_b32_e32 v21, 2
	s_addc_u32 s29, s31, s29
	v_mov_b32_e32 v19, 0
	global_store_dwordx2 v19, v[20:21], s[28:29] sc1
	s_movk_i32 s28, 0x7000
	v_add_u32_e64 v19, s28, 0
	ds_write2_b32 v19, v18, v46 offset1:2
.LBB1084_320:
	s_or_b64 exec, exec, s[26:27]
	s_and_b64 exec, exec, s[18:19]
	s_cbranch_execz .LBB1084_322
; %bb.321:
	v_mov_b32_e32 v18, 0
	ds_write_b32 v18, v46 offset:28
.LBB1084_322:
	s_or_b64 exec, exec, s[0:1]
	v_mov_b32_e32 v18, 0
	s_waitcnt lgkmcnt(0)
	s_barrier
	ds_read_b32 v18, v18 offset:28
	v_cndmask_b32_e64 v19, v30, v28, s[16:17]
	v_cndmask_b32_e64 v19, v19, 0, s[18:19]
	s_movk_i32 s0, 0x7000
	s_waitcnt lgkmcnt(0)
	v_add_u32_e32 v34, v18, v19
	v_add_u32_e32 v32, v34, v1
	v_add_u32_e64 v18, s0, 0
	v_add_u32_e32 v30, v32, v29
	s_barrier
	ds_read2_b32 v[18:19], v18 offset1:2
	v_add_u32_e32 v28, v30, v31
	v_add_u32_e32 v26, v28, v33
	;; [unrolled: 1-line block ×4, first 2 shown]
	v_lshrrev_b64 v[20:21], 24, v[16:17]
	s_branch .LBB1084_333
.LBB1084_323:
                                        ; implicit-def: $vgpr22
                                        ; implicit-def: $vgpr24
                                        ; implicit-def: $vgpr26
                                        ; implicit-def: $vgpr28
                                        ; implicit-def: $vgpr30
                                        ; implicit-def: $vgpr32
                                        ; implicit-def: $vgpr34
                                        ; implicit-def: $vgpr19
	v_lshrrev_b64 v[20:21], 24, v[16:17]
	s_cbranch_execz .LBB1084_333
; %bb.324:
	s_waitcnt lgkmcnt(0)
	v_mov_b32_dpp v18, v39 row_shr:1 row_mask:0xf bank_mask:0xf
	v_cndmask_b32_e64 v18, v18, 0, s[14:15]
	v_add_u32_e32 v18, v18, v39
	s_nop 1
	v_mov_b32_dpp v19, v18 row_shr:2 row_mask:0xf bank_mask:0xf
	v_cndmask_b32_e64 v19, 0, v19, s[12:13]
	v_add_u32_e32 v18, v18, v19
	s_nop 1
	;; [unrolled: 4-line block ×4, first 2 shown]
	v_mov_b32_dpp v19, v18 row_bcast:15 row_mask:0xf bank_mask:0xf
	v_cndmask_b32_e64 v19, v19, 0, s[6:7]
	v_add_u32_e32 v18, v18, v19
	s_nop 1
	v_mov_b32_dpp v19, v18 row_bcast:31 row_mask:0xf bank_mask:0xf
	v_cndmask_b32_e64 v19, 0, v19, s[2:3]
	v_add_u32_e32 v18, v18, v19
	s_and_saveexec_b64 s[0:1], s[4:5]
	s_cbranch_execz .LBB1084_326
; %bb.325:
	v_lshlrev_b32_e32 v19, 2, v38
	ds_write_b32 v19, v18
.LBB1084_326:
	s_or_b64 exec, exec, s[0:1]
	v_cmp_gt_u32_e32 vcc, 8, v0
	s_waitcnt lgkmcnt(0)
	s_barrier
	s_and_saveexec_b64 s[0:1], vcc
	s_cbranch_execz .LBB1084_328
; %bb.327:
	v_lshlrev_b32_e32 v19, 2, v0
	ds_read_b32 v21, v19
	v_and_b32_e32 v22, 7, v37
	v_cmp_ne_u32_e32 vcc, 0, v22
	s_waitcnt lgkmcnt(0)
	v_mov_b32_dpp v23, v21 row_shr:1 row_mask:0xf bank_mask:0xf
	v_cndmask_b32_e32 v23, 0, v23, vcc
	v_add_u32_e32 v21, v23, v21
	v_cmp_lt_u32_e32 vcc, 1, v22
	s_nop 0
	v_mov_b32_dpp v23, v21 row_shr:2 row_mask:0xf bank_mask:0xf
	v_cndmask_b32_e32 v23, 0, v23, vcc
	v_add_u32_e32 v21, v21, v23
	v_cmp_lt_u32_e32 vcc, 3, v22
	s_nop 0
	v_mov_b32_dpp v23, v21 row_shr:4 row_mask:0xf bank_mask:0xf
	v_cndmask_b32_e32 v22, 0, v23, vcc
	v_add_u32_e32 v21, v21, v22
	ds_write_b32 v19, v21
.LBB1084_328:
	s_or_b64 exec, exec, s[0:1]
	v_cmp_lt_u32_e32 vcc, 63, v0
	v_mov_b32_e32 v19, 0
	v_mov_b32_e32 v21, 0
	s_waitcnt lgkmcnt(0)
	s_barrier
	s_and_saveexec_b64 s[0:1], vcc
	s_cbranch_execz .LBB1084_330
; %bb.329:
	v_lshl_add_u32 v21, v38, 2, -4
	ds_read_b32 v21, v21
.LBB1084_330:
	s_or_b64 exec, exec, s[0:1]
	v_add_u32_e32 v22, -1, v37
	v_and_b32_e32 v23, 64, v37
	v_cmp_lt_i32_e32 vcc, v22, v23
	s_waitcnt lgkmcnt(0)
	v_add_u32_e32 v18, v21, v18
	v_cndmask_b32_e32 v22, v22, v37, vcc
	v_lshlrev_b32_e32 v22, 2, v22
	ds_bpermute_b32 v22, v22, v18
	ds_read_b32 v18, v19 offset:28
	s_and_saveexec_b64 s[0:1], s[18:19]
	s_cbranch_execz .LBB1084_332
; %bb.331:
	v_mov_b32_e32 v23, 0
	v_mov_b32_e32 v19, 2
	s_waitcnt lgkmcnt(0)
	global_store_dwordx2 v23, v[18:19], s[30:31] offset:512 sc1
.LBB1084_332:
	s_or_b64 exec, exec, s[0:1]
	v_cmp_eq_u32_e32 vcc, 0, v37
	v_mov_b32_e32 v19, 0
	s_waitcnt lgkmcnt(0)
	v_cndmask_b32_e32 v21, v22, v21, vcc
	v_cndmask_b32_e64 v34, v21, 0, s[18:19]
	v_add_u32_e32 v32, v34, v1
	v_add_u32_e32 v30, v32, v29
	;; [unrolled: 1-line block ×6, first 2 shown]
	s_barrier
.LBB1084_333:
	s_movk_i32 s0, 0x201
	s_waitcnt lgkmcnt(0)
	v_cmp_gt_u32_e32 vcc, s0, v18
	v_lshrrev_b32_e32 v21, 8, v16
	v_lshrrev_b32_e32 v1, 8, v17
	s_mov_b64 s[0:1], -1
	s_cbranch_vccnz .LBB1084_337
; %bb.334:
	s_and_b64 vcc, exec, s[0:1]
	s_cbranch_vccnz .LBB1084_359
.LBB1084_335:
	s_and_b64 s[0:1], s[18:19], s[24:25]
	s_and_saveexec_b64 s[2:3], s[0:1]
	s_cbranch_execnz .LBB1084_377
.LBB1084_336:
	s_endpgm
.LBB1084_337:
	v_add_u32_e32 v23, v19, v18
	v_cmp_lt_u32_e32 vcc, v34, v23
	s_or_b64 s[2:3], s[36:37], vcc
	s_and_saveexec_b64 s[0:1], s[2:3]
	s_cbranch_execz .LBB1084_340
; %bb.338:
	v_and_b32_e32 v25, 1, v16
	v_cmp_eq_u32_e32 vcc, 1, v25
	s_and_b64 exec, exec, vcc
	s_cbranch_execz .LBB1084_340
; %bb.339:
	s_lshl_b64 s[2:3], s[22:23], 3
	s_add_u32 s2, s34, s2
	s_addc_u32 s3, s35, s3
	v_mov_b32_e32 v35, 0
	v_lshl_add_u64 v[36:37], v[34:35], 3, s[2:3]
	global_store_dwordx2 v[36:37], v[10:11], off
.LBB1084_340:
	s_or_b64 exec, exec, s[0:1]
	v_cmp_lt_u32_e32 vcc, v32, v23
	s_or_b64 s[2:3], s[36:37], vcc
	s_and_saveexec_b64 s[0:1], s[2:3]
	s_cbranch_execz .LBB1084_343
; %bb.341:
	v_and_b32_e32 v25, 1, v21
	v_cmp_eq_u32_e32 vcc, 1, v25
	s_and_b64 exec, exec, vcc
	s_cbranch_execz .LBB1084_343
; %bb.342:
	s_lshl_b64 s[2:3], s[22:23], 3
	s_add_u32 s2, s34, s2
	s_addc_u32 s3, s35, s3
	v_mov_b32_e32 v33, 0
	v_lshl_add_u64 v[36:37], v[32:33], 3, s[2:3]
	global_store_dwordx2 v[36:37], v[12:13], off
.LBB1084_343:
	s_or_b64 exec, exec, s[0:1]
	v_cmp_lt_u32_e32 vcc, v30, v23
	s_or_b64 s[2:3], s[36:37], vcc
	s_and_saveexec_b64 s[0:1], s[2:3]
	s_cbranch_execz .LBB1084_346
; %bb.344:
	v_mov_b32_e32 v25, 1
	v_and_b32_sdwa v25, v25, v16 dst_sel:DWORD dst_unused:UNUSED_PAD src0_sel:DWORD src1_sel:WORD_1
	v_cmp_eq_u32_e32 vcc, 1, v25
	s_and_b64 exec, exec, vcc
	s_cbranch_execz .LBB1084_346
; %bb.345:
	s_lshl_b64 s[2:3], s[22:23], 3
	s_add_u32 s2, s34, s2
	s_addc_u32 s3, s35, s3
	v_mov_b32_e32 v31, 0
	v_lshl_add_u64 v[36:37], v[30:31], 3, s[2:3]
	global_store_dwordx2 v[36:37], v[6:7], off
.LBB1084_346:
	s_or_b64 exec, exec, s[0:1]
	v_cmp_lt_u32_e32 vcc, v28, v23
	s_or_b64 s[2:3], s[36:37], vcc
	s_and_saveexec_b64 s[0:1], s[2:3]
	s_cbranch_execz .LBB1084_349
; %bb.347:
	v_and_b32_e32 v25, 1, v20
	v_cmp_eq_u32_e32 vcc, 1, v25
	s_and_b64 exec, exec, vcc
	s_cbranch_execz .LBB1084_349
; %bb.348:
	s_lshl_b64 s[2:3], s[22:23], 3
	s_add_u32 s2, s34, s2
	s_addc_u32 s3, s35, s3
	v_mov_b32_e32 v29, 0
	v_lshl_add_u64 v[36:37], v[28:29], 3, s[2:3]
	global_store_dwordx2 v[36:37], v[8:9], off
.LBB1084_349:
	s_or_b64 exec, exec, s[0:1]
	v_cmp_lt_u32_e32 vcc, v26, v23
	s_or_b64 s[2:3], s[36:37], vcc
	s_and_saveexec_b64 s[0:1], s[2:3]
	s_cbranch_execz .LBB1084_352
; %bb.350:
	v_and_b32_e32 v25, 1, v17
	v_cmp_eq_u32_e32 vcc, 1, v25
	s_and_b64 exec, exec, vcc
	s_cbranch_execz .LBB1084_352
; %bb.351:
	s_lshl_b64 s[2:3], s[22:23], 3
	s_add_u32 s2, s34, s2
	s_addc_u32 s3, s35, s3
	v_mov_b32_e32 v27, 0
	v_lshl_add_u64 v[36:37], v[26:27], 3, s[2:3]
	global_store_dwordx2 v[36:37], v[2:3], off
.LBB1084_352:
	;; [unrolled: 18-line block ×3, first 2 shown]
	s_or_b64 exec, exec, s[0:1]
	v_cmp_lt_u32_e32 vcc, v22, v23
	s_or_b64 s[2:3], s[36:37], vcc
	s_and_saveexec_b64 s[0:1], s[2:3]
	s_cbranch_execz .LBB1084_358
; %bb.356:
	v_mov_b32_e32 v23, 1
	v_and_b32_sdwa v23, v23, v17 dst_sel:DWORD dst_unused:UNUSED_PAD src0_sel:DWORD src1_sel:WORD_1
	v_cmp_eq_u32_e32 vcc, 1, v23
	s_and_b64 exec, exec, vcc
	s_cbranch_execz .LBB1084_358
; %bb.357:
	s_lshl_b64 s[2:3], s[22:23], 3
	s_add_u32 s2, s34, s2
	s_addc_u32 s3, s35, s3
	v_mov_b32_e32 v23, 0
	v_lshl_add_u64 v[36:37], v[22:23], 3, s[2:3]
	global_store_dwordx2 v[36:37], v[14:15], off
.LBB1084_358:
	s_or_b64 exec, exec, s[0:1]
	s_branch .LBB1084_335
.LBB1084_359:
	v_and_b32_e32 v23, 1, v16
	v_cmp_eq_u32_e32 vcc, 1, v23
	s_and_saveexec_b64 s[0:1], vcc
	s_cbranch_execz .LBB1084_361
; %bb.360:
	v_sub_u32_e32 v23, v34, v19
	v_lshlrev_b32_e32 v23, 3, v23
	ds_write_b64 v23, v[10:11]
.LBB1084_361:
	s_or_b64 exec, exec, s[0:1]
	v_and_b32_e32 v10, 1, v21
	v_cmp_eq_u32_e32 vcc, 1, v10
	s_and_saveexec_b64 s[0:1], vcc
	s_cbranch_execz .LBB1084_363
; %bb.362:
	v_sub_u32_e32 v10, v32, v19
	v_lshlrev_b32_e32 v10, 3, v10
	ds_write_b64 v10, v[12:13]
.LBB1084_363:
	s_or_b64 exec, exec, s[0:1]
	v_mov_b32_e32 v10, 1
	v_and_b32_sdwa v10, v10, v16 dst_sel:DWORD dst_unused:UNUSED_PAD src0_sel:DWORD src1_sel:WORD_1
	v_cmp_eq_u32_e32 vcc, 1, v10
	s_and_saveexec_b64 s[0:1], vcc
	s_cbranch_execz .LBB1084_365
; %bb.364:
	v_sub_u32_e32 v10, v30, v19
	v_lshlrev_b32_e32 v10, 3, v10
	ds_write_b64 v10, v[6:7]
.LBB1084_365:
	s_or_b64 exec, exec, s[0:1]
	v_and_b32_e32 v6, 1, v20
	v_cmp_eq_u32_e32 vcc, 1, v6
	s_and_saveexec_b64 s[0:1], vcc
	s_cbranch_execz .LBB1084_367
; %bb.366:
	v_sub_u32_e32 v6, v28, v19
	v_lshlrev_b32_e32 v6, 3, v6
	ds_write_b64 v6, v[8:9]
.LBB1084_367:
	s_or_b64 exec, exec, s[0:1]
	v_and_b32_e32 v6, 1, v17
	;; [unrolled: 10-line block ×3, first 2 shown]
	v_cmp_eq_u32_e32 vcc, 1, v1
	s_and_saveexec_b64 s[0:1], vcc
	s_cbranch_execz .LBB1084_371
; %bb.370:
	v_sub_u32_e32 v1, v24, v19
	v_lshlrev_b32_e32 v1, 3, v1
	ds_write_b64 v1, v[4:5]
.LBB1084_371:
	s_or_b64 exec, exec, s[0:1]
	v_mov_b32_e32 v1, 1
	v_and_b32_sdwa v1, v1, v17 dst_sel:DWORD dst_unused:UNUSED_PAD src0_sel:DWORD src1_sel:WORD_1
	v_cmp_eq_u32_e32 vcc, 1, v1
	s_and_saveexec_b64 s[0:1], vcc
	s_cbranch_execz .LBB1084_373
; %bb.372:
	v_sub_u32_e32 v1, v22, v19
	v_lshlrev_b32_e32 v1, 3, v1
	ds_write_b64 v1, v[14:15]
.LBB1084_373:
	s_or_b64 exec, exec, s[0:1]
	v_cmp_lt_u32_e32 vcc, v0, v18
	s_waitcnt lgkmcnt(0)
	s_barrier
	s_and_saveexec_b64 s[0:1], vcc
	s_cbranch_execz .LBB1084_376
; %bb.374:
	v_mov_b32_e32 v5, 0
	v_mov_b32_e32 v4, v19
	s_lshl_b64 s[2:3], s[22:23], 3
	v_lshlrev_b64 v[6:7], 3, v[4:5]
	v_lshl_add_u64 v[6:7], s[2:3], 0, v[6:7]
	v_lshlrev_b32_e32 v2, 3, v0
	v_mov_b32_e32 v3, v5
	v_lshl_add_u64 v[4:5], s[34:35], 0, v[6:7]
	v_lshl_add_u64 v[4:5], v[4:5], 0, v[2:3]
	s_mov_b64 s[2:3], 0
	s_mov_b64 s[4:5], 0x1000
.LBB1084_375:                           ; =>This Inner Loop Header: Depth=1
	ds_read_b64 v[6:7], v2
	v_add_u32_e32 v0, 0x200, v0
	v_cmp_ge_u32_e32 vcc, v0, v18
	v_add_u32_e32 v2, 0x1000, v2
	s_or_b64 s[2:3], vcc, s[2:3]
	s_waitcnt lgkmcnt(0)
	global_store_dwordx2 v[4:5], v[6:7], off
	v_lshl_add_u64 v[4:5], v[4:5], 0, s[4:5]
	s_andn2_b64 exec, exec, s[2:3]
	s_cbranch_execnz .LBB1084_375
.LBB1084_376:
	s_or_b64 exec, exec, s[0:1]
	s_and_b64 s[0:1], s[18:19], s[24:25]
	s_and_saveexec_b64 s[2:3], s[0:1]
	s_cbranch_execz .LBB1084_336
.LBB1084_377:
	v_mov_b32_e32 v1, 0
	v_mov_b32_e32 v0, v18
	v_lshl_add_u64 v[2:3], s[22:23], 0, v[0:1]
	v_mov_b32_e32 v0, v19
	v_lshl_add_u64 v[2:3], v[2:3], 0, v[0:1]
	global_store_dwordx2 v1, v[2:3], s[20:21]
	s_endpgm
	.section	.rodata,"a",@progbits
	.p2align	6, 0x0
	.amdhsa_kernel _ZN7rocprim17ROCPRIM_400000_NS6detail17trampoline_kernelINS0_14default_configENS1_25partition_config_selectorILNS1_17partition_subalgoE8ElNS0_10empty_typeEbEEZZNS1_14partition_implILS5_8ELb0ES3_jPlPS6_PKS6_NS0_5tupleIJS9_S6_EEENSD_IJSA_SA_EEENS0_18inequality_wrapperIZN2at6native12_GLOBAL__N_124unique_dim_cuda_templateIbEESt5tupleIJNSH_6TensorESM_SM_EERKSM_lbbbEUlllE0_EEPmJS6_EEE10hipError_tPvRmT3_T4_T5_T6_T7_T9_mT8_P12ihipStream_tbDpT10_ENKUlT_T0_E_clISt17integral_constantIbLb0EES1B_IbLb1EEEEDaS17_S18_EUlS17_E_NS1_11comp_targetILNS1_3genE5ELNS1_11target_archE942ELNS1_3gpuE9ELNS1_3repE0EEENS1_30default_config_static_selectorELNS0_4arch9wavefront6targetE1EEEvT1_
		.amdhsa_group_segment_fixed_size 28684
		.amdhsa_private_segment_fixed_size 0
		.amdhsa_kernarg_size 136
		.amdhsa_user_sgpr_count 2
		.amdhsa_user_sgpr_dispatch_ptr 0
		.amdhsa_user_sgpr_queue_ptr 0
		.amdhsa_user_sgpr_kernarg_segment_ptr 1
		.amdhsa_user_sgpr_dispatch_id 0
		.amdhsa_user_sgpr_kernarg_preload_length 0
		.amdhsa_user_sgpr_kernarg_preload_offset 0
		.amdhsa_user_sgpr_private_segment_size 0
		.amdhsa_uses_dynamic_stack 0
		.amdhsa_enable_private_segment 0
		.amdhsa_system_sgpr_workgroup_id_x 1
		.amdhsa_system_sgpr_workgroup_id_y 0
		.amdhsa_system_sgpr_workgroup_id_z 0
		.amdhsa_system_sgpr_workgroup_info 0
		.amdhsa_system_vgpr_workitem_id 0
		.amdhsa_next_free_vgpr 52
		.amdhsa_next_free_sgpr 56
		.amdhsa_accum_offset 52
		.amdhsa_reserve_vcc 1
		.amdhsa_float_round_mode_32 0
		.amdhsa_float_round_mode_16_64 0
		.amdhsa_float_denorm_mode_32 3
		.amdhsa_float_denorm_mode_16_64 3
		.amdhsa_dx10_clamp 1
		.amdhsa_ieee_mode 1
		.amdhsa_fp16_overflow 0
		.amdhsa_tg_split 0
		.amdhsa_exception_fp_ieee_invalid_op 0
		.amdhsa_exception_fp_denorm_src 0
		.amdhsa_exception_fp_ieee_div_zero 0
		.amdhsa_exception_fp_ieee_overflow 0
		.amdhsa_exception_fp_ieee_underflow 0
		.amdhsa_exception_fp_ieee_inexact 0
		.amdhsa_exception_int_div_zero 0
	.end_amdhsa_kernel
	.section	.text._ZN7rocprim17ROCPRIM_400000_NS6detail17trampoline_kernelINS0_14default_configENS1_25partition_config_selectorILNS1_17partition_subalgoE8ElNS0_10empty_typeEbEEZZNS1_14partition_implILS5_8ELb0ES3_jPlPS6_PKS6_NS0_5tupleIJS9_S6_EEENSD_IJSA_SA_EEENS0_18inequality_wrapperIZN2at6native12_GLOBAL__N_124unique_dim_cuda_templateIbEESt5tupleIJNSH_6TensorESM_SM_EERKSM_lbbbEUlllE0_EEPmJS6_EEE10hipError_tPvRmT3_T4_T5_T6_T7_T9_mT8_P12ihipStream_tbDpT10_ENKUlT_T0_E_clISt17integral_constantIbLb0EES1B_IbLb1EEEEDaS17_S18_EUlS17_E_NS1_11comp_targetILNS1_3genE5ELNS1_11target_archE942ELNS1_3gpuE9ELNS1_3repE0EEENS1_30default_config_static_selectorELNS0_4arch9wavefront6targetE1EEEvT1_,"axG",@progbits,_ZN7rocprim17ROCPRIM_400000_NS6detail17trampoline_kernelINS0_14default_configENS1_25partition_config_selectorILNS1_17partition_subalgoE8ElNS0_10empty_typeEbEEZZNS1_14partition_implILS5_8ELb0ES3_jPlPS6_PKS6_NS0_5tupleIJS9_S6_EEENSD_IJSA_SA_EEENS0_18inequality_wrapperIZN2at6native12_GLOBAL__N_124unique_dim_cuda_templateIbEESt5tupleIJNSH_6TensorESM_SM_EERKSM_lbbbEUlllE0_EEPmJS6_EEE10hipError_tPvRmT3_T4_T5_T6_T7_T9_mT8_P12ihipStream_tbDpT10_ENKUlT_T0_E_clISt17integral_constantIbLb0EES1B_IbLb1EEEEDaS17_S18_EUlS17_E_NS1_11comp_targetILNS1_3genE5ELNS1_11target_archE942ELNS1_3gpuE9ELNS1_3repE0EEENS1_30default_config_static_selectorELNS0_4arch9wavefront6targetE1EEEvT1_,comdat
.Lfunc_end1084:
	.size	_ZN7rocprim17ROCPRIM_400000_NS6detail17trampoline_kernelINS0_14default_configENS1_25partition_config_selectorILNS1_17partition_subalgoE8ElNS0_10empty_typeEbEEZZNS1_14partition_implILS5_8ELb0ES3_jPlPS6_PKS6_NS0_5tupleIJS9_S6_EEENSD_IJSA_SA_EEENS0_18inequality_wrapperIZN2at6native12_GLOBAL__N_124unique_dim_cuda_templateIbEESt5tupleIJNSH_6TensorESM_SM_EERKSM_lbbbEUlllE0_EEPmJS6_EEE10hipError_tPvRmT3_T4_T5_T6_T7_T9_mT8_P12ihipStream_tbDpT10_ENKUlT_T0_E_clISt17integral_constantIbLb0EES1B_IbLb1EEEEDaS17_S18_EUlS17_E_NS1_11comp_targetILNS1_3genE5ELNS1_11target_archE942ELNS1_3gpuE9ELNS1_3repE0EEENS1_30default_config_static_selectorELNS0_4arch9wavefront6targetE1EEEvT1_, .Lfunc_end1084-_ZN7rocprim17ROCPRIM_400000_NS6detail17trampoline_kernelINS0_14default_configENS1_25partition_config_selectorILNS1_17partition_subalgoE8ElNS0_10empty_typeEbEEZZNS1_14partition_implILS5_8ELb0ES3_jPlPS6_PKS6_NS0_5tupleIJS9_S6_EEENSD_IJSA_SA_EEENS0_18inequality_wrapperIZN2at6native12_GLOBAL__N_124unique_dim_cuda_templateIbEESt5tupleIJNSH_6TensorESM_SM_EERKSM_lbbbEUlllE0_EEPmJS6_EEE10hipError_tPvRmT3_T4_T5_T6_T7_T9_mT8_P12ihipStream_tbDpT10_ENKUlT_T0_E_clISt17integral_constantIbLb0EES1B_IbLb1EEEEDaS17_S18_EUlS17_E_NS1_11comp_targetILNS1_3genE5ELNS1_11target_archE942ELNS1_3gpuE9ELNS1_3repE0EEENS1_30default_config_static_selectorELNS0_4arch9wavefront6targetE1EEEvT1_
                                        ; -- End function
	.section	.AMDGPU.csdata,"",@progbits
; Kernel info:
; codeLenInByte = 14184
; NumSgprs: 62
; NumVgprs: 52
; NumAgprs: 0
; TotalNumVgprs: 52
; ScratchSize: 0
; MemoryBound: 0
; FloatMode: 240
; IeeeMode: 1
; LDSByteSize: 28684 bytes/workgroup (compile time only)
; SGPRBlocks: 7
; VGPRBlocks: 6
; NumSGPRsForWavesPerEU: 62
; NumVGPRsForWavesPerEU: 52
; AccumOffset: 52
; Occupancy: 4
; WaveLimiterHint : 1
; COMPUTE_PGM_RSRC2:SCRATCH_EN: 0
; COMPUTE_PGM_RSRC2:USER_SGPR: 2
; COMPUTE_PGM_RSRC2:TRAP_HANDLER: 0
; COMPUTE_PGM_RSRC2:TGID_X_EN: 1
; COMPUTE_PGM_RSRC2:TGID_Y_EN: 0
; COMPUTE_PGM_RSRC2:TGID_Z_EN: 0
; COMPUTE_PGM_RSRC2:TIDIG_COMP_CNT: 0
; COMPUTE_PGM_RSRC3_GFX90A:ACCUM_OFFSET: 12
; COMPUTE_PGM_RSRC3_GFX90A:TG_SPLIT: 0
	.section	.text._ZN7rocprim17ROCPRIM_400000_NS6detail17trampoline_kernelINS0_14default_configENS1_25partition_config_selectorILNS1_17partition_subalgoE8ElNS0_10empty_typeEbEEZZNS1_14partition_implILS5_8ELb0ES3_jPlPS6_PKS6_NS0_5tupleIJS9_S6_EEENSD_IJSA_SA_EEENS0_18inequality_wrapperIZN2at6native12_GLOBAL__N_124unique_dim_cuda_templateIbEESt5tupleIJNSH_6TensorESM_SM_EERKSM_lbbbEUlllE0_EEPmJS6_EEE10hipError_tPvRmT3_T4_T5_T6_T7_T9_mT8_P12ihipStream_tbDpT10_ENKUlT_T0_E_clISt17integral_constantIbLb0EES1B_IbLb1EEEEDaS17_S18_EUlS17_E_NS1_11comp_targetILNS1_3genE4ELNS1_11target_archE910ELNS1_3gpuE8ELNS1_3repE0EEENS1_30default_config_static_selectorELNS0_4arch9wavefront6targetE1EEEvT1_,"axG",@progbits,_ZN7rocprim17ROCPRIM_400000_NS6detail17trampoline_kernelINS0_14default_configENS1_25partition_config_selectorILNS1_17partition_subalgoE8ElNS0_10empty_typeEbEEZZNS1_14partition_implILS5_8ELb0ES3_jPlPS6_PKS6_NS0_5tupleIJS9_S6_EEENSD_IJSA_SA_EEENS0_18inequality_wrapperIZN2at6native12_GLOBAL__N_124unique_dim_cuda_templateIbEESt5tupleIJNSH_6TensorESM_SM_EERKSM_lbbbEUlllE0_EEPmJS6_EEE10hipError_tPvRmT3_T4_T5_T6_T7_T9_mT8_P12ihipStream_tbDpT10_ENKUlT_T0_E_clISt17integral_constantIbLb0EES1B_IbLb1EEEEDaS17_S18_EUlS17_E_NS1_11comp_targetILNS1_3genE4ELNS1_11target_archE910ELNS1_3gpuE8ELNS1_3repE0EEENS1_30default_config_static_selectorELNS0_4arch9wavefront6targetE1EEEvT1_,comdat
	.globl	_ZN7rocprim17ROCPRIM_400000_NS6detail17trampoline_kernelINS0_14default_configENS1_25partition_config_selectorILNS1_17partition_subalgoE8ElNS0_10empty_typeEbEEZZNS1_14partition_implILS5_8ELb0ES3_jPlPS6_PKS6_NS0_5tupleIJS9_S6_EEENSD_IJSA_SA_EEENS0_18inequality_wrapperIZN2at6native12_GLOBAL__N_124unique_dim_cuda_templateIbEESt5tupleIJNSH_6TensorESM_SM_EERKSM_lbbbEUlllE0_EEPmJS6_EEE10hipError_tPvRmT3_T4_T5_T6_T7_T9_mT8_P12ihipStream_tbDpT10_ENKUlT_T0_E_clISt17integral_constantIbLb0EES1B_IbLb1EEEEDaS17_S18_EUlS17_E_NS1_11comp_targetILNS1_3genE4ELNS1_11target_archE910ELNS1_3gpuE8ELNS1_3repE0EEENS1_30default_config_static_selectorELNS0_4arch9wavefront6targetE1EEEvT1_ ; -- Begin function _ZN7rocprim17ROCPRIM_400000_NS6detail17trampoline_kernelINS0_14default_configENS1_25partition_config_selectorILNS1_17partition_subalgoE8ElNS0_10empty_typeEbEEZZNS1_14partition_implILS5_8ELb0ES3_jPlPS6_PKS6_NS0_5tupleIJS9_S6_EEENSD_IJSA_SA_EEENS0_18inequality_wrapperIZN2at6native12_GLOBAL__N_124unique_dim_cuda_templateIbEESt5tupleIJNSH_6TensorESM_SM_EERKSM_lbbbEUlllE0_EEPmJS6_EEE10hipError_tPvRmT3_T4_T5_T6_T7_T9_mT8_P12ihipStream_tbDpT10_ENKUlT_T0_E_clISt17integral_constantIbLb0EES1B_IbLb1EEEEDaS17_S18_EUlS17_E_NS1_11comp_targetILNS1_3genE4ELNS1_11target_archE910ELNS1_3gpuE8ELNS1_3repE0EEENS1_30default_config_static_selectorELNS0_4arch9wavefront6targetE1EEEvT1_
	.p2align	8
	.type	_ZN7rocprim17ROCPRIM_400000_NS6detail17trampoline_kernelINS0_14default_configENS1_25partition_config_selectorILNS1_17partition_subalgoE8ElNS0_10empty_typeEbEEZZNS1_14partition_implILS5_8ELb0ES3_jPlPS6_PKS6_NS0_5tupleIJS9_S6_EEENSD_IJSA_SA_EEENS0_18inequality_wrapperIZN2at6native12_GLOBAL__N_124unique_dim_cuda_templateIbEESt5tupleIJNSH_6TensorESM_SM_EERKSM_lbbbEUlllE0_EEPmJS6_EEE10hipError_tPvRmT3_T4_T5_T6_T7_T9_mT8_P12ihipStream_tbDpT10_ENKUlT_T0_E_clISt17integral_constantIbLb0EES1B_IbLb1EEEEDaS17_S18_EUlS17_E_NS1_11comp_targetILNS1_3genE4ELNS1_11target_archE910ELNS1_3gpuE8ELNS1_3repE0EEENS1_30default_config_static_selectorELNS0_4arch9wavefront6targetE1EEEvT1_,@function
_ZN7rocprim17ROCPRIM_400000_NS6detail17trampoline_kernelINS0_14default_configENS1_25partition_config_selectorILNS1_17partition_subalgoE8ElNS0_10empty_typeEbEEZZNS1_14partition_implILS5_8ELb0ES3_jPlPS6_PKS6_NS0_5tupleIJS9_S6_EEENSD_IJSA_SA_EEENS0_18inequality_wrapperIZN2at6native12_GLOBAL__N_124unique_dim_cuda_templateIbEESt5tupleIJNSH_6TensorESM_SM_EERKSM_lbbbEUlllE0_EEPmJS6_EEE10hipError_tPvRmT3_T4_T5_T6_T7_T9_mT8_P12ihipStream_tbDpT10_ENKUlT_T0_E_clISt17integral_constantIbLb0EES1B_IbLb1EEEEDaS17_S18_EUlS17_E_NS1_11comp_targetILNS1_3genE4ELNS1_11target_archE910ELNS1_3gpuE8ELNS1_3repE0EEENS1_30default_config_static_selectorELNS0_4arch9wavefront6targetE1EEEvT1_: ; @_ZN7rocprim17ROCPRIM_400000_NS6detail17trampoline_kernelINS0_14default_configENS1_25partition_config_selectorILNS1_17partition_subalgoE8ElNS0_10empty_typeEbEEZZNS1_14partition_implILS5_8ELb0ES3_jPlPS6_PKS6_NS0_5tupleIJS9_S6_EEENSD_IJSA_SA_EEENS0_18inequality_wrapperIZN2at6native12_GLOBAL__N_124unique_dim_cuda_templateIbEESt5tupleIJNSH_6TensorESM_SM_EERKSM_lbbbEUlllE0_EEPmJS6_EEE10hipError_tPvRmT3_T4_T5_T6_T7_T9_mT8_P12ihipStream_tbDpT10_ENKUlT_T0_E_clISt17integral_constantIbLb0EES1B_IbLb1EEEEDaS17_S18_EUlS17_E_NS1_11comp_targetILNS1_3genE4ELNS1_11target_archE910ELNS1_3gpuE8ELNS1_3repE0EEENS1_30default_config_static_selectorELNS0_4arch9wavefront6targetE1EEEvT1_
; %bb.0:
	.section	.rodata,"a",@progbits
	.p2align	6, 0x0
	.amdhsa_kernel _ZN7rocprim17ROCPRIM_400000_NS6detail17trampoline_kernelINS0_14default_configENS1_25partition_config_selectorILNS1_17partition_subalgoE8ElNS0_10empty_typeEbEEZZNS1_14partition_implILS5_8ELb0ES3_jPlPS6_PKS6_NS0_5tupleIJS9_S6_EEENSD_IJSA_SA_EEENS0_18inequality_wrapperIZN2at6native12_GLOBAL__N_124unique_dim_cuda_templateIbEESt5tupleIJNSH_6TensorESM_SM_EERKSM_lbbbEUlllE0_EEPmJS6_EEE10hipError_tPvRmT3_T4_T5_T6_T7_T9_mT8_P12ihipStream_tbDpT10_ENKUlT_T0_E_clISt17integral_constantIbLb0EES1B_IbLb1EEEEDaS17_S18_EUlS17_E_NS1_11comp_targetILNS1_3genE4ELNS1_11target_archE910ELNS1_3gpuE8ELNS1_3repE0EEENS1_30default_config_static_selectorELNS0_4arch9wavefront6targetE1EEEvT1_
		.amdhsa_group_segment_fixed_size 0
		.amdhsa_private_segment_fixed_size 0
		.amdhsa_kernarg_size 136
		.amdhsa_user_sgpr_count 2
		.amdhsa_user_sgpr_dispatch_ptr 0
		.amdhsa_user_sgpr_queue_ptr 0
		.amdhsa_user_sgpr_kernarg_segment_ptr 1
		.amdhsa_user_sgpr_dispatch_id 0
		.amdhsa_user_sgpr_kernarg_preload_length 0
		.amdhsa_user_sgpr_kernarg_preload_offset 0
		.amdhsa_user_sgpr_private_segment_size 0
		.amdhsa_uses_dynamic_stack 0
		.amdhsa_enable_private_segment 0
		.amdhsa_system_sgpr_workgroup_id_x 1
		.amdhsa_system_sgpr_workgroup_id_y 0
		.amdhsa_system_sgpr_workgroup_id_z 0
		.amdhsa_system_sgpr_workgroup_info 0
		.amdhsa_system_vgpr_workitem_id 0
		.amdhsa_next_free_vgpr 1
		.amdhsa_next_free_sgpr 0
		.amdhsa_accum_offset 4
		.amdhsa_reserve_vcc 0
		.amdhsa_float_round_mode_32 0
		.amdhsa_float_round_mode_16_64 0
		.amdhsa_float_denorm_mode_32 3
		.amdhsa_float_denorm_mode_16_64 3
		.amdhsa_dx10_clamp 1
		.amdhsa_ieee_mode 1
		.amdhsa_fp16_overflow 0
		.amdhsa_tg_split 0
		.amdhsa_exception_fp_ieee_invalid_op 0
		.amdhsa_exception_fp_denorm_src 0
		.amdhsa_exception_fp_ieee_div_zero 0
		.amdhsa_exception_fp_ieee_overflow 0
		.amdhsa_exception_fp_ieee_underflow 0
		.amdhsa_exception_fp_ieee_inexact 0
		.amdhsa_exception_int_div_zero 0
	.end_amdhsa_kernel
	.section	.text._ZN7rocprim17ROCPRIM_400000_NS6detail17trampoline_kernelINS0_14default_configENS1_25partition_config_selectorILNS1_17partition_subalgoE8ElNS0_10empty_typeEbEEZZNS1_14partition_implILS5_8ELb0ES3_jPlPS6_PKS6_NS0_5tupleIJS9_S6_EEENSD_IJSA_SA_EEENS0_18inequality_wrapperIZN2at6native12_GLOBAL__N_124unique_dim_cuda_templateIbEESt5tupleIJNSH_6TensorESM_SM_EERKSM_lbbbEUlllE0_EEPmJS6_EEE10hipError_tPvRmT3_T4_T5_T6_T7_T9_mT8_P12ihipStream_tbDpT10_ENKUlT_T0_E_clISt17integral_constantIbLb0EES1B_IbLb1EEEEDaS17_S18_EUlS17_E_NS1_11comp_targetILNS1_3genE4ELNS1_11target_archE910ELNS1_3gpuE8ELNS1_3repE0EEENS1_30default_config_static_selectorELNS0_4arch9wavefront6targetE1EEEvT1_,"axG",@progbits,_ZN7rocprim17ROCPRIM_400000_NS6detail17trampoline_kernelINS0_14default_configENS1_25partition_config_selectorILNS1_17partition_subalgoE8ElNS0_10empty_typeEbEEZZNS1_14partition_implILS5_8ELb0ES3_jPlPS6_PKS6_NS0_5tupleIJS9_S6_EEENSD_IJSA_SA_EEENS0_18inequality_wrapperIZN2at6native12_GLOBAL__N_124unique_dim_cuda_templateIbEESt5tupleIJNSH_6TensorESM_SM_EERKSM_lbbbEUlllE0_EEPmJS6_EEE10hipError_tPvRmT3_T4_T5_T6_T7_T9_mT8_P12ihipStream_tbDpT10_ENKUlT_T0_E_clISt17integral_constantIbLb0EES1B_IbLb1EEEEDaS17_S18_EUlS17_E_NS1_11comp_targetILNS1_3genE4ELNS1_11target_archE910ELNS1_3gpuE8ELNS1_3repE0EEENS1_30default_config_static_selectorELNS0_4arch9wavefront6targetE1EEEvT1_,comdat
.Lfunc_end1085:
	.size	_ZN7rocprim17ROCPRIM_400000_NS6detail17trampoline_kernelINS0_14default_configENS1_25partition_config_selectorILNS1_17partition_subalgoE8ElNS0_10empty_typeEbEEZZNS1_14partition_implILS5_8ELb0ES3_jPlPS6_PKS6_NS0_5tupleIJS9_S6_EEENSD_IJSA_SA_EEENS0_18inequality_wrapperIZN2at6native12_GLOBAL__N_124unique_dim_cuda_templateIbEESt5tupleIJNSH_6TensorESM_SM_EERKSM_lbbbEUlllE0_EEPmJS6_EEE10hipError_tPvRmT3_T4_T5_T6_T7_T9_mT8_P12ihipStream_tbDpT10_ENKUlT_T0_E_clISt17integral_constantIbLb0EES1B_IbLb1EEEEDaS17_S18_EUlS17_E_NS1_11comp_targetILNS1_3genE4ELNS1_11target_archE910ELNS1_3gpuE8ELNS1_3repE0EEENS1_30default_config_static_selectorELNS0_4arch9wavefront6targetE1EEEvT1_, .Lfunc_end1085-_ZN7rocprim17ROCPRIM_400000_NS6detail17trampoline_kernelINS0_14default_configENS1_25partition_config_selectorILNS1_17partition_subalgoE8ElNS0_10empty_typeEbEEZZNS1_14partition_implILS5_8ELb0ES3_jPlPS6_PKS6_NS0_5tupleIJS9_S6_EEENSD_IJSA_SA_EEENS0_18inequality_wrapperIZN2at6native12_GLOBAL__N_124unique_dim_cuda_templateIbEESt5tupleIJNSH_6TensorESM_SM_EERKSM_lbbbEUlllE0_EEPmJS6_EEE10hipError_tPvRmT3_T4_T5_T6_T7_T9_mT8_P12ihipStream_tbDpT10_ENKUlT_T0_E_clISt17integral_constantIbLb0EES1B_IbLb1EEEEDaS17_S18_EUlS17_E_NS1_11comp_targetILNS1_3genE4ELNS1_11target_archE910ELNS1_3gpuE8ELNS1_3repE0EEENS1_30default_config_static_selectorELNS0_4arch9wavefront6targetE1EEEvT1_
                                        ; -- End function
	.section	.AMDGPU.csdata,"",@progbits
; Kernel info:
; codeLenInByte = 0
; NumSgprs: 6
; NumVgprs: 0
; NumAgprs: 0
; TotalNumVgprs: 0
; ScratchSize: 0
; MemoryBound: 0
; FloatMode: 240
; IeeeMode: 1
; LDSByteSize: 0 bytes/workgroup (compile time only)
; SGPRBlocks: 0
; VGPRBlocks: 0
; NumSGPRsForWavesPerEU: 6
; NumVGPRsForWavesPerEU: 1
; AccumOffset: 4
; Occupancy: 8
; WaveLimiterHint : 0
; COMPUTE_PGM_RSRC2:SCRATCH_EN: 0
; COMPUTE_PGM_RSRC2:USER_SGPR: 2
; COMPUTE_PGM_RSRC2:TRAP_HANDLER: 0
; COMPUTE_PGM_RSRC2:TGID_X_EN: 1
; COMPUTE_PGM_RSRC2:TGID_Y_EN: 0
; COMPUTE_PGM_RSRC2:TGID_Z_EN: 0
; COMPUTE_PGM_RSRC2:TIDIG_COMP_CNT: 0
; COMPUTE_PGM_RSRC3_GFX90A:ACCUM_OFFSET: 0
; COMPUTE_PGM_RSRC3_GFX90A:TG_SPLIT: 0
	.section	.text._ZN7rocprim17ROCPRIM_400000_NS6detail17trampoline_kernelINS0_14default_configENS1_25partition_config_selectorILNS1_17partition_subalgoE8ElNS0_10empty_typeEbEEZZNS1_14partition_implILS5_8ELb0ES3_jPlPS6_PKS6_NS0_5tupleIJS9_S6_EEENSD_IJSA_SA_EEENS0_18inequality_wrapperIZN2at6native12_GLOBAL__N_124unique_dim_cuda_templateIbEESt5tupleIJNSH_6TensorESM_SM_EERKSM_lbbbEUlllE0_EEPmJS6_EEE10hipError_tPvRmT3_T4_T5_T6_T7_T9_mT8_P12ihipStream_tbDpT10_ENKUlT_T0_E_clISt17integral_constantIbLb0EES1B_IbLb1EEEEDaS17_S18_EUlS17_E_NS1_11comp_targetILNS1_3genE3ELNS1_11target_archE908ELNS1_3gpuE7ELNS1_3repE0EEENS1_30default_config_static_selectorELNS0_4arch9wavefront6targetE1EEEvT1_,"axG",@progbits,_ZN7rocprim17ROCPRIM_400000_NS6detail17trampoline_kernelINS0_14default_configENS1_25partition_config_selectorILNS1_17partition_subalgoE8ElNS0_10empty_typeEbEEZZNS1_14partition_implILS5_8ELb0ES3_jPlPS6_PKS6_NS0_5tupleIJS9_S6_EEENSD_IJSA_SA_EEENS0_18inequality_wrapperIZN2at6native12_GLOBAL__N_124unique_dim_cuda_templateIbEESt5tupleIJNSH_6TensorESM_SM_EERKSM_lbbbEUlllE0_EEPmJS6_EEE10hipError_tPvRmT3_T4_T5_T6_T7_T9_mT8_P12ihipStream_tbDpT10_ENKUlT_T0_E_clISt17integral_constantIbLb0EES1B_IbLb1EEEEDaS17_S18_EUlS17_E_NS1_11comp_targetILNS1_3genE3ELNS1_11target_archE908ELNS1_3gpuE7ELNS1_3repE0EEENS1_30default_config_static_selectorELNS0_4arch9wavefront6targetE1EEEvT1_,comdat
	.globl	_ZN7rocprim17ROCPRIM_400000_NS6detail17trampoline_kernelINS0_14default_configENS1_25partition_config_selectorILNS1_17partition_subalgoE8ElNS0_10empty_typeEbEEZZNS1_14partition_implILS5_8ELb0ES3_jPlPS6_PKS6_NS0_5tupleIJS9_S6_EEENSD_IJSA_SA_EEENS0_18inequality_wrapperIZN2at6native12_GLOBAL__N_124unique_dim_cuda_templateIbEESt5tupleIJNSH_6TensorESM_SM_EERKSM_lbbbEUlllE0_EEPmJS6_EEE10hipError_tPvRmT3_T4_T5_T6_T7_T9_mT8_P12ihipStream_tbDpT10_ENKUlT_T0_E_clISt17integral_constantIbLb0EES1B_IbLb1EEEEDaS17_S18_EUlS17_E_NS1_11comp_targetILNS1_3genE3ELNS1_11target_archE908ELNS1_3gpuE7ELNS1_3repE0EEENS1_30default_config_static_selectorELNS0_4arch9wavefront6targetE1EEEvT1_ ; -- Begin function _ZN7rocprim17ROCPRIM_400000_NS6detail17trampoline_kernelINS0_14default_configENS1_25partition_config_selectorILNS1_17partition_subalgoE8ElNS0_10empty_typeEbEEZZNS1_14partition_implILS5_8ELb0ES3_jPlPS6_PKS6_NS0_5tupleIJS9_S6_EEENSD_IJSA_SA_EEENS0_18inequality_wrapperIZN2at6native12_GLOBAL__N_124unique_dim_cuda_templateIbEESt5tupleIJNSH_6TensorESM_SM_EERKSM_lbbbEUlllE0_EEPmJS6_EEE10hipError_tPvRmT3_T4_T5_T6_T7_T9_mT8_P12ihipStream_tbDpT10_ENKUlT_T0_E_clISt17integral_constantIbLb0EES1B_IbLb1EEEEDaS17_S18_EUlS17_E_NS1_11comp_targetILNS1_3genE3ELNS1_11target_archE908ELNS1_3gpuE7ELNS1_3repE0EEENS1_30default_config_static_selectorELNS0_4arch9wavefront6targetE1EEEvT1_
	.p2align	8
	.type	_ZN7rocprim17ROCPRIM_400000_NS6detail17trampoline_kernelINS0_14default_configENS1_25partition_config_selectorILNS1_17partition_subalgoE8ElNS0_10empty_typeEbEEZZNS1_14partition_implILS5_8ELb0ES3_jPlPS6_PKS6_NS0_5tupleIJS9_S6_EEENSD_IJSA_SA_EEENS0_18inequality_wrapperIZN2at6native12_GLOBAL__N_124unique_dim_cuda_templateIbEESt5tupleIJNSH_6TensorESM_SM_EERKSM_lbbbEUlllE0_EEPmJS6_EEE10hipError_tPvRmT3_T4_T5_T6_T7_T9_mT8_P12ihipStream_tbDpT10_ENKUlT_T0_E_clISt17integral_constantIbLb0EES1B_IbLb1EEEEDaS17_S18_EUlS17_E_NS1_11comp_targetILNS1_3genE3ELNS1_11target_archE908ELNS1_3gpuE7ELNS1_3repE0EEENS1_30default_config_static_selectorELNS0_4arch9wavefront6targetE1EEEvT1_,@function
_ZN7rocprim17ROCPRIM_400000_NS6detail17trampoline_kernelINS0_14default_configENS1_25partition_config_selectorILNS1_17partition_subalgoE8ElNS0_10empty_typeEbEEZZNS1_14partition_implILS5_8ELb0ES3_jPlPS6_PKS6_NS0_5tupleIJS9_S6_EEENSD_IJSA_SA_EEENS0_18inequality_wrapperIZN2at6native12_GLOBAL__N_124unique_dim_cuda_templateIbEESt5tupleIJNSH_6TensorESM_SM_EERKSM_lbbbEUlllE0_EEPmJS6_EEE10hipError_tPvRmT3_T4_T5_T6_T7_T9_mT8_P12ihipStream_tbDpT10_ENKUlT_T0_E_clISt17integral_constantIbLb0EES1B_IbLb1EEEEDaS17_S18_EUlS17_E_NS1_11comp_targetILNS1_3genE3ELNS1_11target_archE908ELNS1_3gpuE7ELNS1_3repE0EEENS1_30default_config_static_selectorELNS0_4arch9wavefront6targetE1EEEvT1_: ; @_ZN7rocprim17ROCPRIM_400000_NS6detail17trampoline_kernelINS0_14default_configENS1_25partition_config_selectorILNS1_17partition_subalgoE8ElNS0_10empty_typeEbEEZZNS1_14partition_implILS5_8ELb0ES3_jPlPS6_PKS6_NS0_5tupleIJS9_S6_EEENSD_IJSA_SA_EEENS0_18inequality_wrapperIZN2at6native12_GLOBAL__N_124unique_dim_cuda_templateIbEESt5tupleIJNSH_6TensorESM_SM_EERKSM_lbbbEUlllE0_EEPmJS6_EEE10hipError_tPvRmT3_T4_T5_T6_T7_T9_mT8_P12ihipStream_tbDpT10_ENKUlT_T0_E_clISt17integral_constantIbLb0EES1B_IbLb1EEEEDaS17_S18_EUlS17_E_NS1_11comp_targetILNS1_3genE3ELNS1_11target_archE908ELNS1_3gpuE7ELNS1_3repE0EEENS1_30default_config_static_selectorELNS0_4arch9wavefront6targetE1EEEvT1_
; %bb.0:
	.section	.rodata,"a",@progbits
	.p2align	6, 0x0
	.amdhsa_kernel _ZN7rocprim17ROCPRIM_400000_NS6detail17trampoline_kernelINS0_14default_configENS1_25partition_config_selectorILNS1_17partition_subalgoE8ElNS0_10empty_typeEbEEZZNS1_14partition_implILS5_8ELb0ES3_jPlPS6_PKS6_NS0_5tupleIJS9_S6_EEENSD_IJSA_SA_EEENS0_18inequality_wrapperIZN2at6native12_GLOBAL__N_124unique_dim_cuda_templateIbEESt5tupleIJNSH_6TensorESM_SM_EERKSM_lbbbEUlllE0_EEPmJS6_EEE10hipError_tPvRmT3_T4_T5_T6_T7_T9_mT8_P12ihipStream_tbDpT10_ENKUlT_T0_E_clISt17integral_constantIbLb0EES1B_IbLb1EEEEDaS17_S18_EUlS17_E_NS1_11comp_targetILNS1_3genE3ELNS1_11target_archE908ELNS1_3gpuE7ELNS1_3repE0EEENS1_30default_config_static_selectorELNS0_4arch9wavefront6targetE1EEEvT1_
		.amdhsa_group_segment_fixed_size 0
		.amdhsa_private_segment_fixed_size 0
		.amdhsa_kernarg_size 136
		.amdhsa_user_sgpr_count 2
		.amdhsa_user_sgpr_dispatch_ptr 0
		.amdhsa_user_sgpr_queue_ptr 0
		.amdhsa_user_sgpr_kernarg_segment_ptr 1
		.amdhsa_user_sgpr_dispatch_id 0
		.amdhsa_user_sgpr_kernarg_preload_length 0
		.amdhsa_user_sgpr_kernarg_preload_offset 0
		.amdhsa_user_sgpr_private_segment_size 0
		.amdhsa_uses_dynamic_stack 0
		.amdhsa_enable_private_segment 0
		.amdhsa_system_sgpr_workgroup_id_x 1
		.amdhsa_system_sgpr_workgroup_id_y 0
		.amdhsa_system_sgpr_workgroup_id_z 0
		.amdhsa_system_sgpr_workgroup_info 0
		.amdhsa_system_vgpr_workitem_id 0
		.amdhsa_next_free_vgpr 1
		.amdhsa_next_free_sgpr 0
		.amdhsa_accum_offset 4
		.amdhsa_reserve_vcc 0
		.amdhsa_float_round_mode_32 0
		.amdhsa_float_round_mode_16_64 0
		.amdhsa_float_denorm_mode_32 3
		.amdhsa_float_denorm_mode_16_64 3
		.amdhsa_dx10_clamp 1
		.amdhsa_ieee_mode 1
		.amdhsa_fp16_overflow 0
		.amdhsa_tg_split 0
		.amdhsa_exception_fp_ieee_invalid_op 0
		.amdhsa_exception_fp_denorm_src 0
		.amdhsa_exception_fp_ieee_div_zero 0
		.amdhsa_exception_fp_ieee_overflow 0
		.amdhsa_exception_fp_ieee_underflow 0
		.amdhsa_exception_fp_ieee_inexact 0
		.amdhsa_exception_int_div_zero 0
	.end_amdhsa_kernel
	.section	.text._ZN7rocprim17ROCPRIM_400000_NS6detail17trampoline_kernelINS0_14default_configENS1_25partition_config_selectorILNS1_17partition_subalgoE8ElNS0_10empty_typeEbEEZZNS1_14partition_implILS5_8ELb0ES3_jPlPS6_PKS6_NS0_5tupleIJS9_S6_EEENSD_IJSA_SA_EEENS0_18inequality_wrapperIZN2at6native12_GLOBAL__N_124unique_dim_cuda_templateIbEESt5tupleIJNSH_6TensorESM_SM_EERKSM_lbbbEUlllE0_EEPmJS6_EEE10hipError_tPvRmT3_T4_T5_T6_T7_T9_mT8_P12ihipStream_tbDpT10_ENKUlT_T0_E_clISt17integral_constantIbLb0EES1B_IbLb1EEEEDaS17_S18_EUlS17_E_NS1_11comp_targetILNS1_3genE3ELNS1_11target_archE908ELNS1_3gpuE7ELNS1_3repE0EEENS1_30default_config_static_selectorELNS0_4arch9wavefront6targetE1EEEvT1_,"axG",@progbits,_ZN7rocprim17ROCPRIM_400000_NS6detail17trampoline_kernelINS0_14default_configENS1_25partition_config_selectorILNS1_17partition_subalgoE8ElNS0_10empty_typeEbEEZZNS1_14partition_implILS5_8ELb0ES3_jPlPS6_PKS6_NS0_5tupleIJS9_S6_EEENSD_IJSA_SA_EEENS0_18inequality_wrapperIZN2at6native12_GLOBAL__N_124unique_dim_cuda_templateIbEESt5tupleIJNSH_6TensorESM_SM_EERKSM_lbbbEUlllE0_EEPmJS6_EEE10hipError_tPvRmT3_T4_T5_T6_T7_T9_mT8_P12ihipStream_tbDpT10_ENKUlT_T0_E_clISt17integral_constantIbLb0EES1B_IbLb1EEEEDaS17_S18_EUlS17_E_NS1_11comp_targetILNS1_3genE3ELNS1_11target_archE908ELNS1_3gpuE7ELNS1_3repE0EEENS1_30default_config_static_selectorELNS0_4arch9wavefront6targetE1EEEvT1_,comdat
.Lfunc_end1086:
	.size	_ZN7rocprim17ROCPRIM_400000_NS6detail17trampoline_kernelINS0_14default_configENS1_25partition_config_selectorILNS1_17partition_subalgoE8ElNS0_10empty_typeEbEEZZNS1_14partition_implILS5_8ELb0ES3_jPlPS6_PKS6_NS0_5tupleIJS9_S6_EEENSD_IJSA_SA_EEENS0_18inequality_wrapperIZN2at6native12_GLOBAL__N_124unique_dim_cuda_templateIbEESt5tupleIJNSH_6TensorESM_SM_EERKSM_lbbbEUlllE0_EEPmJS6_EEE10hipError_tPvRmT3_T4_T5_T6_T7_T9_mT8_P12ihipStream_tbDpT10_ENKUlT_T0_E_clISt17integral_constantIbLb0EES1B_IbLb1EEEEDaS17_S18_EUlS17_E_NS1_11comp_targetILNS1_3genE3ELNS1_11target_archE908ELNS1_3gpuE7ELNS1_3repE0EEENS1_30default_config_static_selectorELNS0_4arch9wavefront6targetE1EEEvT1_, .Lfunc_end1086-_ZN7rocprim17ROCPRIM_400000_NS6detail17trampoline_kernelINS0_14default_configENS1_25partition_config_selectorILNS1_17partition_subalgoE8ElNS0_10empty_typeEbEEZZNS1_14partition_implILS5_8ELb0ES3_jPlPS6_PKS6_NS0_5tupleIJS9_S6_EEENSD_IJSA_SA_EEENS0_18inequality_wrapperIZN2at6native12_GLOBAL__N_124unique_dim_cuda_templateIbEESt5tupleIJNSH_6TensorESM_SM_EERKSM_lbbbEUlllE0_EEPmJS6_EEE10hipError_tPvRmT3_T4_T5_T6_T7_T9_mT8_P12ihipStream_tbDpT10_ENKUlT_T0_E_clISt17integral_constantIbLb0EES1B_IbLb1EEEEDaS17_S18_EUlS17_E_NS1_11comp_targetILNS1_3genE3ELNS1_11target_archE908ELNS1_3gpuE7ELNS1_3repE0EEENS1_30default_config_static_selectorELNS0_4arch9wavefront6targetE1EEEvT1_
                                        ; -- End function
	.section	.AMDGPU.csdata,"",@progbits
; Kernel info:
; codeLenInByte = 0
; NumSgprs: 6
; NumVgprs: 0
; NumAgprs: 0
; TotalNumVgprs: 0
; ScratchSize: 0
; MemoryBound: 0
; FloatMode: 240
; IeeeMode: 1
; LDSByteSize: 0 bytes/workgroup (compile time only)
; SGPRBlocks: 0
; VGPRBlocks: 0
; NumSGPRsForWavesPerEU: 6
; NumVGPRsForWavesPerEU: 1
; AccumOffset: 4
; Occupancy: 8
; WaveLimiterHint : 0
; COMPUTE_PGM_RSRC2:SCRATCH_EN: 0
; COMPUTE_PGM_RSRC2:USER_SGPR: 2
; COMPUTE_PGM_RSRC2:TRAP_HANDLER: 0
; COMPUTE_PGM_RSRC2:TGID_X_EN: 1
; COMPUTE_PGM_RSRC2:TGID_Y_EN: 0
; COMPUTE_PGM_RSRC2:TGID_Z_EN: 0
; COMPUTE_PGM_RSRC2:TIDIG_COMP_CNT: 0
; COMPUTE_PGM_RSRC3_GFX90A:ACCUM_OFFSET: 0
; COMPUTE_PGM_RSRC3_GFX90A:TG_SPLIT: 0
	.section	.text._ZN7rocprim17ROCPRIM_400000_NS6detail17trampoline_kernelINS0_14default_configENS1_25partition_config_selectorILNS1_17partition_subalgoE8ElNS0_10empty_typeEbEEZZNS1_14partition_implILS5_8ELb0ES3_jPlPS6_PKS6_NS0_5tupleIJS9_S6_EEENSD_IJSA_SA_EEENS0_18inequality_wrapperIZN2at6native12_GLOBAL__N_124unique_dim_cuda_templateIbEESt5tupleIJNSH_6TensorESM_SM_EERKSM_lbbbEUlllE0_EEPmJS6_EEE10hipError_tPvRmT3_T4_T5_T6_T7_T9_mT8_P12ihipStream_tbDpT10_ENKUlT_T0_E_clISt17integral_constantIbLb0EES1B_IbLb1EEEEDaS17_S18_EUlS17_E_NS1_11comp_targetILNS1_3genE2ELNS1_11target_archE906ELNS1_3gpuE6ELNS1_3repE0EEENS1_30default_config_static_selectorELNS0_4arch9wavefront6targetE1EEEvT1_,"axG",@progbits,_ZN7rocprim17ROCPRIM_400000_NS6detail17trampoline_kernelINS0_14default_configENS1_25partition_config_selectorILNS1_17partition_subalgoE8ElNS0_10empty_typeEbEEZZNS1_14partition_implILS5_8ELb0ES3_jPlPS6_PKS6_NS0_5tupleIJS9_S6_EEENSD_IJSA_SA_EEENS0_18inequality_wrapperIZN2at6native12_GLOBAL__N_124unique_dim_cuda_templateIbEESt5tupleIJNSH_6TensorESM_SM_EERKSM_lbbbEUlllE0_EEPmJS6_EEE10hipError_tPvRmT3_T4_T5_T6_T7_T9_mT8_P12ihipStream_tbDpT10_ENKUlT_T0_E_clISt17integral_constantIbLb0EES1B_IbLb1EEEEDaS17_S18_EUlS17_E_NS1_11comp_targetILNS1_3genE2ELNS1_11target_archE906ELNS1_3gpuE6ELNS1_3repE0EEENS1_30default_config_static_selectorELNS0_4arch9wavefront6targetE1EEEvT1_,comdat
	.globl	_ZN7rocprim17ROCPRIM_400000_NS6detail17trampoline_kernelINS0_14default_configENS1_25partition_config_selectorILNS1_17partition_subalgoE8ElNS0_10empty_typeEbEEZZNS1_14partition_implILS5_8ELb0ES3_jPlPS6_PKS6_NS0_5tupleIJS9_S6_EEENSD_IJSA_SA_EEENS0_18inequality_wrapperIZN2at6native12_GLOBAL__N_124unique_dim_cuda_templateIbEESt5tupleIJNSH_6TensorESM_SM_EERKSM_lbbbEUlllE0_EEPmJS6_EEE10hipError_tPvRmT3_T4_T5_T6_T7_T9_mT8_P12ihipStream_tbDpT10_ENKUlT_T0_E_clISt17integral_constantIbLb0EES1B_IbLb1EEEEDaS17_S18_EUlS17_E_NS1_11comp_targetILNS1_3genE2ELNS1_11target_archE906ELNS1_3gpuE6ELNS1_3repE0EEENS1_30default_config_static_selectorELNS0_4arch9wavefront6targetE1EEEvT1_ ; -- Begin function _ZN7rocprim17ROCPRIM_400000_NS6detail17trampoline_kernelINS0_14default_configENS1_25partition_config_selectorILNS1_17partition_subalgoE8ElNS0_10empty_typeEbEEZZNS1_14partition_implILS5_8ELb0ES3_jPlPS6_PKS6_NS0_5tupleIJS9_S6_EEENSD_IJSA_SA_EEENS0_18inequality_wrapperIZN2at6native12_GLOBAL__N_124unique_dim_cuda_templateIbEESt5tupleIJNSH_6TensorESM_SM_EERKSM_lbbbEUlllE0_EEPmJS6_EEE10hipError_tPvRmT3_T4_T5_T6_T7_T9_mT8_P12ihipStream_tbDpT10_ENKUlT_T0_E_clISt17integral_constantIbLb0EES1B_IbLb1EEEEDaS17_S18_EUlS17_E_NS1_11comp_targetILNS1_3genE2ELNS1_11target_archE906ELNS1_3gpuE6ELNS1_3repE0EEENS1_30default_config_static_selectorELNS0_4arch9wavefront6targetE1EEEvT1_
	.p2align	8
	.type	_ZN7rocprim17ROCPRIM_400000_NS6detail17trampoline_kernelINS0_14default_configENS1_25partition_config_selectorILNS1_17partition_subalgoE8ElNS0_10empty_typeEbEEZZNS1_14partition_implILS5_8ELb0ES3_jPlPS6_PKS6_NS0_5tupleIJS9_S6_EEENSD_IJSA_SA_EEENS0_18inequality_wrapperIZN2at6native12_GLOBAL__N_124unique_dim_cuda_templateIbEESt5tupleIJNSH_6TensorESM_SM_EERKSM_lbbbEUlllE0_EEPmJS6_EEE10hipError_tPvRmT3_T4_T5_T6_T7_T9_mT8_P12ihipStream_tbDpT10_ENKUlT_T0_E_clISt17integral_constantIbLb0EES1B_IbLb1EEEEDaS17_S18_EUlS17_E_NS1_11comp_targetILNS1_3genE2ELNS1_11target_archE906ELNS1_3gpuE6ELNS1_3repE0EEENS1_30default_config_static_selectorELNS0_4arch9wavefront6targetE1EEEvT1_,@function
_ZN7rocprim17ROCPRIM_400000_NS6detail17trampoline_kernelINS0_14default_configENS1_25partition_config_selectorILNS1_17partition_subalgoE8ElNS0_10empty_typeEbEEZZNS1_14partition_implILS5_8ELb0ES3_jPlPS6_PKS6_NS0_5tupleIJS9_S6_EEENSD_IJSA_SA_EEENS0_18inequality_wrapperIZN2at6native12_GLOBAL__N_124unique_dim_cuda_templateIbEESt5tupleIJNSH_6TensorESM_SM_EERKSM_lbbbEUlllE0_EEPmJS6_EEE10hipError_tPvRmT3_T4_T5_T6_T7_T9_mT8_P12ihipStream_tbDpT10_ENKUlT_T0_E_clISt17integral_constantIbLb0EES1B_IbLb1EEEEDaS17_S18_EUlS17_E_NS1_11comp_targetILNS1_3genE2ELNS1_11target_archE906ELNS1_3gpuE6ELNS1_3repE0EEENS1_30default_config_static_selectorELNS0_4arch9wavefront6targetE1EEEvT1_: ; @_ZN7rocprim17ROCPRIM_400000_NS6detail17trampoline_kernelINS0_14default_configENS1_25partition_config_selectorILNS1_17partition_subalgoE8ElNS0_10empty_typeEbEEZZNS1_14partition_implILS5_8ELb0ES3_jPlPS6_PKS6_NS0_5tupleIJS9_S6_EEENSD_IJSA_SA_EEENS0_18inequality_wrapperIZN2at6native12_GLOBAL__N_124unique_dim_cuda_templateIbEESt5tupleIJNSH_6TensorESM_SM_EERKSM_lbbbEUlllE0_EEPmJS6_EEE10hipError_tPvRmT3_T4_T5_T6_T7_T9_mT8_P12ihipStream_tbDpT10_ENKUlT_T0_E_clISt17integral_constantIbLb0EES1B_IbLb1EEEEDaS17_S18_EUlS17_E_NS1_11comp_targetILNS1_3genE2ELNS1_11target_archE906ELNS1_3gpuE6ELNS1_3repE0EEENS1_30default_config_static_selectorELNS0_4arch9wavefront6targetE1EEEvT1_
; %bb.0:
	.section	.rodata,"a",@progbits
	.p2align	6, 0x0
	.amdhsa_kernel _ZN7rocprim17ROCPRIM_400000_NS6detail17trampoline_kernelINS0_14default_configENS1_25partition_config_selectorILNS1_17partition_subalgoE8ElNS0_10empty_typeEbEEZZNS1_14partition_implILS5_8ELb0ES3_jPlPS6_PKS6_NS0_5tupleIJS9_S6_EEENSD_IJSA_SA_EEENS0_18inequality_wrapperIZN2at6native12_GLOBAL__N_124unique_dim_cuda_templateIbEESt5tupleIJNSH_6TensorESM_SM_EERKSM_lbbbEUlllE0_EEPmJS6_EEE10hipError_tPvRmT3_T4_T5_T6_T7_T9_mT8_P12ihipStream_tbDpT10_ENKUlT_T0_E_clISt17integral_constantIbLb0EES1B_IbLb1EEEEDaS17_S18_EUlS17_E_NS1_11comp_targetILNS1_3genE2ELNS1_11target_archE906ELNS1_3gpuE6ELNS1_3repE0EEENS1_30default_config_static_selectorELNS0_4arch9wavefront6targetE1EEEvT1_
		.amdhsa_group_segment_fixed_size 0
		.amdhsa_private_segment_fixed_size 0
		.amdhsa_kernarg_size 136
		.amdhsa_user_sgpr_count 2
		.amdhsa_user_sgpr_dispatch_ptr 0
		.amdhsa_user_sgpr_queue_ptr 0
		.amdhsa_user_sgpr_kernarg_segment_ptr 1
		.amdhsa_user_sgpr_dispatch_id 0
		.amdhsa_user_sgpr_kernarg_preload_length 0
		.amdhsa_user_sgpr_kernarg_preload_offset 0
		.amdhsa_user_sgpr_private_segment_size 0
		.amdhsa_uses_dynamic_stack 0
		.amdhsa_enable_private_segment 0
		.amdhsa_system_sgpr_workgroup_id_x 1
		.amdhsa_system_sgpr_workgroup_id_y 0
		.amdhsa_system_sgpr_workgroup_id_z 0
		.amdhsa_system_sgpr_workgroup_info 0
		.amdhsa_system_vgpr_workitem_id 0
		.amdhsa_next_free_vgpr 1
		.amdhsa_next_free_sgpr 0
		.amdhsa_accum_offset 4
		.amdhsa_reserve_vcc 0
		.amdhsa_float_round_mode_32 0
		.amdhsa_float_round_mode_16_64 0
		.amdhsa_float_denorm_mode_32 3
		.amdhsa_float_denorm_mode_16_64 3
		.amdhsa_dx10_clamp 1
		.amdhsa_ieee_mode 1
		.amdhsa_fp16_overflow 0
		.amdhsa_tg_split 0
		.amdhsa_exception_fp_ieee_invalid_op 0
		.amdhsa_exception_fp_denorm_src 0
		.amdhsa_exception_fp_ieee_div_zero 0
		.amdhsa_exception_fp_ieee_overflow 0
		.amdhsa_exception_fp_ieee_underflow 0
		.amdhsa_exception_fp_ieee_inexact 0
		.amdhsa_exception_int_div_zero 0
	.end_amdhsa_kernel
	.section	.text._ZN7rocprim17ROCPRIM_400000_NS6detail17trampoline_kernelINS0_14default_configENS1_25partition_config_selectorILNS1_17partition_subalgoE8ElNS0_10empty_typeEbEEZZNS1_14partition_implILS5_8ELb0ES3_jPlPS6_PKS6_NS0_5tupleIJS9_S6_EEENSD_IJSA_SA_EEENS0_18inequality_wrapperIZN2at6native12_GLOBAL__N_124unique_dim_cuda_templateIbEESt5tupleIJNSH_6TensorESM_SM_EERKSM_lbbbEUlllE0_EEPmJS6_EEE10hipError_tPvRmT3_T4_T5_T6_T7_T9_mT8_P12ihipStream_tbDpT10_ENKUlT_T0_E_clISt17integral_constantIbLb0EES1B_IbLb1EEEEDaS17_S18_EUlS17_E_NS1_11comp_targetILNS1_3genE2ELNS1_11target_archE906ELNS1_3gpuE6ELNS1_3repE0EEENS1_30default_config_static_selectorELNS0_4arch9wavefront6targetE1EEEvT1_,"axG",@progbits,_ZN7rocprim17ROCPRIM_400000_NS6detail17trampoline_kernelINS0_14default_configENS1_25partition_config_selectorILNS1_17partition_subalgoE8ElNS0_10empty_typeEbEEZZNS1_14partition_implILS5_8ELb0ES3_jPlPS6_PKS6_NS0_5tupleIJS9_S6_EEENSD_IJSA_SA_EEENS0_18inequality_wrapperIZN2at6native12_GLOBAL__N_124unique_dim_cuda_templateIbEESt5tupleIJNSH_6TensorESM_SM_EERKSM_lbbbEUlllE0_EEPmJS6_EEE10hipError_tPvRmT3_T4_T5_T6_T7_T9_mT8_P12ihipStream_tbDpT10_ENKUlT_T0_E_clISt17integral_constantIbLb0EES1B_IbLb1EEEEDaS17_S18_EUlS17_E_NS1_11comp_targetILNS1_3genE2ELNS1_11target_archE906ELNS1_3gpuE6ELNS1_3repE0EEENS1_30default_config_static_selectorELNS0_4arch9wavefront6targetE1EEEvT1_,comdat
.Lfunc_end1087:
	.size	_ZN7rocprim17ROCPRIM_400000_NS6detail17trampoline_kernelINS0_14default_configENS1_25partition_config_selectorILNS1_17partition_subalgoE8ElNS0_10empty_typeEbEEZZNS1_14partition_implILS5_8ELb0ES3_jPlPS6_PKS6_NS0_5tupleIJS9_S6_EEENSD_IJSA_SA_EEENS0_18inequality_wrapperIZN2at6native12_GLOBAL__N_124unique_dim_cuda_templateIbEESt5tupleIJNSH_6TensorESM_SM_EERKSM_lbbbEUlllE0_EEPmJS6_EEE10hipError_tPvRmT3_T4_T5_T6_T7_T9_mT8_P12ihipStream_tbDpT10_ENKUlT_T0_E_clISt17integral_constantIbLb0EES1B_IbLb1EEEEDaS17_S18_EUlS17_E_NS1_11comp_targetILNS1_3genE2ELNS1_11target_archE906ELNS1_3gpuE6ELNS1_3repE0EEENS1_30default_config_static_selectorELNS0_4arch9wavefront6targetE1EEEvT1_, .Lfunc_end1087-_ZN7rocprim17ROCPRIM_400000_NS6detail17trampoline_kernelINS0_14default_configENS1_25partition_config_selectorILNS1_17partition_subalgoE8ElNS0_10empty_typeEbEEZZNS1_14partition_implILS5_8ELb0ES3_jPlPS6_PKS6_NS0_5tupleIJS9_S6_EEENSD_IJSA_SA_EEENS0_18inequality_wrapperIZN2at6native12_GLOBAL__N_124unique_dim_cuda_templateIbEESt5tupleIJNSH_6TensorESM_SM_EERKSM_lbbbEUlllE0_EEPmJS6_EEE10hipError_tPvRmT3_T4_T5_T6_T7_T9_mT8_P12ihipStream_tbDpT10_ENKUlT_T0_E_clISt17integral_constantIbLb0EES1B_IbLb1EEEEDaS17_S18_EUlS17_E_NS1_11comp_targetILNS1_3genE2ELNS1_11target_archE906ELNS1_3gpuE6ELNS1_3repE0EEENS1_30default_config_static_selectorELNS0_4arch9wavefront6targetE1EEEvT1_
                                        ; -- End function
	.section	.AMDGPU.csdata,"",@progbits
; Kernel info:
; codeLenInByte = 0
; NumSgprs: 6
; NumVgprs: 0
; NumAgprs: 0
; TotalNumVgprs: 0
; ScratchSize: 0
; MemoryBound: 0
; FloatMode: 240
; IeeeMode: 1
; LDSByteSize: 0 bytes/workgroup (compile time only)
; SGPRBlocks: 0
; VGPRBlocks: 0
; NumSGPRsForWavesPerEU: 6
; NumVGPRsForWavesPerEU: 1
; AccumOffset: 4
; Occupancy: 8
; WaveLimiterHint : 0
; COMPUTE_PGM_RSRC2:SCRATCH_EN: 0
; COMPUTE_PGM_RSRC2:USER_SGPR: 2
; COMPUTE_PGM_RSRC2:TRAP_HANDLER: 0
; COMPUTE_PGM_RSRC2:TGID_X_EN: 1
; COMPUTE_PGM_RSRC2:TGID_Y_EN: 0
; COMPUTE_PGM_RSRC2:TGID_Z_EN: 0
; COMPUTE_PGM_RSRC2:TIDIG_COMP_CNT: 0
; COMPUTE_PGM_RSRC3_GFX90A:ACCUM_OFFSET: 0
; COMPUTE_PGM_RSRC3_GFX90A:TG_SPLIT: 0
	.section	.text._ZN7rocprim17ROCPRIM_400000_NS6detail17trampoline_kernelINS0_14default_configENS1_25partition_config_selectorILNS1_17partition_subalgoE8ElNS0_10empty_typeEbEEZZNS1_14partition_implILS5_8ELb0ES3_jPlPS6_PKS6_NS0_5tupleIJS9_S6_EEENSD_IJSA_SA_EEENS0_18inequality_wrapperIZN2at6native12_GLOBAL__N_124unique_dim_cuda_templateIbEESt5tupleIJNSH_6TensorESM_SM_EERKSM_lbbbEUlllE0_EEPmJS6_EEE10hipError_tPvRmT3_T4_T5_T6_T7_T9_mT8_P12ihipStream_tbDpT10_ENKUlT_T0_E_clISt17integral_constantIbLb0EES1B_IbLb1EEEEDaS17_S18_EUlS17_E_NS1_11comp_targetILNS1_3genE10ELNS1_11target_archE1200ELNS1_3gpuE4ELNS1_3repE0EEENS1_30default_config_static_selectorELNS0_4arch9wavefront6targetE1EEEvT1_,"axG",@progbits,_ZN7rocprim17ROCPRIM_400000_NS6detail17trampoline_kernelINS0_14default_configENS1_25partition_config_selectorILNS1_17partition_subalgoE8ElNS0_10empty_typeEbEEZZNS1_14partition_implILS5_8ELb0ES3_jPlPS6_PKS6_NS0_5tupleIJS9_S6_EEENSD_IJSA_SA_EEENS0_18inequality_wrapperIZN2at6native12_GLOBAL__N_124unique_dim_cuda_templateIbEESt5tupleIJNSH_6TensorESM_SM_EERKSM_lbbbEUlllE0_EEPmJS6_EEE10hipError_tPvRmT3_T4_T5_T6_T7_T9_mT8_P12ihipStream_tbDpT10_ENKUlT_T0_E_clISt17integral_constantIbLb0EES1B_IbLb1EEEEDaS17_S18_EUlS17_E_NS1_11comp_targetILNS1_3genE10ELNS1_11target_archE1200ELNS1_3gpuE4ELNS1_3repE0EEENS1_30default_config_static_selectorELNS0_4arch9wavefront6targetE1EEEvT1_,comdat
	.globl	_ZN7rocprim17ROCPRIM_400000_NS6detail17trampoline_kernelINS0_14default_configENS1_25partition_config_selectorILNS1_17partition_subalgoE8ElNS0_10empty_typeEbEEZZNS1_14partition_implILS5_8ELb0ES3_jPlPS6_PKS6_NS0_5tupleIJS9_S6_EEENSD_IJSA_SA_EEENS0_18inequality_wrapperIZN2at6native12_GLOBAL__N_124unique_dim_cuda_templateIbEESt5tupleIJNSH_6TensorESM_SM_EERKSM_lbbbEUlllE0_EEPmJS6_EEE10hipError_tPvRmT3_T4_T5_T6_T7_T9_mT8_P12ihipStream_tbDpT10_ENKUlT_T0_E_clISt17integral_constantIbLb0EES1B_IbLb1EEEEDaS17_S18_EUlS17_E_NS1_11comp_targetILNS1_3genE10ELNS1_11target_archE1200ELNS1_3gpuE4ELNS1_3repE0EEENS1_30default_config_static_selectorELNS0_4arch9wavefront6targetE1EEEvT1_ ; -- Begin function _ZN7rocprim17ROCPRIM_400000_NS6detail17trampoline_kernelINS0_14default_configENS1_25partition_config_selectorILNS1_17partition_subalgoE8ElNS0_10empty_typeEbEEZZNS1_14partition_implILS5_8ELb0ES3_jPlPS6_PKS6_NS0_5tupleIJS9_S6_EEENSD_IJSA_SA_EEENS0_18inequality_wrapperIZN2at6native12_GLOBAL__N_124unique_dim_cuda_templateIbEESt5tupleIJNSH_6TensorESM_SM_EERKSM_lbbbEUlllE0_EEPmJS6_EEE10hipError_tPvRmT3_T4_T5_T6_T7_T9_mT8_P12ihipStream_tbDpT10_ENKUlT_T0_E_clISt17integral_constantIbLb0EES1B_IbLb1EEEEDaS17_S18_EUlS17_E_NS1_11comp_targetILNS1_3genE10ELNS1_11target_archE1200ELNS1_3gpuE4ELNS1_3repE0EEENS1_30default_config_static_selectorELNS0_4arch9wavefront6targetE1EEEvT1_
	.p2align	8
	.type	_ZN7rocprim17ROCPRIM_400000_NS6detail17trampoline_kernelINS0_14default_configENS1_25partition_config_selectorILNS1_17partition_subalgoE8ElNS0_10empty_typeEbEEZZNS1_14partition_implILS5_8ELb0ES3_jPlPS6_PKS6_NS0_5tupleIJS9_S6_EEENSD_IJSA_SA_EEENS0_18inequality_wrapperIZN2at6native12_GLOBAL__N_124unique_dim_cuda_templateIbEESt5tupleIJNSH_6TensorESM_SM_EERKSM_lbbbEUlllE0_EEPmJS6_EEE10hipError_tPvRmT3_T4_T5_T6_T7_T9_mT8_P12ihipStream_tbDpT10_ENKUlT_T0_E_clISt17integral_constantIbLb0EES1B_IbLb1EEEEDaS17_S18_EUlS17_E_NS1_11comp_targetILNS1_3genE10ELNS1_11target_archE1200ELNS1_3gpuE4ELNS1_3repE0EEENS1_30default_config_static_selectorELNS0_4arch9wavefront6targetE1EEEvT1_,@function
_ZN7rocprim17ROCPRIM_400000_NS6detail17trampoline_kernelINS0_14default_configENS1_25partition_config_selectorILNS1_17partition_subalgoE8ElNS0_10empty_typeEbEEZZNS1_14partition_implILS5_8ELb0ES3_jPlPS6_PKS6_NS0_5tupleIJS9_S6_EEENSD_IJSA_SA_EEENS0_18inequality_wrapperIZN2at6native12_GLOBAL__N_124unique_dim_cuda_templateIbEESt5tupleIJNSH_6TensorESM_SM_EERKSM_lbbbEUlllE0_EEPmJS6_EEE10hipError_tPvRmT3_T4_T5_T6_T7_T9_mT8_P12ihipStream_tbDpT10_ENKUlT_T0_E_clISt17integral_constantIbLb0EES1B_IbLb1EEEEDaS17_S18_EUlS17_E_NS1_11comp_targetILNS1_3genE10ELNS1_11target_archE1200ELNS1_3gpuE4ELNS1_3repE0EEENS1_30default_config_static_selectorELNS0_4arch9wavefront6targetE1EEEvT1_: ; @_ZN7rocprim17ROCPRIM_400000_NS6detail17trampoline_kernelINS0_14default_configENS1_25partition_config_selectorILNS1_17partition_subalgoE8ElNS0_10empty_typeEbEEZZNS1_14partition_implILS5_8ELb0ES3_jPlPS6_PKS6_NS0_5tupleIJS9_S6_EEENSD_IJSA_SA_EEENS0_18inequality_wrapperIZN2at6native12_GLOBAL__N_124unique_dim_cuda_templateIbEESt5tupleIJNSH_6TensorESM_SM_EERKSM_lbbbEUlllE0_EEPmJS6_EEE10hipError_tPvRmT3_T4_T5_T6_T7_T9_mT8_P12ihipStream_tbDpT10_ENKUlT_T0_E_clISt17integral_constantIbLb0EES1B_IbLb1EEEEDaS17_S18_EUlS17_E_NS1_11comp_targetILNS1_3genE10ELNS1_11target_archE1200ELNS1_3gpuE4ELNS1_3repE0EEENS1_30default_config_static_selectorELNS0_4arch9wavefront6targetE1EEEvT1_
; %bb.0:
	.section	.rodata,"a",@progbits
	.p2align	6, 0x0
	.amdhsa_kernel _ZN7rocprim17ROCPRIM_400000_NS6detail17trampoline_kernelINS0_14default_configENS1_25partition_config_selectorILNS1_17partition_subalgoE8ElNS0_10empty_typeEbEEZZNS1_14partition_implILS5_8ELb0ES3_jPlPS6_PKS6_NS0_5tupleIJS9_S6_EEENSD_IJSA_SA_EEENS0_18inequality_wrapperIZN2at6native12_GLOBAL__N_124unique_dim_cuda_templateIbEESt5tupleIJNSH_6TensorESM_SM_EERKSM_lbbbEUlllE0_EEPmJS6_EEE10hipError_tPvRmT3_T4_T5_T6_T7_T9_mT8_P12ihipStream_tbDpT10_ENKUlT_T0_E_clISt17integral_constantIbLb0EES1B_IbLb1EEEEDaS17_S18_EUlS17_E_NS1_11comp_targetILNS1_3genE10ELNS1_11target_archE1200ELNS1_3gpuE4ELNS1_3repE0EEENS1_30default_config_static_selectorELNS0_4arch9wavefront6targetE1EEEvT1_
		.amdhsa_group_segment_fixed_size 0
		.amdhsa_private_segment_fixed_size 0
		.amdhsa_kernarg_size 136
		.amdhsa_user_sgpr_count 2
		.amdhsa_user_sgpr_dispatch_ptr 0
		.amdhsa_user_sgpr_queue_ptr 0
		.amdhsa_user_sgpr_kernarg_segment_ptr 1
		.amdhsa_user_sgpr_dispatch_id 0
		.amdhsa_user_sgpr_kernarg_preload_length 0
		.amdhsa_user_sgpr_kernarg_preload_offset 0
		.amdhsa_user_sgpr_private_segment_size 0
		.amdhsa_uses_dynamic_stack 0
		.amdhsa_enable_private_segment 0
		.amdhsa_system_sgpr_workgroup_id_x 1
		.amdhsa_system_sgpr_workgroup_id_y 0
		.amdhsa_system_sgpr_workgroup_id_z 0
		.amdhsa_system_sgpr_workgroup_info 0
		.amdhsa_system_vgpr_workitem_id 0
		.amdhsa_next_free_vgpr 1
		.amdhsa_next_free_sgpr 0
		.amdhsa_accum_offset 4
		.amdhsa_reserve_vcc 0
		.amdhsa_float_round_mode_32 0
		.amdhsa_float_round_mode_16_64 0
		.amdhsa_float_denorm_mode_32 3
		.amdhsa_float_denorm_mode_16_64 3
		.amdhsa_dx10_clamp 1
		.amdhsa_ieee_mode 1
		.amdhsa_fp16_overflow 0
		.amdhsa_tg_split 0
		.amdhsa_exception_fp_ieee_invalid_op 0
		.amdhsa_exception_fp_denorm_src 0
		.amdhsa_exception_fp_ieee_div_zero 0
		.amdhsa_exception_fp_ieee_overflow 0
		.amdhsa_exception_fp_ieee_underflow 0
		.amdhsa_exception_fp_ieee_inexact 0
		.amdhsa_exception_int_div_zero 0
	.end_amdhsa_kernel
	.section	.text._ZN7rocprim17ROCPRIM_400000_NS6detail17trampoline_kernelINS0_14default_configENS1_25partition_config_selectorILNS1_17partition_subalgoE8ElNS0_10empty_typeEbEEZZNS1_14partition_implILS5_8ELb0ES3_jPlPS6_PKS6_NS0_5tupleIJS9_S6_EEENSD_IJSA_SA_EEENS0_18inequality_wrapperIZN2at6native12_GLOBAL__N_124unique_dim_cuda_templateIbEESt5tupleIJNSH_6TensorESM_SM_EERKSM_lbbbEUlllE0_EEPmJS6_EEE10hipError_tPvRmT3_T4_T5_T6_T7_T9_mT8_P12ihipStream_tbDpT10_ENKUlT_T0_E_clISt17integral_constantIbLb0EES1B_IbLb1EEEEDaS17_S18_EUlS17_E_NS1_11comp_targetILNS1_3genE10ELNS1_11target_archE1200ELNS1_3gpuE4ELNS1_3repE0EEENS1_30default_config_static_selectorELNS0_4arch9wavefront6targetE1EEEvT1_,"axG",@progbits,_ZN7rocprim17ROCPRIM_400000_NS6detail17trampoline_kernelINS0_14default_configENS1_25partition_config_selectorILNS1_17partition_subalgoE8ElNS0_10empty_typeEbEEZZNS1_14partition_implILS5_8ELb0ES3_jPlPS6_PKS6_NS0_5tupleIJS9_S6_EEENSD_IJSA_SA_EEENS0_18inequality_wrapperIZN2at6native12_GLOBAL__N_124unique_dim_cuda_templateIbEESt5tupleIJNSH_6TensorESM_SM_EERKSM_lbbbEUlllE0_EEPmJS6_EEE10hipError_tPvRmT3_T4_T5_T6_T7_T9_mT8_P12ihipStream_tbDpT10_ENKUlT_T0_E_clISt17integral_constantIbLb0EES1B_IbLb1EEEEDaS17_S18_EUlS17_E_NS1_11comp_targetILNS1_3genE10ELNS1_11target_archE1200ELNS1_3gpuE4ELNS1_3repE0EEENS1_30default_config_static_selectorELNS0_4arch9wavefront6targetE1EEEvT1_,comdat
.Lfunc_end1088:
	.size	_ZN7rocprim17ROCPRIM_400000_NS6detail17trampoline_kernelINS0_14default_configENS1_25partition_config_selectorILNS1_17partition_subalgoE8ElNS0_10empty_typeEbEEZZNS1_14partition_implILS5_8ELb0ES3_jPlPS6_PKS6_NS0_5tupleIJS9_S6_EEENSD_IJSA_SA_EEENS0_18inequality_wrapperIZN2at6native12_GLOBAL__N_124unique_dim_cuda_templateIbEESt5tupleIJNSH_6TensorESM_SM_EERKSM_lbbbEUlllE0_EEPmJS6_EEE10hipError_tPvRmT3_T4_T5_T6_T7_T9_mT8_P12ihipStream_tbDpT10_ENKUlT_T0_E_clISt17integral_constantIbLb0EES1B_IbLb1EEEEDaS17_S18_EUlS17_E_NS1_11comp_targetILNS1_3genE10ELNS1_11target_archE1200ELNS1_3gpuE4ELNS1_3repE0EEENS1_30default_config_static_selectorELNS0_4arch9wavefront6targetE1EEEvT1_, .Lfunc_end1088-_ZN7rocprim17ROCPRIM_400000_NS6detail17trampoline_kernelINS0_14default_configENS1_25partition_config_selectorILNS1_17partition_subalgoE8ElNS0_10empty_typeEbEEZZNS1_14partition_implILS5_8ELb0ES3_jPlPS6_PKS6_NS0_5tupleIJS9_S6_EEENSD_IJSA_SA_EEENS0_18inequality_wrapperIZN2at6native12_GLOBAL__N_124unique_dim_cuda_templateIbEESt5tupleIJNSH_6TensorESM_SM_EERKSM_lbbbEUlllE0_EEPmJS6_EEE10hipError_tPvRmT3_T4_T5_T6_T7_T9_mT8_P12ihipStream_tbDpT10_ENKUlT_T0_E_clISt17integral_constantIbLb0EES1B_IbLb1EEEEDaS17_S18_EUlS17_E_NS1_11comp_targetILNS1_3genE10ELNS1_11target_archE1200ELNS1_3gpuE4ELNS1_3repE0EEENS1_30default_config_static_selectorELNS0_4arch9wavefront6targetE1EEEvT1_
                                        ; -- End function
	.section	.AMDGPU.csdata,"",@progbits
; Kernel info:
; codeLenInByte = 0
; NumSgprs: 6
; NumVgprs: 0
; NumAgprs: 0
; TotalNumVgprs: 0
; ScratchSize: 0
; MemoryBound: 0
; FloatMode: 240
; IeeeMode: 1
; LDSByteSize: 0 bytes/workgroup (compile time only)
; SGPRBlocks: 0
; VGPRBlocks: 0
; NumSGPRsForWavesPerEU: 6
; NumVGPRsForWavesPerEU: 1
; AccumOffset: 4
; Occupancy: 8
; WaveLimiterHint : 0
; COMPUTE_PGM_RSRC2:SCRATCH_EN: 0
; COMPUTE_PGM_RSRC2:USER_SGPR: 2
; COMPUTE_PGM_RSRC2:TRAP_HANDLER: 0
; COMPUTE_PGM_RSRC2:TGID_X_EN: 1
; COMPUTE_PGM_RSRC2:TGID_Y_EN: 0
; COMPUTE_PGM_RSRC2:TGID_Z_EN: 0
; COMPUTE_PGM_RSRC2:TIDIG_COMP_CNT: 0
; COMPUTE_PGM_RSRC3_GFX90A:ACCUM_OFFSET: 0
; COMPUTE_PGM_RSRC3_GFX90A:TG_SPLIT: 0
	.section	.text._ZN7rocprim17ROCPRIM_400000_NS6detail17trampoline_kernelINS0_14default_configENS1_25partition_config_selectorILNS1_17partition_subalgoE8ElNS0_10empty_typeEbEEZZNS1_14partition_implILS5_8ELb0ES3_jPlPS6_PKS6_NS0_5tupleIJS9_S6_EEENSD_IJSA_SA_EEENS0_18inequality_wrapperIZN2at6native12_GLOBAL__N_124unique_dim_cuda_templateIbEESt5tupleIJNSH_6TensorESM_SM_EERKSM_lbbbEUlllE0_EEPmJS6_EEE10hipError_tPvRmT3_T4_T5_T6_T7_T9_mT8_P12ihipStream_tbDpT10_ENKUlT_T0_E_clISt17integral_constantIbLb0EES1B_IbLb1EEEEDaS17_S18_EUlS17_E_NS1_11comp_targetILNS1_3genE9ELNS1_11target_archE1100ELNS1_3gpuE3ELNS1_3repE0EEENS1_30default_config_static_selectorELNS0_4arch9wavefront6targetE1EEEvT1_,"axG",@progbits,_ZN7rocprim17ROCPRIM_400000_NS6detail17trampoline_kernelINS0_14default_configENS1_25partition_config_selectorILNS1_17partition_subalgoE8ElNS0_10empty_typeEbEEZZNS1_14partition_implILS5_8ELb0ES3_jPlPS6_PKS6_NS0_5tupleIJS9_S6_EEENSD_IJSA_SA_EEENS0_18inequality_wrapperIZN2at6native12_GLOBAL__N_124unique_dim_cuda_templateIbEESt5tupleIJNSH_6TensorESM_SM_EERKSM_lbbbEUlllE0_EEPmJS6_EEE10hipError_tPvRmT3_T4_T5_T6_T7_T9_mT8_P12ihipStream_tbDpT10_ENKUlT_T0_E_clISt17integral_constantIbLb0EES1B_IbLb1EEEEDaS17_S18_EUlS17_E_NS1_11comp_targetILNS1_3genE9ELNS1_11target_archE1100ELNS1_3gpuE3ELNS1_3repE0EEENS1_30default_config_static_selectorELNS0_4arch9wavefront6targetE1EEEvT1_,comdat
	.globl	_ZN7rocprim17ROCPRIM_400000_NS6detail17trampoline_kernelINS0_14default_configENS1_25partition_config_selectorILNS1_17partition_subalgoE8ElNS0_10empty_typeEbEEZZNS1_14partition_implILS5_8ELb0ES3_jPlPS6_PKS6_NS0_5tupleIJS9_S6_EEENSD_IJSA_SA_EEENS0_18inequality_wrapperIZN2at6native12_GLOBAL__N_124unique_dim_cuda_templateIbEESt5tupleIJNSH_6TensorESM_SM_EERKSM_lbbbEUlllE0_EEPmJS6_EEE10hipError_tPvRmT3_T4_T5_T6_T7_T9_mT8_P12ihipStream_tbDpT10_ENKUlT_T0_E_clISt17integral_constantIbLb0EES1B_IbLb1EEEEDaS17_S18_EUlS17_E_NS1_11comp_targetILNS1_3genE9ELNS1_11target_archE1100ELNS1_3gpuE3ELNS1_3repE0EEENS1_30default_config_static_selectorELNS0_4arch9wavefront6targetE1EEEvT1_ ; -- Begin function _ZN7rocprim17ROCPRIM_400000_NS6detail17trampoline_kernelINS0_14default_configENS1_25partition_config_selectorILNS1_17partition_subalgoE8ElNS0_10empty_typeEbEEZZNS1_14partition_implILS5_8ELb0ES3_jPlPS6_PKS6_NS0_5tupleIJS9_S6_EEENSD_IJSA_SA_EEENS0_18inequality_wrapperIZN2at6native12_GLOBAL__N_124unique_dim_cuda_templateIbEESt5tupleIJNSH_6TensorESM_SM_EERKSM_lbbbEUlllE0_EEPmJS6_EEE10hipError_tPvRmT3_T4_T5_T6_T7_T9_mT8_P12ihipStream_tbDpT10_ENKUlT_T0_E_clISt17integral_constantIbLb0EES1B_IbLb1EEEEDaS17_S18_EUlS17_E_NS1_11comp_targetILNS1_3genE9ELNS1_11target_archE1100ELNS1_3gpuE3ELNS1_3repE0EEENS1_30default_config_static_selectorELNS0_4arch9wavefront6targetE1EEEvT1_
	.p2align	8
	.type	_ZN7rocprim17ROCPRIM_400000_NS6detail17trampoline_kernelINS0_14default_configENS1_25partition_config_selectorILNS1_17partition_subalgoE8ElNS0_10empty_typeEbEEZZNS1_14partition_implILS5_8ELb0ES3_jPlPS6_PKS6_NS0_5tupleIJS9_S6_EEENSD_IJSA_SA_EEENS0_18inequality_wrapperIZN2at6native12_GLOBAL__N_124unique_dim_cuda_templateIbEESt5tupleIJNSH_6TensorESM_SM_EERKSM_lbbbEUlllE0_EEPmJS6_EEE10hipError_tPvRmT3_T4_T5_T6_T7_T9_mT8_P12ihipStream_tbDpT10_ENKUlT_T0_E_clISt17integral_constantIbLb0EES1B_IbLb1EEEEDaS17_S18_EUlS17_E_NS1_11comp_targetILNS1_3genE9ELNS1_11target_archE1100ELNS1_3gpuE3ELNS1_3repE0EEENS1_30default_config_static_selectorELNS0_4arch9wavefront6targetE1EEEvT1_,@function
_ZN7rocprim17ROCPRIM_400000_NS6detail17trampoline_kernelINS0_14default_configENS1_25partition_config_selectorILNS1_17partition_subalgoE8ElNS0_10empty_typeEbEEZZNS1_14partition_implILS5_8ELb0ES3_jPlPS6_PKS6_NS0_5tupleIJS9_S6_EEENSD_IJSA_SA_EEENS0_18inequality_wrapperIZN2at6native12_GLOBAL__N_124unique_dim_cuda_templateIbEESt5tupleIJNSH_6TensorESM_SM_EERKSM_lbbbEUlllE0_EEPmJS6_EEE10hipError_tPvRmT3_T4_T5_T6_T7_T9_mT8_P12ihipStream_tbDpT10_ENKUlT_T0_E_clISt17integral_constantIbLb0EES1B_IbLb1EEEEDaS17_S18_EUlS17_E_NS1_11comp_targetILNS1_3genE9ELNS1_11target_archE1100ELNS1_3gpuE3ELNS1_3repE0EEENS1_30default_config_static_selectorELNS0_4arch9wavefront6targetE1EEEvT1_: ; @_ZN7rocprim17ROCPRIM_400000_NS6detail17trampoline_kernelINS0_14default_configENS1_25partition_config_selectorILNS1_17partition_subalgoE8ElNS0_10empty_typeEbEEZZNS1_14partition_implILS5_8ELb0ES3_jPlPS6_PKS6_NS0_5tupleIJS9_S6_EEENSD_IJSA_SA_EEENS0_18inequality_wrapperIZN2at6native12_GLOBAL__N_124unique_dim_cuda_templateIbEESt5tupleIJNSH_6TensorESM_SM_EERKSM_lbbbEUlllE0_EEPmJS6_EEE10hipError_tPvRmT3_T4_T5_T6_T7_T9_mT8_P12ihipStream_tbDpT10_ENKUlT_T0_E_clISt17integral_constantIbLb0EES1B_IbLb1EEEEDaS17_S18_EUlS17_E_NS1_11comp_targetILNS1_3genE9ELNS1_11target_archE1100ELNS1_3gpuE3ELNS1_3repE0EEENS1_30default_config_static_selectorELNS0_4arch9wavefront6targetE1EEEvT1_
; %bb.0:
	.section	.rodata,"a",@progbits
	.p2align	6, 0x0
	.amdhsa_kernel _ZN7rocprim17ROCPRIM_400000_NS6detail17trampoline_kernelINS0_14default_configENS1_25partition_config_selectorILNS1_17partition_subalgoE8ElNS0_10empty_typeEbEEZZNS1_14partition_implILS5_8ELb0ES3_jPlPS6_PKS6_NS0_5tupleIJS9_S6_EEENSD_IJSA_SA_EEENS0_18inequality_wrapperIZN2at6native12_GLOBAL__N_124unique_dim_cuda_templateIbEESt5tupleIJNSH_6TensorESM_SM_EERKSM_lbbbEUlllE0_EEPmJS6_EEE10hipError_tPvRmT3_T4_T5_T6_T7_T9_mT8_P12ihipStream_tbDpT10_ENKUlT_T0_E_clISt17integral_constantIbLb0EES1B_IbLb1EEEEDaS17_S18_EUlS17_E_NS1_11comp_targetILNS1_3genE9ELNS1_11target_archE1100ELNS1_3gpuE3ELNS1_3repE0EEENS1_30default_config_static_selectorELNS0_4arch9wavefront6targetE1EEEvT1_
		.amdhsa_group_segment_fixed_size 0
		.amdhsa_private_segment_fixed_size 0
		.amdhsa_kernarg_size 136
		.amdhsa_user_sgpr_count 2
		.amdhsa_user_sgpr_dispatch_ptr 0
		.amdhsa_user_sgpr_queue_ptr 0
		.amdhsa_user_sgpr_kernarg_segment_ptr 1
		.amdhsa_user_sgpr_dispatch_id 0
		.amdhsa_user_sgpr_kernarg_preload_length 0
		.amdhsa_user_sgpr_kernarg_preload_offset 0
		.amdhsa_user_sgpr_private_segment_size 0
		.amdhsa_uses_dynamic_stack 0
		.amdhsa_enable_private_segment 0
		.amdhsa_system_sgpr_workgroup_id_x 1
		.amdhsa_system_sgpr_workgroup_id_y 0
		.amdhsa_system_sgpr_workgroup_id_z 0
		.amdhsa_system_sgpr_workgroup_info 0
		.amdhsa_system_vgpr_workitem_id 0
		.amdhsa_next_free_vgpr 1
		.amdhsa_next_free_sgpr 0
		.amdhsa_accum_offset 4
		.amdhsa_reserve_vcc 0
		.amdhsa_float_round_mode_32 0
		.amdhsa_float_round_mode_16_64 0
		.amdhsa_float_denorm_mode_32 3
		.amdhsa_float_denorm_mode_16_64 3
		.amdhsa_dx10_clamp 1
		.amdhsa_ieee_mode 1
		.amdhsa_fp16_overflow 0
		.amdhsa_tg_split 0
		.amdhsa_exception_fp_ieee_invalid_op 0
		.amdhsa_exception_fp_denorm_src 0
		.amdhsa_exception_fp_ieee_div_zero 0
		.amdhsa_exception_fp_ieee_overflow 0
		.amdhsa_exception_fp_ieee_underflow 0
		.amdhsa_exception_fp_ieee_inexact 0
		.amdhsa_exception_int_div_zero 0
	.end_amdhsa_kernel
	.section	.text._ZN7rocprim17ROCPRIM_400000_NS6detail17trampoline_kernelINS0_14default_configENS1_25partition_config_selectorILNS1_17partition_subalgoE8ElNS0_10empty_typeEbEEZZNS1_14partition_implILS5_8ELb0ES3_jPlPS6_PKS6_NS0_5tupleIJS9_S6_EEENSD_IJSA_SA_EEENS0_18inequality_wrapperIZN2at6native12_GLOBAL__N_124unique_dim_cuda_templateIbEESt5tupleIJNSH_6TensorESM_SM_EERKSM_lbbbEUlllE0_EEPmJS6_EEE10hipError_tPvRmT3_T4_T5_T6_T7_T9_mT8_P12ihipStream_tbDpT10_ENKUlT_T0_E_clISt17integral_constantIbLb0EES1B_IbLb1EEEEDaS17_S18_EUlS17_E_NS1_11comp_targetILNS1_3genE9ELNS1_11target_archE1100ELNS1_3gpuE3ELNS1_3repE0EEENS1_30default_config_static_selectorELNS0_4arch9wavefront6targetE1EEEvT1_,"axG",@progbits,_ZN7rocprim17ROCPRIM_400000_NS6detail17trampoline_kernelINS0_14default_configENS1_25partition_config_selectorILNS1_17partition_subalgoE8ElNS0_10empty_typeEbEEZZNS1_14partition_implILS5_8ELb0ES3_jPlPS6_PKS6_NS0_5tupleIJS9_S6_EEENSD_IJSA_SA_EEENS0_18inequality_wrapperIZN2at6native12_GLOBAL__N_124unique_dim_cuda_templateIbEESt5tupleIJNSH_6TensorESM_SM_EERKSM_lbbbEUlllE0_EEPmJS6_EEE10hipError_tPvRmT3_T4_T5_T6_T7_T9_mT8_P12ihipStream_tbDpT10_ENKUlT_T0_E_clISt17integral_constantIbLb0EES1B_IbLb1EEEEDaS17_S18_EUlS17_E_NS1_11comp_targetILNS1_3genE9ELNS1_11target_archE1100ELNS1_3gpuE3ELNS1_3repE0EEENS1_30default_config_static_selectorELNS0_4arch9wavefront6targetE1EEEvT1_,comdat
.Lfunc_end1089:
	.size	_ZN7rocprim17ROCPRIM_400000_NS6detail17trampoline_kernelINS0_14default_configENS1_25partition_config_selectorILNS1_17partition_subalgoE8ElNS0_10empty_typeEbEEZZNS1_14partition_implILS5_8ELb0ES3_jPlPS6_PKS6_NS0_5tupleIJS9_S6_EEENSD_IJSA_SA_EEENS0_18inequality_wrapperIZN2at6native12_GLOBAL__N_124unique_dim_cuda_templateIbEESt5tupleIJNSH_6TensorESM_SM_EERKSM_lbbbEUlllE0_EEPmJS6_EEE10hipError_tPvRmT3_T4_T5_T6_T7_T9_mT8_P12ihipStream_tbDpT10_ENKUlT_T0_E_clISt17integral_constantIbLb0EES1B_IbLb1EEEEDaS17_S18_EUlS17_E_NS1_11comp_targetILNS1_3genE9ELNS1_11target_archE1100ELNS1_3gpuE3ELNS1_3repE0EEENS1_30default_config_static_selectorELNS0_4arch9wavefront6targetE1EEEvT1_, .Lfunc_end1089-_ZN7rocprim17ROCPRIM_400000_NS6detail17trampoline_kernelINS0_14default_configENS1_25partition_config_selectorILNS1_17partition_subalgoE8ElNS0_10empty_typeEbEEZZNS1_14partition_implILS5_8ELb0ES3_jPlPS6_PKS6_NS0_5tupleIJS9_S6_EEENSD_IJSA_SA_EEENS0_18inequality_wrapperIZN2at6native12_GLOBAL__N_124unique_dim_cuda_templateIbEESt5tupleIJNSH_6TensorESM_SM_EERKSM_lbbbEUlllE0_EEPmJS6_EEE10hipError_tPvRmT3_T4_T5_T6_T7_T9_mT8_P12ihipStream_tbDpT10_ENKUlT_T0_E_clISt17integral_constantIbLb0EES1B_IbLb1EEEEDaS17_S18_EUlS17_E_NS1_11comp_targetILNS1_3genE9ELNS1_11target_archE1100ELNS1_3gpuE3ELNS1_3repE0EEENS1_30default_config_static_selectorELNS0_4arch9wavefront6targetE1EEEvT1_
                                        ; -- End function
	.section	.AMDGPU.csdata,"",@progbits
; Kernel info:
; codeLenInByte = 0
; NumSgprs: 6
; NumVgprs: 0
; NumAgprs: 0
; TotalNumVgprs: 0
; ScratchSize: 0
; MemoryBound: 0
; FloatMode: 240
; IeeeMode: 1
; LDSByteSize: 0 bytes/workgroup (compile time only)
; SGPRBlocks: 0
; VGPRBlocks: 0
; NumSGPRsForWavesPerEU: 6
; NumVGPRsForWavesPerEU: 1
; AccumOffset: 4
; Occupancy: 8
; WaveLimiterHint : 0
; COMPUTE_PGM_RSRC2:SCRATCH_EN: 0
; COMPUTE_PGM_RSRC2:USER_SGPR: 2
; COMPUTE_PGM_RSRC2:TRAP_HANDLER: 0
; COMPUTE_PGM_RSRC2:TGID_X_EN: 1
; COMPUTE_PGM_RSRC2:TGID_Y_EN: 0
; COMPUTE_PGM_RSRC2:TGID_Z_EN: 0
; COMPUTE_PGM_RSRC2:TIDIG_COMP_CNT: 0
; COMPUTE_PGM_RSRC3_GFX90A:ACCUM_OFFSET: 0
; COMPUTE_PGM_RSRC3_GFX90A:TG_SPLIT: 0
	.section	.text._ZN7rocprim17ROCPRIM_400000_NS6detail17trampoline_kernelINS0_14default_configENS1_25partition_config_selectorILNS1_17partition_subalgoE8ElNS0_10empty_typeEbEEZZNS1_14partition_implILS5_8ELb0ES3_jPlPS6_PKS6_NS0_5tupleIJS9_S6_EEENSD_IJSA_SA_EEENS0_18inequality_wrapperIZN2at6native12_GLOBAL__N_124unique_dim_cuda_templateIbEESt5tupleIJNSH_6TensorESM_SM_EERKSM_lbbbEUlllE0_EEPmJS6_EEE10hipError_tPvRmT3_T4_T5_T6_T7_T9_mT8_P12ihipStream_tbDpT10_ENKUlT_T0_E_clISt17integral_constantIbLb0EES1B_IbLb1EEEEDaS17_S18_EUlS17_E_NS1_11comp_targetILNS1_3genE8ELNS1_11target_archE1030ELNS1_3gpuE2ELNS1_3repE0EEENS1_30default_config_static_selectorELNS0_4arch9wavefront6targetE1EEEvT1_,"axG",@progbits,_ZN7rocprim17ROCPRIM_400000_NS6detail17trampoline_kernelINS0_14default_configENS1_25partition_config_selectorILNS1_17partition_subalgoE8ElNS0_10empty_typeEbEEZZNS1_14partition_implILS5_8ELb0ES3_jPlPS6_PKS6_NS0_5tupleIJS9_S6_EEENSD_IJSA_SA_EEENS0_18inequality_wrapperIZN2at6native12_GLOBAL__N_124unique_dim_cuda_templateIbEESt5tupleIJNSH_6TensorESM_SM_EERKSM_lbbbEUlllE0_EEPmJS6_EEE10hipError_tPvRmT3_T4_T5_T6_T7_T9_mT8_P12ihipStream_tbDpT10_ENKUlT_T0_E_clISt17integral_constantIbLb0EES1B_IbLb1EEEEDaS17_S18_EUlS17_E_NS1_11comp_targetILNS1_3genE8ELNS1_11target_archE1030ELNS1_3gpuE2ELNS1_3repE0EEENS1_30default_config_static_selectorELNS0_4arch9wavefront6targetE1EEEvT1_,comdat
	.globl	_ZN7rocprim17ROCPRIM_400000_NS6detail17trampoline_kernelINS0_14default_configENS1_25partition_config_selectorILNS1_17partition_subalgoE8ElNS0_10empty_typeEbEEZZNS1_14partition_implILS5_8ELb0ES3_jPlPS6_PKS6_NS0_5tupleIJS9_S6_EEENSD_IJSA_SA_EEENS0_18inequality_wrapperIZN2at6native12_GLOBAL__N_124unique_dim_cuda_templateIbEESt5tupleIJNSH_6TensorESM_SM_EERKSM_lbbbEUlllE0_EEPmJS6_EEE10hipError_tPvRmT3_T4_T5_T6_T7_T9_mT8_P12ihipStream_tbDpT10_ENKUlT_T0_E_clISt17integral_constantIbLb0EES1B_IbLb1EEEEDaS17_S18_EUlS17_E_NS1_11comp_targetILNS1_3genE8ELNS1_11target_archE1030ELNS1_3gpuE2ELNS1_3repE0EEENS1_30default_config_static_selectorELNS0_4arch9wavefront6targetE1EEEvT1_ ; -- Begin function _ZN7rocprim17ROCPRIM_400000_NS6detail17trampoline_kernelINS0_14default_configENS1_25partition_config_selectorILNS1_17partition_subalgoE8ElNS0_10empty_typeEbEEZZNS1_14partition_implILS5_8ELb0ES3_jPlPS6_PKS6_NS0_5tupleIJS9_S6_EEENSD_IJSA_SA_EEENS0_18inequality_wrapperIZN2at6native12_GLOBAL__N_124unique_dim_cuda_templateIbEESt5tupleIJNSH_6TensorESM_SM_EERKSM_lbbbEUlllE0_EEPmJS6_EEE10hipError_tPvRmT3_T4_T5_T6_T7_T9_mT8_P12ihipStream_tbDpT10_ENKUlT_T0_E_clISt17integral_constantIbLb0EES1B_IbLb1EEEEDaS17_S18_EUlS17_E_NS1_11comp_targetILNS1_3genE8ELNS1_11target_archE1030ELNS1_3gpuE2ELNS1_3repE0EEENS1_30default_config_static_selectorELNS0_4arch9wavefront6targetE1EEEvT1_
	.p2align	8
	.type	_ZN7rocprim17ROCPRIM_400000_NS6detail17trampoline_kernelINS0_14default_configENS1_25partition_config_selectorILNS1_17partition_subalgoE8ElNS0_10empty_typeEbEEZZNS1_14partition_implILS5_8ELb0ES3_jPlPS6_PKS6_NS0_5tupleIJS9_S6_EEENSD_IJSA_SA_EEENS0_18inequality_wrapperIZN2at6native12_GLOBAL__N_124unique_dim_cuda_templateIbEESt5tupleIJNSH_6TensorESM_SM_EERKSM_lbbbEUlllE0_EEPmJS6_EEE10hipError_tPvRmT3_T4_T5_T6_T7_T9_mT8_P12ihipStream_tbDpT10_ENKUlT_T0_E_clISt17integral_constantIbLb0EES1B_IbLb1EEEEDaS17_S18_EUlS17_E_NS1_11comp_targetILNS1_3genE8ELNS1_11target_archE1030ELNS1_3gpuE2ELNS1_3repE0EEENS1_30default_config_static_selectorELNS0_4arch9wavefront6targetE1EEEvT1_,@function
_ZN7rocprim17ROCPRIM_400000_NS6detail17trampoline_kernelINS0_14default_configENS1_25partition_config_selectorILNS1_17partition_subalgoE8ElNS0_10empty_typeEbEEZZNS1_14partition_implILS5_8ELb0ES3_jPlPS6_PKS6_NS0_5tupleIJS9_S6_EEENSD_IJSA_SA_EEENS0_18inequality_wrapperIZN2at6native12_GLOBAL__N_124unique_dim_cuda_templateIbEESt5tupleIJNSH_6TensorESM_SM_EERKSM_lbbbEUlllE0_EEPmJS6_EEE10hipError_tPvRmT3_T4_T5_T6_T7_T9_mT8_P12ihipStream_tbDpT10_ENKUlT_T0_E_clISt17integral_constantIbLb0EES1B_IbLb1EEEEDaS17_S18_EUlS17_E_NS1_11comp_targetILNS1_3genE8ELNS1_11target_archE1030ELNS1_3gpuE2ELNS1_3repE0EEENS1_30default_config_static_selectorELNS0_4arch9wavefront6targetE1EEEvT1_: ; @_ZN7rocprim17ROCPRIM_400000_NS6detail17trampoline_kernelINS0_14default_configENS1_25partition_config_selectorILNS1_17partition_subalgoE8ElNS0_10empty_typeEbEEZZNS1_14partition_implILS5_8ELb0ES3_jPlPS6_PKS6_NS0_5tupleIJS9_S6_EEENSD_IJSA_SA_EEENS0_18inequality_wrapperIZN2at6native12_GLOBAL__N_124unique_dim_cuda_templateIbEESt5tupleIJNSH_6TensorESM_SM_EERKSM_lbbbEUlllE0_EEPmJS6_EEE10hipError_tPvRmT3_T4_T5_T6_T7_T9_mT8_P12ihipStream_tbDpT10_ENKUlT_T0_E_clISt17integral_constantIbLb0EES1B_IbLb1EEEEDaS17_S18_EUlS17_E_NS1_11comp_targetILNS1_3genE8ELNS1_11target_archE1030ELNS1_3gpuE2ELNS1_3repE0EEENS1_30default_config_static_selectorELNS0_4arch9wavefront6targetE1EEEvT1_
; %bb.0:
	.section	.rodata,"a",@progbits
	.p2align	6, 0x0
	.amdhsa_kernel _ZN7rocprim17ROCPRIM_400000_NS6detail17trampoline_kernelINS0_14default_configENS1_25partition_config_selectorILNS1_17partition_subalgoE8ElNS0_10empty_typeEbEEZZNS1_14partition_implILS5_8ELb0ES3_jPlPS6_PKS6_NS0_5tupleIJS9_S6_EEENSD_IJSA_SA_EEENS0_18inequality_wrapperIZN2at6native12_GLOBAL__N_124unique_dim_cuda_templateIbEESt5tupleIJNSH_6TensorESM_SM_EERKSM_lbbbEUlllE0_EEPmJS6_EEE10hipError_tPvRmT3_T4_T5_T6_T7_T9_mT8_P12ihipStream_tbDpT10_ENKUlT_T0_E_clISt17integral_constantIbLb0EES1B_IbLb1EEEEDaS17_S18_EUlS17_E_NS1_11comp_targetILNS1_3genE8ELNS1_11target_archE1030ELNS1_3gpuE2ELNS1_3repE0EEENS1_30default_config_static_selectorELNS0_4arch9wavefront6targetE1EEEvT1_
		.amdhsa_group_segment_fixed_size 0
		.amdhsa_private_segment_fixed_size 0
		.amdhsa_kernarg_size 136
		.amdhsa_user_sgpr_count 2
		.amdhsa_user_sgpr_dispatch_ptr 0
		.amdhsa_user_sgpr_queue_ptr 0
		.amdhsa_user_sgpr_kernarg_segment_ptr 1
		.amdhsa_user_sgpr_dispatch_id 0
		.amdhsa_user_sgpr_kernarg_preload_length 0
		.amdhsa_user_sgpr_kernarg_preload_offset 0
		.amdhsa_user_sgpr_private_segment_size 0
		.amdhsa_uses_dynamic_stack 0
		.amdhsa_enable_private_segment 0
		.amdhsa_system_sgpr_workgroup_id_x 1
		.amdhsa_system_sgpr_workgroup_id_y 0
		.amdhsa_system_sgpr_workgroup_id_z 0
		.amdhsa_system_sgpr_workgroup_info 0
		.amdhsa_system_vgpr_workitem_id 0
		.amdhsa_next_free_vgpr 1
		.amdhsa_next_free_sgpr 0
		.amdhsa_accum_offset 4
		.amdhsa_reserve_vcc 0
		.amdhsa_float_round_mode_32 0
		.amdhsa_float_round_mode_16_64 0
		.amdhsa_float_denorm_mode_32 3
		.amdhsa_float_denorm_mode_16_64 3
		.amdhsa_dx10_clamp 1
		.amdhsa_ieee_mode 1
		.amdhsa_fp16_overflow 0
		.amdhsa_tg_split 0
		.amdhsa_exception_fp_ieee_invalid_op 0
		.amdhsa_exception_fp_denorm_src 0
		.amdhsa_exception_fp_ieee_div_zero 0
		.amdhsa_exception_fp_ieee_overflow 0
		.amdhsa_exception_fp_ieee_underflow 0
		.amdhsa_exception_fp_ieee_inexact 0
		.amdhsa_exception_int_div_zero 0
	.end_amdhsa_kernel
	.section	.text._ZN7rocprim17ROCPRIM_400000_NS6detail17trampoline_kernelINS0_14default_configENS1_25partition_config_selectorILNS1_17partition_subalgoE8ElNS0_10empty_typeEbEEZZNS1_14partition_implILS5_8ELb0ES3_jPlPS6_PKS6_NS0_5tupleIJS9_S6_EEENSD_IJSA_SA_EEENS0_18inequality_wrapperIZN2at6native12_GLOBAL__N_124unique_dim_cuda_templateIbEESt5tupleIJNSH_6TensorESM_SM_EERKSM_lbbbEUlllE0_EEPmJS6_EEE10hipError_tPvRmT3_T4_T5_T6_T7_T9_mT8_P12ihipStream_tbDpT10_ENKUlT_T0_E_clISt17integral_constantIbLb0EES1B_IbLb1EEEEDaS17_S18_EUlS17_E_NS1_11comp_targetILNS1_3genE8ELNS1_11target_archE1030ELNS1_3gpuE2ELNS1_3repE0EEENS1_30default_config_static_selectorELNS0_4arch9wavefront6targetE1EEEvT1_,"axG",@progbits,_ZN7rocprim17ROCPRIM_400000_NS6detail17trampoline_kernelINS0_14default_configENS1_25partition_config_selectorILNS1_17partition_subalgoE8ElNS0_10empty_typeEbEEZZNS1_14partition_implILS5_8ELb0ES3_jPlPS6_PKS6_NS0_5tupleIJS9_S6_EEENSD_IJSA_SA_EEENS0_18inequality_wrapperIZN2at6native12_GLOBAL__N_124unique_dim_cuda_templateIbEESt5tupleIJNSH_6TensorESM_SM_EERKSM_lbbbEUlllE0_EEPmJS6_EEE10hipError_tPvRmT3_T4_T5_T6_T7_T9_mT8_P12ihipStream_tbDpT10_ENKUlT_T0_E_clISt17integral_constantIbLb0EES1B_IbLb1EEEEDaS17_S18_EUlS17_E_NS1_11comp_targetILNS1_3genE8ELNS1_11target_archE1030ELNS1_3gpuE2ELNS1_3repE0EEENS1_30default_config_static_selectorELNS0_4arch9wavefront6targetE1EEEvT1_,comdat
.Lfunc_end1090:
	.size	_ZN7rocprim17ROCPRIM_400000_NS6detail17trampoline_kernelINS0_14default_configENS1_25partition_config_selectorILNS1_17partition_subalgoE8ElNS0_10empty_typeEbEEZZNS1_14partition_implILS5_8ELb0ES3_jPlPS6_PKS6_NS0_5tupleIJS9_S6_EEENSD_IJSA_SA_EEENS0_18inequality_wrapperIZN2at6native12_GLOBAL__N_124unique_dim_cuda_templateIbEESt5tupleIJNSH_6TensorESM_SM_EERKSM_lbbbEUlllE0_EEPmJS6_EEE10hipError_tPvRmT3_T4_T5_T6_T7_T9_mT8_P12ihipStream_tbDpT10_ENKUlT_T0_E_clISt17integral_constantIbLb0EES1B_IbLb1EEEEDaS17_S18_EUlS17_E_NS1_11comp_targetILNS1_3genE8ELNS1_11target_archE1030ELNS1_3gpuE2ELNS1_3repE0EEENS1_30default_config_static_selectorELNS0_4arch9wavefront6targetE1EEEvT1_, .Lfunc_end1090-_ZN7rocprim17ROCPRIM_400000_NS6detail17trampoline_kernelINS0_14default_configENS1_25partition_config_selectorILNS1_17partition_subalgoE8ElNS0_10empty_typeEbEEZZNS1_14partition_implILS5_8ELb0ES3_jPlPS6_PKS6_NS0_5tupleIJS9_S6_EEENSD_IJSA_SA_EEENS0_18inequality_wrapperIZN2at6native12_GLOBAL__N_124unique_dim_cuda_templateIbEESt5tupleIJNSH_6TensorESM_SM_EERKSM_lbbbEUlllE0_EEPmJS6_EEE10hipError_tPvRmT3_T4_T5_T6_T7_T9_mT8_P12ihipStream_tbDpT10_ENKUlT_T0_E_clISt17integral_constantIbLb0EES1B_IbLb1EEEEDaS17_S18_EUlS17_E_NS1_11comp_targetILNS1_3genE8ELNS1_11target_archE1030ELNS1_3gpuE2ELNS1_3repE0EEENS1_30default_config_static_selectorELNS0_4arch9wavefront6targetE1EEEvT1_
                                        ; -- End function
	.section	.AMDGPU.csdata,"",@progbits
; Kernel info:
; codeLenInByte = 0
; NumSgprs: 6
; NumVgprs: 0
; NumAgprs: 0
; TotalNumVgprs: 0
; ScratchSize: 0
; MemoryBound: 0
; FloatMode: 240
; IeeeMode: 1
; LDSByteSize: 0 bytes/workgroup (compile time only)
; SGPRBlocks: 0
; VGPRBlocks: 0
; NumSGPRsForWavesPerEU: 6
; NumVGPRsForWavesPerEU: 1
; AccumOffset: 4
; Occupancy: 8
; WaveLimiterHint : 0
; COMPUTE_PGM_RSRC2:SCRATCH_EN: 0
; COMPUTE_PGM_RSRC2:USER_SGPR: 2
; COMPUTE_PGM_RSRC2:TRAP_HANDLER: 0
; COMPUTE_PGM_RSRC2:TGID_X_EN: 1
; COMPUTE_PGM_RSRC2:TGID_Y_EN: 0
; COMPUTE_PGM_RSRC2:TGID_Z_EN: 0
; COMPUTE_PGM_RSRC2:TIDIG_COMP_CNT: 0
; COMPUTE_PGM_RSRC3_GFX90A:ACCUM_OFFSET: 0
; COMPUTE_PGM_RSRC3_GFX90A:TG_SPLIT: 0
	.section	.text._ZN7rocprim17ROCPRIM_400000_NS6detail17trampoline_kernelINS0_14default_configENS1_25partition_config_selectorILNS1_17partition_subalgoE9EllbEEZZNS1_14partition_implILS5_9ELb0ES3_jPlS8_PNS0_10empty_typeENS0_5tupleIJS8_S9_EEENSB_IJS8_SA_EEENS0_18inequality_wrapperIZN2at6native12_GLOBAL__N_124unique_dim_cuda_templateIbEESt5tupleIJNSF_6TensorESK_SK_EERKSK_lbbbEUlllE0_EEPmJS9_EEE10hipError_tPvRmT3_T4_T5_T6_T7_T9_mT8_P12ihipStream_tbDpT10_ENKUlT_T0_E_clISt17integral_constantIbLb0EES1A_EEDaS15_S16_EUlS15_E_NS1_11comp_targetILNS1_3genE0ELNS1_11target_archE4294967295ELNS1_3gpuE0ELNS1_3repE0EEENS1_30default_config_static_selectorELNS0_4arch9wavefront6targetE1EEEvT1_,"axG",@progbits,_ZN7rocprim17ROCPRIM_400000_NS6detail17trampoline_kernelINS0_14default_configENS1_25partition_config_selectorILNS1_17partition_subalgoE9EllbEEZZNS1_14partition_implILS5_9ELb0ES3_jPlS8_PNS0_10empty_typeENS0_5tupleIJS8_S9_EEENSB_IJS8_SA_EEENS0_18inequality_wrapperIZN2at6native12_GLOBAL__N_124unique_dim_cuda_templateIbEESt5tupleIJNSF_6TensorESK_SK_EERKSK_lbbbEUlllE0_EEPmJS9_EEE10hipError_tPvRmT3_T4_T5_T6_T7_T9_mT8_P12ihipStream_tbDpT10_ENKUlT_T0_E_clISt17integral_constantIbLb0EES1A_EEDaS15_S16_EUlS15_E_NS1_11comp_targetILNS1_3genE0ELNS1_11target_archE4294967295ELNS1_3gpuE0ELNS1_3repE0EEENS1_30default_config_static_selectorELNS0_4arch9wavefront6targetE1EEEvT1_,comdat
	.globl	_ZN7rocprim17ROCPRIM_400000_NS6detail17trampoline_kernelINS0_14default_configENS1_25partition_config_selectorILNS1_17partition_subalgoE9EllbEEZZNS1_14partition_implILS5_9ELb0ES3_jPlS8_PNS0_10empty_typeENS0_5tupleIJS8_S9_EEENSB_IJS8_SA_EEENS0_18inequality_wrapperIZN2at6native12_GLOBAL__N_124unique_dim_cuda_templateIbEESt5tupleIJNSF_6TensorESK_SK_EERKSK_lbbbEUlllE0_EEPmJS9_EEE10hipError_tPvRmT3_T4_T5_T6_T7_T9_mT8_P12ihipStream_tbDpT10_ENKUlT_T0_E_clISt17integral_constantIbLb0EES1A_EEDaS15_S16_EUlS15_E_NS1_11comp_targetILNS1_3genE0ELNS1_11target_archE4294967295ELNS1_3gpuE0ELNS1_3repE0EEENS1_30default_config_static_selectorELNS0_4arch9wavefront6targetE1EEEvT1_ ; -- Begin function _ZN7rocprim17ROCPRIM_400000_NS6detail17trampoline_kernelINS0_14default_configENS1_25partition_config_selectorILNS1_17partition_subalgoE9EllbEEZZNS1_14partition_implILS5_9ELb0ES3_jPlS8_PNS0_10empty_typeENS0_5tupleIJS8_S9_EEENSB_IJS8_SA_EEENS0_18inequality_wrapperIZN2at6native12_GLOBAL__N_124unique_dim_cuda_templateIbEESt5tupleIJNSF_6TensorESK_SK_EERKSK_lbbbEUlllE0_EEPmJS9_EEE10hipError_tPvRmT3_T4_T5_T6_T7_T9_mT8_P12ihipStream_tbDpT10_ENKUlT_T0_E_clISt17integral_constantIbLb0EES1A_EEDaS15_S16_EUlS15_E_NS1_11comp_targetILNS1_3genE0ELNS1_11target_archE4294967295ELNS1_3gpuE0ELNS1_3repE0EEENS1_30default_config_static_selectorELNS0_4arch9wavefront6targetE1EEEvT1_
	.p2align	8
	.type	_ZN7rocprim17ROCPRIM_400000_NS6detail17trampoline_kernelINS0_14default_configENS1_25partition_config_selectorILNS1_17partition_subalgoE9EllbEEZZNS1_14partition_implILS5_9ELb0ES3_jPlS8_PNS0_10empty_typeENS0_5tupleIJS8_S9_EEENSB_IJS8_SA_EEENS0_18inequality_wrapperIZN2at6native12_GLOBAL__N_124unique_dim_cuda_templateIbEESt5tupleIJNSF_6TensorESK_SK_EERKSK_lbbbEUlllE0_EEPmJS9_EEE10hipError_tPvRmT3_T4_T5_T6_T7_T9_mT8_P12ihipStream_tbDpT10_ENKUlT_T0_E_clISt17integral_constantIbLb0EES1A_EEDaS15_S16_EUlS15_E_NS1_11comp_targetILNS1_3genE0ELNS1_11target_archE4294967295ELNS1_3gpuE0ELNS1_3repE0EEENS1_30default_config_static_selectorELNS0_4arch9wavefront6targetE1EEEvT1_,@function
_ZN7rocprim17ROCPRIM_400000_NS6detail17trampoline_kernelINS0_14default_configENS1_25partition_config_selectorILNS1_17partition_subalgoE9EllbEEZZNS1_14partition_implILS5_9ELb0ES3_jPlS8_PNS0_10empty_typeENS0_5tupleIJS8_S9_EEENSB_IJS8_SA_EEENS0_18inequality_wrapperIZN2at6native12_GLOBAL__N_124unique_dim_cuda_templateIbEESt5tupleIJNSF_6TensorESK_SK_EERKSK_lbbbEUlllE0_EEPmJS9_EEE10hipError_tPvRmT3_T4_T5_T6_T7_T9_mT8_P12ihipStream_tbDpT10_ENKUlT_T0_E_clISt17integral_constantIbLb0EES1A_EEDaS15_S16_EUlS15_E_NS1_11comp_targetILNS1_3genE0ELNS1_11target_archE4294967295ELNS1_3gpuE0ELNS1_3repE0EEENS1_30default_config_static_selectorELNS0_4arch9wavefront6targetE1EEEvT1_: ; @_ZN7rocprim17ROCPRIM_400000_NS6detail17trampoline_kernelINS0_14default_configENS1_25partition_config_selectorILNS1_17partition_subalgoE9EllbEEZZNS1_14partition_implILS5_9ELb0ES3_jPlS8_PNS0_10empty_typeENS0_5tupleIJS8_S9_EEENSB_IJS8_SA_EEENS0_18inequality_wrapperIZN2at6native12_GLOBAL__N_124unique_dim_cuda_templateIbEESt5tupleIJNSF_6TensorESK_SK_EERKSK_lbbbEUlllE0_EEPmJS9_EEE10hipError_tPvRmT3_T4_T5_T6_T7_T9_mT8_P12ihipStream_tbDpT10_ENKUlT_T0_E_clISt17integral_constantIbLb0EES1A_EEDaS15_S16_EUlS15_E_NS1_11comp_targetILNS1_3genE0ELNS1_11target_archE4294967295ELNS1_3gpuE0ELNS1_3repE0EEENS1_30default_config_static_selectorELNS0_4arch9wavefront6targetE1EEEvT1_
; %bb.0:
	.section	.rodata,"a",@progbits
	.p2align	6, 0x0
	.amdhsa_kernel _ZN7rocprim17ROCPRIM_400000_NS6detail17trampoline_kernelINS0_14default_configENS1_25partition_config_selectorILNS1_17partition_subalgoE9EllbEEZZNS1_14partition_implILS5_9ELb0ES3_jPlS8_PNS0_10empty_typeENS0_5tupleIJS8_S9_EEENSB_IJS8_SA_EEENS0_18inequality_wrapperIZN2at6native12_GLOBAL__N_124unique_dim_cuda_templateIbEESt5tupleIJNSF_6TensorESK_SK_EERKSK_lbbbEUlllE0_EEPmJS9_EEE10hipError_tPvRmT3_T4_T5_T6_T7_T9_mT8_P12ihipStream_tbDpT10_ENKUlT_T0_E_clISt17integral_constantIbLb0EES1A_EEDaS15_S16_EUlS15_E_NS1_11comp_targetILNS1_3genE0ELNS1_11target_archE4294967295ELNS1_3gpuE0ELNS1_3repE0EEENS1_30default_config_static_selectorELNS0_4arch9wavefront6targetE1EEEvT1_
		.amdhsa_group_segment_fixed_size 0
		.amdhsa_private_segment_fixed_size 0
		.amdhsa_kernarg_size 120
		.amdhsa_user_sgpr_count 2
		.amdhsa_user_sgpr_dispatch_ptr 0
		.amdhsa_user_sgpr_queue_ptr 0
		.amdhsa_user_sgpr_kernarg_segment_ptr 1
		.amdhsa_user_sgpr_dispatch_id 0
		.amdhsa_user_sgpr_kernarg_preload_length 0
		.amdhsa_user_sgpr_kernarg_preload_offset 0
		.amdhsa_user_sgpr_private_segment_size 0
		.amdhsa_uses_dynamic_stack 0
		.amdhsa_enable_private_segment 0
		.amdhsa_system_sgpr_workgroup_id_x 1
		.amdhsa_system_sgpr_workgroup_id_y 0
		.amdhsa_system_sgpr_workgroup_id_z 0
		.amdhsa_system_sgpr_workgroup_info 0
		.amdhsa_system_vgpr_workitem_id 0
		.amdhsa_next_free_vgpr 1
		.amdhsa_next_free_sgpr 0
		.amdhsa_accum_offset 4
		.amdhsa_reserve_vcc 0
		.amdhsa_float_round_mode_32 0
		.amdhsa_float_round_mode_16_64 0
		.amdhsa_float_denorm_mode_32 3
		.amdhsa_float_denorm_mode_16_64 3
		.amdhsa_dx10_clamp 1
		.amdhsa_ieee_mode 1
		.amdhsa_fp16_overflow 0
		.amdhsa_tg_split 0
		.amdhsa_exception_fp_ieee_invalid_op 0
		.amdhsa_exception_fp_denorm_src 0
		.amdhsa_exception_fp_ieee_div_zero 0
		.amdhsa_exception_fp_ieee_overflow 0
		.amdhsa_exception_fp_ieee_underflow 0
		.amdhsa_exception_fp_ieee_inexact 0
		.amdhsa_exception_int_div_zero 0
	.end_amdhsa_kernel
	.section	.text._ZN7rocprim17ROCPRIM_400000_NS6detail17trampoline_kernelINS0_14default_configENS1_25partition_config_selectorILNS1_17partition_subalgoE9EllbEEZZNS1_14partition_implILS5_9ELb0ES3_jPlS8_PNS0_10empty_typeENS0_5tupleIJS8_S9_EEENSB_IJS8_SA_EEENS0_18inequality_wrapperIZN2at6native12_GLOBAL__N_124unique_dim_cuda_templateIbEESt5tupleIJNSF_6TensorESK_SK_EERKSK_lbbbEUlllE0_EEPmJS9_EEE10hipError_tPvRmT3_T4_T5_T6_T7_T9_mT8_P12ihipStream_tbDpT10_ENKUlT_T0_E_clISt17integral_constantIbLb0EES1A_EEDaS15_S16_EUlS15_E_NS1_11comp_targetILNS1_3genE0ELNS1_11target_archE4294967295ELNS1_3gpuE0ELNS1_3repE0EEENS1_30default_config_static_selectorELNS0_4arch9wavefront6targetE1EEEvT1_,"axG",@progbits,_ZN7rocprim17ROCPRIM_400000_NS6detail17trampoline_kernelINS0_14default_configENS1_25partition_config_selectorILNS1_17partition_subalgoE9EllbEEZZNS1_14partition_implILS5_9ELb0ES3_jPlS8_PNS0_10empty_typeENS0_5tupleIJS8_S9_EEENSB_IJS8_SA_EEENS0_18inequality_wrapperIZN2at6native12_GLOBAL__N_124unique_dim_cuda_templateIbEESt5tupleIJNSF_6TensorESK_SK_EERKSK_lbbbEUlllE0_EEPmJS9_EEE10hipError_tPvRmT3_T4_T5_T6_T7_T9_mT8_P12ihipStream_tbDpT10_ENKUlT_T0_E_clISt17integral_constantIbLb0EES1A_EEDaS15_S16_EUlS15_E_NS1_11comp_targetILNS1_3genE0ELNS1_11target_archE4294967295ELNS1_3gpuE0ELNS1_3repE0EEENS1_30default_config_static_selectorELNS0_4arch9wavefront6targetE1EEEvT1_,comdat
.Lfunc_end1091:
	.size	_ZN7rocprim17ROCPRIM_400000_NS6detail17trampoline_kernelINS0_14default_configENS1_25partition_config_selectorILNS1_17partition_subalgoE9EllbEEZZNS1_14partition_implILS5_9ELb0ES3_jPlS8_PNS0_10empty_typeENS0_5tupleIJS8_S9_EEENSB_IJS8_SA_EEENS0_18inequality_wrapperIZN2at6native12_GLOBAL__N_124unique_dim_cuda_templateIbEESt5tupleIJNSF_6TensorESK_SK_EERKSK_lbbbEUlllE0_EEPmJS9_EEE10hipError_tPvRmT3_T4_T5_T6_T7_T9_mT8_P12ihipStream_tbDpT10_ENKUlT_T0_E_clISt17integral_constantIbLb0EES1A_EEDaS15_S16_EUlS15_E_NS1_11comp_targetILNS1_3genE0ELNS1_11target_archE4294967295ELNS1_3gpuE0ELNS1_3repE0EEENS1_30default_config_static_selectorELNS0_4arch9wavefront6targetE1EEEvT1_, .Lfunc_end1091-_ZN7rocprim17ROCPRIM_400000_NS6detail17trampoline_kernelINS0_14default_configENS1_25partition_config_selectorILNS1_17partition_subalgoE9EllbEEZZNS1_14partition_implILS5_9ELb0ES3_jPlS8_PNS0_10empty_typeENS0_5tupleIJS8_S9_EEENSB_IJS8_SA_EEENS0_18inequality_wrapperIZN2at6native12_GLOBAL__N_124unique_dim_cuda_templateIbEESt5tupleIJNSF_6TensorESK_SK_EERKSK_lbbbEUlllE0_EEPmJS9_EEE10hipError_tPvRmT3_T4_T5_T6_T7_T9_mT8_P12ihipStream_tbDpT10_ENKUlT_T0_E_clISt17integral_constantIbLb0EES1A_EEDaS15_S16_EUlS15_E_NS1_11comp_targetILNS1_3genE0ELNS1_11target_archE4294967295ELNS1_3gpuE0ELNS1_3repE0EEENS1_30default_config_static_selectorELNS0_4arch9wavefront6targetE1EEEvT1_
                                        ; -- End function
	.section	.AMDGPU.csdata,"",@progbits
; Kernel info:
; codeLenInByte = 0
; NumSgprs: 6
; NumVgprs: 0
; NumAgprs: 0
; TotalNumVgprs: 0
; ScratchSize: 0
; MemoryBound: 0
; FloatMode: 240
; IeeeMode: 1
; LDSByteSize: 0 bytes/workgroup (compile time only)
; SGPRBlocks: 0
; VGPRBlocks: 0
; NumSGPRsForWavesPerEU: 6
; NumVGPRsForWavesPerEU: 1
; AccumOffset: 4
; Occupancy: 8
; WaveLimiterHint : 0
; COMPUTE_PGM_RSRC2:SCRATCH_EN: 0
; COMPUTE_PGM_RSRC2:USER_SGPR: 2
; COMPUTE_PGM_RSRC2:TRAP_HANDLER: 0
; COMPUTE_PGM_RSRC2:TGID_X_EN: 1
; COMPUTE_PGM_RSRC2:TGID_Y_EN: 0
; COMPUTE_PGM_RSRC2:TGID_Z_EN: 0
; COMPUTE_PGM_RSRC2:TIDIG_COMP_CNT: 0
; COMPUTE_PGM_RSRC3_GFX90A:ACCUM_OFFSET: 0
; COMPUTE_PGM_RSRC3_GFX90A:TG_SPLIT: 0
	.section	.text._ZN7rocprim17ROCPRIM_400000_NS6detail17trampoline_kernelINS0_14default_configENS1_25partition_config_selectorILNS1_17partition_subalgoE9EllbEEZZNS1_14partition_implILS5_9ELb0ES3_jPlS8_PNS0_10empty_typeENS0_5tupleIJS8_S9_EEENSB_IJS8_SA_EEENS0_18inequality_wrapperIZN2at6native12_GLOBAL__N_124unique_dim_cuda_templateIbEESt5tupleIJNSF_6TensorESK_SK_EERKSK_lbbbEUlllE0_EEPmJS9_EEE10hipError_tPvRmT3_T4_T5_T6_T7_T9_mT8_P12ihipStream_tbDpT10_ENKUlT_T0_E_clISt17integral_constantIbLb0EES1A_EEDaS15_S16_EUlS15_E_NS1_11comp_targetILNS1_3genE5ELNS1_11target_archE942ELNS1_3gpuE9ELNS1_3repE0EEENS1_30default_config_static_selectorELNS0_4arch9wavefront6targetE1EEEvT1_,"axG",@progbits,_ZN7rocprim17ROCPRIM_400000_NS6detail17trampoline_kernelINS0_14default_configENS1_25partition_config_selectorILNS1_17partition_subalgoE9EllbEEZZNS1_14partition_implILS5_9ELb0ES3_jPlS8_PNS0_10empty_typeENS0_5tupleIJS8_S9_EEENSB_IJS8_SA_EEENS0_18inequality_wrapperIZN2at6native12_GLOBAL__N_124unique_dim_cuda_templateIbEESt5tupleIJNSF_6TensorESK_SK_EERKSK_lbbbEUlllE0_EEPmJS9_EEE10hipError_tPvRmT3_T4_T5_T6_T7_T9_mT8_P12ihipStream_tbDpT10_ENKUlT_T0_E_clISt17integral_constantIbLb0EES1A_EEDaS15_S16_EUlS15_E_NS1_11comp_targetILNS1_3genE5ELNS1_11target_archE942ELNS1_3gpuE9ELNS1_3repE0EEENS1_30default_config_static_selectorELNS0_4arch9wavefront6targetE1EEEvT1_,comdat
	.globl	_ZN7rocprim17ROCPRIM_400000_NS6detail17trampoline_kernelINS0_14default_configENS1_25partition_config_selectorILNS1_17partition_subalgoE9EllbEEZZNS1_14partition_implILS5_9ELb0ES3_jPlS8_PNS0_10empty_typeENS0_5tupleIJS8_S9_EEENSB_IJS8_SA_EEENS0_18inequality_wrapperIZN2at6native12_GLOBAL__N_124unique_dim_cuda_templateIbEESt5tupleIJNSF_6TensorESK_SK_EERKSK_lbbbEUlllE0_EEPmJS9_EEE10hipError_tPvRmT3_T4_T5_T6_T7_T9_mT8_P12ihipStream_tbDpT10_ENKUlT_T0_E_clISt17integral_constantIbLb0EES1A_EEDaS15_S16_EUlS15_E_NS1_11comp_targetILNS1_3genE5ELNS1_11target_archE942ELNS1_3gpuE9ELNS1_3repE0EEENS1_30default_config_static_selectorELNS0_4arch9wavefront6targetE1EEEvT1_ ; -- Begin function _ZN7rocprim17ROCPRIM_400000_NS6detail17trampoline_kernelINS0_14default_configENS1_25partition_config_selectorILNS1_17partition_subalgoE9EllbEEZZNS1_14partition_implILS5_9ELb0ES3_jPlS8_PNS0_10empty_typeENS0_5tupleIJS8_S9_EEENSB_IJS8_SA_EEENS0_18inequality_wrapperIZN2at6native12_GLOBAL__N_124unique_dim_cuda_templateIbEESt5tupleIJNSF_6TensorESK_SK_EERKSK_lbbbEUlllE0_EEPmJS9_EEE10hipError_tPvRmT3_T4_T5_T6_T7_T9_mT8_P12ihipStream_tbDpT10_ENKUlT_T0_E_clISt17integral_constantIbLb0EES1A_EEDaS15_S16_EUlS15_E_NS1_11comp_targetILNS1_3genE5ELNS1_11target_archE942ELNS1_3gpuE9ELNS1_3repE0EEENS1_30default_config_static_selectorELNS0_4arch9wavefront6targetE1EEEvT1_
	.p2align	8
	.type	_ZN7rocprim17ROCPRIM_400000_NS6detail17trampoline_kernelINS0_14default_configENS1_25partition_config_selectorILNS1_17partition_subalgoE9EllbEEZZNS1_14partition_implILS5_9ELb0ES3_jPlS8_PNS0_10empty_typeENS0_5tupleIJS8_S9_EEENSB_IJS8_SA_EEENS0_18inequality_wrapperIZN2at6native12_GLOBAL__N_124unique_dim_cuda_templateIbEESt5tupleIJNSF_6TensorESK_SK_EERKSK_lbbbEUlllE0_EEPmJS9_EEE10hipError_tPvRmT3_T4_T5_T6_T7_T9_mT8_P12ihipStream_tbDpT10_ENKUlT_T0_E_clISt17integral_constantIbLb0EES1A_EEDaS15_S16_EUlS15_E_NS1_11comp_targetILNS1_3genE5ELNS1_11target_archE942ELNS1_3gpuE9ELNS1_3repE0EEENS1_30default_config_static_selectorELNS0_4arch9wavefront6targetE1EEEvT1_,@function
_ZN7rocprim17ROCPRIM_400000_NS6detail17trampoline_kernelINS0_14default_configENS1_25partition_config_selectorILNS1_17partition_subalgoE9EllbEEZZNS1_14partition_implILS5_9ELb0ES3_jPlS8_PNS0_10empty_typeENS0_5tupleIJS8_S9_EEENSB_IJS8_SA_EEENS0_18inequality_wrapperIZN2at6native12_GLOBAL__N_124unique_dim_cuda_templateIbEESt5tupleIJNSF_6TensorESK_SK_EERKSK_lbbbEUlllE0_EEPmJS9_EEE10hipError_tPvRmT3_T4_T5_T6_T7_T9_mT8_P12ihipStream_tbDpT10_ENKUlT_T0_E_clISt17integral_constantIbLb0EES1A_EEDaS15_S16_EUlS15_E_NS1_11comp_targetILNS1_3genE5ELNS1_11target_archE942ELNS1_3gpuE9ELNS1_3repE0EEENS1_30default_config_static_selectorELNS0_4arch9wavefront6targetE1EEEvT1_: ; @_ZN7rocprim17ROCPRIM_400000_NS6detail17trampoline_kernelINS0_14default_configENS1_25partition_config_selectorILNS1_17partition_subalgoE9EllbEEZZNS1_14partition_implILS5_9ELb0ES3_jPlS8_PNS0_10empty_typeENS0_5tupleIJS8_S9_EEENSB_IJS8_SA_EEENS0_18inequality_wrapperIZN2at6native12_GLOBAL__N_124unique_dim_cuda_templateIbEESt5tupleIJNSF_6TensorESK_SK_EERKSK_lbbbEUlllE0_EEPmJS9_EEE10hipError_tPvRmT3_T4_T5_T6_T7_T9_mT8_P12ihipStream_tbDpT10_ENKUlT_T0_E_clISt17integral_constantIbLb0EES1A_EEDaS15_S16_EUlS15_E_NS1_11comp_targetILNS1_3genE5ELNS1_11target_archE942ELNS1_3gpuE9ELNS1_3repE0EEENS1_30default_config_static_selectorELNS0_4arch9wavefront6targetE1EEEvT1_
; %bb.0:
	s_load_dwordx8 s[20:27], s[0:1], 0x40
	s_load_dwordx4 s[4:7], s[0:1], 0x8
	s_load_dwordx2 s[12:13], s[0:1], 0x18
	s_load_dword s3, s[0:1], 0x70
	s_mul_i32 s8, s2, 0xe00
	s_waitcnt lgkmcnt(0)
	v_mov_b32_e32 v2, s24
	s_lshl_b64 s[14:15], s[6:7], 3
	s_add_u32 s18, s4, s14
	s_mul_i32 s4, s3, 0xe00
	s_addc_u32 s19, s5, s15
	s_add_i32 s10, s3, -1
	s_add_i32 s3, s4, s6
	s_sub_i32 s3, s24, s3
	s_addk_i32 s3, 0xe00
	s_add_u32 s4, s6, s4
	s_addc_u32 s5, s7, 0
	v_mov_b32_e32 v3, s25
	s_cmp_eq_u32 s2, s10
	s_load_dwordx2 s[22:23], s[22:23], 0x0
	v_cmp_ge_u64_e32 vcc, s[4:5], v[2:3]
	s_cselect_b64 s[24:25], -1, 0
	s_mov_b32 s9, 0
	s_and_b64 s[10:11], s[24:25], vcc
	s_xor_b64 s[34:35], s[10:11], -1
	s_lshl_b64 s[16:17], s[8:9], 3
	s_add_u32 s8, s18, s16
	s_mov_b64 s[4:5], -1
	s_addc_u32 s9, s19, s17
	s_and_b64 vcc, exec, s[34:35]
	s_cbranch_vccz .LBB1092_2
; %bb.1:
	v_lshlrev_b32_e32 v2, 3, v0
	v_mov_b32_e32 v3, 0
	v_lshl_add_u64 v[4:5], s[8:9], 0, v[2:3]
	v_add_co_u32_e32 v8, vcc, 0x1000, v4
	global_load_dwordx2 v[6:7], v2, s[8:9]
	s_nop 0
	v_addc_co_u32_e32 v9, vcc, 0, v5, vcc
	v_add_co_u32_e32 v10, vcc, 0x2000, v4
	s_mov_b64 s[4:5], 0
	s_nop 0
	v_addc_co_u32_e32 v11, vcc, 0, v5, vcc
	v_add_co_u32_e32 v12, vcc, 0x3000, v4
	s_nop 1
	v_addc_co_u32_e32 v13, vcc, 0, v5, vcc
	v_add_co_u32_e32 v14, vcc, 0x4000, v4
	s_nop 1
	v_addc_co_u32_e32 v15, vcc, 0, v5, vcc
	global_load_dwordx2 v[16:17], v[8:9], off
	global_load_dwordx2 v[18:19], v[10:11], off
	;; [unrolled: 1-line block ×4, first 2 shown]
	v_add_co_u32_e32 v8, vcc, 0x5000, v4
	s_nop 1
	v_addc_co_u32_e32 v9, vcc, 0, v5, vcc
	v_add_co_u32_e32 v4, vcc, 0x6000, v4
	global_load_dwordx2 v[8:9], v[8:9], off
	s_nop 0
	v_addc_co_u32_e32 v5, vcc, 0, v5, vcc
	global_load_dwordx2 v[4:5], v[4:5], off
	s_waitcnt vmcnt(5)
	ds_write2st64_b64 v2, v[6:7], v[16:17] offset1:8
	s_waitcnt vmcnt(3)
	ds_write2st64_b64 v2, v[18:19], v[20:21] offset0:16 offset1:24
	s_waitcnt vmcnt(1)
	ds_write2st64_b64 v2, v[22:23], v[8:9] offset0:32 offset1:40
	s_waitcnt vmcnt(0)
	ds_write_b64 v2, v[4:5] offset:24576
	s_waitcnt lgkmcnt(0)
	s_barrier
.LBB1092_2:
	s_load_dwordx4 s[28:31], s[0:1], 0x60
	s_andn2_b64 vcc, exec, s[4:5]
	v_cmp_gt_u32_e64 s[4:5], s3, v0
	s_cbranch_vccnz .LBB1092_18
; %bb.3:
                                        ; implicit-def: $vgpr2_vgpr3_vgpr4_vgpr5_vgpr6_vgpr7_vgpr8_vgpr9_vgpr10_vgpr11_vgpr12_vgpr13_vgpr14_vgpr15_vgpr16_vgpr17
	s_and_saveexec_b64 s[18:19], s[4:5]
	s_cbranch_execz .LBB1092_5
; %bb.4:
	v_lshlrev_b32_e32 v1, 3, v0
	global_load_dwordx2 v[2:3], v1, s[8:9]
.LBB1092_5:
	s_or_b64 exec, exec, s[18:19]
	v_or_b32_e32 v1, 0x200, v0
	v_cmp_gt_u32_e32 vcc, s3, v1
	s_and_saveexec_b64 s[4:5], vcc
	s_cbranch_execz .LBB1092_7
; %bb.6:
	v_lshlrev_b32_e32 v1, 3, v1
	global_load_dwordx2 v[4:5], v1, s[8:9]
.LBB1092_7:
	s_or_b64 exec, exec, s[4:5]
	v_or_b32_e32 v1, 0x400, v0
	v_cmp_gt_u32_e32 vcc, s3, v1
	s_and_saveexec_b64 s[4:5], vcc
	s_cbranch_execz .LBB1092_9
; %bb.8:
	v_lshlrev_b32_e32 v1, 3, v1
	global_load_dwordx2 v[6:7], v1, s[8:9]
.LBB1092_9:
	s_or_b64 exec, exec, s[4:5]
	v_or_b32_e32 v1, 0x600, v0
	v_cmp_gt_u32_e32 vcc, s3, v1
	s_and_saveexec_b64 s[4:5], vcc
	s_cbranch_execz .LBB1092_11
; %bb.10:
	v_lshlrev_b32_e32 v1, 3, v1
	global_load_dwordx2 v[8:9], v1, s[8:9]
.LBB1092_11:
	s_or_b64 exec, exec, s[4:5]
	v_or_b32_e32 v1, 0x800, v0
	v_cmp_gt_u32_e32 vcc, s3, v1
	s_and_saveexec_b64 s[4:5], vcc
	s_cbranch_execz .LBB1092_13
; %bb.12:
	v_lshlrev_b32_e32 v1, 3, v1
	global_load_dwordx2 v[10:11], v1, s[8:9]
.LBB1092_13:
	s_or_b64 exec, exec, s[4:5]
	v_or_b32_e32 v1, 0xa00, v0
	v_cmp_gt_u32_e32 vcc, s3, v1
	s_and_saveexec_b64 s[4:5], vcc
	s_cbranch_execz .LBB1092_15
; %bb.14:
	v_lshlrev_b32_e32 v1, 3, v1
	global_load_dwordx2 v[12:13], v1, s[8:9]
.LBB1092_15:
	s_or_b64 exec, exec, s[4:5]
	v_or_b32_e32 v1, 0xc00, v0
	v_cmp_gt_u32_e32 vcc, s3, v1
	s_and_saveexec_b64 s[4:5], vcc
	s_cbranch_execz .LBB1092_17
; %bb.16:
	v_lshlrev_b32_e32 v1, 3, v1
	global_load_dwordx2 v[14:15], v1, s[8:9]
.LBB1092_17:
	s_or_b64 exec, exec, s[4:5]
	v_lshlrev_b32_e32 v1, 3, v0
	s_waitcnt vmcnt(0)
	ds_write2st64_b64 v1, v[2:3], v[4:5] offset1:8
	ds_write2st64_b64 v1, v[6:7], v[8:9] offset0:16 offset1:24
	ds_write2st64_b64 v1, v[10:11], v[12:13] offset0:32 offset1:40
	ds_write_b64 v1, v[14:15] offset:24576
	s_waitcnt lgkmcnt(0)
	s_barrier
.LBB1092_18:
	v_mul_u32_u24_e32 v1, 7, v0
	v_lshlrev_b32_e32 v38, 3, v1
	s_waitcnt lgkmcnt(0)
	ds_read2_b64 v[22:25], v38 offset1:1
	ds_read2_b64 v[18:21], v38 offset0:2 offset1:3
	ds_read2_b64 v[14:17], v38 offset0:4 offset1:5
	ds_read_b64 v[28:29], v38 offset:48
	s_add_u32 s4, s12, s14
	s_addc_u32 s5, s13, s15
	s_add_u32 s4, s4, s16
	s_addc_u32 s5, s5, s17
	s_mov_b64 s[12:13], -1
	s_and_b64 vcc, exec, s[34:35]
	s_waitcnt lgkmcnt(0)
	s_barrier
	s_cbranch_vccz .LBB1092_20
; %bb.19:
	v_lshlrev_b32_e32 v2, 3, v0
	v_mov_b32_e32 v3, 0
	v_lshl_add_u64 v[4:5], s[4:5], 0, v[2:3]
	v_add_co_u32_e32 v8, vcc, 0x1000, v4
	global_load_dwordx2 v[6:7], v2, s[4:5]
	s_nop 0
	v_addc_co_u32_e32 v9, vcc, 0, v5, vcc
	v_add_co_u32_e32 v10, vcc, 0x2000, v4
	s_mov_b64 s[12:13], 0
	s_nop 0
	v_addc_co_u32_e32 v11, vcc, 0, v5, vcc
	v_add_co_u32_e32 v12, vcc, 0x3000, v4
	s_nop 1
	v_addc_co_u32_e32 v13, vcc, 0, v5, vcc
	v_add_co_u32_e32 v26, vcc, 0x4000, v4
	s_nop 1
	v_addc_co_u32_e32 v27, vcc, 0, v5, vcc
	global_load_dwordx2 v[30:31], v[8:9], off
	global_load_dwordx2 v[32:33], v[10:11], off
	;; [unrolled: 1-line block ×4, first 2 shown]
	v_add_co_u32_e32 v8, vcc, 0x5000, v4
	s_nop 1
	v_addc_co_u32_e32 v9, vcc, 0, v5, vcc
	v_add_co_u32_e32 v4, vcc, 0x6000, v4
	global_load_dwordx2 v[8:9], v[8:9], off
	s_nop 0
	v_addc_co_u32_e32 v5, vcc, 0, v5, vcc
	global_load_dwordx2 v[4:5], v[4:5], off
	s_waitcnt vmcnt(5)
	ds_write2st64_b64 v2, v[6:7], v[30:31] offset1:8
	s_waitcnt vmcnt(3)
	ds_write2st64_b64 v2, v[32:33], v[34:35] offset0:16 offset1:24
	s_waitcnt vmcnt(1)
	ds_write2st64_b64 v2, v[36:37], v[8:9] offset0:32 offset1:40
	s_waitcnt vmcnt(0)
	ds_write_b64 v2, v[4:5] offset:24576
	s_waitcnt lgkmcnt(0)
	s_barrier
.LBB1092_20:
	s_andn2_b64 vcc, exec, s[12:13]
	s_cbranch_vccnz .LBB1092_36
; %bb.21:
	v_cmp_gt_u32_e32 vcc, s3, v0
                                        ; implicit-def: $vgpr2_vgpr3
	s_and_saveexec_b64 s[12:13], vcc
	s_cbranch_execz .LBB1092_23
; %bb.22:
	v_lshlrev_b32_e32 v2, 3, v0
	global_load_dwordx2 v[2:3], v2, s[4:5]
.LBB1092_23:
	s_or_b64 exec, exec, s[12:13]
	v_or_b32_e32 v6, 0x200, v0
	v_cmp_gt_u32_e32 vcc, s3, v6
                                        ; implicit-def: $vgpr4_vgpr5
	s_and_saveexec_b64 s[12:13], vcc
	s_cbranch_execz .LBB1092_25
; %bb.24:
	v_lshlrev_b32_e32 v4, 3, v6
	global_load_dwordx2 v[4:5], v4, s[4:5]
.LBB1092_25:
	s_or_b64 exec, exec, s[12:13]
	v_or_b32_e32 v8, 0x400, v0
	v_cmp_gt_u32_e32 vcc, s3, v8
                                        ; implicit-def: $vgpr6_vgpr7
	s_and_saveexec_b64 s[12:13], vcc
	s_cbranch_execz .LBB1092_27
; %bb.26:
	v_lshlrev_b32_e32 v6, 3, v8
	global_load_dwordx2 v[6:7], v6, s[4:5]
.LBB1092_27:
	s_or_b64 exec, exec, s[12:13]
	v_or_b32_e32 v10, 0x600, v0
	v_cmp_gt_u32_e32 vcc, s3, v10
                                        ; implicit-def: $vgpr8_vgpr9
	s_and_saveexec_b64 s[12:13], vcc
	s_cbranch_execz .LBB1092_29
; %bb.28:
	v_lshlrev_b32_e32 v8, 3, v10
	global_load_dwordx2 v[8:9], v8, s[4:5]
.LBB1092_29:
	s_or_b64 exec, exec, s[12:13]
	v_or_b32_e32 v12, 0x800, v0
	v_cmp_gt_u32_e32 vcc, s3, v12
                                        ; implicit-def: $vgpr10_vgpr11
	s_and_saveexec_b64 s[12:13], vcc
	s_cbranch_execz .LBB1092_31
; %bb.30:
	v_lshlrev_b32_e32 v10, 3, v12
	global_load_dwordx2 v[10:11], v10, s[4:5]
.LBB1092_31:
	s_or_b64 exec, exec, s[12:13]
	v_or_b32_e32 v26, 0xa00, v0
	v_cmp_gt_u32_e32 vcc, s3, v26
                                        ; implicit-def: $vgpr12_vgpr13
	s_and_saveexec_b64 s[12:13], vcc
	s_cbranch_execz .LBB1092_33
; %bb.32:
	v_lshlrev_b32_e32 v12, 3, v26
	global_load_dwordx2 v[12:13], v12, s[4:5]
.LBB1092_33:
	s_or_b64 exec, exec, s[12:13]
	v_or_b32_e32 v30, 0xc00, v0
	v_cmp_gt_u32_e32 vcc, s3, v30
                                        ; implicit-def: $vgpr26_vgpr27
	s_and_saveexec_b64 s[12:13], vcc
	s_cbranch_execz .LBB1092_35
; %bb.34:
	v_lshlrev_b32_e32 v26, 3, v30
	global_load_dwordx2 v[26:27], v26, s[4:5]
.LBB1092_35:
	s_or_b64 exec, exec, s[12:13]
	s_movk_i32 s4, 0xffd0
	v_mad_i32_i24 v30, v0, s4, v38
	s_waitcnt vmcnt(0)
	ds_write2st64_b64 v30, v[2:3], v[4:5] offset1:8
	ds_write2st64_b64 v30, v[6:7], v[8:9] offset0:16 offset1:24
	ds_write2st64_b64 v30, v[10:11], v[12:13] offset0:32 offset1:40
	ds_write_b64 v30, v[26:27] offset:24576
	s_waitcnt lgkmcnt(0)
	s_barrier
.LBB1092_36:
	ds_read2_b64 v[10:13], v38 offset1:1
	ds_read2_b64 v[6:9], v38 offset0:2 offset1:3
	ds_read2_b64 v[2:5], v38 offset0:4 offset1:5
	ds_read_b64 v[26:27], v38 offset:48
	s_cmp_lg_u32 s2, 0
	s_cselect_b64 s[16:17], -1, 0
	s_cmp_lg_u64 s[6:7], 0
	s_cselect_b64 s[4:5], -1, 0
	s_or_b64 s[4:5], s[16:17], s[4:5]
	v_add_u32_e32 v43, 1, v1
	v_add_u32_e32 v40, 2, v1
	;; [unrolled: 1-line block ×6, first 2 shown]
	s_mov_b64 s[12:13], 0
	s_and_b64 vcc, exec, s[4:5]
	v_cmp_lt_i64_e64 s[14:15], s[26:27], 1
	v_cmp_gt_i64_e64 s[18:19], s[26:27], 0
	s_waitcnt lgkmcnt(0)
	s_barrier
	s_cbranch_vccz .LBB1092_45
; %bb.37:
	s_add_u32 s4, s8, -8
	s_addc_u32 s5, s9, -1
	s_load_dwordx2 s[12:13], s[4:5], 0x0
	v_lshlrev_b32_e32 v39, 3, v0
	s_mov_b64 s[6:7], 0
	s_and_b64 vcc, exec, s[34:35]
	ds_write_b64 v39, v[28:29]
	s_cbranch_vccz .LBB1092_47
; %bb.38:
	v_cndmask_b32_e64 v30, 0, 1, s[18:19]
	v_cmp_ne_u32_e64 s[4:5], 1, v30
	s_andn2_b64 vcc, exec, s[18:19]
	s_cbranch_vccnz .LBB1092_48
; %bb.39:
	v_mov_b64_e32 v[32:33], s[28:29]
	v_mad_u64_u32 v[30:31], s[6:7], v16, s26, v[32:33]
	v_mul_lo_u32 v34, v16, s27
	v_mul_lo_u32 v35, v17, s26
	v_add3_u32 v31, v35, v31, v34
	v_mad_u64_u32 v[32:33], s[6:7], v28, s26, v[32:33]
	v_mul_lo_u32 v34, v28, s27
	v_mul_lo_u32 v35, v29, s26
	v_add3_u32 v33, v35, v33, v34
	global_load_ubyte v34, v[30:31], off
	global_load_ubyte v35, v[32:33], off
	s_mov_b64 s[8:9], -1
	s_waitcnt vmcnt(1)
	v_cmp_ne_u16_e32 vcc, 0, v34
	s_waitcnt vmcnt(0)
	v_cmp_ne_u16_e64 s[6:7], 0, v35
	s_xor_b64 s[6:7], vcc, s[6:7]
	s_xor_b64 s[6:7], s[6:7], -1
	s_and_saveexec_b64 s[18:19], s[6:7]
	s_cbranch_execz .LBB1092_50
; %bb.40:
	s_mov_b64 s[40:41], 1
	s_mov_b64 s[36:37], 0
                                        ; implicit-def: $sgpr38_sgpr39
	s_branch .LBB1092_43
.LBB1092_41:                            ;   in Loop: Header=BB1092_43 Depth=1
	v_lshl_add_u64 v[34:35], v[30:31], 0, s[40:41]
	v_lshl_add_u64 v[36:37], v[32:33], 0, s[40:41]
	global_load_ubyte v46, v[34:35], off
	global_load_ubyte v47, v[36:37], off
	s_waitcnt vmcnt(1)
	v_cmp_ne_u16_e64 s[6:7], 0, v46
	s_waitcnt vmcnt(0)
	v_cmp_ne_u16_e64 s[8:9], 0, v47
	s_xor_b64 s[8:9], s[6:7], s[8:9]
	s_add_u32 s6, s40, 1
	s_addc_u32 s7, s41, 0
	s_andn2_b64 s[38:39], s[38:39], exec
	s_and_b64 s[8:9], s[8:9], exec
	s_or_b64 s[38:39], s[38:39], s[8:9]
.LBB1092_42:                            ;   in Loop: Header=BB1092_43 Depth=1
	s_and_b64 s[8:9], exec, s[38:39]
	s_or_b64 s[36:37], s[8:9], s[36:37]
	v_mov_b64_e32 v[34:35], s[40:41]
	s_mov_b64 s[40:41], s[6:7]
	s_andn2_b64 exec, exec, s[36:37]
	s_cbranch_execz .LBB1092_49
.LBB1092_43:                            ; =>This Inner Loop Header: Depth=1
	s_or_b64 s[38:39], s[38:39], exec
	s_cmp_eq_u64 s[26:27], s[40:41]
	s_cbranch_scc0 .LBB1092_41
; %bb.44:                               ;   in Loop: Header=BB1092_43 Depth=1
                                        ; implicit-def: $sgpr6_sgpr7
	s_mov_b64 s[40:41], s[26:27]
	s_branch .LBB1092_42
.LBB1092_45:
                                        ; implicit-def: $sgpr36_sgpr37
                                        ; implicit-def: $vgpr46
                                        ; implicit-def: $vgpr32
                                        ; implicit-def: $vgpr33
                                        ; implicit-def: $vgpr34
	s_branch .LBB1092_173
.LBB1092_46:
                                        ; implicit-def: $vgpr30_vgpr31
	s_branch .LBB1092_306
.LBB1092_47:
                                        ; implicit-def: $sgpr36_sgpr37
                                        ; implicit-def: $vgpr46
                                        ; implicit-def: $vgpr32
                                        ; implicit-def: $vgpr33
                                        ; implicit-def: $vgpr34
	s_cbranch_execnz .LBB1092_106
	s_branch .LBB1092_172
.LBB1092_48:
	v_mov_b32_e32 v30, 0
	s_branch .LBB1092_58
.LBB1092_49:
	s_or_b64 exec, exec, s[36:37]
	v_cmp_gt_i64_e64 s[6:7], s[26:27], v[34:35]
	s_orn2_b64 s[8:9], s[6:7], exec
.LBB1092_50:
	s_or_b64 exec, exec, s[18:19]
	v_mov_b64_e32 v[32:33], s[28:29]
	v_mad_u64_u32 v[32:33], s[6:7], v14, s26, v[32:33]
	v_mul_lo_u32 v34, v14, s27
	v_mul_lo_u32 v35, v15, s26
	v_add3_u32 v33, v35, v33, v34
	global_load_ubyte v34, v[32:33], off
	s_waitcnt vmcnt(0)
	v_cmp_ne_u16_e64 s[6:7], 0, v34
	s_xor_b64 s[18:19], vcc, s[6:7]
	s_mov_b64 s[6:7], -1
	s_xor_b64 s[36:37], s[18:19], -1
	s_and_saveexec_b64 s[18:19], s[36:37]
	s_cbranch_execz .LBB1092_57
; %bb.51:
	s_mov_b64 s[40:41], 1
	s_mov_b64 s[36:37], 0
                                        ; implicit-def: $sgpr38_sgpr39
	s_branch .LBB1092_54
.LBB1092_52:                            ;   in Loop: Header=BB1092_54 Depth=1
	v_lshl_add_u64 v[34:35], v[32:33], 0, s[40:41]
	v_lshl_add_u64 v[36:37], v[30:31], 0, s[40:41]
	global_load_ubyte v46, v[34:35], off
	global_load_ubyte v47, v[36:37], off
	s_waitcnt vmcnt(1)
	v_cmp_ne_u16_e32 vcc, 0, v46
	s_waitcnt vmcnt(0)
	v_cmp_ne_u16_e64 s[6:7], 0, v47
	s_xor_b64 s[42:43], vcc, s[6:7]
	s_add_u32 s6, s40, 1
	s_addc_u32 s7, s41, 0
	s_andn2_b64 s[38:39], s[38:39], exec
	s_and_b64 s[42:43], s[42:43], exec
	s_or_b64 s[38:39], s[38:39], s[42:43]
.LBB1092_53:                            ;   in Loop: Header=BB1092_54 Depth=1
	s_and_b64 s[42:43], exec, s[38:39]
	s_or_b64 s[36:37], s[42:43], s[36:37]
	v_mov_b64_e32 v[34:35], s[40:41]
	s_mov_b64 s[40:41], s[6:7]
	s_andn2_b64 exec, exec, s[36:37]
	s_cbranch_execz .LBB1092_56
.LBB1092_54:                            ; =>This Inner Loop Header: Depth=1
	s_or_b64 s[38:39], s[38:39], exec
	s_cmp_eq_u64 s[26:27], s[40:41]
	s_cbranch_scc0 .LBB1092_52
; %bb.55:                               ;   in Loop: Header=BB1092_54 Depth=1
                                        ; implicit-def: $sgpr6_sgpr7
	s_mov_b64 s[40:41], s[26:27]
	s_branch .LBB1092_53
.LBB1092_56:
	s_or_b64 exec, exec, s[36:37]
	v_cmp_gt_i64_e32 vcc, s[26:27], v[34:35]
	s_orn2_b64 s[6:7], vcc, exec
.LBB1092_57:
	s_or_b64 exec, exec, s[18:19]
	v_cndmask_b32_e64 v30, 0, 1, s[8:9]
.LBB1092_58:
	v_lshlrev_b16_e32 v31, 8, v0
	v_lshlrev_b16_e32 v32, 8, v0
	v_mov_b32_e32 v34, 8
	v_lshrrev_b32_sdwa v32, v34, v32 dst_sel:BYTE_1 dst_unused:UNUSED_PAD src0_sel:DWORD src1_sel:DWORD
	v_lshrrev_b32_sdwa v31, v34, v31 dst_sel:BYTE_1 dst_unused:UNUSED_PAD src0_sel:DWORD src1_sel:DWORD
	v_cndmask_b32_e64 v33, 0, 1, s[6:7]
	v_or_b32_sdwa v32, v0, v32 dst_sel:DWORD dst_unused:UNUSED_PAD src0_sel:BYTE_0 src1_sel:DWORD
	v_or_b32_sdwa v31, v0, v31 dst_sel:WORD_1 dst_unused:UNUSED_PAD src0_sel:BYTE_0 src1_sel:DWORD
	v_lshlrev_b32_e32 v30, 16, v30
	v_or_b32_sdwa v46, v32, v31 dst_sel:DWORD dst_unused:UNUSED_PAD src0_sel:WORD_0 src1_sel:DWORD
	v_lshlrev_b16_e32 v31, 8, v33
	s_and_b64 vcc, exec, s[4:5]
	v_or_b32_e32 v47, v31, v30
	s_cbranch_vccnz .LBB1092_65
; %bb.59:
	v_mov_b64_e32 v[32:33], s[28:29]
	v_mad_u64_u32 v[30:31], s[6:7], v20, s26, v[32:33]
	v_mul_lo_u32 v34, v20, s27
	v_mul_lo_u32 v35, v21, s26
	v_add3_u32 v31, v35, v31, v34
	v_mad_u64_u32 v[32:33], s[6:7], v14, s26, v[32:33]
	v_mul_lo_u32 v34, v14, s27
	v_mul_lo_u32 v35, v15, s26
	v_add3_u32 v33, v35, v33, v34
	global_load_ubyte v34, v[30:31], off
	global_load_ubyte v35, v[32:33], off
	s_waitcnt vmcnt(1)
	v_cmp_ne_u16_e32 vcc, 0, v34
	s_waitcnt vmcnt(0)
	v_cmp_ne_u16_e64 s[6:7], 0, v35
	s_xor_b64 s[8:9], vcc, s[6:7]
	s_mov_b64 s[6:7], -1
	s_xor_b64 s[8:9], s[8:9], -1
	s_and_saveexec_b64 s[18:19], s[8:9]
	s_cbranch_execz .LBB1092_67
; %bb.60:
	s_mov_b64 s[40:41], 1
	s_mov_b64 s[36:37], 0
                                        ; implicit-def: $sgpr38_sgpr39
	s_branch .LBB1092_63
.LBB1092_61:                            ;   in Loop: Header=BB1092_63 Depth=1
	v_lshl_add_u64 v[34:35], v[30:31], 0, s[40:41]
	v_lshl_add_u64 v[36:37], v[32:33], 0, s[40:41]
	global_load_ubyte v48, v[34:35], off
	global_load_ubyte v49, v[36:37], off
	s_waitcnt vmcnt(1)
	v_cmp_ne_u16_e64 s[6:7], 0, v48
	s_waitcnt vmcnt(0)
	v_cmp_ne_u16_e64 s[8:9], 0, v49
	s_xor_b64 s[8:9], s[6:7], s[8:9]
	s_add_u32 s6, s40, 1
	s_addc_u32 s7, s41, 0
	s_andn2_b64 s[38:39], s[38:39], exec
	s_and_b64 s[8:9], s[8:9], exec
	s_or_b64 s[38:39], s[38:39], s[8:9]
.LBB1092_62:                            ;   in Loop: Header=BB1092_63 Depth=1
	s_and_b64 s[8:9], exec, s[38:39]
	s_or_b64 s[36:37], s[8:9], s[36:37]
	v_mov_b64_e32 v[34:35], s[40:41]
	s_mov_b64 s[40:41], s[6:7]
	s_andn2_b64 exec, exec, s[36:37]
	s_cbranch_execz .LBB1092_66
.LBB1092_63:                            ; =>This Inner Loop Header: Depth=1
	s_or_b64 s[38:39], s[38:39], exec
	s_cmp_eq_u64 s[26:27], s[40:41]
	s_cbranch_scc0 .LBB1092_61
; %bb.64:                               ;   in Loop: Header=BB1092_63 Depth=1
                                        ; implicit-def: $sgpr6_sgpr7
	s_mov_b64 s[40:41], s[26:27]
	s_branch .LBB1092_62
.LBB1092_65:
                                        ; implicit-def: $sgpr6_sgpr7
                                        ; implicit-def: $vgpr32_vgpr33
	s_cbranch_execnz .LBB1092_75
	s_branch .LBB1092_76
.LBB1092_66:
	s_or_b64 exec, exec, s[36:37]
	v_cmp_gt_i64_e64 s[6:7], s[26:27], v[34:35]
	s_orn2_b64 s[6:7], s[6:7], exec
.LBB1092_67:
	s_or_b64 exec, exec, s[18:19]
	v_mov_b64_e32 v[32:33], s[28:29]
	v_mad_u64_u32 v[34:35], s[8:9], v18, s26, v[32:33]
	v_mul_lo_u32 v32, v18, s27
	v_mul_lo_u32 v33, v19, s26
	v_add3_u32 v35, v33, v35, v32
	global_load_ubyte v36, v[34:35], off
	v_mov_b32_e32 v32, 8
	v_cndmask_b32_e64 v33, 0, 1, s[6:7]
	s_mov_b32 s6, 0x3020104
	v_lshrrev_b32_sdwa v48, v32, v47 dst_sel:BYTE_1 dst_unused:UNUSED_PAD src0_sel:DWORD src1_sel:DWORD
	v_perm_b32 v32, v46, v46, s6
	v_or_b32_e32 v33, v33, v48
	v_bfe_u32 v37, v47, 16, 8
	v_and_b32_e32 v33, 0xffff, v33
	v_lshl_or_b32 v33, v37, 16, v33
	s_waitcnt vmcnt(0)
	v_cmp_ne_u16_e64 s[6:7], 0, v36
	s_xor_b64 s[8:9], vcc, s[6:7]
	s_mov_b64 s[6:7], -1
	s_xor_b64 s[18:19], s[8:9], -1
	s_and_saveexec_b64 s[8:9], s[18:19]
	s_cbranch_execz .LBB1092_74
; %bb.68:
	s_mov_b64 s[38:39], 1
	s_mov_b64 s[18:19], 0
                                        ; implicit-def: $sgpr36_sgpr37
	s_branch .LBB1092_71
.LBB1092_69:                            ;   in Loop: Header=BB1092_71 Depth=1
	v_lshl_add_u64 v[36:37], v[34:35], 0, s[38:39]
	v_lshl_add_u64 v[48:49], v[30:31], 0, s[38:39]
	global_load_ubyte v50, v[36:37], off
	global_load_ubyte v51, v[48:49], off
	s_waitcnt vmcnt(1)
	v_cmp_ne_u16_e32 vcc, 0, v50
	s_waitcnt vmcnt(0)
	v_cmp_ne_u16_e64 s[6:7], 0, v51
	s_xor_b64 s[40:41], vcc, s[6:7]
	s_add_u32 s6, s38, 1
	s_addc_u32 s7, s39, 0
	s_andn2_b64 s[36:37], s[36:37], exec
	s_and_b64 s[40:41], s[40:41], exec
	s_or_b64 s[36:37], s[36:37], s[40:41]
.LBB1092_70:                            ;   in Loop: Header=BB1092_71 Depth=1
	s_and_b64 s[40:41], exec, s[36:37]
	s_or_b64 s[18:19], s[40:41], s[18:19]
	v_mov_b64_e32 v[36:37], s[38:39]
	s_mov_b64 s[38:39], s[6:7]
	s_andn2_b64 exec, exec, s[18:19]
	s_cbranch_execz .LBB1092_73
.LBB1092_71:                            ; =>This Inner Loop Header: Depth=1
	s_or_b64 s[36:37], s[36:37], exec
	s_cmp_eq_u64 s[26:27], s[38:39]
	s_cbranch_scc0 .LBB1092_69
; %bb.72:                               ;   in Loop: Header=BB1092_71 Depth=1
                                        ; implicit-def: $sgpr6_sgpr7
	s_mov_b64 s[38:39], s[26:27]
	s_branch .LBB1092_70
.LBB1092_73:
	s_or_b64 exec, exec, s[18:19]
	v_cmp_gt_i64_e32 vcc, s[26:27], v[36:37]
	s_orn2_b64 s[6:7], vcc, exec
.LBB1092_74:
	s_or_b64 exec, exec, s[8:9]
	s_branch .LBB1092_76
.LBB1092_75:
	v_mov_b32_e32 v30, 8
	v_lshrrev_b32_sdwa v30, v30, v47 dst_sel:BYTE_1 dst_unused:UNUSED_PAD src0_sel:DWORD src1_sel:DWORD
	v_bfe_u32 v31, v47, 16, 8
	s_mov_b32 s8, 0x3020104
	v_lshl_or_b32 v33, v31, 16, v30
	v_perm_b32 v32, v46, v46, s8
	s_andn2_b64 s[6:7], s[6:7], exec
.LBB1092_76:
	v_mov_b32_e32 v31, 8
	v_cndmask_b32_e64 v30, 0, 1, s[6:7]
	s_movk_i32 s6, 0xff
	v_lshrrev_b32_sdwa v34, v31, v32 dst_sel:BYTE_1 dst_unused:UNUSED_PAD src0_sel:DWORD src1_sel:DWORD
	v_lshlrev_b16_e32 v30, 8, v30
	v_or_b32_sdwa v34, v32, v34 dst_sel:DWORD dst_unused:UNUSED_PAD src0_sel:BYTE_0 src1_sel:DWORD
	v_and_b32_sdwa v32, v32, s6 dst_sel:DWORD dst_unused:UNUSED_PAD src0_sel:WORD_1 src1_sel:DWORD
	v_or_b32_sdwa v30, v32, v30 dst_sel:WORD_1 dst_unused:UNUSED_PAD src0_sel:DWORD src1_sel:DWORD
	s_and_b64 vcc, exec, s[4:5]
	v_or_b32_sdwa v46, v34, v30 dst_sel:DWORD dst_unused:UNUSED_PAD src0_sel:WORD_0 src1_sel:DWORD
	v_lshrrev_b32_sdwa v30, v31, v33 dst_sel:BYTE_1 dst_unused:UNUSED_PAD src0_sel:DWORD src1_sel:DWORD
	v_bfe_u32 v31, v33, 16, 8
	v_or_b32_sdwa v30, v33, v30 dst_sel:DWORD dst_unused:UNUSED_PAD src0_sel:BYTE_0 src1_sel:DWORD
	v_and_b32_e32 v30, 0xffff, v30
	v_lshl_or_b32 v47, v31, 16, v30
	s_cbranch_vccnz .LBB1092_83
; %bb.77:
	v_mov_b64_e32 v[32:33], s[28:29]
	v_mad_u64_u32 v[30:31], s[6:7], v24, s26, v[32:33]
	v_mul_lo_u32 v34, v24, s27
	v_mul_lo_u32 v35, v25, s26
	v_add3_u32 v31, v35, v31, v34
	v_mad_u64_u32 v[32:33], s[6:7], v18, s26, v[32:33]
	v_mul_lo_u32 v34, v18, s27
	v_mul_lo_u32 v35, v19, s26
	v_add3_u32 v33, v35, v33, v34
	global_load_ubyte v34, v[30:31], off
	global_load_ubyte v35, v[32:33], off
	s_waitcnt vmcnt(1)
	v_cmp_ne_u16_e32 vcc, 0, v34
	s_waitcnt vmcnt(0)
	v_cmp_ne_u16_e64 s[6:7], 0, v35
	s_xor_b64 s[8:9], vcc, s[6:7]
	s_mov_b64 s[6:7], -1
	s_xor_b64 s[8:9], s[8:9], -1
	s_and_saveexec_b64 s[18:19], s[8:9]
	s_cbranch_execz .LBB1092_85
; %bb.78:
	s_mov_b64 s[40:41], 1
	s_mov_b64 s[36:37], 0
                                        ; implicit-def: $sgpr38_sgpr39
	s_branch .LBB1092_81
.LBB1092_79:                            ;   in Loop: Header=BB1092_81 Depth=1
	v_lshl_add_u64 v[34:35], v[30:31], 0, s[40:41]
	v_lshl_add_u64 v[36:37], v[32:33], 0, s[40:41]
	global_load_ubyte v48, v[34:35], off
	global_load_ubyte v49, v[36:37], off
	s_waitcnt vmcnt(1)
	v_cmp_ne_u16_e64 s[6:7], 0, v48
	s_waitcnt vmcnt(0)
	v_cmp_ne_u16_e64 s[8:9], 0, v49
	s_xor_b64 s[8:9], s[6:7], s[8:9]
	s_add_u32 s6, s40, 1
	s_addc_u32 s7, s41, 0
	s_andn2_b64 s[38:39], s[38:39], exec
	s_and_b64 s[8:9], s[8:9], exec
	s_or_b64 s[38:39], s[38:39], s[8:9]
.LBB1092_80:                            ;   in Loop: Header=BB1092_81 Depth=1
	s_and_b64 s[8:9], exec, s[38:39]
	s_or_b64 s[36:37], s[8:9], s[36:37]
	v_mov_b64_e32 v[34:35], s[40:41]
	s_mov_b64 s[40:41], s[6:7]
	s_andn2_b64 exec, exec, s[36:37]
	s_cbranch_execz .LBB1092_84
.LBB1092_81:                            ; =>This Inner Loop Header: Depth=1
	s_or_b64 s[38:39], s[38:39], exec
	s_cmp_eq_u64 s[26:27], s[40:41]
	s_cbranch_scc0 .LBB1092_79
; %bb.82:                               ;   in Loop: Header=BB1092_81 Depth=1
                                        ; implicit-def: $sgpr6_sgpr7
	s_mov_b64 s[40:41], s[26:27]
	s_branch .LBB1092_80
.LBB1092_83:
                                        ; implicit-def: $sgpr6_sgpr7
                                        ; implicit-def: $vgpr32_vgpr33
	s_cbranch_execnz .LBB1092_93
	s_branch .LBB1092_94
.LBB1092_84:
	s_or_b64 exec, exec, s[36:37]
	v_cmp_gt_i64_e64 s[6:7], s[26:27], v[34:35]
	s_orn2_b64 s[6:7], s[6:7], exec
.LBB1092_85:
	s_or_b64 exec, exec, s[18:19]
	v_mov_b64_e32 v[32:33], s[28:29]
	v_mad_u64_u32 v[34:35], s[8:9], v22, s26, v[32:33]
	v_mul_lo_u32 v32, v22, s27
	v_mul_lo_u32 v33, v23, s26
	v_add3_u32 v35, v33, v35, v32
	global_load_ubyte v36, v[34:35], off
	v_mov_b32_e32 v33, 8
	v_lshrrev_b32_e32 v48, 24, v46
	v_lshrrev_b32_sdwa v49, v33, v47 dst_sel:BYTE_1 dst_unused:UNUSED_PAD src0_sel:DWORD src1_sel:DWORD
	v_cndmask_b32_e64 v32, 0, 1, s[6:7]
	v_lshrrev_b32_sdwa v33, v33, v46 dst_sel:BYTE_1 dst_unused:UNUSED_PAD src0_sel:DWORD src1_sel:DWORD
	v_lshlrev_b16_e32 v48, 8, v48
	v_or_b32_sdwa v49, v47, v49 dst_sel:DWORD dst_unused:UNUSED_PAD src0_sel:BYTE_0 src1_sel:DWORD
	v_bfe_u32 v37, v47, 16, 8
	v_or_b32_sdwa v33, v46, v33 dst_sel:DWORD dst_unused:UNUSED_PAD src0_sel:BYTE_0 src1_sel:DWORD
	v_or_b32_sdwa v32, v32, v48 dst_sel:WORD_1 dst_unused:UNUSED_PAD src0_sel:DWORD src1_sel:DWORD
	v_and_b32_e32 v48, 0xffff, v49
	v_or_b32_sdwa v32, v33, v32 dst_sel:DWORD dst_unused:UNUSED_PAD src0_sel:WORD_0 src1_sel:DWORD
	v_lshl_or_b32 v33, v37, 16, v48
	s_waitcnt vmcnt(0)
	v_cmp_ne_u16_e64 s[6:7], 0, v36
	s_xor_b64 s[8:9], vcc, s[6:7]
	s_mov_b64 s[6:7], -1
	s_xor_b64 s[18:19], s[8:9], -1
	s_and_saveexec_b64 s[8:9], s[18:19]
	s_cbranch_execz .LBB1092_92
; %bb.86:
	s_mov_b64 s[38:39], 1
	s_mov_b64 s[18:19], 0
                                        ; implicit-def: $sgpr36_sgpr37
	s_branch .LBB1092_89
.LBB1092_87:                            ;   in Loop: Header=BB1092_89 Depth=1
	v_lshl_add_u64 v[36:37], v[34:35], 0, s[38:39]
	v_lshl_add_u64 v[48:49], v[30:31], 0, s[38:39]
	global_load_ubyte v50, v[36:37], off
	global_load_ubyte v51, v[48:49], off
	s_waitcnt vmcnt(1)
	v_cmp_ne_u16_e32 vcc, 0, v50
	s_waitcnt vmcnt(0)
	v_cmp_ne_u16_e64 s[6:7], 0, v51
	s_xor_b64 s[40:41], vcc, s[6:7]
	s_add_u32 s6, s38, 1
	s_addc_u32 s7, s39, 0
	s_andn2_b64 s[36:37], s[36:37], exec
	s_and_b64 s[40:41], s[40:41], exec
	s_or_b64 s[36:37], s[36:37], s[40:41]
.LBB1092_88:                            ;   in Loop: Header=BB1092_89 Depth=1
	s_and_b64 s[40:41], exec, s[36:37]
	s_or_b64 s[18:19], s[40:41], s[18:19]
	v_mov_b64_e32 v[36:37], s[38:39]
	s_mov_b64 s[38:39], s[6:7]
	s_andn2_b64 exec, exec, s[18:19]
	s_cbranch_execz .LBB1092_91
.LBB1092_89:                            ; =>This Inner Loop Header: Depth=1
	s_or_b64 s[36:37], s[36:37], exec
	s_cmp_eq_u64 s[26:27], s[38:39]
	s_cbranch_scc0 .LBB1092_87
; %bb.90:                               ;   in Loop: Header=BB1092_89 Depth=1
                                        ; implicit-def: $sgpr6_sgpr7
	s_mov_b64 s[38:39], s[26:27]
	s_branch .LBB1092_88
.LBB1092_91:
	s_or_b64 exec, exec, s[18:19]
	v_cmp_gt_i64_e32 vcc, s[26:27], v[36:37]
	s_orn2_b64 s[6:7], vcc, exec
.LBB1092_92:
	s_or_b64 exec, exec, s[8:9]
	s_branch .LBB1092_94
.LBB1092_93:
	v_mov_b32_e32 v30, 8
	v_lshrrev_b32_sdwa v31, v30, v47 dst_sel:BYTE_1 dst_unused:UNUSED_PAD src0_sel:DWORD src1_sel:DWORD
	v_lshrrev_b32_sdwa v30, v30, v46 dst_sel:BYTE_1 dst_unused:UNUSED_PAD src0_sel:DWORD src1_sel:DWORD
	v_or_b32_sdwa v31, v47, v31 dst_sel:DWORD dst_unused:UNUSED_PAD src0_sel:BYTE_0 src1_sel:DWORD
	v_or_b32_sdwa v30, v46, v30 dst_sel:DWORD dst_unused:UNUSED_PAD src0_sel:BYTE_0 src1_sel:DWORD
	v_and_b32_e32 v31, 0xffff, v31
	v_bfe_u32 v32, v47, 16, 8
	v_and_b32_e32 v30, 0xffff, v30
	s_mov_b32 s8, 0xff000000
	v_lshl_or_b32 v33, v32, 16, v31
	v_and_or_b32 v32, v46, s8, v30
	s_andn2_b64 s[6:7], s[6:7], exec
.LBB1092_94:
	v_cmp_ne_u32_e32 vcc, 0, v0
	s_waitcnt lgkmcnt(0)
	v_mov_b64_e32 v[34:35], s[12:13]
	s_barrier
	s_and_saveexec_b64 s[8:9], vcc
	s_cbranch_execz .LBB1092_96
; %bb.95:
	v_add_u32_e32 v30, -8, v39
	ds_read_b64 v[34:35], v30
.LBB1092_96:
	s_or_b64 exec, exec, s[8:9]
	v_cndmask_b32_e64 v30, 0, 1, s[6:7]
	v_lshlrev_b16_e32 v30, 8, v30
	s_movk_i32 s6, 0xff
	v_or_b32_sdwa v46, v32, v30 dst_sel:DWORD dst_unused:UNUSED_PAD src0_sel:BYTE_0 src1_sel:DWORD
	v_lshrrev_b32_e32 v30, 24, v32
	v_lshlrev_b16_e32 v30, 8, v30
	v_and_b32_sdwa v31, v32, s6 dst_sel:DWORD dst_unused:UNUSED_PAD src0_sel:WORD_1 src1_sel:DWORD
	v_or_b32_sdwa v32, v31, v30 dst_sel:WORD_1 dst_unused:UNUSED_PAD src0_sel:DWORD src1_sel:DWORD
	s_mov_b64 s[6:7], 0
	s_and_b64 vcc, exec, s[4:5]
	s_mov_b64 s[36:37], 0
	s_cbranch_vccnz .LBB1092_105
; %bb.97:
	v_mov_b64_e32 v[36:37], s[28:29]
	s_waitcnt lgkmcnt(0)
	v_mad_u64_u32 v[30:31], s[4:5], v34, s26, v[36:37]
	v_mul_lo_u32 v34, v34, s27
	v_mul_lo_u32 v35, v35, s26
	v_add3_u32 v31, v35, v31, v34
	v_mad_u64_u32 v[34:35], s[4:5], v22, s26, v[36:37]
	v_mul_lo_u32 v36, v22, s27
	v_mul_lo_u32 v37, v23, s26
	v_add3_u32 v35, v37, v35, v36
	global_load_ubyte v36, v[30:31], off
	global_load_ubyte v37, v[34:35], off
	s_mov_b64 s[36:37], -1
	s_waitcnt vmcnt(1)
	v_cmp_ne_u16_e32 vcc, 0, v36
	s_waitcnt vmcnt(0)
	v_cmp_ne_u16_e64 s[4:5], 0, v37
	s_xor_b64 s[4:5], vcc, s[4:5]
	s_xor_b64 s[4:5], s[4:5], -1
	s_and_saveexec_b64 s[8:9], s[4:5]
	s_cbranch_execz .LBB1092_104
; %bb.98:
	s_mov_b64 s[38:39], 1
	s_mov_b64 s[18:19], 0
                                        ; implicit-def: $sgpr36_sgpr37
	s_branch .LBB1092_101
.LBB1092_99:                            ;   in Loop: Header=BB1092_101 Depth=1
	v_lshl_add_u64 v[36:37], v[30:31], 0, s[38:39]
	v_lshl_add_u64 v[48:49], v[34:35], 0, s[38:39]
	global_load_ubyte v47, v[36:37], off
	global_load_ubyte v50, v[48:49], off
	s_waitcnt vmcnt(1)
	v_cmp_ne_u16_e32 vcc, 0, v47
	s_waitcnt vmcnt(0)
	v_cmp_ne_u16_e64 s[4:5], 0, v50
	s_xor_b64 s[40:41], vcc, s[4:5]
	s_add_u32 s4, s38, 1
	s_addc_u32 s5, s39, 0
	s_andn2_b64 s[36:37], s[36:37], exec
	s_and_b64 s[40:41], s[40:41], exec
	s_or_b64 s[36:37], s[36:37], s[40:41]
.LBB1092_100:                           ;   in Loop: Header=BB1092_101 Depth=1
	s_and_b64 s[40:41], exec, s[36:37]
	s_or_b64 s[18:19], s[40:41], s[18:19]
	v_mov_b64_e32 v[36:37], s[38:39]
	s_mov_b64 s[38:39], s[4:5]
	s_andn2_b64 exec, exec, s[18:19]
	s_cbranch_execz .LBB1092_103
.LBB1092_101:                           ; =>This Inner Loop Header: Depth=1
	s_or_b64 s[36:37], s[36:37], exec
	s_cmp_eq_u64 s[26:27], s[38:39]
	s_cbranch_scc0 .LBB1092_99
; %bb.102:                              ;   in Loop: Header=BB1092_101 Depth=1
                                        ; implicit-def: $sgpr4_sgpr5
	s_mov_b64 s[38:39], s[26:27]
	s_branch .LBB1092_100
.LBB1092_103:
	s_or_b64 exec, exec, s[18:19]
	v_cmp_gt_i64_e32 vcc, s[26:27], v[36:37]
	s_orn2_b64 s[36:37], vcc, exec
.LBB1092_104:
	s_or_b64 exec, exec, s[8:9]
.LBB1092_105:
	s_waitcnt lgkmcnt(0)
	v_or_b32_sdwa v34, v46, v32 dst_sel:DWORD dst_unused:UNUSED_PAD src0_sel:WORD_0 src1_sel:DWORD
	v_lshrrev_b32_e32 v32, 8, v33
	v_lshrrev_b32_e32 v46, 16, v33
	s_and_b64 vcc, exec, s[6:7]
	s_cbranch_vccz .LBB1092_172
.LBB1092_106:
	v_cmp_gt_u32_e32 vcc, s3, v42
	s_xor_b64 s[14:15], s[14:15], -1
	s_mov_b64 s[36:37], -1
	s_and_b64 s[4:5], vcc, s[14:15]
	s_mov_b64 s[8:9], 0
	s_mov_b64 s[6:7], 0
	s_and_saveexec_b64 s[18:19], s[4:5]
	s_cbranch_execz .LBB1092_115
; %bb.107:
	v_mov_b64_e32 v[32:33], s[28:29]
	v_mad_u64_u32 v[30:31], s[4:5], v16, s26, v[32:33]
	v_mul_lo_u32 v34, v16, s27
	v_mul_lo_u32 v35, v17, s26
	v_add3_u32 v31, v35, v31, v34
	v_mad_u64_u32 v[32:33], s[4:5], v28, s26, v[32:33]
	v_mul_lo_u32 v34, v28, s27
	v_mul_lo_u32 v35, v29, s26
	v_add3_u32 v33, v35, v33, v34
	global_load_ubyte v34, v[30:31], off
	global_load_ubyte v35, v[32:33], off
	s_waitcnt vmcnt(1)
	v_cmp_ne_u16_e32 vcc, 0, v34
	s_waitcnt vmcnt(0)
	v_cmp_ne_u16_e64 s[4:5], 0, v35
	s_xor_b64 s[4:5], vcc, s[4:5]
	s_xor_b64 s[4:5], s[4:5], -1
	s_and_saveexec_b64 s[6:7], s[4:5]
	s_cbranch_execz .LBB1092_114
; %bb.108:
	s_mov_b64 s[40:41], 1
	s_mov_b64 s[36:37], 0
                                        ; implicit-def: $sgpr38_sgpr39
	s_branch .LBB1092_111
.LBB1092_109:                           ;   in Loop: Header=BB1092_111 Depth=1
	v_lshl_add_u64 v[34:35], v[30:31], 0, s[40:41]
	v_lshl_add_u64 v[36:37], v[32:33], 0, s[40:41]
	global_load_ubyte v46, v[34:35], off
	global_load_ubyte v47, v[36:37], off
	s_waitcnt vmcnt(1)
	v_cmp_ne_u16_e32 vcc, 0, v46
	s_waitcnt vmcnt(0)
	v_cmp_ne_u16_e64 s[4:5], 0, v47
	s_xor_b64 s[42:43], vcc, s[4:5]
	s_add_u32 s4, s40, 1
	s_addc_u32 s5, s41, 0
	s_andn2_b64 s[38:39], s[38:39], exec
	s_and_b64 s[42:43], s[42:43], exec
	s_or_b64 s[38:39], s[38:39], s[42:43]
.LBB1092_110:                           ;   in Loop: Header=BB1092_111 Depth=1
	s_and_b64 s[42:43], exec, s[38:39]
	s_or_b64 s[36:37], s[42:43], s[36:37]
	v_mov_b64_e32 v[34:35], s[40:41]
	s_mov_b64 s[40:41], s[4:5]
	s_andn2_b64 exec, exec, s[36:37]
	s_cbranch_execz .LBB1092_113
.LBB1092_111:                           ; =>This Inner Loop Header: Depth=1
	s_or_b64 s[38:39], s[38:39], exec
	s_cmp_eq_u64 s[26:27], s[40:41]
	s_cbranch_scc0 .LBB1092_109
; %bb.112:                              ;   in Loop: Header=BB1092_111 Depth=1
                                        ; implicit-def: $sgpr4_sgpr5
	s_mov_b64 s[40:41], s[26:27]
	s_branch .LBB1092_110
.LBB1092_113:
	s_or_b64 exec, exec, s[36:37]
	v_cmp_gt_i64_e32 vcc, s[26:27], v[34:35]
	s_orn2_b64 s[36:37], vcc, exec
.LBB1092_114:
	s_or_b64 exec, exec, s[6:7]
	s_and_b64 s[6:7], s[36:37], exec
.LBB1092_115:
	s_or_b64 exec, exec, s[18:19]
	v_cmp_gt_u32_e32 vcc, s3, v45
	s_and_b64 s[4:5], vcc, s[14:15]
	s_and_saveexec_b64 s[18:19], s[4:5]
	s_cbranch_execz .LBB1092_124
; %bb.116:
	v_mov_b64_e32 v[32:33], s[28:29]
	v_mad_u64_u32 v[30:31], s[4:5], v14, s26, v[32:33]
	v_mul_lo_u32 v34, v14, s27
	v_mul_lo_u32 v35, v15, s26
	v_add3_u32 v31, v35, v31, v34
	v_mad_u64_u32 v[32:33], s[4:5], v16, s26, v[32:33]
	v_mul_lo_u32 v34, v16, s27
	v_mul_lo_u32 v35, v17, s26
	v_add3_u32 v33, v35, v33, v34
	global_load_ubyte v34, v[30:31], off
	global_load_ubyte v35, v[32:33], off
	s_waitcnt vmcnt(1)
	v_cmp_ne_u16_e32 vcc, 0, v34
	s_waitcnt vmcnt(0)
	v_cmp_ne_u16_e64 s[4:5], 0, v35
	s_xor_b64 s[8:9], vcc, s[4:5]
	s_mov_b64 s[4:5], -1
	s_xor_b64 s[36:37], s[8:9], -1
	s_and_saveexec_b64 s[8:9], s[36:37]
	s_cbranch_execz .LBB1092_123
; %bb.117:
	s_mov_b64 s[40:41], 1
	s_mov_b64 s[36:37], 0
                                        ; implicit-def: $sgpr38_sgpr39
	s_branch .LBB1092_120
.LBB1092_118:                           ;   in Loop: Header=BB1092_120 Depth=1
	v_lshl_add_u64 v[34:35], v[30:31], 0, s[40:41]
	v_lshl_add_u64 v[36:37], v[32:33], 0, s[40:41]
	global_load_ubyte v46, v[34:35], off
	global_load_ubyte v47, v[36:37], off
	s_waitcnt vmcnt(1)
	v_cmp_ne_u16_e32 vcc, 0, v46
	s_waitcnt vmcnt(0)
	v_cmp_ne_u16_e64 s[4:5], 0, v47
	s_xor_b64 s[42:43], vcc, s[4:5]
	s_add_u32 s4, s40, 1
	s_addc_u32 s5, s41, 0
	s_andn2_b64 s[38:39], s[38:39], exec
	s_and_b64 s[42:43], s[42:43], exec
	s_or_b64 s[38:39], s[38:39], s[42:43]
.LBB1092_119:                           ;   in Loop: Header=BB1092_120 Depth=1
	s_and_b64 s[42:43], exec, s[38:39]
	s_or_b64 s[36:37], s[42:43], s[36:37]
	v_mov_b64_e32 v[34:35], s[40:41]
	s_mov_b64 s[40:41], s[4:5]
	s_andn2_b64 exec, exec, s[36:37]
	s_cbranch_execz .LBB1092_122
.LBB1092_120:                           ; =>This Inner Loop Header: Depth=1
	s_or_b64 s[38:39], s[38:39], exec
	s_cmp_eq_u64 s[26:27], s[40:41]
	s_cbranch_scc0 .LBB1092_118
; %bb.121:                              ;   in Loop: Header=BB1092_120 Depth=1
                                        ; implicit-def: $sgpr4_sgpr5
	s_mov_b64 s[40:41], s[26:27]
	s_branch .LBB1092_119
.LBB1092_122:
	s_or_b64 exec, exec, s[36:37]
	v_cmp_gt_i64_e32 vcc, s[26:27], v[34:35]
	s_orn2_b64 s[4:5], vcc, exec
.LBB1092_123:
	s_or_b64 exec, exec, s[8:9]
	s_and_b64 s[8:9], s[4:5], exec
.LBB1092_124:
	s_or_b64 exec, exec, s[18:19]
	v_cmp_gt_u32_e32 vcc, s3, v41
	s_mov_b64 s[40:41], -1
	s_and_b64 s[4:5], vcc, s[14:15]
	s_mov_b64 s[36:37], 0
	s_mov_b64 s[18:19], 0
	s_and_saveexec_b64 s[38:39], s[4:5]
	s_cbranch_execz .LBB1092_133
; %bb.125:
	v_mov_b64_e32 v[32:33], s[28:29]
	v_mad_u64_u32 v[30:31], s[4:5], v20, s26, v[32:33]
	v_mul_lo_u32 v34, v20, s27
	v_mul_lo_u32 v35, v21, s26
	v_add3_u32 v31, v35, v31, v34
	v_mad_u64_u32 v[32:33], s[4:5], v14, s26, v[32:33]
	v_mul_lo_u32 v34, v14, s27
	v_mul_lo_u32 v35, v15, s26
	v_add3_u32 v33, v35, v33, v34
	global_load_ubyte v34, v[30:31], off
	global_load_ubyte v35, v[32:33], off
	s_waitcnt vmcnt(1)
	v_cmp_ne_u16_e32 vcc, 0, v34
	s_waitcnt vmcnt(0)
	v_cmp_ne_u16_e64 s[4:5], 0, v35
	s_xor_b64 s[4:5], vcc, s[4:5]
	s_xor_b64 s[4:5], s[4:5], -1
	s_and_saveexec_b64 s[18:19], s[4:5]
	s_cbranch_execz .LBB1092_132
; %bb.126:
	s_mov_b64 s[44:45], 1
	s_mov_b64 s[40:41], 0
                                        ; implicit-def: $sgpr42_sgpr43
	s_branch .LBB1092_129
.LBB1092_127:                           ;   in Loop: Header=BB1092_129 Depth=1
	v_lshl_add_u64 v[34:35], v[30:31], 0, s[44:45]
	v_lshl_add_u64 v[36:37], v[32:33], 0, s[44:45]
	global_load_ubyte v46, v[34:35], off
	global_load_ubyte v47, v[36:37], off
	s_waitcnt vmcnt(1)
	v_cmp_ne_u16_e32 vcc, 0, v46
	s_waitcnt vmcnt(0)
	v_cmp_ne_u16_e64 s[4:5], 0, v47
	s_xor_b64 s[46:47], vcc, s[4:5]
	s_add_u32 s4, s44, 1
	s_addc_u32 s5, s45, 0
	s_andn2_b64 s[42:43], s[42:43], exec
	s_and_b64 s[46:47], s[46:47], exec
	s_or_b64 s[42:43], s[42:43], s[46:47]
.LBB1092_128:                           ;   in Loop: Header=BB1092_129 Depth=1
	s_and_b64 s[46:47], exec, s[42:43]
	s_or_b64 s[40:41], s[46:47], s[40:41]
	v_mov_b64_e32 v[34:35], s[44:45]
	s_mov_b64 s[44:45], s[4:5]
	s_andn2_b64 exec, exec, s[40:41]
	s_cbranch_execz .LBB1092_131
.LBB1092_129:                           ; =>This Inner Loop Header: Depth=1
	s_or_b64 s[42:43], s[42:43], exec
	s_cmp_eq_u64 s[26:27], s[44:45]
	s_cbranch_scc0 .LBB1092_127
; %bb.130:                              ;   in Loop: Header=BB1092_129 Depth=1
                                        ; implicit-def: $sgpr4_sgpr5
	s_mov_b64 s[44:45], s[26:27]
	s_branch .LBB1092_128
.LBB1092_131:
	s_or_b64 exec, exec, s[40:41]
	v_cmp_gt_i64_e32 vcc, s[26:27], v[34:35]
	s_orn2_b64 s[40:41], vcc, exec
.LBB1092_132:
	s_or_b64 exec, exec, s[18:19]
	s_and_b64 s[18:19], s[40:41], exec
.LBB1092_133:
	s_or_b64 exec, exec, s[38:39]
	v_cmp_gt_u32_e32 vcc, s3, v44
	s_and_b64 s[4:5], vcc, s[14:15]
	s_and_saveexec_b64 s[38:39], s[4:5]
	s_cbranch_execz .LBB1092_142
; %bb.134:
	v_mov_b64_e32 v[32:33], s[28:29]
	v_mad_u64_u32 v[30:31], s[4:5], v18, s26, v[32:33]
	v_mul_lo_u32 v34, v18, s27
	v_mul_lo_u32 v35, v19, s26
	v_add3_u32 v31, v35, v31, v34
	v_mad_u64_u32 v[32:33], s[4:5], v20, s26, v[32:33]
	v_mul_lo_u32 v34, v20, s27
	v_mul_lo_u32 v35, v21, s26
	v_add3_u32 v33, v35, v33, v34
	global_load_ubyte v34, v[30:31], off
	global_load_ubyte v35, v[32:33], off
	s_waitcnt vmcnt(1)
	v_cmp_ne_u16_e32 vcc, 0, v34
	s_waitcnt vmcnt(0)
	v_cmp_ne_u16_e64 s[4:5], 0, v35
	s_xor_b64 s[36:37], vcc, s[4:5]
	s_mov_b64 s[4:5], -1
	s_xor_b64 s[40:41], s[36:37], -1
	s_and_saveexec_b64 s[36:37], s[40:41]
	s_cbranch_execz .LBB1092_141
; %bb.135:
	s_mov_b64 s[44:45], 1
	s_mov_b64 s[40:41], 0
                                        ; implicit-def: $sgpr42_sgpr43
	s_branch .LBB1092_138
.LBB1092_136:                           ;   in Loop: Header=BB1092_138 Depth=1
	v_lshl_add_u64 v[34:35], v[30:31], 0, s[44:45]
	v_lshl_add_u64 v[36:37], v[32:33], 0, s[44:45]
	global_load_ubyte v46, v[34:35], off
	global_load_ubyte v47, v[36:37], off
	s_waitcnt vmcnt(1)
	v_cmp_ne_u16_e32 vcc, 0, v46
	s_waitcnt vmcnt(0)
	v_cmp_ne_u16_e64 s[4:5], 0, v47
	s_xor_b64 s[46:47], vcc, s[4:5]
	s_add_u32 s4, s44, 1
	s_addc_u32 s5, s45, 0
	s_andn2_b64 s[42:43], s[42:43], exec
	s_and_b64 s[46:47], s[46:47], exec
	s_or_b64 s[42:43], s[42:43], s[46:47]
.LBB1092_137:                           ;   in Loop: Header=BB1092_138 Depth=1
	s_and_b64 s[46:47], exec, s[42:43]
	s_or_b64 s[40:41], s[46:47], s[40:41]
	v_mov_b64_e32 v[34:35], s[44:45]
	s_mov_b64 s[44:45], s[4:5]
	s_andn2_b64 exec, exec, s[40:41]
	s_cbranch_execz .LBB1092_140
.LBB1092_138:                           ; =>This Inner Loop Header: Depth=1
	s_or_b64 s[42:43], s[42:43], exec
	s_cmp_eq_u64 s[26:27], s[44:45]
	s_cbranch_scc0 .LBB1092_136
; %bb.139:                              ;   in Loop: Header=BB1092_138 Depth=1
                                        ; implicit-def: $sgpr4_sgpr5
	s_mov_b64 s[44:45], s[26:27]
	s_branch .LBB1092_137
.LBB1092_140:
	s_or_b64 exec, exec, s[40:41]
	v_cmp_gt_i64_e32 vcc, s[26:27], v[34:35]
	s_orn2_b64 s[4:5], vcc, exec
.LBB1092_141:
	s_or_b64 exec, exec, s[36:37]
	s_and_b64 s[36:37], s[4:5], exec
.LBB1092_142:
	s_or_b64 exec, exec, s[38:39]
	v_cmp_gt_u32_e32 vcc, s3, v40
	s_mov_b64 s[44:45], -1
	s_and_b64 s[4:5], vcc, s[14:15]
	s_mov_b64 s[38:39], 0
	s_mov_b64 s[40:41], 0
	s_and_saveexec_b64 s[42:43], s[4:5]
	s_cbranch_execz .LBB1092_151
; %bb.143:
	v_mov_b64_e32 v[32:33], s[28:29]
	v_mad_u64_u32 v[30:31], s[4:5], v24, s26, v[32:33]
	v_mul_lo_u32 v34, v24, s27
	v_mul_lo_u32 v35, v25, s26
	v_add3_u32 v31, v35, v31, v34
	v_mad_u64_u32 v[32:33], s[4:5], v18, s26, v[32:33]
	v_mul_lo_u32 v34, v18, s27
	v_mul_lo_u32 v35, v19, s26
	v_add3_u32 v33, v35, v33, v34
	global_load_ubyte v34, v[30:31], off
	global_load_ubyte v35, v[32:33], off
	s_waitcnt vmcnt(1)
	v_cmp_ne_u16_e32 vcc, 0, v34
	s_waitcnt vmcnt(0)
	v_cmp_ne_u16_e64 s[4:5], 0, v35
	s_xor_b64 s[4:5], vcc, s[4:5]
	s_xor_b64 s[4:5], s[4:5], -1
	s_and_saveexec_b64 s[40:41], s[4:5]
	s_cbranch_execz .LBB1092_150
; %bb.144:
	s_mov_b64 s[48:49], 1
	s_mov_b64 s[44:45], 0
                                        ; implicit-def: $sgpr46_sgpr47
	s_branch .LBB1092_147
.LBB1092_145:                           ;   in Loop: Header=BB1092_147 Depth=1
	v_lshl_add_u64 v[34:35], v[30:31], 0, s[48:49]
	v_lshl_add_u64 v[36:37], v[32:33], 0, s[48:49]
	global_load_ubyte v46, v[34:35], off
	global_load_ubyte v47, v[36:37], off
	s_waitcnt vmcnt(1)
	v_cmp_ne_u16_e32 vcc, 0, v46
	s_waitcnt vmcnt(0)
	v_cmp_ne_u16_e64 s[4:5], 0, v47
	s_xor_b64 s[50:51], vcc, s[4:5]
	s_add_u32 s4, s48, 1
	s_addc_u32 s5, s49, 0
	s_andn2_b64 s[46:47], s[46:47], exec
	s_and_b64 s[50:51], s[50:51], exec
	s_or_b64 s[46:47], s[46:47], s[50:51]
.LBB1092_146:                           ;   in Loop: Header=BB1092_147 Depth=1
	s_and_b64 s[50:51], exec, s[46:47]
	s_or_b64 s[44:45], s[50:51], s[44:45]
	v_mov_b64_e32 v[34:35], s[48:49]
	s_mov_b64 s[48:49], s[4:5]
	s_andn2_b64 exec, exec, s[44:45]
	s_cbranch_execz .LBB1092_149
.LBB1092_147:                           ; =>This Inner Loop Header: Depth=1
	s_or_b64 s[46:47], s[46:47], exec
	s_cmp_eq_u64 s[26:27], s[48:49]
	s_cbranch_scc0 .LBB1092_145
; %bb.148:                              ;   in Loop: Header=BB1092_147 Depth=1
                                        ; implicit-def: $sgpr4_sgpr5
	s_mov_b64 s[48:49], s[26:27]
	s_branch .LBB1092_146
.LBB1092_149:
	s_or_b64 exec, exec, s[44:45]
	v_cmp_gt_i64_e32 vcc, s[26:27], v[34:35]
	s_orn2_b64 s[44:45], vcc, exec
.LBB1092_150:
	s_or_b64 exec, exec, s[40:41]
	s_and_b64 s[40:41], s[44:45], exec
.LBB1092_151:
	s_or_b64 exec, exec, s[42:43]
	v_cmp_gt_u32_e32 vcc, s3, v43
	s_and_b64 s[4:5], vcc, s[14:15]
	s_and_saveexec_b64 s[42:43], s[4:5]
	s_cbranch_execz .LBB1092_160
; %bb.152:
	v_mov_b64_e32 v[32:33], s[28:29]
	v_mad_u64_u32 v[30:31], s[4:5], v22, s26, v[32:33]
	v_mul_lo_u32 v34, v22, s27
	v_mul_lo_u32 v35, v23, s26
	v_add3_u32 v31, v35, v31, v34
	v_mad_u64_u32 v[32:33], s[4:5], v24, s26, v[32:33]
	v_mul_lo_u32 v34, v24, s27
	v_mul_lo_u32 v35, v25, s26
	v_add3_u32 v33, v35, v33, v34
	global_load_ubyte v34, v[30:31], off
	global_load_ubyte v35, v[32:33], off
	s_waitcnt vmcnt(1)
	v_cmp_ne_u16_e32 vcc, 0, v34
	s_waitcnt vmcnt(0)
	v_cmp_ne_u16_e64 s[4:5], 0, v35
	s_xor_b64 s[38:39], vcc, s[4:5]
	s_mov_b64 s[4:5], -1
	s_xor_b64 s[44:45], s[38:39], -1
	s_and_saveexec_b64 s[38:39], s[44:45]
	s_cbranch_execz .LBB1092_159
; %bb.153:
	s_mov_b64 s[48:49], 1
	s_mov_b64 s[44:45], 0
                                        ; implicit-def: $sgpr46_sgpr47
	s_branch .LBB1092_156
.LBB1092_154:                           ;   in Loop: Header=BB1092_156 Depth=1
	v_lshl_add_u64 v[34:35], v[30:31], 0, s[48:49]
	v_lshl_add_u64 v[36:37], v[32:33], 0, s[48:49]
	global_load_ubyte v46, v[34:35], off
	global_load_ubyte v47, v[36:37], off
	s_waitcnt vmcnt(1)
	v_cmp_ne_u16_e32 vcc, 0, v46
	s_waitcnt vmcnt(0)
	v_cmp_ne_u16_e64 s[4:5], 0, v47
	s_xor_b64 s[50:51], vcc, s[4:5]
	s_add_u32 s4, s48, 1
	s_addc_u32 s5, s49, 0
	s_andn2_b64 s[46:47], s[46:47], exec
	s_and_b64 s[50:51], s[50:51], exec
	s_or_b64 s[46:47], s[46:47], s[50:51]
.LBB1092_155:                           ;   in Loop: Header=BB1092_156 Depth=1
	s_and_b64 s[50:51], exec, s[46:47]
	s_or_b64 s[44:45], s[50:51], s[44:45]
	v_mov_b64_e32 v[34:35], s[48:49]
	s_mov_b64 s[48:49], s[4:5]
	s_andn2_b64 exec, exec, s[44:45]
	s_cbranch_execz .LBB1092_158
.LBB1092_156:                           ; =>This Inner Loop Header: Depth=1
	s_or_b64 s[46:47], s[46:47], exec
	s_cmp_eq_u64 s[26:27], s[48:49]
	s_cbranch_scc0 .LBB1092_154
; %bb.157:                              ;   in Loop: Header=BB1092_156 Depth=1
                                        ; implicit-def: $sgpr4_sgpr5
	s_mov_b64 s[48:49], s[26:27]
	s_branch .LBB1092_155
.LBB1092_158:
	s_or_b64 exec, exec, s[44:45]
	v_cmp_gt_i64_e32 vcc, s[26:27], v[34:35]
	s_orn2_b64 s[4:5], vcc, exec
.LBB1092_159:
	s_or_b64 exec, exec, s[38:39]
	s_and_b64 s[38:39], s[4:5], exec
.LBB1092_160:
	s_or_b64 exec, exec, s[42:43]
	v_cmp_ne_u32_e32 vcc, 0, v0
	s_waitcnt lgkmcnt(0)
	v_mov_b64_e32 v[32:33], s[12:13]
	s_barrier
	s_and_saveexec_b64 s[4:5], vcc
	s_cbranch_execz .LBB1092_162
; %bb.161:
	v_add_u32_e32 v30, -8, v39
	ds_read_b64 v[32:33], v30
.LBB1092_162:
	s_or_b64 exec, exec, s[4:5]
	v_cndmask_b32_e64 v31, 0, 1, s[36:37]
	v_cndmask_b32_e64 v30, 0, 1, s[40:41]
	;; [unrolled: 1-line block ×3, first 2 shown]
	v_cmp_gt_u32_e32 vcc, s3, v1
	v_lshlrev_b16_e32 v31, 8, v31
	s_mov_b64 s[38:39], -1
	s_and_b64 s[4:5], vcc, s[14:15]
	v_lshlrev_b16_e32 v36, 8, v34
	v_or_b32_sdwa v37, v30, v31 dst_sel:WORD_1 dst_unused:UNUSED_PAD src0_sel:DWORD src1_sel:DWORD
	s_mov_b64 s[36:37], 0
	s_and_saveexec_b64 s[12:13], s[4:5]
	s_cbranch_execz .LBB1092_171
; %bb.163:
	v_mov_b64_e32 v[34:35], s[28:29]
	s_waitcnt lgkmcnt(0)
	v_mad_u64_u32 v[30:31], s[4:5], v32, s26, v[34:35]
	v_mul_lo_u32 v32, v32, s27
	v_mul_lo_u32 v33, v33, s26
	v_add3_u32 v31, v33, v31, v32
	v_mad_u64_u32 v[32:33], s[4:5], v22, s26, v[34:35]
	v_mul_lo_u32 v34, v22, s27
	v_mul_lo_u32 v35, v23, s26
	v_add3_u32 v33, v35, v33, v34
	global_load_ubyte v34, v[30:31], off
	global_load_ubyte v35, v[32:33], off
	s_waitcnt vmcnt(1)
	v_cmp_ne_u16_e32 vcc, 0, v34
	s_waitcnt vmcnt(0)
	v_cmp_ne_u16_e64 s[4:5], 0, v35
	s_xor_b64 s[4:5], vcc, s[4:5]
	s_xor_b64 s[4:5], s[4:5], -1
	s_and_saveexec_b64 s[14:15], s[4:5]
	s_cbranch_execz .LBB1092_170
; %bb.164:
	s_mov_b64 s[40:41], 1
                                        ; implicit-def: $sgpr38_sgpr39
	s_branch .LBB1092_167
.LBB1092_165:                           ;   in Loop: Header=BB1092_167 Depth=1
	v_lshl_add_u64 v[34:35], v[30:31], 0, s[40:41]
	v_lshl_add_u64 v[46:47], v[32:33], 0, s[40:41]
	global_load_ubyte v39, v[34:35], off
	global_load_ubyte v48, v[46:47], off
	s_waitcnt vmcnt(1)
	v_cmp_ne_u16_e32 vcc, 0, v39
	s_waitcnt vmcnt(0)
	v_cmp_ne_u16_e64 s[4:5], 0, v48
	s_xor_b64 s[42:43], vcc, s[4:5]
	s_add_u32 s4, s40, 1
	s_addc_u32 s5, s41, 0
	s_andn2_b64 s[38:39], s[38:39], exec
	s_and_b64 s[42:43], s[42:43], exec
	s_or_b64 s[38:39], s[38:39], s[42:43]
.LBB1092_166:                           ;   in Loop: Header=BB1092_167 Depth=1
	s_and_b64 s[42:43], exec, s[38:39]
	s_or_b64 s[36:37], s[42:43], s[36:37]
	v_mov_b64_e32 v[34:35], s[40:41]
	s_mov_b64 s[40:41], s[4:5]
	s_andn2_b64 exec, exec, s[36:37]
	s_cbranch_execz .LBB1092_169
.LBB1092_167:                           ; =>This Inner Loop Header: Depth=1
	s_or_b64 s[38:39], s[38:39], exec
	s_cmp_eq_u64 s[26:27], s[40:41]
	s_cbranch_scc0 .LBB1092_165
; %bb.168:                              ;   in Loop: Header=BB1092_167 Depth=1
                                        ; implicit-def: $sgpr4_sgpr5
	s_mov_b64 s[40:41], s[26:27]
	s_branch .LBB1092_166
.LBB1092_169:
	s_or_b64 exec, exec, s[36:37]
	v_cmp_gt_i64_e32 vcc, s[26:27], v[34:35]
	s_orn2_b64 s[38:39], vcc, exec
.LBB1092_170:
	s_or_b64 exec, exec, s[14:15]
	s_and_b64 s[36:37], s[38:39], exec
.LBB1092_171:
	s_or_b64 exec, exec, s[12:13]
	s_waitcnt lgkmcnt(0)
	v_cndmask_b32_e64 v33, 0, 1, s[18:19]
	v_cndmask_b32_e64 v32, 0, 1, s[8:9]
	v_cndmask_b32_e64 v46, 0, 1, s[6:7]
	v_or_b32_e32 v34, v36, v37
.LBB1092_172:
	s_waitcnt lgkmcnt(0)
	s_mov_b64 s[12:13], -1
	s_cbranch_execnz .LBB1092_46
.LBB1092_173:
	s_movk_i32 s4, 0xffd0
	v_mad_i32_i24 v38, v0, s4, v38
	v_cmp_lt_i64_e64 s[14:15], s[26:27], 1
	s_mov_b64 s[6:7], 0
	v_cmp_gt_i64_e64 s[8:9], s[26:27], 0
	s_and_b64 vcc, exec, s[34:35]
	ds_write_b64 v38, v[28:29]
	s_cbranch_vccz .LBB1092_181
; %bb.174:
	v_cndmask_b32_e64 v30, 0, 1, s[8:9]
	v_cmp_ne_u32_e64 s[4:5], 1, v30
	s_andn2_b64 vcc, exec, s[8:9]
	s_cbranch_vccnz .LBB1092_182
; %bb.175:
	v_mov_b64_e32 v[32:33], s[28:29]
	v_mad_u64_u32 v[30:31], s[6:7], v16, s26, v[32:33]
	v_mul_lo_u32 v34, v16, s27
	v_mul_lo_u32 v35, v17, s26
	v_add3_u32 v31, v35, v31, v34
	v_mad_u64_u32 v[32:33], s[6:7], v28, s26, v[32:33]
	v_mul_lo_u32 v34, v28, s27
	v_mul_lo_u32 v35, v29, s26
	v_add3_u32 v33, v35, v33, v34
	global_load_ubyte v34, v[30:31], off
	global_load_ubyte v35, v[32:33], off
	s_mov_b64 s[8:9], -1
	s_waitcnt vmcnt(1)
	v_cmp_ne_u16_e32 vcc, 0, v34
	s_waitcnt vmcnt(0)
	v_cmp_ne_u16_e64 s[6:7], 0, v35
	s_xor_b64 s[6:7], vcc, s[6:7]
	s_xor_b64 s[6:7], s[6:7], -1
	s_and_saveexec_b64 s[18:19], s[6:7]
	s_cbranch_execz .LBB1092_184
; %bb.176:
	s_mov_b64 s[40:41], 1
	s_mov_b64 s[36:37], 0
                                        ; implicit-def: $sgpr38_sgpr39
	s_branch .LBB1092_179
.LBB1092_177:                           ;   in Loop: Header=BB1092_179 Depth=1
	v_lshl_add_u64 v[34:35], v[30:31], 0, s[40:41]
	v_lshl_add_u64 v[36:37], v[32:33], 0, s[40:41]
	global_load_ubyte v39, v[34:35], off
	global_load_ubyte v46, v[36:37], off
	s_waitcnt vmcnt(1)
	v_cmp_ne_u16_e64 s[6:7], 0, v39
	s_waitcnt vmcnt(0)
	v_cmp_ne_u16_e64 s[8:9], 0, v46
	s_xor_b64 s[8:9], s[6:7], s[8:9]
	s_add_u32 s6, s40, 1
	s_addc_u32 s7, s41, 0
	s_andn2_b64 s[38:39], s[38:39], exec
	s_and_b64 s[8:9], s[8:9], exec
	s_or_b64 s[38:39], s[38:39], s[8:9]
.LBB1092_178:                           ;   in Loop: Header=BB1092_179 Depth=1
	s_and_b64 s[8:9], exec, s[38:39]
	s_or_b64 s[36:37], s[8:9], s[36:37]
	v_mov_b64_e32 v[34:35], s[40:41]
	s_mov_b64 s[40:41], s[6:7]
	s_andn2_b64 exec, exec, s[36:37]
	s_cbranch_execz .LBB1092_183
.LBB1092_179:                           ; =>This Inner Loop Header: Depth=1
	s_or_b64 s[38:39], s[38:39], exec
	s_cmp_eq_u64 s[26:27], s[40:41]
	s_cbranch_scc0 .LBB1092_177
; %bb.180:                              ;   in Loop: Header=BB1092_179 Depth=1
                                        ; implicit-def: $sgpr6_sgpr7
	s_mov_b64 s[40:41], s[26:27]
	s_branch .LBB1092_178
.LBB1092_181:
                                        ; implicit-def: $sgpr36_sgpr37
                                        ; implicit-def: $vgpr46
                                        ; implicit-def: $vgpr32
                                        ; implicit-def: $vgpr33
                                        ; implicit-def: $vgpr34
                                        ; implicit-def: $vgpr30_vgpr31
	s_cbranch_execnz .LBB1092_240
	s_branch .LBB1092_306
.LBB1092_182:
	v_mov_b32_e32 v30, 0
	s_branch .LBB1092_192
.LBB1092_183:
	s_or_b64 exec, exec, s[36:37]
	v_cmp_gt_i64_e64 s[6:7], s[26:27], v[34:35]
	s_orn2_b64 s[8:9], s[6:7], exec
.LBB1092_184:
	s_or_b64 exec, exec, s[18:19]
	v_mov_b64_e32 v[32:33], s[28:29]
	v_mad_u64_u32 v[32:33], s[6:7], v14, s26, v[32:33]
	v_mul_lo_u32 v34, v14, s27
	v_mul_lo_u32 v35, v15, s26
	v_add3_u32 v33, v35, v33, v34
	global_load_ubyte v34, v[32:33], off
	s_waitcnt vmcnt(0)
	v_cmp_ne_u16_e64 s[6:7], 0, v34
	s_xor_b64 s[18:19], vcc, s[6:7]
	s_mov_b64 s[6:7], -1
	s_xor_b64 s[36:37], s[18:19], -1
	s_and_saveexec_b64 s[18:19], s[36:37]
	s_cbranch_execz .LBB1092_191
; %bb.185:
	s_mov_b64 s[40:41], 1
	s_mov_b64 s[36:37], 0
                                        ; implicit-def: $sgpr38_sgpr39
	s_branch .LBB1092_188
.LBB1092_186:                           ;   in Loop: Header=BB1092_188 Depth=1
	v_lshl_add_u64 v[34:35], v[32:33], 0, s[40:41]
	v_lshl_add_u64 v[36:37], v[30:31], 0, s[40:41]
	global_load_ubyte v39, v[34:35], off
	global_load_ubyte v46, v[36:37], off
	s_waitcnt vmcnt(1)
	v_cmp_ne_u16_e32 vcc, 0, v39
	s_waitcnt vmcnt(0)
	v_cmp_ne_u16_e64 s[6:7], 0, v46
	s_xor_b64 s[42:43], vcc, s[6:7]
	s_add_u32 s6, s40, 1
	s_addc_u32 s7, s41, 0
	s_andn2_b64 s[38:39], s[38:39], exec
	s_and_b64 s[42:43], s[42:43], exec
	s_or_b64 s[38:39], s[38:39], s[42:43]
.LBB1092_187:                           ;   in Loop: Header=BB1092_188 Depth=1
	s_and_b64 s[42:43], exec, s[38:39]
	s_or_b64 s[36:37], s[42:43], s[36:37]
	v_mov_b64_e32 v[34:35], s[40:41]
	s_mov_b64 s[40:41], s[6:7]
	s_andn2_b64 exec, exec, s[36:37]
	s_cbranch_execz .LBB1092_190
.LBB1092_188:                           ; =>This Inner Loop Header: Depth=1
	s_or_b64 s[38:39], s[38:39], exec
	s_cmp_eq_u64 s[26:27], s[40:41]
	s_cbranch_scc0 .LBB1092_186
; %bb.189:                              ;   in Loop: Header=BB1092_188 Depth=1
                                        ; implicit-def: $sgpr6_sgpr7
	s_mov_b64 s[40:41], s[26:27]
	s_branch .LBB1092_187
.LBB1092_190:
	s_or_b64 exec, exec, s[36:37]
	v_cmp_gt_i64_e32 vcc, s[26:27], v[34:35]
	s_orn2_b64 s[6:7], vcc, exec
.LBB1092_191:
	s_or_b64 exec, exec, s[18:19]
	v_cndmask_b32_e64 v30, 0, 1, s[8:9]
.LBB1092_192:
	v_lshlrev_b16_e32 v31, 8, v0
	v_lshlrev_b16_e32 v32, 8, v0
	v_mov_b32_e32 v34, 8
	v_lshrrev_b32_sdwa v32, v34, v32 dst_sel:BYTE_1 dst_unused:UNUSED_PAD src0_sel:DWORD src1_sel:DWORD
	v_lshrrev_b32_sdwa v31, v34, v31 dst_sel:BYTE_1 dst_unused:UNUSED_PAD src0_sel:DWORD src1_sel:DWORD
	v_cndmask_b32_e64 v33, 0, 1, s[6:7]
	v_or_b32_sdwa v32, v0, v32 dst_sel:DWORD dst_unused:UNUSED_PAD src0_sel:BYTE_0 src1_sel:DWORD
	v_or_b32_sdwa v31, v0, v31 dst_sel:WORD_1 dst_unused:UNUSED_PAD src0_sel:BYTE_0 src1_sel:DWORD
	v_lshlrev_b32_e32 v30, 16, v30
	v_or_b32_sdwa v39, v32, v31 dst_sel:DWORD dst_unused:UNUSED_PAD src0_sel:WORD_0 src1_sel:DWORD
	v_lshlrev_b16_e32 v31, 8, v33
	s_and_b64 vcc, exec, s[4:5]
	v_or_b32_e32 v46, v31, v30
	s_cbranch_vccnz .LBB1092_199
; %bb.193:
	v_mov_b64_e32 v[32:33], s[28:29]
	v_mad_u64_u32 v[30:31], s[6:7], v20, s26, v[32:33]
	v_mul_lo_u32 v34, v20, s27
	v_mul_lo_u32 v35, v21, s26
	v_add3_u32 v31, v35, v31, v34
	v_mad_u64_u32 v[32:33], s[6:7], v14, s26, v[32:33]
	v_mul_lo_u32 v34, v14, s27
	v_mul_lo_u32 v35, v15, s26
	v_add3_u32 v33, v35, v33, v34
	global_load_ubyte v34, v[30:31], off
	global_load_ubyte v35, v[32:33], off
	s_waitcnt vmcnt(1)
	v_cmp_ne_u16_e32 vcc, 0, v34
	s_waitcnt vmcnt(0)
	v_cmp_ne_u16_e64 s[6:7], 0, v35
	s_xor_b64 s[8:9], vcc, s[6:7]
	s_mov_b64 s[6:7], -1
	s_xor_b64 s[8:9], s[8:9], -1
	s_and_saveexec_b64 s[18:19], s[8:9]
	s_cbranch_execz .LBB1092_201
; %bb.194:
	s_mov_b64 s[40:41], 1
	s_mov_b64 s[36:37], 0
                                        ; implicit-def: $sgpr38_sgpr39
	s_branch .LBB1092_197
.LBB1092_195:                           ;   in Loop: Header=BB1092_197 Depth=1
	v_lshl_add_u64 v[34:35], v[30:31], 0, s[40:41]
	v_lshl_add_u64 v[36:37], v[32:33], 0, s[40:41]
	global_load_ubyte v47, v[34:35], off
	global_load_ubyte v48, v[36:37], off
	s_waitcnt vmcnt(1)
	v_cmp_ne_u16_e64 s[6:7], 0, v47
	s_waitcnt vmcnt(0)
	v_cmp_ne_u16_e64 s[8:9], 0, v48
	s_xor_b64 s[8:9], s[6:7], s[8:9]
	s_add_u32 s6, s40, 1
	s_addc_u32 s7, s41, 0
	s_andn2_b64 s[38:39], s[38:39], exec
	s_and_b64 s[8:9], s[8:9], exec
	s_or_b64 s[38:39], s[38:39], s[8:9]
.LBB1092_196:                           ;   in Loop: Header=BB1092_197 Depth=1
	s_and_b64 s[8:9], exec, s[38:39]
	s_or_b64 s[36:37], s[8:9], s[36:37]
	v_mov_b64_e32 v[34:35], s[40:41]
	s_mov_b64 s[40:41], s[6:7]
	s_andn2_b64 exec, exec, s[36:37]
	s_cbranch_execz .LBB1092_200
.LBB1092_197:                           ; =>This Inner Loop Header: Depth=1
	s_or_b64 s[38:39], s[38:39], exec
	s_cmp_eq_u64 s[26:27], s[40:41]
	s_cbranch_scc0 .LBB1092_195
; %bb.198:                              ;   in Loop: Header=BB1092_197 Depth=1
                                        ; implicit-def: $sgpr6_sgpr7
	s_mov_b64 s[40:41], s[26:27]
	s_branch .LBB1092_196
.LBB1092_199:
                                        ; implicit-def: $sgpr6_sgpr7
                                        ; implicit-def: $vgpr32_vgpr33
	s_cbranch_execnz .LBB1092_209
	s_branch .LBB1092_210
.LBB1092_200:
	s_or_b64 exec, exec, s[36:37]
	v_cmp_gt_i64_e64 s[6:7], s[26:27], v[34:35]
	s_orn2_b64 s[6:7], s[6:7], exec
.LBB1092_201:
	s_or_b64 exec, exec, s[18:19]
	v_mov_b64_e32 v[32:33], s[28:29]
	v_mad_u64_u32 v[34:35], s[8:9], v18, s26, v[32:33]
	v_mul_lo_u32 v32, v18, s27
	v_mul_lo_u32 v33, v19, s26
	v_add3_u32 v35, v33, v35, v32
	global_load_ubyte v36, v[34:35], off
	v_mov_b32_e32 v32, 8
	v_cndmask_b32_e64 v33, 0, 1, s[6:7]
	s_mov_b32 s6, 0x3020104
	v_lshrrev_b32_sdwa v47, v32, v46 dst_sel:BYTE_1 dst_unused:UNUSED_PAD src0_sel:DWORD src1_sel:DWORD
	v_perm_b32 v32, v39, v39, s6
	v_or_b32_e32 v33, v33, v47
	v_bfe_u32 v37, v46, 16, 8
	v_and_b32_e32 v33, 0xffff, v33
	v_lshl_or_b32 v33, v37, 16, v33
	s_waitcnt vmcnt(0)
	v_cmp_ne_u16_e64 s[6:7], 0, v36
	s_xor_b64 s[8:9], vcc, s[6:7]
	s_mov_b64 s[6:7], -1
	s_xor_b64 s[18:19], s[8:9], -1
	s_and_saveexec_b64 s[8:9], s[18:19]
	s_cbranch_execz .LBB1092_208
; %bb.202:
	s_mov_b64 s[38:39], 1
	s_mov_b64 s[18:19], 0
                                        ; implicit-def: $sgpr36_sgpr37
	s_branch .LBB1092_205
.LBB1092_203:                           ;   in Loop: Header=BB1092_205 Depth=1
	v_lshl_add_u64 v[36:37], v[34:35], 0, s[38:39]
	v_lshl_add_u64 v[48:49], v[30:31], 0, s[38:39]
	global_load_ubyte v47, v[36:37], off
	global_load_ubyte v50, v[48:49], off
	s_waitcnt vmcnt(1)
	v_cmp_ne_u16_e32 vcc, 0, v47
	s_waitcnt vmcnt(0)
	v_cmp_ne_u16_e64 s[6:7], 0, v50
	s_xor_b64 s[40:41], vcc, s[6:7]
	s_add_u32 s6, s38, 1
	s_addc_u32 s7, s39, 0
	s_andn2_b64 s[36:37], s[36:37], exec
	s_and_b64 s[40:41], s[40:41], exec
	s_or_b64 s[36:37], s[36:37], s[40:41]
.LBB1092_204:                           ;   in Loop: Header=BB1092_205 Depth=1
	s_and_b64 s[40:41], exec, s[36:37]
	s_or_b64 s[18:19], s[40:41], s[18:19]
	v_mov_b64_e32 v[36:37], s[38:39]
	s_mov_b64 s[38:39], s[6:7]
	s_andn2_b64 exec, exec, s[18:19]
	s_cbranch_execz .LBB1092_207
.LBB1092_205:                           ; =>This Inner Loop Header: Depth=1
	s_or_b64 s[36:37], s[36:37], exec
	s_cmp_eq_u64 s[26:27], s[38:39]
	s_cbranch_scc0 .LBB1092_203
; %bb.206:                              ;   in Loop: Header=BB1092_205 Depth=1
                                        ; implicit-def: $sgpr6_sgpr7
	s_mov_b64 s[38:39], s[26:27]
	s_branch .LBB1092_204
.LBB1092_207:
	s_or_b64 exec, exec, s[18:19]
	v_cmp_gt_i64_e32 vcc, s[26:27], v[36:37]
	s_orn2_b64 s[6:7], vcc, exec
.LBB1092_208:
	s_or_b64 exec, exec, s[8:9]
	s_branch .LBB1092_210
.LBB1092_209:
	v_mov_b32_e32 v30, 8
	v_lshrrev_b32_sdwa v30, v30, v46 dst_sel:BYTE_1 dst_unused:UNUSED_PAD src0_sel:DWORD src1_sel:DWORD
	v_bfe_u32 v31, v46, 16, 8
	s_mov_b32 s8, 0x3020104
	v_lshl_or_b32 v33, v31, 16, v30
	v_perm_b32 v32, v39, v39, s8
	s_andn2_b64 s[6:7], s[6:7], exec
.LBB1092_210:
	v_mov_b32_e32 v31, 8
	v_cndmask_b32_e64 v30, 0, 1, s[6:7]
	s_movk_i32 s6, 0xff
	v_lshrrev_b32_sdwa v34, v31, v32 dst_sel:BYTE_1 dst_unused:UNUSED_PAD src0_sel:DWORD src1_sel:DWORD
	v_lshlrev_b16_e32 v30, 8, v30
	v_or_b32_sdwa v34, v32, v34 dst_sel:DWORD dst_unused:UNUSED_PAD src0_sel:BYTE_0 src1_sel:DWORD
	v_and_b32_sdwa v32, v32, s6 dst_sel:DWORD dst_unused:UNUSED_PAD src0_sel:WORD_1 src1_sel:DWORD
	v_or_b32_sdwa v30, v32, v30 dst_sel:WORD_1 dst_unused:UNUSED_PAD src0_sel:DWORD src1_sel:DWORD
	s_and_b64 vcc, exec, s[4:5]
	v_or_b32_sdwa v39, v34, v30 dst_sel:DWORD dst_unused:UNUSED_PAD src0_sel:WORD_0 src1_sel:DWORD
	v_lshrrev_b32_sdwa v30, v31, v33 dst_sel:BYTE_1 dst_unused:UNUSED_PAD src0_sel:DWORD src1_sel:DWORD
	v_bfe_u32 v31, v33, 16, 8
	v_or_b32_sdwa v30, v33, v30 dst_sel:DWORD dst_unused:UNUSED_PAD src0_sel:BYTE_0 src1_sel:DWORD
	v_and_b32_e32 v30, 0xffff, v30
	v_lshl_or_b32 v46, v31, 16, v30
	s_cbranch_vccnz .LBB1092_217
; %bb.211:
	v_mov_b64_e32 v[32:33], s[28:29]
	v_mad_u64_u32 v[30:31], s[6:7], v24, s26, v[32:33]
	v_mul_lo_u32 v34, v24, s27
	v_mul_lo_u32 v35, v25, s26
	v_add3_u32 v31, v35, v31, v34
	v_mad_u64_u32 v[32:33], s[6:7], v18, s26, v[32:33]
	v_mul_lo_u32 v34, v18, s27
	v_mul_lo_u32 v35, v19, s26
	v_add3_u32 v33, v35, v33, v34
	global_load_ubyte v34, v[30:31], off
	global_load_ubyte v35, v[32:33], off
	s_waitcnt vmcnt(1)
	v_cmp_ne_u16_e32 vcc, 0, v34
	s_waitcnt vmcnt(0)
	v_cmp_ne_u16_e64 s[6:7], 0, v35
	s_xor_b64 s[8:9], vcc, s[6:7]
	s_mov_b64 s[6:7], -1
	s_xor_b64 s[8:9], s[8:9], -1
	s_and_saveexec_b64 s[18:19], s[8:9]
	s_cbranch_execz .LBB1092_219
; %bb.212:
	s_mov_b64 s[40:41], 1
	s_mov_b64 s[36:37], 0
                                        ; implicit-def: $sgpr38_sgpr39
	s_branch .LBB1092_215
.LBB1092_213:                           ;   in Loop: Header=BB1092_215 Depth=1
	v_lshl_add_u64 v[34:35], v[30:31], 0, s[40:41]
	v_lshl_add_u64 v[36:37], v[32:33], 0, s[40:41]
	global_load_ubyte v47, v[34:35], off
	global_load_ubyte v48, v[36:37], off
	s_waitcnt vmcnt(1)
	v_cmp_ne_u16_e64 s[6:7], 0, v47
	s_waitcnt vmcnt(0)
	v_cmp_ne_u16_e64 s[8:9], 0, v48
	s_xor_b64 s[8:9], s[6:7], s[8:9]
	s_add_u32 s6, s40, 1
	s_addc_u32 s7, s41, 0
	s_andn2_b64 s[38:39], s[38:39], exec
	s_and_b64 s[8:9], s[8:9], exec
	s_or_b64 s[38:39], s[38:39], s[8:9]
.LBB1092_214:                           ;   in Loop: Header=BB1092_215 Depth=1
	s_and_b64 s[8:9], exec, s[38:39]
	s_or_b64 s[36:37], s[8:9], s[36:37]
	v_mov_b64_e32 v[34:35], s[40:41]
	s_mov_b64 s[40:41], s[6:7]
	s_andn2_b64 exec, exec, s[36:37]
	s_cbranch_execz .LBB1092_218
.LBB1092_215:                           ; =>This Inner Loop Header: Depth=1
	s_or_b64 s[38:39], s[38:39], exec
	s_cmp_eq_u64 s[26:27], s[40:41]
	s_cbranch_scc0 .LBB1092_213
; %bb.216:                              ;   in Loop: Header=BB1092_215 Depth=1
                                        ; implicit-def: $sgpr6_sgpr7
	s_mov_b64 s[40:41], s[26:27]
	s_branch .LBB1092_214
.LBB1092_217:
                                        ; implicit-def: $sgpr6_sgpr7
                                        ; implicit-def: $vgpr32_vgpr33
	s_cbranch_execnz .LBB1092_227
	s_branch .LBB1092_228
.LBB1092_218:
	s_or_b64 exec, exec, s[36:37]
	v_cmp_gt_i64_e64 s[6:7], s[26:27], v[34:35]
	s_orn2_b64 s[6:7], s[6:7], exec
.LBB1092_219:
	s_or_b64 exec, exec, s[18:19]
	v_mov_b64_e32 v[32:33], s[28:29]
	v_mad_u64_u32 v[34:35], s[8:9], v22, s26, v[32:33]
	v_mul_lo_u32 v32, v22, s27
	v_mul_lo_u32 v33, v23, s26
	v_add3_u32 v35, v33, v35, v32
	global_load_ubyte v36, v[34:35], off
	v_mov_b32_e32 v33, 8
	v_lshrrev_b32_e32 v47, 24, v39
	v_lshrrev_b32_sdwa v48, v33, v46 dst_sel:BYTE_1 dst_unused:UNUSED_PAD src0_sel:DWORD src1_sel:DWORD
	v_cndmask_b32_e64 v32, 0, 1, s[6:7]
	v_lshrrev_b32_sdwa v33, v33, v39 dst_sel:BYTE_1 dst_unused:UNUSED_PAD src0_sel:DWORD src1_sel:DWORD
	v_lshlrev_b16_e32 v47, 8, v47
	v_or_b32_sdwa v48, v46, v48 dst_sel:DWORD dst_unused:UNUSED_PAD src0_sel:BYTE_0 src1_sel:DWORD
	v_bfe_u32 v37, v46, 16, 8
	v_or_b32_sdwa v33, v39, v33 dst_sel:DWORD dst_unused:UNUSED_PAD src0_sel:BYTE_0 src1_sel:DWORD
	v_or_b32_sdwa v32, v32, v47 dst_sel:WORD_1 dst_unused:UNUSED_PAD src0_sel:DWORD src1_sel:DWORD
	v_and_b32_e32 v47, 0xffff, v48
	v_or_b32_sdwa v32, v33, v32 dst_sel:DWORD dst_unused:UNUSED_PAD src0_sel:WORD_0 src1_sel:DWORD
	v_lshl_or_b32 v33, v37, 16, v47
	s_waitcnt vmcnt(0)
	v_cmp_ne_u16_e64 s[6:7], 0, v36
	s_xor_b64 s[8:9], vcc, s[6:7]
	s_mov_b64 s[6:7], -1
	s_xor_b64 s[18:19], s[8:9], -1
	s_and_saveexec_b64 s[8:9], s[18:19]
	s_cbranch_execz .LBB1092_226
; %bb.220:
	s_mov_b64 s[38:39], 1
	s_mov_b64 s[18:19], 0
                                        ; implicit-def: $sgpr36_sgpr37
	s_branch .LBB1092_223
.LBB1092_221:                           ;   in Loop: Header=BB1092_223 Depth=1
	v_lshl_add_u64 v[36:37], v[34:35], 0, s[38:39]
	v_lshl_add_u64 v[48:49], v[30:31], 0, s[38:39]
	global_load_ubyte v47, v[36:37], off
	global_load_ubyte v50, v[48:49], off
	s_waitcnt vmcnt(1)
	v_cmp_ne_u16_e32 vcc, 0, v47
	s_waitcnt vmcnt(0)
	v_cmp_ne_u16_e64 s[6:7], 0, v50
	s_xor_b64 s[40:41], vcc, s[6:7]
	s_add_u32 s6, s38, 1
	s_addc_u32 s7, s39, 0
	s_andn2_b64 s[36:37], s[36:37], exec
	s_and_b64 s[40:41], s[40:41], exec
	s_or_b64 s[36:37], s[36:37], s[40:41]
.LBB1092_222:                           ;   in Loop: Header=BB1092_223 Depth=1
	s_and_b64 s[40:41], exec, s[36:37]
	s_or_b64 s[18:19], s[40:41], s[18:19]
	v_mov_b64_e32 v[36:37], s[38:39]
	s_mov_b64 s[38:39], s[6:7]
	s_andn2_b64 exec, exec, s[18:19]
	s_cbranch_execz .LBB1092_225
.LBB1092_223:                           ; =>This Inner Loop Header: Depth=1
	s_or_b64 s[36:37], s[36:37], exec
	s_cmp_eq_u64 s[26:27], s[38:39]
	s_cbranch_scc0 .LBB1092_221
; %bb.224:                              ;   in Loop: Header=BB1092_223 Depth=1
                                        ; implicit-def: $sgpr6_sgpr7
	s_mov_b64 s[38:39], s[26:27]
	s_branch .LBB1092_222
.LBB1092_225:
	s_or_b64 exec, exec, s[18:19]
	v_cmp_gt_i64_e32 vcc, s[26:27], v[36:37]
	s_orn2_b64 s[6:7], vcc, exec
.LBB1092_226:
	s_or_b64 exec, exec, s[8:9]
	s_branch .LBB1092_228
.LBB1092_227:
	v_mov_b32_e32 v30, 8
	v_lshrrev_b32_sdwa v31, v30, v46 dst_sel:BYTE_1 dst_unused:UNUSED_PAD src0_sel:DWORD src1_sel:DWORD
	v_lshrrev_b32_sdwa v30, v30, v39 dst_sel:BYTE_1 dst_unused:UNUSED_PAD src0_sel:DWORD src1_sel:DWORD
	v_or_b32_sdwa v31, v46, v31 dst_sel:DWORD dst_unused:UNUSED_PAD src0_sel:BYTE_0 src1_sel:DWORD
	v_or_b32_sdwa v30, v39, v30 dst_sel:DWORD dst_unused:UNUSED_PAD src0_sel:BYTE_0 src1_sel:DWORD
	v_and_b32_e32 v31, 0xffff, v31
	v_bfe_u32 v32, v46, 16, 8
	v_and_b32_e32 v30, 0xffff, v30
	s_mov_b32 s8, 0xff000000
	v_lshl_or_b32 v33, v32, 16, v31
	v_and_or_b32 v32, v39, s8, v30
	s_andn2_b64 s[6:7], s[6:7], exec
.LBB1092_228:
	v_mov_b32_e32 v31, 8
	v_lshrrev_b32_sdwa v31, v31, v33 dst_sel:BYTE_1 dst_unused:UNUSED_PAD src0_sel:DWORD src1_sel:DWORD
	v_cndmask_b32_e64 v30, 0, 1, s[6:7]
	v_or_b32_sdwa v31, v33, v31 dst_sel:DWORD dst_unused:UNUSED_PAD src0_sel:BYTE_0 src1_sel:DWORD
	v_and_b32_e32 v31, 0xffff, v31
	v_bfe_u32 v33, v33, 16, 8
	s_movk_i32 s6, 0xff
	v_lshl_or_b32 v31, v33, 16, v31
	v_lshrrev_b32_e32 v33, 24, v32
	v_lshlrev_b16_e32 v33, 8, v33
	v_and_b32_sdwa v32, v32, s6 dst_sel:DWORD dst_unused:UNUSED_PAD src0_sel:WORD_1 src1_sel:DWORD
	v_lshlrev_b16_e32 v30, 8, v30
	v_or_b32_sdwa v32, v32, v33 dst_sel:WORD_1 dst_unused:UNUSED_PAD src0_sel:DWORD src1_sel:DWORD
	v_or_b32_e32 v30, 1, v30
	v_or_b32_sdwa v30, v30, v32 dst_sel:DWORD dst_unused:UNUSED_PAD src0_sel:WORD_0 src1_sel:DWORD
	v_cmp_ne_u32_e32 vcc, 0, v0
	s_waitcnt lgkmcnt(0)
	s_barrier
	s_waitcnt lgkmcnt(0)
                                        ; implicit-def: $sgpr36_sgpr37
                                        ; implicit-def: $vgpr46
                                        ; implicit-def: $vgpr32
                                        ; implicit-def: $vgpr33
                                        ; implicit-def: $vgpr34
	s_and_saveexec_b64 s[6:7], vcc
	s_xor_b64 s[6:7], exec, s[6:7]
	s_cbranch_execz .LBB1092_239
; %bb.229:
	s_mov_b32 s33, 0x3020104
	s_and_b64 vcc, exec, s[4:5]
	s_mov_b64 s[4:5], 0
	s_cbranch_vccnz .LBB1092_238
; %bb.230:
	v_add_u32_e32 v32, -8, v38
	ds_read_b64 v[32:33], v32
	v_mov_b64_e32 v[34:35], s[28:29]
	s_waitcnt lgkmcnt(0)
	v_mul_lo_u32 v36, v32, s27
	v_mul_lo_u32 v37, v33, s26
	v_mad_u64_u32 v[32:33], s[4:5], v32, s26, v[34:35]
	v_add3_u32 v33, v37, v33, v36
	v_mad_u64_u32 v[34:35], s[4:5], v22, s26, v[34:35]
	v_mul_lo_u32 v36, v22, s27
	v_mul_lo_u32 v37, v23, s26
	v_add3_u32 v35, v37, v35, v36
	global_load_ubyte v36, v[32:33], off
	global_load_ubyte v37, v[34:35], off
	s_waitcnt vmcnt(1)
	v_cmp_ne_u16_e32 vcc, 0, v36
	s_waitcnt vmcnt(0)
	v_cmp_ne_u16_e64 s[4:5], 0, v37
	s_xor_b64 s[8:9], vcc, s[4:5]
	s_mov_b64 s[4:5], -1
	s_xor_b64 s[18:19], s[8:9], -1
	s_and_saveexec_b64 s[8:9], s[18:19]
	s_cbranch_execz .LBB1092_237
; %bb.231:
	s_mov_b64 s[38:39], 1
	s_mov_b64 s[18:19], 0
                                        ; implicit-def: $sgpr36_sgpr37
	s_branch .LBB1092_234
.LBB1092_232:                           ;   in Loop: Header=BB1092_234 Depth=1
	v_lshl_add_u64 v[36:37], v[32:33], 0, s[38:39]
	v_lshl_add_u64 v[46:47], v[34:35], 0, s[38:39]
	global_load_ubyte v39, v[36:37], off
	global_load_ubyte v48, v[46:47], off
	s_waitcnt vmcnt(1)
	v_cmp_ne_u16_e32 vcc, 0, v39
	s_waitcnt vmcnt(0)
	v_cmp_ne_u16_e64 s[4:5], 0, v48
	s_xor_b64 s[40:41], vcc, s[4:5]
	s_add_u32 s4, s38, 1
	s_addc_u32 s5, s39, 0
	s_andn2_b64 s[36:37], s[36:37], exec
	s_and_b64 s[40:41], s[40:41], exec
	s_or_b64 s[36:37], s[36:37], s[40:41]
.LBB1092_233:                           ;   in Loop: Header=BB1092_234 Depth=1
	s_and_b64 s[40:41], exec, s[36:37]
	s_or_b64 s[18:19], s[40:41], s[18:19]
	v_mov_b64_e32 v[36:37], s[38:39]
	s_mov_b64 s[38:39], s[4:5]
	s_andn2_b64 exec, exec, s[18:19]
	s_cbranch_execz .LBB1092_236
.LBB1092_234:                           ; =>This Inner Loop Header: Depth=1
	s_or_b64 s[36:37], s[36:37], exec
	s_cmp_eq_u64 s[26:27], s[38:39]
	s_cbranch_scc0 .LBB1092_232
; %bb.235:                              ;   in Loop: Header=BB1092_234 Depth=1
                                        ; implicit-def: $sgpr4_sgpr5
	s_mov_b64 s[38:39], s[26:27]
	s_branch .LBB1092_233
.LBB1092_236:
	s_or_b64 exec, exec, s[18:19]
	v_cmp_gt_i64_e32 vcc, s[26:27], v[36:37]
	s_orn2_b64 s[4:5], vcc, exec
.LBB1092_237:
	s_or_b64 exec, exec, s[8:9]
.LBB1092_238:
	v_perm_b32 v34, v30, v30, s33
	v_lshrrev_b32_e32 v32, 8, v31
	v_lshrrev_b32_e32 v46, 16, v31
	s_and_b64 s[36:37], s[4:5], exec
	s_or_b64 s[12:13], s[12:13], exec
	v_mov_b32_e32 v33, v31
                                        ; implicit-def: $vgpr30_vgpr31
.LBB1092_239:
	s_or_b64 exec, exec, s[6:7]
	s_branch .LBB1092_306
.LBB1092_240:
	v_cmp_gt_u32_e32 vcc, s3, v42
	s_xor_b64 s[6:7], s[14:15], -1
	s_mov_b64 s[36:37], -1
	s_and_b64 s[4:5], vcc, s[6:7]
	s_mov_b64 s[14:15], 0
	v_mul_lo_u32 v39, v16, s27
	v_mul_lo_u32 v46, v17, s26
	s_mov_b64 s[8:9], 0
	s_and_saveexec_b64 s[18:19], s[4:5]
	s_cbranch_execz .LBB1092_249
; %bb.241:
	v_mov_b64_e32 v[32:33], s[28:29]
	v_mad_u64_u32 v[30:31], s[4:5], v16, s26, v[32:33]
	v_add3_u32 v31, v46, v31, v39
	v_mad_u64_u32 v[32:33], s[4:5], v28, s26, v[32:33]
	v_mul_lo_u32 v34, v28, s27
	v_mul_lo_u32 v35, v29, s26
	v_add3_u32 v33, v35, v33, v34
	global_load_ubyte v34, v[30:31], off
	global_load_ubyte v35, v[32:33], off
	s_waitcnt vmcnt(1)
	v_cmp_ne_u16_e32 vcc, 0, v34
	s_waitcnt vmcnt(0)
	v_cmp_ne_u16_e64 s[4:5], 0, v35
	s_xor_b64 s[4:5], vcc, s[4:5]
	s_xor_b64 s[4:5], s[4:5], -1
	s_and_saveexec_b64 s[8:9], s[4:5]
	s_cbranch_execz .LBB1092_248
; %bb.242:
	s_mov_b64 s[40:41], 1
	s_mov_b64 s[36:37], 0
                                        ; implicit-def: $sgpr38_sgpr39
	s_branch .LBB1092_245
.LBB1092_243:                           ;   in Loop: Header=BB1092_245 Depth=1
	v_lshl_add_u64 v[34:35], v[30:31], 0, s[40:41]
	v_lshl_add_u64 v[36:37], v[32:33], 0, s[40:41]
	global_load_ubyte v47, v[34:35], off
	global_load_ubyte v48, v[36:37], off
	s_waitcnt vmcnt(1)
	v_cmp_ne_u16_e32 vcc, 0, v47
	s_waitcnt vmcnt(0)
	v_cmp_ne_u16_e64 s[4:5], 0, v48
	s_xor_b64 s[42:43], vcc, s[4:5]
	s_add_u32 s4, s40, 1
	s_addc_u32 s5, s41, 0
	s_andn2_b64 s[38:39], s[38:39], exec
	s_and_b64 s[42:43], s[42:43], exec
	s_or_b64 s[38:39], s[38:39], s[42:43]
.LBB1092_244:                           ;   in Loop: Header=BB1092_245 Depth=1
	s_and_b64 s[42:43], exec, s[38:39]
	s_or_b64 s[36:37], s[42:43], s[36:37]
	v_mov_b64_e32 v[34:35], s[40:41]
	s_mov_b64 s[40:41], s[4:5]
	s_andn2_b64 exec, exec, s[36:37]
	s_cbranch_execz .LBB1092_247
.LBB1092_245:                           ; =>This Inner Loop Header: Depth=1
	s_or_b64 s[38:39], s[38:39], exec
	s_cmp_eq_u64 s[26:27], s[40:41]
	s_cbranch_scc0 .LBB1092_243
; %bb.246:                              ;   in Loop: Header=BB1092_245 Depth=1
                                        ; implicit-def: $sgpr4_sgpr5
	s_mov_b64 s[40:41], s[26:27]
	s_branch .LBB1092_244
.LBB1092_247:
	s_or_b64 exec, exec, s[36:37]
	v_cmp_gt_i64_e32 vcc, s[26:27], v[34:35]
	s_orn2_b64 s[36:37], vcc, exec
.LBB1092_248:
	s_or_b64 exec, exec, s[8:9]
	s_and_b64 s[8:9], s[36:37], exec
.LBB1092_249:
	s_or_b64 exec, exec, s[18:19]
	v_cmp_gt_u32_e32 vcc, s3, v45
	s_and_b64 s[4:5], vcc, s[6:7]
	v_mul_lo_u32 v36, v14, s27
	v_mul_lo_u32 v37, v15, s26
	s_and_saveexec_b64 s[18:19], s[4:5]
	s_cbranch_execz .LBB1092_258
; %bb.250:
	v_mov_b64_e32 v[32:33], s[28:29]
	v_mad_u64_u32 v[30:31], s[4:5], v14, s26, v[32:33]
	v_add3_u32 v31, v37, v31, v36
	v_mad_u64_u32 v[32:33], s[4:5], v16, s26, v[32:33]
	v_add3_u32 v33, v46, v33, v39
	global_load_ubyte v34, v[30:31], off
	global_load_ubyte v35, v[32:33], off
	s_waitcnt vmcnt(1)
	v_cmp_ne_u16_e32 vcc, 0, v34
	s_waitcnt vmcnt(0)
	v_cmp_ne_u16_e64 s[4:5], 0, v35
	s_xor_b64 s[14:15], vcc, s[4:5]
	s_mov_b64 s[4:5], -1
	s_xor_b64 s[36:37], s[14:15], -1
	s_and_saveexec_b64 s[14:15], s[36:37]
	s_cbranch_execz .LBB1092_257
; %bb.251:
	s_mov_b64 s[40:41], 1
	s_mov_b64 s[36:37], 0
                                        ; implicit-def: $sgpr38_sgpr39
	s_branch .LBB1092_254
.LBB1092_252:                           ;   in Loop: Header=BB1092_254 Depth=1
	v_lshl_add_u64 v[34:35], v[30:31], 0, s[40:41]
	v_lshl_add_u64 v[46:47], v[32:33], 0, s[40:41]
	global_load_ubyte v39, v[34:35], off
	global_load_ubyte v48, v[46:47], off
	s_waitcnt vmcnt(1)
	v_cmp_ne_u16_e32 vcc, 0, v39
	s_waitcnt vmcnt(0)
	v_cmp_ne_u16_e64 s[4:5], 0, v48
	s_xor_b64 s[42:43], vcc, s[4:5]
	s_add_u32 s4, s40, 1
	s_addc_u32 s5, s41, 0
	s_andn2_b64 s[38:39], s[38:39], exec
	s_and_b64 s[42:43], s[42:43], exec
	s_or_b64 s[38:39], s[38:39], s[42:43]
.LBB1092_253:                           ;   in Loop: Header=BB1092_254 Depth=1
	s_and_b64 s[42:43], exec, s[38:39]
	s_or_b64 s[36:37], s[42:43], s[36:37]
	v_mov_b64_e32 v[34:35], s[40:41]
	s_mov_b64 s[40:41], s[4:5]
	s_andn2_b64 exec, exec, s[36:37]
	s_cbranch_execz .LBB1092_256
.LBB1092_254:                           ; =>This Inner Loop Header: Depth=1
	s_or_b64 s[38:39], s[38:39], exec
	s_cmp_eq_u64 s[26:27], s[40:41]
	s_cbranch_scc0 .LBB1092_252
; %bb.255:                              ;   in Loop: Header=BB1092_254 Depth=1
                                        ; implicit-def: $sgpr4_sgpr5
	s_mov_b64 s[40:41], s[26:27]
	s_branch .LBB1092_253
.LBB1092_256:
	s_or_b64 exec, exec, s[36:37]
	v_cmp_gt_i64_e32 vcc, s[26:27], v[34:35]
	s_orn2_b64 s[4:5], vcc, exec
.LBB1092_257:
	s_or_b64 exec, exec, s[14:15]
	s_and_b64 s[14:15], s[4:5], exec
.LBB1092_258:
	s_or_b64 exec, exec, s[18:19]
	v_cmp_gt_u32_e32 vcc, s3, v41
	s_mov_b64 s[40:41], -1
	s_and_b64 s[4:5], vcc, s[6:7]
	s_mov_b64 s[18:19], 0
	v_mul_lo_u32 v39, v20, s27
	v_mul_lo_u32 v46, v21, s26
	s_mov_b64 s[36:37], 0
	s_and_saveexec_b64 s[38:39], s[4:5]
	s_cbranch_execz .LBB1092_267
; %bb.259:
	v_mov_b64_e32 v[32:33], s[28:29]
	v_mad_u64_u32 v[30:31], s[4:5], v20, s26, v[32:33]
	v_add3_u32 v31, v46, v31, v39
	v_mad_u64_u32 v[32:33], s[4:5], v14, s26, v[32:33]
	v_add3_u32 v33, v37, v33, v36
	global_load_ubyte v34, v[30:31], off
	global_load_ubyte v35, v[32:33], off
	s_waitcnt vmcnt(1)
	v_cmp_ne_u16_e32 vcc, 0, v34
	s_waitcnt vmcnt(0)
	v_cmp_ne_u16_e64 s[4:5], 0, v35
	s_xor_b64 s[4:5], vcc, s[4:5]
	s_xor_b64 s[4:5], s[4:5], -1
	s_and_saveexec_b64 s[36:37], s[4:5]
	s_cbranch_execz .LBB1092_266
; %bb.260:
	s_mov_b64 s[44:45], 1
	s_mov_b64 s[40:41], 0
                                        ; implicit-def: $sgpr42_sgpr43
	s_branch .LBB1092_263
.LBB1092_261:                           ;   in Loop: Header=BB1092_263 Depth=1
	v_lshl_add_u64 v[34:35], v[30:31], 0, s[44:45]
	v_lshl_add_u64 v[36:37], v[32:33], 0, s[44:45]
	global_load_ubyte v47, v[34:35], off
	global_load_ubyte v48, v[36:37], off
	s_waitcnt vmcnt(1)
	v_cmp_ne_u16_e32 vcc, 0, v47
	s_waitcnt vmcnt(0)
	v_cmp_ne_u16_e64 s[4:5], 0, v48
	s_xor_b64 s[46:47], vcc, s[4:5]
	s_add_u32 s4, s44, 1
	s_addc_u32 s5, s45, 0
	s_andn2_b64 s[42:43], s[42:43], exec
	s_and_b64 s[46:47], s[46:47], exec
	s_or_b64 s[42:43], s[42:43], s[46:47]
.LBB1092_262:                           ;   in Loop: Header=BB1092_263 Depth=1
	s_and_b64 s[46:47], exec, s[42:43]
	s_or_b64 s[40:41], s[46:47], s[40:41]
	v_mov_b64_e32 v[34:35], s[44:45]
	s_mov_b64 s[44:45], s[4:5]
	s_andn2_b64 exec, exec, s[40:41]
	s_cbranch_execz .LBB1092_265
.LBB1092_263:                           ; =>This Inner Loop Header: Depth=1
	s_or_b64 s[42:43], s[42:43], exec
	s_cmp_eq_u64 s[26:27], s[44:45]
	s_cbranch_scc0 .LBB1092_261
; %bb.264:                              ;   in Loop: Header=BB1092_263 Depth=1
                                        ; implicit-def: $sgpr4_sgpr5
	s_mov_b64 s[44:45], s[26:27]
	s_branch .LBB1092_262
.LBB1092_265:
	s_or_b64 exec, exec, s[40:41]
	v_cmp_gt_i64_e32 vcc, s[26:27], v[34:35]
	s_orn2_b64 s[40:41], vcc, exec
.LBB1092_266:
	s_or_b64 exec, exec, s[36:37]
	s_and_b64 s[36:37], s[40:41], exec
.LBB1092_267:
	s_or_b64 exec, exec, s[38:39]
	v_cmp_gt_u32_e32 vcc, s3, v44
	s_and_b64 s[4:5], vcc, s[6:7]
	v_mul_lo_u32 v36, v18, s27
	v_mul_lo_u32 v37, v19, s26
	s_and_saveexec_b64 s[38:39], s[4:5]
	s_cbranch_execz .LBB1092_276
; %bb.268:
	v_mov_b64_e32 v[32:33], s[28:29]
	v_mad_u64_u32 v[30:31], s[4:5], v18, s26, v[32:33]
	v_add3_u32 v31, v37, v31, v36
	v_mad_u64_u32 v[32:33], s[4:5], v20, s26, v[32:33]
	v_add3_u32 v33, v46, v33, v39
	global_load_ubyte v34, v[30:31], off
	global_load_ubyte v35, v[32:33], off
	s_waitcnt vmcnt(1)
	v_cmp_ne_u16_e32 vcc, 0, v34
	s_waitcnt vmcnt(0)
	v_cmp_ne_u16_e64 s[4:5], 0, v35
	s_xor_b64 s[18:19], vcc, s[4:5]
	s_mov_b64 s[4:5], -1
	s_xor_b64 s[40:41], s[18:19], -1
	s_and_saveexec_b64 s[18:19], s[40:41]
	s_cbranch_execz .LBB1092_275
; %bb.269:
	s_mov_b64 s[44:45], 1
	s_mov_b64 s[40:41], 0
                                        ; implicit-def: $sgpr42_sgpr43
	s_branch .LBB1092_272
.LBB1092_270:                           ;   in Loop: Header=BB1092_272 Depth=1
	v_lshl_add_u64 v[34:35], v[30:31], 0, s[44:45]
	v_lshl_add_u64 v[46:47], v[32:33], 0, s[44:45]
	global_load_ubyte v39, v[34:35], off
	global_load_ubyte v48, v[46:47], off
	s_waitcnt vmcnt(1)
	v_cmp_ne_u16_e32 vcc, 0, v39
	s_waitcnt vmcnt(0)
	v_cmp_ne_u16_e64 s[4:5], 0, v48
	s_xor_b64 s[46:47], vcc, s[4:5]
	s_add_u32 s4, s44, 1
	s_addc_u32 s5, s45, 0
	s_andn2_b64 s[42:43], s[42:43], exec
	s_and_b64 s[46:47], s[46:47], exec
	s_or_b64 s[42:43], s[42:43], s[46:47]
.LBB1092_271:                           ;   in Loop: Header=BB1092_272 Depth=1
	s_and_b64 s[46:47], exec, s[42:43]
	s_or_b64 s[40:41], s[46:47], s[40:41]
	v_mov_b64_e32 v[34:35], s[44:45]
	s_mov_b64 s[44:45], s[4:5]
	s_andn2_b64 exec, exec, s[40:41]
	s_cbranch_execz .LBB1092_274
.LBB1092_272:                           ; =>This Inner Loop Header: Depth=1
	s_or_b64 s[42:43], s[42:43], exec
	s_cmp_eq_u64 s[26:27], s[44:45]
	s_cbranch_scc0 .LBB1092_270
; %bb.273:                              ;   in Loop: Header=BB1092_272 Depth=1
                                        ; implicit-def: $sgpr4_sgpr5
	s_mov_b64 s[44:45], s[26:27]
	s_branch .LBB1092_271
.LBB1092_274:
	s_or_b64 exec, exec, s[40:41]
	v_cmp_gt_i64_e32 vcc, s[26:27], v[34:35]
	s_orn2_b64 s[4:5], vcc, exec
.LBB1092_275:
	s_or_b64 exec, exec, s[18:19]
	s_and_b64 s[18:19], s[4:5], exec
.LBB1092_276:
	s_or_b64 exec, exec, s[38:39]
	v_cmp_gt_u32_e32 vcc, s3, v40
	s_mov_b64 s[44:45], -1
	s_and_b64 s[4:5], vcc, s[6:7]
	s_mov_b64 s[38:39], 0
	v_mul_lo_u32 v39, v24, s27
	v_mul_lo_u32 v46, v25, s26
	s_mov_b64 s[40:41], 0
	s_and_saveexec_b64 s[42:43], s[4:5]
	s_cbranch_execz .LBB1092_285
; %bb.277:
	v_mov_b64_e32 v[32:33], s[28:29]
	v_mad_u64_u32 v[30:31], s[4:5], v24, s26, v[32:33]
	v_add3_u32 v31, v46, v31, v39
	v_mad_u64_u32 v[32:33], s[4:5], v18, s26, v[32:33]
	v_add3_u32 v33, v37, v33, v36
	global_load_ubyte v34, v[30:31], off
	global_load_ubyte v35, v[32:33], off
	s_waitcnt vmcnt(1)
	v_cmp_ne_u16_e32 vcc, 0, v34
	s_waitcnt vmcnt(0)
	v_cmp_ne_u16_e64 s[4:5], 0, v35
	s_xor_b64 s[4:5], vcc, s[4:5]
	s_xor_b64 s[4:5], s[4:5], -1
	s_and_saveexec_b64 s[40:41], s[4:5]
	s_cbranch_execz .LBB1092_284
; %bb.278:
	s_mov_b64 s[48:49], 1
	s_mov_b64 s[44:45], 0
                                        ; implicit-def: $sgpr46_sgpr47
	s_branch .LBB1092_281
.LBB1092_279:                           ;   in Loop: Header=BB1092_281 Depth=1
	v_lshl_add_u64 v[34:35], v[30:31], 0, s[48:49]
	v_lshl_add_u64 v[36:37], v[32:33], 0, s[48:49]
	global_load_ubyte v47, v[34:35], off
	global_load_ubyte v48, v[36:37], off
	s_waitcnt vmcnt(1)
	v_cmp_ne_u16_e32 vcc, 0, v47
	s_waitcnt vmcnt(0)
	v_cmp_ne_u16_e64 s[4:5], 0, v48
	s_xor_b64 s[50:51], vcc, s[4:5]
	s_add_u32 s4, s48, 1
	s_addc_u32 s5, s49, 0
	s_andn2_b64 s[46:47], s[46:47], exec
	s_and_b64 s[50:51], s[50:51], exec
	s_or_b64 s[46:47], s[46:47], s[50:51]
.LBB1092_280:                           ;   in Loop: Header=BB1092_281 Depth=1
	s_and_b64 s[50:51], exec, s[46:47]
	s_or_b64 s[44:45], s[50:51], s[44:45]
	v_mov_b64_e32 v[34:35], s[48:49]
	s_mov_b64 s[48:49], s[4:5]
	s_andn2_b64 exec, exec, s[44:45]
	s_cbranch_execz .LBB1092_283
.LBB1092_281:                           ; =>This Inner Loop Header: Depth=1
	s_or_b64 s[46:47], s[46:47], exec
	s_cmp_eq_u64 s[26:27], s[48:49]
	s_cbranch_scc0 .LBB1092_279
; %bb.282:                              ;   in Loop: Header=BB1092_281 Depth=1
                                        ; implicit-def: $sgpr4_sgpr5
	s_mov_b64 s[48:49], s[26:27]
	s_branch .LBB1092_280
.LBB1092_283:
	s_or_b64 exec, exec, s[44:45]
	v_cmp_gt_i64_e32 vcc, s[26:27], v[34:35]
	s_orn2_b64 s[44:45], vcc, exec
.LBB1092_284:
	s_or_b64 exec, exec, s[40:41]
	s_and_b64 s[40:41], s[44:45], exec
.LBB1092_285:
	s_or_b64 exec, exec, s[42:43]
	v_cmp_gt_u32_e32 vcc, s3, v43
	s_and_b64 s[4:5], vcc, s[6:7]
	s_and_saveexec_b64 s[42:43], s[4:5]
	s_cbranch_execz .LBB1092_294
; %bb.286:
	v_mov_b64_e32 v[32:33], s[28:29]
	v_mad_u64_u32 v[30:31], s[4:5], v22, s26, v[32:33]
	v_mul_lo_u32 v34, v22, s27
	v_mul_lo_u32 v35, v23, s26
	v_add3_u32 v31, v35, v31, v34
	v_mad_u64_u32 v[32:33], s[4:5], v24, s26, v[32:33]
	v_add3_u32 v33, v46, v33, v39
	global_load_ubyte v34, v[30:31], off
	global_load_ubyte v35, v[32:33], off
	s_waitcnt vmcnt(1)
	v_cmp_ne_u16_e32 vcc, 0, v34
	s_waitcnt vmcnt(0)
	v_cmp_ne_u16_e64 s[4:5], 0, v35
	s_xor_b64 s[38:39], vcc, s[4:5]
	s_mov_b64 s[4:5], -1
	s_xor_b64 s[44:45], s[38:39], -1
	s_and_saveexec_b64 s[38:39], s[44:45]
	s_cbranch_execz .LBB1092_293
; %bb.287:
	s_mov_b64 s[48:49], 1
	s_mov_b64 s[44:45], 0
                                        ; implicit-def: $sgpr46_sgpr47
	s_branch .LBB1092_290
.LBB1092_288:                           ;   in Loop: Header=BB1092_290 Depth=1
	v_lshl_add_u64 v[34:35], v[30:31], 0, s[48:49]
	v_lshl_add_u64 v[36:37], v[32:33], 0, s[48:49]
	global_load_ubyte v39, v[34:35], off
	global_load_ubyte v46, v[36:37], off
	s_waitcnt vmcnt(1)
	v_cmp_ne_u16_e32 vcc, 0, v39
	s_waitcnt vmcnt(0)
	v_cmp_ne_u16_e64 s[4:5], 0, v46
	s_xor_b64 s[50:51], vcc, s[4:5]
	s_add_u32 s4, s48, 1
	s_addc_u32 s5, s49, 0
	s_andn2_b64 s[46:47], s[46:47], exec
	s_and_b64 s[50:51], s[50:51], exec
	s_or_b64 s[46:47], s[46:47], s[50:51]
.LBB1092_289:                           ;   in Loop: Header=BB1092_290 Depth=1
	s_and_b64 s[50:51], exec, s[46:47]
	s_or_b64 s[44:45], s[50:51], s[44:45]
	v_mov_b64_e32 v[34:35], s[48:49]
	s_mov_b64 s[48:49], s[4:5]
	s_andn2_b64 exec, exec, s[44:45]
	s_cbranch_execz .LBB1092_292
.LBB1092_290:                           ; =>This Inner Loop Header: Depth=1
	s_or_b64 s[46:47], s[46:47], exec
	s_cmp_eq_u64 s[26:27], s[48:49]
	s_cbranch_scc0 .LBB1092_288
; %bb.291:                              ;   in Loop: Header=BB1092_290 Depth=1
                                        ; implicit-def: $sgpr4_sgpr5
	s_mov_b64 s[48:49], s[26:27]
	s_branch .LBB1092_289
.LBB1092_292:
	s_or_b64 exec, exec, s[44:45]
	v_cmp_gt_i64_e32 vcc, s[26:27], v[34:35]
	s_orn2_b64 s[4:5], vcc, exec
.LBB1092_293:
	s_or_b64 exec, exec, s[38:39]
	s_and_b64 s[38:39], s[4:5], exec
.LBB1092_294:
	s_or_b64 exec, exec, s[42:43]
	v_cndmask_b32_e64 v31, 0, 1, s[18:19]
	v_cndmask_b32_e64 v30, 0, 1, s[40:41]
	v_cndmask_b32_e64 v32, 0, 1, s[14:15]
	v_lshlrev_b16_e32 v31, 8, v31
	v_cndmask_b32_e64 v33, 0, 1, s[36:37]
	v_cndmask_b32_e64 v34, 0, 1, s[38:39]
	v_or_b32_sdwa v30, v30, v31 dst_sel:WORD_1 dst_unused:UNUSED_PAD src0_sel:DWORD src1_sel:DWORD
	v_lshlrev_b16_e32 v31, 8, v32
	v_lshlrev_b16_e32 v34, 8, v34
	v_or_b32_e32 v31, v33, v31
	v_or_b32_e32 v34, 1, v34
	v_and_b32_e32 v31, 0xffff, v31
	v_cndmask_b32_e64 v46, 0, 1, s[8:9]
	v_or_b32_sdwa v30, v34, v30 dst_sel:DWORD dst_unused:UNUSED_PAD src0_sel:WORD_0 src1_sel:DWORD
	v_lshl_or_b32 v31, v46, 16, v31
	v_cmp_ne_u32_e32 vcc, 0, v0
	s_waitcnt lgkmcnt(0)
	s_barrier
	s_waitcnt lgkmcnt(0)
                                        ; implicit-def: $sgpr36_sgpr37
                                        ; implicit-def: $vgpr34
	s_and_saveexec_b64 s[8:9], vcc
	s_cbranch_execz .LBB1092_305
; %bb.295:
	v_cmp_gt_u32_e32 vcc, s3, v1
	s_mov_b64 s[18:19], -1
	s_and_b64 s[14:15], vcc, s[6:7]
	s_mov_b32 s33, 0x3020104
	s_mov_b64 s[4:5], 0
	s_and_saveexec_b64 s[6:7], s[14:15]
	s_cbranch_execz .LBB1092_304
; %bb.296:
	v_add_u32_e32 v31, -8, v38
	ds_read_b64 v[34:35], v31
	v_mov_b64_e32 v[36:37], s[28:29]
	s_waitcnt lgkmcnt(0)
	v_mul_lo_u32 v31, v34, s27
	v_mul_lo_u32 v38, v35, s26
	v_mad_u64_u32 v[34:35], s[4:5], v34, s26, v[36:37]
	v_add3_u32 v35, v38, v35, v31
	v_mad_u64_u32 v[36:37], s[4:5], v22, s26, v[36:37]
	v_mul_lo_u32 v31, v22, s27
	v_mul_lo_u32 v38, v23, s26
	v_add3_u32 v37, v38, v37, v31
	global_load_ubyte v31, v[34:35], off
	global_load_ubyte v38, v[36:37], off
	s_waitcnt vmcnt(1)
	v_cmp_ne_u16_e32 vcc, 0, v31
	s_waitcnt vmcnt(0)
	v_cmp_ne_u16_e64 s[4:5], 0, v38
	s_xor_b64 s[4:5], vcc, s[4:5]
	s_xor_b64 s[4:5], s[4:5], -1
	s_and_saveexec_b64 s[14:15], s[4:5]
	s_cbranch_execz .LBB1092_303
; %bb.297:
	s_mov_b64 s[36:37], 1
	s_mov_b64 s[18:19], 0
                                        ; implicit-def: $sgpr28_sgpr29
	s_branch .LBB1092_300
.LBB1092_298:                           ;   in Loop: Header=BB1092_300 Depth=1
	v_lshl_add_u64 v[38:39], v[34:35], 0, s[36:37]
	v_lshl_add_u64 v[48:49], v[36:37], 0, s[36:37]
	global_load_ubyte v31, v[38:39], off
	global_load_ubyte v47, v[48:49], off
	s_waitcnt vmcnt(1)
	v_cmp_ne_u16_e32 vcc, 0, v31
	s_waitcnt vmcnt(0)
	v_cmp_ne_u16_e64 s[4:5], 0, v47
	s_xor_b64 s[38:39], vcc, s[4:5]
	s_add_u32 s4, s36, 1
	s_addc_u32 s5, s37, 0
	s_andn2_b64 s[28:29], s[28:29], exec
	s_and_b64 s[38:39], s[38:39], exec
	s_or_b64 s[28:29], s[28:29], s[38:39]
.LBB1092_299:                           ;   in Loop: Header=BB1092_300 Depth=1
	s_and_b64 s[38:39], exec, s[28:29]
	s_or_b64 s[18:19], s[38:39], s[18:19]
	v_mov_b64_e32 v[38:39], s[36:37]
	s_mov_b64 s[36:37], s[4:5]
	s_andn2_b64 exec, exec, s[18:19]
	s_cbranch_execz .LBB1092_302
.LBB1092_300:                           ; =>This Inner Loop Header: Depth=1
	s_or_b64 s[28:29], s[28:29], exec
	s_cmp_eq_u64 s[26:27], s[36:37]
	s_cbranch_scc0 .LBB1092_298
; %bb.301:                              ;   in Loop: Header=BB1092_300 Depth=1
                                        ; implicit-def: $sgpr4_sgpr5
	s_mov_b64 s[36:37], s[26:27]
	s_branch .LBB1092_299
.LBB1092_302:
	s_or_b64 exec, exec, s[18:19]
	v_cmp_gt_i64_e32 vcc, s[26:27], v[38:39]
	s_orn2_b64 s[18:19], vcc, exec
.LBB1092_303:
	s_or_b64 exec, exec, s[14:15]
	s_and_b64 s[4:5], s[18:19], exec
.LBB1092_304:
	s_or_b64 exec, exec, s[6:7]
	v_perm_b32 v34, v30, v30, s33
	s_and_b64 s[36:37], s[4:5], exec
	s_or_b64 s[12:13], s[12:13], exec
                                        ; implicit-def: $vgpr30_vgpr31
.LBB1092_305:
	s_or_b64 exec, exec, s[8:9]
.LBB1092_306:
	s_and_saveexec_b64 s[4:5], s[12:13]
	s_cbranch_execz .LBB1092_308
; %bb.307:
	v_lshlrev_b16_e32 v31, 8, v32
	v_and_b32_e32 v32, 0xff, v46
	v_or_b32_sdwa v31, v33, v31 dst_sel:DWORD dst_unused:UNUSED_PAD src0_sel:BYTE_0 src1_sel:DWORD
	v_lshlrev_b32_e32 v32, 16, v32
	s_movk_i32 s6, 0xff
	v_or_b32_sdwa v31, v31, v32 dst_sel:DWORD dst_unused:UNUSED_PAD src0_sel:WORD_0 src1_sel:DWORD
	v_lshrrev_b32_e32 v32, 24, v34
	v_lshlrev_b16_e32 v32, 8, v32
	v_and_b32_sdwa v33, v34, s6 dst_sel:DWORD dst_unused:UNUSED_PAD src0_sel:WORD_1 src1_sel:DWORD
	v_or_b32_sdwa v32, v33, v32 dst_sel:WORD_1 dst_unused:UNUSED_PAD src0_sel:DWORD src1_sel:DWORD
	v_mov_b32_e32 v33, 8
	v_cndmask_b32_e64 v30, 0, 1, s[36:37]
	v_lshrrev_b32_sdwa v33, v33, v34 dst_sel:BYTE_1 dst_unused:UNUSED_PAD src0_sel:DWORD src1_sel:DWORD
	s_nop 0
	v_or_b32_e32 v30, v30, v33
	v_or_b32_sdwa v30, v30, v32 dst_sel:DWORD dst_unused:UNUSED_PAD src0_sel:WORD_0 src1_sel:DWORD
.LBB1092_308:
	s_or_b64 exec, exec, s[4:5]
	s_andn2_b64 vcc, exec, s[10:11]
	s_cbranch_vccnz .LBB1092_310
; %bb.309:
	v_and_b32_e32 v32, 0xffff0000, v30
	v_cmp_gt_u32_e32 vcc, s3, v1
	s_mov_b32 s4, 0x40c0100
	s_nop 0
	v_cndmask_b32_e32 v1, v32, v30, vcc
	v_and_b32_e32 v1, 0xffff00ff, v1
	v_cmp_gt_u32_e32 vcc, s3, v43
	s_nop 1
	v_cndmask_b32_e32 v1, v1, v30, vcc
	v_lshrrev_b32_e32 v32, 24, v1
	v_perm_b32 v1, v32, v1, s4
	v_cmp_gt_u32_e32 vcc, s3, v40
	v_and_b32_e32 v32, 0xffffff00, v31
	s_nop 0
	v_cndmask_b32_e32 v1, v1, v30, vcc
	v_and_b32_e32 v1, 0xffffff, v1
	v_cmp_gt_u32_e32 vcc, s3, v44
	s_nop 1
	v_cndmask_b32_e32 v1, v1, v30, vcc
	v_cmp_gt_u32_e32 vcc, s3, v41
	s_nop 1
	v_cndmask_b32_e32 v32, v32, v31, vcc
	v_and_b32_e32 v32, 0xffff00ff, v32
	v_cndmask_b32_e32 v1, v1, v30, vcc
	v_cmp_gt_u32_e32 vcc, s3, v45
	s_nop 1
	v_cndmask_b32_e32 v32, v32, v31, vcc
	v_lshrrev_b32_e32 v33, 24, v32
	v_cndmask_b32_e32 v1, v1, v30, vcc
	v_perm_b32 v32, v33, v32, s4
	v_cmp_gt_u32_e32 vcc, s3, v42
	s_mov_b32 s3, 0x3020104
	s_nop 0
	v_cndmask_b32_e32 v1, v1, v30, vcc
	v_cndmask_b32_e32 v30, v32, v31, vcc
	v_mov_b32_e32 v31, 8
	v_lshrrev_b32_sdwa v31, v31, v30 dst_sel:BYTE_1 dst_unused:UNUSED_PAD src0_sel:DWORD src1_sel:DWORD
	s_nop 0
	v_or_b32_sdwa v31, v30, v31 dst_sel:DWORD dst_unused:UNUSED_PAD src0_sel:BYTE_0 src1_sel:DWORD
	v_and_b32_e32 v31, 0xffff, v31
	v_bfe_u32 v30, v30, 16, 8
	v_lshl_or_b32 v31, v30, 16, v31
	v_perm_b32 v30, v1, v1, s3
.LBB1092_310:
	v_and_b32_e32 v1, 0xff, v30
	v_bfe_u32 v43, v30, 8, 8
	v_bfe_u32 v45, v30, 16, 8
	v_alignbit_b32 v32, v31, v30, 24
	v_and_b32_e32 v47, 0xff, v32
	v_and_b32_e32 v48, 0xff, v31
	v_add3_u32 v33, v43, v1, v45
	v_bfe_u32 v49, v31, 8, 8
	v_bfe_u32 v32, v31, 16, 8
	v_add3_u32 v33, v33, v47, v48
	v_add3_u32 v52, v33, v49, v32
	v_mbcnt_lo_u32_b32 v32, -1, 0
	v_mbcnt_hi_u32_b32 v50, -1, v32
	v_and_b32_e32 v32, 15, v50
	v_cmp_eq_u32_e64 s[14:15], 0, v32
	v_cmp_lt_u32_e64 s[12:13], 1, v32
	v_cmp_lt_u32_e64 s[10:11], 3, v32
	;; [unrolled: 1-line block ×3, first 2 shown]
	v_and_b32_e32 v32, 16, v50
	v_cmp_eq_u32_e64 s[6:7], 0, v32
	v_or_b32_e32 v32, 63, v0
	v_cmp_lt_u32_e64 s[18:19], 31, v50
	v_lshrrev_b32_e32 v51, 6, v0
	v_cmp_eq_u32_e64 s[4:5], v32, v0
	s_and_b64 vcc, exec, s[16:17]
	s_waitcnt lgkmcnt(0)
	s_barrier
	s_cbranch_vccz .LBB1092_337
; %bb.311:
	v_mov_b32_dpp v32, v52 row_shr:1 row_mask:0xf bank_mask:0xf
	v_cndmask_b32_e64 v32, v32, 0, s[14:15]
	v_add_u32_e32 v32, v32, v52
	s_nop 1
	v_mov_b32_dpp v33, v32 row_shr:2 row_mask:0xf bank_mask:0xf
	v_cndmask_b32_e64 v33, 0, v33, s[12:13]
	v_add_u32_e32 v32, v32, v33
	s_nop 1
	;; [unrolled: 4-line block ×4, first 2 shown]
	v_mov_b32_dpp v33, v32 row_bcast:15 row_mask:0xf bank_mask:0xf
	v_cndmask_b32_e64 v33, v33, 0, s[6:7]
	v_add_u32_e32 v32, v32, v33
	s_nop 1
	v_mov_b32_dpp v33, v32 row_bcast:31 row_mask:0xf bank_mask:0xf
	v_cndmask_b32_e64 v33, 0, v33, s[18:19]
	v_add_u32_e32 v32, v32, v33
	s_and_saveexec_b64 s[16:17], s[4:5]
	s_cbranch_execz .LBB1092_313
; %bb.312:
	v_lshlrev_b32_e32 v33, 2, v51
	ds_write_b32 v33, v32
.LBB1092_313:
	s_or_b64 exec, exec, s[16:17]
	v_cmp_gt_u32_e32 vcc, 8, v0
	s_waitcnt lgkmcnt(0)
	s_barrier
	s_and_saveexec_b64 s[16:17], vcc
	s_cbranch_execz .LBB1092_315
; %bb.314:
	v_lshlrev_b32_e32 v33, 2, v0
	ds_read_b32 v34, v33
	v_and_b32_e32 v35, 7, v50
	v_cmp_ne_u32_e32 vcc, 0, v35
	s_waitcnt lgkmcnt(0)
	v_mov_b32_dpp v36, v34 row_shr:1 row_mask:0xf bank_mask:0xf
	v_cndmask_b32_e32 v36, 0, v36, vcc
	v_add_u32_e32 v34, v36, v34
	v_cmp_lt_u32_e32 vcc, 1, v35
	s_nop 0
	v_mov_b32_dpp v36, v34 row_shr:2 row_mask:0xf bank_mask:0xf
	v_cndmask_b32_e32 v36, 0, v36, vcc
	v_add_u32_e32 v34, v34, v36
	v_cmp_lt_u32_e32 vcc, 3, v35
	s_nop 0
	v_mov_b32_dpp v36, v34 row_shr:4 row_mask:0xf bank_mask:0xf
	v_cndmask_b32_e32 v35, 0, v36, vcc
	v_add_u32_e32 v34, v34, v35
	ds_write_b32 v33, v34
.LBB1092_315:
	s_or_b64 exec, exec, s[16:17]
	v_cmp_gt_u32_e32 vcc, 64, v0
	v_cmp_lt_u32_e64 s[16:17], 63, v0
	s_waitcnt lgkmcnt(0)
	s_barrier
	s_waitcnt lgkmcnt(0)
                                        ; implicit-def: $vgpr42
	s_and_saveexec_b64 s[26:27], s[16:17]
	s_cbranch_execz .LBB1092_317
; %bb.316:
	v_lshl_add_u32 v33, v51, 2, -4
	ds_read_b32 v42, v33
	s_waitcnt lgkmcnt(0)
	v_add_u32_e32 v32, v42, v32
.LBB1092_317:
	s_or_b64 exec, exec, s[26:27]
	v_add_u32_e32 v33, -1, v50
	v_and_b32_e32 v34, 64, v50
	v_cmp_lt_i32_e64 s[16:17], v33, v34
	s_nop 1
	v_cndmask_b32_e64 v33, v33, v50, s[16:17]
	v_lshlrev_b32_e32 v33, 2, v33
	ds_bpermute_b32 v44, v33, v32
	v_cmp_eq_u32_e64 s[16:17], 0, v50
	s_and_saveexec_b64 s[26:27], vcc
	s_cbranch_execz .LBB1092_336
; %bb.318:
	v_mov_b32_e32 v39, 0
	ds_read_b32 v32, v39 offset:28
	s_and_saveexec_b64 s[28:29], s[16:17]
	s_cbranch_execz .LBB1092_320
; %bb.319:
	s_add_i32 s36, s2, 64
	s_mov_b32 s37, 0
	s_lshl_b64 s[36:37], s[36:37], 3
	s_add_u32 s36, s30, s36
	v_mov_b32_e32 v33, 1
	s_addc_u32 s37, s31, s37
	s_waitcnt lgkmcnt(0)
	global_store_dwordx2 v39, v[32:33], s[36:37] sc1
.LBB1092_320:
	s_or_b64 exec, exec, s[28:29]
	v_xad_u32 v34, v50, -1, s2
	v_add_u32_e32 v38, 64, v34
	v_lshl_add_u64 v[40:41], v[38:39], 3, s[30:31]
	global_load_dwordx2 v[36:37], v[40:41], off sc1
	s_waitcnt vmcnt(0)
	v_cmp_eq_u16_sdwa s[36:37], v37, v39 src0_sel:BYTE_0 src1_sel:DWORD
	s_and_saveexec_b64 s[28:29], s[36:37]
	s_cbranch_execz .LBB1092_324
; %bb.321:
	s_mov_b64 s[36:37], 0
	v_mov_b32_e32 v33, 0
.LBB1092_322:                           ; =>This Inner Loop Header: Depth=1
	global_load_dwordx2 v[36:37], v[40:41], off sc1
	s_waitcnt vmcnt(0)
	v_cmp_ne_u16_sdwa s[38:39], v37, v33 src0_sel:BYTE_0 src1_sel:DWORD
	s_or_b64 s[36:37], s[38:39], s[36:37]
	s_andn2_b64 exec, exec, s[36:37]
	s_cbranch_execnz .LBB1092_322
; %bb.323:
	s_or_b64 exec, exec, s[36:37]
.LBB1092_324:
	s_or_b64 exec, exec, s[28:29]
	v_and_b32_e32 v46, 63, v50
	v_mov_b32_e32 v33, 2
	v_cmp_ne_u32_e32 vcc, 63, v46
	v_cmp_eq_u16_sdwa s[28:29], v37, v33 src0_sel:BYTE_0 src1_sel:DWORD
	v_lshlrev_b64 v[38:39], v50, -1
	v_addc_co_u32_e32 v41, vcc, 0, v50, vcc
	v_and_b32_e32 v35, s29, v39
	v_lshlrev_b32_e32 v53, 2, v41
	v_or_b32_e32 v35, 0x80000000, v35
	ds_bpermute_b32 v41, v53, v36
	v_and_b32_e32 v40, s28, v38
	v_ffbl_b32_e32 v35, v35
	v_add_u32_e32 v35, 32, v35
	v_ffbl_b32_e32 v40, v40
	v_min_u32_e32 v35, v40, v35
	v_cmp_lt_u32_e32 vcc, v46, v35
	v_add_u32_e32 v55, 2, v46
	v_add_u32_e32 v57, 4, v46
	s_waitcnt lgkmcnt(0)
	v_cndmask_b32_e32 v40, 0, v41, vcc
	v_cmp_gt_u32_e32 vcc, 62, v46
	v_add_u32_e32 v36, v40, v36
	v_add_u32_e32 v59, 8, v46
	v_cndmask_b32_e64 v40, 0, 1, vcc
	v_lshlrev_b32_e32 v40, 1, v40
	v_add_lshl_u32 v54, v40, v50, 2
	ds_bpermute_b32 v40, v54, v36
	v_cmp_le_u32_e32 vcc, v55, v35
	v_add_u32_e32 v62, 16, v46
	v_add_u32_e32 v64, 32, v46
	s_waitcnt lgkmcnt(0)
	v_cndmask_b32_e32 v40, 0, v40, vcc
	v_cmp_gt_u32_e32 vcc, 60, v46
	v_add_u32_e32 v36, v36, v40
	s_nop 0
	v_cndmask_b32_e64 v40, 0, 1, vcc
	v_lshlrev_b32_e32 v40, 2, v40
	v_add_lshl_u32 v56, v40, v50, 2
	ds_bpermute_b32 v40, v56, v36
	v_cmp_le_u32_e32 vcc, v57, v35
	s_waitcnt lgkmcnt(0)
	s_nop 0
	v_cndmask_b32_e32 v40, 0, v40, vcc
	v_cmp_gt_u32_e32 vcc, 56, v46
	v_add_u32_e32 v36, v36, v40
	s_nop 0
	v_cndmask_b32_e64 v40, 0, 1, vcc
	v_lshlrev_b32_e32 v40, 3, v40
	v_add_lshl_u32 v58, v40, v50, 2
	ds_bpermute_b32 v40, v58, v36
	v_cmp_le_u32_e32 vcc, v59, v35
	s_waitcnt lgkmcnt(0)
	s_nop 0
	v_cndmask_b32_e32 v40, 0, v40, vcc
	v_cmp_gt_u32_e32 vcc, 48, v46
	v_add_u32_e32 v36, v36, v40
	s_nop 0
	v_cndmask_b32_e64 v40, 0, 1, vcc
	v_lshlrev_b32_e32 v40, 4, v40
	v_add_lshl_u32 v61, v40, v50, 2
	ds_bpermute_b32 v40, v61, v36
	v_cmp_le_u32_e32 vcc, v62, v35
	s_waitcnt lgkmcnt(0)
	s_nop 0
	v_cndmask_b32_e32 v40, 0, v40, vcc
	v_cmp_gt_u32_e32 vcc, 32, v46
	v_add_u32_e32 v36, v36, v40
	s_nop 0
	v_cndmask_b32_e64 v40, 0, 1, vcc
	v_lshlrev_b32_e32 v40, 5, v40
	v_add_lshl_u32 v63, v40, v50, 2
	ds_bpermute_b32 v40, v63, v36
	v_cmp_le_u32_e32 vcc, v64, v35
	s_waitcnt lgkmcnt(0)
	s_nop 0
	v_cndmask_b32_e32 v35, 0, v40, vcc
	v_add_u32_e32 v36, v36, v35
	v_mov_b32_e32 v35, 0
	s_branch .LBB1092_326
.LBB1092_325:                           ;   in Loop: Header=BB1092_326 Depth=1
	s_or_b64 exec, exec, s[28:29]
	v_cmp_eq_u16_sdwa s[28:29], v37, v33 src0_sel:BYTE_0 src1_sel:DWORD
	ds_bpermute_b32 v65, v53, v36
	v_subrev_u32_e32 v34, 64, v34
	v_and_b32_e32 v40, s29, v39
	v_or_b32_e32 v40, 0x80000000, v40
	v_and_b32_e32 v41, s28, v38
	v_ffbl_b32_e32 v40, v40
	v_add_u32_e32 v40, 32, v40
	v_ffbl_b32_e32 v41, v41
	v_min_u32_e32 v40, v41, v40
	v_cmp_lt_u32_e32 vcc, v46, v40
	s_waitcnt lgkmcnt(0)
	s_nop 0
	v_cndmask_b32_e32 v41, 0, v65, vcc
	v_add_u32_e32 v36, v41, v36
	ds_bpermute_b32 v41, v54, v36
	v_cmp_le_u32_e32 vcc, v55, v40
	s_waitcnt lgkmcnt(0)
	s_nop 0
	v_cndmask_b32_e32 v41, 0, v41, vcc
	v_add_u32_e32 v36, v36, v41
	ds_bpermute_b32 v41, v56, v36
	v_cmp_le_u32_e32 vcc, v57, v40
	;; [unrolled: 6-line block ×5, first 2 shown]
	s_waitcnt lgkmcnt(0)
	s_nop 0
	v_cndmask_b32_e32 v40, 0, v41, vcc
	v_add3_u32 v36, v40, v60, v36
.LBB1092_326:                           ; =>This Loop Header: Depth=1
                                        ;     Child Loop BB1092_329 Depth 2
	v_cmp_ne_u16_sdwa s[28:29], v37, v33 src0_sel:BYTE_0 src1_sel:DWORD
	v_mov_b32_e32 v60, v36
	s_nop 0
	v_cndmask_b32_e64 v37, 0, 1, s[28:29]
	;;#ASMSTART
	;;#ASMEND
	s_nop 0
	v_cmp_ne_u32_e32 vcc, 0, v37
	s_cmp_lg_u64 vcc, exec
	s_cbranch_scc1 .LBB1092_331
; %bb.327:                              ;   in Loop: Header=BB1092_326 Depth=1
	v_lshl_add_u64 v[40:41], v[34:35], 3, s[30:31]
	global_load_dwordx2 v[36:37], v[40:41], off sc1
	s_waitcnt vmcnt(0)
	v_cmp_eq_u16_sdwa s[36:37], v37, v35 src0_sel:BYTE_0 src1_sel:DWORD
	s_and_saveexec_b64 s[28:29], s[36:37]
	s_cbranch_execz .LBB1092_325
; %bb.328:                              ;   in Loop: Header=BB1092_326 Depth=1
	s_mov_b64 s[36:37], 0
.LBB1092_329:                           ;   Parent Loop BB1092_326 Depth=1
                                        ; =>  This Inner Loop Header: Depth=2
	global_load_dwordx2 v[36:37], v[40:41], off sc1
	s_waitcnt vmcnt(0)
	v_cmp_ne_u16_sdwa s[38:39], v37, v35 src0_sel:BYTE_0 src1_sel:DWORD
	s_or_b64 s[36:37], s[38:39], s[36:37]
	s_andn2_b64 exec, exec, s[36:37]
	s_cbranch_execnz .LBB1092_329
; %bb.330:                              ;   in Loop: Header=BB1092_326 Depth=1
	s_or_b64 exec, exec, s[36:37]
	s_branch .LBB1092_325
.LBB1092_331:                           ;   in Loop: Header=BB1092_326 Depth=1
                                        ; implicit-def: $vgpr36
                                        ; implicit-def: $vgpr37
	s_cbranch_execz .LBB1092_326
; %bb.332:
	s_and_saveexec_b64 s[28:29], s[16:17]
	s_cbranch_execz .LBB1092_334
; %bb.333:
	s_add_i32 s2, s2, 64
	s_mov_b32 s3, 0
	s_lshl_b64 s[2:3], s[2:3], 3
	s_add_u32 s2, s30, s2
	v_add_u32_e32 v34, v60, v32
	v_mov_b32_e32 v35, 2
	s_addc_u32 s3, s31, s3
	v_mov_b32_e32 v33, 0
	global_store_dwordx2 v33, v[34:35], s[2:3] sc1
	s_movk_i32 s2, 0x7000
	v_add_u32_e64 v33, s2, 0
	ds_write2_b32 v33, v32, v60 offset1:2
.LBB1092_334:
	s_or_b64 exec, exec, s[28:29]
	v_cmp_eq_u32_e32 vcc, 0, v0
	s_and_b64 exec, exec, vcc
	s_cbranch_execz .LBB1092_336
; %bb.335:
	v_mov_b32_e32 v32, 0
	ds_write_b32 v32, v60 offset:28
.LBB1092_336:
	s_or_b64 exec, exec, s[26:27]
	v_mov_b32_e32 v32, 0
	s_waitcnt lgkmcnt(0)
	s_barrier
	ds_read_b32 v32, v32 offset:28
	v_cndmask_b32_e64 v33, v44, v42, s[16:17]
	v_cmp_ne_u32_e32 vcc, 0, v0
	s_movk_i32 s2, 0x7000
	s_waitcnt lgkmcnt(0)
	v_cndmask_b32_e32 v33, 0, v33, vcc
	v_add_u32_e32 v46, v32, v33
	v_add_u32_e64 v32, s2, 0
	v_add_u32_e32 v44, v46, v1
	s_barrier
	ds_read2_b32 v[32:33], v32 offset1:2
	v_add_u32_e32 v42, v44, v43
	v_add_u32_e32 v40, v42, v45
	;; [unrolled: 1-line block ×5, first 2 shown]
	s_waitcnt lgkmcnt(0)
	v_readfirstlane_b32 s26, v32
	v_readfirstlane_b32 s16, v33
	v_lshrrev_b64 v[32:33], 24, v[30:31]
	s_branch .LBB1092_347
.LBB1092_337:
                                        ; implicit-def: $vgpr34
                                        ; implicit-def: $vgpr36
                                        ; implicit-def: $vgpr38
                                        ; implicit-def: $vgpr40
                                        ; implicit-def: $vgpr42
                                        ; implicit-def: $vgpr44
                                        ; implicit-def: $vgpr46
                                        ; implicit-def: $sgpr16
                                        ; implicit-def: $sgpr26
	v_lshrrev_b64 v[32:33], 24, v[30:31]
	s_cbranch_execz .LBB1092_347
; %bb.338:
	s_nop 0
	v_mov_b32_dpp v33, v52 row_shr:1 row_mask:0xf bank_mask:0xf
	v_cndmask_b32_e64 v33, v33, 0, s[14:15]
	v_add_u32_e32 v33, v33, v52
	s_nop 1
	v_mov_b32_dpp v34, v33 row_shr:2 row_mask:0xf bank_mask:0xf
	v_cndmask_b32_e64 v34, 0, v34, s[12:13]
	v_add_u32_e32 v33, v33, v34
	;; [unrolled: 4-line block ×4, first 2 shown]
	s_nop 1
	v_mov_b32_dpp v34, v33 row_bcast:15 row_mask:0xf bank_mask:0xf
	v_cndmask_b32_e64 v34, v34, 0, s[6:7]
	v_add_u32_e32 v33, v33, v34
	s_nop 1
	v_mov_b32_dpp v34, v33 row_bcast:31 row_mask:0xf bank_mask:0xf
	v_cndmask_b32_e64 v34, 0, v34, s[18:19]
	v_add_u32_e32 v33, v33, v34
	s_and_saveexec_b64 s[2:3], s[4:5]
	s_cbranch_execz .LBB1092_340
; %bb.339:
	v_lshlrev_b32_e32 v34, 2, v51
	ds_write_b32 v34, v33
.LBB1092_340:
	s_or_b64 exec, exec, s[2:3]
	v_cmp_gt_u32_e32 vcc, 8, v0
	s_waitcnt lgkmcnt(0)
	s_barrier
	s_and_saveexec_b64 s[2:3], vcc
	s_cbranch_execz .LBB1092_342
; %bb.341:
	v_lshlrev_b32_e32 v34, 2, v0
	ds_read_b32 v35, v34
	v_and_b32_e32 v36, 7, v50
	v_cmp_ne_u32_e32 vcc, 0, v36
	s_waitcnt lgkmcnt(0)
	v_mov_b32_dpp v37, v35 row_shr:1 row_mask:0xf bank_mask:0xf
	v_cndmask_b32_e32 v37, 0, v37, vcc
	v_add_u32_e32 v35, v37, v35
	v_cmp_lt_u32_e32 vcc, 1, v36
	s_nop 0
	v_mov_b32_dpp v37, v35 row_shr:2 row_mask:0xf bank_mask:0xf
	v_cndmask_b32_e32 v37, 0, v37, vcc
	v_add_u32_e32 v35, v35, v37
	v_cmp_lt_u32_e32 vcc, 3, v36
	s_nop 0
	v_mov_b32_dpp v37, v35 row_shr:4 row_mask:0xf bank_mask:0xf
	v_cndmask_b32_e32 v36, 0, v37, vcc
	v_add_u32_e32 v35, v35, v36
	ds_write_b32 v34, v35
.LBB1092_342:
	s_or_b64 exec, exec, s[2:3]
	v_cmp_lt_u32_e32 vcc, 63, v0
	v_mov_b32_e32 v35, 0
	v_mov_b32_e32 v34, 0
	s_waitcnt lgkmcnt(0)
	s_barrier
	s_and_saveexec_b64 s[2:3], vcc
	s_cbranch_execz .LBB1092_344
; %bb.343:
	v_lshl_add_u32 v34, v51, 2, -4
	ds_read_b32 v34, v34
.LBB1092_344:
	s_or_b64 exec, exec, s[2:3]
	v_add_u32_e32 v36, -1, v50
	v_and_b32_e32 v37, 64, v50
	v_cmp_lt_i32_e32 vcc, v36, v37
	s_waitcnt lgkmcnt(0)
	v_add_u32_e32 v33, v34, v33
	ds_read_b32 v35, v35 offset:28
	v_cndmask_b32_e32 v36, v36, v50, vcc
	v_lshlrev_b32_e32 v36, 2, v36
	ds_bpermute_b32 v33, v36, v33
	s_mov_b32 s16, 0
	v_cmp_eq_u32_e32 vcc, 0, v0
	s_waitcnt lgkmcnt(1)
	v_readfirstlane_b32 s26, v35
	s_and_saveexec_b64 s[2:3], vcc
	s_cbranch_execz .LBB1092_346
; %bb.345:
	v_mov_b32_e32 v35, 0
	v_mov_b32_e32 v36, s26
	;; [unrolled: 1-line block ×3, first 2 shown]
	global_store_dwordx2 v35, v[36:37], s[30:31] offset:512 sc1
.LBB1092_346:
	s_or_b64 exec, exec, s[2:3]
	v_cmp_eq_u32_e64 s[2:3], 0, v50
	s_waitcnt lgkmcnt(0)
	s_barrier
	v_cndmask_b32_e64 v33, v33, v34, s[2:3]
	v_cndmask_b32_e64 v46, v33, 0, vcc
	v_add_u32_e32 v44, v46, v1
	v_add_u32_e32 v42, v44, v43
	;; [unrolled: 1-line block ×6, first 2 shown]
.LBB1092_347:
	s_load_dwordx4 s[4:7], s[0:1], 0x28
	s_cmpk_lt_u32 s26, 0x201
	s_cselect_b64 s[2:3], -1, 0
	v_lshrrev_b32_e32 v33, 8, v30
	v_lshrrev_b32_e32 v1, 8, v31
	s_mov_b64 s[0:1], -1
	s_and_b64 vcc, exec, s[2:3]
	s_cbranch_vccz .LBB1092_370
; %bb.348:
	s_add_i32 s8, s16, s26
	v_cmp_gt_u32_e32 vcc, s8, v46
	s_or_b64 s[10:11], s[34:35], vcc
	s_and_saveexec_b64 s[0:1], s[10:11]
	s_cbranch_execz .LBB1092_351
; %bb.349:
	v_and_b32_e32 v35, 1, v30
	v_cmp_eq_u32_e32 vcc, 1, v35
	s_and_b64 exec, exec, vcc
	s_cbranch_execz .LBB1092_351
; %bb.350:
	s_lshl_b64 s[10:11], s[22:23], 3
	s_waitcnt lgkmcnt(0)
	s_add_u32 s10, s4, s10
	s_addc_u32 s11, s5, s11
	v_mov_b32_e32 v47, 0
	v_lshl_add_u64 v[48:49], v[46:47], 3, s[10:11]
	global_store_dwordx2 v[48:49], v[22:23], off
.LBB1092_351:
	s_or_b64 exec, exec, s[0:1]
	v_cmp_gt_u32_e32 vcc, s8, v44
	s_or_b64 s[10:11], s[34:35], vcc
	s_and_saveexec_b64 s[0:1], s[10:11]
	s_cbranch_execz .LBB1092_354
; %bb.352:
	v_and_b32_e32 v35, 1, v33
	v_cmp_eq_u32_e32 vcc, 1, v35
	s_and_b64 exec, exec, vcc
	s_cbranch_execz .LBB1092_354
; %bb.353:
	s_lshl_b64 s[10:11], s[22:23], 3
	s_waitcnt lgkmcnt(0)
	s_add_u32 s10, s4, s10
	s_addc_u32 s11, s5, s11
	v_mov_b32_e32 v45, 0
	v_lshl_add_u64 v[48:49], v[44:45], 3, s[10:11]
	global_store_dwordx2 v[48:49], v[24:25], off
.LBB1092_354:
	s_or_b64 exec, exec, s[0:1]
	v_cmp_gt_u32_e32 vcc, s8, v42
	s_or_b64 s[10:11], s[34:35], vcc
	s_and_saveexec_b64 s[0:1], s[10:11]
	s_cbranch_execz .LBB1092_357
; %bb.355:
	v_mov_b32_e32 v35, 1
	v_and_b32_sdwa v35, v35, v30 dst_sel:DWORD dst_unused:UNUSED_PAD src0_sel:DWORD src1_sel:WORD_1
	v_cmp_eq_u32_e32 vcc, 1, v35
	s_and_b64 exec, exec, vcc
	s_cbranch_execz .LBB1092_357
; %bb.356:
	s_lshl_b64 s[10:11], s[22:23], 3
	s_waitcnt lgkmcnt(0)
	s_add_u32 s10, s4, s10
	s_addc_u32 s11, s5, s11
	v_mov_b32_e32 v43, 0
	v_lshl_add_u64 v[48:49], v[42:43], 3, s[10:11]
	global_store_dwordx2 v[48:49], v[18:19], off
.LBB1092_357:
	s_or_b64 exec, exec, s[0:1]
	v_cmp_gt_u32_e32 vcc, s8, v40
	s_or_b64 s[10:11], s[34:35], vcc
	s_and_saveexec_b64 s[0:1], s[10:11]
	s_cbranch_execz .LBB1092_360
; %bb.358:
	v_and_b32_e32 v35, 1, v32
	v_cmp_eq_u32_e32 vcc, 1, v35
	s_and_b64 exec, exec, vcc
	s_cbranch_execz .LBB1092_360
; %bb.359:
	s_lshl_b64 s[10:11], s[22:23], 3
	s_waitcnt lgkmcnt(0)
	s_add_u32 s10, s4, s10
	s_addc_u32 s11, s5, s11
	v_mov_b32_e32 v41, 0
	v_lshl_add_u64 v[48:49], v[40:41], 3, s[10:11]
	global_store_dwordx2 v[48:49], v[20:21], off
.LBB1092_360:
	s_or_b64 exec, exec, s[0:1]
	v_cmp_gt_u32_e32 vcc, s8, v38
	s_or_b64 s[10:11], s[34:35], vcc
	s_and_saveexec_b64 s[0:1], s[10:11]
	s_cbranch_execz .LBB1092_363
; %bb.361:
	v_and_b32_e32 v35, 1, v31
	v_cmp_eq_u32_e32 vcc, 1, v35
	s_and_b64 exec, exec, vcc
	s_cbranch_execz .LBB1092_363
; %bb.362:
	s_lshl_b64 s[10:11], s[22:23], 3
	s_waitcnt lgkmcnt(0)
	s_add_u32 s10, s4, s10
	s_addc_u32 s11, s5, s11
	v_mov_b32_e32 v39, 0
	v_lshl_add_u64 v[48:49], v[38:39], 3, s[10:11]
	global_store_dwordx2 v[48:49], v[14:15], off
.LBB1092_363:
	s_or_b64 exec, exec, s[0:1]
	v_cmp_gt_u32_e32 vcc, s8, v36
	s_or_b64 s[10:11], s[34:35], vcc
	s_and_saveexec_b64 s[0:1], s[10:11]
	s_cbranch_execz .LBB1092_366
; %bb.364:
	v_and_b32_e32 v35, 1, v1
	v_cmp_eq_u32_e32 vcc, 1, v35
	s_and_b64 exec, exec, vcc
	s_cbranch_execz .LBB1092_366
; %bb.365:
	s_lshl_b64 s[10:11], s[22:23], 3
	s_waitcnt lgkmcnt(0)
	s_add_u32 s10, s4, s10
	s_addc_u32 s11, s5, s11
	v_mov_b32_e32 v37, 0
	v_lshl_add_u64 v[48:49], v[36:37], 3, s[10:11]
	global_store_dwordx2 v[48:49], v[16:17], off
.LBB1092_366:
	s_or_b64 exec, exec, s[0:1]
	v_cmp_gt_u32_e32 vcc, s8, v34
	s_or_b64 s[8:9], s[34:35], vcc
	s_and_saveexec_b64 s[0:1], s[8:9]
	s_cbranch_execz .LBB1092_369
; %bb.367:
	v_mov_b32_e32 v35, 1
	v_and_b32_sdwa v35, v35, v31 dst_sel:DWORD dst_unused:UNUSED_PAD src0_sel:DWORD src1_sel:WORD_1
	v_cmp_eq_u32_e32 vcc, 1, v35
	s_and_b64 exec, exec, vcc
	s_cbranch_execz .LBB1092_369
; %bb.368:
	s_lshl_b64 s[8:9], s[22:23], 3
	s_waitcnt lgkmcnt(0)
	s_add_u32 s8, s4, s8
	s_addc_u32 s9, s5, s9
	v_mov_b32_e32 v35, 0
	v_lshl_add_u64 v[48:49], v[34:35], 3, s[8:9]
	global_store_dwordx2 v[48:49], v[28:29], off
.LBB1092_369:
	s_or_b64 exec, exec, s[0:1]
	s_mov_b64 s[0:1], 0
.LBB1092_370:
	v_and_b32_e32 v48, 1, v30
	s_and_b64 vcc, exec, s[0:1]
	v_cmp_eq_u32_e64 s[0:1], 1, v48
	s_cbranch_vccz .LBB1092_389
; %bb.371:
	s_and_saveexec_b64 s[8:9], s[0:1]
	s_cbranch_execz .LBB1092_373
; %bb.372:
	v_subrev_u32_e32 v35, s16, v46
	v_lshlrev_b32_e32 v35, 3, v35
	ds_write_b64 v35, v[22:23]
.LBB1092_373:
	s_or_b64 exec, exec, s[8:9]
	v_and_b32_e32 v22, 1, v33
	v_cmp_eq_u32_e32 vcc, 1, v22
	s_and_saveexec_b64 s[0:1], vcc
	s_cbranch_execz .LBB1092_375
; %bb.374:
	v_subrev_u32_e32 v22, s16, v44
	v_lshlrev_b32_e32 v22, 3, v22
	ds_write_b64 v22, v[24:25]
.LBB1092_375:
	s_or_b64 exec, exec, s[0:1]
	v_mov_b32_e32 v22, 1
	v_and_b32_sdwa v22, v22, v30 dst_sel:DWORD dst_unused:UNUSED_PAD src0_sel:DWORD src1_sel:WORD_1
	v_cmp_eq_u32_e32 vcc, 1, v22
	s_and_saveexec_b64 s[0:1], vcc
	s_cbranch_execz .LBB1092_377
; %bb.376:
	v_subrev_u32_e32 v22, s16, v42
	v_lshlrev_b32_e32 v22, 3, v22
	ds_write_b64 v22, v[18:19]
.LBB1092_377:
	s_or_b64 exec, exec, s[0:1]
	v_and_b32_e32 v18, 1, v32
	v_cmp_eq_u32_e32 vcc, 1, v18
	s_and_saveexec_b64 s[0:1], vcc
	s_cbranch_execz .LBB1092_379
; %bb.378:
	v_subrev_u32_e32 v18, s16, v40
	v_lshlrev_b32_e32 v18, 3, v18
	ds_write_b64 v18, v[20:21]
.LBB1092_379:
	s_or_b64 exec, exec, s[0:1]
	v_and_b32_e32 v18, 1, v31
	;; [unrolled: 10-line block ×3, first 2 shown]
	v_cmp_eq_u32_e32 vcc, 1, v14
	s_and_saveexec_b64 s[0:1], vcc
	s_cbranch_execz .LBB1092_383
; %bb.382:
	v_subrev_u32_e32 v14, s16, v36
	v_lshlrev_b32_e32 v14, 3, v14
	ds_write_b64 v14, v[16:17]
.LBB1092_383:
	s_or_b64 exec, exec, s[0:1]
	v_mov_b32_e32 v14, 1
	v_and_b32_sdwa v14, v14, v31 dst_sel:DWORD dst_unused:UNUSED_PAD src0_sel:DWORD src1_sel:WORD_1
	v_cmp_eq_u32_e32 vcc, 1, v14
	s_and_saveexec_b64 s[0:1], vcc
	s_cbranch_execz .LBB1092_385
; %bb.384:
	v_subrev_u32_e32 v14, s16, v34
	v_lshlrev_b32_e32 v14, 3, v14
	ds_write_b64 v14, v[28:29]
.LBB1092_385:
	s_or_b64 exec, exec, s[0:1]
	v_cmp_gt_u32_e32 vcc, s26, v0
	s_waitcnt lgkmcnt(0)
	s_barrier
	s_and_saveexec_b64 s[0:1], vcc
	s_cbranch_execz .LBB1092_388
; %bb.386:
	s_mov_b32 s17, 0
	s_lshl_b64 s[8:9], s[22:23], 3
	s_lshl_b64 s[10:11], s[16:17], 3
	s_add_u32 s8, s8, s10
	s_addc_u32 s9, s9, s11
	s_add_u32 s4, s4, s8
	v_lshlrev_b32_e32 v14, 3, v0
	v_mov_b32_e32 v15, 0
	s_addc_u32 s5, s5, s9
	v_lshl_add_u64 v[16:17], s[4:5], 0, v[14:15]
	s_mov_b64 s[4:5], 0
	s_mov_b64 s[8:9], 0x1000
	v_mov_b32_e32 v15, v0
.LBB1092_387:                           ; =>This Inner Loop Header: Depth=1
	ds_read_b64 v[18:19], v14
	v_add_u32_e32 v15, 0x200, v15
	v_cmp_le_u32_e32 vcc, s26, v15
	v_add_u32_e32 v14, 0x1000, v14
	s_or_b64 s[4:5], vcc, s[4:5]
	s_waitcnt lgkmcnt(0)
	global_store_dwordx2 v[16:17], v[18:19], off
	v_lshl_add_u64 v[16:17], v[16:17], 0, s[8:9]
	s_andn2_b64 exec, exec, s[4:5]
	s_cbranch_execnz .LBB1092_387
.LBB1092_388:
	s_or_b64 exec, exec, s[0:1]
.LBB1092_389:
	s_mov_b64 s[0:1], -1
	s_and_b64 vcc, exec, s[2:3]
	s_waitcnt lgkmcnt(0)
	s_barrier
	s_cbranch_vccnz .LBB1092_393
; %bb.390:
	s_and_b64 vcc, exec, s[0:1]
	s_cbranch_vccnz .LBB1092_415
.LBB1092_391:
	v_cmp_eq_u32_e32 vcc, 0, v0
	s_and_b64 s[0:1], vcc, s[24:25]
	s_and_saveexec_b64 s[2:3], s[0:1]
	s_cbranch_execnz .LBB1092_433
.LBB1092_392:
	s_endpgm
.LBB1092_393:
	s_add_i32 s2, s16, s26
	v_cmp_gt_u32_e32 vcc, s2, v46
	s_or_b64 s[4:5], s[34:35], vcc
	s_and_saveexec_b64 s[0:1], s[4:5]
	s_cbranch_execz .LBB1092_396
; %bb.394:
	v_cmp_eq_u32_e32 vcc, 1, v48
	s_and_b64 exec, exec, vcc
	s_cbranch_execz .LBB1092_396
; %bb.395:
	s_lshl_b64 s[4:5], s[22:23], 3
	s_add_u32 s4, s6, s4
	s_addc_u32 s5, s7, s5
	v_mov_b32_e32 v47, 0
	v_lshl_add_u64 v[14:15], v[46:47], 3, s[4:5]
	global_store_dwordx2 v[14:15], v[10:11], off
.LBB1092_396:
	s_or_b64 exec, exec, s[0:1]
	v_cmp_gt_u32_e32 vcc, s2, v44
	s_or_b64 s[4:5], s[34:35], vcc
	s_and_saveexec_b64 s[0:1], s[4:5]
	s_cbranch_execz .LBB1092_399
; %bb.397:
	v_and_b32_e32 v14, 1, v33
	v_cmp_eq_u32_e32 vcc, 1, v14
	s_and_b64 exec, exec, vcc
	s_cbranch_execz .LBB1092_399
; %bb.398:
	s_lshl_b64 s[4:5], s[22:23], 3
	s_add_u32 s4, s6, s4
	s_addc_u32 s5, s7, s5
	v_mov_b32_e32 v45, 0
	v_lshl_add_u64 v[14:15], v[44:45], 3, s[4:5]
	global_store_dwordx2 v[14:15], v[12:13], off
.LBB1092_399:
	s_or_b64 exec, exec, s[0:1]
	v_cmp_gt_u32_e32 vcc, s2, v42
	s_or_b64 s[4:5], s[34:35], vcc
	s_and_saveexec_b64 s[0:1], s[4:5]
	s_cbranch_execz .LBB1092_402
; %bb.400:
	v_mov_b32_e32 v14, 1
	v_and_b32_sdwa v14, v14, v30 dst_sel:DWORD dst_unused:UNUSED_PAD src0_sel:DWORD src1_sel:WORD_1
	v_cmp_eq_u32_e32 vcc, 1, v14
	s_and_b64 exec, exec, vcc
	s_cbranch_execz .LBB1092_402
; %bb.401:
	s_lshl_b64 s[4:5], s[22:23], 3
	s_add_u32 s4, s6, s4
	s_addc_u32 s5, s7, s5
	v_mov_b32_e32 v43, 0
	v_lshl_add_u64 v[14:15], v[42:43], 3, s[4:5]
	global_store_dwordx2 v[14:15], v[6:7], off
.LBB1092_402:
	s_or_b64 exec, exec, s[0:1]
	v_cmp_gt_u32_e32 vcc, s2, v40
	s_or_b64 s[4:5], s[34:35], vcc
	s_and_saveexec_b64 s[0:1], s[4:5]
	s_cbranch_execz .LBB1092_405
; %bb.403:
	v_and_b32_e32 v14, 1, v32
	v_cmp_eq_u32_e32 vcc, 1, v14
	s_and_b64 exec, exec, vcc
	s_cbranch_execz .LBB1092_405
; %bb.404:
	s_lshl_b64 s[4:5], s[22:23], 3
	s_add_u32 s4, s6, s4
	s_addc_u32 s5, s7, s5
	v_mov_b32_e32 v41, 0
	v_lshl_add_u64 v[14:15], v[40:41], 3, s[4:5]
	global_store_dwordx2 v[14:15], v[8:9], off
.LBB1092_405:
	s_or_b64 exec, exec, s[0:1]
	v_cmp_gt_u32_e32 vcc, s2, v38
	s_or_b64 s[4:5], s[34:35], vcc
	s_and_saveexec_b64 s[0:1], s[4:5]
	s_cbranch_execz .LBB1092_408
; %bb.406:
	v_and_b32_e32 v14, 1, v31
	v_cmp_eq_u32_e32 vcc, 1, v14
	s_and_b64 exec, exec, vcc
	s_cbranch_execz .LBB1092_408
; %bb.407:
	s_lshl_b64 s[4:5], s[22:23], 3
	s_add_u32 s4, s6, s4
	s_addc_u32 s5, s7, s5
	v_mov_b32_e32 v39, 0
	v_lshl_add_u64 v[14:15], v[38:39], 3, s[4:5]
	global_store_dwordx2 v[14:15], v[2:3], off
.LBB1092_408:
	;; [unrolled: 18-line block ×3, first 2 shown]
	s_or_b64 exec, exec, s[0:1]
	v_cmp_gt_u32_e32 vcc, s2, v34
	s_or_b64 s[2:3], s[34:35], vcc
	s_and_saveexec_b64 s[0:1], s[2:3]
	s_cbranch_execz .LBB1092_414
; %bb.412:
	v_mov_b32_e32 v14, 1
	v_and_b32_sdwa v14, v14, v31 dst_sel:DWORD dst_unused:UNUSED_PAD src0_sel:DWORD src1_sel:WORD_1
	v_cmp_eq_u32_e32 vcc, 1, v14
	s_and_b64 exec, exec, vcc
	s_cbranch_execz .LBB1092_414
; %bb.413:
	s_lshl_b64 s[2:3], s[22:23], 3
	s_add_u32 s2, s6, s2
	s_addc_u32 s3, s7, s3
	v_mov_b32_e32 v35, 0
	v_lshl_add_u64 v[14:15], v[34:35], 3, s[2:3]
	global_store_dwordx2 v[14:15], v[26:27], off
.LBB1092_414:
	s_or_b64 exec, exec, s[0:1]
	s_branch .LBB1092_391
.LBB1092_415:
	v_cmp_eq_u32_e32 vcc, 1, v48
	s_and_saveexec_b64 s[0:1], vcc
	s_cbranch_execz .LBB1092_417
; %bb.416:
	v_subrev_u32_e32 v14, s16, v46
	v_lshlrev_b32_e32 v14, 3, v14
	ds_write_b64 v14, v[10:11]
.LBB1092_417:
	s_or_b64 exec, exec, s[0:1]
	v_and_b32_e32 v10, 1, v33
	v_cmp_eq_u32_e32 vcc, 1, v10
	s_and_saveexec_b64 s[0:1], vcc
	s_cbranch_execz .LBB1092_419
; %bb.418:
	v_subrev_u32_e32 v10, s16, v44
	v_lshlrev_b32_e32 v10, 3, v10
	ds_write_b64 v10, v[12:13]
.LBB1092_419:
	s_or_b64 exec, exec, s[0:1]
	v_mov_b32_e32 v10, 1
	v_and_b32_sdwa v10, v10, v30 dst_sel:DWORD dst_unused:UNUSED_PAD src0_sel:DWORD src1_sel:WORD_1
	v_cmp_eq_u32_e32 vcc, 1, v10
	s_and_saveexec_b64 s[0:1], vcc
	s_cbranch_execz .LBB1092_421
; %bb.420:
	v_subrev_u32_e32 v10, s16, v42
	v_lshlrev_b32_e32 v10, 3, v10
	ds_write_b64 v10, v[6:7]
.LBB1092_421:
	s_or_b64 exec, exec, s[0:1]
	v_and_b32_e32 v6, 1, v32
	v_cmp_eq_u32_e32 vcc, 1, v6
	s_and_saveexec_b64 s[0:1], vcc
	s_cbranch_execz .LBB1092_423
; %bb.422:
	v_subrev_u32_e32 v6, s16, v40
	v_lshlrev_b32_e32 v6, 3, v6
	ds_write_b64 v6, v[8:9]
.LBB1092_423:
	s_or_b64 exec, exec, s[0:1]
	v_and_b32_e32 v6, 1, v31
	;; [unrolled: 10-line block ×3, first 2 shown]
	v_cmp_eq_u32_e32 vcc, 1, v1
	s_and_saveexec_b64 s[0:1], vcc
	s_cbranch_execz .LBB1092_427
; %bb.426:
	v_subrev_u32_e32 v1, s16, v36
	v_lshlrev_b32_e32 v1, 3, v1
	ds_write_b64 v1, v[4:5]
.LBB1092_427:
	s_or_b64 exec, exec, s[0:1]
	v_mov_b32_e32 v1, 1
	v_and_b32_sdwa v1, v1, v31 dst_sel:DWORD dst_unused:UNUSED_PAD src0_sel:DWORD src1_sel:WORD_1
	v_cmp_eq_u32_e32 vcc, 1, v1
	s_and_saveexec_b64 s[0:1], vcc
	s_cbranch_execz .LBB1092_429
; %bb.428:
	v_subrev_u32_e32 v1, s16, v34
	v_lshlrev_b32_e32 v1, 3, v1
	ds_write_b64 v1, v[26:27]
.LBB1092_429:
	s_or_b64 exec, exec, s[0:1]
	v_cmp_gt_u32_e32 vcc, s26, v0
	s_waitcnt lgkmcnt(0)
	s_barrier
	s_and_saveexec_b64 s[0:1], vcc
	s_cbranch_execz .LBB1092_432
; %bb.430:
	s_mov_b32 s17, 0
	s_lshl_b64 s[2:3], s[22:23], 3
	s_lshl_b64 s[4:5], s[16:17], 3
	s_add_u32 s2, s2, s4
	s_addc_u32 s3, s3, s5
	s_add_u32 s2, s6, s2
	v_lshlrev_b32_e32 v2, 3, v0
	v_mov_b32_e32 v3, 0
	s_addc_u32 s3, s7, s3
	v_lshl_add_u64 v[4:5], s[2:3], 0, v[2:3]
	s_mov_b64 s[2:3], 0
	s_mov_b64 s[4:5], 0x1000
	v_mov_b32_e32 v1, v0
.LBB1092_431:                           ; =>This Inner Loop Header: Depth=1
	ds_read_b64 v[6:7], v2
	v_add_u32_e32 v1, 0x200, v1
	v_cmp_le_u32_e32 vcc, s26, v1
	v_add_u32_e32 v2, 0x1000, v2
	s_or_b64 s[2:3], vcc, s[2:3]
	s_waitcnt lgkmcnt(0)
	global_store_dwordx2 v[4:5], v[6:7], off
	v_lshl_add_u64 v[4:5], v[4:5], 0, s[4:5]
	s_andn2_b64 exec, exec, s[2:3]
	s_cbranch_execnz .LBB1092_431
.LBB1092_432:
	s_or_b64 exec, exec, s[0:1]
	v_cmp_eq_u32_e32 vcc, 0, v0
	s_and_b64 s[0:1], vcc, s[24:25]
	s_and_saveexec_b64 s[2:3], s[0:1]
	s_cbranch_execz .LBB1092_392
.LBB1092_433:
	s_add_u32 s0, s22, s26
	s_addc_u32 s1, s23, 0
	s_add_u32 s0, s0, s16
	s_addc_u32 s1, s1, 0
	v_mov_b32_e32 v2, 0
	v_mov_b64_e32 v[0:1], s[0:1]
	global_store_dwordx2 v2, v[0:1], s[20:21]
	s_endpgm
	.section	.rodata,"a",@progbits
	.p2align	6, 0x0
	.amdhsa_kernel _ZN7rocprim17ROCPRIM_400000_NS6detail17trampoline_kernelINS0_14default_configENS1_25partition_config_selectorILNS1_17partition_subalgoE9EllbEEZZNS1_14partition_implILS5_9ELb0ES3_jPlS8_PNS0_10empty_typeENS0_5tupleIJS8_S9_EEENSB_IJS8_SA_EEENS0_18inequality_wrapperIZN2at6native12_GLOBAL__N_124unique_dim_cuda_templateIbEESt5tupleIJNSF_6TensorESK_SK_EERKSK_lbbbEUlllE0_EEPmJS9_EEE10hipError_tPvRmT3_T4_T5_T6_T7_T9_mT8_P12ihipStream_tbDpT10_ENKUlT_T0_E_clISt17integral_constantIbLb0EES1A_EEDaS15_S16_EUlS15_E_NS1_11comp_targetILNS1_3genE5ELNS1_11target_archE942ELNS1_3gpuE9ELNS1_3repE0EEENS1_30default_config_static_selectorELNS0_4arch9wavefront6targetE1EEEvT1_
		.amdhsa_group_segment_fixed_size 28684
		.amdhsa_private_segment_fixed_size 0
		.amdhsa_kernarg_size 120
		.amdhsa_user_sgpr_count 2
		.amdhsa_user_sgpr_dispatch_ptr 0
		.amdhsa_user_sgpr_queue_ptr 0
		.amdhsa_user_sgpr_kernarg_segment_ptr 1
		.amdhsa_user_sgpr_dispatch_id 0
		.amdhsa_user_sgpr_kernarg_preload_length 0
		.amdhsa_user_sgpr_kernarg_preload_offset 0
		.amdhsa_user_sgpr_private_segment_size 0
		.amdhsa_uses_dynamic_stack 0
		.amdhsa_enable_private_segment 0
		.amdhsa_system_sgpr_workgroup_id_x 1
		.amdhsa_system_sgpr_workgroup_id_y 0
		.amdhsa_system_sgpr_workgroup_id_z 0
		.amdhsa_system_sgpr_workgroup_info 0
		.amdhsa_system_vgpr_workitem_id 0
		.amdhsa_next_free_vgpr 66
		.amdhsa_next_free_sgpr 52
		.amdhsa_accum_offset 68
		.amdhsa_reserve_vcc 1
		.amdhsa_float_round_mode_32 0
		.amdhsa_float_round_mode_16_64 0
		.amdhsa_float_denorm_mode_32 3
		.amdhsa_float_denorm_mode_16_64 3
		.amdhsa_dx10_clamp 1
		.amdhsa_ieee_mode 1
		.amdhsa_fp16_overflow 0
		.amdhsa_tg_split 0
		.amdhsa_exception_fp_ieee_invalid_op 0
		.amdhsa_exception_fp_denorm_src 0
		.amdhsa_exception_fp_ieee_div_zero 0
		.amdhsa_exception_fp_ieee_overflow 0
		.amdhsa_exception_fp_ieee_underflow 0
		.amdhsa_exception_fp_ieee_inexact 0
		.amdhsa_exception_int_div_zero 0
	.end_amdhsa_kernel
	.section	.text._ZN7rocprim17ROCPRIM_400000_NS6detail17trampoline_kernelINS0_14default_configENS1_25partition_config_selectorILNS1_17partition_subalgoE9EllbEEZZNS1_14partition_implILS5_9ELb0ES3_jPlS8_PNS0_10empty_typeENS0_5tupleIJS8_S9_EEENSB_IJS8_SA_EEENS0_18inequality_wrapperIZN2at6native12_GLOBAL__N_124unique_dim_cuda_templateIbEESt5tupleIJNSF_6TensorESK_SK_EERKSK_lbbbEUlllE0_EEPmJS9_EEE10hipError_tPvRmT3_T4_T5_T6_T7_T9_mT8_P12ihipStream_tbDpT10_ENKUlT_T0_E_clISt17integral_constantIbLb0EES1A_EEDaS15_S16_EUlS15_E_NS1_11comp_targetILNS1_3genE5ELNS1_11target_archE942ELNS1_3gpuE9ELNS1_3repE0EEENS1_30default_config_static_selectorELNS0_4arch9wavefront6targetE1EEEvT1_,"axG",@progbits,_ZN7rocprim17ROCPRIM_400000_NS6detail17trampoline_kernelINS0_14default_configENS1_25partition_config_selectorILNS1_17partition_subalgoE9EllbEEZZNS1_14partition_implILS5_9ELb0ES3_jPlS8_PNS0_10empty_typeENS0_5tupleIJS8_S9_EEENSB_IJS8_SA_EEENS0_18inequality_wrapperIZN2at6native12_GLOBAL__N_124unique_dim_cuda_templateIbEESt5tupleIJNSF_6TensorESK_SK_EERKSK_lbbbEUlllE0_EEPmJS9_EEE10hipError_tPvRmT3_T4_T5_T6_T7_T9_mT8_P12ihipStream_tbDpT10_ENKUlT_T0_E_clISt17integral_constantIbLb0EES1A_EEDaS15_S16_EUlS15_E_NS1_11comp_targetILNS1_3genE5ELNS1_11target_archE942ELNS1_3gpuE9ELNS1_3repE0EEENS1_30default_config_static_selectorELNS0_4arch9wavefront6targetE1EEEvT1_,comdat
.Lfunc_end1092:
	.size	_ZN7rocprim17ROCPRIM_400000_NS6detail17trampoline_kernelINS0_14default_configENS1_25partition_config_selectorILNS1_17partition_subalgoE9EllbEEZZNS1_14partition_implILS5_9ELb0ES3_jPlS8_PNS0_10empty_typeENS0_5tupleIJS8_S9_EEENSB_IJS8_SA_EEENS0_18inequality_wrapperIZN2at6native12_GLOBAL__N_124unique_dim_cuda_templateIbEESt5tupleIJNSF_6TensorESK_SK_EERKSK_lbbbEUlllE0_EEPmJS9_EEE10hipError_tPvRmT3_T4_T5_T6_T7_T9_mT8_P12ihipStream_tbDpT10_ENKUlT_T0_E_clISt17integral_constantIbLb0EES1A_EEDaS15_S16_EUlS15_E_NS1_11comp_targetILNS1_3genE5ELNS1_11target_archE942ELNS1_3gpuE9ELNS1_3repE0EEENS1_30default_config_static_selectorELNS0_4arch9wavefront6targetE1EEEvT1_, .Lfunc_end1092-_ZN7rocprim17ROCPRIM_400000_NS6detail17trampoline_kernelINS0_14default_configENS1_25partition_config_selectorILNS1_17partition_subalgoE9EllbEEZZNS1_14partition_implILS5_9ELb0ES3_jPlS8_PNS0_10empty_typeENS0_5tupleIJS8_S9_EEENSB_IJS8_SA_EEENS0_18inequality_wrapperIZN2at6native12_GLOBAL__N_124unique_dim_cuda_templateIbEESt5tupleIJNSF_6TensorESK_SK_EERKSK_lbbbEUlllE0_EEPmJS9_EEE10hipError_tPvRmT3_T4_T5_T6_T7_T9_mT8_P12ihipStream_tbDpT10_ENKUlT_T0_E_clISt17integral_constantIbLb0EES1A_EEDaS15_S16_EUlS15_E_NS1_11comp_targetILNS1_3genE5ELNS1_11target_archE942ELNS1_3gpuE9ELNS1_3repE0EEENS1_30default_config_static_selectorELNS0_4arch9wavefront6targetE1EEEvT1_
                                        ; -- End function
	.section	.AMDGPU.csdata,"",@progbits
; Kernel info:
; codeLenInByte = 15476
; NumSgprs: 58
; NumVgprs: 66
; NumAgprs: 0
; TotalNumVgprs: 66
; ScratchSize: 0
; MemoryBound: 0
; FloatMode: 240
; IeeeMode: 1
; LDSByteSize: 28684 bytes/workgroup (compile time only)
; SGPRBlocks: 7
; VGPRBlocks: 8
; NumSGPRsForWavesPerEU: 58
; NumVGPRsForWavesPerEU: 66
; AccumOffset: 68
; Occupancy: 4
; WaveLimiterHint : 1
; COMPUTE_PGM_RSRC2:SCRATCH_EN: 0
; COMPUTE_PGM_RSRC2:USER_SGPR: 2
; COMPUTE_PGM_RSRC2:TRAP_HANDLER: 0
; COMPUTE_PGM_RSRC2:TGID_X_EN: 1
; COMPUTE_PGM_RSRC2:TGID_Y_EN: 0
; COMPUTE_PGM_RSRC2:TGID_Z_EN: 0
; COMPUTE_PGM_RSRC2:TIDIG_COMP_CNT: 0
; COMPUTE_PGM_RSRC3_GFX90A:ACCUM_OFFSET: 16
; COMPUTE_PGM_RSRC3_GFX90A:TG_SPLIT: 0
	.section	.text._ZN7rocprim17ROCPRIM_400000_NS6detail17trampoline_kernelINS0_14default_configENS1_25partition_config_selectorILNS1_17partition_subalgoE9EllbEEZZNS1_14partition_implILS5_9ELb0ES3_jPlS8_PNS0_10empty_typeENS0_5tupleIJS8_S9_EEENSB_IJS8_SA_EEENS0_18inequality_wrapperIZN2at6native12_GLOBAL__N_124unique_dim_cuda_templateIbEESt5tupleIJNSF_6TensorESK_SK_EERKSK_lbbbEUlllE0_EEPmJS9_EEE10hipError_tPvRmT3_T4_T5_T6_T7_T9_mT8_P12ihipStream_tbDpT10_ENKUlT_T0_E_clISt17integral_constantIbLb0EES1A_EEDaS15_S16_EUlS15_E_NS1_11comp_targetILNS1_3genE4ELNS1_11target_archE910ELNS1_3gpuE8ELNS1_3repE0EEENS1_30default_config_static_selectorELNS0_4arch9wavefront6targetE1EEEvT1_,"axG",@progbits,_ZN7rocprim17ROCPRIM_400000_NS6detail17trampoline_kernelINS0_14default_configENS1_25partition_config_selectorILNS1_17partition_subalgoE9EllbEEZZNS1_14partition_implILS5_9ELb0ES3_jPlS8_PNS0_10empty_typeENS0_5tupleIJS8_S9_EEENSB_IJS8_SA_EEENS0_18inequality_wrapperIZN2at6native12_GLOBAL__N_124unique_dim_cuda_templateIbEESt5tupleIJNSF_6TensorESK_SK_EERKSK_lbbbEUlllE0_EEPmJS9_EEE10hipError_tPvRmT3_T4_T5_T6_T7_T9_mT8_P12ihipStream_tbDpT10_ENKUlT_T0_E_clISt17integral_constantIbLb0EES1A_EEDaS15_S16_EUlS15_E_NS1_11comp_targetILNS1_3genE4ELNS1_11target_archE910ELNS1_3gpuE8ELNS1_3repE0EEENS1_30default_config_static_selectorELNS0_4arch9wavefront6targetE1EEEvT1_,comdat
	.globl	_ZN7rocprim17ROCPRIM_400000_NS6detail17trampoline_kernelINS0_14default_configENS1_25partition_config_selectorILNS1_17partition_subalgoE9EllbEEZZNS1_14partition_implILS5_9ELb0ES3_jPlS8_PNS0_10empty_typeENS0_5tupleIJS8_S9_EEENSB_IJS8_SA_EEENS0_18inequality_wrapperIZN2at6native12_GLOBAL__N_124unique_dim_cuda_templateIbEESt5tupleIJNSF_6TensorESK_SK_EERKSK_lbbbEUlllE0_EEPmJS9_EEE10hipError_tPvRmT3_T4_T5_T6_T7_T9_mT8_P12ihipStream_tbDpT10_ENKUlT_T0_E_clISt17integral_constantIbLb0EES1A_EEDaS15_S16_EUlS15_E_NS1_11comp_targetILNS1_3genE4ELNS1_11target_archE910ELNS1_3gpuE8ELNS1_3repE0EEENS1_30default_config_static_selectorELNS0_4arch9wavefront6targetE1EEEvT1_ ; -- Begin function _ZN7rocprim17ROCPRIM_400000_NS6detail17trampoline_kernelINS0_14default_configENS1_25partition_config_selectorILNS1_17partition_subalgoE9EllbEEZZNS1_14partition_implILS5_9ELb0ES3_jPlS8_PNS0_10empty_typeENS0_5tupleIJS8_S9_EEENSB_IJS8_SA_EEENS0_18inequality_wrapperIZN2at6native12_GLOBAL__N_124unique_dim_cuda_templateIbEESt5tupleIJNSF_6TensorESK_SK_EERKSK_lbbbEUlllE0_EEPmJS9_EEE10hipError_tPvRmT3_T4_T5_T6_T7_T9_mT8_P12ihipStream_tbDpT10_ENKUlT_T0_E_clISt17integral_constantIbLb0EES1A_EEDaS15_S16_EUlS15_E_NS1_11comp_targetILNS1_3genE4ELNS1_11target_archE910ELNS1_3gpuE8ELNS1_3repE0EEENS1_30default_config_static_selectorELNS0_4arch9wavefront6targetE1EEEvT1_
	.p2align	8
	.type	_ZN7rocprim17ROCPRIM_400000_NS6detail17trampoline_kernelINS0_14default_configENS1_25partition_config_selectorILNS1_17partition_subalgoE9EllbEEZZNS1_14partition_implILS5_9ELb0ES3_jPlS8_PNS0_10empty_typeENS0_5tupleIJS8_S9_EEENSB_IJS8_SA_EEENS0_18inequality_wrapperIZN2at6native12_GLOBAL__N_124unique_dim_cuda_templateIbEESt5tupleIJNSF_6TensorESK_SK_EERKSK_lbbbEUlllE0_EEPmJS9_EEE10hipError_tPvRmT3_T4_T5_T6_T7_T9_mT8_P12ihipStream_tbDpT10_ENKUlT_T0_E_clISt17integral_constantIbLb0EES1A_EEDaS15_S16_EUlS15_E_NS1_11comp_targetILNS1_3genE4ELNS1_11target_archE910ELNS1_3gpuE8ELNS1_3repE0EEENS1_30default_config_static_selectorELNS0_4arch9wavefront6targetE1EEEvT1_,@function
_ZN7rocprim17ROCPRIM_400000_NS6detail17trampoline_kernelINS0_14default_configENS1_25partition_config_selectorILNS1_17partition_subalgoE9EllbEEZZNS1_14partition_implILS5_9ELb0ES3_jPlS8_PNS0_10empty_typeENS0_5tupleIJS8_S9_EEENSB_IJS8_SA_EEENS0_18inequality_wrapperIZN2at6native12_GLOBAL__N_124unique_dim_cuda_templateIbEESt5tupleIJNSF_6TensorESK_SK_EERKSK_lbbbEUlllE0_EEPmJS9_EEE10hipError_tPvRmT3_T4_T5_T6_T7_T9_mT8_P12ihipStream_tbDpT10_ENKUlT_T0_E_clISt17integral_constantIbLb0EES1A_EEDaS15_S16_EUlS15_E_NS1_11comp_targetILNS1_3genE4ELNS1_11target_archE910ELNS1_3gpuE8ELNS1_3repE0EEENS1_30default_config_static_selectorELNS0_4arch9wavefront6targetE1EEEvT1_: ; @_ZN7rocprim17ROCPRIM_400000_NS6detail17trampoline_kernelINS0_14default_configENS1_25partition_config_selectorILNS1_17partition_subalgoE9EllbEEZZNS1_14partition_implILS5_9ELb0ES3_jPlS8_PNS0_10empty_typeENS0_5tupleIJS8_S9_EEENSB_IJS8_SA_EEENS0_18inequality_wrapperIZN2at6native12_GLOBAL__N_124unique_dim_cuda_templateIbEESt5tupleIJNSF_6TensorESK_SK_EERKSK_lbbbEUlllE0_EEPmJS9_EEE10hipError_tPvRmT3_T4_T5_T6_T7_T9_mT8_P12ihipStream_tbDpT10_ENKUlT_T0_E_clISt17integral_constantIbLb0EES1A_EEDaS15_S16_EUlS15_E_NS1_11comp_targetILNS1_3genE4ELNS1_11target_archE910ELNS1_3gpuE8ELNS1_3repE0EEENS1_30default_config_static_selectorELNS0_4arch9wavefront6targetE1EEEvT1_
; %bb.0:
	.section	.rodata,"a",@progbits
	.p2align	6, 0x0
	.amdhsa_kernel _ZN7rocprim17ROCPRIM_400000_NS6detail17trampoline_kernelINS0_14default_configENS1_25partition_config_selectorILNS1_17partition_subalgoE9EllbEEZZNS1_14partition_implILS5_9ELb0ES3_jPlS8_PNS0_10empty_typeENS0_5tupleIJS8_S9_EEENSB_IJS8_SA_EEENS0_18inequality_wrapperIZN2at6native12_GLOBAL__N_124unique_dim_cuda_templateIbEESt5tupleIJNSF_6TensorESK_SK_EERKSK_lbbbEUlllE0_EEPmJS9_EEE10hipError_tPvRmT3_T4_T5_T6_T7_T9_mT8_P12ihipStream_tbDpT10_ENKUlT_T0_E_clISt17integral_constantIbLb0EES1A_EEDaS15_S16_EUlS15_E_NS1_11comp_targetILNS1_3genE4ELNS1_11target_archE910ELNS1_3gpuE8ELNS1_3repE0EEENS1_30default_config_static_selectorELNS0_4arch9wavefront6targetE1EEEvT1_
		.amdhsa_group_segment_fixed_size 0
		.amdhsa_private_segment_fixed_size 0
		.amdhsa_kernarg_size 120
		.amdhsa_user_sgpr_count 2
		.amdhsa_user_sgpr_dispatch_ptr 0
		.amdhsa_user_sgpr_queue_ptr 0
		.amdhsa_user_sgpr_kernarg_segment_ptr 1
		.amdhsa_user_sgpr_dispatch_id 0
		.amdhsa_user_sgpr_kernarg_preload_length 0
		.amdhsa_user_sgpr_kernarg_preload_offset 0
		.amdhsa_user_sgpr_private_segment_size 0
		.amdhsa_uses_dynamic_stack 0
		.amdhsa_enable_private_segment 0
		.amdhsa_system_sgpr_workgroup_id_x 1
		.amdhsa_system_sgpr_workgroup_id_y 0
		.amdhsa_system_sgpr_workgroup_id_z 0
		.amdhsa_system_sgpr_workgroup_info 0
		.amdhsa_system_vgpr_workitem_id 0
		.amdhsa_next_free_vgpr 1
		.amdhsa_next_free_sgpr 0
		.amdhsa_accum_offset 4
		.amdhsa_reserve_vcc 0
		.amdhsa_float_round_mode_32 0
		.amdhsa_float_round_mode_16_64 0
		.amdhsa_float_denorm_mode_32 3
		.amdhsa_float_denorm_mode_16_64 3
		.amdhsa_dx10_clamp 1
		.amdhsa_ieee_mode 1
		.amdhsa_fp16_overflow 0
		.amdhsa_tg_split 0
		.amdhsa_exception_fp_ieee_invalid_op 0
		.amdhsa_exception_fp_denorm_src 0
		.amdhsa_exception_fp_ieee_div_zero 0
		.amdhsa_exception_fp_ieee_overflow 0
		.amdhsa_exception_fp_ieee_underflow 0
		.amdhsa_exception_fp_ieee_inexact 0
		.amdhsa_exception_int_div_zero 0
	.end_amdhsa_kernel
	.section	.text._ZN7rocprim17ROCPRIM_400000_NS6detail17trampoline_kernelINS0_14default_configENS1_25partition_config_selectorILNS1_17partition_subalgoE9EllbEEZZNS1_14partition_implILS5_9ELb0ES3_jPlS8_PNS0_10empty_typeENS0_5tupleIJS8_S9_EEENSB_IJS8_SA_EEENS0_18inequality_wrapperIZN2at6native12_GLOBAL__N_124unique_dim_cuda_templateIbEESt5tupleIJNSF_6TensorESK_SK_EERKSK_lbbbEUlllE0_EEPmJS9_EEE10hipError_tPvRmT3_T4_T5_T6_T7_T9_mT8_P12ihipStream_tbDpT10_ENKUlT_T0_E_clISt17integral_constantIbLb0EES1A_EEDaS15_S16_EUlS15_E_NS1_11comp_targetILNS1_3genE4ELNS1_11target_archE910ELNS1_3gpuE8ELNS1_3repE0EEENS1_30default_config_static_selectorELNS0_4arch9wavefront6targetE1EEEvT1_,"axG",@progbits,_ZN7rocprim17ROCPRIM_400000_NS6detail17trampoline_kernelINS0_14default_configENS1_25partition_config_selectorILNS1_17partition_subalgoE9EllbEEZZNS1_14partition_implILS5_9ELb0ES3_jPlS8_PNS0_10empty_typeENS0_5tupleIJS8_S9_EEENSB_IJS8_SA_EEENS0_18inequality_wrapperIZN2at6native12_GLOBAL__N_124unique_dim_cuda_templateIbEESt5tupleIJNSF_6TensorESK_SK_EERKSK_lbbbEUlllE0_EEPmJS9_EEE10hipError_tPvRmT3_T4_T5_T6_T7_T9_mT8_P12ihipStream_tbDpT10_ENKUlT_T0_E_clISt17integral_constantIbLb0EES1A_EEDaS15_S16_EUlS15_E_NS1_11comp_targetILNS1_3genE4ELNS1_11target_archE910ELNS1_3gpuE8ELNS1_3repE0EEENS1_30default_config_static_selectorELNS0_4arch9wavefront6targetE1EEEvT1_,comdat
.Lfunc_end1093:
	.size	_ZN7rocprim17ROCPRIM_400000_NS6detail17trampoline_kernelINS0_14default_configENS1_25partition_config_selectorILNS1_17partition_subalgoE9EllbEEZZNS1_14partition_implILS5_9ELb0ES3_jPlS8_PNS0_10empty_typeENS0_5tupleIJS8_S9_EEENSB_IJS8_SA_EEENS0_18inequality_wrapperIZN2at6native12_GLOBAL__N_124unique_dim_cuda_templateIbEESt5tupleIJNSF_6TensorESK_SK_EERKSK_lbbbEUlllE0_EEPmJS9_EEE10hipError_tPvRmT3_T4_T5_T6_T7_T9_mT8_P12ihipStream_tbDpT10_ENKUlT_T0_E_clISt17integral_constantIbLb0EES1A_EEDaS15_S16_EUlS15_E_NS1_11comp_targetILNS1_3genE4ELNS1_11target_archE910ELNS1_3gpuE8ELNS1_3repE0EEENS1_30default_config_static_selectorELNS0_4arch9wavefront6targetE1EEEvT1_, .Lfunc_end1093-_ZN7rocprim17ROCPRIM_400000_NS6detail17trampoline_kernelINS0_14default_configENS1_25partition_config_selectorILNS1_17partition_subalgoE9EllbEEZZNS1_14partition_implILS5_9ELb0ES3_jPlS8_PNS0_10empty_typeENS0_5tupleIJS8_S9_EEENSB_IJS8_SA_EEENS0_18inequality_wrapperIZN2at6native12_GLOBAL__N_124unique_dim_cuda_templateIbEESt5tupleIJNSF_6TensorESK_SK_EERKSK_lbbbEUlllE0_EEPmJS9_EEE10hipError_tPvRmT3_T4_T5_T6_T7_T9_mT8_P12ihipStream_tbDpT10_ENKUlT_T0_E_clISt17integral_constantIbLb0EES1A_EEDaS15_S16_EUlS15_E_NS1_11comp_targetILNS1_3genE4ELNS1_11target_archE910ELNS1_3gpuE8ELNS1_3repE0EEENS1_30default_config_static_selectorELNS0_4arch9wavefront6targetE1EEEvT1_
                                        ; -- End function
	.section	.AMDGPU.csdata,"",@progbits
; Kernel info:
; codeLenInByte = 0
; NumSgprs: 6
; NumVgprs: 0
; NumAgprs: 0
; TotalNumVgprs: 0
; ScratchSize: 0
; MemoryBound: 0
; FloatMode: 240
; IeeeMode: 1
; LDSByteSize: 0 bytes/workgroup (compile time only)
; SGPRBlocks: 0
; VGPRBlocks: 0
; NumSGPRsForWavesPerEU: 6
; NumVGPRsForWavesPerEU: 1
; AccumOffset: 4
; Occupancy: 8
; WaveLimiterHint : 0
; COMPUTE_PGM_RSRC2:SCRATCH_EN: 0
; COMPUTE_PGM_RSRC2:USER_SGPR: 2
; COMPUTE_PGM_RSRC2:TRAP_HANDLER: 0
; COMPUTE_PGM_RSRC2:TGID_X_EN: 1
; COMPUTE_PGM_RSRC2:TGID_Y_EN: 0
; COMPUTE_PGM_RSRC2:TGID_Z_EN: 0
; COMPUTE_PGM_RSRC2:TIDIG_COMP_CNT: 0
; COMPUTE_PGM_RSRC3_GFX90A:ACCUM_OFFSET: 0
; COMPUTE_PGM_RSRC3_GFX90A:TG_SPLIT: 0
	.section	.text._ZN7rocprim17ROCPRIM_400000_NS6detail17trampoline_kernelINS0_14default_configENS1_25partition_config_selectorILNS1_17partition_subalgoE9EllbEEZZNS1_14partition_implILS5_9ELb0ES3_jPlS8_PNS0_10empty_typeENS0_5tupleIJS8_S9_EEENSB_IJS8_SA_EEENS0_18inequality_wrapperIZN2at6native12_GLOBAL__N_124unique_dim_cuda_templateIbEESt5tupleIJNSF_6TensorESK_SK_EERKSK_lbbbEUlllE0_EEPmJS9_EEE10hipError_tPvRmT3_T4_T5_T6_T7_T9_mT8_P12ihipStream_tbDpT10_ENKUlT_T0_E_clISt17integral_constantIbLb0EES1A_EEDaS15_S16_EUlS15_E_NS1_11comp_targetILNS1_3genE3ELNS1_11target_archE908ELNS1_3gpuE7ELNS1_3repE0EEENS1_30default_config_static_selectorELNS0_4arch9wavefront6targetE1EEEvT1_,"axG",@progbits,_ZN7rocprim17ROCPRIM_400000_NS6detail17trampoline_kernelINS0_14default_configENS1_25partition_config_selectorILNS1_17partition_subalgoE9EllbEEZZNS1_14partition_implILS5_9ELb0ES3_jPlS8_PNS0_10empty_typeENS0_5tupleIJS8_S9_EEENSB_IJS8_SA_EEENS0_18inequality_wrapperIZN2at6native12_GLOBAL__N_124unique_dim_cuda_templateIbEESt5tupleIJNSF_6TensorESK_SK_EERKSK_lbbbEUlllE0_EEPmJS9_EEE10hipError_tPvRmT3_T4_T5_T6_T7_T9_mT8_P12ihipStream_tbDpT10_ENKUlT_T0_E_clISt17integral_constantIbLb0EES1A_EEDaS15_S16_EUlS15_E_NS1_11comp_targetILNS1_3genE3ELNS1_11target_archE908ELNS1_3gpuE7ELNS1_3repE0EEENS1_30default_config_static_selectorELNS0_4arch9wavefront6targetE1EEEvT1_,comdat
	.globl	_ZN7rocprim17ROCPRIM_400000_NS6detail17trampoline_kernelINS0_14default_configENS1_25partition_config_selectorILNS1_17partition_subalgoE9EllbEEZZNS1_14partition_implILS5_9ELb0ES3_jPlS8_PNS0_10empty_typeENS0_5tupleIJS8_S9_EEENSB_IJS8_SA_EEENS0_18inequality_wrapperIZN2at6native12_GLOBAL__N_124unique_dim_cuda_templateIbEESt5tupleIJNSF_6TensorESK_SK_EERKSK_lbbbEUlllE0_EEPmJS9_EEE10hipError_tPvRmT3_T4_T5_T6_T7_T9_mT8_P12ihipStream_tbDpT10_ENKUlT_T0_E_clISt17integral_constantIbLb0EES1A_EEDaS15_S16_EUlS15_E_NS1_11comp_targetILNS1_3genE3ELNS1_11target_archE908ELNS1_3gpuE7ELNS1_3repE0EEENS1_30default_config_static_selectorELNS0_4arch9wavefront6targetE1EEEvT1_ ; -- Begin function _ZN7rocprim17ROCPRIM_400000_NS6detail17trampoline_kernelINS0_14default_configENS1_25partition_config_selectorILNS1_17partition_subalgoE9EllbEEZZNS1_14partition_implILS5_9ELb0ES3_jPlS8_PNS0_10empty_typeENS0_5tupleIJS8_S9_EEENSB_IJS8_SA_EEENS0_18inequality_wrapperIZN2at6native12_GLOBAL__N_124unique_dim_cuda_templateIbEESt5tupleIJNSF_6TensorESK_SK_EERKSK_lbbbEUlllE0_EEPmJS9_EEE10hipError_tPvRmT3_T4_T5_T6_T7_T9_mT8_P12ihipStream_tbDpT10_ENKUlT_T0_E_clISt17integral_constantIbLb0EES1A_EEDaS15_S16_EUlS15_E_NS1_11comp_targetILNS1_3genE3ELNS1_11target_archE908ELNS1_3gpuE7ELNS1_3repE0EEENS1_30default_config_static_selectorELNS0_4arch9wavefront6targetE1EEEvT1_
	.p2align	8
	.type	_ZN7rocprim17ROCPRIM_400000_NS6detail17trampoline_kernelINS0_14default_configENS1_25partition_config_selectorILNS1_17partition_subalgoE9EllbEEZZNS1_14partition_implILS5_9ELb0ES3_jPlS8_PNS0_10empty_typeENS0_5tupleIJS8_S9_EEENSB_IJS8_SA_EEENS0_18inequality_wrapperIZN2at6native12_GLOBAL__N_124unique_dim_cuda_templateIbEESt5tupleIJNSF_6TensorESK_SK_EERKSK_lbbbEUlllE0_EEPmJS9_EEE10hipError_tPvRmT3_T4_T5_T6_T7_T9_mT8_P12ihipStream_tbDpT10_ENKUlT_T0_E_clISt17integral_constantIbLb0EES1A_EEDaS15_S16_EUlS15_E_NS1_11comp_targetILNS1_3genE3ELNS1_11target_archE908ELNS1_3gpuE7ELNS1_3repE0EEENS1_30default_config_static_selectorELNS0_4arch9wavefront6targetE1EEEvT1_,@function
_ZN7rocprim17ROCPRIM_400000_NS6detail17trampoline_kernelINS0_14default_configENS1_25partition_config_selectorILNS1_17partition_subalgoE9EllbEEZZNS1_14partition_implILS5_9ELb0ES3_jPlS8_PNS0_10empty_typeENS0_5tupleIJS8_S9_EEENSB_IJS8_SA_EEENS0_18inequality_wrapperIZN2at6native12_GLOBAL__N_124unique_dim_cuda_templateIbEESt5tupleIJNSF_6TensorESK_SK_EERKSK_lbbbEUlllE0_EEPmJS9_EEE10hipError_tPvRmT3_T4_T5_T6_T7_T9_mT8_P12ihipStream_tbDpT10_ENKUlT_T0_E_clISt17integral_constantIbLb0EES1A_EEDaS15_S16_EUlS15_E_NS1_11comp_targetILNS1_3genE3ELNS1_11target_archE908ELNS1_3gpuE7ELNS1_3repE0EEENS1_30default_config_static_selectorELNS0_4arch9wavefront6targetE1EEEvT1_: ; @_ZN7rocprim17ROCPRIM_400000_NS6detail17trampoline_kernelINS0_14default_configENS1_25partition_config_selectorILNS1_17partition_subalgoE9EllbEEZZNS1_14partition_implILS5_9ELb0ES3_jPlS8_PNS0_10empty_typeENS0_5tupleIJS8_S9_EEENSB_IJS8_SA_EEENS0_18inequality_wrapperIZN2at6native12_GLOBAL__N_124unique_dim_cuda_templateIbEESt5tupleIJNSF_6TensorESK_SK_EERKSK_lbbbEUlllE0_EEPmJS9_EEE10hipError_tPvRmT3_T4_T5_T6_T7_T9_mT8_P12ihipStream_tbDpT10_ENKUlT_T0_E_clISt17integral_constantIbLb0EES1A_EEDaS15_S16_EUlS15_E_NS1_11comp_targetILNS1_3genE3ELNS1_11target_archE908ELNS1_3gpuE7ELNS1_3repE0EEENS1_30default_config_static_selectorELNS0_4arch9wavefront6targetE1EEEvT1_
; %bb.0:
	.section	.rodata,"a",@progbits
	.p2align	6, 0x0
	.amdhsa_kernel _ZN7rocprim17ROCPRIM_400000_NS6detail17trampoline_kernelINS0_14default_configENS1_25partition_config_selectorILNS1_17partition_subalgoE9EllbEEZZNS1_14partition_implILS5_9ELb0ES3_jPlS8_PNS0_10empty_typeENS0_5tupleIJS8_S9_EEENSB_IJS8_SA_EEENS0_18inequality_wrapperIZN2at6native12_GLOBAL__N_124unique_dim_cuda_templateIbEESt5tupleIJNSF_6TensorESK_SK_EERKSK_lbbbEUlllE0_EEPmJS9_EEE10hipError_tPvRmT3_T4_T5_T6_T7_T9_mT8_P12ihipStream_tbDpT10_ENKUlT_T0_E_clISt17integral_constantIbLb0EES1A_EEDaS15_S16_EUlS15_E_NS1_11comp_targetILNS1_3genE3ELNS1_11target_archE908ELNS1_3gpuE7ELNS1_3repE0EEENS1_30default_config_static_selectorELNS0_4arch9wavefront6targetE1EEEvT1_
		.amdhsa_group_segment_fixed_size 0
		.amdhsa_private_segment_fixed_size 0
		.amdhsa_kernarg_size 120
		.amdhsa_user_sgpr_count 2
		.amdhsa_user_sgpr_dispatch_ptr 0
		.amdhsa_user_sgpr_queue_ptr 0
		.amdhsa_user_sgpr_kernarg_segment_ptr 1
		.amdhsa_user_sgpr_dispatch_id 0
		.amdhsa_user_sgpr_kernarg_preload_length 0
		.amdhsa_user_sgpr_kernarg_preload_offset 0
		.amdhsa_user_sgpr_private_segment_size 0
		.amdhsa_uses_dynamic_stack 0
		.amdhsa_enable_private_segment 0
		.amdhsa_system_sgpr_workgroup_id_x 1
		.amdhsa_system_sgpr_workgroup_id_y 0
		.amdhsa_system_sgpr_workgroup_id_z 0
		.amdhsa_system_sgpr_workgroup_info 0
		.amdhsa_system_vgpr_workitem_id 0
		.amdhsa_next_free_vgpr 1
		.amdhsa_next_free_sgpr 0
		.amdhsa_accum_offset 4
		.amdhsa_reserve_vcc 0
		.amdhsa_float_round_mode_32 0
		.amdhsa_float_round_mode_16_64 0
		.amdhsa_float_denorm_mode_32 3
		.amdhsa_float_denorm_mode_16_64 3
		.amdhsa_dx10_clamp 1
		.amdhsa_ieee_mode 1
		.amdhsa_fp16_overflow 0
		.amdhsa_tg_split 0
		.amdhsa_exception_fp_ieee_invalid_op 0
		.amdhsa_exception_fp_denorm_src 0
		.amdhsa_exception_fp_ieee_div_zero 0
		.amdhsa_exception_fp_ieee_overflow 0
		.amdhsa_exception_fp_ieee_underflow 0
		.amdhsa_exception_fp_ieee_inexact 0
		.amdhsa_exception_int_div_zero 0
	.end_amdhsa_kernel
	.section	.text._ZN7rocprim17ROCPRIM_400000_NS6detail17trampoline_kernelINS0_14default_configENS1_25partition_config_selectorILNS1_17partition_subalgoE9EllbEEZZNS1_14partition_implILS5_9ELb0ES3_jPlS8_PNS0_10empty_typeENS0_5tupleIJS8_S9_EEENSB_IJS8_SA_EEENS0_18inequality_wrapperIZN2at6native12_GLOBAL__N_124unique_dim_cuda_templateIbEESt5tupleIJNSF_6TensorESK_SK_EERKSK_lbbbEUlllE0_EEPmJS9_EEE10hipError_tPvRmT3_T4_T5_T6_T7_T9_mT8_P12ihipStream_tbDpT10_ENKUlT_T0_E_clISt17integral_constantIbLb0EES1A_EEDaS15_S16_EUlS15_E_NS1_11comp_targetILNS1_3genE3ELNS1_11target_archE908ELNS1_3gpuE7ELNS1_3repE0EEENS1_30default_config_static_selectorELNS0_4arch9wavefront6targetE1EEEvT1_,"axG",@progbits,_ZN7rocprim17ROCPRIM_400000_NS6detail17trampoline_kernelINS0_14default_configENS1_25partition_config_selectorILNS1_17partition_subalgoE9EllbEEZZNS1_14partition_implILS5_9ELb0ES3_jPlS8_PNS0_10empty_typeENS0_5tupleIJS8_S9_EEENSB_IJS8_SA_EEENS0_18inequality_wrapperIZN2at6native12_GLOBAL__N_124unique_dim_cuda_templateIbEESt5tupleIJNSF_6TensorESK_SK_EERKSK_lbbbEUlllE0_EEPmJS9_EEE10hipError_tPvRmT3_T4_T5_T6_T7_T9_mT8_P12ihipStream_tbDpT10_ENKUlT_T0_E_clISt17integral_constantIbLb0EES1A_EEDaS15_S16_EUlS15_E_NS1_11comp_targetILNS1_3genE3ELNS1_11target_archE908ELNS1_3gpuE7ELNS1_3repE0EEENS1_30default_config_static_selectorELNS0_4arch9wavefront6targetE1EEEvT1_,comdat
.Lfunc_end1094:
	.size	_ZN7rocprim17ROCPRIM_400000_NS6detail17trampoline_kernelINS0_14default_configENS1_25partition_config_selectorILNS1_17partition_subalgoE9EllbEEZZNS1_14partition_implILS5_9ELb0ES3_jPlS8_PNS0_10empty_typeENS0_5tupleIJS8_S9_EEENSB_IJS8_SA_EEENS0_18inequality_wrapperIZN2at6native12_GLOBAL__N_124unique_dim_cuda_templateIbEESt5tupleIJNSF_6TensorESK_SK_EERKSK_lbbbEUlllE0_EEPmJS9_EEE10hipError_tPvRmT3_T4_T5_T6_T7_T9_mT8_P12ihipStream_tbDpT10_ENKUlT_T0_E_clISt17integral_constantIbLb0EES1A_EEDaS15_S16_EUlS15_E_NS1_11comp_targetILNS1_3genE3ELNS1_11target_archE908ELNS1_3gpuE7ELNS1_3repE0EEENS1_30default_config_static_selectorELNS0_4arch9wavefront6targetE1EEEvT1_, .Lfunc_end1094-_ZN7rocprim17ROCPRIM_400000_NS6detail17trampoline_kernelINS0_14default_configENS1_25partition_config_selectorILNS1_17partition_subalgoE9EllbEEZZNS1_14partition_implILS5_9ELb0ES3_jPlS8_PNS0_10empty_typeENS0_5tupleIJS8_S9_EEENSB_IJS8_SA_EEENS0_18inequality_wrapperIZN2at6native12_GLOBAL__N_124unique_dim_cuda_templateIbEESt5tupleIJNSF_6TensorESK_SK_EERKSK_lbbbEUlllE0_EEPmJS9_EEE10hipError_tPvRmT3_T4_T5_T6_T7_T9_mT8_P12ihipStream_tbDpT10_ENKUlT_T0_E_clISt17integral_constantIbLb0EES1A_EEDaS15_S16_EUlS15_E_NS1_11comp_targetILNS1_3genE3ELNS1_11target_archE908ELNS1_3gpuE7ELNS1_3repE0EEENS1_30default_config_static_selectorELNS0_4arch9wavefront6targetE1EEEvT1_
                                        ; -- End function
	.section	.AMDGPU.csdata,"",@progbits
; Kernel info:
; codeLenInByte = 0
; NumSgprs: 6
; NumVgprs: 0
; NumAgprs: 0
; TotalNumVgprs: 0
; ScratchSize: 0
; MemoryBound: 0
; FloatMode: 240
; IeeeMode: 1
; LDSByteSize: 0 bytes/workgroup (compile time only)
; SGPRBlocks: 0
; VGPRBlocks: 0
; NumSGPRsForWavesPerEU: 6
; NumVGPRsForWavesPerEU: 1
; AccumOffset: 4
; Occupancy: 8
; WaveLimiterHint : 0
; COMPUTE_PGM_RSRC2:SCRATCH_EN: 0
; COMPUTE_PGM_RSRC2:USER_SGPR: 2
; COMPUTE_PGM_RSRC2:TRAP_HANDLER: 0
; COMPUTE_PGM_RSRC2:TGID_X_EN: 1
; COMPUTE_PGM_RSRC2:TGID_Y_EN: 0
; COMPUTE_PGM_RSRC2:TGID_Z_EN: 0
; COMPUTE_PGM_RSRC2:TIDIG_COMP_CNT: 0
; COMPUTE_PGM_RSRC3_GFX90A:ACCUM_OFFSET: 0
; COMPUTE_PGM_RSRC3_GFX90A:TG_SPLIT: 0
	.section	.text._ZN7rocprim17ROCPRIM_400000_NS6detail17trampoline_kernelINS0_14default_configENS1_25partition_config_selectorILNS1_17partition_subalgoE9EllbEEZZNS1_14partition_implILS5_9ELb0ES3_jPlS8_PNS0_10empty_typeENS0_5tupleIJS8_S9_EEENSB_IJS8_SA_EEENS0_18inequality_wrapperIZN2at6native12_GLOBAL__N_124unique_dim_cuda_templateIbEESt5tupleIJNSF_6TensorESK_SK_EERKSK_lbbbEUlllE0_EEPmJS9_EEE10hipError_tPvRmT3_T4_T5_T6_T7_T9_mT8_P12ihipStream_tbDpT10_ENKUlT_T0_E_clISt17integral_constantIbLb0EES1A_EEDaS15_S16_EUlS15_E_NS1_11comp_targetILNS1_3genE2ELNS1_11target_archE906ELNS1_3gpuE6ELNS1_3repE0EEENS1_30default_config_static_selectorELNS0_4arch9wavefront6targetE1EEEvT1_,"axG",@progbits,_ZN7rocprim17ROCPRIM_400000_NS6detail17trampoline_kernelINS0_14default_configENS1_25partition_config_selectorILNS1_17partition_subalgoE9EllbEEZZNS1_14partition_implILS5_9ELb0ES3_jPlS8_PNS0_10empty_typeENS0_5tupleIJS8_S9_EEENSB_IJS8_SA_EEENS0_18inequality_wrapperIZN2at6native12_GLOBAL__N_124unique_dim_cuda_templateIbEESt5tupleIJNSF_6TensorESK_SK_EERKSK_lbbbEUlllE0_EEPmJS9_EEE10hipError_tPvRmT3_T4_T5_T6_T7_T9_mT8_P12ihipStream_tbDpT10_ENKUlT_T0_E_clISt17integral_constantIbLb0EES1A_EEDaS15_S16_EUlS15_E_NS1_11comp_targetILNS1_3genE2ELNS1_11target_archE906ELNS1_3gpuE6ELNS1_3repE0EEENS1_30default_config_static_selectorELNS0_4arch9wavefront6targetE1EEEvT1_,comdat
	.globl	_ZN7rocprim17ROCPRIM_400000_NS6detail17trampoline_kernelINS0_14default_configENS1_25partition_config_selectorILNS1_17partition_subalgoE9EllbEEZZNS1_14partition_implILS5_9ELb0ES3_jPlS8_PNS0_10empty_typeENS0_5tupleIJS8_S9_EEENSB_IJS8_SA_EEENS0_18inequality_wrapperIZN2at6native12_GLOBAL__N_124unique_dim_cuda_templateIbEESt5tupleIJNSF_6TensorESK_SK_EERKSK_lbbbEUlllE0_EEPmJS9_EEE10hipError_tPvRmT3_T4_T5_T6_T7_T9_mT8_P12ihipStream_tbDpT10_ENKUlT_T0_E_clISt17integral_constantIbLb0EES1A_EEDaS15_S16_EUlS15_E_NS1_11comp_targetILNS1_3genE2ELNS1_11target_archE906ELNS1_3gpuE6ELNS1_3repE0EEENS1_30default_config_static_selectorELNS0_4arch9wavefront6targetE1EEEvT1_ ; -- Begin function _ZN7rocprim17ROCPRIM_400000_NS6detail17trampoline_kernelINS0_14default_configENS1_25partition_config_selectorILNS1_17partition_subalgoE9EllbEEZZNS1_14partition_implILS5_9ELb0ES3_jPlS8_PNS0_10empty_typeENS0_5tupleIJS8_S9_EEENSB_IJS8_SA_EEENS0_18inequality_wrapperIZN2at6native12_GLOBAL__N_124unique_dim_cuda_templateIbEESt5tupleIJNSF_6TensorESK_SK_EERKSK_lbbbEUlllE0_EEPmJS9_EEE10hipError_tPvRmT3_T4_T5_T6_T7_T9_mT8_P12ihipStream_tbDpT10_ENKUlT_T0_E_clISt17integral_constantIbLb0EES1A_EEDaS15_S16_EUlS15_E_NS1_11comp_targetILNS1_3genE2ELNS1_11target_archE906ELNS1_3gpuE6ELNS1_3repE0EEENS1_30default_config_static_selectorELNS0_4arch9wavefront6targetE1EEEvT1_
	.p2align	8
	.type	_ZN7rocprim17ROCPRIM_400000_NS6detail17trampoline_kernelINS0_14default_configENS1_25partition_config_selectorILNS1_17partition_subalgoE9EllbEEZZNS1_14partition_implILS5_9ELb0ES3_jPlS8_PNS0_10empty_typeENS0_5tupleIJS8_S9_EEENSB_IJS8_SA_EEENS0_18inequality_wrapperIZN2at6native12_GLOBAL__N_124unique_dim_cuda_templateIbEESt5tupleIJNSF_6TensorESK_SK_EERKSK_lbbbEUlllE0_EEPmJS9_EEE10hipError_tPvRmT3_T4_T5_T6_T7_T9_mT8_P12ihipStream_tbDpT10_ENKUlT_T0_E_clISt17integral_constantIbLb0EES1A_EEDaS15_S16_EUlS15_E_NS1_11comp_targetILNS1_3genE2ELNS1_11target_archE906ELNS1_3gpuE6ELNS1_3repE0EEENS1_30default_config_static_selectorELNS0_4arch9wavefront6targetE1EEEvT1_,@function
_ZN7rocprim17ROCPRIM_400000_NS6detail17trampoline_kernelINS0_14default_configENS1_25partition_config_selectorILNS1_17partition_subalgoE9EllbEEZZNS1_14partition_implILS5_9ELb0ES3_jPlS8_PNS0_10empty_typeENS0_5tupleIJS8_S9_EEENSB_IJS8_SA_EEENS0_18inequality_wrapperIZN2at6native12_GLOBAL__N_124unique_dim_cuda_templateIbEESt5tupleIJNSF_6TensorESK_SK_EERKSK_lbbbEUlllE0_EEPmJS9_EEE10hipError_tPvRmT3_T4_T5_T6_T7_T9_mT8_P12ihipStream_tbDpT10_ENKUlT_T0_E_clISt17integral_constantIbLb0EES1A_EEDaS15_S16_EUlS15_E_NS1_11comp_targetILNS1_3genE2ELNS1_11target_archE906ELNS1_3gpuE6ELNS1_3repE0EEENS1_30default_config_static_selectorELNS0_4arch9wavefront6targetE1EEEvT1_: ; @_ZN7rocprim17ROCPRIM_400000_NS6detail17trampoline_kernelINS0_14default_configENS1_25partition_config_selectorILNS1_17partition_subalgoE9EllbEEZZNS1_14partition_implILS5_9ELb0ES3_jPlS8_PNS0_10empty_typeENS0_5tupleIJS8_S9_EEENSB_IJS8_SA_EEENS0_18inequality_wrapperIZN2at6native12_GLOBAL__N_124unique_dim_cuda_templateIbEESt5tupleIJNSF_6TensorESK_SK_EERKSK_lbbbEUlllE0_EEPmJS9_EEE10hipError_tPvRmT3_T4_T5_T6_T7_T9_mT8_P12ihipStream_tbDpT10_ENKUlT_T0_E_clISt17integral_constantIbLb0EES1A_EEDaS15_S16_EUlS15_E_NS1_11comp_targetILNS1_3genE2ELNS1_11target_archE906ELNS1_3gpuE6ELNS1_3repE0EEENS1_30default_config_static_selectorELNS0_4arch9wavefront6targetE1EEEvT1_
; %bb.0:
	.section	.rodata,"a",@progbits
	.p2align	6, 0x0
	.amdhsa_kernel _ZN7rocprim17ROCPRIM_400000_NS6detail17trampoline_kernelINS0_14default_configENS1_25partition_config_selectorILNS1_17partition_subalgoE9EllbEEZZNS1_14partition_implILS5_9ELb0ES3_jPlS8_PNS0_10empty_typeENS0_5tupleIJS8_S9_EEENSB_IJS8_SA_EEENS0_18inequality_wrapperIZN2at6native12_GLOBAL__N_124unique_dim_cuda_templateIbEESt5tupleIJNSF_6TensorESK_SK_EERKSK_lbbbEUlllE0_EEPmJS9_EEE10hipError_tPvRmT3_T4_T5_T6_T7_T9_mT8_P12ihipStream_tbDpT10_ENKUlT_T0_E_clISt17integral_constantIbLb0EES1A_EEDaS15_S16_EUlS15_E_NS1_11comp_targetILNS1_3genE2ELNS1_11target_archE906ELNS1_3gpuE6ELNS1_3repE0EEENS1_30default_config_static_selectorELNS0_4arch9wavefront6targetE1EEEvT1_
		.amdhsa_group_segment_fixed_size 0
		.amdhsa_private_segment_fixed_size 0
		.amdhsa_kernarg_size 120
		.amdhsa_user_sgpr_count 2
		.amdhsa_user_sgpr_dispatch_ptr 0
		.amdhsa_user_sgpr_queue_ptr 0
		.amdhsa_user_sgpr_kernarg_segment_ptr 1
		.amdhsa_user_sgpr_dispatch_id 0
		.amdhsa_user_sgpr_kernarg_preload_length 0
		.amdhsa_user_sgpr_kernarg_preload_offset 0
		.amdhsa_user_sgpr_private_segment_size 0
		.amdhsa_uses_dynamic_stack 0
		.amdhsa_enable_private_segment 0
		.amdhsa_system_sgpr_workgroup_id_x 1
		.amdhsa_system_sgpr_workgroup_id_y 0
		.amdhsa_system_sgpr_workgroup_id_z 0
		.amdhsa_system_sgpr_workgroup_info 0
		.amdhsa_system_vgpr_workitem_id 0
		.amdhsa_next_free_vgpr 1
		.amdhsa_next_free_sgpr 0
		.amdhsa_accum_offset 4
		.amdhsa_reserve_vcc 0
		.amdhsa_float_round_mode_32 0
		.amdhsa_float_round_mode_16_64 0
		.amdhsa_float_denorm_mode_32 3
		.amdhsa_float_denorm_mode_16_64 3
		.amdhsa_dx10_clamp 1
		.amdhsa_ieee_mode 1
		.amdhsa_fp16_overflow 0
		.amdhsa_tg_split 0
		.amdhsa_exception_fp_ieee_invalid_op 0
		.amdhsa_exception_fp_denorm_src 0
		.amdhsa_exception_fp_ieee_div_zero 0
		.amdhsa_exception_fp_ieee_overflow 0
		.amdhsa_exception_fp_ieee_underflow 0
		.amdhsa_exception_fp_ieee_inexact 0
		.amdhsa_exception_int_div_zero 0
	.end_amdhsa_kernel
	.section	.text._ZN7rocprim17ROCPRIM_400000_NS6detail17trampoline_kernelINS0_14default_configENS1_25partition_config_selectorILNS1_17partition_subalgoE9EllbEEZZNS1_14partition_implILS5_9ELb0ES3_jPlS8_PNS0_10empty_typeENS0_5tupleIJS8_S9_EEENSB_IJS8_SA_EEENS0_18inequality_wrapperIZN2at6native12_GLOBAL__N_124unique_dim_cuda_templateIbEESt5tupleIJNSF_6TensorESK_SK_EERKSK_lbbbEUlllE0_EEPmJS9_EEE10hipError_tPvRmT3_T4_T5_T6_T7_T9_mT8_P12ihipStream_tbDpT10_ENKUlT_T0_E_clISt17integral_constantIbLb0EES1A_EEDaS15_S16_EUlS15_E_NS1_11comp_targetILNS1_3genE2ELNS1_11target_archE906ELNS1_3gpuE6ELNS1_3repE0EEENS1_30default_config_static_selectorELNS0_4arch9wavefront6targetE1EEEvT1_,"axG",@progbits,_ZN7rocprim17ROCPRIM_400000_NS6detail17trampoline_kernelINS0_14default_configENS1_25partition_config_selectorILNS1_17partition_subalgoE9EllbEEZZNS1_14partition_implILS5_9ELb0ES3_jPlS8_PNS0_10empty_typeENS0_5tupleIJS8_S9_EEENSB_IJS8_SA_EEENS0_18inequality_wrapperIZN2at6native12_GLOBAL__N_124unique_dim_cuda_templateIbEESt5tupleIJNSF_6TensorESK_SK_EERKSK_lbbbEUlllE0_EEPmJS9_EEE10hipError_tPvRmT3_T4_T5_T6_T7_T9_mT8_P12ihipStream_tbDpT10_ENKUlT_T0_E_clISt17integral_constantIbLb0EES1A_EEDaS15_S16_EUlS15_E_NS1_11comp_targetILNS1_3genE2ELNS1_11target_archE906ELNS1_3gpuE6ELNS1_3repE0EEENS1_30default_config_static_selectorELNS0_4arch9wavefront6targetE1EEEvT1_,comdat
.Lfunc_end1095:
	.size	_ZN7rocprim17ROCPRIM_400000_NS6detail17trampoline_kernelINS0_14default_configENS1_25partition_config_selectorILNS1_17partition_subalgoE9EllbEEZZNS1_14partition_implILS5_9ELb0ES3_jPlS8_PNS0_10empty_typeENS0_5tupleIJS8_S9_EEENSB_IJS8_SA_EEENS0_18inequality_wrapperIZN2at6native12_GLOBAL__N_124unique_dim_cuda_templateIbEESt5tupleIJNSF_6TensorESK_SK_EERKSK_lbbbEUlllE0_EEPmJS9_EEE10hipError_tPvRmT3_T4_T5_T6_T7_T9_mT8_P12ihipStream_tbDpT10_ENKUlT_T0_E_clISt17integral_constantIbLb0EES1A_EEDaS15_S16_EUlS15_E_NS1_11comp_targetILNS1_3genE2ELNS1_11target_archE906ELNS1_3gpuE6ELNS1_3repE0EEENS1_30default_config_static_selectorELNS0_4arch9wavefront6targetE1EEEvT1_, .Lfunc_end1095-_ZN7rocprim17ROCPRIM_400000_NS6detail17trampoline_kernelINS0_14default_configENS1_25partition_config_selectorILNS1_17partition_subalgoE9EllbEEZZNS1_14partition_implILS5_9ELb0ES3_jPlS8_PNS0_10empty_typeENS0_5tupleIJS8_S9_EEENSB_IJS8_SA_EEENS0_18inequality_wrapperIZN2at6native12_GLOBAL__N_124unique_dim_cuda_templateIbEESt5tupleIJNSF_6TensorESK_SK_EERKSK_lbbbEUlllE0_EEPmJS9_EEE10hipError_tPvRmT3_T4_T5_T6_T7_T9_mT8_P12ihipStream_tbDpT10_ENKUlT_T0_E_clISt17integral_constantIbLb0EES1A_EEDaS15_S16_EUlS15_E_NS1_11comp_targetILNS1_3genE2ELNS1_11target_archE906ELNS1_3gpuE6ELNS1_3repE0EEENS1_30default_config_static_selectorELNS0_4arch9wavefront6targetE1EEEvT1_
                                        ; -- End function
	.section	.AMDGPU.csdata,"",@progbits
; Kernel info:
; codeLenInByte = 0
; NumSgprs: 6
; NumVgprs: 0
; NumAgprs: 0
; TotalNumVgprs: 0
; ScratchSize: 0
; MemoryBound: 0
; FloatMode: 240
; IeeeMode: 1
; LDSByteSize: 0 bytes/workgroup (compile time only)
; SGPRBlocks: 0
; VGPRBlocks: 0
; NumSGPRsForWavesPerEU: 6
; NumVGPRsForWavesPerEU: 1
; AccumOffset: 4
; Occupancy: 8
; WaveLimiterHint : 0
; COMPUTE_PGM_RSRC2:SCRATCH_EN: 0
; COMPUTE_PGM_RSRC2:USER_SGPR: 2
; COMPUTE_PGM_RSRC2:TRAP_HANDLER: 0
; COMPUTE_PGM_RSRC2:TGID_X_EN: 1
; COMPUTE_PGM_RSRC2:TGID_Y_EN: 0
; COMPUTE_PGM_RSRC2:TGID_Z_EN: 0
; COMPUTE_PGM_RSRC2:TIDIG_COMP_CNT: 0
; COMPUTE_PGM_RSRC3_GFX90A:ACCUM_OFFSET: 0
; COMPUTE_PGM_RSRC3_GFX90A:TG_SPLIT: 0
	.section	.text._ZN7rocprim17ROCPRIM_400000_NS6detail17trampoline_kernelINS0_14default_configENS1_25partition_config_selectorILNS1_17partition_subalgoE9EllbEEZZNS1_14partition_implILS5_9ELb0ES3_jPlS8_PNS0_10empty_typeENS0_5tupleIJS8_S9_EEENSB_IJS8_SA_EEENS0_18inequality_wrapperIZN2at6native12_GLOBAL__N_124unique_dim_cuda_templateIbEESt5tupleIJNSF_6TensorESK_SK_EERKSK_lbbbEUlllE0_EEPmJS9_EEE10hipError_tPvRmT3_T4_T5_T6_T7_T9_mT8_P12ihipStream_tbDpT10_ENKUlT_T0_E_clISt17integral_constantIbLb0EES1A_EEDaS15_S16_EUlS15_E_NS1_11comp_targetILNS1_3genE10ELNS1_11target_archE1200ELNS1_3gpuE4ELNS1_3repE0EEENS1_30default_config_static_selectorELNS0_4arch9wavefront6targetE1EEEvT1_,"axG",@progbits,_ZN7rocprim17ROCPRIM_400000_NS6detail17trampoline_kernelINS0_14default_configENS1_25partition_config_selectorILNS1_17partition_subalgoE9EllbEEZZNS1_14partition_implILS5_9ELb0ES3_jPlS8_PNS0_10empty_typeENS0_5tupleIJS8_S9_EEENSB_IJS8_SA_EEENS0_18inequality_wrapperIZN2at6native12_GLOBAL__N_124unique_dim_cuda_templateIbEESt5tupleIJNSF_6TensorESK_SK_EERKSK_lbbbEUlllE0_EEPmJS9_EEE10hipError_tPvRmT3_T4_T5_T6_T7_T9_mT8_P12ihipStream_tbDpT10_ENKUlT_T0_E_clISt17integral_constantIbLb0EES1A_EEDaS15_S16_EUlS15_E_NS1_11comp_targetILNS1_3genE10ELNS1_11target_archE1200ELNS1_3gpuE4ELNS1_3repE0EEENS1_30default_config_static_selectorELNS0_4arch9wavefront6targetE1EEEvT1_,comdat
	.globl	_ZN7rocprim17ROCPRIM_400000_NS6detail17trampoline_kernelINS0_14default_configENS1_25partition_config_selectorILNS1_17partition_subalgoE9EllbEEZZNS1_14partition_implILS5_9ELb0ES3_jPlS8_PNS0_10empty_typeENS0_5tupleIJS8_S9_EEENSB_IJS8_SA_EEENS0_18inequality_wrapperIZN2at6native12_GLOBAL__N_124unique_dim_cuda_templateIbEESt5tupleIJNSF_6TensorESK_SK_EERKSK_lbbbEUlllE0_EEPmJS9_EEE10hipError_tPvRmT3_T4_T5_T6_T7_T9_mT8_P12ihipStream_tbDpT10_ENKUlT_T0_E_clISt17integral_constantIbLb0EES1A_EEDaS15_S16_EUlS15_E_NS1_11comp_targetILNS1_3genE10ELNS1_11target_archE1200ELNS1_3gpuE4ELNS1_3repE0EEENS1_30default_config_static_selectorELNS0_4arch9wavefront6targetE1EEEvT1_ ; -- Begin function _ZN7rocprim17ROCPRIM_400000_NS6detail17trampoline_kernelINS0_14default_configENS1_25partition_config_selectorILNS1_17partition_subalgoE9EllbEEZZNS1_14partition_implILS5_9ELb0ES3_jPlS8_PNS0_10empty_typeENS0_5tupleIJS8_S9_EEENSB_IJS8_SA_EEENS0_18inequality_wrapperIZN2at6native12_GLOBAL__N_124unique_dim_cuda_templateIbEESt5tupleIJNSF_6TensorESK_SK_EERKSK_lbbbEUlllE0_EEPmJS9_EEE10hipError_tPvRmT3_T4_T5_T6_T7_T9_mT8_P12ihipStream_tbDpT10_ENKUlT_T0_E_clISt17integral_constantIbLb0EES1A_EEDaS15_S16_EUlS15_E_NS1_11comp_targetILNS1_3genE10ELNS1_11target_archE1200ELNS1_3gpuE4ELNS1_3repE0EEENS1_30default_config_static_selectorELNS0_4arch9wavefront6targetE1EEEvT1_
	.p2align	8
	.type	_ZN7rocprim17ROCPRIM_400000_NS6detail17trampoline_kernelINS0_14default_configENS1_25partition_config_selectorILNS1_17partition_subalgoE9EllbEEZZNS1_14partition_implILS5_9ELb0ES3_jPlS8_PNS0_10empty_typeENS0_5tupleIJS8_S9_EEENSB_IJS8_SA_EEENS0_18inequality_wrapperIZN2at6native12_GLOBAL__N_124unique_dim_cuda_templateIbEESt5tupleIJNSF_6TensorESK_SK_EERKSK_lbbbEUlllE0_EEPmJS9_EEE10hipError_tPvRmT3_T4_T5_T6_T7_T9_mT8_P12ihipStream_tbDpT10_ENKUlT_T0_E_clISt17integral_constantIbLb0EES1A_EEDaS15_S16_EUlS15_E_NS1_11comp_targetILNS1_3genE10ELNS1_11target_archE1200ELNS1_3gpuE4ELNS1_3repE0EEENS1_30default_config_static_selectorELNS0_4arch9wavefront6targetE1EEEvT1_,@function
_ZN7rocprim17ROCPRIM_400000_NS6detail17trampoline_kernelINS0_14default_configENS1_25partition_config_selectorILNS1_17partition_subalgoE9EllbEEZZNS1_14partition_implILS5_9ELb0ES3_jPlS8_PNS0_10empty_typeENS0_5tupleIJS8_S9_EEENSB_IJS8_SA_EEENS0_18inequality_wrapperIZN2at6native12_GLOBAL__N_124unique_dim_cuda_templateIbEESt5tupleIJNSF_6TensorESK_SK_EERKSK_lbbbEUlllE0_EEPmJS9_EEE10hipError_tPvRmT3_T4_T5_T6_T7_T9_mT8_P12ihipStream_tbDpT10_ENKUlT_T0_E_clISt17integral_constantIbLb0EES1A_EEDaS15_S16_EUlS15_E_NS1_11comp_targetILNS1_3genE10ELNS1_11target_archE1200ELNS1_3gpuE4ELNS1_3repE0EEENS1_30default_config_static_selectorELNS0_4arch9wavefront6targetE1EEEvT1_: ; @_ZN7rocprim17ROCPRIM_400000_NS6detail17trampoline_kernelINS0_14default_configENS1_25partition_config_selectorILNS1_17partition_subalgoE9EllbEEZZNS1_14partition_implILS5_9ELb0ES3_jPlS8_PNS0_10empty_typeENS0_5tupleIJS8_S9_EEENSB_IJS8_SA_EEENS0_18inequality_wrapperIZN2at6native12_GLOBAL__N_124unique_dim_cuda_templateIbEESt5tupleIJNSF_6TensorESK_SK_EERKSK_lbbbEUlllE0_EEPmJS9_EEE10hipError_tPvRmT3_T4_T5_T6_T7_T9_mT8_P12ihipStream_tbDpT10_ENKUlT_T0_E_clISt17integral_constantIbLb0EES1A_EEDaS15_S16_EUlS15_E_NS1_11comp_targetILNS1_3genE10ELNS1_11target_archE1200ELNS1_3gpuE4ELNS1_3repE0EEENS1_30default_config_static_selectorELNS0_4arch9wavefront6targetE1EEEvT1_
; %bb.0:
	.section	.rodata,"a",@progbits
	.p2align	6, 0x0
	.amdhsa_kernel _ZN7rocprim17ROCPRIM_400000_NS6detail17trampoline_kernelINS0_14default_configENS1_25partition_config_selectorILNS1_17partition_subalgoE9EllbEEZZNS1_14partition_implILS5_9ELb0ES3_jPlS8_PNS0_10empty_typeENS0_5tupleIJS8_S9_EEENSB_IJS8_SA_EEENS0_18inequality_wrapperIZN2at6native12_GLOBAL__N_124unique_dim_cuda_templateIbEESt5tupleIJNSF_6TensorESK_SK_EERKSK_lbbbEUlllE0_EEPmJS9_EEE10hipError_tPvRmT3_T4_T5_T6_T7_T9_mT8_P12ihipStream_tbDpT10_ENKUlT_T0_E_clISt17integral_constantIbLb0EES1A_EEDaS15_S16_EUlS15_E_NS1_11comp_targetILNS1_3genE10ELNS1_11target_archE1200ELNS1_3gpuE4ELNS1_3repE0EEENS1_30default_config_static_selectorELNS0_4arch9wavefront6targetE1EEEvT1_
		.amdhsa_group_segment_fixed_size 0
		.amdhsa_private_segment_fixed_size 0
		.amdhsa_kernarg_size 120
		.amdhsa_user_sgpr_count 2
		.amdhsa_user_sgpr_dispatch_ptr 0
		.amdhsa_user_sgpr_queue_ptr 0
		.amdhsa_user_sgpr_kernarg_segment_ptr 1
		.amdhsa_user_sgpr_dispatch_id 0
		.amdhsa_user_sgpr_kernarg_preload_length 0
		.amdhsa_user_sgpr_kernarg_preload_offset 0
		.amdhsa_user_sgpr_private_segment_size 0
		.amdhsa_uses_dynamic_stack 0
		.amdhsa_enable_private_segment 0
		.amdhsa_system_sgpr_workgroup_id_x 1
		.amdhsa_system_sgpr_workgroup_id_y 0
		.amdhsa_system_sgpr_workgroup_id_z 0
		.amdhsa_system_sgpr_workgroup_info 0
		.amdhsa_system_vgpr_workitem_id 0
		.amdhsa_next_free_vgpr 1
		.amdhsa_next_free_sgpr 0
		.amdhsa_accum_offset 4
		.amdhsa_reserve_vcc 0
		.amdhsa_float_round_mode_32 0
		.amdhsa_float_round_mode_16_64 0
		.amdhsa_float_denorm_mode_32 3
		.amdhsa_float_denorm_mode_16_64 3
		.amdhsa_dx10_clamp 1
		.amdhsa_ieee_mode 1
		.amdhsa_fp16_overflow 0
		.amdhsa_tg_split 0
		.amdhsa_exception_fp_ieee_invalid_op 0
		.amdhsa_exception_fp_denorm_src 0
		.amdhsa_exception_fp_ieee_div_zero 0
		.amdhsa_exception_fp_ieee_overflow 0
		.amdhsa_exception_fp_ieee_underflow 0
		.amdhsa_exception_fp_ieee_inexact 0
		.amdhsa_exception_int_div_zero 0
	.end_amdhsa_kernel
	.section	.text._ZN7rocprim17ROCPRIM_400000_NS6detail17trampoline_kernelINS0_14default_configENS1_25partition_config_selectorILNS1_17partition_subalgoE9EllbEEZZNS1_14partition_implILS5_9ELb0ES3_jPlS8_PNS0_10empty_typeENS0_5tupleIJS8_S9_EEENSB_IJS8_SA_EEENS0_18inequality_wrapperIZN2at6native12_GLOBAL__N_124unique_dim_cuda_templateIbEESt5tupleIJNSF_6TensorESK_SK_EERKSK_lbbbEUlllE0_EEPmJS9_EEE10hipError_tPvRmT3_T4_T5_T6_T7_T9_mT8_P12ihipStream_tbDpT10_ENKUlT_T0_E_clISt17integral_constantIbLb0EES1A_EEDaS15_S16_EUlS15_E_NS1_11comp_targetILNS1_3genE10ELNS1_11target_archE1200ELNS1_3gpuE4ELNS1_3repE0EEENS1_30default_config_static_selectorELNS0_4arch9wavefront6targetE1EEEvT1_,"axG",@progbits,_ZN7rocprim17ROCPRIM_400000_NS6detail17trampoline_kernelINS0_14default_configENS1_25partition_config_selectorILNS1_17partition_subalgoE9EllbEEZZNS1_14partition_implILS5_9ELb0ES3_jPlS8_PNS0_10empty_typeENS0_5tupleIJS8_S9_EEENSB_IJS8_SA_EEENS0_18inequality_wrapperIZN2at6native12_GLOBAL__N_124unique_dim_cuda_templateIbEESt5tupleIJNSF_6TensorESK_SK_EERKSK_lbbbEUlllE0_EEPmJS9_EEE10hipError_tPvRmT3_T4_T5_T6_T7_T9_mT8_P12ihipStream_tbDpT10_ENKUlT_T0_E_clISt17integral_constantIbLb0EES1A_EEDaS15_S16_EUlS15_E_NS1_11comp_targetILNS1_3genE10ELNS1_11target_archE1200ELNS1_3gpuE4ELNS1_3repE0EEENS1_30default_config_static_selectorELNS0_4arch9wavefront6targetE1EEEvT1_,comdat
.Lfunc_end1096:
	.size	_ZN7rocprim17ROCPRIM_400000_NS6detail17trampoline_kernelINS0_14default_configENS1_25partition_config_selectorILNS1_17partition_subalgoE9EllbEEZZNS1_14partition_implILS5_9ELb0ES3_jPlS8_PNS0_10empty_typeENS0_5tupleIJS8_S9_EEENSB_IJS8_SA_EEENS0_18inequality_wrapperIZN2at6native12_GLOBAL__N_124unique_dim_cuda_templateIbEESt5tupleIJNSF_6TensorESK_SK_EERKSK_lbbbEUlllE0_EEPmJS9_EEE10hipError_tPvRmT3_T4_T5_T6_T7_T9_mT8_P12ihipStream_tbDpT10_ENKUlT_T0_E_clISt17integral_constantIbLb0EES1A_EEDaS15_S16_EUlS15_E_NS1_11comp_targetILNS1_3genE10ELNS1_11target_archE1200ELNS1_3gpuE4ELNS1_3repE0EEENS1_30default_config_static_selectorELNS0_4arch9wavefront6targetE1EEEvT1_, .Lfunc_end1096-_ZN7rocprim17ROCPRIM_400000_NS6detail17trampoline_kernelINS0_14default_configENS1_25partition_config_selectorILNS1_17partition_subalgoE9EllbEEZZNS1_14partition_implILS5_9ELb0ES3_jPlS8_PNS0_10empty_typeENS0_5tupleIJS8_S9_EEENSB_IJS8_SA_EEENS0_18inequality_wrapperIZN2at6native12_GLOBAL__N_124unique_dim_cuda_templateIbEESt5tupleIJNSF_6TensorESK_SK_EERKSK_lbbbEUlllE0_EEPmJS9_EEE10hipError_tPvRmT3_T4_T5_T6_T7_T9_mT8_P12ihipStream_tbDpT10_ENKUlT_T0_E_clISt17integral_constantIbLb0EES1A_EEDaS15_S16_EUlS15_E_NS1_11comp_targetILNS1_3genE10ELNS1_11target_archE1200ELNS1_3gpuE4ELNS1_3repE0EEENS1_30default_config_static_selectorELNS0_4arch9wavefront6targetE1EEEvT1_
                                        ; -- End function
	.section	.AMDGPU.csdata,"",@progbits
; Kernel info:
; codeLenInByte = 0
; NumSgprs: 6
; NumVgprs: 0
; NumAgprs: 0
; TotalNumVgprs: 0
; ScratchSize: 0
; MemoryBound: 0
; FloatMode: 240
; IeeeMode: 1
; LDSByteSize: 0 bytes/workgroup (compile time only)
; SGPRBlocks: 0
; VGPRBlocks: 0
; NumSGPRsForWavesPerEU: 6
; NumVGPRsForWavesPerEU: 1
; AccumOffset: 4
; Occupancy: 8
; WaveLimiterHint : 0
; COMPUTE_PGM_RSRC2:SCRATCH_EN: 0
; COMPUTE_PGM_RSRC2:USER_SGPR: 2
; COMPUTE_PGM_RSRC2:TRAP_HANDLER: 0
; COMPUTE_PGM_RSRC2:TGID_X_EN: 1
; COMPUTE_PGM_RSRC2:TGID_Y_EN: 0
; COMPUTE_PGM_RSRC2:TGID_Z_EN: 0
; COMPUTE_PGM_RSRC2:TIDIG_COMP_CNT: 0
; COMPUTE_PGM_RSRC3_GFX90A:ACCUM_OFFSET: 0
; COMPUTE_PGM_RSRC3_GFX90A:TG_SPLIT: 0
	.section	.text._ZN7rocprim17ROCPRIM_400000_NS6detail17trampoline_kernelINS0_14default_configENS1_25partition_config_selectorILNS1_17partition_subalgoE9EllbEEZZNS1_14partition_implILS5_9ELb0ES3_jPlS8_PNS0_10empty_typeENS0_5tupleIJS8_S9_EEENSB_IJS8_SA_EEENS0_18inequality_wrapperIZN2at6native12_GLOBAL__N_124unique_dim_cuda_templateIbEESt5tupleIJNSF_6TensorESK_SK_EERKSK_lbbbEUlllE0_EEPmJS9_EEE10hipError_tPvRmT3_T4_T5_T6_T7_T9_mT8_P12ihipStream_tbDpT10_ENKUlT_T0_E_clISt17integral_constantIbLb0EES1A_EEDaS15_S16_EUlS15_E_NS1_11comp_targetILNS1_3genE9ELNS1_11target_archE1100ELNS1_3gpuE3ELNS1_3repE0EEENS1_30default_config_static_selectorELNS0_4arch9wavefront6targetE1EEEvT1_,"axG",@progbits,_ZN7rocprim17ROCPRIM_400000_NS6detail17trampoline_kernelINS0_14default_configENS1_25partition_config_selectorILNS1_17partition_subalgoE9EllbEEZZNS1_14partition_implILS5_9ELb0ES3_jPlS8_PNS0_10empty_typeENS0_5tupleIJS8_S9_EEENSB_IJS8_SA_EEENS0_18inequality_wrapperIZN2at6native12_GLOBAL__N_124unique_dim_cuda_templateIbEESt5tupleIJNSF_6TensorESK_SK_EERKSK_lbbbEUlllE0_EEPmJS9_EEE10hipError_tPvRmT3_T4_T5_T6_T7_T9_mT8_P12ihipStream_tbDpT10_ENKUlT_T0_E_clISt17integral_constantIbLb0EES1A_EEDaS15_S16_EUlS15_E_NS1_11comp_targetILNS1_3genE9ELNS1_11target_archE1100ELNS1_3gpuE3ELNS1_3repE0EEENS1_30default_config_static_selectorELNS0_4arch9wavefront6targetE1EEEvT1_,comdat
	.globl	_ZN7rocprim17ROCPRIM_400000_NS6detail17trampoline_kernelINS0_14default_configENS1_25partition_config_selectorILNS1_17partition_subalgoE9EllbEEZZNS1_14partition_implILS5_9ELb0ES3_jPlS8_PNS0_10empty_typeENS0_5tupleIJS8_S9_EEENSB_IJS8_SA_EEENS0_18inequality_wrapperIZN2at6native12_GLOBAL__N_124unique_dim_cuda_templateIbEESt5tupleIJNSF_6TensorESK_SK_EERKSK_lbbbEUlllE0_EEPmJS9_EEE10hipError_tPvRmT3_T4_T5_T6_T7_T9_mT8_P12ihipStream_tbDpT10_ENKUlT_T0_E_clISt17integral_constantIbLb0EES1A_EEDaS15_S16_EUlS15_E_NS1_11comp_targetILNS1_3genE9ELNS1_11target_archE1100ELNS1_3gpuE3ELNS1_3repE0EEENS1_30default_config_static_selectorELNS0_4arch9wavefront6targetE1EEEvT1_ ; -- Begin function _ZN7rocprim17ROCPRIM_400000_NS6detail17trampoline_kernelINS0_14default_configENS1_25partition_config_selectorILNS1_17partition_subalgoE9EllbEEZZNS1_14partition_implILS5_9ELb0ES3_jPlS8_PNS0_10empty_typeENS0_5tupleIJS8_S9_EEENSB_IJS8_SA_EEENS0_18inequality_wrapperIZN2at6native12_GLOBAL__N_124unique_dim_cuda_templateIbEESt5tupleIJNSF_6TensorESK_SK_EERKSK_lbbbEUlllE0_EEPmJS9_EEE10hipError_tPvRmT3_T4_T5_T6_T7_T9_mT8_P12ihipStream_tbDpT10_ENKUlT_T0_E_clISt17integral_constantIbLb0EES1A_EEDaS15_S16_EUlS15_E_NS1_11comp_targetILNS1_3genE9ELNS1_11target_archE1100ELNS1_3gpuE3ELNS1_3repE0EEENS1_30default_config_static_selectorELNS0_4arch9wavefront6targetE1EEEvT1_
	.p2align	8
	.type	_ZN7rocprim17ROCPRIM_400000_NS6detail17trampoline_kernelINS0_14default_configENS1_25partition_config_selectorILNS1_17partition_subalgoE9EllbEEZZNS1_14partition_implILS5_9ELb0ES3_jPlS8_PNS0_10empty_typeENS0_5tupleIJS8_S9_EEENSB_IJS8_SA_EEENS0_18inequality_wrapperIZN2at6native12_GLOBAL__N_124unique_dim_cuda_templateIbEESt5tupleIJNSF_6TensorESK_SK_EERKSK_lbbbEUlllE0_EEPmJS9_EEE10hipError_tPvRmT3_T4_T5_T6_T7_T9_mT8_P12ihipStream_tbDpT10_ENKUlT_T0_E_clISt17integral_constantIbLb0EES1A_EEDaS15_S16_EUlS15_E_NS1_11comp_targetILNS1_3genE9ELNS1_11target_archE1100ELNS1_3gpuE3ELNS1_3repE0EEENS1_30default_config_static_selectorELNS0_4arch9wavefront6targetE1EEEvT1_,@function
_ZN7rocprim17ROCPRIM_400000_NS6detail17trampoline_kernelINS0_14default_configENS1_25partition_config_selectorILNS1_17partition_subalgoE9EllbEEZZNS1_14partition_implILS5_9ELb0ES3_jPlS8_PNS0_10empty_typeENS0_5tupleIJS8_S9_EEENSB_IJS8_SA_EEENS0_18inequality_wrapperIZN2at6native12_GLOBAL__N_124unique_dim_cuda_templateIbEESt5tupleIJNSF_6TensorESK_SK_EERKSK_lbbbEUlllE0_EEPmJS9_EEE10hipError_tPvRmT3_T4_T5_T6_T7_T9_mT8_P12ihipStream_tbDpT10_ENKUlT_T0_E_clISt17integral_constantIbLb0EES1A_EEDaS15_S16_EUlS15_E_NS1_11comp_targetILNS1_3genE9ELNS1_11target_archE1100ELNS1_3gpuE3ELNS1_3repE0EEENS1_30default_config_static_selectorELNS0_4arch9wavefront6targetE1EEEvT1_: ; @_ZN7rocprim17ROCPRIM_400000_NS6detail17trampoline_kernelINS0_14default_configENS1_25partition_config_selectorILNS1_17partition_subalgoE9EllbEEZZNS1_14partition_implILS5_9ELb0ES3_jPlS8_PNS0_10empty_typeENS0_5tupleIJS8_S9_EEENSB_IJS8_SA_EEENS0_18inequality_wrapperIZN2at6native12_GLOBAL__N_124unique_dim_cuda_templateIbEESt5tupleIJNSF_6TensorESK_SK_EERKSK_lbbbEUlllE0_EEPmJS9_EEE10hipError_tPvRmT3_T4_T5_T6_T7_T9_mT8_P12ihipStream_tbDpT10_ENKUlT_T0_E_clISt17integral_constantIbLb0EES1A_EEDaS15_S16_EUlS15_E_NS1_11comp_targetILNS1_3genE9ELNS1_11target_archE1100ELNS1_3gpuE3ELNS1_3repE0EEENS1_30default_config_static_selectorELNS0_4arch9wavefront6targetE1EEEvT1_
; %bb.0:
	.section	.rodata,"a",@progbits
	.p2align	6, 0x0
	.amdhsa_kernel _ZN7rocprim17ROCPRIM_400000_NS6detail17trampoline_kernelINS0_14default_configENS1_25partition_config_selectorILNS1_17partition_subalgoE9EllbEEZZNS1_14partition_implILS5_9ELb0ES3_jPlS8_PNS0_10empty_typeENS0_5tupleIJS8_S9_EEENSB_IJS8_SA_EEENS0_18inequality_wrapperIZN2at6native12_GLOBAL__N_124unique_dim_cuda_templateIbEESt5tupleIJNSF_6TensorESK_SK_EERKSK_lbbbEUlllE0_EEPmJS9_EEE10hipError_tPvRmT3_T4_T5_T6_T7_T9_mT8_P12ihipStream_tbDpT10_ENKUlT_T0_E_clISt17integral_constantIbLb0EES1A_EEDaS15_S16_EUlS15_E_NS1_11comp_targetILNS1_3genE9ELNS1_11target_archE1100ELNS1_3gpuE3ELNS1_3repE0EEENS1_30default_config_static_selectorELNS0_4arch9wavefront6targetE1EEEvT1_
		.amdhsa_group_segment_fixed_size 0
		.amdhsa_private_segment_fixed_size 0
		.amdhsa_kernarg_size 120
		.amdhsa_user_sgpr_count 2
		.amdhsa_user_sgpr_dispatch_ptr 0
		.amdhsa_user_sgpr_queue_ptr 0
		.amdhsa_user_sgpr_kernarg_segment_ptr 1
		.amdhsa_user_sgpr_dispatch_id 0
		.amdhsa_user_sgpr_kernarg_preload_length 0
		.amdhsa_user_sgpr_kernarg_preload_offset 0
		.amdhsa_user_sgpr_private_segment_size 0
		.amdhsa_uses_dynamic_stack 0
		.amdhsa_enable_private_segment 0
		.amdhsa_system_sgpr_workgroup_id_x 1
		.amdhsa_system_sgpr_workgroup_id_y 0
		.amdhsa_system_sgpr_workgroup_id_z 0
		.amdhsa_system_sgpr_workgroup_info 0
		.amdhsa_system_vgpr_workitem_id 0
		.amdhsa_next_free_vgpr 1
		.amdhsa_next_free_sgpr 0
		.amdhsa_accum_offset 4
		.amdhsa_reserve_vcc 0
		.amdhsa_float_round_mode_32 0
		.amdhsa_float_round_mode_16_64 0
		.amdhsa_float_denorm_mode_32 3
		.amdhsa_float_denorm_mode_16_64 3
		.amdhsa_dx10_clamp 1
		.amdhsa_ieee_mode 1
		.amdhsa_fp16_overflow 0
		.amdhsa_tg_split 0
		.amdhsa_exception_fp_ieee_invalid_op 0
		.amdhsa_exception_fp_denorm_src 0
		.amdhsa_exception_fp_ieee_div_zero 0
		.amdhsa_exception_fp_ieee_overflow 0
		.amdhsa_exception_fp_ieee_underflow 0
		.amdhsa_exception_fp_ieee_inexact 0
		.amdhsa_exception_int_div_zero 0
	.end_amdhsa_kernel
	.section	.text._ZN7rocprim17ROCPRIM_400000_NS6detail17trampoline_kernelINS0_14default_configENS1_25partition_config_selectorILNS1_17partition_subalgoE9EllbEEZZNS1_14partition_implILS5_9ELb0ES3_jPlS8_PNS0_10empty_typeENS0_5tupleIJS8_S9_EEENSB_IJS8_SA_EEENS0_18inequality_wrapperIZN2at6native12_GLOBAL__N_124unique_dim_cuda_templateIbEESt5tupleIJNSF_6TensorESK_SK_EERKSK_lbbbEUlllE0_EEPmJS9_EEE10hipError_tPvRmT3_T4_T5_T6_T7_T9_mT8_P12ihipStream_tbDpT10_ENKUlT_T0_E_clISt17integral_constantIbLb0EES1A_EEDaS15_S16_EUlS15_E_NS1_11comp_targetILNS1_3genE9ELNS1_11target_archE1100ELNS1_3gpuE3ELNS1_3repE0EEENS1_30default_config_static_selectorELNS0_4arch9wavefront6targetE1EEEvT1_,"axG",@progbits,_ZN7rocprim17ROCPRIM_400000_NS6detail17trampoline_kernelINS0_14default_configENS1_25partition_config_selectorILNS1_17partition_subalgoE9EllbEEZZNS1_14partition_implILS5_9ELb0ES3_jPlS8_PNS0_10empty_typeENS0_5tupleIJS8_S9_EEENSB_IJS8_SA_EEENS0_18inequality_wrapperIZN2at6native12_GLOBAL__N_124unique_dim_cuda_templateIbEESt5tupleIJNSF_6TensorESK_SK_EERKSK_lbbbEUlllE0_EEPmJS9_EEE10hipError_tPvRmT3_T4_T5_T6_T7_T9_mT8_P12ihipStream_tbDpT10_ENKUlT_T0_E_clISt17integral_constantIbLb0EES1A_EEDaS15_S16_EUlS15_E_NS1_11comp_targetILNS1_3genE9ELNS1_11target_archE1100ELNS1_3gpuE3ELNS1_3repE0EEENS1_30default_config_static_selectorELNS0_4arch9wavefront6targetE1EEEvT1_,comdat
.Lfunc_end1097:
	.size	_ZN7rocprim17ROCPRIM_400000_NS6detail17trampoline_kernelINS0_14default_configENS1_25partition_config_selectorILNS1_17partition_subalgoE9EllbEEZZNS1_14partition_implILS5_9ELb0ES3_jPlS8_PNS0_10empty_typeENS0_5tupleIJS8_S9_EEENSB_IJS8_SA_EEENS0_18inequality_wrapperIZN2at6native12_GLOBAL__N_124unique_dim_cuda_templateIbEESt5tupleIJNSF_6TensorESK_SK_EERKSK_lbbbEUlllE0_EEPmJS9_EEE10hipError_tPvRmT3_T4_T5_T6_T7_T9_mT8_P12ihipStream_tbDpT10_ENKUlT_T0_E_clISt17integral_constantIbLb0EES1A_EEDaS15_S16_EUlS15_E_NS1_11comp_targetILNS1_3genE9ELNS1_11target_archE1100ELNS1_3gpuE3ELNS1_3repE0EEENS1_30default_config_static_selectorELNS0_4arch9wavefront6targetE1EEEvT1_, .Lfunc_end1097-_ZN7rocprim17ROCPRIM_400000_NS6detail17trampoline_kernelINS0_14default_configENS1_25partition_config_selectorILNS1_17partition_subalgoE9EllbEEZZNS1_14partition_implILS5_9ELb0ES3_jPlS8_PNS0_10empty_typeENS0_5tupleIJS8_S9_EEENSB_IJS8_SA_EEENS0_18inequality_wrapperIZN2at6native12_GLOBAL__N_124unique_dim_cuda_templateIbEESt5tupleIJNSF_6TensorESK_SK_EERKSK_lbbbEUlllE0_EEPmJS9_EEE10hipError_tPvRmT3_T4_T5_T6_T7_T9_mT8_P12ihipStream_tbDpT10_ENKUlT_T0_E_clISt17integral_constantIbLb0EES1A_EEDaS15_S16_EUlS15_E_NS1_11comp_targetILNS1_3genE9ELNS1_11target_archE1100ELNS1_3gpuE3ELNS1_3repE0EEENS1_30default_config_static_selectorELNS0_4arch9wavefront6targetE1EEEvT1_
                                        ; -- End function
	.section	.AMDGPU.csdata,"",@progbits
; Kernel info:
; codeLenInByte = 0
; NumSgprs: 6
; NumVgprs: 0
; NumAgprs: 0
; TotalNumVgprs: 0
; ScratchSize: 0
; MemoryBound: 0
; FloatMode: 240
; IeeeMode: 1
; LDSByteSize: 0 bytes/workgroup (compile time only)
; SGPRBlocks: 0
; VGPRBlocks: 0
; NumSGPRsForWavesPerEU: 6
; NumVGPRsForWavesPerEU: 1
; AccumOffset: 4
; Occupancy: 8
; WaveLimiterHint : 0
; COMPUTE_PGM_RSRC2:SCRATCH_EN: 0
; COMPUTE_PGM_RSRC2:USER_SGPR: 2
; COMPUTE_PGM_RSRC2:TRAP_HANDLER: 0
; COMPUTE_PGM_RSRC2:TGID_X_EN: 1
; COMPUTE_PGM_RSRC2:TGID_Y_EN: 0
; COMPUTE_PGM_RSRC2:TGID_Z_EN: 0
; COMPUTE_PGM_RSRC2:TIDIG_COMP_CNT: 0
; COMPUTE_PGM_RSRC3_GFX90A:ACCUM_OFFSET: 0
; COMPUTE_PGM_RSRC3_GFX90A:TG_SPLIT: 0
	.section	.text._ZN7rocprim17ROCPRIM_400000_NS6detail17trampoline_kernelINS0_14default_configENS1_25partition_config_selectorILNS1_17partition_subalgoE9EllbEEZZNS1_14partition_implILS5_9ELb0ES3_jPlS8_PNS0_10empty_typeENS0_5tupleIJS8_S9_EEENSB_IJS8_SA_EEENS0_18inequality_wrapperIZN2at6native12_GLOBAL__N_124unique_dim_cuda_templateIbEESt5tupleIJNSF_6TensorESK_SK_EERKSK_lbbbEUlllE0_EEPmJS9_EEE10hipError_tPvRmT3_T4_T5_T6_T7_T9_mT8_P12ihipStream_tbDpT10_ENKUlT_T0_E_clISt17integral_constantIbLb0EES1A_EEDaS15_S16_EUlS15_E_NS1_11comp_targetILNS1_3genE8ELNS1_11target_archE1030ELNS1_3gpuE2ELNS1_3repE0EEENS1_30default_config_static_selectorELNS0_4arch9wavefront6targetE1EEEvT1_,"axG",@progbits,_ZN7rocprim17ROCPRIM_400000_NS6detail17trampoline_kernelINS0_14default_configENS1_25partition_config_selectorILNS1_17partition_subalgoE9EllbEEZZNS1_14partition_implILS5_9ELb0ES3_jPlS8_PNS0_10empty_typeENS0_5tupleIJS8_S9_EEENSB_IJS8_SA_EEENS0_18inequality_wrapperIZN2at6native12_GLOBAL__N_124unique_dim_cuda_templateIbEESt5tupleIJNSF_6TensorESK_SK_EERKSK_lbbbEUlllE0_EEPmJS9_EEE10hipError_tPvRmT3_T4_T5_T6_T7_T9_mT8_P12ihipStream_tbDpT10_ENKUlT_T0_E_clISt17integral_constantIbLb0EES1A_EEDaS15_S16_EUlS15_E_NS1_11comp_targetILNS1_3genE8ELNS1_11target_archE1030ELNS1_3gpuE2ELNS1_3repE0EEENS1_30default_config_static_selectorELNS0_4arch9wavefront6targetE1EEEvT1_,comdat
	.globl	_ZN7rocprim17ROCPRIM_400000_NS6detail17trampoline_kernelINS0_14default_configENS1_25partition_config_selectorILNS1_17partition_subalgoE9EllbEEZZNS1_14partition_implILS5_9ELb0ES3_jPlS8_PNS0_10empty_typeENS0_5tupleIJS8_S9_EEENSB_IJS8_SA_EEENS0_18inequality_wrapperIZN2at6native12_GLOBAL__N_124unique_dim_cuda_templateIbEESt5tupleIJNSF_6TensorESK_SK_EERKSK_lbbbEUlllE0_EEPmJS9_EEE10hipError_tPvRmT3_T4_T5_T6_T7_T9_mT8_P12ihipStream_tbDpT10_ENKUlT_T0_E_clISt17integral_constantIbLb0EES1A_EEDaS15_S16_EUlS15_E_NS1_11comp_targetILNS1_3genE8ELNS1_11target_archE1030ELNS1_3gpuE2ELNS1_3repE0EEENS1_30default_config_static_selectorELNS0_4arch9wavefront6targetE1EEEvT1_ ; -- Begin function _ZN7rocprim17ROCPRIM_400000_NS6detail17trampoline_kernelINS0_14default_configENS1_25partition_config_selectorILNS1_17partition_subalgoE9EllbEEZZNS1_14partition_implILS5_9ELb0ES3_jPlS8_PNS0_10empty_typeENS0_5tupleIJS8_S9_EEENSB_IJS8_SA_EEENS0_18inequality_wrapperIZN2at6native12_GLOBAL__N_124unique_dim_cuda_templateIbEESt5tupleIJNSF_6TensorESK_SK_EERKSK_lbbbEUlllE0_EEPmJS9_EEE10hipError_tPvRmT3_T4_T5_T6_T7_T9_mT8_P12ihipStream_tbDpT10_ENKUlT_T0_E_clISt17integral_constantIbLb0EES1A_EEDaS15_S16_EUlS15_E_NS1_11comp_targetILNS1_3genE8ELNS1_11target_archE1030ELNS1_3gpuE2ELNS1_3repE0EEENS1_30default_config_static_selectorELNS0_4arch9wavefront6targetE1EEEvT1_
	.p2align	8
	.type	_ZN7rocprim17ROCPRIM_400000_NS6detail17trampoline_kernelINS0_14default_configENS1_25partition_config_selectorILNS1_17partition_subalgoE9EllbEEZZNS1_14partition_implILS5_9ELb0ES3_jPlS8_PNS0_10empty_typeENS0_5tupleIJS8_S9_EEENSB_IJS8_SA_EEENS0_18inequality_wrapperIZN2at6native12_GLOBAL__N_124unique_dim_cuda_templateIbEESt5tupleIJNSF_6TensorESK_SK_EERKSK_lbbbEUlllE0_EEPmJS9_EEE10hipError_tPvRmT3_T4_T5_T6_T7_T9_mT8_P12ihipStream_tbDpT10_ENKUlT_T0_E_clISt17integral_constantIbLb0EES1A_EEDaS15_S16_EUlS15_E_NS1_11comp_targetILNS1_3genE8ELNS1_11target_archE1030ELNS1_3gpuE2ELNS1_3repE0EEENS1_30default_config_static_selectorELNS0_4arch9wavefront6targetE1EEEvT1_,@function
_ZN7rocprim17ROCPRIM_400000_NS6detail17trampoline_kernelINS0_14default_configENS1_25partition_config_selectorILNS1_17partition_subalgoE9EllbEEZZNS1_14partition_implILS5_9ELb0ES3_jPlS8_PNS0_10empty_typeENS0_5tupleIJS8_S9_EEENSB_IJS8_SA_EEENS0_18inequality_wrapperIZN2at6native12_GLOBAL__N_124unique_dim_cuda_templateIbEESt5tupleIJNSF_6TensorESK_SK_EERKSK_lbbbEUlllE0_EEPmJS9_EEE10hipError_tPvRmT3_T4_T5_T6_T7_T9_mT8_P12ihipStream_tbDpT10_ENKUlT_T0_E_clISt17integral_constantIbLb0EES1A_EEDaS15_S16_EUlS15_E_NS1_11comp_targetILNS1_3genE8ELNS1_11target_archE1030ELNS1_3gpuE2ELNS1_3repE0EEENS1_30default_config_static_selectorELNS0_4arch9wavefront6targetE1EEEvT1_: ; @_ZN7rocprim17ROCPRIM_400000_NS6detail17trampoline_kernelINS0_14default_configENS1_25partition_config_selectorILNS1_17partition_subalgoE9EllbEEZZNS1_14partition_implILS5_9ELb0ES3_jPlS8_PNS0_10empty_typeENS0_5tupleIJS8_S9_EEENSB_IJS8_SA_EEENS0_18inequality_wrapperIZN2at6native12_GLOBAL__N_124unique_dim_cuda_templateIbEESt5tupleIJNSF_6TensorESK_SK_EERKSK_lbbbEUlllE0_EEPmJS9_EEE10hipError_tPvRmT3_T4_T5_T6_T7_T9_mT8_P12ihipStream_tbDpT10_ENKUlT_T0_E_clISt17integral_constantIbLb0EES1A_EEDaS15_S16_EUlS15_E_NS1_11comp_targetILNS1_3genE8ELNS1_11target_archE1030ELNS1_3gpuE2ELNS1_3repE0EEENS1_30default_config_static_selectorELNS0_4arch9wavefront6targetE1EEEvT1_
; %bb.0:
	.section	.rodata,"a",@progbits
	.p2align	6, 0x0
	.amdhsa_kernel _ZN7rocprim17ROCPRIM_400000_NS6detail17trampoline_kernelINS0_14default_configENS1_25partition_config_selectorILNS1_17partition_subalgoE9EllbEEZZNS1_14partition_implILS5_9ELb0ES3_jPlS8_PNS0_10empty_typeENS0_5tupleIJS8_S9_EEENSB_IJS8_SA_EEENS0_18inequality_wrapperIZN2at6native12_GLOBAL__N_124unique_dim_cuda_templateIbEESt5tupleIJNSF_6TensorESK_SK_EERKSK_lbbbEUlllE0_EEPmJS9_EEE10hipError_tPvRmT3_T4_T5_T6_T7_T9_mT8_P12ihipStream_tbDpT10_ENKUlT_T0_E_clISt17integral_constantIbLb0EES1A_EEDaS15_S16_EUlS15_E_NS1_11comp_targetILNS1_3genE8ELNS1_11target_archE1030ELNS1_3gpuE2ELNS1_3repE0EEENS1_30default_config_static_selectorELNS0_4arch9wavefront6targetE1EEEvT1_
		.amdhsa_group_segment_fixed_size 0
		.amdhsa_private_segment_fixed_size 0
		.amdhsa_kernarg_size 120
		.amdhsa_user_sgpr_count 2
		.amdhsa_user_sgpr_dispatch_ptr 0
		.amdhsa_user_sgpr_queue_ptr 0
		.amdhsa_user_sgpr_kernarg_segment_ptr 1
		.amdhsa_user_sgpr_dispatch_id 0
		.amdhsa_user_sgpr_kernarg_preload_length 0
		.amdhsa_user_sgpr_kernarg_preload_offset 0
		.amdhsa_user_sgpr_private_segment_size 0
		.amdhsa_uses_dynamic_stack 0
		.amdhsa_enable_private_segment 0
		.amdhsa_system_sgpr_workgroup_id_x 1
		.amdhsa_system_sgpr_workgroup_id_y 0
		.amdhsa_system_sgpr_workgroup_id_z 0
		.amdhsa_system_sgpr_workgroup_info 0
		.amdhsa_system_vgpr_workitem_id 0
		.amdhsa_next_free_vgpr 1
		.amdhsa_next_free_sgpr 0
		.amdhsa_accum_offset 4
		.amdhsa_reserve_vcc 0
		.amdhsa_float_round_mode_32 0
		.amdhsa_float_round_mode_16_64 0
		.amdhsa_float_denorm_mode_32 3
		.amdhsa_float_denorm_mode_16_64 3
		.amdhsa_dx10_clamp 1
		.amdhsa_ieee_mode 1
		.amdhsa_fp16_overflow 0
		.amdhsa_tg_split 0
		.amdhsa_exception_fp_ieee_invalid_op 0
		.amdhsa_exception_fp_denorm_src 0
		.amdhsa_exception_fp_ieee_div_zero 0
		.amdhsa_exception_fp_ieee_overflow 0
		.amdhsa_exception_fp_ieee_underflow 0
		.amdhsa_exception_fp_ieee_inexact 0
		.amdhsa_exception_int_div_zero 0
	.end_amdhsa_kernel
	.section	.text._ZN7rocprim17ROCPRIM_400000_NS6detail17trampoline_kernelINS0_14default_configENS1_25partition_config_selectorILNS1_17partition_subalgoE9EllbEEZZNS1_14partition_implILS5_9ELb0ES3_jPlS8_PNS0_10empty_typeENS0_5tupleIJS8_S9_EEENSB_IJS8_SA_EEENS0_18inequality_wrapperIZN2at6native12_GLOBAL__N_124unique_dim_cuda_templateIbEESt5tupleIJNSF_6TensorESK_SK_EERKSK_lbbbEUlllE0_EEPmJS9_EEE10hipError_tPvRmT3_T4_T5_T6_T7_T9_mT8_P12ihipStream_tbDpT10_ENKUlT_T0_E_clISt17integral_constantIbLb0EES1A_EEDaS15_S16_EUlS15_E_NS1_11comp_targetILNS1_3genE8ELNS1_11target_archE1030ELNS1_3gpuE2ELNS1_3repE0EEENS1_30default_config_static_selectorELNS0_4arch9wavefront6targetE1EEEvT1_,"axG",@progbits,_ZN7rocprim17ROCPRIM_400000_NS6detail17trampoline_kernelINS0_14default_configENS1_25partition_config_selectorILNS1_17partition_subalgoE9EllbEEZZNS1_14partition_implILS5_9ELb0ES3_jPlS8_PNS0_10empty_typeENS0_5tupleIJS8_S9_EEENSB_IJS8_SA_EEENS0_18inequality_wrapperIZN2at6native12_GLOBAL__N_124unique_dim_cuda_templateIbEESt5tupleIJNSF_6TensorESK_SK_EERKSK_lbbbEUlllE0_EEPmJS9_EEE10hipError_tPvRmT3_T4_T5_T6_T7_T9_mT8_P12ihipStream_tbDpT10_ENKUlT_T0_E_clISt17integral_constantIbLb0EES1A_EEDaS15_S16_EUlS15_E_NS1_11comp_targetILNS1_3genE8ELNS1_11target_archE1030ELNS1_3gpuE2ELNS1_3repE0EEENS1_30default_config_static_selectorELNS0_4arch9wavefront6targetE1EEEvT1_,comdat
.Lfunc_end1098:
	.size	_ZN7rocprim17ROCPRIM_400000_NS6detail17trampoline_kernelINS0_14default_configENS1_25partition_config_selectorILNS1_17partition_subalgoE9EllbEEZZNS1_14partition_implILS5_9ELb0ES3_jPlS8_PNS0_10empty_typeENS0_5tupleIJS8_S9_EEENSB_IJS8_SA_EEENS0_18inequality_wrapperIZN2at6native12_GLOBAL__N_124unique_dim_cuda_templateIbEESt5tupleIJNSF_6TensorESK_SK_EERKSK_lbbbEUlllE0_EEPmJS9_EEE10hipError_tPvRmT3_T4_T5_T6_T7_T9_mT8_P12ihipStream_tbDpT10_ENKUlT_T0_E_clISt17integral_constantIbLb0EES1A_EEDaS15_S16_EUlS15_E_NS1_11comp_targetILNS1_3genE8ELNS1_11target_archE1030ELNS1_3gpuE2ELNS1_3repE0EEENS1_30default_config_static_selectorELNS0_4arch9wavefront6targetE1EEEvT1_, .Lfunc_end1098-_ZN7rocprim17ROCPRIM_400000_NS6detail17trampoline_kernelINS0_14default_configENS1_25partition_config_selectorILNS1_17partition_subalgoE9EllbEEZZNS1_14partition_implILS5_9ELb0ES3_jPlS8_PNS0_10empty_typeENS0_5tupleIJS8_S9_EEENSB_IJS8_SA_EEENS0_18inequality_wrapperIZN2at6native12_GLOBAL__N_124unique_dim_cuda_templateIbEESt5tupleIJNSF_6TensorESK_SK_EERKSK_lbbbEUlllE0_EEPmJS9_EEE10hipError_tPvRmT3_T4_T5_T6_T7_T9_mT8_P12ihipStream_tbDpT10_ENKUlT_T0_E_clISt17integral_constantIbLb0EES1A_EEDaS15_S16_EUlS15_E_NS1_11comp_targetILNS1_3genE8ELNS1_11target_archE1030ELNS1_3gpuE2ELNS1_3repE0EEENS1_30default_config_static_selectorELNS0_4arch9wavefront6targetE1EEEvT1_
                                        ; -- End function
	.section	.AMDGPU.csdata,"",@progbits
; Kernel info:
; codeLenInByte = 0
; NumSgprs: 6
; NumVgprs: 0
; NumAgprs: 0
; TotalNumVgprs: 0
; ScratchSize: 0
; MemoryBound: 0
; FloatMode: 240
; IeeeMode: 1
; LDSByteSize: 0 bytes/workgroup (compile time only)
; SGPRBlocks: 0
; VGPRBlocks: 0
; NumSGPRsForWavesPerEU: 6
; NumVGPRsForWavesPerEU: 1
; AccumOffset: 4
; Occupancy: 8
; WaveLimiterHint : 0
; COMPUTE_PGM_RSRC2:SCRATCH_EN: 0
; COMPUTE_PGM_RSRC2:USER_SGPR: 2
; COMPUTE_PGM_RSRC2:TRAP_HANDLER: 0
; COMPUTE_PGM_RSRC2:TGID_X_EN: 1
; COMPUTE_PGM_RSRC2:TGID_Y_EN: 0
; COMPUTE_PGM_RSRC2:TGID_Z_EN: 0
; COMPUTE_PGM_RSRC2:TIDIG_COMP_CNT: 0
; COMPUTE_PGM_RSRC3_GFX90A:ACCUM_OFFSET: 0
; COMPUTE_PGM_RSRC3_GFX90A:TG_SPLIT: 0
	.section	.text._ZN7rocprim17ROCPRIM_400000_NS6detail17trampoline_kernelINS0_14default_configENS1_25partition_config_selectorILNS1_17partition_subalgoE9EllbEEZZNS1_14partition_implILS5_9ELb0ES3_jPlS8_PNS0_10empty_typeENS0_5tupleIJS8_S9_EEENSB_IJS8_SA_EEENS0_18inequality_wrapperIZN2at6native12_GLOBAL__N_124unique_dim_cuda_templateIbEESt5tupleIJNSF_6TensorESK_SK_EERKSK_lbbbEUlllE0_EEPmJS9_EEE10hipError_tPvRmT3_T4_T5_T6_T7_T9_mT8_P12ihipStream_tbDpT10_ENKUlT_T0_E_clISt17integral_constantIbLb1EES1A_EEDaS15_S16_EUlS15_E_NS1_11comp_targetILNS1_3genE0ELNS1_11target_archE4294967295ELNS1_3gpuE0ELNS1_3repE0EEENS1_30default_config_static_selectorELNS0_4arch9wavefront6targetE1EEEvT1_,"axG",@progbits,_ZN7rocprim17ROCPRIM_400000_NS6detail17trampoline_kernelINS0_14default_configENS1_25partition_config_selectorILNS1_17partition_subalgoE9EllbEEZZNS1_14partition_implILS5_9ELb0ES3_jPlS8_PNS0_10empty_typeENS0_5tupleIJS8_S9_EEENSB_IJS8_SA_EEENS0_18inequality_wrapperIZN2at6native12_GLOBAL__N_124unique_dim_cuda_templateIbEESt5tupleIJNSF_6TensorESK_SK_EERKSK_lbbbEUlllE0_EEPmJS9_EEE10hipError_tPvRmT3_T4_T5_T6_T7_T9_mT8_P12ihipStream_tbDpT10_ENKUlT_T0_E_clISt17integral_constantIbLb1EES1A_EEDaS15_S16_EUlS15_E_NS1_11comp_targetILNS1_3genE0ELNS1_11target_archE4294967295ELNS1_3gpuE0ELNS1_3repE0EEENS1_30default_config_static_selectorELNS0_4arch9wavefront6targetE1EEEvT1_,comdat
	.globl	_ZN7rocprim17ROCPRIM_400000_NS6detail17trampoline_kernelINS0_14default_configENS1_25partition_config_selectorILNS1_17partition_subalgoE9EllbEEZZNS1_14partition_implILS5_9ELb0ES3_jPlS8_PNS0_10empty_typeENS0_5tupleIJS8_S9_EEENSB_IJS8_SA_EEENS0_18inequality_wrapperIZN2at6native12_GLOBAL__N_124unique_dim_cuda_templateIbEESt5tupleIJNSF_6TensorESK_SK_EERKSK_lbbbEUlllE0_EEPmJS9_EEE10hipError_tPvRmT3_T4_T5_T6_T7_T9_mT8_P12ihipStream_tbDpT10_ENKUlT_T0_E_clISt17integral_constantIbLb1EES1A_EEDaS15_S16_EUlS15_E_NS1_11comp_targetILNS1_3genE0ELNS1_11target_archE4294967295ELNS1_3gpuE0ELNS1_3repE0EEENS1_30default_config_static_selectorELNS0_4arch9wavefront6targetE1EEEvT1_ ; -- Begin function _ZN7rocprim17ROCPRIM_400000_NS6detail17trampoline_kernelINS0_14default_configENS1_25partition_config_selectorILNS1_17partition_subalgoE9EllbEEZZNS1_14partition_implILS5_9ELb0ES3_jPlS8_PNS0_10empty_typeENS0_5tupleIJS8_S9_EEENSB_IJS8_SA_EEENS0_18inequality_wrapperIZN2at6native12_GLOBAL__N_124unique_dim_cuda_templateIbEESt5tupleIJNSF_6TensorESK_SK_EERKSK_lbbbEUlllE0_EEPmJS9_EEE10hipError_tPvRmT3_T4_T5_T6_T7_T9_mT8_P12ihipStream_tbDpT10_ENKUlT_T0_E_clISt17integral_constantIbLb1EES1A_EEDaS15_S16_EUlS15_E_NS1_11comp_targetILNS1_3genE0ELNS1_11target_archE4294967295ELNS1_3gpuE0ELNS1_3repE0EEENS1_30default_config_static_selectorELNS0_4arch9wavefront6targetE1EEEvT1_
	.p2align	8
	.type	_ZN7rocprim17ROCPRIM_400000_NS6detail17trampoline_kernelINS0_14default_configENS1_25partition_config_selectorILNS1_17partition_subalgoE9EllbEEZZNS1_14partition_implILS5_9ELb0ES3_jPlS8_PNS0_10empty_typeENS0_5tupleIJS8_S9_EEENSB_IJS8_SA_EEENS0_18inequality_wrapperIZN2at6native12_GLOBAL__N_124unique_dim_cuda_templateIbEESt5tupleIJNSF_6TensorESK_SK_EERKSK_lbbbEUlllE0_EEPmJS9_EEE10hipError_tPvRmT3_T4_T5_T6_T7_T9_mT8_P12ihipStream_tbDpT10_ENKUlT_T0_E_clISt17integral_constantIbLb1EES1A_EEDaS15_S16_EUlS15_E_NS1_11comp_targetILNS1_3genE0ELNS1_11target_archE4294967295ELNS1_3gpuE0ELNS1_3repE0EEENS1_30default_config_static_selectorELNS0_4arch9wavefront6targetE1EEEvT1_,@function
_ZN7rocprim17ROCPRIM_400000_NS6detail17trampoline_kernelINS0_14default_configENS1_25partition_config_selectorILNS1_17partition_subalgoE9EllbEEZZNS1_14partition_implILS5_9ELb0ES3_jPlS8_PNS0_10empty_typeENS0_5tupleIJS8_S9_EEENSB_IJS8_SA_EEENS0_18inequality_wrapperIZN2at6native12_GLOBAL__N_124unique_dim_cuda_templateIbEESt5tupleIJNSF_6TensorESK_SK_EERKSK_lbbbEUlllE0_EEPmJS9_EEE10hipError_tPvRmT3_T4_T5_T6_T7_T9_mT8_P12ihipStream_tbDpT10_ENKUlT_T0_E_clISt17integral_constantIbLb1EES1A_EEDaS15_S16_EUlS15_E_NS1_11comp_targetILNS1_3genE0ELNS1_11target_archE4294967295ELNS1_3gpuE0ELNS1_3repE0EEENS1_30default_config_static_selectorELNS0_4arch9wavefront6targetE1EEEvT1_: ; @_ZN7rocprim17ROCPRIM_400000_NS6detail17trampoline_kernelINS0_14default_configENS1_25partition_config_selectorILNS1_17partition_subalgoE9EllbEEZZNS1_14partition_implILS5_9ELb0ES3_jPlS8_PNS0_10empty_typeENS0_5tupleIJS8_S9_EEENSB_IJS8_SA_EEENS0_18inequality_wrapperIZN2at6native12_GLOBAL__N_124unique_dim_cuda_templateIbEESt5tupleIJNSF_6TensorESK_SK_EERKSK_lbbbEUlllE0_EEPmJS9_EEE10hipError_tPvRmT3_T4_T5_T6_T7_T9_mT8_P12ihipStream_tbDpT10_ENKUlT_T0_E_clISt17integral_constantIbLb1EES1A_EEDaS15_S16_EUlS15_E_NS1_11comp_targetILNS1_3genE0ELNS1_11target_archE4294967295ELNS1_3gpuE0ELNS1_3repE0EEENS1_30default_config_static_selectorELNS0_4arch9wavefront6targetE1EEEvT1_
; %bb.0:
	.section	.rodata,"a",@progbits
	.p2align	6, 0x0
	.amdhsa_kernel _ZN7rocprim17ROCPRIM_400000_NS6detail17trampoline_kernelINS0_14default_configENS1_25partition_config_selectorILNS1_17partition_subalgoE9EllbEEZZNS1_14partition_implILS5_9ELb0ES3_jPlS8_PNS0_10empty_typeENS0_5tupleIJS8_S9_EEENSB_IJS8_SA_EEENS0_18inequality_wrapperIZN2at6native12_GLOBAL__N_124unique_dim_cuda_templateIbEESt5tupleIJNSF_6TensorESK_SK_EERKSK_lbbbEUlllE0_EEPmJS9_EEE10hipError_tPvRmT3_T4_T5_T6_T7_T9_mT8_P12ihipStream_tbDpT10_ENKUlT_T0_E_clISt17integral_constantIbLb1EES1A_EEDaS15_S16_EUlS15_E_NS1_11comp_targetILNS1_3genE0ELNS1_11target_archE4294967295ELNS1_3gpuE0ELNS1_3repE0EEENS1_30default_config_static_selectorELNS0_4arch9wavefront6targetE1EEEvT1_
		.amdhsa_group_segment_fixed_size 0
		.amdhsa_private_segment_fixed_size 0
		.amdhsa_kernarg_size 136
		.amdhsa_user_sgpr_count 2
		.amdhsa_user_sgpr_dispatch_ptr 0
		.amdhsa_user_sgpr_queue_ptr 0
		.amdhsa_user_sgpr_kernarg_segment_ptr 1
		.amdhsa_user_sgpr_dispatch_id 0
		.amdhsa_user_sgpr_kernarg_preload_length 0
		.amdhsa_user_sgpr_kernarg_preload_offset 0
		.amdhsa_user_sgpr_private_segment_size 0
		.amdhsa_uses_dynamic_stack 0
		.amdhsa_enable_private_segment 0
		.amdhsa_system_sgpr_workgroup_id_x 1
		.amdhsa_system_sgpr_workgroup_id_y 0
		.amdhsa_system_sgpr_workgroup_id_z 0
		.amdhsa_system_sgpr_workgroup_info 0
		.amdhsa_system_vgpr_workitem_id 0
		.amdhsa_next_free_vgpr 1
		.amdhsa_next_free_sgpr 0
		.amdhsa_accum_offset 4
		.amdhsa_reserve_vcc 0
		.amdhsa_float_round_mode_32 0
		.amdhsa_float_round_mode_16_64 0
		.amdhsa_float_denorm_mode_32 3
		.amdhsa_float_denorm_mode_16_64 3
		.amdhsa_dx10_clamp 1
		.amdhsa_ieee_mode 1
		.amdhsa_fp16_overflow 0
		.amdhsa_tg_split 0
		.amdhsa_exception_fp_ieee_invalid_op 0
		.amdhsa_exception_fp_denorm_src 0
		.amdhsa_exception_fp_ieee_div_zero 0
		.amdhsa_exception_fp_ieee_overflow 0
		.amdhsa_exception_fp_ieee_underflow 0
		.amdhsa_exception_fp_ieee_inexact 0
		.amdhsa_exception_int_div_zero 0
	.end_amdhsa_kernel
	.section	.text._ZN7rocprim17ROCPRIM_400000_NS6detail17trampoline_kernelINS0_14default_configENS1_25partition_config_selectorILNS1_17partition_subalgoE9EllbEEZZNS1_14partition_implILS5_9ELb0ES3_jPlS8_PNS0_10empty_typeENS0_5tupleIJS8_S9_EEENSB_IJS8_SA_EEENS0_18inequality_wrapperIZN2at6native12_GLOBAL__N_124unique_dim_cuda_templateIbEESt5tupleIJNSF_6TensorESK_SK_EERKSK_lbbbEUlllE0_EEPmJS9_EEE10hipError_tPvRmT3_T4_T5_T6_T7_T9_mT8_P12ihipStream_tbDpT10_ENKUlT_T0_E_clISt17integral_constantIbLb1EES1A_EEDaS15_S16_EUlS15_E_NS1_11comp_targetILNS1_3genE0ELNS1_11target_archE4294967295ELNS1_3gpuE0ELNS1_3repE0EEENS1_30default_config_static_selectorELNS0_4arch9wavefront6targetE1EEEvT1_,"axG",@progbits,_ZN7rocprim17ROCPRIM_400000_NS6detail17trampoline_kernelINS0_14default_configENS1_25partition_config_selectorILNS1_17partition_subalgoE9EllbEEZZNS1_14partition_implILS5_9ELb0ES3_jPlS8_PNS0_10empty_typeENS0_5tupleIJS8_S9_EEENSB_IJS8_SA_EEENS0_18inequality_wrapperIZN2at6native12_GLOBAL__N_124unique_dim_cuda_templateIbEESt5tupleIJNSF_6TensorESK_SK_EERKSK_lbbbEUlllE0_EEPmJS9_EEE10hipError_tPvRmT3_T4_T5_T6_T7_T9_mT8_P12ihipStream_tbDpT10_ENKUlT_T0_E_clISt17integral_constantIbLb1EES1A_EEDaS15_S16_EUlS15_E_NS1_11comp_targetILNS1_3genE0ELNS1_11target_archE4294967295ELNS1_3gpuE0ELNS1_3repE0EEENS1_30default_config_static_selectorELNS0_4arch9wavefront6targetE1EEEvT1_,comdat
.Lfunc_end1099:
	.size	_ZN7rocprim17ROCPRIM_400000_NS6detail17trampoline_kernelINS0_14default_configENS1_25partition_config_selectorILNS1_17partition_subalgoE9EllbEEZZNS1_14partition_implILS5_9ELb0ES3_jPlS8_PNS0_10empty_typeENS0_5tupleIJS8_S9_EEENSB_IJS8_SA_EEENS0_18inequality_wrapperIZN2at6native12_GLOBAL__N_124unique_dim_cuda_templateIbEESt5tupleIJNSF_6TensorESK_SK_EERKSK_lbbbEUlllE0_EEPmJS9_EEE10hipError_tPvRmT3_T4_T5_T6_T7_T9_mT8_P12ihipStream_tbDpT10_ENKUlT_T0_E_clISt17integral_constantIbLb1EES1A_EEDaS15_S16_EUlS15_E_NS1_11comp_targetILNS1_3genE0ELNS1_11target_archE4294967295ELNS1_3gpuE0ELNS1_3repE0EEENS1_30default_config_static_selectorELNS0_4arch9wavefront6targetE1EEEvT1_, .Lfunc_end1099-_ZN7rocprim17ROCPRIM_400000_NS6detail17trampoline_kernelINS0_14default_configENS1_25partition_config_selectorILNS1_17partition_subalgoE9EllbEEZZNS1_14partition_implILS5_9ELb0ES3_jPlS8_PNS0_10empty_typeENS0_5tupleIJS8_S9_EEENSB_IJS8_SA_EEENS0_18inequality_wrapperIZN2at6native12_GLOBAL__N_124unique_dim_cuda_templateIbEESt5tupleIJNSF_6TensorESK_SK_EERKSK_lbbbEUlllE0_EEPmJS9_EEE10hipError_tPvRmT3_T4_T5_T6_T7_T9_mT8_P12ihipStream_tbDpT10_ENKUlT_T0_E_clISt17integral_constantIbLb1EES1A_EEDaS15_S16_EUlS15_E_NS1_11comp_targetILNS1_3genE0ELNS1_11target_archE4294967295ELNS1_3gpuE0ELNS1_3repE0EEENS1_30default_config_static_selectorELNS0_4arch9wavefront6targetE1EEEvT1_
                                        ; -- End function
	.section	.AMDGPU.csdata,"",@progbits
; Kernel info:
; codeLenInByte = 0
; NumSgprs: 6
; NumVgprs: 0
; NumAgprs: 0
; TotalNumVgprs: 0
; ScratchSize: 0
; MemoryBound: 0
; FloatMode: 240
; IeeeMode: 1
; LDSByteSize: 0 bytes/workgroup (compile time only)
; SGPRBlocks: 0
; VGPRBlocks: 0
; NumSGPRsForWavesPerEU: 6
; NumVGPRsForWavesPerEU: 1
; AccumOffset: 4
; Occupancy: 8
; WaveLimiterHint : 0
; COMPUTE_PGM_RSRC2:SCRATCH_EN: 0
; COMPUTE_PGM_RSRC2:USER_SGPR: 2
; COMPUTE_PGM_RSRC2:TRAP_HANDLER: 0
; COMPUTE_PGM_RSRC2:TGID_X_EN: 1
; COMPUTE_PGM_RSRC2:TGID_Y_EN: 0
; COMPUTE_PGM_RSRC2:TGID_Z_EN: 0
; COMPUTE_PGM_RSRC2:TIDIG_COMP_CNT: 0
; COMPUTE_PGM_RSRC3_GFX90A:ACCUM_OFFSET: 0
; COMPUTE_PGM_RSRC3_GFX90A:TG_SPLIT: 0
	.section	.text._ZN7rocprim17ROCPRIM_400000_NS6detail17trampoline_kernelINS0_14default_configENS1_25partition_config_selectorILNS1_17partition_subalgoE9EllbEEZZNS1_14partition_implILS5_9ELb0ES3_jPlS8_PNS0_10empty_typeENS0_5tupleIJS8_S9_EEENSB_IJS8_SA_EEENS0_18inequality_wrapperIZN2at6native12_GLOBAL__N_124unique_dim_cuda_templateIbEESt5tupleIJNSF_6TensorESK_SK_EERKSK_lbbbEUlllE0_EEPmJS9_EEE10hipError_tPvRmT3_T4_T5_T6_T7_T9_mT8_P12ihipStream_tbDpT10_ENKUlT_T0_E_clISt17integral_constantIbLb1EES1A_EEDaS15_S16_EUlS15_E_NS1_11comp_targetILNS1_3genE5ELNS1_11target_archE942ELNS1_3gpuE9ELNS1_3repE0EEENS1_30default_config_static_selectorELNS0_4arch9wavefront6targetE1EEEvT1_,"axG",@progbits,_ZN7rocprim17ROCPRIM_400000_NS6detail17trampoline_kernelINS0_14default_configENS1_25partition_config_selectorILNS1_17partition_subalgoE9EllbEEZZNS1_14partition_implILS5_9ELb0ES3_jPlS8_PNS0_10empty_typeENS0_5tupleIJS8_S9_EEENSB_IJS8_SA_EEENS0_18inequality_wrapperIZN2at6native12_GLOBAL__N_124unique_dim_cuda_templateIbEESt5tupleIJNSF_6TensorESK_SK_EERKSK_lbbbEUlllE0_EEPmJS9_EEE10hipError_tPvRmT3_T4_T5_T6_T7_T9_mT8_P12ihipStream_tbDpT10_ENKUlT_T0_E_clISt17integral_constantIbLb1EES1A_EEDaS15_S16_EUlS15_E_NS1_11comp_targetILNS1_3genE5ELNS1_11target_archE942ELNS1_3gpuE9ELNS1_3repE0EEENS1_30default_config_static_selectorELNS0_4arch9wavefront6targetE1EEEvT1_,comdat
	.globl	_ZN7rocprim17ROCPRIM_400000_NS6detail17trampoline_kernelINS0_14default_configENS1_25partition_config_selectorILNS1_17partition_subalgoE9EllbEEZZNS1_14partition_implILS5_9ELb0ES3_jPlS8_PNS0_10empty_typeENS0_5tupleIJS8_S9_EEENSB_IJS8_SA_EEENS0_18inequality_wrapperIZN2at6native12_GLOBAL__N_124unique_dim_cuda_templateIbEESt5tupleIJNSF_6TensorESK_SK_EERKSK_lbbbEUlllE0_EEPmJS9_EEE10hipError_tPvRmT3_T4_T5_T6_T7_T9_mT8_P12ihipStream_tbDpT10_ENKUlT_T0_E_clISt17integral_constantIbLb1EES1A_EEDaS15_S16_EUlS15_E_NS1_11comp_targetILNS1_3genE5ELNS1_11target_archE942ELNS1_3gpuE9ELNS1_3repE0EEENS1_30default_config_static_selectorELNS0_4arch9wavefront6targetE1EEEvT1_ ; -- Begin function _ZN7rocprim17ROCPRIM_400000_NS6detail17trampoline_kernelINS0_14default_configENS1_25partition_config_selectorILNS1_17partition_subalgoE9EllbEEZZNS1_14partition_implILS5_9ELb0ES3_jPlS8_PNS0_10empty_typeENS0_5tupleIJS8_S9_EEENSB_IJS8_SA_EEENS0_18inequality_wrapperIZN2at6native12_GLOBAL__N_124unique_dim_cuda_templateIbEESt5tupleIJNSF_6TensorESK_SK_EERKSK_lbbbEUlllE0_EEPmJS9_EEE10hipError_tPvRmT3_T4_T5_T6_T7_T9_mT8_P12ihipStream_tbDpT10_ENKUlT_T0_E_clISt17integral_constantIbLb1EES1A_EEDaS15_S16_EUlS15_E_NS1_11comp_targetILNS1_3genE5ELNS1_11target_archE942ELNS1_3gpuE9ELNS1_3repE0EEENS1_30default_config_static_selectorELNS0_4arch9wavefront6targetE1EEEvT1_
	.p2align	8
	.type	_ZN7rocprim17ROCPRIM_400000_NS6detail17trampoline_kernelINS0_14default_configENS1_25partition_config_selectorILNS1_17partition_subalgoE9EllbEEZZNS1_14partition_implILS5_9ELb0ES3_jPlS8_PNS0_10empty_typeENS0_5tupleIJS8_S9_EEENSB_IJS8_SA_EEENS0_18inequality_wrapperIZN2at6native12_GLOBAL__N_124unique_dim_cuda_templateIbEESt5tupleIJNSF_6TensorESK_SK_EERKSK_lbbbEUlllE0_EEPmJS9_EEE10hipError_tPvRmT3_T4_T5_T6_T7_T9_mT8_P12ihipStream_tbDpT10_ENKUlT_T0_E_clISt17integral_constantIbLb1EES1A_EEDaS15_S16_EUlS15_E_NS1_11comp_targetILNS1_3genE5ELNS1_11target_archE942ELNS1_3gpuE9ELNS1_3repE0EEENS1_30default_config_static_selectorELNS0_4arch9wavefront6targetE1EEEvT1_,@function
_ZN7rocprim17ROCPRIM_400000_NS6detail17trampoline_kernelINS0_14default_configENS1_25partition_config_selectorILNS1_17partition_subalgoE9EllbEEZZNS1_14partition_implILS5_9ELb0ES3_jPlS8_PNS0_10empty_typeENS0_5tupleIJS8_S9_EEENSB_IJS8_SA_EEENS0_18inequality_wrapperIZN2at6native12_GLOBAL__N_124unique_dim_cuda_templateIbEESt5tupleIJNSF_6TensorESK_SK_EERKSK_lbbbEUlllE0_EEPmJS9_EEE10hipError_tPvRmT3_T4_T5_T6_T7_T9_mT8_P12ihipStream_tbDpT10_ENKUlT_T0_E_clISt17integral_constantIbLb1EES1A_EEDaS15_S16_EUlS15_E_NS1_11comp_targetILNS1_3genE5ELNS1_11target_archE942ELNS1_3gpuE9ELNS1_3repE0EEENS1_30default_config_static_selectorELNS0_4arch9wavefront6targetE1EEEvT1_: ; @_ZN7rocprim17ROCPRIM_400000_NS6detail17trampoline_kernelINS0_14default_configENS1_25partition_config_selectorILNS1_17partition_subalgoE9EllbEEZZNS1_14partition_implILS5_9ELb0ES3_jPlS8_PNS0_10empty_typeENS0_5tupleIJS8_S9_EEENSB_IJS8_SA_EEENS0_18inequality_wrapperIZN2at6native12_GLOBAL__N_124unique_dim_cuda_templateIbEESt5tupleIJNSF_6TensorESK_SK_EERKSK_lbbbEUlllE0_EEPmJS9_EEE10hipError_tPvRmT3_T4_T5_T6_T7_T9_mT8_P12ihipStream_tbDpT10_ENKUlT_T0_E_clISt17integral_constantIbLb1EES1A_EEDaS15_S16_EUlS15_E_NS1_11comp_targetILNS1_3genE5ELNS1_11target_archE942ELNS1_3gpuE9ELNS1_3repE0EEENS1_30default_config_static_selectorELNS0_4arch9wavefront6targetE1EEEvT1_
; %bb.0:
	s_load_dwordx4 s[4:7], s[0:1], 0x8
	s_load_dwordx2 s[10:11], s[0:1], 0x18
	s_load_dwordx8 s[20:27], s[0:1], 0x40
	s_load_dwordx4 s[36:39], s[0:1], 0x60
	v_cmp_ne_u32_e64 s[2:3], 0, v0
	v_cmp_eq_u32_e64 s[18:19], 0, v0
	s_and_saveexec_b64 s[8:9], s[18:19]
	s_cbranch_execz .LBB1100_4
; %bb.1:
	s_mov_b64 s[14:15], exec
	v_mbcnt_lo_u32_b32 v1, s14, 0
	v_mbcnt_hi_u32_b32 v1, s15, v1
	v_cmp_eq_u32_e32 vcc, 0, v1
                                        ; implicit-def: $vgpr2
	s_and_saveexec_b64 s[12:13], vcc
	s_cbranch_execz .LBB1100_3
; %bb.2:
	s_load_dwordx2 s[16:17], s[0:1], 0x78
	s_bcnt1_i32_b64 s14, s[14:15]
	v_mov_b32_e32 v2, 0
	v_mov_b32_e32 v3, s14
	s_waitcnt lgkmcnt(0)
	global_atomic_add v2, v2, v3, s[16:17] sc0
.LBB1100_3:
	s_or_b64 exec, exec, s[12:13]
	s_waitcnt vmcnt(0)
	v_readfirstlane_b32 s12, v2
	v_mov_b32_e32 v2, 0
	s_nop 0
	v_add_u32_e32 v1, s12, v1
	ds_write_b32 v2, v1
.LBB1100_4:
	s_or_b64 exec, exec, s[8:9]
	v_mov_b32_e32 v3, 0
	s_load_dwordx4 s[28:31], s[0:1], 0x28
	s_load_dword s8, s[0:1], 0x70
	s_waitcnt lgkmcnt(0)
	s_barrier
	ds_read_b32 v1, v3
	s_waitcnt lgkmcnt(0)
	s_barrier
	global_load_dwordx2 v[4:5], v3, s[22:23]
	s_lshl_b64 s[12:13], s[6:7], 3
	s_mul_i32 s14, s8, 0xe00
	s_add_u32 s16, s4, s12
	s_addc_u32 s17, s5, s13
	s_add_i32 s4, s14, s6
	s_sub_i32 s54, s24, s4
	s_add_i32 s15, s8, -1
	s_addk_i32 s54, 0xe00
	s_add_u32 s4, s6, s14
	v_readfirstlane_b32 s33, v1
	s_addc_u32 s5, s7, 0
	v_mov_b32_e32 v6, s24
	v_mov_b32_e32 v7, s25
	s_cmp_eq_u32 s33, s15
	s_mov_b32 s9, 0
	s_mul_i32 s8, s33, 0xe00
	v_cmp_ge_u64_e32 vcc, s[4:5], v[6:7]
	s_cselect_b64 s[24:25], -1, 0
	s_lshl_b64 s[14:15], s[8:9], 3
	s_and_b64 s[8:9], vcc, s[24:25]
	s_xor_b64 s[34:35], s[8:9], -1
	s_add_u32 s4, s16, s14
	s_mov_b64 s[0:1], -1
	s_addc_u32 s5, s17, s15
	s_and_b64 vcc, exec, s[34:35]
	s_waitcnt vmcnt(0)
	v_readfirstlane_b32 s22, v4
	v_readfirstlane_b32 s23, v5
	s_cbranch_vccz .LBB1100_6
; %bb.5:
	v_lshlrev_b32_e32 v2, 3, v0
	v_lshl_add_u64 v[4:5], s[4:5], 0, v[2:3]
	v_add_co_u32_e32 v8, vcc, 0x1000, v4
	global_load_dwordx2 v[6:7], v2, s[4:5]
	s_nop 0
	v_addc_co_u32_e32 v9, vcc, 0, v5, vcc
	v_add_co_u32_e32 v10, vcc, 0x2000, v4
	s_mov_b64 s[0:1], 0
	s_nop 0
	v_addc_co_u32_e32 v11, vcc, 0, v5, vcc
	v_add_co_u32_e32 v12, vcc, 0x3000, v4
	s_nop 1
	v_addc_co_u32_e32 v13, vcc, 0, v5, vcc
	v_add_co_u32_e32 v14, vcc, 0x4000, v4
	s_nop 1
	v_addc_co_u32_e32 v15, vcc, 0, v5, vcc
	global_load_dwordx2 v[16:17], v[8:9], off
	global_load_dwordx2 v[18:19], v[10:11], off
	global_load_dwordx2 v[20:21], v[12:13], off
	global_load_dwordx2 v[22:23], v[14:15], off
	v_add_co_u32_e32 v8, vcc, 0x5000, v4
	s_nop 1
	v_addc_co_u32_e32 v9, vcc, 0, v5, vcc
	v_add_co_u32_e32 v4, vcc, 0x6000, v4
	global_load_dwordx2 v[8:9], v[8:9], off
	s_nop 0
	v_addc_co_u32_e32 v5, vcc, 0, v5, vcc
	global_load_dwordx2 v[4:5], v[4:5], off
	s_waitcnt vmcnt(5)
	ds_write2st64_b64 v2, v[6:7], v[16:17] offset1:8
	s_waitcnt vmcnt(3)
	ds_write2st64_b64 v2, v[18:19], v[20:21] offset0:16 offset1:24
	s_waitcnt vmcnt(1)
	ds_write2st64_b64 v2, v[22:23], v[8:9] offset0:32 offset1:40
	s_waitcnt vmcnt(0)
	ds_write_b64 v2, v[4:5] offset:24576
	s_waitcnt lgkmcnt(0)
	s_barrier
.LBB1100_6:
	s_andn2_b64 vcc, exec, s[0:1]
	v_cmp_gt_u32_e64 s[0:1], s54, v0
	s_cbranch_vccnz .LBB1100_22
; %bb.7:
                                        ; implicit-def: $vgpr2_vgpr3_vgpr4_vgpr5_vgpr6_vgpr7_vgpr8_vgpr9_vgpr10_vgpr11_vgpr12_vgpr13_vgpr14_vgpr15_vgpr16_vgpr17
	s_and_saveexec_b64 s[16:17], s[0:1]
	s_cbranch_execz .LBB1100_9
; %bb.8:
	v_lshlrev_b32_e32 v1, 3, v0
	global_load_dwordx2 v[2:3], v1, s[4:5]
.LBB1100_9:
	s_or_b64 exec, exec, s[16:17]
	v_or_b32_e32 v1, 0x200, v0
	v_cmp_gt_u32_e32 vcc, s54, v1
	s_and_saveexec_b64 s[0:1], vcc
	s_cbranch_execz .LBB1100_11
; %bb.10:
	v_lshlrev_b32_e32 v1, 3, v1
	global_load_dwordx2 v[4:5], v1, s[4:5]
.LBB1100_11:
	s_or_b64 exec, exec, s[0:1]
	v_or_b32_e32 v1, 0x400, v0
	v_cmp_gt_u32_e32 vcc, s54, v1
	s_and_saveexec_b64 s[0:1], vcc
	;; [unrolled: 9-line block ×6, first 2 shown]
	s_cbranch_execz .LBB1100_21
; %bb.20:
	v_lshlrev_b32_e32 v1, 3, v1
	global_load_dwordx2 v[14:15], v1, s[4:5]
.LBB1100_21:
	s_or_b64 exec, exec, s[0:1]
	v_lshlrev_b32_e32 v1, 3, v0
	s_waitcnt vmcnt(0)
	ds_write2st64_b64 v1, v[2:3], v[4:5] offset1:8
	ds_write2st64_b64 v1, v[6:7], v[8:9] offset0:16 offset1:24
	ds_write2st64_b64 v1, v[10:11], v[12:13] offset0:32 offset1:40
	ds_write_b64 v1, v[14:15] offset:24576
	s_waitcnt lgkmcnt(0)
	s_barrier
.LBB1100_22:
	v_mul_u32_u24_e32 v1, 7, v0
	v_lshlrev_b32_e32 v46, 3, v1
	ds_read2_b64 v[22:25], v46 offset1:1
	ds_read2_b64 v[18:21], v46 offset0:2 offset1:3
	ds_read2_b64 v[14:17], v46 offset0:4 offset1:5
	ds_read_b64 v[28:29], v46 offset:48
	s_add_u32 s0, s10, s12
	s_addc_u32 s1, s11, s13
	s_add_u32 s0, s0, s14
	s_addc_u32 s1, s1, s15
	s_mov_b64 s[10:11], -1
	s_and_b64 vcc, exec, s[34:35]
	s_waitcnt lgkmcnt(0)
	s_barrier
	s_cbranch_vccz .LBB1100_24
; %bb.23:
	v_lshlrev_b32_e32 v2, 3, v0
	v_mov_b32_e32 v3, 0
	v_lshl_add_u64 v[4:5], s[0:1], 0, v[2:3]
	v_add_co_u32_e32 v8, vcc, 0x1000, v4
	global_load_dwordx2 v[6:7], v2, s[0:1]
	s_nop 0
	v_addc_co_u32_e32 v9, vcc, 0, v5, vcc
	v_add_co_u32_e32 v10, vcc, 0x2000, v4
	s_mov_b64 s[10:11], 0
	s_nop 0
	v_addc_co_u32_e32 v11, vcc, 0, v5, vcc
	v_add_co_u32_e32 v12, vcc, 0x3000, v4
	s_nop 1
	v_addc_co_u32_e32 v13, vcc, 0, v5, vcc
	v_add_co_u32_e32 v26, vcc, 0x4000, v4
	s_nop 1
	v_addc_co_u32_e32 v27, vcc, 0, v5, vcc
	global_load_dwordx2 v[30:31], v[8:9], off
	global_load_dwordx2 v[32:33], v[10:11], off
	;; [unrolled: 1-line block ×4, first 2 shown]
	v_add_co_u32_e32 v8, vcc, 0x5000, v4
	s_nop 1
	v_addc_co_u32_e32 v9, vcc, 0, v5, vcc
	v_add_co_u32_e32 v4, vcc, 0x6000, v4
	global_load_dwordx2 v[8:9], v[8:9], off
	s_nop 0
	v_addc_co_u32_e32 v5, vcc, 0, v5, vcc
	global_load_dwordx2 v[4:5], v[4:5], off
	s_waitcnt vmcnt(5)
	ds_write2st64_b64 v2, v[6:7], v[30:31] offset1:8
	s_waitcnt vmcnt(3)
	ds_write2st64_b64 v2, v[32:33], v[34:35] offset0:16 offset1:24
	s_waitcnt vmcnt(1)
	ds_write2st64_b64 v2, v[36:37], v[8:9] offset0:32 offset1:40
	s_waitcnt vmcnt(0)
	ds_write_b64 v2, v[4:5] offset:24576
	s_waitcnt lgkmcnt(0)
	s_barrier
.LBB1100_24:
	s_andn2_b64 vcc, exec, s[10:11]
	s_cbranch_vccnz .LBB1100_40
; %bb.25:
	v_cmp_gt_u32_e32 vcc, s54, v0
                                        ; implicit-def: $vgpr2_vgpr3
	s_and_saveexec_b64 s[10:11], vcc
	s_cbranch_execz .LBB1100_27
; %bb.26:
	v_lshlrev_b32_e32 v2, 3, v0
	global_load_dwordx2 v[2:3], v2, s[0:1]
.LBB1100_27:
	s_or_b64 exec, exec, s[10:11]
	v_or_b32_e32 v6, 0x200, v0
	v_cmp_gt_u32_e32 vcc, s54, v6
                                        ; implicit-def: $vgpr4_vgpr5
	s_and_saveexec_b64 s[10:11], vcc
	s_cbranch_execz .LBB1100_29
; %bb.28:
	v_lshlrev_b32_e32 v4, 3, v6
	global_load_dwordx2 v[4:5], v4, s[0:1]
.LBB1100_29:
	s_or_b64 exec, exec, s[10:11]
	v_or_b32_e32 v8, 0x400, v0
	v_cmp_gt_u32_e32 vcc, s54, v8
                                        ; implicit-def: $vgpr6_vgpr7
	s_and_saveexec_b64 s[10:11], vcc
	s_cbranch_execz .LBB1100_31
; %bb.30:
	v_lshlrev_b32_e32 v6, 3, v8
	global_load_dwordx2 v[6:7], v6, s[0:1]
.LBB1100_31:
	s_or_b64 exec, exec, s[10:11]
	v_or_b32_e32 v10, 0x600, v0
	v_cmp_gt_u32_e32 vcc, s54, v10
                                        ; implicit-def: $vgpr8_vgpr9
	s_and_saveexec_b64 s[10:11], vcc
	s_cbranch_execz .LBB1100_33
; %bb.32:
	v_lshlrev_b32_e32 v8, 3, v10
	global_load_dwordx2 v[8:9], v8, s[0:1]
.LBB1100_33:
	s_or_b64 exec, exec, s[10:11]
	v_or_b32_e32 v12, 0x800, v0
	v_cmp_gt_u32_e32 vcc, s54, v12
                                        ; implicit-def: $vgpr10_vgpr11
	s_and_saveexec_b64 s[10:11], vcc
	s_cbranch_execz .LBB1100_35
; %bb.34:
	v_lshlrev_b32_e32 v10, 3, v12
	global_load_dwordx2 v[10:11], v10, s[0:1]
.LBB1100_35:
	s_or_b64 exec, exec, s[10:11]
	v_or_b32_e32 v26, 0xa00, v0
	v_cmp_gt_u32_e32 vcc, s54, v26
                                        ; implicit-def: $vgpr12_vgpr13
	s_and_saveexec_b64 s[10:11], vcc
	s_cbranch_execz .LBB1100_37
; %bb.36:
	v_lshlrev_b32_e32 v12, 3, v26
	global_load_dwordx2 v[12:13], v12, s[0:1]
.LBB1100_37:
	s_or_b64 exec, exec, s[10:11]
	v_or_b32_e32 v30, 0xc00, v0
	v_cmp_gt_u32_e32 vcc, s54, v30
                                        ; implicit-def: $vgpr26_vgpr27
	s_and_saveexec_b64 s[10:11], vcc
	s_cbranch_execz .LBB1100_39
; %bb.38:
	v_lshlrev_b32_e32 v26, 3, v30
	global_load_dwordx2 v[26:27], v26, s[0:1]
.LBB1100_39:
	s_or_b64 exec, exec, s[10:11]
	s_movk_i32 s0, 0xffd0
	v_mad_i32_i24 v30, v0, s0, v46
	s_waitcnt vmcnt(0)
	ds_write2st64_b64 v30, v[2:3], v[4:5] offset1:8
	ds_write2st64_b64 v30, v[6:7], v[8:9] offset0:16 offset1:24
	ds_write2st64_b64 v30, v[10:11], v[12:13] offset0:32 offset1:40
	ds_write_b64 v30, v[26:27] offset:24576
	s_waitcnt lgkmcnt(0)
	s_barrier
.LBB1100_40:
	ds_read2_b64 v[10:13], v46 offset1:1
	ds_read2_b64 v[6:9], v46 offset0:2 offset1:3
	ds_read2_b64 v[2:5], v46 offset0:4 offset1:5
	ds_read_b64 v[26:27], v46 offset:48
	s_cmp_lg_u32 s33, 0
	s_cselect_b64 s[16:17], -1, 0
	s_cmp_lg_u64 s[6:7], 0
	s_cselect_b64 s[0:1], -1, 0
	s_or_b64 s[0:1], s[0:1], s[16:17]
	v_add_u32_e32 v43, 1, v1
	v_add_u32_e32 v40, 2, v1
	;; [unrolled: 1-line block ×6, first 2 shown]
	s_mov_b64 s[10:11], 0
	s_and_b64 vcc, exec, s[0:1]
	v_cmp_lt_i64_e64 s[12:13], s[26:27], 1
	v_cmp_gt_i64_e64 s[6:7], s[26:27], 0
	s_waitcnt lgkmcnt(0)
	s_barrier
	s_cbranch_vccz .LBB1100_49
; %bb.41:
	v_mov_b32_e32 v32, 0
	global_load_dwordx2 v[30:31], v32, s[4:5] offset:-8
	v_lshlrev_b32_e32 v47, 3, v0
	s_mov_b64 s[0:1], 0
	s_and_b64 vcc, exec, s[34:35]
	ds_write_b64 v47, v[28:29]
	s_cbranch_vccz .LBB1100_51
; %bb.42:
	v_cndmask_b32_e64 v33, 0, 1, s[6:7]
	v_cmp_ne_u32_e64 s[4:5], 1, v33
	s_andn2_b64 vcc, exec, s[6:7]
	s_cbranch_vccnz .LBB1100_61
; %bb.43:
	v_mov_b64_e32 v[34:35], s[36:37]
	v_mad_u64_u32 v[32:33], s[0:1], v16, s26, v[34:35]
	v_mul_lo_u32 v36, v16, s27
	v_mul_lo_u32 v37, v17, s26
	v_add3_u32 v33, v37, v33, v36
	v_mad_u64_u32 v[34:35], s[0:1], v28, s26, v[34:35]
	v_mul_lo_u32 v36, v28, s27
	v_mul_lo_u32 v37, v29, s26
	v_add3_u32 v35, v37, v35, v36
	global_load_ubyte v36, v[32:33], off
	global_load_ubyte v37, v[34:35], off
	s_mov_b64 s[6:7], -1
	s_waitcnt vmcnt(1)
	v_cmp_ne_u16_e32 vcc, 0, v36
	s_waitcnt vmcnt(0)
	v_cmp_ne_u16_e64 s[0:1], 0, v37
	s_xor_b64 s[0:1], vcc, s[0:1]
	s_xor_b64 s[0:1], s[0:1], -1
	s_and_saveexec_b64 s[10:11], s[0:1]
	s_cbranch_execz .LBB1100_53
; %bb.44:
	s_mov_b64 s[42:43], 1
	s_mov_b64 s[14:15], 0
                                        ; implicit-def: $sgpr40_sgpr41
	s_branch .LBB1100_47
.LBB1100_45:                            ;   in Loop: Header=BB1100_47 Depth=1
	v_lshl_add_u64 v[36:37], v[32:33], 0, s[42:43]
	v_lshl_add_u64 v[38:39], v[34:35], 0, s[42:43]
	global_load_ubyte v48, v[36:37], off
	global_load_ubyte v49, v[38:39], off
	s_waitcnt vmcnt(1)
	v_cmp_ne_u16_e64 s[0:1], 0, v48
	s_waitcnt vmcnt(0)
	v_cmp_ne_u16_e64 s[6:7], 0, v49
	s_xor_b64 s[6:7], s[0:1], s[6:7]
	s_add_u32 s0, s42, 1
	s_addc_u32 s1, s43, 0
	s_andn2_b64 s[40:41], s[40:41], exec
	s_and_b64 s[6:7], s[6:7], exec
	s_or_b64 s[40:41], s[40:41], s[6:7]
.LBB1100_46:                            ;   in Loop: Header=BB1100_47 Depth=1
	s_and_b64 s[6:7], exec, s[40:41]
	s_or_b64 s[14:15], s[6:7], s[14:15]
	v_mov_b64_e32 v[36:37], s[42:43]
	s_mov_b64 s[42:43], s[0:1]
	s_andn2_b64 exec, exec, s[14:15]
	s_cbranch_execz .LBB1100_52
.LBB1100_47:                            ; =>This Inner Loop Header: Depth=1
	s_or_b64 s[40:41], s[40:41], exec
	s_cmp_eq_u64 s[26:27], s[42:43]
	s_cbranch_scc0 .LBB1100_45
; %bb.48:                               ;   in Loop: Header=BB1100_47 Depth=1
                                        ; implicit-def: $sgpr0_sgpr1
	s_mov_b64 s[42:43], s[26:27]
	s_branch .LBB1100_46
.LBB1100_49:
                                        ; implicit-def: $sgpr0_sgpr1
                                        ; implicit-def: $vgpr48
                                        ; implicit-def: $vgpr32
                                        ; implicit-def: $vgpr33
                                        ; implicit-def: $vgpr34
	s_branch .LBB1100_176
.LBB1100_50:
                                        ; implicit-def: $vgpr30_vgpr31
	s_branch .LBB1100_309
.LBB1100_51:
                                        ; implicit-def: $sgpr0_sgpr1
                                        ; implicit-def: $vgpr48
                                        ; implicit-def: $vgpr32
                                        ; implicit-def: $vgpr33
                                        ; implicit-def: $vgpr34
	s_cbranch_execnz .LBB1100_109
	s_branch .LBB1100_175
.LBB1100_52:
	s_or_b64 exec, exec, s[14:15]
	v_cmp_gt_i64_e64 s[0:1], s[26:27], v[36:37]
	s_orn2_b64 s[6:7], s[0:1], exec
.LBB1100_53:
	s_or_b64 exec, exec, s[10:11]
	v_mov_b64_e32 v[34:35], s[36:37]
	v_mad_u64_u32 v[34:35], s[0:1], v14, s26, v[34:35]
	v_mul_lo_u32 v36, v14, s27
	v_mul_lo_u32 v37, v15, s26
	v_add3_u32 v35, v37, v35, v36
	global_load_ubyte v36, v[34:35], off
	s_waitcnt vmcnt(0)
	v_cmp_ne_u16_e64 s[0:1], 0, v36
	s_xor_b64 s[10:11], vcc, s[0:1]
	s_mov_b64 s[0:1], -1
	s_xor_b64 s[14:15], s[10:11], -1
	s_and_saveexec_b64 s[10:11], s[14:15]
	s_cbranch_execz .LBB1100_60
; %bb.54:
	s_mov_b64 s[42:43], 1
	s_mov_b64 s[14:15], 0
                                        ; implicit-def: $sgpr40_sgpr41
	s_branch .LBB1100_57
.LBB1100_55:                            ;   in Loop: Header=BB1100_57 Depth=1
	v_lshl_add_u64 v[36:37], v[34:35], 0, s[42:43]
	v_lshl_add_u64 v[38:39], v[32:33], 0, s[42:43]
	global_load_ubyte v48, v[36:37], off
	global_load_ubyte v49, v[38:39], off
	s_waitcnt vmcnt(1)
	v_cmp_ne_u16_e32 vcc, 0, v48
	s_waitcnt vmcnt(0)
	v_cmp_ne_u16_e64 s[0:1], 0, v49
	s_xor_b64 s[44:45], vcc, s[0:1]
	s_add_u32 s0, s42, 1
	s_addc_u32 s1, s43, 0
	s_andn2_b64 s[40:41], s[40:41], exec
	s_and_b64 s[44:45], s[44:45], exec
	s_or_b64 s[40:41], s[40:41], s[44:45]
.LBB1100_56:                            ;   in Loop: Header=BB1100_57 Depth=1
	s_and_b64 s[44:45], exec, s[40:41]
	s_or_b64 s[14:15], s[44:45], s[14:15]
	v_mov_b64_e32 v[36:37], s[42:43]
	s_mov_b64 s[42:43], s[0:1]
	s_andn2_b64 exec, exec, s[14:15]
	s_cbranch_execz .LBB1100_59
.LBB1100_57:                            ; =>This Inner Loop Header: Depth=1
	s_or_b64 s[40:41], s[40:41], exec
	s_cmp_eq_u64 s[26:27], s[42:43]
	s_cbranch_scc0 .LBB1100_55
; %bb.58:                               ;   in Loop: Header=BB1100_57 Depth=1
                                        ; implicit-def: $sgpr0_sgpr1
	s_mov_b64 s[42:43], s[26:27]
	s_branch .LBB1100_56
.LBB1100_59:
	s_or_b64 exec, exec, s[14:15]
	v_cmp_gt_i64_e32 vcc, s[26:27], v[36:37]
	s_orn2_b64 s[0:1], vcc, exec
.LBB1100_60:
	s_or_b64 exec, exec, s[10:11]
	v_cndmask_b32_e64 v32, 0, 1, s[6:7]
.LBB1100_61:
	v_lshlrev_b16_e32 v33, 8, v0
	v_lshlrev_b16_e32 v34, 8, v0
	v_mov_b32_e32 v36, 8
	v_lshrrev_b32_sdwa v34, v36, v34 dst_sel:BYTE_1 dst_unused:UNUSED_PAD src0_sel:DWORD src1_sel:DWORD
	v_lshrrev_b32_sdwa v33, v36, v33 dst_sel:BYTE_1 dst_unused:UNUSED_PAD src0_sel:DWORD src1_sel:DWORD
	v_cndmask_b32_e64 v35, 0, 1, s[0:1]
	v_or_b32_sdwa v34, v0, v34 dst_sel:DWORD dst_unused:UNUSED_PAD src0_sel:BYTE_0 src1_sel:DWORD
	v_or_b32_sdwa v33, v0, v33 dst_sel:WORD_1 dst_unused:UNUSED_PAD src0_sel:BYTE_0 src1_sel:DWORD
	v_lshlrev_b32_e32 v32, 16, v32
	v_or_b32_sdwa v48, v34, v33 dst_sel:DWORD dst_unused:UNUSED_PAD src0_sel:WORD_0 src1_sel:DWORD
	v_lshlrev_b16_e32 v33, 8, v35
	s_and_b64 vcc, exec, s[4:5]
	v_or_b32_e32 v49, v33, v32
	s_cbranch_vccnz .LBB1100_68
; %bb.62:
	v_mov_b64_e32 v[34:35], s[36:37]
	v_mad_u64_u32 v[32:33], s[0:1], v20, s26, v[34:35]
	v_mul_lo_u32 v36, v20, s27
	v_mul_lo_u32 v37, v21, s26
	v_add3_u32 v33, v37, v33, v36
	v_mad_u64_u32 v[34:35], s[0:1], v14, s26, v[34:35]
	v_mul_lo_u32 v36, v14, s27
	v_mul_lo_u32 v37, v15, s26
	v_add3_u32 v35, v37, v35, v36
	global_load_ubyte v36, v[32:33], off
	global_load_ubyte v37, v[34:35], off
	s_waitcnt vmcnt(1)
	v_cmp_ne_u16_e32 vcc, 0, v36
	s_waitcnt vmcnt(0)
	v_cmp_ne_u16_e64 s[0:1], 0, v37
	s_xor_b64 s[6:7], vcc, s[0:1]
	s_mov_b64 s[0:1], -1
	s_xor_b64 s[6:7], s[6:7], -1
	s_and_saveexec_b64 s[10:11], s[6:7]
	s_cbranch_execz .LBB1100_70
; %bb.63:
	s_mov_b64 s[42:43], 1
	s_mov_b64 s[14:15], 0
                                        ; implicit-def: $sgpr40_sgpr41
	s_branch .LBB1100_66
.LBB1100_64:                            ;   in Loop: Header=BB1100_66 Depth=1
	v_lshl_add_u64 v[36:37], v[32:33], 0, s[42:43]
	v_lshl_add_u64 v[38:39], v[34:35], 0, s[42:43]
	global_load_ubyte v50, v[36:37], off
	global_load_ubyte v51, v[38:39], off
	s_waitcnt vmcnt(1)
	v_cmp_ne_u16_e64 s[0:1], 0, v50
	s_waitcnt vmcnt(0)
	v_cmp_ne_u16_e64 s[6:7], 0, v51
	s_xor_b64 s[6:7], s[0:1], s[6:7]
	s_add_u32 s0, s42, 1
	s_addc_u32 s1, s43, 0
	s_andn2_b64 s[40:41], s[40:41], exec
	s_and_b64 s[6:7], s[6:7], exec
	s_or_b64 s[40:41], s[40:41], s[6:7]
.LBB1100_65:                            ;   in Loop: Header=BB1100_66 Depth=1
	s_and_b64 s[6:7], exec, s[40:41]
	s_or_b64 s[14:15], s[6:7], s[14:15]
	v_mov_b64_e32 v[36:37], s[42:43]
	s_mov_b64 s[42:43], s[0:1]
	s_andn2_b64 exec, exec, s[14:15]
	s_cbranch_execz .LBB1100_69
.LBB1100_66:                            ; =>This Inner Loop Header: Depth=1
	s_or_b64 s[40:41], s[40:41], exec
	s_cmp_eq_u64 s[26:27], s[42:43]
	s_cbranch_scc0 .LBB1100_64
; %bb.67:                               ;   in Loop: Header=BB1100_66 Depth=1
                                        ; implicit-def: $sgpr0_sgpr1
	s_mov_b64 s[42:43], s[26:27]
	s_branch .LBB1100_65
.LBB1100_68:
                                        ; implicit-def: $sgpr0_sgpr1
                                        ; implicit-def: $vgpr34_vgpr35
	s_cbranch_execnz .LBB1100_78
	s_branch .LBB1100_79
.LBB1100_69:
	s_or_b64 exec, exec, s[14:15]
	v_cmp_gt_i64_e64 s[0:1], s[26:27], v[36:37]
	s_orn2_b64 s[0:1], s[0:1], exec
.LBB1100_70:
	s_or_b64 exec, exec, s[10:11]
	v_mov_b64_e32 v[34:35], s[36:37]
	v_mad_u64_u32 v[36:37], s[6:7], v18, s26, v[34:35]
	v_mul_lo_u32 v34, v18, s27
	v_mul_lo_u32 v35, v19, s26
	v_add3_u32 v37, v35, v37, v34
	global_load_ubyte v38, v[36:37], off
	v_mov_b32_e32 v34, 8
	v_cndmask_b32_e64 v35, 0, 1, s[0:1]
	s_mov_b32 s0, 0x3020104
	v_lshrrev_b32_sdwa v50, v34, v49 dst_sel:BYTE_1 dst_unused:UNUSED_PAD src0_sel:DWORD src1_sel:DWORD
	v_perm_b32 v34, v48, v48, s0
	v_or_b32_e32 v35, v35, v50
	v_bfe_u32 v39, v49, 16, 8
	v_and_b32_e32 v35, 0xffff, v35
	v_lshl_or_b32 v35, v39, 16, v35
	s_waitcnt vmcnt(0)
	v_cmp_ne_u16_e64 s[0:1], 0, v38
	s_xor_b64 s[6:7], vcc, s[0:1]
	s_mov_b64 s[0:1], -1
	s_xor_b64 s[10:11], s[6:7], -1
	s_and_saveexec_b64 s[6:7], s[10:11]
	s_cbranch_execz .LBB1100_77
; %bb.71:
	s_mov_b64 s[40:41], 1
	s_mov_b64 s[10:11], 0
                                        ; implicit-def: $sgpr14_sgpr15
	s_branch .LBB1100_74
.LBB1100_72:                            ;   in Loop: Header=BB1100_74 Depth=1
	v_lshl_add_u64 v[38:39], v[36:37], 0, s[40:41]
	v_lshl_add_u64 v[50:51], v[32:33], 0, s[40:41]
	global_load_ubyte v52, v[38:39], off
	global_load_ubyte v53, v[50:51], off
	s_waitcnt vmcnt(1)
	v_cmp_ne_u16_e32 vcc, 0, v52
	s_waitcnt vmcnt(0)
	v_cmp_ne_u16_e64 s[0:1], 0, v53
	s_xor_b64 s[42:43], vcc, s[0:1]
	s_add_u32 s0, s40, 1
	s_addc_u32 s1, s41, 0
	s_andn2_b64 s[14:15], s[14:15], exec
	s_and_b64 s[42:43], s[42:43], exec
	s_or_b64 s[14:15], s[14:15], s[42:43]
.LBB1100_73:                            ;   in Loop: Header=BB1100_74 Depth=1
	s_and_b64 s[42:43], exec, s[14:15]
	s_or_b64 s[10:11], s[42:43], s[10:11]
	v_mov_b64_e32 v[38:39], s[40:41]
	s_mov_b64 s[40:41], s[0:1]
	s_andn2_b64 exec, exec, s[10:11]
	s_cbranch_execz .LBB1100_76
.LBB1100_74:                            ; =>This Inner Loop Header: Depth=1
	s_or_b64 s[14:15], s[14:15], exec
	s_cmp_eq_u64 s[26:27], s[40:41]
	s_cbranch_scc0 .LBB1100_72
; %bb.75:                               ;   in Loop: Header=BB1100_74 Depth=1
                                        ; implicit-def: $sgpr0_sgpr1
	s_mov_b64 s[40:41], s[26:27]
	s_branch .LBB1100_73
.LBB1100_76:
	s_or_b64 exec, exec, s[10:11]
	v_cmp_gt_i64_e32 vcc, s[26:27], v[38:39]
	s_orn2_b64 s[0:1], vcc, exec
.LBB1100_77:
	s_or_b64 exec, exec, s[6:7]
	s_branch .LBB1100_79
.LBB1100_78:
	v_mov_b32_e32 v32, 8
	v_lshrrev_b32_sdwa v32, v32, v49 dst_sel:BYTE_1 dst_unused:UNUSED_PAD src0_sel:DWORD src1_sel:DWORD
	v_bfe_u32 v33, v49, 16, 8
	s_mov_b32 s6, 0x3020104
	v_lshl_or_b32 v35, v33, 16, v32
	v_perm_b32 v34, v48, v48, s6
	s_andn2_b64 s[0:1], s[0:1], exec
.LBB1100_79:
	v_mov_b32_e32 v33, 8
	v_cndmask_b32_e64 v32, 0, 1, s[0:1]
	s_movk_i32 s0, 0xff
	v_lshrrev_b32_sdwa v36, v33, v34 dst_sel:BYTE_1 dst_unused:UNUSED_PAD src0_sel:DWORD src1_sel:DWORD
	v_lshlrev_b16_e32 v32, 8, v32
	v_or_b32_sdwa v36, v34, v36 dst_sel:DWORD dst_unused:UNUSED_PAD src0_sel:BYTE_0 src1_sel:DWORD
	v_and_b32_sdwa v34, v34, s0 dst_sel:DWORD dst_unused:UNUSED_PAD src0_sel:WORD_1 src1_sel:DWORD
	v_or_b32_sdwa v32, v34, v32 dst_sel:WORD_1 dst_unused:UNUSED_PAD src0_sel:DWORD src1_sel:DWORD
	s_and_b64 vcc, exec, s[4:5]
	v_or_b32_sdwa v48, v36, v32 dst_sel:DWORD dst_unused:UNUSED_PAD src0_sel:WORD_0 src1_sel:DWORD
	v_lshrrev_b32_sdwa v32, v33, v35 dst_sel:BYTE_1 dst_unused:UNUSED_PAD src0_sel:DWORD src1_sel:DWORD
	v_bfe_u32 v33, v35, 16, 8
	v_or_b32_sdwa v32, v35, v32 dst_sel:DWORD dst_unused:UNUSED_PAD src0_sel:BYTE_0 src1_sel:DWORD
	v_and_b32_e32 v32, 0xffff, v32
	v_lshl_or_b32 v49, v33, 16, v32
	s_cbranch_vccnz .LBB1100_86
; %bb.80:
	v_mov_b64_e32 v[32:33], s[36:37]
	v_mad_u64_u32 v[34:35], s[0:1], v24, s26, v[32:33]
	v_mul_lo_u32 v36, v24, s27
	v_mul_lo_u32 v37, v25, s26
	v_add3_u32 v35, v37, v35, v36
	v_mad_u64_u32 v[32:33], s[0:1], v18, s26, v[32:33]
	v_mul_lo_u32 v36, v18, s27
	v_mul_lo_u32 v37, v19, s26
	v_add3_u32 v33, v37, v33, v36
	global_load_ubyte v36, v[34:35], off
	global_load_ubyte v37, v[32:33], off
	s_waitcnt vmcnt(1)
	v_cmp_ne_u16_e32 vcc, 0, v36
	s_waitcnt vmcnt(0)
	v_cmp_ne_u16_e64 s[0:1], 0, v37
	s_xor_b64 s[6:7], vcc, s[0:1]
	s_mov_b64 s[0:1], -1
	s_xor_b64 s[6:7], s[6:7], -1
	s_and_saveexec_b64 s[10:11], s[6:7]
	s_cbranch_execz .LBB1100_88
; %bb.81:
	s_mov_b64 s[42:43], 1
	s_mov_b64 s[14:15], 0
                                        ; implicit-def: $sgpr40_sgpr41
	s_branch .LBB1100_84
.LBB1100_82:                            ;   in Loop: Header=BB1100_84 Depth=1
	v_lshl_add_u64 v[36:37], v[34:35], 0, s[42:43]
	v_lshl_add_u64 v[38:39], v[32:33], 0, s[42:43]
	global_load_ubyte v50, v[36:37], off
	global_load_ubyte v51, v[38:39], off
	s_waitcnt vmcnt(1)
	v_cmp_ne_u16_e64 s[0:1], 0, v50
	s_waitcnt vmcnt(0)
	v_cmp_ne_u16_e64 s[6:7], 0, v51
	s_xor_b64 s[6:7], s[0:1], s[6:7]
	s_add_u32 s0, s42, 1
	s_addc_u32 s1, s43, 0
	s_andn2_b64 s[40:41], s[40:41], exec
	s_and_b64 s[6:7], s[6:7], exec
	s_or_b64 s[40:41], s[40:41], s[6:7]
.LBB1100_83:                            ;   in Loop: Header=BB1100_84 Depth=1
	s_and_b64 s[6:7], exec, s[40:41]
	s_or_b64 s[14:15], s[6:7], s[14:15]
	v_mov_b64_e32 v[36:37], s[42:43]
	s_mov_b64 s[42:43], s[0:1]
	s_andn2_b64 exec, exec, s[14:15]
	s_cbranch_execz .LBB1100_87
.LBB1100_84:                            ; =>This Inner Loop Header: Depth=1
	s_or_b64 s[40:41], s[40:41], exec
	s_cmp_eq_u64 s[26:27], s[42:43]
	s_cbranch_scc0 .LBB1100_82
; %bb.85:                               ;   in Loop: Header=BB1100_84 Depth=1
                                        ; implicit-def: $sgpr0_sgpr1
	s_mov_b64 s[42:43], s[26:27]
	s_branch .LBB1100_83
.LBB1100_86:
                                        ; implicit-def: $sgpr0_sgpr1
                                        ; implicit-def: $vgpr32_vgpr33
	s_cbranch_execnz .LBB1100_96
	s_branch .LBB1100_97
.LBB1100_87:
	s_or_b64 exec, exec, s[14:15]
	v_cmp_gt_i64_e64 s[0:1], s[26:27], v[36:37]
	s_orn2_b64 s[0:1], s[0:1], exec
.LBB1100_88:
	s_or_b64 exec, exec, s[10:11]
	v_mov_b64_e32 v[32:33], s[36:37]
	v_mad_u64_u32 v[36:37], s[6:7], v22, s26, v[32:33]
	v_mul_lo_u32 v32, v22, s27
	v_mul_lo_u32 v33, v23, s26
	v_add3_u32 v37, v33, v37, v32
	global_load_ubyte v38, v[36:37], off
	v_mov_b32_e32 v33, 8
	v_lshrrev_b32_e32 v50, 24, v48
	v_lshrrev_b32_sdwa v51, v33, v49 dst_sel:BYTE_1 dst_unused:UNUSED_PAD src0_sel:DWORD src1_sel:DWORD
	v_cndmask_b32_e64 v32, 0, 1, s[0:1]
	v_lshrrev_b32_sdwa v33, v33, v48 dst_sel:BYTE_1 dst_unused:UNUSED_PAD src0_sel:DWORD src1_sel:DWORD
	v_lshlrev_b16_e32 v50, 8, v50
	v_or_b32_sdwa v51, v49, v51 dst_sel:DWORD dst_unused:UNUSED_PAD src0_sel:BYTE_0 src1_sel:DWORD
	v_bfe_u32 v39, v49, 16, 8
	v_or_b32_sdwa v33, v48, v33 dst_sel:DWORD dst_unused:UNUSED_PAD src0_sel:BYTE_0 src1_sel:DWORD
	v_or_b32_sdwa v32, v32, v50 dst_sel:WORD_1 dst_unused:UNUSED_PAD src0_sel:DWORD src1_sel:DWORD
	v_and_b32_e32 v50, 0xffff, v51
	v_or_b32_sdwa v32, v33, v32 dst_sel:DWORD dst_unused:UNUSED_PAD src0_sel:WORD_0 src1_sel:DWORD
	v_lshl_or_b32 v33, v39, 16, v50
	s_waitcnt vmcnt(0)
	v_cmp_ne_u16_e64 s[0:1], 0, v38
	s_xor_b64 s[6:7], vcc, s[0:1]
	s_mov_b64 s[0:1], -1
	s_xor_b64 s[10:11], s[6:7], -1
	s_and_saveexec_b64 s[6:7], s[10:11]
	s_cbranch_execz .LBB1100_95
; %bb.89:
	s_mov_b64 s[40:41], 1
	s_mov_b64 s[10:11], 0
                                        ; implicit-def: $sgpr14_sgpr15
	s_branch .LBB1100_92
.LBB1100_90:                            ;   in Loop: Header=BB1100_92 Depth=1
	v_lshl_add_u64 v[38:39], v[36:37], 0, s[40:41]
	v_lshl_add_u64 v[50:51], v[34:35], 0, s[40:41]
	global_load_ubyte v52, v[38:39], off
	global_load_ubyte v53, v[50:51], off
	s_waitcnt vmcnt(1)
	v_cmp_ne_u16_e32 vcc, 0, v52
	s_waitcnt vmcnt(0)
	v_cmp_ne_u16_e64 s[0:1], 0, v53
	s_xor_b64 s[42:43], vcc, s[0:1]
	s_add_u32 s0, s40, 1
	s_addc_u32 s1, s41, 0
	s_andn2_b64 s[14:15], s[14:15], exec
	s_and_b64 s[42:43], s[42:43], exec
	s_or_b64 s[14:15], s[14:15], s[42:43]
.LBB1100_91:                            ;   in Loop: Header=BB1100_92 Depth=1
	s_and_b64 s[42:43], exec, s[14:15]
	s_or_b64 s[10:11], s[42:43], s[10:11]
	v_mov_b64_e32 v[38:39], s[40:41]
	s_mov_b64 s[40:41], s[0:1]
	s_andn2_b64 exec, exec, s[10:11]
	s_cbranch_execz .LBB1100_94
.LBB1100_92:                            ; =>This Inner Loop Header: Depth=1
	s_or_b64 s[14:15], s[14:15], exec
	s_cmp_eq_u64 s[26:27], s[40:41]
	s_cbranch_scc0 .LBB1100_90
; %bb.93:                               ;   in Loop: Header=BB1100_92 Depth=1
                                        ; implicit-def: $sgpr0_sgpr1
	s_mov_b64 s[40:41], s[26:27]
	s_branch .LBB1100_91
.LBB1100_94:
	s_or_b64 exec, exec, s[10:11]
	v_cmp_gt_i64_e32 vcc, s[26:27], v[38:39]
	s_orn2_b64 s[0:1], vcc, exec
.LBB1100_95:
	s_or_b64 exec, exec, s[6:7]
	s_branch .LBB1100_97
.LBB1100_96:
	v_mov_b32_e32 v32, 8
	v_lshrrev_b32_sdwa v33, v32, v49 dst_sel:BYTE_1 dst_unused:UNUSED_PAD src0_sel:DWORD src1_sel:DWORD
	v_lshrrev_b32_sdwa v32, v32, v48 dst_sel:BYTE_1 dst_unused:UNUSED_PAD src0_sel:DWORD src1_sel:DWORD
	v_or_b32_sdwa v33, v49, v33 dst_sel:DWORD dst_unused:UNUSED_PAD src0_sel:BYTE_0 src1_sel:DWORD
	v_or_b32_sdwa v32, v48, v32 dst_sel:DWORD dst_unused:UNUSED_PAD src0_sel:BYTE_0 src1_sel:DWORD
	v_and_b32_e32 v33, 0xffff, v33
	v_bfe_u32 v34, v49, 16, 8
	v_and_b32_e32 v32, 0xffff, v32
	s_mov_b32 s6, 0xff000000
	v_lshl_or_b32 v33, v34, 16, v33
	v_and_or_b32 v32, v48, s6, v32
	s_andn2_b64 s[0:1], s[0:1], exec
.LBB1100_97:
	s_waitcnt vmcnt(0)
	v_mov_b64_e32 v[36:37], v[30:31]
	s_waitcnt lgkmcnt(0)
	s_barrier
	s_and_saveexec_b64 s[6:7], s[2:3]
	s_cbranch_execz .LBB1100_99
; %bb.98:
	v_add_u32_e32 v34, -8, v47
	ds_read_b64 v[36:37], v34
.LBB1100_99:
	s_or_b64 exec, exec, s[6:7]
	v_cndmask_b32_e64 v34, 0, 1, s[0:1]
	v_lshlrev_b16_e32 v34, 8, v34
	s_movk_i32 s0, 0xff
	v_or_b32_sdwa v48, v32, v34 dst_sel:DWORD dst_unused:UNUSED_PAD src0_sel:BYTE_0 src1_sel:DWORD
	v_lshrrev_b32_e32 v34, 24, v32
	v_lshlrev_b16_e32 v34, 8, v34
	v_and_b32_sdwa v32, v32, s0 dst_sel:DWORD dst_unused:UNUSED_PAD src0_sel:WORD_1 src1_sel:DWORD
	v_or_b32_sdwa v32, v32, v34 dst_sel:WORD_1 dst_unused:UNUSED_PAD src0_sel:DWORD src1_sel:DWORD
	s_mov_b64 s[6:7], 0
	s_and_b64 vcc, exec, s[4:5]
	s_mov_b64 s[0:1], 0
	s_cbranch_vccnz .LBB1100_108
; %bb.100:
	v_mov_b64_e32 v[38:39], s[36:37]
	s_waitcnt lgkmcnt(0)
	v_mad_u64_u32 v[34:35], s[0:1], v36, s26, v[38:39]
	v_mul_lo_u32 v36, v36, s27
	v_mul_lo_u32 v37, v37, s26
	v_add3_u32 v35, v37, v35, v36
	v_mad_u64_u32 v[36:37], s[0:1], v22, s26, v[38:39]
	v_mul_lo_u32 v38, v22, s27
	v_mul_lo_u32 v39, v23, s26
	v_add3_u32 v37, v39, v37, v38
	global_load_ubyte v38, v[34:35], off
	global_load_ubyte v39, v[36:37], off
	s_waitcnt vmcnt(1)
	v_cmp_ne_u16_e32 vcc, 0, v38
	s_waitcnt vmcnt(0)
	v_cmp_ne_u16_e64 s[0:1], 0, v39
	s_xor_b64 s[4:5], vcc, s[0:1]
	s_mov_b64 s[0:1], -1
	s_xor_b64 s[10:11], s[4:5], -1
	s_and_saveexec_b64 s[4:5], s[10:11]
	s_cbranch_execz .LBB1100_107
; %bb.101:
	s_mov_b64 s[40:41], 1
	s_mov_b64 s[10:11], 0
                                        ; implicit-def: $sgpr14_sgpr15
	s_branch .LBB1100_104
.LBB1100_102:                           ;   in Loop: Header=BB1100_104 Depth=1
	v_lshl_add_u64 v[38:39], v[34:35], 0, s[40:41]
	v_lshl_add_u64 v[50:51], v[36:37], 0, s[40:41]
	global_load_ubyte v49, v[38:39], off
	global_load_ubyte v52, v[50:51], off
	s_waitcnt vmcnt(1)
	v_cmp_ne_u16_e32 vcc, 0, v49
	s_waitcnt vmcnt(0)
	v_cmp_ne_u16_e64 s[0:1], 0, v52
	s_xor_b64 s[42:43], vcc, s[0:1]
	s_add_u32 s0, s40, 1
	s_addc_u32 s1, s41, 0
	s_andn2_b64 s[14:15], s[14:15], exec
	s_and_b64 s[42:43], s[42:43], exec
	s_or_b64 s[14:15], s[14:15], s[42:43]
.LBB1100_103:                           ;   in Loop: Header=BB1100_104 Depth=1
	s_and_b64 s[42:43], exec, s[14:15]
	s_or_b64 s[10:11], s[42:43], s[10:11]
	v_mov_b64_e32 v[38:39], s[40:41]
	s_mov_b64 s[40:41], s[0:1]
	s_andn2_b64 exec, exec, s[10:11]
	s_cbranch_execz .LBB1100_106
.LBB1100_104:                           ; =>This Inner Loop Header: Depth=1
	s_or_b64 s[14:15], s[14:15], exec
	s_cmp_eq_u64 s[26:27], s[40:41]
	s_cbranch_scc0 .LBB1100_102
; %bb.105:                              ;   in Loop: Header=BB1100_104 Depth=1
                                        ; implicit-def: $sgpr0_sgpr1
	s_mov_b64 s[40:41], s[26:27]
	s_branch .LBB1100_103
.LBB1100_106:
	s_or_b64 exec, exec, s[10:11]
	v_cmp_gt_i64_e32 vcc, s[26:27], v[38:39]
	s_orn2_b64 s[0:1], vcc, exec
.LBB1100_107:
	s_or_b64 exec, exec, s[4:5]
.LBB1100_108:
	v_or_b32_sdwa v34, v48, v32 dst_sel:DWORD dst_unused:UNUSED_PAD src0_sel:WORD_0 src1_sel:DWORD
	v_lshrrev_b32_e32 v32, 8, v33
	v_lshrrev_b32_e32 v48, 16, v33
	s_and_b64 vcc, exec, s[6:7]
	s_cbranch_vccz .LBB1100_175
.LBB1100_109:
	v_cmp_gt_u32_e32 vcc, s54, v42
	s_xor_b64 s[10:11], s[12:13], -1
	s_mov_b64 s[14:15], -1
	s_and_b64 s[0:1], vcc, s[10:11]
	s_mov_b64 s[6:7], 0
	s_mov_b64 s[4:5], 0
	s_and_saveexec_b64 s[12:13], s[0:1]
	s_cbranch_execz .LBB1100_118
; %bb.110:
	v_mov_b64_e32 v[34:35], s[36:37]
	v_mad_u64_u32 v[32:33], s[0:1], v16, s26, v[34:35]
	s_waitcnt lgkmcnt(0)
	v_mul_lo_u32 v36, v16, s27
	v_mul_lo_u32 v37, v17, s26
	v_add3_u32 v33, v37, v33, v36
	v_mad_u64_u32 v[34:35], s[0:1], v28, s26, v[34:35]
	v_mul_lo_u32 v36, v28, s27
	v_mul_lo_u32 v37, v29, s26
	v_add3_u32 v35, v37, v35, v36
	global_load_ubyte v36, v[32:33], off
	global_load_ubyte v37, v[34:35], off
	s_waitcnt vmcnt(1)
	v_cmp_ne_u16_e32 vcc, 0, v36
	s_waitcnt vmcnt(0)
	v_cmp_ne_u16_e64 s[0:1], 0, v37
	s_xor_b64 s[0:1], vcc, s[0:1]
	s_xor_b64 s[0:1], s[0:1], -1
	s_and_saveexec_b64 s[4:5], s[0:1]
	s_cbranch_execz .LBB1100_117
; %bb.111:
	s_mov_b64 s[42:43], 1
	s_mov_b64 s[14:15], 0
                                        ; implicit-def: $sgpr40_sgpr41
	s_branch .LBB1100_114
.LBB1100_112:                           ;   in Loop: Header=BB1100_114 Depth=1
	v_lshl_add_u64 v[36:37], v[32:33], 0, s[42:43]
	v_lshl_add_u64 v[38:39], v[34:35], 0, s[42:43]
	global_load_ubyte v48, v[36:37], off
	global_load_ubyte v49, v[38:39], off
	s_waitcnt vmcnt(1)
	v_cmp_ne_u16_e32 vcc, 0, v48
	s_waitcnt vmcnt(0)
	v_cmp_ne_u16_e64 s[0:1], 0, v49
	s_xor_b64 s[44:45], vcc, s[0:1]
	s_add_u32 s0, s42, 1
	s_addc_u32 s1, s43, 0
	s_andn2_b64 s[40:41], s[40:41], exec
	s_and_b64 s[44:45], s[44:45], exec
	s_or_b64 s[40:41], s[40:41], s[44:45]
.LBB1100_113:                           ;   in Loop: Header=BB1100_114 Depth=1
	s_and_b64 s[44:45], exec, s[40:41]
	s_or_b64 s[14:15], s[44:45], s[14:15]
	v_mov_b64_e32 v[36:37], s[42:43]
	s_mov_b64 s[42:43], s[0:1]
	s_andn2_b64 exec, exec, s[14:15]
	s_cbranch_execz .LBB1100_116
.LBB1100_114:                           ; =>This Inner Loop Header: Depth=1
	s_or_b64 s[40:41], s[40:41], exec
	s_cmp_eq_u64 s[26:27], s[42:43]
	s_cbranch_scc0 .LBB1100_112
; %bb.115:                              ;   in Loop: Header=BB1100_114 Depth=1
                                        ; implicit-def: $sgpr0_sgpr1
	s_mov_b64 s[42:43], s[26:27]
	s_branch .LBB1100_113
.LBB1100_116:
	s_or_b64 exec, exec, s[14:15]
	v_cmp_gt_i64_e32 vcc, s[26:27], v[36:37]
	s_orn2_b64 s[14:15], vcc, exec
.LBB1100_117:
	s_or_b64 exec, exec, s[4:5]
	s_and_b64 s[4:5], s[14:15], exec
.LBB1100_118:
	s_or_b64 exec, exec, s[12:13]
	v_cmp_gt_u32_e32 vcc, s54, v45
	s_and_b64 s[0:1], vcc, s[10:11]
	s_and_saveexec_b64 s[12:13], s[0:1]
	s_cbranch_execz .LBB1100_127
; %bb.119:
	v_mov_b64_e32 v[34:35], s[36:37]
	v_mad_u64_u32 v[32:33], s[0:1], v14, s26, v[34:35]
	s_waitcnt lgkmcnt(0)
	v_mul_lo_u32 v36, v14, s27
	v_mul_lo_u32 v37, v15, s26
	v_add3_u32 v33, v37, v33, v36
	v_mad_u64_u32 v[34:35], s[0:1], v16, s26, v[34:35]
	v_mul_lo_u32 v36, v16, s27
	v_mul_lo_u32 v37, v17, s26
	v_add3_u32 v35, v37, v35, v36
	global_load_ubyte v36, v[32:33], off
	global_load_ubyte v37, v[34:35], off
	s_waitcnt vmcnt(1)
	v_cmp_ne_u16_e32 vcc, 0, v36
	s_waitcnt vmcnt(0)
	v_cmp_ne_u16_e64 s[0:1], 0, v37
	s_xor_b64 s[6:7], vcc, s[0:1]
	s_mov_b64 s[0:1], -1
	s_xor_b64 s[14:15], s[6:7], -1
	s_and_saveexec_b64 s[6:7], s[14:15]
	s_cbranch_execz .LBB1100_126
; %bb.120:
	s_mov_b64 s[42:43], 1
	s_mov_b64 s[14:15], 0
                                        ; implicit-def: $sgpr40_sgpr41
	s_branch .LBB1100_123
.LBB1100_121:                           ;   in Loop: Header=BB1100_123 Depth=1
	v_lshl_add_u64 v[36:37], v[32:33], 0, s[42:43]
	v_lshl_add_u64 v[38:39], v[34:35], 0, s[42:43]
	global_load_ubyte v48, v[36:37], off
	global_load_ubyte v49, v[38:39], off
	s_waitcnt vmcnt(1)
	v_cmp_ne_u16_e32 vcc, 0, v48
	s_waitcnt vmcnt(0)
	v_cmp_ne_u16_e64 s[0:1], 0, v49
	s_xor_b64 s[44:45], vcc, s[0:1]
	s_add_u32 s0, s42, 1
	s_addc_u32 s1, s43, 0
	s_andn2_b64 s[40:41], s[40:41], exec
	s_and_b64 s[44:45], s[44:45], exec
	s_or_b64 s[40:41], s[40:41], s[44:45]
.LBB1100_122:                           ;   in Loop: Header=BB1100_123 Depth=1
	s_and_b64 s[44:45], exec, s[40:41]
	s_or_b64 s[14:15], s[44:45], s[14:15]
	v_mov_b64_e32 v[36:37], s[42:43]
	s_mov_b64 s[42:43], s[0:1]
	s_andn2_b64 exec, exec, s[14:15]
	s_cbranch_execz .LBB1100_125
.LBB1100_123:                           ; =>This Inner Loop Header: Depth=1
	s_or_b64 s[40:41], s[40:41], exec
	s_cmp_eq_u64 s[26:27], s[42:43]
	s_cbranch_scc0 .LBB1100_121
; %bb.124:                              ;   in Loop: Header=BB1100_123 Depth=1
                                        ; implicit-def: $sgpr0_sgpr1
	s_mov_b64 s[42:43], s[26:27]
	s_branch .LBB1100_122
.LBB1100_125:
	s_or_b64 exec, exec, s[14:15]
	v_cmp_gt_i64_e32 vcc, s[26:27], v[36:37]
	s_orn2_b64 s[0:1], vcc, exec
.LBB1100_126:
	s_or_b64 exec, exec, s[6:7]
	s_and_b64 s[6:7], s[0:1], exec
.LBB1100_127:
	s_or_b64 exec, exec, s[12:13]
	v_cmp_gt_u32_e32 vcc, s54, v41
	s_mov_b64 s[42:43], -1
	s_and_b64 s[0:1], vcc, s[10:11]
	s_mov_b64 s[14:15], 0
	s_mov_b64 s[12:13], 0
	s_and_saveexec_b64 s[40:41], s[0:1]
	s_cbranch_execz .LBB1100_136
; %bb.128:
	v_mov_b64_e32 v[34:35], s[36:37]
	v_mad_u64_u32 v[32:33], s[0:1], v20, s26, v[34:35]
	s_waitcnt lgkmcnt(0)
	v_mul_lo_u32 v36, v20, s27
	v_mul_lo_u32 v37, v21, s26
	v_add3_u32 v33, v37, v33, v36
	v_mad_u64_u32 v[34:35], s[0:1], v14, s26, v[34:35]
	v_mul_lo_u32 v36, v14, s27
	v_mul_lo_u32 v37, v15, s26
	v_add3_u32 v35, v37, v35, v36
	global_load_ubyte v36, v[32:33], off
	global_load_ubyte v37, v[34:35], off
	s_waitcnt vmcnt(1)
	v_cmp_ne_u16_e32 vcc, 0, v36
	s_waitcnt vmcnt(0)
	v_cmp_ne_u16_e64 s[0:1], 0, v37
	s_xor_b64 s[0:1], vcc, s[0:1]
	s_xor_b64 s[0:1], s[0:1], -1
	s_and_saveexec_b64 s[12:13], s[0:1]
	s_cbranch_execz .LBB1100_135
; %bb.129:
	s_mov_b64 s[46:47], 1
	s_mov_b64 s[42:43], 0
                                        ; implicit-def: $sgpr44_sgpr45
	s_branch .LBB1100_132
.LBB1100_130:                           ;   in Loop: Header=BB1100_132 Depth=1
	v_lshl_add_u64 v[36:37], v[32:33], 0, s[46:47]
	v_lshl_add_u64 v[38:39], v[34:35], 0, s[46:47]
	global_load_ubyte v48, v[36:37], off
	global_load_ubyte v49, v[38:39], off
	s_waitcnt vmcnt(1)
	v_cmp_ne_u16_e32 vcc, 0, v48
	s_waitcnt vmcnt(0)
	v_cmp_ne_u16_e64 s[0:1], 0, v49
	s_xor_b64 s[48:49], vcc, s[0:1]
	s_add_u32 s0, s46, 1
	s_addc_u32 s1, s47, 0
	s_andn2_b64 s[44:45], s[44:45], exec
	s_and_b64 s[48:49], s[48:49], exec
	s_or_b64 s[44:45], s[44:45], s[48:49]
.LBB1100_131:                           ;   in Loop: Header=BB1100_132 Depth=1
	s_and_b64 s[48:49], exec, s[44:45]
	s_or_b64 s[42:43], s[48:49], s[42:43]
	v_mov_b64_e32 v[36:37], s[46:47]
	s_mov_b64 s[46:47], s[0:1]
	s_andn2_b64 exec, exec, s[42:43]
	s_cbranch_execz .LBB1100_134
.LBB1100_132:                           ; =>This Inner Loop Header: Depth=1
	s_or_b64 s[44:45], s[44:45], exec
	s_cmp_eq_u64 s[26:27], s[46:47]
	s_cbranch_scc0 .LBB1100_130
; %bb.133:                              ;   in Loop: Header=BB1100_132 Depth=1
                                        ; implicit-def: $sgpr0_sgpr1
	s_mov_b64 s[46:47], s[26:27]
	s_branch .LBB1100_131
.LBB1100_134:
	s_or_b64 exec, exec, s[42:43]
	v_cmp_gt_i64_e32 vcc, s[26:27], v[36:37]
	s_orn2_b64 s[42:43], vcc, exec
.LBB1100_135:
	s_or_b64 exec, exec, s[12:13]
	s_and_b64 s[12:13], s[42:43], exec
.LBB1100_136:
	s_or_b64 exec, exec, s[40:41]
	v_cmp_gt_u32_e32 vcc, s54, v44
	s_and_b64 s[0:1], vcc, s[10:11]
	s_and_saveexec_b64 s[40:41], s[0:1]
	s_cbranch_execz .LBB1100_145
; %bb.137:
	v_mov_b64_e32 v[34:35], s[36:37]
	v_mad_u64_u32 v[32:33], s[0:1], v18, s26, v[34:35]
	s_waitcnt lgkmcnt(0)
	v_mul_lo_u32 v36, v18, s27
	v_mul_lo_u32 v37, v19, s26
	v_add3_u32 v33, v37, v33, v36
	v_mad_u64_u32 v[34:35], s[0:1], v20, s26, v[34:35]
	v_mul_lo_u32 v36, v20, s27
	v_mul_lo_u32 v37, v21, s26
	v_add3_u32 v35, v37, v35, v36
	global_load_ubyte v36, v[32:33], off
	global_load_ubyte v37, v[34:35], off
	s_waitcnt vmcnt(1)
	v_cmp_ne_u16_e32 vcc, 0, v36
	s_waitcnt vmcnt(0)
	v_cmp_ne_u16_e64 s[0:1], 0, v37
	s_xor_b64 s[14:15], vcc, s[0:1]
	s_mov_b64 s[0:1], -1
	s_xor_b64 s[42:43], s[14:15], -1
	s_and_saveexec_b64 s[14:15], s[42:43]
	s_cbranch_execz .LBB1100_144
; %bb.138:
	s_mov_b64 s[46:47], 1
	s_mov_b64 s[42:43], 0
                                        ; implicit-def: $sgpr44_sgpr45
	s_branch .LBB1100_141
.LBB1100_139:                           ;   in Loop: Header=BB1100_141 Depth=1
	v_lshl_add_u64 v[36:37], v[32:33], 0, s[46:47]
	v_lshl_add_u64 v[38:39], v[34:35], 0, s[46:47]
	global_load_ubyte v48, v[36:37], off
	global_load_ubyte v49, v[38:39], off
	s_waitcnt vmcnt(1)
	v_cmp_ne_u16_e32 vcc, 0, v48
	s_waitcnt vmcnt(0)
	v_cmp_ne_u16_e64 s[0:1], 0, v49
	s_xor_b64 s[48:49], vcc, s[0:1]
	s_add_u32 s0, s46, 1
	s_addc_u32 s1, s47, 0
	s_andn2_b64 s[44:45], s[44:45], exec
	s_and_b64 s[48:49], s[48:49], exec
	s_or_b64 s[44:45], s[44:45], s[48:49]
.LBB1100_140:                           ;   in Loop: Header=BB1100_141 Depth=1
	s_and_b64 s[48:49], exec, s[44:45]
	s_or_b64 s[42:43], s[48:49], s[42:43]
	v_mov_b64_e32 v[36:37], s[46:47]
	s_mov_b64 s[46:47], s[0:1]
	s_andn2_b64 exec, exec, s[42:43]
	s_cbranch_execz .LBB1100_143
.LBB1100_141:                           ; =>This Inner Loop Header: Depth=1
	s_or_b64 s[44:45], s[44:45], exec
	s_cmp_eq_u64 s[26:27], s[46:47]
	s_cbranch_scc0 .LBB1100_139
; %bb.142:                              ;   in Loop: Header=BB1100_141 Depth=1
                                        ; implicit-def: $sgpr0_sgpr1
	s_mov_b64 s[46:47], s[26:27]
	s_branch .LBB1100_140
.LBB1100_143:
	s_or_b64 exec, exec, s[42:43]
	v_cmp_gt_i64_e32 vcc, s[26:27], v[36:37]
	s_orn2_b64 s[0:1], vcc, exec
.LBB1100_144:
	s_or_b64 exec, exec, s[14:15]
	s_and_b64 s[14:15], s[0:1], exec
.LBB1100_145:
	s_or_b64 exec, exec, s[40:41]
	v_cmp_gt_u32_e32 vcc, s54, v40
	s_mov_b64 s[46:47], -1
	s_and_b64 s[0:1], vcc, s[10:11]
	s_mov_b64 s[40:41], 0
	s_mov_b64 s[42:43], 0
	s_and_saveexec_b64 s[44:45], s[0:1]
	s_cbranch_execz .LBB1100_154
; %bb.146:
	v_mov_b64_e32 v[34:35], s[36:37]
	v_mad_u64_u32 v[32:33], s[0:1], v24, s26, v[34:35]
	s_waitcnt lgkmcnt(0)
	v_mul_lo_u32 v36, v24, s27
	v_mul_lo_u32 v37, v25, s26
	v_add3_u32 v33, v37, v33, v36
	v_mad_u64_u32 v[34:35], s[0:1], v18, s26, v[34:35]
	v_mul_lo_u32 v36, v18, s27
	v_mul_lo_u32 v37, v19, s26
	v_add3_u32 v35, v37, v35, v36
	global_load_ubyte v36, v[32:33], off
	global_load_ubyte v37, v[34:35], off
	s_waitcnt vmcnt(1)
	v_cmp_ne_u16_e32 vcc, 0, v36
	s_waitcnt vmcnt(0)
	v_cmp_ne_u16_e64 s[0:1], 0, v37
	s_xor_b64 s[0:1], vcc, s[0:1]
	s_xor_b64 s[0:1], s[0:1], -1
	s_and_saveexec_b64 s[42:43], s[0:1]
	s_cbranch_execz .LBB1100_153
; %bb.147:
	s_mov_b64 s[50:51], 1
	s_mov_b64 s[46:47], 0
                                        ; implicit-def: $sgpr48_sgpr49
	s_branch .LBB1100_150
.LBB1100_148:                           ;   in Loop: Header=BB1100_150 Depth=1
	v_lshl_add_u64 v[36:37], v[32:33], 0, s[50:51]
	v_lshl_add_u64 v[38:39], v[34:35], 0, s[50:51]
	global_load_ubyte v36, v[36:37], off
	s_nop 0
	global_load_ubyte v37, v[38:39], off
	s_waitcnt vmcnt(1)
	v_cmp_ne_u16_e32 vcc, 0, v36
	s_waitcnt vmcnt(0)
	v_cmp_ne_u16_e64 s[0:1], 0, v37
	s_xor_b64 s[52:53], vcc, s[0:1]
	s_add_u32 s0, s50, 1
	s_addc_u32 s1, s51, 0
	s_andn2_b64 s[48:49], s[48:49], exec
	s_and_b64 s[52:53], s[52:53], exec
	s_or_b64 s[48:49], s[48:49], s[52:53]
.LBB1100_149:                           ;   in Loop: Header=BB1100_150 Depth=1
	s_and_b64 s[52:53], exec, s[48:49]
	s_or_b64 s[46:47], s[52:53], s[46:47]
	v_mov_b64_e32 v[36:37], s[50:51]
	s_mov_b64 s[50:51], s[0:1]
	s_andn2_b64 exec, exec, s[46:47]
	s_cbranch_execz .LBB1100_152
.LBB1100_150:                           ; =>This Inner Loop Header: Depth=1
	s_or_b64 s[48:49], s[48:49], exec
	s_cmp_eq_u64 s[26:27], s[50:51]
	s_cbranch_scc0 .LBB1100_148
; %bb.151:                              ;   in Loop: Header=BB1100_150 Depth=1
                                        ; implicit-def: $sgpr0_sgpr1
	s_mov_b64 s[50:51], s[26:27]
	s_branch .LBB1100_149
.LBB1100_152:
	s_or_b64 exec, exec, s[46:47]
	v_cmp_gt_i64_e32 vcc, s[26:27], v[36:37]
	s_orn2_b64 s[46:47], vcc, exec
.LBB1100_153:
	s_or_b64 exec, exec, s[42:43]
	s_and_b64 s[42:43], s[46:47], exec
.LBB1100_154:
	s_or_b64 exec, exec, s[44:45]
	v_cmp_gt_u32_e32 vcc, s54, v43
	s_and_b64 s[0:1], vcc, s[10:11]
	s_and_saveexec_b64 s[44:45], s[0:1]
	s_cbranch_execz .LBB1100_163
; %bb.155:
	v_mov_b64_e32 v[34:35], s[36:37]
	v_mad_u64_u32 v[32:33], s[0:1], v22, s26, v[34:35]
	s_waitcnt lgkmcnt(0)
	v_mul_lo_u32 v36, v22, s27
	v_mul_lo_u32 v37, v23, s26
	v_add3_u32 v33, v37, v33, v36
	v_mad_u64_u32 v[34:35], s[0:1], v24, s26, v[34:35]
	v_mul_lo_u32 v36, v24, s27
	v_mul_lo_u32 v37, v25, s26
	v_add3_u32 v35, v37, v35, v36
	global_load_ubyte v36, v[32:33], off
	global_load_ubyte v37, v[34:35], off
	s_waitcnt vmcnt(1)
	v_cmp_ne_u16_e32 vcc, 0, v36
	s_waitcnt vmcnt(0)
	v_cmp_ne_u16_e64 s[0:1], 0, v37
	s_xor_b64 s[40:41], vcc, s[0:1]
	s_mov_b64 s[0:1], -1
	s_xor_b64 s[46:47], s[40:41], -1
	s_and_saveexec_b64 s[40:41], s[46:47]
	s_cbranch_execz .LBB1100_162
; %bb.156:
	s_mov_b64 s[50:51], 1
	s_mov_b64 s[46:47], 0
                                        ; implicit-def: $sgpr48_sgpr49
	s_branch .LBB1100_159
.LBB1100_157:                           ;   in Loop: Header=BB1100_159 Depth=1
	v_lshl_add_u64 v[36:37], v[32:33], 0, s[50:51]
	v_lshl_add_u64 v[38:39], v[34:35], 0, s[50:51]
	global_load_ubyte v36, v[36:37], off
	s_nop 0
	global_load_ubyte v37, v[38:39], off
	s_waitcnt vmcnt(1)
	v_cmp_ne_u16_e32 vcc, 0, v36
	s_waitcnt vmcnt(0)
	v_cmp_ne_u16_e64 s[0:1], 0, v37
	s_xor_b64 s[52:53], vcc, s[0:1]
	s_add_u32 s0, s50, 1
	s_addc_u32 s1, s51, 0
	s_andn2_b64 s[48:49], s[48:49], exec
	s_and_b64 s[52:53], s[52:53], exec
	s_or_b64 s[48:49], s[48:49], s[52:53]
.LBB1100_158:                           ;   in Loop: Header=BB1100_159 Depth=1
	s_and_b64 s[52:53], exec, s[48:49]
	s_or_b64 s[46:47], s[52:53], s[46:47]
	v_mov_b64_e32 v[36:37], s[50:51]
	s_mov_b64 s[50:51], s[0:1]
	s_andn2_b64 exec, exec, s[46:47]
	s_cbranch_execz .LBB1100_161
.LBB1100_159:                           ; =>This Inner Loop Header: Depth=1
	s_or_b64 s[48:49], s[48:49], exec
	s_cmp_eq_u64 s[26:27], s[50:51]
	s_cbranch_scc0 .LBB1100_157
; %bb.160:                              ;   in Loop: Header=BB1100_159 Depth=1
                                        ; implicit-def: $sgpr0_sgpr1
	s_mov_b64 s[50:51], s[26:27]
	s_branch .LBB1100_158
.LBB1100_161:
	s_or_b64 exec, exec, s[46:47]
	v_cmp_gt_i64_e32 vcc, s[26:27], v[36:37]
	s_orn2_b64 s[0:1], vcc, exec
.LBB1100_162:
	s_or_b64 exec, exec, s[40:41]
	s_and_b64 s[40:41], s[0:1], exec
.LBB1100_163:
	s_or_b64 exec, exec, s[44:45]
	s_waitcnt lgkmcnt(0)
	s_barrier
	s_and_saveexec_b64 s[0:1], s[2:3]
	s_cbranch_execz .LBB1100_165
; %bb.164:
	s_waitcnt vmcnt(0)
	v_add_u32_e32 v30, -8, v47
	ds_read_b64 v[30:31], v30
.LBB1100_165:
	s_or_b64 exec, exec, s[0:1]
	v_cndmask_b32_e64 v33, 0, 1, s[14:15]
	v_cndmask_b32_e64 v32, 0, 1, s[42:43]
	;; [unrolled: 1-line block ×3, first 2 shown]
	v_cmp_gt_u32_e32 vcc, s54, v1
	v_lshlrev_b16_e32 v33, 8, v33
	s_mov_b64 s[40:41], -1
	s_and_b64 s[14:15], vcc, s[10:11]
	v_lshlrev_b16_e32 v36, 8, v34
	v_or_b32_sdwa v37, v32, v33 dst_sel:WORD_1 dst_unused:UNUSED_PAD src0_sel:DWORD src1_sel:DWORD
	s_mov_b64 s[0:1], 0
	s_and_saveexec_b64 s[10:11], s[14:15]
	s_cbranch_execz .LBB1100_174
; %bb.166:
	v_mov_b64_e32 v[34:35], s[36:37]
	s_waitcnt vmcnt(0) lgkmcnt(0)
	v_mad_u64_u32 v[32:33], s[0:1], v30, s26, v[34:35]
	v_mul_lo_u32 v30, v30, s27
	v_mul_lo_u32 v31, v31, s26
	v_add3_u32 v33, v31, v33, v30
	v_mad_u64_u32 v[30:31], s[0:1], v22, s26, v[34:35]
	v_mul_lo_u32 v34, v22, s27
	v_mul_lo_u32 v35, v23, s26
	v_add3_u32 v31, v35, v31, v34
	global_load_ubyte v34, v[32:33], off
	global_load_ubyte v35, v[30:31], off
	s_waitcnt vmcnt(1)
	v_cmp_ne_u16_e32 vcc, 0, v34
	s_waitcnt vmcnt(0)
	v_cmp_ne_u16_e64 s[0:1], 0, v35
	s_xor_b64 s[0:1], vcc, s[0:1]
	s_xor_b64 s[0:1], s[0:1], -1
	s_and_saveexec_b64 s[14:15], s[0:1]
	s_cbranch_execz .LBB1100_173
; %bb.167:
	s_mov_b64 s[44:45], 1
	s_mov_b64 s[40:41], 0
                                        ; implicit-def: $sgpr42_sgpr43
	s_branch .LBB1100_170
.LBB1100_168:                           ;   in Loop: Header=BB1100_170 Depth=1
	v_lshl_add_u64 v[34:35], v[32:33], 0, s[44:45]
	v_lshl_add_u64 v[38:39], v[30:31], 0, s[44:45]
	global_load_ubyte v47, v[34:35], off
	global_load_ubyte v48, v[38:39], off
	s_waitcnt vmcnt(1)
	v_cmp_ne_u16_e32 vcc, 0, v47
	s_waitcnt vmcnt(0)
	v_cmp_ne_u16_e64 s[0:1], 0, v48
	s_xor_b64 s[46:47], vcc, s[0:1]
	s_add_u32 s0, s44, 1
	s_addc_u32 s1, s45, 0
	s_andn2_b64 s[42:43], s[42:43], exec
	s_and_b64 s[46:47], s[46:47], exec
	s_or_b64 s[42:43], s[42:43], s[46:47]
.LBB1100_169:                           ;   in Loop: Header=BB1100_170 Depth=1
	s_and_b64 s[46:47], exec, s[42:43]
	s_or_b64 s[40:41], s[46:47], s[40:41]
	v_mov_b64_e32 v[34:35], s[44:45]
	s_mov_b64 s[44:45], s[0:1]
	s_andn2_b64 exec, exec, s[40:41]
	s_cbranch_execz .LBB1100_172
.LBB1100_170:                           ; =>This Inner Loop Header: Depth=1
	s_or_b64 s[42:43], s[42:43], exec
	s_cmp_eq_u64 s[26:27], s[44:45]
	s_cbranch_scc0 .LBB1100_168
; %bb.171:                              ;   in Loop: Header=BB1100_170 Depth=1
                                        ; implicit-def: $sgpr0_sgpr1
	s_mov_b64 s[44:45], s[26:27]
	s_branch .LBB1100_169
.LBB1100_172:
	s_or_b64 exec, exec, s[40:41]
	v_cmp_gt_i64_e32 vcc, s[26:27], v[34:35]
	s_orn2_b64 s[40:41], vcc, exec
.LBB1100_173:
	s_or_b64 exec, exec, s[14:15]
	s_and_b64 s[0:1], s[40:41], exec
.LBB1100_174:
	s_or_b64 exec, exec, s[10:11]
	v_cndmask_b32_e64 v33, 0, 1, s[12:13]
	v_cndmask_b32_e64 v32, 0, 1, s[6:7]
	;; [unrolled: 1-line block ×3, first 2 shown]
	v_or_b32_e32 v34, v36, v37
.LBB1100_175:
	s_mov_b64 s[10:11], -1
	s_cbranch_execnz .LBB1100_50
.LBB1100_176:
	s_movk_i32 s0, 0xffd0
	v_mad_i32_i24 v38, v0, s0, v46
	v_cmp_lt_i64_e64 s[12:13], s[26:27], 1
	s_mov_b64 s[0:1], 0
	v_cmp_gt_i64_e64 s[6:7], s[26:27], 0
	s_and_b64 vcc, exec, s[34:35]
	ds_write_b64 v38, v[28:29]
	s_cbranch_vccz .LBB1100_184
; %bb.177:
	s_waitcnt vmcnt(0) lgkmcnt(1)
	v_cndmask_b32_e64 v30, 0, 1, s[6:7]
	v_cmp_ne_u32_e64 s[4:5], 1, v30
	s_andn2_b64 vcc, exec, s[6:7]
	s_cbranch_vccnz .LBB1100_185
; %bb.178:
	v_mov_b64_e32 v[32:33], s[36:37]
	v_mad_u64_u32 v[30:31], s[0:1], v16, s26, v[32:33]
	v_mul_lo_u32 v34, v16, s27
	v_mul_lo_u32 v35, v17, s26
	v_add3_u32 v31, v35, v31, v34
	v_mad_u64_u32 v[32:33], s[0:1], v28, s26, v[32:33]
	v_mul_lo_u32 v34, v28, s27
	v_mul_lo_u32 v35, v29, s26
	v_add3_u32 v33, v35, v33, v34
	global_load_ubyte v34, v[30:31], off
	global_load_ubyte v35, v[32:33], off
	s_mov_b64 s[6:7], -1
	s_waitcnt vmcnt(1)
	v_cmp_ne_u16_e32 vcc, 0, v34
	s_waitcnt vmcnt(0)
	v_cmp_ne_u16_e64 s[0:1], 0, v35
	s_xor_b64 s[0:1], vcc, s[0:1]
	s_xor_b64 s[0:1], s[0:1], -1
	s_and_saveexec_b64 s[14:15], s[0:1]
	s_cbranch_execz .LBB1100_187
; %bb.179:
	s_mov_b64 s[44:45], 1
	s_mov_b64 s[40:41], 0
                                        ; implicit-def: $sgpr42_sgpr43
	s_branch .LBB1100_182
.LBB1100_180:                           ;   in Loop: Header=BB1100_182 Depth=1
	v_lshl_add_u64 v[34:35], v[30:31], 0, s[44:45]
	v_lshl_add_u64 v[36:37], v[32:33], 0, s[44:45]
	global_load_ubyte v39, v[34:35], off
	global_load_ubyte v46, v[36:37], off
	s_waitcnt vmcnt(1)
	v_cmp_ne_u16_e64 s[0:1], 0, v39
	s_waitcnt vmcnt(0)
	v_cmp_ne_u16_e64 s[6:7], 0, v46
	s_xor_b64 s[6:7], s[0:1], s[6:7]
	s_add_u32 s0, s44, 1
	s_addc_u32 s1, s45, 0
	s_andn2_b64 s[42:43], s[42:43], exec
	s_and_b64 s[6:7], s[6:7], exec
	s_or_b64 s[42:43], s[42:43], s[6:7]
.LBB1100_181:                           ;   in Loop: Header=BB1100_182 Depth=1
	s_and_b64 s[6:7], exec, s[42:43]
	s_or_b64 s[40:41], s[6:7], s[40:41]
	v_mov_b64_e32 v[34:35], s[44:45]
	s_mov_b64 s[44:45], s[0:1]
	s_andn2_b64 exec, exec, s[40:41]
	s_cbranch_execz .LBB1100_186
.LBB1100_182:                           ; =>This Inner Loop Header: Depth=1
	s_or_b64 s[42:43], s[42:43], exec
	s_cmp_eq_u64 s[26:27], s[44:45]
	s_cbranch_scc0 .LBB1100_180
; %bb.183:                              ;   in Loop: Header=BB1100_182 Depth=1
                                        ; implicit-def: $sgpr0_sgpr1
	s_mov_b64 s[44:45], s[26:27]
	s_branch .LBB1100_181
.LBB1100_184:
                                        ; implicit-def: $sgpr0_sgpr1
                                        ; implicit-def: $vgpr48
                                        ; implicit-def: $vgpr32
                                        ; implicit-def: $vgpr33
                                        ; implicit-def: $vgpr34
                                        ; implicit-def: $vgpr30_vgpr31
	s_cbranch_execnz .LBB1100_243
	s_branch .LBB1100_309
.LBB1100_185:
	v_mov_b32_e32 v30, 0
	s_branch .LBB1100_195
.LBB1100_186:
	s_or_b64 exec, exec, s[40:41]
	v_cmp_gt_i64_e64 s[0:1], s[26:27], v[34:35]
	s_orn2_b64 s[6:7], s[0:1], exec
.LBB1100_187:
	s_or_b64 exec, exec, s[14:15]
	v_mov_b64_e32 v[32:33], s[36:37]
	v_mad_u64_u32 v[32:33], s[0:1], v14, s26, v[32:33]
	v_mul_lo_u32 v34, v14, s27
	v_mul_lo_u32 v35, v15, s26
	v_add3_u32 v33, v35, v33, v34
	global_load_ubyte v34, v[32:33], off
	s_waitcnt vmcnt(0)
	v_cmp_ne_u16_e64 s[0:1], 0, v34
	s_xor_b64 s[14:15], vcc, s[0:1]
	s_mov_b64 s[0:1], -1
	s_xor_b64 s[40:41], s[14:15], -1
	s_and_saveexec_b64 s[14:15], s[40:41]
	s_cbranch_execz .LBB1100_194
; %bb.188:
	s_mov_b64 s[44:45], 1
	s_mov_b64 s[40:41], 0
                                        ; implicit-def: $sgpr42_sgpr43
	s_branch .LBB1100_191
.LBB1100_189:                           ;   in Loop: Header=BB1100_191 Depth=1
	v_lshl_add_u64 v[34:35], v[32:33], 0, s[44:45]
	v_lshl_add_u64 v[36:37], v[30:31], 0, s[44:45]
	global_load_ubyte v39, v[34:35], off
	global_load_ubyte v46, v[36:37], off
	s_waitcnt vmcnt(1)
	v_cmp_ne_u16_e32 vcc, 0, v39
	s_waitcnt vmcnt(0)
	v_cmp_ne_u16_e64 s[0:1], 0, v46
	s_xor_b64 s[46:47], vcc, s[0:1]
	s_add_u32 s0, s44, 1
	s_addc_u32 s1, s45, 0
	s_andn2_b64 s[42:43], s[42:43], exec
	s_and_b64 s[46:47], s[46:47], exec
	s_or_b64 s[42:43], s[42:43], s[46:47]
.LBB1100_190:                           ;   in Loop: Header=BB1100_191 Depth=1
	s_and_b64 s[46:47], exec, s[42:43]
	s_or_b64 s[40:41], s[46:47], s[40:41]
	v_mov_b64_e32 v[34:35], s[44:45]
	s_mov_b64 s[44:45], s[0:1]
	s_andn2_b64 exec, exec, s[40:41]
	s_cbranch_execz .LBB1100_193
.LBB1100_191:                           ; =>This Inner Loop Header: Depth=1
	s_or_b64 s[42:43], s[42:43], exec
	s_cmp_eq_u64 s[26:27], s[44:45]
	s_cbranch_scc0 .LBB1100_189
; %bb.192:                              ;   in Loop: Header=BB1100_191 Depth=1
                                        ; implicit-def: $sgpr0_sgpr1
	s_mov_b64 s[44:45], s[26:27]
	s_branch .LBB1100_190
.LBB1100_193:
	s_or_b64 exec, exec, s[40:41]
	v_cmp_gt_i64_e32 vcc, s[26:27], v[34:35]
	s_orn2_b64 s[0:1], vcc, exec
.LBB1100_194:
	s_or_b64 exec, exec, s[14:15]
	v_cndmask_b32_e64 v30, 0, 1, s[6:7]
.LBB1100_195:
	v_lshlrev_b16_e32 v31, 8, v0
	v_lshlrev_b16_e32 v32, 8, v0
	v_mov_b32_e32 v34, 8
	v_lshrrev_b32_sdwa v32, v34, v32 dst_sel:BYTE_1 dst_unused:UNUSED_PAD src0_sel:DWORD src1_sel:DWORD
	v_lshrrev_b32_sdwa v31, v34, v31 dst_sel:BYTE_1 dst_unused:UNUSED_PAD src0_sel:DWORD src1_sel:DWORD
	v_cndmask_b32_e64 v33, 0, 1, s[0:1]
	v_or_b32_sdwa v32, v0, v32 dst_sel:DWORD dst_unused:UNUSED_PAD src0_sel:BYTE_0 src1_sel:DWORD
	v_or_b32_sdwa v31, v0, v31 dst_sel:WORD_1 dst_unused:UNUSED_PAD src0_sel:BYTE_0 src1_sel:DWORD
	v_lshlrev_b32_e32 v30, 16, v30
	v_or_b32_sdwa v39, v32, v31 dst_sel:DWORD dst_unused:UNUSED_PAD src0_sel:WORD_0 src1_sel:DWORD
	v_lshlrev_b16_e32 v31, 8, v33
	s_and_b64 vcc, exec, s[4:5]
	v_or_b32_e32 v46, v31, v30
	s_cbranch_vccnz .LBB1100_202
; %bb.196:
	v_mov_b64_e32 v[32:33], s[36:37]
	v_mad_u64_u32 v[30:31], s[0:1], v20, s26, v[32:33]
	v_mul_lo_u32 v34, v20, s27
	v_mul_lo_u32 v35, v21, s26
	v_add3_u32 v31, v35, v31, v34
	v_mad_u64_u32 v[32:33], s[0:1], v14, s26, v[32:33]
	v_mul_lo_u32 v34, v14, s27
	v_mul_lo_u32 v35, v15, s26
	v_add3_u32 v33, v35, v33, v34
	global_load_ubyte v34, v[30:31], off
	global_load_ubyte v35, v[32:33], off
	s_waitcnt vmcnt(1)
	v_cmp_ne_u16_e32 vcc, 0, v34
	s_waitcnt vmcnt(0)
	v_cmp_ne_u16_e64 s[0:1], 0, v35
	s_xor_b64 s[6:7], vcc, s[0:1]
	s_mov_b64 s[0:1], -1
	s_xor_b64 s[6:7], s[6:7], -1
	s_and_saveexec_b64 s[14:15], s[6:7]
	s_cbranch_execz .LBB1100_204
; %bb.197:
	s_mov_b64 s[44:45], 1
	s_mov_b64 s[40:41], 0
                                        ; implicit-def: $sgpr42_sgpr43
	s_branch .LBB1100_200
.LBB1100_198:                           ;   in Loop: Header=BB1100_200 Depth=1
	v_lshl_add_u64 v[34:35], v[30:31], 0, s[44:45]
	v_lshl_add_u64 v[36:37], v[32:33], 0, s[44:45]
	global_load_ubyte v47, v[34:35], off
	global_load_ubyte v48, v[36:37], off
	s_waitcnt vmcnt(1)
	v_cmp_ne_u16_e64 s[0:1], 0, v47
	s_waitcnt vmcnt(0)
	v_cmp_ne_u16_e64 s[6:7], 0, v48
	s_xor_b64 s[6:7], s[0:1], s[6:7]
	s_add_u32 s0, s44, 1
	s_addc_u32 s1, s45, 0
	s_andn2_b64 s[42:43], s[42:43], exec
	s_and_b64 s[6:7], s[6:7], exec
	s_or_b64 s[42:43], s[42:43], s[6:7]
.LBB1100_199:                           ;   in Loop: Header=BB1100_200 Depth=1
	s_and_b64 s[6:7], exec, s[42:43]
	s_or_b64 s[40:41], s[6:7], s[40:41]
	v_mov_b64_e32 v[34:35], s[44:45]
	s_mov_b64 s[44:45], s[0:1]
	s_andn2_b64 exec, exec, s[40:41]
	s_cbranch_execz .LBB1100_203
.LBB1100_200:                           ; =>This Inner Loop Header: Depth=1
	s_or_b64 s[42:43], s[42:43], exec
	s_cmp_eq_u64 s[26:27], s[44:45]
	s_cbranch_scc0 .LBB1100_198
; %bb.201:                              ;   in Loop: Header=BB1100_200 Depth=1
                                        ; implicit-def: $sgpr0_sgpr1
	s_mov_b64 s[44:45], s[26:27]
	s_branch .LBB1100_199
.LBB1100_202:
                                        ; implicit-def: $sgpr0_sgpr1
                                        ; implicit-def: $vgpr32_vgpr33
	s_cbranch_execnz .LBB1100_212
	s_branch .LBB1100_213
.LBB1100_203:
	s_or_b64 exec, exec, s[40:41]
	v_cmp_gt_i64_e64 s[0:1], s[26:27], v[34:35]
	s_orn2_b64 s[0:1], s[0:1], exec
.LBB1100_204:
	s_or_b64 exec, exec, s[14:15]
	v_mov_b64_e32 v[32:33], s[36:37]
	v_mad_u64_u32 v[34:35], s[6:7], v18, s26, v[32:33]
	v_mul_lo_u32 v32, v18, s27
	v_mul_lo_u32 v33, v19, s26
	v_add3_u32 v35, v33, v35, v32
	global_load_ubyte v36, v[34:35], off
	v_mov_b32_e32 v32, 8
	v_cndmask_b32_e64 v33, 0, 1, s[0:1]
	s_mov_b32 s0, 0x3020104
	v_lshrrev_b32_sdwa v47, v32, v46 dst_sel:BYTE_1 dst_unused:UNUSED_PAD src0_sel:DWORD src1_sel:DWORD
	v_perm_b32 v32, v39, v39, s0
	v_or_b32_e32 v33, v33, v47
	v_bfe_u32 v37, v46, 16, 8
	v_and_b32_e32 v33, 0xffff, v33
	v_lshl_or_b32 v33, v37, 16, v33
	s_waitcnt vmcnt(0)
	v_cmp_ne_u16_e64 s[0:1], 0, v36
	s_xor_b64 s[6:7], vcc, s[0:1]
	s_mov_b64 s[0:1], -1
	s_xor_b64 s[14:15], s[6:7], -1
	s_and_saveexec_b64 s[6:7], s[14:15]
	s_cbranch_execz .LBB1100_211
; %bb.205:
	s_mov_b64 s[42:43], 1
	s_mov_b64 s[14:15], 0
                                        ; implicit-def: $sgpr40_sgpr41
	s_branch .LBB1100_208
.LBB1100_206:                           ;   in Loop: Header=BB1100_208 Depth=1
	v_lshl_add_u64 v[36:37], v[34:35], 0, s[42:43]
	v_lshl_add_u64 v[48:49], v[30:31], 0, s[42:43]
	global_load_ubyte v47, v[36:37], off
	global_load_ubyte v50, v[48:49], off
	s_waitcnt vmcnt(1)
	v_cmp_ne_u16_e32 vcc, 0, v47
	s_waitcnt vmcnt(0)
	v_cmp_ne_u16_e64 s[0:1], 0, v50
	s_xor_b64 s[44:45], vcc, s[0:1]
	s_add_u32 s0, s42, 1
	s_addc_u32 s1, s43, 0
	s_andn2_b64 s[40:41], s[40:41], exec
	s_and_b64 s[44:45], s[44:45], exec
	s_or_b64 s[40:41], s[40:41], s[44:45]
.LBB1100_207:                           ;   in Loop: Header=BB1100_208 Depth=1
	s_and_b64 s[44:45], exec, s[40:41]
	s_or_b64 s[14:15], s[44:45], s[14:15]
	v_mov_b64_e32 v[36:37], s[42:43]
	s_mov_b64 s[42:43], s[0:1]
	s_andn2_b64 exec, exec, s[14:15]
	s_cbranch_execz .LBB1100_210
.LBB1100_208:                           ; =>This Inner Loop Header: Depth=1
	s_or_b64 s[40:41], s[40:41], exec
	s_cmp_eq_u64 s[26:27], s[42:43]
	s_cbranch_scc0 .LBB1100_206
; %bb.209:                              ;   in Loop: Header=BB1100_208 Depth=1
                                        ; implicit-def: $sgpr0_sgpr1
	s_mov_b64 s[42:43], s[26:27]
	s_branch .LBB1100_207
.LBB1100_210:
	s_or_b64 exec, exec, s[14:15]
	v_cmp_gt_i64_e32 vcc, s[26:27], v[36:37]
	s_orn2_b64 s[0:1], vcc, exec
.LBB1100_211:
	s_or_b64 exec, exec, s[6:7]
	s_branch .LBB1100_213
.LBB1100_212:
	v_mov_b32_e32 v30, 8
	v_lshrrev_b32_sdwa v30, v30, v46 dst_sel:BYTE_1 dst_unused:UNUSED_PAD src0_sel:DWORD src1_sel:DWORD
	v_bfe_u32 v31, v46, 16, 8
	s_mov_b32 s6, 0x3020104
	v_lshl_or_b32 v33, v31, 16, v30
	v_perm_b32 v32, v39, v39, s6
	s_andn2_b64 s[0:1], s[0:1], exec
.LBB1100_213:
	v_mov_b32_e32 v31, 8
	v_cndmask_b32_e64 v30, 0, 1, s[0:1]
	s_movk_i32 s0, 0xff
	v_lshrrev_b32_sdwa v34, v31, v32 dst_sel:BYTE_1 dst_unused:UNUSED_PAD src0_sel:DWORD src1_sel:DWORD
	v_lshlrev_b16_e32 v30, 8, v30
	v_or_b32_sdwa v34, v32, v34 dst_sel:DWORD dst_unused:UNUSED_PAD src0_sel:BYTE_0 src1_sel:DWORD
	v_and_b32_sdwa v32, v32, s0 dst_sel:DWORD dst_unused:UNUSED_PAD src0_sel:WORD_1 src1_sel:DWORD
	v_or_b32_sdwa v30, v32, v30 dst_sel:WORD_1 dst_unused:UNUSED_PAD src0_sel:DWORD src1_sel:DWORD
	s_and_b64 vcc, exec, s[4:5]
	v_or_b32_sdwa v39, v34, v30 dst_sel:DWORD dst_unused:UNUSED_PAD src0_sel:WORD_0 src1_sel:DWORD
	v_lshrrev_b32_sdwa v30, v31, v33 dst_sel:BYTE_1 dst_unused:UNUSED_PAD src0_sel:DWORD src1_sel:DWORD
	v_bfe_u32 v31, v33, 16, 8
	v_or_b32_sdwa v30, v33, v30 dst_sel:DWORD dst_unused:UNUSED_PAD src0_sel:BYTE_0 src1_sel:DWORD
	v_and_b32_e32 v30, 0xffff, v30
	v_lshl_or_b32 v46, v31, 16, v30
	s_cbranch_vccnz .LBB1100_220
; %bb.214:
	v_mov_b64_e32 v[32:33], s[36:37]
	v_mad_u64_u32 v[30:31], s[0:1], v24, s26, v[32:33]
	v_mul_lo_u32 v34, v24, s27
	v_mul_lo_u32 v35, v25, s26
	v_add3_u32 v31, v35, v31, v34
	v_mad_u64_u32 v[32:33], s[0:1], v18, s26, v[32:33]
	v_mul_lo_u32 v34, v18, s27
	v_mul_lo_u32 v35, v19, s26
	v_add3_u32 v33, v35, v33, v34
	global_load_ubyte v34, v[30:31], off
	global_load_ubyte v35, v[32:33], off
	s_waitcnt vmcnt(1)
	v_cmp_ne_u16_e32 vcc, 0, v34
	s_waitcnt vmcnt(0)
	v_cmp_ne_u16_e64 s[0:1], 0, v35
	s_xor_b64 s[6:7], vcc, s[0:1]
	s_mov_b64 s[0:1], -1
	s_xor_b64 s[6:7], s[6:7], -1
	s_and_saveexec_b64 s[14:15], s[6:7]
	s_cbranch_execz .LBB1100_222
; %bb.215:
	s_mov_b64 s[44:45], 1
	s_mov_b64 s[40:41], 0
                                        ; implicit-def: $sgpr42_sgpr43
	s_branch .LBB1100_218
.LBB1100_216:                           ;   in Loop: Header=BB1100_218 Depth=1
	v_lshl_add_u64 v[34:35], v[30:31], 0, s[44:45]
	v_lshl_add_u64 v[36:37], v[32:33], 0, s[44:45]
	global_load_ubyte v47, v[34:35], off
	global_load_ubyte v48, v[36:37], off
	s_waitcnt vmcnt(1)
	v_cmp_ne_u16_e64 s[0:1], 0, v47
	s_waitcnt vmcnt(0)
	v_cmp_ne_u16_e64 s[6:7], 0, v48
	s_xor_b64 s[6:7], s[0:1], s[6:7]
	s_add_u32 s0, s44, 1
	s_addc_u32 s1, s45, 0
	s_andn2_b64 s[42:43], s[42:43], exec
	s_and_b64 s[6:7], s[6:7], exec
	s_or_b64 s[42:43], s[42:43], s[6:7]
.LBB1100_217:                           ;   in Loop: Header=BB1100_218 Depth=1
	s_and_b64 s[6:7], exec, s[42:43]
	s_or_b64 s[40:41], s[6:7], s[40:41]
	v_mov_b64_e32 v[34:35], s[44:45]
	s_mov_b64 s[44:45], s[0:1]
	s_andn2_b64 exec, exec, s[40:41]
	s_cbranch_execz .LBB1100_221
.LBB1100_218:                           ; =>This Inner Loop Header: Depth=1
	s_or_b64 s[42:43], s[42:43], exec
	s_cmp_eq_u64 s[26:27], s[44:45]
	s_cbranch_scc0 .LBB1100_216
; %bb.219:                              ;   in Loop: Header=BB1100_218 Depth=1
                                        ; implicit-def: $sgpr0_sgpr1
	s_mov_b64 s[44:45], s[26:27]
	s_branch .LBB1100_217
.LBB1100_220:
                                        ; implicit-def: $sgpr0_sgpr1
                                        ; implicit-def: $vgpr32_vgpr33
	s_cbranch_execnz .LBB1100_230
	s_branch .LBB1100_231
.LBB1100_221:
	s_or_b64 exec, exec, s[40:41]
	v_cmp_gt_i64_e64 s[0:1], s[26:27], v[34:35]
	s_orn2_b64 s[0:1], s[0:1], exec
.LBB1100_222:
	s_or_b64 exec, exec, s[14:15]
	v_mov_b64_e32 v[32:33], s[36:37]
	v_mad_u64_u32 v[34:35], s[6:7], v22, s26, v[32:33]
	v_mul_lo_u32 v32, v22, s27
	v_mul_lo_u32 v33, v23, s26
	v_add3_u32 v35, v33, v35, v32
	global_load_ubyte v36, v[34:35], off
	v_mov_b32_e32 v33, 8
	v_lshrrev_b32_e32 v47, 24, v39
	v_lshrrev_b32_sdwa v48, v33, v46 dst_sel:BYTE_1 dst_unused:UNUSED_PAD src0_sel:DWORD src1_sel:DWORD
	v_cndmask_b32_e64 v32, 0, 1, s[0:1]
	v_lshrrev_b32_sdwa v33, v33, v39 dst_sel:BYTE_1 dst_unused:UNUSED_PAD src0_sel:DWORD src1_sel:DWORD
	v_lshlrev_b16_e32 v47, 8, v47
	v_or_b32_sdwa v48, v46, v48 dst_sel:DWORD dst_unused:UNUSED_PAD src0_sel:BYTE_0 src1_sel:DWORD
	v_bfe_u32 v37, v46, 16, 8
	v_or_b32_sdwa v33, v39, v33 dst_sel:DWORD dst_unused:UNUSED_PAD src0_sel:BYTE_0 src1_sel:DWORD
	v_or_b32_sdwa v32, v32, v47 dst_sel:WORD_1 dst_unused:UNUSED_PAD src0_sel:DWORD src1_sel:DWORD
	v_and_b32_e32 v47, 0xffff, v48
	v_or_b32_sdwa v32, v33, v32 dst_sel:DWORD dst_unused:UNUSED_PAD src0_sel:WORD_0 src1_sel:DWORD
	v_lshl_or_b32 v33, v37, 16, v47
	s_waitcnt vmcnt(0)
	v_cmp_ne_u16_e64 s[0:1], 0, v36
	s_xor_b64 s[6:7], vcc, s[0:1]
	s_mov_b64 s[0:1], -1
	s_xor_b64 s[14:15], s[6:7], -1
	s_and_saveexec_b64 s[6:7], s[14:15]
	s_cbranch_execz .LBB1100_229
; %bb.223:
	s_mov_b64 s[42:43], 1
	s_mov_b64 s[14:15], 0
                                        ; implicit-def: $sgpr40_sgpr41
	s_branch .LBB1100_226
.LBB1100_224:                           ;   in Loop: Header=BB1100_226 Depth=1
	v_lshl_add_u64 v[36:37], v[34:35], 0, s[42:43]
	v_lshl_add_u64 v[48:49], v[30:31], 0, s[42:43]
	global_load_ubyte v47, v[36:37], off
	global_load_ubyte v50, v[48:49], off
	s_waitcnt vmcnt(1)
	v_cmp_ne_u16_e32 vcc, 0, v47
	s_waitcnt vmcnt(0)
	v_cmp_ne_u16_e64 s[0:1], 0, v50
	s_xor_b64 s[44:45], vcc, s[0:1]
	s_add_u32 s0, s42, 1
	s_addc_u32 s1, s43, 0
	s_andn2_b64 s[40:41], s[40:41], exec
	s_and_b64 s[44:45], s[44:45], exec
	s_or_b64 s[40:41], s[40:41], s[44:45]
.LBB1100_225:                           ;   in Loop: Header=BB1100_226 Depth=1
	s_and_b64 s[44:45], exec, s[40:41]
	s_or_b64 s[14:15], s[44:45], s[14:15]
	v_mov_b64_e32 v[36:37], s[42:43]
	s_mov_b64 s[42:43], s[0:1]
	s_andn2_b64 exec, exec, s[14:15]
	s_cbranch_execz .LBB1100_228
.LBB1100_226:                           ; =>This Inner Loop Header: Depth=1
	s_or_b64 s[40:41], s[40:41], exec
	s_cmp_eq_u64 s[26:27], s[42:43]
	s_cbranch_scc0 .LBB1100_224
; %bb.227:                              ;   in Loop: Header=BB1100_226 Depth=1
                                        ; implicit-def: $sgpr0_sgpr1
	s_mov_b64 s[42:43], s[26:27]
	s_branch .LBB1100_225
.LBB1100_228:
	s_or_b64 exec, exec, s[14:15]
	v_cmp_gt_i64_e32 vcc, s[26:27], v[36:37]
	s_orn2_b64 s[0:1], vcc, exec
.LBB1100_229:
	s_or_b64 exec, exec, s[6:7]
	s_branch .LBB1100_231
.LBB1100_230:
	v_mov_b32_e32 v30, 8
	v_lshrrev_b32_sdwa v31, v30, v46 dst_sel:BYTE_1 dst_unused:UNUSED_PAD src0_sel:DWORD src1_sel:DWORD
	v_lshrrev_b32_sdwa v30, v30, v39 dst_sel:BYTE_1 dst_unused:UNUSED_PAD src0_sel:DWORD src1_sel:DWORD
	v_or_b32_sdwa v31, v46, v31 dst_sel:DWORD dst_unused:UNUSED_PAD src0_sel:BYTE_0 src1_sel:DWORD
	v_or_b32_sdwa v30, v39, v30 dst_sel:DWORD dst_unused:UNUSED_PAD src0_sel:BYTE_0 src1_sel:DWORD
	v_and_b32_e32 v31, 0xffff, v31
	v_bfe_u32 v32, v46, 16, 8
	v_and_b32_e32 v30, 0xffff, v30
	s_mov_b32 s6, 0xff000000
	v_lshl_or_b32 v33, v32, 16, v31
	v_and_or_b32 v32, v39, s6, v30
	s_andn2_b64 s[0:1], s[0:1], exec
.LBB1100_231:
	v_mov_b32_e32 v31, 8
	v_lshrrev_b32_sdwa v31, v31, v33 dst_sel:BYTE_1 dst_unused:UNUSED_PAD src0_sel:DWORD src1_sel:DWORD
	v_cndmask_b32_e64 v30, 0, 1, s[0:1]
	v_or_b32_sdwa v31, v33, v31 dst_sel:DWORD dst_unused:UNUSED_PAD src0_sel:BYTE_0 src1_sel:DWORD
	v_and_b32_e32 v31, 0xffff, v31
	v_bfe_u32 v33, v33, 16, 8
	s_movk_i32 s0, 0xff
	v_lshl_or_b32 v31, v33, 16, v31
	v_lshrrev_b32_e32 v33, 24, v32
	v_lshlrev_b16_e32 v33, 8, v33
	v_and_b32_sdwa v32, v32, s0 dst_sel:DWORD dst_unused:UNUSED_PAD src0_sel:WORD_1 src1_sel:DWORD
	v_lshlrev_b16_e32 v30, 8, v30
	v_or_b32_sdwa v32, v32, v33 dst_sel:WORD_1 dst_unused:UNUSED_PAD src0_sel:DWORD src1_sel:DWORD
	v_or_b32_e32 v30, 1, v30
	v_or_b32_sdwa v30, v30, v32 dst_sel:DWORD dst_unused:UNUSED_PAD src0_sel:WORD_0 src1_sel:DWORD
	s_waitcnt lgkmcnt(0)
	s_barrier
	s_waitcnt lgkmcnt(0)
                                        ; implicit-def: $sgpr0_sgpr1
                                        ; implicit-def: $vgpr48
                                        ; implicit-def: $vgpr32
                                        ; implicit-def: $vgpr33
                                        ; implicit-def: $vgpr34
	s_and_saveexec_b64 s[6:7], s[2:3]
	s_xor_b64 s[6:7], exec, s[6:7]
	s_cbranch_execz .LBB1100_242
; %bb.232:
	s_mov_b32 s44, 0x3020104
	s_and_b64 vcc, exec, s[4:5]
	s_mov_b64 s[0:1], 0
	s_cbranch_vccnz .LBB1100_241
; %bb.233:
	v_add_u32_e32 v32, -8, v38
	ds_read_b64 v[32:33], v32
	v_mov_b64_e32 v[34:35], s[36:37]
	s_waitcnt lgkmcnt(0)
	v_mul_lo_u32 v36, v32, s27
	v_mul_lo_u32 v37, v33, s26
	v_mad_u64_u32 v[32:33], s[0:1], v32, s26, v[34:35]
	v_add3_u32 v33, v37, v33, v36
	v_mad_u64_u32 v[34:35], s[0:1], v22, s26, v[34:35]
	v_mul_lo_u32 v36, v22, s27
	v_mul_lo_u32 v37, v23, s26
	v_add3_u32 v35, v37, v35, v36
	global_load_ubyte v36, v[32:33], off
	global_load_ubyte v37, v[34:35], off
	s_waitcnt vmcnt(1)
	v_cmp_ne_u16_e32 vcc, 0, v36
	s_waitcnt vmcnt(0)
	v_cmp_ne_u16_e64 s[0:1], 0, v37
	s_xor_b64 s[4:5], vcc, s[0:1]
	s_mov_b64 s[0:1], -1
	s_xor_b64 s[14:15], s[4:5], -1
	s_and_saveexec_b64 s[4:5], s[14:15]
	s_cbranch_execz .LBB1100_240
; %bb.234:
	s_mov_b64 s[42:43], 1
	s_mov_b64 s[14:15], 0
                                        ; implicit-def: $sgpr40_sgpr41
	s_branch .LBB1100_237
.LBB1100_235:                           ;   in Loop: Header=BB1100_237 Depth=1
	v_lshl_add_u64 v[36:37], v[32:33], 0, s[42:43]
	v_lshl_add_u64 v[46:47], v[34:35], 0, s[42:43]
	global_load_ubyte v39, v[36:37], off
	global_load_ubyte v48, v[46:47], off
	s_waitcnt vmcnt(1)
	v_cmp_ne_u16_e32 vcc, 0, v39
	s_waitcnt vmcnt(0)
	v_cmp_ne_u16_e64 s[0:1], 0, v48
	s_xor_b64 s[46:47], vcc, s[0:1]
	s_add_u32 s0, s42, 1
	s_addc_u32 s1, s43, 0
	s_andn2_b64 s[40:41], s[40:41], exec
	s_and_b64 s[46:47], s[46:47], exec
	s_or_b64 s[40:41], s[40:41], s[46:47]
.LBB1100_236:                           ;   in Loop: Header=BB1100_237 Depth=1
	s_and_b64 s[46:47], exec, s[40:41]
	s_or_b64 s[14:15], s[46:47], s[14:15]
	v_mov_b64_e32 v[36:37], s[42:43]
	s_mov_b64 s[42:43], s[0:1]
	s_andn2_b64 exec, exec, s[14:15]
	s_cbranch_execz .LBB1100_239
.LBB1100_237:                           ; =>This Inner Loop Header: Depth=1
	s_or_b64 s[40:41], s[40:41], exec
	s_cmp_eq_u64 s[26:27], s[42:43]
	s_cbranch_scc0 .LBB1100_235
; %bb.238:                              ;   in Loop: Header=BB1100_237 Depth=1
                                        ; implicit-def: $sgpr0_sgpr1
	s_mov_b64 s[42:43], s[26:27]
	s_branch .LBB1100_236
.LBB1100_239:
	s_or_b64 exec, exec, s[14:15]
	v_cmp_gt_i64_e32 vcc, s[26:27], v[36:37]
	s_orn2_b64 s[0:1], vcc, exec
.LBB1100_240:
	s_or_b64 exec, exec, s[4:5]
.LBB1100_241:
	v_perm_b32 v34, v30, v30, s44
	v_lshrrev_b32_e32 v32, 8, v31
	v_lshrrev_b32_e32 v48, 16, v31
	s_and_b64 s[0:1], s[0:1], exec
	s_or_b64 s[10:11], s[10:11], exec
	v_mov_b32_e32 v33, v31
                                        ; implicit-def: $vgpr30_vgpr31
.LBB1100_242:
	s_or_b64 exec, exec, s[6:7]
	s_branch .LBB1100_309
.LBB1100_243:
	v_cmp_gt_u32_e32 vcc, s54, v42
	s_xor_b64 s[4:5], s[12:13], -1
	s_mov_b64 s[40:41], -1
	s_and_b64 s[0:1], vcc, s[4:5]
	s_mov_b64 s[12:13], 0
	v_mul_lo_u32 v39, v16, s27
	v_mul_lo_u32 v46, v17, s26
	s_mov_b64 s[6:7], 0
	s_and_saveexec_b64 s[14:15], s[0:1]
	s_cbranch_execz .LBB1100_252
; %bb.244:
	v_mov_b64_e32 v[32:33], s[36:37]
	s_waitcnt vmcnt(0) lgkmcnt(1)
	v_mad_u64_u32 v[30:31], s[0:1], v16, s26, v[32:33]
	v_add3_u32 v31, v46, v31, v39
	v_mad_u64_u32 v[32:33], s[0:1], v28, s26, v[32:33]
	v_mul_lo_u32 v34, v28, s27
	v_mul_lo_u32 v35, v29, s26
	v_add3_u32 v33, v35, v33, v34
	global_load_ubyte v34, v[30:31], off
	global_load_ubyte v35, v[32:33], off
	s_waitcnt vmcnt(1)
	v_cmp_ne_u16_e32 vcc, 0, v34
	s_waitcnt vmcnt(0)
	v_cmp_ne_u16_e64 s[0:1], 0, v35
	s_xor_b64 s[0:1], vcc, s[0:1]
	s_xor_b64 s[0:1], s[0:1], -1
	s_and_saveexec_b64 s[6:7], s[0:1]
	s_cbranch_execz .LBB1100_251
; %bb.245:
	s_mov_b64 s[44:45], 1
	s_mov_b64 s[40:41], 0
                                        ; implicit-def: $sgpr42_sgpr43
	s_branch .LBB1100_248
.LBB1100_246:                           ;   in Loop: Header=BB1100_248 Depth=1
	v_lshl_add_u64 v[34:35], v[30:31], 0, s[44:45]
	v_lshl_add_u64 v[36:37], v[32:33], 0, s[44:45]
	global_load_ubyte v47, v[34:35], off
	global_load_ubyte v48, v[36:37], off
	s_waitcnt vmcnt(1)
	v_cmp_ne_u16_e32 vcc, 0, v47
	s_waitcnt vmcnt(0)
	v_cmp_ne_u16_e64 s[0:1], 0, v48
	s_xor_b64 s[46:47], vcc, s[0:1]
	s_add_u32 s0, s44, 1
	s_addc_u32 s1, s45, 0
	s_andn2_b64 s[42:43], s[42:43], exec
	s_and_b64 s[46:47], s[46:47], exec
	s_or_b64 s[42:43], s[42:43], s[46:47]
.LBB1100_247:                           ;   in Loop: Header=BB1100_248 Depth=1
	s_and_b64 s[46:47], exec, s[42:43]
	s_or_b64 s[40:41], s[46:47], s[40:41]
	v_mov_b64_e32 v[34:35], s[44:45]
	s_mov_b64 s[44:45], s[0:1]
	s_andn2_b64 exec, exec, s[40:41]
	s_cbranch_execz .LBB1100_250
.LBB1100_248:                           ; =>This Inner Loop Header: Depth=1
	s_or_b64 s[42:43], s[42:43], exec
	s_cmp_eq_u64 s[26:27], s[44:45]
	s_cbranch_scc0 .LBB1100_246
; %bb.249:                              ;   in Loop: Header=BB1100_248 Depth=1
                                        ; implicit-def: $sgpr0_sgpr1
	s_mov_b64 s[44:45], s[26:27]
	s_branch .LBB1100_247
.LBB1100_250:
	s_or_b64 exec, exec, s[40:41]
	v_cmp_gt_i64_e32 vcc, s[26:27], v[34:35]
	s_orn2_b64 s[40:41], vcc, exec
.LBB1100_251:
	s_or_b64 exec, exec, s[6:7]
	s_and_b64 s[6:7], s[40:41], exec
.LBB1100_252:
	s_or_b64 exec, exec, s[14:15]
	v_cmp_gt_u32_e32 vcc, s54, v45
	s_and_b64 s[0:1], vcc, s[4:5]
	s_waitcnt lgkmcnt(1)
	v_mul_lo_u32 v36, v14, s27
	v_mul_lo_u32 v37, v15, s26
	s_and_saveexec_b64 s[14:15], s[0:1]
	s_cbranch_execz .LBB1100_261
; %bb.253:
	v_mov_b64_e32 v[32:33], s[36:37]
	s_waitcnt vmcnt(0)
	v_mad_u64_u32 v[30:31], s[0:1], v14, s26, v[32:33]
	v_add3_u32 v31, v37, v31, v36
	v_mad_u64_u32 v[32:33], s[0:1], v16, s26, v[32:33]
	v_add3_u32 v33, v46, v33, v39
	global_load_ubyte v34, v[30:31], off
	global_load_ubyte v35, v[32:33], off
	s_waitcnt vmcnt(1)
	v_cmp_ne_u16_e32 vcc, 0, v34
	s_waitcnt vmcnt(0)
	v_cmp_ne_u16_e64 s[0:1], 0, v35
	s_xor_b64 s[12:13], vcc, s[0:1]
	s_mov_b64 s[0:1], -1
	s_xor_b64 s[40:41], s[12:13], -1
	s_and_saveexec_b64 s[12:13], s[40:41]
	s_cbranch_execz .LBB1100_260
; %bb.254:
	s_mov_b64 s[44:45], 1
	s_mov_b64 s[40:41], 0
                                        ; implicit-def: $sgpr42_sgpr43
	s_branch .LBB1100_257
.LBB1100_255:                           ;   in Loop: Header=BB1100_257 Depth=1
	v_lshl_add_u64 v[34:35], v[30:31], 0, s[44:45]
	v_lshl_add_u64 v[46:47], v[32:33], 0, s[44:45]
	global_load_ubyte v39, v[34:35], off
	global_load_ubyte v48, v[46:47], off
	s_waitcnt vmcnt(1)
	v_cmp_ne_u16_e32 vcc, 0, v39
	s_waitcnt vmcnt(0)
	v_cmp_ne_u16_e64 s[0:1], 0, v48
	s_xor_b64 s[46:47], vcc, s[0:1]
	s_add_u32 s0, s44, 1
	s_addc_u32 s1, s45, 0
	s_andn2_b64 s[42:43], s[42:43], exec
	s_and_b64 s[46:47], s[46:47], exec
	s_or_b64 s[42:43], s[42:43], s[46:47]
.LBB1100_256:                           ;   in Loop: Header=BB1100_257 Depth=1
	s_and_b64 s[46:47], exec, s[42:43]
	s_or_b64 s[40:41], s[46:47], s[40:41]
	v_mov_b64_e32 v[34:35], s[44:45]
	s_mov_b64 s[44:45], s[0:1]
	s_andn2_b64 exec, exec, s[40:41]
	s_cbranch_execz .LBB1100_259
.LBB1100_257:                           ; =>This Inner Loop Header: Depth=1
	s_or_b64 s[42:43], s[42:43], exec
	s_cmp_eq_u64 s[26:27], s[44:45]
	s_cbranch_scc0 .LBB1100_255
; %bb.258:                              ;   in Loop: Header=BB1100_257 Depth=1
                                        ; implicit-def: $sgpr0_sgpr1
	s_mov_b64 s[44:45], s[26:27]
	s_branch .LBB1100_256
.LBB1100_259:
	s_or_b64 exec, exec, s[40:41]
	v_cmp_gt_i64_e32 vcc, s[26:27], v[34:35]
	s_orn2_b64 s[0:1], vcc, exec
.LBB1100_260:
	s_or_b64 exec, exec, s[12:13]
	s_and_b64 s[12:13], s[0:1], exec
.LBB1100_261:
	s_or_b64 exec, exec, s[14:15]
	v_cmp_gt_u32_e32 vcc, s54, v41
	s_mov_b64 s[44:45], -1
	s_and_b64 s[0:1], vcc, s[4:5]
	s_mov_b64 s[14:15], 0
	v_mul_lo_u32 v39, v20, s27
	v_mul_lo_u32 v46, v21, s26
	s_mov_b64 s[40:41], 0
	s_and_saveexec_b64 s[42:43], s[0:1]
	s_cbranch_execz .LBB1100_270
; %bb.262:
	v_mov_b64_e32 v[32:33], s[36:37]
	s_waitcnt vmcnt(0)
	v_mad_u64_u32 v[30:31], s[0:1], v20, s26, v[32:33]
	v_add3_u32 v31, v46, v31, v39
	v_mad_u64_u32 v[32:33], s[0:1], v14, s26, v[32:33]
	v_add3_u32 v33, v37, v33, v36
	global_load_ubyte v34, v[30:31], off
	global_load_ubyte v35, v[32:33], off
	s_waitcnt vmcnt(1)
	v_cmp_ne_u16_e32 vcc, 0, v34
	s_waitcnt vmcnt(0)
	v_cmp_ne_u16_e64 s[0:1], 0, v35
	s_xor_b64 s[0:1], vcc, s[0:1]
	s_xor_b64 s[0:1], s[0:1], -1
	s_and_saveexec_b64 s[40:41], s[0:1]
	s_cbranch_execz .LBB1100_269
; %bb.263:
	s_mov_b64 s[48:49], 1
	s_mov_b64 s[44:45], 0
                                        ; implicit-def: $sgpr46_sgpr47
	s_branch .LBB1100_266
.LBB1100_264:                           ;   in Loop: Header=BB1100_266 Depth=1
	v_lshl_add_u64 v[34:35], v[30:31], 0, s[48:49]
	v_lshl_add_u64 v[36:37], v[32:33], 0, s[48:49]
	global_load_ubyte v47, v[34:35], off
	global_load_ubyte v48, v[36:37], off
	s_waitcnt vmcnt(1)
	v_cmp_ne_u16_e32 vcc, 0, v47
	s_waitcnt vmcnt(0)
	v_cmp_ne_u16_e64 s[0:1], 0, v48
	s_xor_b64 s[50:51], vcc, s[0:1]
	s_add_u32 s0, s48, 1
	s_addc_u32 s1, s49, 0
	s_andn2_b64 s[46:47], s[46:47], exec
	s_and_b64 s[50:51], s[50:51], exec
	s_or_b64 s[46:47], s[46:47], s[50:51]
.LBB1100_265:                           ;   in Loop: Header=BB1100_266 Depth=1
	s_and_b64 s[50:51], exec, s[46:47]
	s_or_b64 s[44:45], s[50:51], s[44:45]
	v_mov_b64_e32 v[34:35], s[48:49]
	s_mov_b64 s[48:49], s[0:1]
	s_andn2_b64 exec, exec, s[44:45]
	s_cbranch_execz .LBB1100_268
.LBB1100_266:                           ; =>This Inner Loop Header: Depth=1
	s_or_b64 s[46:47], s[46:47], exec
	s_cmp_eq_u64 s[26:27], s[48:49]
	s_cbranch_scc0 .LBB1100_264
; %bb.267:                              ;   in Loop: Header=BB1100_266 Depth=1
                                        ; implicit-def: $sgpr0_sgpr1
	s_mov_b64 s[48:49], s[26:27]
	s_branch .LBB1100_265
.LBB1100_268:
	s_or_b64 exec, exec, s[44:45]
	v_cmp_gt_i64_e32 vcc, s[26:27], v[34:35]
	s_orn2_b64 s[44:45], vcc, exec
.LBB1100_269:
	s_or_b64 exec, exec, s[40:41]
	s_and_b64 s[40:41], s[44:45], exec
.LBB1100_270:
	s_or_b64 exec, exec, s[42:43]
	v_cmp_gt_u32_e32 vcc, s54, v44
	s_and_b64 s[0:1], vcc, s[4:5]
	v_mul_lo_u32 v36, v18, s27
	v_mul_lo_u32 v37, v19, s26
	s_and_saveexec_b64 s[42:43], s[0:1]
	s_cbranch_execz .LBB1100_279
; %bb.271:
	v_mov_b64_e32 v[32:33], s[36:37]
	s_waitcnt vmcnt(0)
	v_mad_u64_u32 v[30:31], s[0:1], v18, s26, v[32:33]
	v_add3_u32 v31, v37, v31, v36
	v_mad_u64_u32 v[32:33], s[0:1], v20, s26, v[32:33]
	v_add3_u32 v33, v46, v33, v39
	global_load_ubyte v34, v[30:31], off
	global_load_ubyte v35, v[32:33], off
	s_waitcnt vmcnt(1)
	v_cmp_ne_u16_e32 vcc, 0, v34
	s_waitcnt vmcnt(0)
	v_cmp_ne_u16_e64 s[0:1], 0, v35
	s_xor_b64 s[14:15], vcc, s[0:1]
	s_mov_b64 s[0:1], -1
	s_xor_b64 s[44:45], s[14:15], -1
	s_and_saveexec_b64 s[14:15], s[44:45]
	s_cbranch_execz .LBB1100_278
; %bb.272:
	s_mov_b64 s[48:49], 1
	s_mov_b64 s[44:45], 0
                                        ; implicit-def: $sgpr46_sgpr47
	s_branch .LBB1100_275
.LBB1100_273:                           ;   in Loop: Header=BB1100_275 Depth=1
	v_lshl_add_u64 v[34:35], v[30:31], 0, s[48:49]
	v_lshl_add_u64 v[46:47], v[32:33], 0, s[48:49]
	global_load_ubyte v39, v[34:35], off
	global_load_ubyte v48, v[46:47], off
	s_waitcnt vmcnt(1)
	v_cmp_ne_u16_e32 vcc, 0, v39
	s_waitcnt vmcnt(0)
	v_cmp_ne_u16_e64 s[0:1], 0, v48
	s_xor_b64 s[50:51], vcc, s[0:1]
	s_add_u32 s0, s48, 1
	s_addc_u32 s1, s49, 0
	s_andn2_b64 s[46:47], s[46:47], exec
	s_and_b64 s[50:51], s[50:51], exec
	s_or_b64 s[46:47], s[46:47], s[50:51]
.LBB1100_274:                           ;   in Loop: Header=BB1100_275 Depth=1
	s_and_b64 s[50:51], exec, s[46:47]
	s_or_b64 s[44:45], s[50:51], s[44:45]
	v_mov_b64_e32 v[34:35], s[48:49]
	s_mov_b64 s[48:49], s[0:1]
	s_andn2_b64 exec, exec, s[44:45]
	s_cbranch_execz .LBB1100_277
.LBB1100_275:                           ; =>This Inner Loop Header: Depth=1
	s_or_b64 s[46:47], s[46:47], exec
	s_cmp_eq_u64 s[26:27], s[48:49]
	s_cbranch_scc0 .LBB1100_273
; %bb.276:                              ;   in Loop: Header=BB1100_275 Depth=1
                                        ; implicit-def: $sgpr0_sgpr1
	s_mov_b64 s[48:49], s[26:27]
	s_branch .LBB1100_274
.LBB1100_277:
	s_or_b64 exec, exec, s[44:45]
	v_cmp_gt_i64_e32 vcc, s[26:27], v[34:35]
	s_orn2_b64 s[0:1], vcc, exec
.LBB1100_278:
	s_or_b64 exec, exec, s[14:15]
	s_and_b64 s[14:15], s[0:1], exec
.LBB1100_279:
	s_or_b64 exec, exec, s[42:43]
	v_cmp_gt_u32_e32 vcc, s54, v40
	s_mov_b64 s[48:49], -1
	s_and_b64 s[0:1], vcc, s[4:5]
	s_mov_b64 s[42:43], 0
	v_mul_lo_u32 v39, v24, s27
	v_mul_lo_u32 v46, v25, s26
	s_mov_b64 s[44:45], 0
	s_and_saveexec_b64 s[46:47], s[0:1]
	s_cbranch_execz .LBB1100_288
; %bb.280:
	v_mov_b64_e32 v[32:33], s[36:37]
	s_waitcnt vmcnt(0)
	v_mad_u64_u32 v[30:31], s[0:1], v24, s26, v[32:33]
	v_add3_u32 v31, v46, v31, v39
	v_mad_u64_u32 v[32:33], s[0:1], v18, s26, v[32:33]
	v_add3_u32 v33, v37, v33, v36
	global_load_ubyte v34, v[30:31], off
	global_load_ubyte v35, v[32:33], off
	s_waitcnt vmcnt(1)
	v_cmp_ne_u16_e32 vcc, 0, v34
	s_waitcnt vmcnt(0)
	v_cmp_ne_u16_e64 s[0:1], 0, v35
	s_xor_b64 s[0:1], vcc, s[0:1]
	s_xor_b64 s[0:1], s[0:1], -1
	s_and_saveexec_b64 s[44:45], s[0:1]
	s_cbranch_execz .LBB1100_287
; %bb.281:
	s_mov_b64 s[52:53], 1
	s_mov_b64 s[48:49], 0
                                        ; implicit-def: $sgpr50_sgpr51
	s_branch .LBB1100_284
.LBB1100_282:                           ;   in Loop: Header=BB1100_284 Depth=1
	v_lshl_add_u64 v[34:35], v[30:31], 0, s[52:53]
	v_lshl_add_u64 v[36:37], v[32:33], 0, s[52:53]
	global_load_ubyte v34, v[34:35], off
	s_nop 0
	global_load_ubyte v35, v[36:37], off
	s_waitcnt vmcnt(1)
	v_cmp_ne_u16_e32 vcc, 0, v34
	s_waitcnt vmcnt(0)
	v_cmp_ne_u16_e64 s[0:1], 0, v35
	s_xor_b64 s[56:57], vcc, s[0:1]
	s_add_u32 s0, s52, 1
	s_addc_u32 s1, s53, 0
	s_andn2_b64 s[50:51], s[50:51], exec
	s_and_b64 s[56:57], s[56:57], exec
	s_or_b64 s[50:51], s[50:51], s[56:57]
.LBB1100_283:                           ;   in Loop: Header=BB1100_284 Depth=1
	s_and_b64 s[56:57], exec, s[50:51]
	s_or_b64 s[48:49], s[56:57], s[48:49]
	v_mov_b64_e32 v[34:35], s[52:53]
	s_mov_b64 s[52:53], s[0:1]
	s_andn2_b64 exec, exec, s[48:49]
	s_cbranch_execz .LBB1100_286
.LBB1100_284:                           ; =>This Inner Loop Header: Depth=1
	s_or_b64 s[50:51], s[50:51], exec
	s_cmp_eq_u64 s[26:27], s[52:53]
	s_cbranch_scc0 .LBB1100_282
; %bb.285:                              ;   in Loop: Header=BB1100_284 Depth=1
                                        ; implicit-def: $sgpr0_sgpr1
	s_mov_b64 s[52:53], s[26:27]
	s_branch .LBB1100_283
.LBB1100_286:
	s_or_b64 exec, exec, s[48:49]
	v_cmp_gt_i64_e32 vcc, s[26:27], v[34:35]
	s_orn2_b64 s[48:49], vcc, exec
.LBB1100_287:
	s_or_b64 exec, exec, s[44:45]
	s_and_b64 s[44:45], s[48:49], exec
.LBB1100_288:
	s_or_b64 exec, exec, s[46:47]
	v_cmp_gt_u32_e32 vcc, s54, v43
	s_and_b64 s[0:1], vcc, s[4:5]
	s_and_saveexec_b64 s[46:47], s[0:1]
	s_cbranch_execz .LBB1100_297
; %bb.289:
	v_mov_b64_e32 v[32:33], s[36:37]
	s_waitcnt vmcnt(0)
	v_mad_u64_u32 v[30:31], s[0:1], v22, s26, v[32:33]
	v_mul_lo_u32 v34, v22, s27
	v_mul_lo_u32 v35, v23, s26
	v_add3_u32 v31, v35, v31, v34
	v_mad_u64_u32 v[32:33], s[0:1], v24, s26, v[32:33]
	v_add3_u32 v33, v46, v33, v39
	global_load_ubyte v34, v[30:31], off
	global_load_ubyte v35, v[32:33], off
	s_waitcnt vmcnt(1)
	v_cmp_ne_u16_e32 vcc, 0, v34
	s_waitcnt vmcnt(0)
	v_cmp_ne_u16_e64 s[0:1], 0, v35
	s_xor_b64 s[42:43], vcc, s[0:1]
	s_mov_b64 s[0:1], -1
	s_xor_b64 s[48:49], s[42:43], -1
	s_and_saveexec_b64 s[42:43], s[48:49]
	s_cbranch_execz .LBB1100_296
; %bb.290:
	s_mov_b64 s[52:53], 1
	s_mov_b64 s[48:49], 0
                                        ; implicit-def: $sgpr50_sgpr51
	s_branch .LBB1100_293
.LBB1100_291:                           ;   in Loop: Header=BB1100_293 Depth=1
	v_lshl_add_u64 v[34:35], v[30:31], 0, s[52:53]
	v_lshl_add_u64 v[36:37], v[32:33], 0, s[52:53]
	global_load_ubyte v34, v[34:35], off
	s_nop 0
	global_load_ubyte v35, v[36:37], off
	s_waitcnt vmcnt(1)
	v_cmp_ne_u16_e32 vcc, 0, v34
	s_waitcnt vmcnt(0)
	v_cmp_ne_u16_e64 s[0:1], 0, v35
	s_xor_b64 s[56:57], vcc, s[0:1]
	s_add_u32 s0, s52, 1
	s_addc_u32 s1, s53, 0
	s_andn2_b64 s[50:51], s[50:51], exec
	s_and_b64 s[56:57], s[56:57], exec
	s_or_b64 s[50:51], s[50:51], s[56:57]
.LBB1100_292:                           ;   in Loop: Header=BB1100_293 Depth=1
	s_and_b64 s[56:57], exec, s[50:51]
	s_or_b64 s[48:49], s[56:57], s[48:49]
	v_mov_b64_e32 v[34:35], s[52:53]
	s_mov_b64 s[52:53], s[0:1]
	s_andn2_b64 exec, exec, s[48:49]
	s_cbranch_execz .LBB1100_295
.LBB1100_293:                           ; =>This Inner Loop Header: Depth=1
	s_or_b64 s[50:51], s[50:51], exec
	s_cmp_eq_u64 s[26:27], s[52:53]
	s_cbranch_scc0 .LBB1100_291
; %bb.294:                              ;   in Loop: Header=BB1100_293 Depth=1
                                        ; implicit-def: $sgpr0_sgpr1
	s_mov_b64 s[52:53], s[26:27]
	s_branch .LBB1100_292
.LBB1100_295:
	s_or_b64 exec, exec, s[48:49]
	v_cmp_gt_i64_e32 vcc, s[26:27], v[34:35]
	s_orn2_b64 s[0:1], vcc, exec
.LBB1100_296:
	s_or_b64 exec, exec, s[42:43]
	s_and_b64 s[42:43], s[0:1], exec
.LBB1100_297:
	s_or_b64 exec, exec, s[46:47]
	s_waitcnt vmcnt(0)
	v_cndmask_b32_e64 v31, 0, 1, s[14:15]
	v_cndmask_b32_e64 v30, 0, 1, s[44:45]
	;; [unrolled: 1-line block ×3, first 2 shown]
	v_lshlrev_b16_e32 v31, 8, v31
	v_cndmask_b32_e64 v33, 0, 1, s[40:41]
	v_cndmask_b32_e64 v34, 0, 1, s[42:43]
	v_or_b32_sdwa v30, v30, v31 dst_sel:WORD_1 dst_unused:UNUSED_PAD src0_sel:DWORD src1_sel:DWORD
	v_lshlrev_b16_e32 v31, 8, v32
	v_lshlrev_b16_e32 v34, 8, v34
	v_or_b32_e32 v31, v33, v31
	v_or_b32_e32 v34, 1, v34
	v_and_b32_e32 v31, 0xffff, v31
	v_cndmask_b32_e64 v48, 0, 1, s[6:7]
	v_or_b32_sdwa v30, v34, v30 dst_sel:DWORD dst_unused:UNUSED_PAD src0_sel:WORD_0 src1_sel:DWORD
	v_lshl_or_b32 v31, v48, 16, v31
	s_waitcnt lgkmcnt(0)
	s_barrier
	s_waitcnt lgkmcnt(0)
                                        ; implicit-def: $sgpr0_sgpr1
                                        ; implicit-def: $vgpr34
	s_and_saveexec_b64 s[6:7], s[2:3]
	s_cbranch_execz .LBB1100_308
; %bb.298:
	v_cmp_gt_u32_e32 vcc, s54, v1
	s_mov_b64 s[12:13], -1
	s_and_b64 s[4:5], vcc, s[4:5]
	s_mov_b32 s40, 0x3020104
	s_mov_b64 s[0:1], 0
	s_and_saveexec_b64 s[2:3], s[4:5]
	s_cbranch_execz .LBB1100_307
; %bb.299:
	v_add_u32_e32 v31, -8, v38
	ds_read_b64 v[34:35], v31
	v_mov_b64_e32 v[36:37], s[36:37]
	s_waitcnt lgkmcnt(0)
	v_mul_lo_u32 v31, v34, s27
	v_mul_lo_u32 v38, v35, s26
	v_mad_u64_u32 v[34:35], s[0:1], v34, s26, v[36:37]
	v_add3_u32 v35, v38, v35, v31
	v_mad_u64_u32 v[36:37], s[0:1], v22, s26, v[36:37]
	v_mul_lo_u32 v31, v22, s27
	v_mul_lo_u32 v38, v23, s26
	v_add3_u32 v37, v38, v37, v31
	global_load_ubyte v31, v[34:35], off
	global_load_ubyte v38, v[36:37], off
	s_waitcnt vmcnt(1)
	v_cmp_ne_u16_e32 vcc, 0, v31
	s_waitcnt vmcnt(0)
	v_cmp_ne_u16_e64 s[0:1], 0, v38
	s_xor_b64 s[0:1], vcc, s[0:1]
	s_xor_b64 s[0:1], s[0:1], -1
	s_and_saveexec_b64 s[4:5], s[0:1]
	s_cbranch_execz .LBB1100_306
; %bb.300:
	s_mov_b64 s[36:37], 1
	s_mov_b64 s[12:13], 0
                                        ; implicit-def: $sgpr14_sgpr15
	s_branch .LBB1100_303
.LBB1100_301:                           ;   in Loop: Header=BB1100_303 Depth=1
	v_lshl_add_u64 v[38:39], v[34:35], 0, s[36:37]
	v_lshl_add_u64 v[46:47], v[36:37], 0, s[36:37]
	global_load_ubyte v31, v[38:39], off
	global_load_ubyte v49, v[46:47], off
	s_waitcnt vmcnt(1)
	v_cmp_ne_u16_e32 vcc, 0, v31
	s_waitcnt vmcnt(0)
	v_cmp_ne_u16_e64 s[0:1], 0, v49
	s_xor_b64 s[42:43], vcc, s[0:1]
	s_add_u32 s0, s36, 1
	s_addc_u32 s1, s37, 0
	s_andn2_b64 s[14:15], s[14:15], exec
	s_and_b64 s[42:43], s[42:43], exec
	s_or_b64 s[14:15], s[14:15], s[42:43]
.LBB1100_302:                           ;   in Loop: Header=BB1100_303 Depth=1
	s_and_b64 s[42:43], exec, s[14:15]
	s_or_b64 s[12:13], s[42:43], s[12:13]
	v_mov_b64_e32 v[38:39], s[36:37]
	s_mov_b64 s[36:37], s[0:1]
	s_andn2_b64 exec, exec, s[12:13]
	s_cbranch_execz .LBB1100_305
.LBB1100_303:                           ; =>This Inner Loop Header: Depth=1
	s_or_b64 s[14:15], s[14:15], exec
	s_cmp_eq_u64 s[26:27], s[36:37]
	s_cbranch_scc0 .LBB1100_301
; %bb.304:                              ;   in Loop: Header=BB1100_303 Depth=1
                                        ; implicit-def: $sgpr0_sgpr1
	s_mov_b64 s[36:37], s[26:27]
	s_branch .LBB1100_302
.LBB1100_305:
	s_or_b64 exec, exec, s[12:13]
	v_cmp_gt_i64_e32 vcc, s[26:27], v[38:39]
	s_orn2_b64 s[12:13], vcc, exec
.LBB1100_306:
	s_or_b64 exec, exec, s[4:5]
	s_and_b64 s[0:1], s[12:13], exec
.LBB1100_307:
	s_or_b64 exec, exec, s[2:3]
	v_perm_b32 v34, v30, v30, s40
	s_and_b64 s[0:1], s[0:1], exec
	s_or_b64 s[10:11], s[10:11], exec
                                        ; implicit-def: $vgpr30_vgpr31
.LBB1100_308:
	s_or_b64 exec, exec, s[6:7]
.LBB1100_309:
	s_and_saveexec_b64 s[2:3], s[10:11]
	s_cbranch_execz .LBB1100_311
; %bb.310:
	s_waitcnt vmcnt(0) lgkmcnt(0)
	v_lshlrev_b16_e32 v31, 8, v32
	v_and_b32_e32 v32, 0xff, v48
	v_or_b32_sdwa v31, v33, v31 dst_sel:DWORD dst_unused:UNUSED_PAD src0_sel:BYTE_0 src1_sel:DWORD
	v_lshlrev_b32_e32 v32, 16, v32
	v_cndmask_b32_e64 v30, 0, 1, s[0:1]
	s_movk_i32 s0, 0xff
	v_or_b32_sdwa v31, v31, v32 dst_sel:DWORD dst_unused:UNUSED_PAD src0_sel:WORD_0 src1_sel:DWORD
	v_lshrrev_b32_e32 v32, 24, v34
	v_lshlrev_b16_e32 v32, 8, v32
	v_and_b32_sdwa v33, v34, s0 dst_sel:DWORD dst_unused:UNUSED_PAD src0_sel:WORD_1 src1_sel:DWORD
	v_or_b32_sdwa v32, v33, v32 dst_sel:WORD_1 dst_unused:UNUSED_PAD src0_sel:DWORD src1_sel:DWORD
	v_mov_b32_e32 v33, 8
	v_lshrrev_b32_sdwa v33, v33, v34 dst_sel:BYTE_1 dst_unused:UNUSED_PAD src0_sel:DWORD src1_sel:DWORD
	s_nop 0
	v_or_b32_e32 v30, v30, v33
	v_or_b32_sdwa v30, v30, v32 dst_sel:DWORD dst_unused:UNUSED_PAD src0_sel:WORD_0 src1_sel:DWORD
.LBB1100_311:
	s_or_b64 exec, exec, s[2:3]
	s_andn2_b64 vcc, exec, s[8:9]
	s_cbranch_vccnz .LBB1100_313
; %bb.312:
	s_waitcnt vmcnt(0) lgkmcnt(0)
	v_and_b32_e32 v32, 0xffff0000, v30
	v_cmp_gt_u32_e32 vcc, s54, v1
	s_mov_b32 s0, 0x40c0100
	s_nop 0
	v_cndmask_b32_e32 v1, v32, v30, vcc
	v_and_b32_e32 v1, 0xffff00ff, v1
	v_cmp_gt_u32_e32 vcc, s54, v43
	s_nop 1
	v_cndmask_b32_e32 v1, v1, v30, vcc
	v_lshrrev_b32_e32 v32, 24, v1
	v_perm_b32 v1, v32, v1, s0
	v_cmp_gt_u32_e32 vcc, s54, v40
	v_and_b32_e32 v32, 0xffffff00, v31
	s_nop 0
	v_cndmask_b32_e32 v1, v1, v30, vcc
	v_and_b32_e32 v1, 0xffffff, v1
	v_cmp_gt_u32_e32 vcc, s54, v44
	s_nop 1
	v_cndmask_b32_e32 v1, v1, v30, vcc
	v_cmp_gt_u32_e32 vcc, s54, v41
	s_nop 1
	v_cndmask_b32_e32 v32, v32, v31, vcc
	v_and_b32_e32 v32, 0xffff00ff, v32
	v_cndmask_b32_e32 v1, v1, v30, vcc
	v_cmp_gt_u32_e32 vcc, s54, v45
	s_nop 1
	v_cndmask_b32_e32 v32, v32, v31, vcc
	v_lshrrev_b32_e32 v33, 24, v32
	v_cndmask_b32_e32 v1, v1, v30, vcc
	v_perm_b32 v32, v33, v32, s0
	v_cmp_gt_u32_e32 vcc, s54, v42
	s_mov_b32 s0, 0x3020104
	s_nop 0
	v_cndmask_b32_e32 v1, v1, v30, vcc
	v_cndmask_b32_e32 v30, v32, v31, vcc
	v_mov_b32_e32 v31, 8
	v_lshrrev_b32_sdwa v31, v31, v30 dst_sel:BYTE_1 dst_unused:UNUSED_PAD src0_sel:DWORD src1_sel:DWORD
	s_nop 0
	v_or_b32_sdwa v31, v30, v31 dst_sel:DWORD dst_unused:UNUSED_PAD src0_sel:BYTE_0 src1_sel:DWORD
	v_and_b32_e32 v31, 0xffff, v31
	v_bfe_u32 v30, v30, 16, 8
	v_lshl_or_b32 v31, v30, 16, v31
	v_perm_b32 v30, v1, v1, s0
.LBB1100_313:
	s_waitcnt vmcnt(0) lgkmcnt(0)
	v_and_b32_e32 v1, 0xff, v30
	v_bfe_u32 v43, v30, 8, 8
	v_bfe_u32 v45, v30, 16, 8
	v_alignbit_b32 v32, v31, v30, 24
	v_and_b32_e32 v47, 0xff, v32
	v_and_b32_e32 v48, 0xff, v31
	v_add3_u32 v33, v43, v1, v45
	v_bfe_u32 v49, v31, 8, 8
	v_bfe_u32 v32, v31, 16, 8
	v_add3_u32 v33, v33, v47, v48
	v_add3_u32 v52, v33, v49, v32
	v_mbcnt_lo_u32_b32 v32, -1, 0
	v_mbcnt_hi_u32_b32 v50, -1, v32
	v_and_b32_e32 v32, 15, v50
	v_cmp_eq_u32_e64 s[14:15], 0, v32
	v_cmp_lt_u32_e64 s[12:13], 1, v32
	v_cmp_lt_u32_e64 s[10:11], 3, v32
	;; [unrolled: 1-line block ×3, first 2 shown]
	v_and_b32_e32 v32, 16, v50
	v_cmp_eq_u32_e64 s[6:7], 0, v32
	v_or_b32_e32 v32, 63, v0
	v_cmp_lt_u32_e64 s[2:3], 31, v50
	v_lshrrev_b32_e32 v51, 6, v0
	v_cmp_eq_u32_e64 s[4:5], v32, v0
	s_and_b64 vcc, exec, s[16:17]
	s_barrier
	s_cbranch_vccz .LBB1100_344
; %bb.314:
	v_mov_b32_dpp v32, v52 row_shr:1 row_mask:0xf bank_mask:0xf
	v_cndmask_b32_e64 v32, v32, 0, s[14:15]
	v_add_u32_e32 v32, v32, v52
	s_nop 1
	v_mov_b32_dpp v33, v32 row_shr:2 row_mask:0xf bank_mask:0xf
	v_cndmask_b32_e64 v33, 0, v33, s[12:13]
	v_add_u32_e32 v32, v32, v33
	s_nop 1
	;; [unrolled: 4-line block ×4, first 2 shown]
	v_mov_b32_dpp v33, v32 row_bcast:15 row_mask:0xf bank_mask:0xf
	v_cndmask_b32_e64 v33, v33, 0, s[6:7]
	v_add_u32_e32 v32, v32, v33
	s_nop 1
	v_mov_b32_dpp v33, v32 row_bcast:31 row_mask:0xf bank_mask:0xf
	v_cndmask_b32_e64 v33, 0, v33, s[2:3]
	v_add_u32_e32 v32, v32, v33
	s_and_saveexec_b64 s[0:1], s[4:5]
	s_cbranch_execz .LBB1100_316
; %bb.315:
	v_lshlrev_b32_e32 v33, 2, v51
	ds_write_b32 v33, v32
.LBB1100_316:
	s_or_b64 exec, exec, s[0:1]
	v_cmp_gt_u32_e32 vcc, 8, v0
	s_waitcnt lgkmcnt(0)
	s_barrier
	s_and_saveexec_b64 s[0:1], vcc
	s_cbranch_execz .LBB1100_318
; %bb.317:
	v_lshlrev_b32_e32 v33, 2, v0
	ds_read_b32 v34, v33
	v_and_b32_e32 v35, 7, v50
	v_cmp_ne_u32_e32 vcc, 0, v35
	s_waitcnt lgkmcnt(0)
	v_mov_b32_dpp v36, v34 row_shr:1 row_mask:0xf bank_mask:0xf
	v_cndmask_b32_e32 v36, 0, v36, vcc
	v_add_u32_e32 v34, v36, v34
	v_cmp_lt_u32_e32 vcc, 1, v35
	s_nop 0
	v_mov_b32_dpp v36, v34 row_shr:2 row_mask:0xf bank_mask:0xf
	v_cndmask_b32_e32 v36, 0, v36, vcc
	v_add_u32_e32 v34, v34, v36
	v_cmp_lt_u32_e32 vcc, 3, v35
	s_nop 0
	v_mov_b32_dpp v36, v34 row_shr:4 row_mask:0xf bank_mask:0xf
	v_cndmask_b32_e32 v35, 0, v36, vcc
	v_add_u32_e32 v34, v34, v35
	ds_write_b32 v33, v34
.LBB1100_318:
	s_or_b64 exec, exec, s[0:1]
	v_cmp_gt_u32_e32 vcc, 64, v0
	v_cmp_lt_u32_e64 s[0:1], 63, v0
	s_waitcnt lgkmcnt(0)
	s_barrier
	s_waitcnt lgkmcnt(0)
                                        ; implicit-def: $vgpr42
	s_and_saveexec_b64 s[16:17], s[0:1]
	s_cbranch_execz .LBB1100_320
; %bb.319:
	v_lshl_add_u32 v33, v51, 2, -4
	ds_read_b32 v42, v33
	s_waitcnt lgkmcnt(0)
	v_add_u32_e32 v32, v42, v32
.LBB1100_320:
	s_or_b64 exec, exec, s[16:17]
	v_add_u32_e32 v33, -1, v50
	v_and_b32_e32 v34, 64, v50
	v_cmp_lt_i32_e64 s[0:1], v33, v34
	v_cmp_eq_u32_e64 s[16:17], 0, v50
	s_nop 0
	v_cndmask_b32_e64 v33, v33, v50, s[0:1]
	v_lshlrev_b32_e32 v33, 2, v33
	ds_bpermute_b32 v44, v33, v32
	s_and_saveexec_b64 s[0:1], vcc
	s_cbranch_execz .LBB1100_343
; %bb.321:
	v_mov_b32_e32 v41, 0
	ds_read_b32 v32, v41 offset:28
	s_and_saveexec_b64 s[26:27], s[16:17]
	s_cbranch_execz .LBB1100_323
; %bb.322:
	s_add_i32 s36, s33, 64
	s_mov_b32 s37, 0
	s_lshl_b64 s[36:37], s[36:37], 3
	s_add_u32 s36, s38, s36
	v_mov_b32_e32 v33, 1
	s_addc_u32 s37, s39, s37
	s_waitcnt lgkmcnt(0)
	global_store_dwordx2 v41, v[32:33], s[36:37] sc1
.LBB1100_323:
	s_or_b64 exec, exec, s[26:27]
	v_xad_u32 v34, v50, -1, s33
	v_add_u32_e32 v40, 64, v34
	v_lshl_add_u64 v[36:37], v[40:41], 3, s[38:39]
	global_load_dwordx2 v[38:39], v[36:37], off sc1
	s_waitcnt vmcnt(0)
	v_cmp_eq_u16_sdwa s[36:37], v39, v41 src0_sel:BYTE_0 src1_sel:DWORD
	s_and_saveexec_b64 s[26:27], s[36:37]
	s_cbranch_execz .LBB1100_329
; %bb.324:
	s_mov_b32 s40, 1
	s_mov_b64 s[36:37], 0
	v_mov_b32_e32 v33, 0
.LBB1100_325:                           ; =>This Loop Header: Depth=1
                                        ;     Child Loop BB1100_326 Depth 2
	s_max_u32 s41, s40, 1
.LBB1100_326:                           ;   Parent Loop BB1100_325 Depth=1
                                        ; =>  This Inner Loop Header: Depth=2
	s_add_i32 s41, s41, -1
	s_cmp_eq_u32 s41, 0
	s_sleep 1
	s_cbranch_scc0 .LBB1100_326
; %bb.327:                              ;   in Loop: Header=BB1100_325 Depth=1
	global_load_dwordx2 v[38:39], v[36:37], off sc1
	s_cmp_lt_u32 s40, 32
	s_cselect_b64 s[42:43], -1, 0
	s_cmp_lg_u64 s[42:43], 0
	s_addc_u32 s40, s40, 0
	s_waitcnt vmcnt(0)
	v_cmp_ne_u16_sdwa s[42:43], v39, v33 src0_sel:BYTE_0 src1_sel:DWORD
	s_or_b64 s[36:37], s[42:43], s[36:37]
	s_andn2_b64 exec, exec, s[36:37]
	s_cbranch_execnz .LBB1100_325
; %bb.328:
	s_or_b64 exec, exec, s[36:37]
.LBB1100_329:
	s_or_b64 exec, exec, s[26:27]
	v_and_b32_e32 v46, 63, v50
	v_mov_b32_e32 v33, 2
	v_cmp_ne_u32_e32 vcc, 63, v46
	v_cmp_eq_u16_sdwa s[26:27], v39, v33 src0_sel:BYTE_0 src1_sel:DWORD
	v_lshlrev_b64 v[36:37], v50, -1
	v_addc_co_u32_e32 v41, vcc, 0, v50, vcc
	v_and_b32_e32 v35, s27, v37
	v_lshlrev_b32_e32 v53, 2, v41
	v_or_b32_e32 v35, 0x80000000, v35
	ds_bpermute_b32 v41, v53, v38
	v_and_b32_e32 v40, s26, v36
	v_ffbl_b32_e32 v35, v35
	v_add_u32_e32 v35, 32, v35
	v_ffbl_b32_e32 v40, v40
	v_min_u32_e32 v35, v40, v35
	v_cmp_lt_u32_e32 vcc, v46, v35
	v_add_u32_e32 v55, 2, v46
	v_add_u32_e32 v57, 4, v46
	s_waitcnt lgkmcnt(0)
	v_cndmask_b32_e32 v40, 0, v41, vcc
	v_cmp_gt_u32_e32 vcc, 62, v46
	v_add_u32_e32 v38, v40, v38
	v_add_u32_e32 v59, 8, v46
	v_cndmask_b32_e64 v40, 0, 1, vcc
	v_lshlrev_b32_e32 v40, 1, v40
	v_add_lshl_u32 v54, v40, v50, 2
	ds_bpermute_b32 v40, v54, v38
	v_cmp_le_u32_e32 vcc, v55, v35
	v_add_u32_e32 v62, 16, v46
	v_add_u32_e32 v64, 32, v46
	s_waitcnt lgkmcnt(0)
	v_cndmask_b32_e32 v40, 0, v40, vcc
	v_cmp_gt_u32_e32 vcc, 60, v46
	v_add_u32_e32 v38, v38, v40
	s_nop 0
	v_cndmask_b32_e64 v40, 0, 1, vcc
	v_lshlrev_b32_e32 v40, 2, v40
	v_add_lshl_u32 v56, v40, v50, 2
	ds_bpermute_b32 v40, v56, v38
	v_cmp_le_u32_e32 vcc, v57, v35
	s_waitcnt lgkmcnt(0)
	s_nop 0
	v_cndmask_b32_e32 v40, 0, v40, vcc
	v_cmp_gt_u32_e32 vcc, 56, v46
	v_add_u32_e32 v38, v38, v40
	s_nop 0
	v_cndmask_b32_e64 v40, 0, 1, vcc
	v_lshlrev_b32_e32 v40, 3, v40
	v_add_lshl_u32 v58, v40, v50, 2
	ds_bpermute_b32 v40, v58, v38
	v_cmp_le_u32_e32 vcc, v59, v35
	s_waitcnt lgkmcnt(0)
	s_nop 0
	;; [unrolled: 11-line block ×4, first 2 shown]
	v_cndmask_b32_e32 v35, 0, v40, vcc
	v_add_u32_e32 v38, v38, v35
	v_mov_b32_e32 v35, 0
	s_branch .LBB1100_331
.LBB1100_330:                           ;   in Loop: Header=BB1100_331 Depth=1
	s_or_b64 exec, exec, s[26:27]
	v_cmp_eq_u16_sdwa s[26:27], v39, v33 src0_sel:BYTE_0 src1_sel:DWORD
	ds_bpermute_b32 v65, v53, v38
	v_subrev_u32_e32 v34, 64, v34
	v_and_b32_e32 v40, s27, v37
	v_or_b32_e32 v40, 0x80000000, v40
	v_and_b32_e32 v41, s26, v36
	v_ffbl_b32_e32 v40, v40
	v_add_u32_e32 v40, 32, v40
	v_ffbl_b32_e32 v41, v41
	v_min_u32_e32 v40, v41, v40
	v_cmp_lt_u32_e32 vcc, v46, v40
	s_waitcnt lgkmcnt(0)
	s_nop 0
	v_cndmask_b32_e32 v41, 0, v65, vcc
	v_add_u32_e32 v38, v41, v38
	ds_bpermute_b32 v41, v54, v38
	v_cmp_le_u32_e32 vcc, v55, v40
	s_waitcnt lgkmcnt(0)
	s_nop 0
	v_cndmask_b32_e32 v41, 0, v41, vcc
	v_add_u32_e32 v38, v38, v41
	ds_bpermute_b32 v41, v56, v38
	v_cmp_le_u32_e32 vcc, v57, v40
	;; [unrolled: 6-line block ×5, first 2 shown]
	s_waitcnt lgkmcnt(0)
	s_nop 0
	v_cndmask_b32_e32 v40, 0, v41, vcc
	v_add3_u32 v38, v40, v60, v38
.LBB1100_331:                           ; =>This Loop Header: Depth=1
                                        ;     Child Loop BB1100_334 Depth 2
                                        ;       Child Loop BB1100_335 Depth 3
	v_cmp_ne_u16_sdwa s[26:27], v39, v33 src0_sel:BYTE_0 src1_sel:DWORD
	v_mov_b32_e32 v60, v38
	s_nop 0
	v_cndmask_b32_e64 v39, 0, 1, s[26:27]
	;;#ASMSTART
	;;#ASMEND
	s_nop 0
	v_cmp_ne_u32_e32 vcc, 0, v39
	s_cmp_lg_u64 vcc, exec
	s_cbranch_scc1 .LBB1100_338
; %bb.332:                              ;   in Loop: Header=BB1100_331 Depth=1
	v_lshl_add_u64 v[40:41], v[34:35], 3, s[38:39]
	global_load_dwordx2 v[38:39], v[40:41], off sc1
	s_waitcnt vmcnt(0)
	v_cmp_eq_u16_sdwa s[36:37], v39, v35 src0_sel:BYTE_0 src1_sel:DWORD
	s_and_saveexec_b64 s[26:27], s[36:37]
	s_cbranch_execz .LBB1100_330
; %bb.333:                              ;   in Loop: Header=BB1100_331 Depth=1
	s_mov_b32 s40, 1
	s_mov_b64 s[36:37], 0
.LBB1100_334:                           ;   Parent Loop BB1100_331 Depth=1
                                        ; =>  This Loop Header: Depth=2
                                        ;       Child Loop BB1100_335 Depth 3
	s_max_u32 s41, s40, 1
.LBB1100_335:                           ;   Parent Loop BB1100_331 Depth=1
                                        ;     Parent Loop BB1100_334 Depth=2
                                        ; =>    This Inner Loop Header: Depth=3
	s_add_i32 s41, s41, -1
	s_cmp_eq_u32 s41, 0
	s_sleep 1
	s_cbranch_scc0 .LBB1100_335
; %bb.336:                              ;   in Loop: Header=BB1100_334 Depth=2
	global_load_dwordx2 v[38:39], v[40:41], off sc1
	s_cmp_lt_u32 s40, 32
	s_cselect_b64 s[42:43], -1, 0
	s_cmp_lg_u64 s[42:43], 0
	s_addc_u32 s40, s40, 0
	s_waitcnt vmcnt(0)
	v_cmp_ne_u16_sdwa s[42:43], v39, v35 src0_sel:BYTE_0 src1_sel:DWORD
	s_or_b64 s[36:37], s[42:43], s[36:37]
	s_andn2_b64 exec, exec, s[36:37]
	s_cbranch_execnz .LBB1100_334
; %bb.337:                              ;   in Loop: Header=BB1100_331 Depth=1
	s_or_b64 exec, exec, s[36:37]
	s_branch .LBB1100_330
.LBB1100_338:                           ;   in Loop: Header=BB1100_331 Depth=1
                                        ; implicit-def: $vgpr38
                                        ; implicit-def: $vgpr39
	s_cbranch_execz .LBB1100_331
; %bb.339:
	s_and_saveexec_b64 s[26:27], s[16:17]
	s_cbranch_execz .LBB1100_341
; %bb.340:
	s_add_i32 s36, s33, 64
	s_mov_b32 s37, 0
	s_lshl_b64 s[36:37], s[36:37], 3
	s_add_u32 s36, s38, s36
	v_add_u32_e32 v34, v60, v32
	v_mov_b32_e32 v35, 2
	s_addc_u32 s37, s39, s37
	v_mov_b32_e32 v33, 0
	s_movk_i32 s33, 0x7000
	global_store_dwordx2 v33, v[34:35], s[36:37] sc1
	v_add_u32_e64 v33, s33, 0
	ds_write2_b32 v33, v32, v60 offset1:2
.LBB1100_341:
	s_or_b64 exec, exec, s[26:27]
	s_and_b64 exec, exec, s[18:19]
	s_cbranch_execz .LBB1100_343
; %bb.342:
	v_mov_b32_e32 v32, 0
	ds_write_b32 v32, v60 offset:28
.LBB1100_343:
	s_or_b64 exec, exec, s[0:1]
	v_mov_b32_e32 v32, 0
	s_waitcnt lgkmcnt(0)
	s_barrier
	ds_read_b32 v32, v32 offset:28
	v_cndmask_b32_e64 v33, v44, v42, s[16:17]
	v_cndmask_b32_e64 v33, v33, 0, s[18:19]
	s_movk_i32 s0, 0x7000
	s_waitcnt lgkmcnt(0)
	v_add_u32_e32 v46, v32, v33
	v_add_u32_e64 v32, s0, 0
	v_add_u32_e32 v44, v46, v1
	s_barrier
	ds_read2_b32 v[32:33], v32 offset1:2
	v_add_u32_e32 v42, v44, v43
	v_add_u32_e32 v40, v42, v45
	;; [unrolled: 1-line block ×5, first 2 shown]
	s_waitcnt lgkmcnt(0)
	v_readfirstlane_b32 s26, v32
	v_readfirstlane_b32 s16, v33
	v_lshrrev_b64 v[32:33], 24, v[30:31]
	s_branch .LBB1100_354
.LBB1100_344:
                                        ; implicit-def: $vgpr34
                                        ; implicit-def: $vgpr36
                                        ; implicit-def: $vgpr38
                                        ; implicit-def: $vgpr40
                                        ; implicit-def: $vgpr42
                                        ; implicit-def: $vgpr44
                                        ; implicit-def: $vgpr46
                                        ; implicit-def: $sgpr16
                                        ; implicit-def: $sgpr26
	v_lshrrev_b64 v[32:33], 24, v[30:31]
	s_cbranch_execz .LBB1100_354
; %bb.345:
	s_nop 0
	v_mov_b32_dpp v33, v52 row_shr:1 row_mask:0xf bank_mask:0xf
	v_cndmask_b32_e64 v33, v33, 0, s[14:15]
	v_add_u32_e32 v33, v33, v52
	s_nop 1
	v_mov_b32_dpp v34, v33 row_shr:2 row_mask:0xf bank_mask:0xf
	v_cndmask_b32_e64 v34, 0, v34, s[12:13]
	v_add_u32_e32 v33, v33, v34
	;; [unrolled: 4-line block ×4, first 2 shown]
	s_nop 1
	v_mov_b32_dpp v34, v33 row_bcast:15 row_mask:0xf bank_mask:0xf
	v_cndmask_b32_e64 v34, v34, 0, s[6:7]
	v_add_u32_e32 v33, v33, v34
	s_nop 1
	v_mov_b32_dpp v34, v33 row_bcast:31 row_mask:0xf bank_mask:0xf
	v_cndmask_b32_e64 v34, 0, v34, s[2:3]
	v_add_u32_e32 v33, v33, v34
	s_and_saveexec_b64 s[0:1], s[4:5]
	s_cbranch_execz .LBB1100_347
; %bb.346:
	v_lshlrev_b32_e32 v34, 2, v51
	ds_write_b32 v34, v33
.LBB1100_347:
	s_or_b64 exec, exec, s[0:1]
	v_cmp_gt_u32_e32 vcc, 8, v0
	s_waitcnt lgkmcnt(0)
	s_barrier
	s_and_saveexec_b64 s[0:1], vcc
	s_cbranch_execz .LBB1100_349
; %bb.348:
	v_lshlrev_b32_e32 v34, 2, v0
	ds_read_b32 v35, v34
	v_and_b32_e32 v36, 7, v50
	v_cmp_ne_u32_e32 vcc, 0, v36
	s_waitcnt lgkmcnt(0)
	v_mov_b32_dpp v37, v35 row_shr:1 row_mask:0xf bank_mask:0xf
	v_cndmask_b32_e32 v37, 0, v37, vcc
	v_add_u32_e32 v35, v37, v35
	v_cmp_lt_u32_e32 vcc, 1, v36
	s_nop 0
	v_mov_b32_dpp v37, v35 row_shr:2 row_mask:0xf bank_mask:0xf
	v_cndmask_b32_e32 v37, 0, v37, vcc
	v_add_u32_e32 v35, v35, v37
	v_cmp_lt_u32_e32 vcc, 3, v36
	s_nop 0
	v_mov_b32_dpp v37, v35 row_shr:4 row_mask:0xf bank_mask:0xf
	v_cndmask_b32_e32 v36, 0, v37, vcc
	v_add_u32_e32 v35, v35, v36
	ds_write_b32 v34, v35
.LBB1100_349:
	s_or_b64 exec, exec, s[0:1]
	v_cmp_lt_u32_e32 vcc, 63, v0
	v_mov_b32_e32 v35, 0
	v_mov_b32_e32 v34, 0
	s_waitcnt lgkmcnt(0)
	s_barrier
	s_and_saveexec_b64 s[0:1], vcc
	s_cbranch_execz .LBB1100_351
; %bb.350:
	v_lshl_add_u32 v34, v51, 2, -4
	ds_read_b32 v34, v34
.LBB1100_351:
	s_or_b64 exec, exec, s[0:1]
	v_add_u32_e32 v36, -1, v50
	v_and_b32_e32 v37, 64, v50
	v_cmp_lt_i32_e32 vcc, v36, v37
	s_waitcnt lgkmcnt(0)
	v_add_u32_e32 v33, v34, v33
	ds_read_b32 v35, v35 offset:28
	v_cndmask_b32_e32 v36, v36, v50, vcc
	v_lshlrev_b32_e32 v36, 2, v36
	ds_bpermute_b32 v33, v36, v33
	s_waitcnt lgkmcnt(1)
	v_readfirstlane_b32 s26, v35
	s_and_saveexec_b64 s[0:1], s[18:19]
	s_cbranch_execz .LBB1100_353
; %bb.352:
	v_mov_b32_e32 v35, 0
	v_mov_b32_e32 v36, s26
	;; [unrolled: 1-line block ×3, first 2 shown]
	global_store_dwordx2 v35, v[36:37], s[38:39] offset:512 sc1
.LBB1100_353:
	s_or_b64 exec, exec, s[0:1]
	v_cmp_eq_u32_e32 vcc, 0, v50
	s_mov_b32 s16, 0
	s_waitcnt lgkmcnt(0)
	v_cndmask_b32_e32 v33, v33, v34, vcc
	v_cndmask_b32_e64 v46, v33, 0, s[18:19]
	v_add_u32_e32 v44, v46, v1
	v_add_u32_e32 v42, v44, v43
	v_add_u32_e32 v40, v42, v45
	v_add_u32_e32 v38, v40, v47
	v_add_u32_e32 v36, v38, v48
	v_add_u32_e32 v34, v36, v49
	s_barrier
.LBB1100_354:
	s_cmpk_lt_u32 s26, 0x201
	s_cselect_b64 s[2:3], -1, 0
	v_lshrrev_b32_e32 v33, 8, v30
	v_lshrrev_b32_e32 v1, 8, v31
	s_mov_b64 s[0:1], -1
	s_and_b64 vcc, exec, s[2:3]
	s_cbranch_vccz .LBB1100_377
; %bb.355:
	s_add_i32 s4, s16, s26
	v_cmp_gt_u32_e32 vcc, s4, v46
	s_or_b64 s[6:7], s[34:35], vcc
	s_and_saveexec_b64 s[0:1], s[6:7]
	s_cbranch_execz .LBB1100_358
; %bb.356:
	v_and_b32_e32 v35, 1, v30
	v_cmp_eq_u32_e32 vcc, 1, v35
	s_and_b64 exec, exec, vcc
	s_cbranch_execz .LBB1100_358
; %bb.357:
	s_lshl_b64 s[6:7], s[22:23], 3
	s_add_u32 s6, s28, s6
	s_addc_u32 s7, s29, s7
	v_mov_b32_e32 v47, 0
	v_lshl_add_u64 v[48:49], v[46:47], 3, s[6:7]
	global_store_dwordx2 v[48:49], v[22:23], off
.LBB1100_358:
	s_or_b64 exec, exec, s[0:1]
	v_cmp_gt_u32_e32 vcc, s4, v44
	s_or_b64 s[6:7], s[34:35], vcc
	s_and_saveexec_b64 s[0:1], s[6:7]
	s_cbranch_execz .LBB1100_361
; %bb.359:
	v_and_b32_e32 v35, 1, v33
	v_cmp_eq_u32_e32 vcc, 1, v35
	s_and_b64 exec, exec, vcc
	s_cbranch_execz .LBB1100_361
; %bb.360:
	s_lshl_b64 s[6:7], s[22:23], 3
	s_add_u32 s6, s28, s6
	s_addc_u32 s7, s29, s7
	v_mov_b32_e32 v45, 0
	v_lshl_add_u64 v[48:49], v[44:45], 3, s[6:7]
	global_store_dwordx2 v[48:49], v[24:25], off
.LBB1100_361:
	s_or_b64 exec, exec, s[0:1]
	v_cmp_gt_u32_e32 vcc, s4, v42
	s_or_b64 s[6:7], s[34:35], vcc
	s_and_saveexec_b64 s[0:1], s[6:7]
	s_cbranch_execz .LBB1100_364
; %bb.362:
	v_mov_b32_e32 v35, 1
	v_and_b32_sdwa v35, v35, v30 dst_sel:DWORD dst_unused:UNUSED_PAD src0_sel:DWORD src1_sel:WORD_1
	v_cmp_eq_u32_e32 vcc, 1, v35
	s_and_b64 exec, exec, vcc
	s_cbranch_execz .LBB1100_364
; %bb.363:
	s_lshl_b64 s[6:7], s[22:23], 3
	s_add_u32 s6, s28, s6
	s_addc_u32 s7, s29, s7
	v_mov_b32_e32 v43, 0
	v_lshl_add_u64 v[48:49], v[42:43], 3, s[6:7]
	global_store_dwordx2 v[48:49], v[18:19], off
.LBB1100_364:
	s_or_b64 exec, exec, s[0:1]
	v_cmp_gt_u32_e32 vcc, s4, v40
	s_or_b64 s[6:7], s[34:35], vcc
	s_and_saveexec_b64 s[0:1], s[6:7]
	s_cbranch_execz .LBB1100_367
; %bb.365:
	v_and_b32_e32 v35, 1, v32
	v_cmp_eq_u32_e32 vcc, 1, v35
	s_and_b64 exec, exec, vcc
	s_cbranch_execz .LBB1100_367
; %bb.366:
	s_lshl_b64 s[6:7], s[22:23], 3
	s_add_u32 s6, s28, s6
	s_addc_u32 s7, s29, s7
	v_mov_b32_e32 v41, 0
	v_lshl_add_u64 v[48:49], v[40:41], 3, s[6:7]
	global_store_dwordx2 v[48:49], v[20:21], off
.LBB1100_367:
	s_or_b64 exec, exec, s[0:1]
	v_cmp_gt_u32_e32 vcc, s4, v38
	s_or_b64 s[6:7], s[34:35], vcc
	s_and_saveexec_b64 s[0:1], s[6:7]
	s_cbranch_execz .LBB1100_370
; %bb.368:
	v_and_b32_e32 v35, 1, v31
	v_cmp_eq_u32_e32 vcc, 1, v35
	s_and_b64 exec, exec, vcc
	s_cbranch_execz .LBB1100_370
; %bb.369:
	s_lshl_b64 s[6:7], s[22:23], 3
	s_add_u32 s6, s28, s6
	s_addc_u32 s7, s29, s7
	v_mov_b32_e32 v39, 0
	v_lshl_add_u64 v[48:49], v[38:39], 3, s[6:7]
	global_store_dwordx2 v[48:49], v[14:15], off
.LBB1100_370:
	;; [unrolled: 18-line block ×3, first 2 shown]
	s_or_b64 exec, exec, s[0:1]
	v_cmp_gt_u32_e32 vcc, s4, v34
	s_or_b64 s[4:5], s[34:35], vcc
	s_and_saveexec_b64 s[0:1], s[4:5]
	s_cbranch_execz .LBB1100_376
; %bb.374:
	v_mov_b32_e32 v35, 1
	v_and_b32_sdwa v35, v35, v31 dst_sel:DWORD dst_unused:UNUSED_PAD src0_sel:DWORD src1_sel:WORD_1
	v_cmp_eq_u32_e32 vcc, 1, v35
	s_and_b64 exec, exec, vcc
	s_cbranch_execz .LBB1100_376
; %bb.375:
	s_lshl_b64 s[4:5], s[22:23], 3
	s_add_u32 s4, s28, s4
	s_addc_u32 s5, s29, s5
	v_mov_b32_e32 v35, 0
	v_lshl_add_u64 v[48:49], v[34:35], 3, s[4:5]
	global_store_dwordx2 v[48:49], v[28:29], off
.LBB1100_376:
	s_or_b64 exec, exec, s[0:1]
	s_mov_b64 s[0:1], 0
.LBB1100_377:
	v_and_b32_e32 v48, 1, v30
	s_and_b64 vcc, exec, s[0:1]
	v_cmp_eq_u32_e64 s[0:1], 1, v48
	s_cbranch_vccz .LBB1100_396
; %bb.378:
	s_and_saveexec_b64 s[4:5], s[0:1]
	s_cbranch_execz .LBB1100_380
; %bb.379:
	v_subrev_u32_e32 v35, s16, v46
	v_lshlrev_b32_e32 v35, 3, v35
	ds_write_b64 v35, v[22:23]
.LBB1100_380:
	s_or_b64 exec, exec, s[4:5]
	v_and_b32_e32 v22, 1, v33
	v_cmp_eq_u32_e32 vcc, 1, v22
	s_and_saveexec_b64 s[0:1], vcc
	s_cbranch_execz .LBB1100_382
; %bb.381:
	v_subrev_u32_e32 v22, s16, v44
	v_lshlrev_b32_e32 v22, 3, v22
	ds_write_b64 v22, v[24:25]
.LBB1100_382:
	s_or_b64 exec, exec, s[0:1]
	v_mov_b32_e32 v22, 1
	v_and_b32_sdwa v22, v22, v30 dst_sel:DWORD dst_unused:UNUSED_PAD src0_sel:DWORD src1_sel:WORD_1
	v_cmp_eq_u32_e32 vcc, 1, v22
	s_and_saveexec_b64 s[0:1], vcc
	s_cbranch_execz .LBB1100_384
; %bb.383:
	v_subrev_u32_e32 v22, s16, v42
	v_lshlrev_b32_e32 v22, 3, v22
	ds_write_b64 v22, v[18:19]
.LBB1100_384:
	s_or_b64 exec, exec, s[0:1]
	v_and_b32_e32 v18, 1, v32
	v_cmp_eq_u32_e32 vcc, 1, v18
	s_and_saveexec_b64 s[0:1], vcc
	s_cbranch_execz .LBB1100_386
; %bb.385:
	v_subrev_u32_e32 v18, s16, v40
	v_lshlrev_b32_e32 v18, 3, v18
	ds_write_b64 v18, v[20:21]
.LBB1100_386:
	s_or_b64 exec, exec, s[0:1]
	v_and_b32_e32 v18, 1, v31
	;; [unrolled: 10-line block ×3, first 2 shown]
	v_cmp_eq_u32_e32 vcc, 1, v14
	s_and_saveexec_b64 s[0:1], vcc
	s_cbranch_execz .LBB1100_390
; %bb.389:
	v_subrev_u32_e32 v14, s16, v36
	v_lshlrev_b32_e32 v14, 3, v14
	ds_write_b64 v14, v[16:17]
.LBB1100_390:
	s_or_b64 exec, exec, s[0:1]
	v_mov_b32_e32 v14, 1
	v_and_b32_sdwa v14, v14, v31 dst_sel:DWORD dst_unused:UNUSED_PAD src0_sel:DWORD src1_sel:WORD_1
	v_cmp_eq_u32_e32 vcc, 1, v14
	s_and_saveexec_b64 s[0:1], vcc
	s_cbranch_execz .LBB1100_392
; %bb.391:
	v_subrev_u32_e32 v14, s16, v34
	v_lshlrev_b32_e32 v14, 3, v14
	ds_write_b64 v14, v[28:29]
.LBB1100_392:
	s_or_b64 exec, exec, s[0:1]
	v_cmp_gt_u32_e32 vcc, s26, v0
	s_waitcnt lgkmcnt(0)
	s_barrier
	s_and_saveexec_b64 s[0:1], vcc
	s_cbranch_execz .LBB1100_395
; %bb.393:
	s_mov_b32 s17, 0
	s_lshl_b64 s[4:5], s[22:23], 3
	s_lshl_b64 s[6:7], s[16:17], 3
	s_add_u32 s4, s4, s6
	s_addc_u32 s5, s5, s7
	s_add_u32 s4, s28, s4
	v_lshlrev_b32_e32 v14, 3, v0
	v_mov_b32_e32 v15, 0
	s_addc_u32 s5, s29, s5
	v_lshl_add_u64 v[16:17], s[4:5], 0, v[14:15]
	s_mov_b64 s[4:5], 0
	s_mov_b64 s[6:7], 0x1000
	v_mov_b32_e32 v15, v0
.LBB1100_394:                           ; =>This Inner Loop Header: Depth=1
	ds_read_b64 v[18:19], v14
	v_add_u32_e32 v15, 0x200, v15
	v_cmp_le_u32_e32 vcc, s26, v15
	v_add_u32_e32 v14, 0x1000, v14
	s_or_b64 s[4:5], vcc, s[4:5]
	s_waitcnt lgkmcnt(0)
	global_store_dwordx2 v[16:17], v[18:19], off
	v_lshl_add_u64 v[16:17], v[16:17], 0, s[6:7]
	s_andn2_b64 exec, exec, s[4:5]
	s_cbranch_execnz .LBB1100_394
.LBB1100_395:
	s_or_b64 exec, exec, s[0:1]
.LBB1100_396:
	s_mov_b64 s[0:1], -1
	s_and_b64 vcc, exec, s[2:3]
	s_barrier
	s_cbranch_vccnz .LBB1100_400
; %bb.397:
	s_and_b64 vcc, exec, s[0:1]
	s_cbranch_vccnz .LBB1100_422
.LBB1100_398:
	s_and_b64 s[0:1], s[18:19], s[24:25]
	s_and_saveexec_b64 s[2:3], s[0:1]
	s_cbranch_execnz .LBB1100_440
.LBB1100_399:
	s_endpgm
.LBB1100_400:
	s_add_i32 s2, s16, s26
	v_cmp_gt_u32_e32 vcc, s2, v46
	s_or_b64 s[4:5], s[34:35], vcc
	s_and_saveexec_b64 s[0:1], s[4:5]
	s_cbranch_execz .LBB1100_403
; %bb.401:
	v_cmp_eq_u32_e32 vcc, 1, v48
	s_and_b64 exec, exec, vcc
	s_cbranch_execz .LBB1100_403
; %bb.402:
	s_lshl_b64 s[4:5], s[22:23], 3
	s_add_u32 s4, s30, s4
	s_addc_u32 s5, s31, s5
	v_mov_b32_e32 v47, 0
	v_lshl_add_u64 v[14:15], v[46:47], 3, s[4:5]
	global_store_dwordx2 v[14:15], v[10:11], off
.LBB1100_403:
	s_or_b64 exec, exec, s[0:1]
	v_cmp_gt_u32_e32 vcc, s2, v44
	s_or_b64 s[4:5], s[34:35], vcc
	s_and_saveexec_b64 s[0:1], s[4:5]
	s_cbranch_execz .LBB1100_406
; %bb.404:
	v_and_b32_e32 v14, 1, v33
	v_cmp_eq_u32_e32 vcc, 1, v14
	s_and_b64 exec, exec, vcc
	s_cbranch_execz .LBB1100_406
; %bb.405:
	s_lshl_b64 s[4:5], s[22:23], 3
	s_add_u32 s4, s30, s4
	s_addc_u32 s5, s31, s5
	v_mov_b32_e32 v45, 0
	v_lshl_add_u64 v[14:15], v[44:45], 3, s[4:5]
	global_store_dwordx2 v[14:15], v[12:13], off
.LBB1100_406:
	s_or_b64 exec, exec, s[0:1]
	v_cmp_gt_u32_e32 vcc, s2, v42
	s_or_b64 s[4:5], s[34:35], vcc
	s_and_saveexec_b64 s[0:1], s[4:5]
	s_cbranch_execz .LBB1100_409
; %bb.407:
	v_mov_b32_e32 v14, 1
	v_and_b32_sdwa v14, v14, v30 dst_sel:DWORD dst_unused:UNUSED_PAD src0_sel:DWORD src1_sel:WORD_1
	v_cmp_eq_u32_e32 vcc, 1, v14
	s_and_b64 exec, exec, vcc
	s_cbranch_execz .LBB1100_409
; %bb.408:
	s_lshl_b64 s[4:5], s[22:23], 3
	s_add_u32 s4, s30, s4
	s_addc_u32 s5, s31, s5
	v_mov_b32_e32 v43, 0
	v_lshl_add_u64 v[14:15], v[42:43], 3, s[4:5]
	global_store_dwordx2 v[14:15], v[6:7], off
.LBB1100_409:
	s_or_b64 exec, exec, s[0:1]
	v_cmp_gt_u32_e32 vcc, s2, v40
	s_or_b64 s[4:5], s[34:35], vcc
	s_and_saveexec_b64 s[0:1], s[4:5]
	s_cbranch_execz .LBB1100_412
; %bb.410:
	v_and_b32_e32 v14, 1, v32
	v_cmp_eq_u32_e32 vcc, 1, v14
	s_and_b64 exec, exec, vcc
	s_cbranch_execz .LBB1100_412
; %bb.411:
	s_lshl_b64 s[4:5], s[22:23], 3
	s_add_u32 s4, s30, s4
	s_addc_u32 s5, s31, s5
	v_mov_b32_e32 v41, 0
	v_lshl_add_u64 v[14:15], v[40:41], 3, s[4:5]
	global_store_dwordx2 v[14:15], v[8:9], off
.LBB1100_412:
	s_or_b64 exec, exec, s[0:1]
	v_cmp_gt_u32_e32 vcc, s2, v38
	s_or_b64 s[4:5], s[34:35], vcc
	s_and_saveexec_b64 s[0:1], s[4:5]
	s_cbranch_execz .LBB1100_415
; %bb.413:
	v_and_b32_e32 v14, 1, v31
	v_cmp_eq_u32_e32 vcc, 1, v14
	s_and_b64 exec, exec, vcc
	s_cbranch_execz .LBB1100_415
; %bb.414:
	s_lshl_b64 s[4:5], s[22:23], 3
	s_add_u32 s4, s30, s4
	s_addc_u32 s5, s31, s5
	v_mov_b32_e32 v39, 0
	v_lshl_add_u64 v[14:15], v[38:39], 3, s[4:5]
	global_store_dwordx2 v[14:15], v[2:3], off
.LBB1100_415:
	;; [unrolled: 18-line block ×3, first 2 shown]
	s_or_b64 exec, exec, s[0:1]
	v_cmp_gt_u32_e32 vcc, s2, v34
	s_or_b64 s[2:3], s[34:35], vcc
	s_and_saveexec_b64 s[0:1], s[2:3]
	s_cbranch_execz .LBB1100_421
; %bb.419:
	v_mov_b32_e32 v14, 1
	v_and_b32_sdwa v14, v14, v31 dst_sel:DWORD dst_unused:UNUSED_PAD src0_sel:DWORD src1_sel:WORD_1
	v_cmp_eq_u32_e32 vcc, 1, v14
	s_and_b64 exec, exec, vcc
	s_cbranch_execz .LBB1100_421
; %bb.420:
	s_lshl_b64 s[2:3], s[22:23], 3
	s_add_u32 s2, s30, s2
	s_addc_u32 s3, s31, s3
	v_mov_b32_e32 v35, 0
	v_lshl_add_u64 v[14:15], v[34:35], 3, s[2:3]
	global_store_dwordx2 v[14:15], v[26:27], off
.LBB1100_421:
	s_or_b64 exec, exec, s[0:1]
	s_branch .LBB1100_398
.LBB1100_422:
	v_cmp_eq_u32_e32 vcc, 1, v48
	s_and_saveexec_b64 s[0:1], vcc
	s_cbranch_execz .LBB1100_424
; %bb.423:
	v_subrev_u32_e32 v14, s16, v46
	v_lshlrev_b32_e32 v14, 3, v14
	ds_write_b64 v14, v[10:11]
.LBB1100_424:
	s_or_b64 exec, exec, s[0:1]
	v_and_b32_e32 v10, 1, v33
	v_cmp_eq_u32_e32 vcc, 1, v10
	s_and_saveexec_b64 s[0:1], vcc
	s_cbranch_execz .LBB1100_426
; %bb.425:
	v_subrev_u32_e32 v10, s16, v44
	v_lshlrev_b32_e32 v10, 3, v10
	ds_write_b64 v10, v[12:13]
.LBB1100_426:
	s_or_b64 exec, exec, s[0:1]
	v_mov_b32_e32 v10, 1
	v_and_b32_sdwa v10, v10, v30 dst_sel:DWORD dst_unused:UNUSED_PAD src0_sel:DWORD src1_sel:WORD_1
	v_cmp_eq_u32_e32 vcc, 1, v10
	s_and_saveexec_b64 s[0:1], vcc
	s_cbranch_execz .LBB1100_428
; %bb.427:
	v_subrev_u32_e32 v10, s16, v42
	v_lshlrev_b32_e32 v10, 3, v10
	ds_write_b64 v10, v[6:7]
.LBB1100_428:
	s_or_b64 exec, exec, s[0:1]
	v_and_b32_e32 v6, 1, v32
	v_cmp_eq_u32_e32 vcc, 1, v6
	s_and_saveexec_b64 s[0:1], vcc
	s_cbranch_execz .LBB1100_430
; %bb.429:
	v_subrev_u32_e32 v6, s16, v40
	v_lshlrev_b32_e32 v6, 3, v6
	ds_write_b64 v6, v[8:9]
.LBB1100_430:
	s_or_b64 exec, exec, s[0:1]
	v_and_b32_e32 v6, 1, v31
	;; [unrolled: 10-line block ×3, first 2 shown]
	v_cmp_eq_u32_e32 vcc, 1, v1
	s_and_saveexec_b64 s[0:1], vcc
	s_cbranch_execz .LBB1100_434
; %bb.433:
	v_subrev_u32_e32 v1, s16, v36
	v_lshlrev_b32_e32 v1, 3, v1
	ds_write_b64 v1, v[4:5]
.LBB1100_434:
	s_or_b64 exec, exec, s[0:1]
	v_mov_b32_e32 v1, 1
	v_and_b32_sdwa v1, v1, v31 dst_sel:DWORD dst_unused:UNUSED_PAD src0_sel:DWORD src1_sel:WORD_1
	v_cmp_eq_u32_e32 vcc, 1, v1
	s_and_saveexec_b64 s[0:1], vcc
	s_cbranch_execz .LBB1100_436
; %bb.435:
	v_subrev_u32_e32 v1, s16, v34
	v_lshlrev_b32_e32 v1, 3, v1
	ds_write_b64 v1, v[26:27]
.LBB1100_436:
	s_or_b64 exec, exec, s[0:1]
	v_cmp_gt_u32_e32 vcc, s26, v0
	s_waitcnt lgkmcnt(0)
	s_barrier
	s_and_saveexec_b64 s[0:1], vcc
	s_cbranch_execz .LBB1100_439
; %bb.437:
	s_mov_b32 s17, 0
	s_lshl_b64 s[2:3], s[22:23], 3
	s_lshl_b64 s[4:5], s[16:17], 3
	s_add_u32 s2, s2, s4
	s_addc_u32 s3, s3, s5
	s_add_u32 s2, s30, s2
	v_lshlrev_b32_e32 v2, 3, v0
	v_mov_b32_e32 v3, 0
	s_addc_u32 s3, s31, s3
	v_lshl_add_u64 v[4:5], s[2:3], 0, v[2:3]
	s_mov_b64 s[2:3], 0
	s_mov_b64 s[4:5], 0x1000
.LBB1100_438:                           ; =>This Inner Loop Header: Depth=1
	ds_read_b64 v[6:7], v2
	v_add_u32_e32 v0, 0x200, v0
	v_cmp_le_u32_e32 vcc, s26, v0
	v_add_u32_e32 v2, 0x1000, v2
	s_or_b64 s[2:3], vcc, s[2:3]
	s_waitcnt lgkmcnt(0)
	global_store_dwordx2 v[4:5], v[6:7], off
	v_lshl_add_u64 v[4:5], v[4:5], 0, s[4:5]
	s_andn2_b64 exec, exec, s[2:3]
	s_cbranch_execnz .LBB1100_438
.LBB1100_439:
	s_or_b64 exec, exec, s[0:1]
	s_and_b64 s[0:1], s[18:19], s[24:25]
	s_and_saveexec_b64 s[2:3], s[0:1]
	s_cbranch_execz .LBB1100_399
.LBB1100_440:
	s_add_u32 s0, s22, s26
	s_addc_u32 s1, s23, 0
	s_add_u32 s0, s0, s16
	s_addc_u32 s1, s1, 0
	v_mov_b32_e32 v2, 0
	v_mov_b64_e32 v[0:1], s[0:1]
	global_store_dwordx2 v2, v[0:1], s[20:21]
	s_endpgm
	.section	.rodata,"a",@progbits
	.p2align	6, 0x0
	.amdhsa_kernel _ZN7rocprim17ROCPRIM_400000_NS6detail17trampoline_kernelINS0_14default_configENS1_25partition_config_selectorILNS1_17partition_subalgoE9EllbEEZZNS1_14partition_implILS5_9ELb0ES3_jPlS8_PNS0_10empty_typeENS0_5tupleIJS8_S9_EEENSB_IJS8_SA_EEENS0_18inequality_wrapperIZN2at6native12_GLOBAL__N_124unique_dim_cuda_templateIbEESt5tupleIJNSF_6TensorESK_SK_EERKSK_lbbbEUlllE0_EEPmJS9_EEE10hipError_tPvRmT3_T4_T5_T6_T7_T9_mT8_P12ihipStream_tbDpT10_ENKUlT_T0_E_clISt17integral_constantIbLb1EES1A_EEDaS15_S16_EUlS15_E_NS1_11comp_targetILNS1_3genE5ELNS1_11target_archE942ELNS1_3gpuE9ELNS1_3repE0EEENS1_30default_config_static_selectorELNS0_4arch9wavefront6targetE1EEEvT1_
		.amdhsa_group_segment_fixed_size 28684
		.amdhsa_private_segment_fixed_size 0
		.amdhsa_kernarg_size 136
		.amdhsa_user_sgpr_count 2
		.amdhsa_user_sgpr_dispatch_ptr 0
		.amdhsa_user_sgpr_queue_ptr 0
		.amdhsa_user_sgpr_kernarg_segment_ptr 1
		.amdhsa_user_sgpr_dispatch_id 0
		.amdhsa_user_sgpr_kernarg_preload_length 0
		.amdhsa_user_sgpr_kernarg_preload_offset 0
		.amdhsa_user_sgpr_private_segment_size 0
		.amdhsa_uses_dynamic_stack 0
		.amdhsa_enable_private_segment 0
		.amdhsa_system_sgpr_workgroup_id_x 1
		.amdhsa_system_sgpr_workgroup_id_y 0
		.amdhsa_system_sgpr_workgroup_id_z 0
		.amdhsa_system_sgpr_workgroup_info 0
		.amdhsa_system_vgpr_workitem_id 0
		.amdhsa_next_free_vgpr 66
		.amdhsa_next_free_sgpr 58
		.amdhsa_accum_offset 68
		.amdhsa_reserve_vcc 1
		.amdhsa_float_round_mode_32 0
		.amdhsa_float_round_mode_16_64 0
		.amdhsa_float_denorm_mode_32 3
		.amdhsa_float_denorm_mode_16_64 3
		.amdhsa_dx10_clamp 1
		.amdhsa_ieee_mode 1
		.amdhsa_fp16_overflow 0
		.amdhsa_tg_split 0
		.amdhsa_exception_fp_ieee_invalid_op 0
		.amdhsa_exception_fp_denorm_src 0
		.amdhsa_exception_fp_ieee_div_zero 0
		.amdhsa_exception_fp_ieee_overflow 0
		.amdhsa_exception_fp_ieee_underflow 0
		.amdhsa_exception_fp_ieee_inexact 0
		.amdhsa_exception_int_div_zero 0
	.end_amdhsa_kernel
	.section	.text._ZN7rocprim17ROCPRIM_400000_NS6detail17trampoline_kernelINS0_14default_configENS1_25partition_config_selectorILNS1_17partition_subalgoE9EllbEEZZNS1_14partition_implILS5_9ELb0ES3_jPlS8_PNS0_10empty_typeENS0_5tupleIJS8_S9_EEENSB_IJS8_SA_EEENS0_18inequality_wrapperIZN2at6native12_GLOBAL__N_124unique_dim_cuda_templateIbEESt5tupleIJNSF_6TensorESK_SK_EERKSK_lbbbEUlllE0_EEPmJS9_EEE10hipError_tPvRmT3_T4_T5_T6_T7_T9_mT8_P12ihipStream_tbDpT10_ENKUlT_T0_E_clISt17integral_constantIbLb1EES1A_EEDaS15_S16_EUlS15_E_NS1_11comp_targetILNS1_3genE5ELNS1_11target_archE942ELNS1_3gpuE9ELNS1_3repE0EEENS1_30default_config_static_selectorELNS0_4arch9wavefront6targetE1EEEvT1_,"axG",@progbits,_ZN7rocprim17ROCPRIM_400000_NS6detail17trampoline_kernelINS0_14default_configENS1_25partition_config_selectorILNS1_17partition_subalgoE9EllbEEZZNS1_14partition_implILS5_9ELb0ES3_jPlS8_PNS0_10empty_typeENS0_5tupleIJS8_S9_EEENSB_IJS8_SA_EEENS0_18inequality_wrapperIZN2at6native12_GLOBAL__N_124unique_dim_cuda_templateIbEESt5tupleIJNSF_6TensorESK_SK_EERKSK_lbbbEUlllE0_EEPmJS9_EEE10hipError_tPvRmT3_T4_T5_T6_T7_T9_mT8_P12ihipStream_tbDpT10_ENKUlT_T0_E_clISt17integral_constantIbLb1EES1A_EEDaS15_S16_EUlS15_E_NS1_11comp_targetILNS1_3genE5ELNS1_11target_archE942ELNS1_3gpuE9ELNS1_3repE0EEENS1_30default_config_static_selectorELNS0_4arch9wavefront6targetE1EEEvT1_,comdat
.Lfunc_end1100:
	.size	_ZN7rocprim17ROCPRIM_400000_NS6detail17trampoline_kernelINS0_14default_configENS1_25partition_config_selectorILNS1_17partition_subalgoE9EllbEEZZNS1_14partition_implILS5_9ELb0ES3_jPlS8_PNS0_10empty_typeENS0_5tupleIJS8_S9_EEENSB_IJS8_SA_EEENS0_18inequality_wrapperIZN2at6native12_GLOBAL__N_124unique_dim_cuda_templateIbEESt5tupleIJNSF_6TensorESK_SK_EERKSK_lbbbEUlllE0_EEPmJS9_EEE10hipError_tPvRmT3_T4_T5_T6_T7_T9_mT8_P12ihipStream_tbDpT10_ENKUlT_T0_E_clISt17integral_constantIbLb1EES1A_EEDaS15_S16_EUlS15_E_NS1_11comp_targetILNS1_3genE5ELNS1_11target_archE942ELNS1_3gpuE9ELNS1_3repE0EEENS1_30default_config_static_selectorELNS0_4arch9wavefront6targetE1EEEvT1_, .Lfunc_end1100-_ZN7rocprim17ROCPRIM_400000_NS6detail17trampoline_kernelINS0_14default_configENS1_25partition_config_selectorILNS1_17partition_subalgoE9EllbEEZZNS1_14partition_implILS5_9ELb0ES3_jPlS8_PNS0_10empty_typeENS0_5tupleIJS8_S9_EEENSB_IJS8_SA_EEENS0_18inequality_wrapperIZN2at6native12_GLOBAL__N_124unique_dim_cuda_templateIbEESt5tupleIJNSF_6TensorESK_SK_EERKSK_lbbbEUlllE0_EEPmJS9_EEE10hipError_tPvRmT3_T4_T5_T6_T7_T9_mT8_P12ihipStream_tbDpT10_ENKUlT_T0_E_clISt17integral_constantIbLb1EES1A_EEDaS15_S16_EUlS15_E_NS1_11comp_targetILNS1_3genE5ELNS1_11target_archE942ELNS1_3gpuE9ELNS1_3repE0EEENS1_30default_config_static_selectorELNS0_4arch9wavefront6targetE1EEEvT1_
                                        ; -- End function
	.section	.AMDGPU.csdata,"",@progbits
; Kernel info:
; codeLenInByte = 15704
; NumSgprs: 64
; NumVgprs: 66
; NumAgprs: 0
; TotalNumVgprs: 66
; ScratchSize: 0
; MemoryBound: 0
; FloatMode: 240
; IeeeMode: 1
; LDSByteSize: 28684 bytes/workgroup (compile time only)
; SGPRBlocks: 7
; VGPRBlocks: 8
; NumSGPRsForWavesPerEU: 64
; NumVGPRsForWavesPerEU: 66
; AccumOffset: 68
; Occupancy: 4
; WaveLimiterHint : 1
; COMPUTE_PGM_RSRC2:SCRATCH_EN: 0
; COMPUTE_PGM_RSRC2:USER_SGPR: 2
; COMPUTE_PGM_RSRC2:TRAP_HANDLER: 0
; COMPUTE_PGM_RSRC2:TGID_X_EN: 1
; COMPUTE_PGM_RSRC2:TGID_Y_EN: 0
; COMPUTE_PGM_RSRC2:TGID_Z_EN: 0
; COMPUTE_PGM_RSRC2:TIDIG_COMP_CNT: 0
; COMPUTE_PGM_RSRC3_GFX90A:ACCUM_OFFSET: 16
; COMPUTE_PGM_RSRC3_GFX90A:TG_SPLIT: 0
	.section	.text._ZN7rocprim17ROCPRIM_400000_NS6detail17trampoline_kernelINS0_14default_configENS1_25partition_config_selectorILNS1_17partition_subalgoE9EllbEEZZNS1_14partition_implILS5_9ELb0ES3_jPlS8_PNS0_10empty_typeENS0_5tupleIJS8_S9_EEENSB_IJS8_SA_EEENS0_18inequality_wrapperIZN2at6native12_GLOBAL__N_124unique_dim_cuda_templateIbEESt5tupleIJNSF_6TensorESK_SK_EERKSK_lbbbEUlllE0_EEPmJS9_EEE10hipError_tPvRmT3_T4_T5_T6_T7_T9_mT8_P12ihipStream_tbDpT10_ENKUlT_T0_E_clISt17integral_constantIbLb1EES1A_EEDaS15_S16_EUlS15_E_NS1_11comp_targetILNS1_3genE4ELNS1_11target_archE910ELNS1_3gpuE8ELNS1_3repE0EEENS1_30default_config_static_selectorELNS0_4arch9wavefront6targetE1EEEvT1_,"axG",@progbits,_ZN7rocprim17ROCPRIM_400000_NS6detail17trampoline_kernelINS0_14default_configENS1_25partition_config_selectorILNS1_17partition_subalgoE9EllbEEZZNS1_14partition_implILS5_9ELb0ES3_jPlS8_PNS0_10empty_typeENS0_5tupleIJS8_S9_EEENSB_IJS8_SA_EEENS0_18inequality_wrapperIZN2at6native12_GLOBAL__N_124unique_dim_cuda_templateIbEESt5tupleIJNSF_6TensorESK_SK_EERKSK_lbbbEUlllE0_EEPmJS9_EEE10hipError_tPvRmT3_T4_T5_T6_T7_T9_mT8_P12ihipStream_tbDpT10_ENKUlT_T0_E_clISt17integral_constantIbLb1EES1A_EEDaS15_S16_EUlS15_E_NS1_11comp_targetILNS1_3genE4ELNS1_11target_archE910ELNS1_3gpuE8ELNS1_3repE0EEENS1_30default_config_static_selectorELNS0_4arch9wavefront6targetE1EEEvT1_,comdat
	.globl	_ZN7rocprim17ROCPRIM_400000_NS6detail17trampoline_kernelINS0_14default_configENS1_25partition_config_selectorILNS1_17partition_subalgoE9EllbEEZZNS1_14partition_implILS5_9ELb0ES3_jPlS8_PNS0_10empty_typeENS0_5tupleIJS8_S9_EEENSB_IJS8_SA_EEENS0_18inequality_wrapperIZN2at6native12_GLOBAL__N_124unique_dim_cuda_templateIbEESt5tupleIJNSF_6TensorESK_SK_EERKSK_lbbbEUlllE0_EEPmJS9_EEE10hipError_tPvRmT3_T4_T5_T6_T7_T9_mT8_P12ihipStream_tbDpT10_ENKUlT_T0_E_clISt17integral_constantIbLb1EES1A_EEDaS15_S16_EUlS15_E_NS1_11comp_targetILNS1_3genE4ELNS1_11target_archE910ELNS1_3gpuE8ELNS1_3repE0EEENS1_30default_config_static_selectorELNS0_4arch9wavefront6targetE1EEEvT1_ ; -- Begin function _ZN7rocprim17ROCPRIM_400000_NS6detail17trampoline_kernelINS0_14default_configENS1_25partition_config_selectorILNS1_17partition_subalgoE9EllbEEZZNS1_14partition_implILS5_9ELb0ES3_jPlS8_PNS0_10empty_typeENS0_5tupleIJS8_S9_EEENSB_IJS8_SA_EEENS0_18inequality_wrapperIZN2at6native12_GLOBAL__N_124unique_dim_cuda_templateIbEESt5tupleIJNSF_6TensorESK_SK_EERKSK_lbbbEUlllE0_EEPmJS9_EEE10hipError_tPvRmT3_T4_T5_T6_T7_T9_mT8_P12ihipStream_tbDpT10_ENKUlT_T0_E_clISt17integral_constantIbLb1EES1A_EEDaS15_S16_EUlS15_E_NS1_11comp_targetILNS1_3genE4ELNS1_11target_archE910ELNS1_3gpuE8ELNS1_3repE0EEENS1_30default_config_static_selectorELNS0_4arch9wavefront6targetE1EEEvT1_
	.p2align	8
	.type	_ZN7rocprim17ROCPRIM_400000_NS6detail17trampoline_kernelINS0_14default_configENS1_25partition_config_selectorILNS1_17partition_subalgoE9EllbEEZZNS1_14partition_implILS5_9ELb0ES3_jPlS8_PNS0_10empty_typeENS0_5tupleIJS8_S9_EEENSB_IJS8_SA_EEENS0_18inequality_wrapperIZN2at6native12_GLOBAL__N_124unique_dim_cuda_templateIbEESt5tupleIJNSF_6TensorESK_SK_EERKSK_lbbbEUlllE0_EEPmJS9_EEE10hipError_tPvRmT3_T4_T5_T6_T7_T9_mT8_P12ihipStream_tbDpT10_ENKUlT_T0_E_clISt17integral_constantIbLb1EES1A_EEDaS15_S16_EUlS15_E_NS1_11comp_targetILNS1_3genE4ELNS1_11target_archE910ELNS1_3gpuE8ELNS1_3repE0EEENS1_30default_config_static_selectorELNS0_4arch9wavefront6targetE1EEEvT1_,@function
_ZN7rocprim17ROCPRIM_400000_NS6detail17trampoline_kernelINS0_14default_configENS1_25partition_config_selectorILNS1_17partition_subalgoE9EllbEEZZNS1_14partition_implILS5_9ELb0ES3_jPlS8_PNS0_10empty_typeENS0_5tupleIJS8_S9_EEENSB_IJS8_SA_EEENS0_18inequality_wrapperIZN2at6native12_GLOBAL__N_124unique_dim_cuda_templateIbEESt5tupleIJNSF_6TensorESK_SK_EERKSK_lbbbEUlllE0_EEPmJS9_EEE10hipError_tPvRmT3_T4_T5_T6_T7_T9_mT8_P12ihipStream_tbDpT10_ENKUlT_T0_E_clISt17integral_constantIbLb1EES1A_EEDaS15_S16_EUlS15_E_NS1_11comp_targetILNS1_3genE4ELNS1_11target_archE910ELNS1_3gpuE8ELNS1_3repE0EEENS1_30default_config_static_selectorELNS0_4arch9wavefront6targetE1EEEvT1_: ; @_ZN7rocprim17ROCPRIM_400000_NS6detail17trampoline_kernelINS0_14default_configENS1_25partition_config_selectorILNS1_17partition_subalgoE9EllbEEZZNS1_14partition_implILS5_9ELb0ES3_jPlS8_PNS0_10empty_typeENS0_5tupleIJS8_S9_EEENSB_IJS8_SA_EEENS0_18inequality_wrapperIZN2at6native12_GLOBAL__N_124unique_dim_cuda_templateIbEESt5tupleIJNSF_6TensorESK_SK_EERKSK_lbbbEUlllE0_EEPmJS9_EEE10hipError_tPvRmT3_T4_T5_T6_T7_T9_mT8_P12ihipStream_tbDpT10_ENKUlT_T0_E_clISt17integral_constantIbLb1EES1A_EEDaS15_S16_EUlS15_E_NS1_11comp_targetILNS1_3genE4ELNS1_11target_archE910ELNS1_3gpuE8ELNS1_3repE0EEENS1_30default_config_static_selectorELNS0_4arch9wavefront6targetE1EEEvT1_
; %bb.0:
	.section	.rodata,"a",@progbits
	.p2align	6, 0x0
	.amdhsa_kernel _ZN7rocprim17ROCPRIM_400000_NS6detail17trampoline_kernelINS0_14default_configENS1_25partition_config_selectorILNS1_17partition_subalgoE9EllbEEZZNS1_14partition_implILS5_9ELb0ES3_jPlS8_PNS0_10empty_typeENS0_5tupleIJS8_S9_EEENSB_IJS8_SA_EEENS0_18inequality_wrapperIZN2at6native12_GLOBAL__N_124unique_dim_cuda_templateIbEESt5tupleIJNSF_6TensorESK_SK_EERKSK_lbbbEUlllE0_EEPmJS9_EEE10hipError_tPvRmT3_T4_T5_T6_T7_T9_mT8_P12ihipStream_tbDpT10_ENKUlT_T0_E_clISt17integral_constantIbLb1EES1A_EEDaS15_S16_EUlS15_E_NS1_11comp_targetILNS1_3genE4ELNS1_11target_archE910ELNS1_3gpuE8ELNS1_3repE0EEENS1_30default_config_static_selectorELNS0_4arch9wavefront6targetE1EEEvT1_
		.amdhsa_group_segment_fixed_size 0
		.amdhsa_private_segment_fixed_size 0
		.amdhsa_kernarg_size 136
		.amdhsa_user_sgpr_count 2
		.amdhsa_user_sgpr_dispatch_ptr 0
		.amdhsa_user_sgpr_queue_ptr 0
		.amdhsa_user_sgpr_kernarg_segment_ptr 1
		.amdhsa_user_sgpr_dispatch_id 0
		.amdhsa_user_sgpr_kernarg_preload_length 0
		.amdhsa_user_sgpr_kernarg_preload_offset 0
		.amdhsa_user_sgpr_private_segment_size 0
		.amdhsa_uses_dynamic_stack 0
		.amdhsa_enable_private_segment 0
		.amdhsa_system_sgpr_workgroup_id_x 1
		.amdhsa_system_sgpr_workgroup_id_y 0
		.amdhsa_system_sgpr_workgroup_id_z 0
		.amdhsa_system_sgpr_workgroup_info 0
		.amdhsa_system_vgpr_workitem_id 0
		.amdhsa_next_free_vgpr 1
		.amdhsa_next_free_sgpr 0
		.amdhsa_accum_offset 4
		.amdhsa_reserve_vcc 0
		.amdhsa_float_round_mode_32 0
		.amdhsa_float_round_mode_16_64 0
		.amdhsa_float_denorm_mode_32 3
		.amdhsa_float_denorm_mode_16_64 3
		.amdhsa_dx10_clamp 1
		.amdhsa_ieee_mode 1
		.amdhsa_fp16_overflow 0
		.amdhsa_tg_split 0
		.amdhsa_exception_fp_ieee_invalid_op 0
		.amdhsa_exception_fp_denorm_src 0
		.amdhsa_exception_fp_ieee_div_zero 0
		.amdhsa_exception_fp_ieee_overflow 0
		.amdhsa_exception_fp_ieee_underflow 0
		.amdhsa_exception_fp_ieee_inexact 0
		.amdhsa_exception_int_div_zero 0
	.end_amdhsa_kernel
	.section	.text._ZN7rocprim17ROCPRIM_400000_NS6detail17trampoline_kernelINS0_14default_configENS1_25partition_config_selectorILNS1_17partition_subalgoE9EllbEEZZNS1_14partition_implILS5_9ELb0ES3_jPlS8_PNS0_10empty_typeENS0_5tupleIJS8_S9_EEENSB_IJS8_SA_EEENS0_18inequality_wrapperIZN2at6native12_GLOBAL__N_124unique_dim_cuda_templateIbEESt5tupleIJNSF_6TensorESK_SK_EERKSK_lbbbEUlllE0_EEPmJS9_EEE10hipError_tPvRmT3_T4_T5_T6_T7_T9_mT8_P12ihipStream_tbDpT10_ENKUlT_T0_E_clISt17integral_constantIbLb1EES1A_EEDaS15_S16_EUlS15_E_NS1_11comp_targetILNS1_3genE4ELNS1_11target_archE910ELNS1_3gpuE8ELNS1_3repE0EEENS1_30default_config_static_selectorELNS0_4arch9wavefront6targetE1EEEvT1_,"axG",@progbits,_ZN7rocprim17ROCPRIM_400000_NS6detail17trampoline_kernelINS0_14default_configENS1_25partition_config_selectorILNS1_17partition_subalgoE9EllbEEZZNS1_14partition_implILS5_9ELb0ES3_jPlS8_PNS0_10empty_typeENS0_5tupleIJS8_S9_EEENSB_IJS8_SA_EEENS0_18inequality_wrapperIZN2at6native12_GLOBAL__N_124unique_dim_cuda_templateIbEESt5tupleIJNSF_6TensorESK_SK_EERKSK_lbbbEUlllE0_EEPmJS9_EEE10hipError_tPvRmT3_T4_T5_T6_T7_T9_mT8_P12ihipStream_tbDpT10_ENKUlT_T0_E_clISt17integral_constantIbLb1EES1A_EEDaS15_S16_EUlS15_E_NS1_11comp_targetILNS1_3genE4ELNS1_11target_archE910ELNS1_3gpuE8ELNS1_3repE0EEENS1_30default_config_static_selectorELNS0_4arch9wavefront6targetE1EEEvT1_,comdat
.Lfunc_end1101:
	.size	_ZN7rocprim17ROCPRIM_400000_NS6detail17trampoline_kernelINS0_14default_configENS1_25partition_config_selectorILNS1_17partition_subalgoE9EllbEEZZNS1_14partition_implILS5_9ELb0ES3_jPlS8_PNS0_10empty_typeENS0_5tupleIJS8_S9_EEENSB_IJS8_SA_EEENS0_18inequality_wrapperIZN2at6native12_GLOBAL__N_124unique_dim_cuda_templateIbEESt5tupleIJNSF_6TensorESK_SK_EERKSK_lbbbEUlllE0_EEPmJS9_EEE10hipError_tPvRmT3_T4_T5_T6_T7_T9_mT8_P12ihipStream_tbDpT10_ENKUlT_T0_E_clISt17integral_constantIbLb1EES1A_EEDaS15_S16_EUlS15_E_NS1_11comp_targetILNS1_3genE4ELNS1_11target_archE910ELNS1_3gpuE8ELNS1_3repE0EEENS1_30default_config_static_selectorELNS0_4arch9wavefront6targetE1EEEvT1_, .Lfunc_end1101-_ZN7rocprim17ROCPRIM_400000_NS6detail17trampoline_kernelINS0_14default_configENS1_25partition_config_selectorILNS1_17partition_subalgoE9EllbEEZZNS1_14partition_implILS5_9ELb0ES3_jPlS8_PNS0_10empty_typeENS0_5tupleIJS8_S9_EEENSB_IJS8_SA_EEENS0_18inequality_wrapperIZN2at6native12_GLOBAL__N_124unique_dim_cuda_templateIbEESt5tupleIJNSF_6TensorESK_SK_EERKSK_lbbbEUlllE0_EEPmJS9_EEE10hipError_tPvRmT3_T4_T5_T6_T7_T9_mT8_P12ihipStream_tbDpT10_ENKUlT_T0_E_clISt17integral_constantIbLb1EES1A_EEDaS15_S16_EUlS15_E_NS1_11comp_targetILNS1_3genE4ELNS1_11target_archE910ELNS1_3gpuE8ELNS1_3repE0EEENS1_30default_config_static_selectorELNS0_4arch9wavefront6targetE1EEEvT1_
                                        ; -- End function
	.section	.AMDGPU.csdata,"",@progbits
; Kernel info:
; codeLenInByte = 0
; NumSgprs: 6
; NumVgprs: 0
; NumAgprs: 0
; TotalNumVgprs: 0
; ScratchSize: 0
; MemoryBound: 0
; FloatMode: 240
; IeeeMode: 1
; LDSByteSize: 0 bytes/workgroup (compile time only)
; SGPRBlocks: 0
; VGPRBlocks: 0
; NumSGPRsForWavesPerEU: 6
; NumVGPRsForWavesPerEU: 1
; AccumOffset: 4
; Occupancy: 8
; WaveLimiterHint : 0
; COMPUTE_PGM_RSRC2:SCRATCH_EN: 0
; COMPUTE_PGM_RSRC2:USER_SGPR: 2
; COMPUTE_PGM_RSRC2:TRAP_HANDLER: 0
; COMPUTE_PGM_RSRC2:TGID_X_EN: 1
; COMPUTE_PGM_RSRC2:TGID_Y_EN: 0
; COMPUTE_PGM_RSRC2:TGID_Z_EN: 0
; COMPUTE_PGM_RSRC2:TIDIG_COMP_CNT: 0
; COMPUTE_PGM_RSRC3_GFX90A:ACCUM_OFFSET: 0
; COMPUTE_PGM_RSRC3_GFX90A:TG_SPLIT: 0
	.section	.text._ZN7rocprim17ROCPRIM_400000_NS6detail17trampoline_kernelINS0_14default_configENS1_25partition_config_selectorILNS1_17partition_subalgoE9EllbEEZZNS1_14partition_implILS5_9ELb0ES3_jPlS8_PNS0_10empty_typeENS0_5tupleIJS8_S9_EEENSB_IJS8_SA_EEENS0_18inequality_wrapperIZN2at6native12_GLOBAL__N_124unique_dim_cuda_templateIbEESt5tupleIJNSF_6TensorESK_SK_EERKSK_lbbbEUlllE0_EEPmJS9_EEE10hipError_tPvRmT3_T4_T5_T6_T7_T9_mT8_P12ihipStream_tbDpT10_ENKUlT_T0_E_clISt17integral_constantIbLb1EES1A_EEDaS15_S16_EUlS15_E_NS1_11comp_targetILNS1_3genE3ELNS1_11target_archE908ELNS1_3gpuE7ELNS1_3repE0EEENS1_30default_config_static_selectorELNS0_4arch9wavefront6targetE1EEEvT1_,"axG",@progbits,_ZN7rocprim17ROCPRIM_400000_NS6detail17trampoline_kernelINS0_14default_configENS1_25partition_config_selectorILNS1_17partition_subalgoE9EllbEEZZNS1_14partition_implILS5_9ELb0ES3_jPlS8_PNS0_10empty_typeENS0_5tupleIJS8_S9_EEENSB_IJS8_SA_EEENS0_18inequality_wrapperIZN2at6native12_GLOBAL__N_124unique_dim_cuda_templateIbEESt5tupleIJNSF_6TensorESK_SK_EERKSK_lbbbEUlllE0_EEPmJS9_EEE10hipError_tPvRmT3_T4_T5_T6_T7_T9_mT8_P12ihipStream_tbDpT10_ENKUlT_T0_E_clISt17integral_constantIbLb1EES1A_EEDaS15_S16_EUlS15_E_NS1_11comp_targetILNS1_3genE3ELNS1_11target_archE908ELNS1_3gpuE7ELNS1_3repE0EEENS1_30default_config_static_selectorELNS0_4arch9wavefront6targetE1EEEvT1_,comdat
	.globl	_ZN7rocprim17ROCPRIM_400000_NS6detail17trampoline_kernelINS0_14default_configENS1_25partition_config_selectorILNS1_17partition_subalgoE9EllbEEZZNS1_14partition_implILS5_9ELb0ES3_jPlS8_PNS0_10empty_typeENS0_5tupleIJS8_S9_EEENSB_IJS8_SA_EEENS0_18inequality_wrapperIZN2at6native12_GLOBAL__N_124unique_dim_cuda_templateIbEESt5tupleIJNSF_6TensorESK_SK_EERKSK_lbbbEUlllE0_EEPmJS9_EEE10hipError_tPvRmT3_T4_T5_T6_T7_T9_mT8_P12ihipStream_tbDpT10_ENKUlT_T0_E_clISt17integral_constantIbLb1EES1A_EEDaS15_S16_EUlS15_E_NS1_11comp_targetILNS1_3genE3ELNS1_11target_archE908ELNS1_3gpuE7ELNS1_3repE0EEENS1_30default_config_static_selectorELNS0_4arch9wavefront6targetE1EEEvT1_ ; -- Begin function _ZN7rocprim17ROCPRIM_400000_NS6detail17trampoline_kernelINS0_14default_configENS1_25partition_config_selectorILNS1_17partition_subalgoE9EllbEEZZNS1_14partition_implILS5_9ELb0ES3_jPlS8_PNS0_10empty_typeENS0_5tupleIJS8_S9_EEENSB_IJS8_SA_EEENS0_18inequality_wrapperIZN2at6native12_GLOBAL__N_124unique_dim_cuda_templateIbEESt5tupleIJNSF_6TensorESK_SK_EERKSK_lbbbEUlllE0_EEPmJS9_EEE10hipError_tPvRmT3_T4_T5_T6_T7_T9_mT8_P12ihipStream_tbDpT10_ENKUlT_T0_E_clISt17integral_constantIbLb1EES1A_EEDaS15_S16_EUlS15_E_NS1_11comp_targetILNS1_3genE3ELNS1_11target_archE908ELNS1_3gpuE7ELNS1_3repE0EEENS1_30default_config_static_selectorELNS0_4arch9wavefront6targetE1EEEvT1_
	.p2align	8
	.type	_ZN7rocprim17ROCPRIM_400000_NS6detail17trampoline_kernelINS0_14default_configENS1_25partition_config_selectorILNS1_17partition_subalgoE9EllbEEZZNS1_14partition_implILS5_9ELb0ES3_jPlS8_PNS0_10empty_typeENS0_5tupleIJS8_S9_EEENSB_IJS8_SA_EEENS0_18inequality_wrapperIZN2at6native12_GLOBAL__N_124unique_dim_cuda_templateIbEESt5tupleIJNSF_6TensorESK_SK_EERKSK_lbbbEUlllE0_EEPmJS9_EEE10hipError_tPvRmT3_T4_T5_T6_T7_T9_mT8_P12ihipStream_tbDpT10_ENKUlT_T0_E_clISt17integral_constantIbLb1EES1A_EEDaS15_S16_EUlS15_E_NS1_11comp_targetILNS1_3genE3ELNS1_11target_archE908ELNS1_3gpuE7ELNS1_3repE0EEENS1_30default_config_static_selectorELNS0_4arch9wavefront6targetE1EEEvT1_,@function
_ZN7rocprim17ROCPRIM_400000_NS6detail17trampoline_kernelINS0_14default_configENS1_25partition_config_selectorILNS1_17partition_subalgoE9EllbEEZZNS1_14partition_implILS5_9ELb0ES3_jPlS8_PNS0_10empty_typeENS0_5tupleIJS8_S9_EEENSB_IJS8_SA_EEENS0_18inequality_wrapperIZN2at6native12_GLOBAL__N_124unique_dim_cuda_templateIbEESt5tupleIJNSF_6TensorESK_SK_EERKSK_lbbbEUlllE0_EEPmJS9_EEE10hipError_tPvRmT3_T4_T5_T6_T7_T9_mT8_P12ihipStream_tbDpT10_ENKUlT_T0_E_clISt17integral_constantIbLb1EES1A_EEDaS15_S16_EUlS15_E_NS1_11comp_targetILNS1_3genE3ELNS1_11target_archE908ELNS1_3gpuE7ELNS1_3repE0EEENS1_30default_config_static_selectorELNS0_4arch9wavefront6targetE1EEEvT1_: ; @_ZN7rocprim17ROCPRIM_400000_NS6detail17trampoline_kernelINS0_14default_configENS1_25partition_config_selectorILNS1_17partition_subalgoE9EllbEEZZNS1_14partition_implILS5_9ELb0ES3_jPlS8_PNS0_10empty_typeENS0_5tupleIJS8_S9_EEENSB_IJS8_SA_EEENS0_18inequality_wrapperIZN2at6native12_GLOBAL__N_124unique_dim_cuda_templateIbEESt5tupleIJNSF_6TensorESK_SK_EERKSK_lbbbEUlllE0_EEPmJS9_EEE10hipError_tPvRmT3_T4_T5_T6_T7_T9_mT8_P12ihipStream_tbDpT10_ENKUlT_T0_E_clISt17integral_constantIbLb1EES1A_EEDaS15_S16_EUlS15_E_NS1_11comp_targetILNS1_3genE3ELNS1_11target_archE908ELNS1_3gpuE7ELNS1_3repE0EEENS1_30default_config_static_selectorELNS0_4arch9wavefront6targetE1EEEvT1_
; %bb.0:
	.section	.rodata,"a",@progbits
	.p2align	6, 0x0
	.amdhsa_kernel _ZN7rocprim17ROCPRIM_400000_NS6detail17trampoline_kernelINS0_14default_configENS1_25partition_config_selectorILNS1_17partition_subalgoE9EllbEEZZNS1_14partition_implILS5_9ELb0ES3_jPlS8_PNS0_10empty_typeENS0_5tupleIJS8_S9_EEENSB_IJS8_SA_EEENS0_18inequality_wrapperIZN2at6native12_GLOBAL__N_124unique_dim_cuda_templateIbEESt5tupleIJNSF_6TensorESK_SK_EERKSK_lbbbEUlllE0_EEPmJS9_EEE10hipError_tPvRmT3_T4_T5_T6_T7_T9_mT8_P12ihipStream_tbDpT10_ENKUlT_T0_E_clISt17integral_constantIbLb1EES1A_EEDaS15_S16_EUlS15_E_NS1_11comp_targetILNS1_3genE3ELNS1_11target_archE908ELNS1_3gpuE7ELNS1_3repE0EEENS1_30default_config_static_selectorELNS0_4arch9wavefront6targetE1EEEvT1_
		.amdhsa_group_segment_fixed_size 0
		.amdhsa_private_segment_fixed_size 0
		.amdhsa_kernarg_size 136
		.amdhsa_user_sgpr_count 2
		.amdhsa_user_sgpr_dispatch_ptr 0
		.amdhsa_user_sgpr_queue_ptr 0
		.amdhsa_user_sgpr_kernarg_segment_ptr 1
		.amdhsa_user_sgpr_dispatch_id 0
		.amdhsa_user_sgpr_kernarg_preload_length 0
		.amdhsa_user_sgpr_kernarg_preload_offset 0
		.amdhsa_user_sgpr_private_segment_size 0
		.amdhsa_uses_dynamic_stack 0
		.amdhsa_enable_private_segment 0
		.amdhsa_system_sgpr_workgroup_id_x 1
		.amdhsa_system_sgpr_workgroup_id_y 0
		.amdhsa_system_sgpr_workgroup_id_z 0
		.amdhsa_system_sgpr_workgroup_info 0
		.amdhsa_system_vgpr_workitem_id 0
		.amdhsa_next_free_vgpr 1
		.amdhsa_next_free_sgpr 0
		.amdhsa_accum_offset 4
		.amdhsa_reserve_vcc 0
		.amdhsa_float_round_mode_32 0
		.amdhsa_float_round_mode_16_64 0
		.amdhsa_float_denorm_mode_32 3
		.amdhsa_float_denorm_mode_16_64 3
		.amdhsa_dx10_clamp 1
		.amdhsa_ieee_mode 1
		.amdhsa_fp16_overflow 0
		.amdhsa_tg_split 0
		.amdhsa_exception_fp_ieee_invalid_op 0
		.amdhsa_exception_fp_denorm_src 0
		.amdhsa_exception_fp_ieee_div_zero 0
		.amdhsa_exception_fp_ieee_overflow 0
		.amdhsa_exception_fp_ieee_underflow 0
		.amdhsa_exception_fp_ieee_inexact 0
		.amdhsa_exception_int_div_zero 0
	.end_amdhsa_kernel
	.section	.text._ZN7rocprim17ROCPRIM_400000_NS6detail17trampoline_kernelINS0_14default_configENS1_25partition_config_selectorILNS1_17partition_subalgoE9EllbEEZZNS1_14partition_implILS5_9ELb0ES3_jPlS8_PNS0_10empty_typeENS0_5tupleIJS8_S9_EEENSB_IJS8_SA_EEENS0_18inequality_wrapperIZN2at6native12_GLOBAL__N_124unique_dim_cuda_templateIbEESt5tupleIJNSF_6TensorESK_SK_EERKSK_lbbbEUlllE0_EEPmJS9_EEE10hipError_tPvRmT3_T4_T5_T6_T7_T9_mT8_P12ihipStream_tbDpT10_ENKUlT_T0_E_clISt17integral_constantIbLb1EES1A_EEDaS15_S16_EUlS15_E_NS1_11comp_targetILNS1_3genE3ELNS1_11target_archE908ELNS1_3gpuE7ELNS1_3repE0EEENS1_30default_config_static_selectorELNS0_4arch9wavefront6targetE1EEEvT1_,"axG",@progbits,_ZN7rocprim17ROCPRIM_400000_NS6detail17trampoline_kernelINS0_14default_configENS1_25partition_config_selectorILNS1_17partition_subalgoE9EllbEEZZNS1_14partition_implILS5_9ELb0ES3_jPlS8_PNS0_10empty_typeENS0_5tupleIJS8_S9_EEENSB_IJS8_SA_EEENS0_18inequality_wrapperIZN2at6native12_GLOBAL__N_124unique_dim_cuda_templateIbEESt5tupleIJNSF_6TensorESK_SK_EERKSK_lbbbEUlllE0_EEPmJS9_EEE10hipError_tPvRmT3_T4_T5_T6_T7_T9_mT8_P12ihipStream_tbDpT10_ENKUlT_T0_E_clISt17integral_constantIbLb1EES1A_EEDaS15_S16_EUlS15_E_NS1_11comp_targetILNS1_3genE3ELNS1_11target_archE908ELNS1_3gpuE7ELNS1_3repE0EEENS1_30default_config_static_selectorELNS0_4arch9wavefront6targetE1EEEvT1_,comdat
.Lfunc_end1102:
	.size	_ZN7rocprim17ROCPRIM_400000_NS6detail17trampoline_kernelINS0_14default_configENS1_25partition_config_selectorILNS1_17partition_subalgoE9EllbEEZZNS1_14partition_implILS5_9ELb0ES3_jPlS8_PNS0_10empty_typeENS0_5tupleIJS8_S9_EEENSB_IJS8_SA_EEENS0_18inequality_wrapperIZN2at6native12_GLOBAL__N_124unique_dim_cuda_templateIbEESt5tupleIJNSF_6TensorESK_SK_EERKSK_lbbbEUlllE0_EEPmJS9_EEE10hipError_tPvRmT3_T4_T5_T6_T7_T9_mT8_P12ihipStream_tbDpT10_ENKUlT_T0_E_clISt17integral_constantIbLb1EES1A_EEDaS15_S16_EUlS15_E_NS1_11comp_targetILNS1_3genE3ELNS1_11target_archE908ELNS1_3gpuE7ELNS1_3repE0EEENS1_30default_config_static_selectorELNS0_4arch9wavefront6targetE1EEEvT1_, .Lfunc_end1102-_ZN7rocprim17ROCPRIM_400000_NS6detail17trampoline_kernelINS0_14default_configENS1_25partition_config_selectorILNS1_17partition_subalgoE9EllbEEZZNS1_14partition_implILS5_9ELb0ES3_jPlS8_PNS0_10empty_typeENS0_5tupleIJS8_S9_EEENSB_IJS8_SA_EEENS0_18inequality_wrapperIZN2at6native12_GLOBAL__N_124unique_dim_cuda_templateIbEESt5tupleIJNSF_6TensorESK_SK_EERKSK_lbbbEUlllE0_EEPmJS9_EEE10hipError_tPvRmT3_T4_T5_T6_T7_T9_mT8_P12ihipStream_tbDpT10_ENKUlT_T0_E_clISt17integral_constantIbLb1EES1A_EEDaS15_S16_EUlS15_E_NS1_11comp_targetILNS1_3genE3ELNS1_11target_archE908ELNS1_3gpuE7ELNS1_3repE0EEENS1_30default_config_static_selectorELNS0_4arch9wavefront6targetE1EEEvT1_
                                        ; -- End function
	.section	.AMDGPU.csdata,"",@progbits
; Kernel info:
; codeLenInByte = 0
; NumSgprs: 6
; NumVgprs: 0
; NumAgprs: 0
; TotalNumVgprs: 0
; ScratchSize: 0
; MemoryBound: 0
; FloatMode: 240
; IeeeMode: 1
; LDSByteSize: 0 bytes/workgroup (compile time only)
; SGPRBlocks: 0
; VGPRBlocks: 0
; NumSGPRsForWavesPerEU: 6
; NumVGPRsForWavesPerEU: 1
; AccumOffset: 4
; Occupancy: 8
; WaveLimiterHint : 0
; COMPUTE_PGM_RSRC2:SCRATCH_EN: 0
; COMPUTE_PGM_RSRC2:USER_SGPR: 2
; COMPUTE_PGM_RSRC2:TRAP_HANDLER: 0
; COMPUTE_PGM_RSRC2:TGID_X_EN: 1
; COMPUTE_PGM_RSRC2:TGID_Y_EN: 0
; COMPUTE_PGM_RSRC2:TGID_Z_EN: 0
; COMPUTE_PGM_RSRC2:TIDIG_COMP_CNT: 0
; COMPUTE_PGM_RSRC3_GFX90A:ACCUM_OFFSET: 0
; COMPUTE_PGM_RSRC3_GFX90A:TG_SPLIT: 0
	.section	.text._ZN7rocprim17ROCPRIM_400000_NS6detail17trampoline_kernelINS0_14default_configENS1_25partition_config_selectorILNS1_17partition_subalgoE9EllbEEZZNS1_14partition_implILS5_9ELb0ES3_jPlS8_PNS0_10empty_typeENS0_5tupleIJS8_S9_EEENSB_IJS8_SA_EEENS0_18inequality_wrapperIZN2at6native12_GLOBAL__N_124unique_dim_cuda_templateIbEESt5tupleIJNSF_6TensorESK_SK_EERKSK_lbbbEUlllE0_EEPmJS9_EEE10hipError_tPvRmT3_T4_T5_T6_T7_T9_mT8_P12ihipStream_tbDpT10_ENKUlT_T0_E_clISt17integral_constantIbLb1EES1A_EEDaS15_S16_EUlS15_E_NS1_11comp_targetILNS1_3genE2ELNS1_11target_archE906ELNS1_3gpuE6ELNS1_3repE0EEENS1_30default_config_static_selectorELNS0_4arch9wavefront6targetE1EEEvT1_,"axG",@progbits,_ZN7rocprim17ROCPRIM_400000_NS6detail17trampoline_kernelINS0_14default_configENS1_25partition_config_selectorILNS1_17partition_subalgoE9EllbEEZZNS1_14partition_implILS5_9ELb0ES3_jPlS8_PNS0_10empty_typeENS0_5tupleIJS8_S9_EEENSB_IJS8_SA_EEENS0_18inequality_wrapperIZN2at6native12_GLOBAL__N_124unique_dim_cuda_templateIbEESt5tupleIJNSF_6TensorESK_SK_EERKSK_lbbbEUlllE0_EEPmJS9_EEE10hipError_tPvRmT3_T4_T5_T6_T7_T9_mT8_P12ihipStream_tbDpT10_ENKUlT_T0_E_clISt17integral_constantIbLb1EES1A_EEDaS15_S16_EUlS15_E_NS1_11comp_targetILNS1_3genE2ELNS1_11target_archE906ELNS1_3gpuE6ELNS1_3repE0EEENS1_30default_config_static_selectorELNS0_4arch9wavefront6targetE1EEEvT1_,comdat
	.globl	_ZN7rocprim17ROCPRIM_400000_NS6detail17trampoline_kernelINS0_14default_configENS1_25partition_config_selectorILNS1_17partition_subalgoE9EllbEEZZNS1_14partition_implILS5_9ELb0ES3_jPlS8_PNS0_10empty_typeENS0_5tupleIJS8_S9_EEENSB_IJS8_SA_EEENS0_18inequality_wrapperIZN2at6native12_GLOBAL__N_124unique_dim_cuda_templateIbEESt5tupleIJNSF_6TensorESK_SK_EERKSK_lbbbEUlllE0_EEPmJS9_EEE10hipError_tPvRmT3_T4_T5_T6_T7_T9_mT8_P12ihipStream_tbDpT10_ENKUlT_T0_E_clISt17integral_constantIbLb1EES1A_EEDaS15_S16_EUlS15_E_NS1_11comp_targetILNS1_3genE2ELNS1_11target_archE906ELNS1_3gpuE6ELNS1_3repE0EEENS1_30default_config_static_selectorELNS0_4arch9wavefront6targetE1EEEvT1_ ; -- Begin function _ZN7rocprim17ROCPRIM_400000_NS6detail17trampoline_kernelINS0_14default_configENS1_25partition_config_selectorILNS1_17partition_subalgoE9EllbEEZZNS1_14partition_implILS5_9ELb0ES3_jPlS8_PNS0_10empty_typeENS0_5tupleIJS8_S9_EEENSB_IJS8_SA_EEENS0_18inequality_wrapperIZN2at6native12_GLOBAL__N_124unique_dim_cuda_templateIbEESt5tupleIJNSF_6TensorESK_SK_EERKSK_lbbbEUlllE0_EEPmJS9_EEE10hipError_tPvRmT3_T4_T5_T6_T7_T9_mT8_P12ihipStream_tbDpT10_ENKUlT_T0_E_clISt17integral_constantIbLb1EES1A_EEDaS15_S16_EUlS15_E_NS1_11comp_targetILNS1_3genE2ELNS1_11target_archE906ELNS1_3gpuE6ELNS1_3repE0EEENS1_30default_config_static_selectorELNS0_4arch9wavefront6targetE1EEEvT1_
	.p2align	8
	.type	_ZN7rocprim17ROCPRIM_400000_NS6detail17trampoline_kernelINS0_14default_configENS1_25partition_config_selectorILNS1_17partition_subalgoE9EllbEEZZNS1_14partition_implILS5_9ELb0ES3_jPlS8_PNS0_10empty_typeENS0_5tupleIJS8_S9_EEENSB_IJS8_SA_EEENS0_18inequality_wrapperIZN2at6native12_GLOBAL__N_124unique_dim_cuda_templateIbEESt5tupleIJNSF_6TensorESK_SK_EERKSK_lbbbEUlllE0_EEPmJS9_EEE10hipError_tPvRmT3_T4_T5_T6_T7_T9_mT8_P12ihipStream_tbDpT10_ENKUlT_T0_E_clISt17integral_constantIbLb1EES1A_EEDaS15_S16_EUlS15_E_NS1_11comp_targetILNS1_3genE2ELNS1_11target_archE906ELNS1_3gpuE6ELNS1_3repE0EEENS1_30default_config_static_selectorELNS0_4arch9wavefront6targetE1EEEvT1_,@function
_ZN7rocprim17ROCPRIM_400000_NS6detail17trampoline_kernelINS0_14default_configENS1_25partition_config_selectorILNS1_17partition_subalgoE9EllbEEZZNS1_14partition_implILS5_9ELb0ES3_jPlS8_PNS0_10empty_typeENS0_5tupleIJS8_S9_EEENSB_IJS8_SA_EEENS0_18inequality_wrapperIZN2at6native12_GLOBAL__N_124unique_dim_cuda_templateIbEESt5tupleIJNSF_6TensorESK_SK_EERKSK_lbbbEUlllE0_EEPmJS9_EEE10hipError_tPvRmT3_T4_T5_T6_T7_T9_mT8_P12ihipStream_tbDpT10_ENKUlT_T0_E_clISt17integral_constantIbLb1EES1A_EEDaS15_S16_EUlS15_E_NS1_11comp_targetILNS1_3genE2ELNS1_11target_archE906ELNS1_3gpuE6ELNS1_3repE0EEENS1_30default_config_static_selectorELNS0_4arch9wavefront6targetE1EEEvT1_: ; @_ZN7rocprim17ROCPRIM_400000_NS6detail17trampoline_kernelINS0_14default_configENS1_25partition_config_selectorILNS1_17partition_subalgoE9EllbEEZZNS1_14partition_implILS5_9ELb0ES3_jPlS8_PNS0_10empty_typeENS0_5tupleIJS8_S9_EEENSB_IJS8_SA_EEENS0_18inequality_wrapperIZN2at6native12_GLOBAL__N_124unique_dim_cuda_templateIbEESt5tupleIJNSF_6TensorESK_SK_EERKSK_lbbbEUlllE0_EEPmJS9_EEE10hipError_tPvRmT3_T4_T5_T6_T7_T9_mT8_P12ihipStream_tbDpT10_ENKUlT_T0_E_clISt17integral_constantIbLb1EES1A_EEDaS15_S16_EUlS15_E_NS1_11comp_targetILNS1_3genE2ELNS1_11target_archE906ELNS1_3gpuE6ELNS1_3repE0EEENS1_30default_config_static_selectorELNS0_4arch9wavefront6targetE1EEEvT1_
; %bb.0:
	.section	.rodata,"a",@progbits
	.p2align	6, 0x0
	.amdhsa_kernel _ZN7rocprim17ROCPRIM_400000_NS6detail17trampoline_kernelINS0_14default_configENS1_25partition_config_selectorILNS1_17partition_subalgoE9EllbEEZZNS1_14partition_implILS5_9ELb0ES3_jPlS8_PNS0_10empty_typeENS0_5tupleIJS8_S9_EEENSB_IJS8_SA_EEENS0_18inequality_wrapperIZN2at6native12_GLOBAL__N_124unique_dim_cuda_templateIbEESt5tupleIJNSF_6TensorESK_SK_EERKSK_lbbbEUlllE0_EEPmJS9_EEE10hipError_tPvRmT3_T4_T5_T6_T7_T9_mT8_P12ihipStream_tbDpT10_ENKUlT_T0_E_clISt17integral_constantIbLb1EES1A_EEDaS15_S16_EUlS15_E_NS1_11comp_targetILNS1_3genE2ELNS1_11target_archE906ELNS1_3gpuE6ELNS1_3repE0EEENS1_30default_config_static_selectorELNS0_4arch9wavefront6targetE1EEEvT1_
		.amdhsa_group_segment_fixed_size 0
		.amdhsa_private_segment_fixed_size 0
		.amdhsa_kernarg_size 136
		.amdhsa_user_sgpr_count 2
		.amdhsa_user_sgpr_dispatch_ptr 0
		.amdhsa_user_sgpr_queue_ptr 0
		.amdhsa_user_sgpr_kernarg_segment_ptr 1
		.amdhsa_user_sgpr_dispatch_id 0
		.amdhsa_user_sgpr_kernarg_preload_length 0
		.amdhsa_user_sgpr_kernarg_preload_offset 0
		.amdhsa_user_sgpr_private_segment_size 0
		.amdhsa_uses_dynamic_stack 0
		.amdhsa_enable_private_segment 0
		.amdhsa_system_sgpr_workgroup_id_x 1
		.amdhsa_system_sgpr_workgroup_id_y 0
		.amdhsa_system_sgpr_workgroup_id_z 0
		.amdhsa_system_sgpr_workgroup_info 0
		.amdhsa_system_vgpr_workitem_id 0
		.amdhsa_next_free_vgpr 1
		.amdhsa_next_free_sgpr 0
		.amdhsa_accum_offset 4
		.amdhsa_reserve_vcc 0
		.amdhsa_float_round_mode_32 0
		.amdhsa_float_round_mode_16_64 0
		.amdhsa_float_denorm_mode_32 3
		.amdhsa_float_denorm_mode_16_64 3
		.amdhsa_dx10_clamp 1
		.amdhsa_ieee_mode 1
		.amdhsa_fp16_overflow 0
		.amdhsa_tg_split 0
		.amdhsa_exception_fp_ieee_invalid_op 0
		.amdhsa_exception_fp_denorm_src 0
		.amdhsa_exception_fp_ieee_div_zero 0
		.amdhsa_exception_fp_ieee_overflow 0
		.amdhsa_exception_fp_ieee_underflow 0
		.amdhsa_exception_fp_ieee_inexact 0
		.amdhsa_exception_int_div_zero 0
	.end_amdhsa_kernel
	.section	.text._ZN7rocprim17ROCPRIM_400000_NS6detail17trampoline_kernelINS0_14default_configENS1_25partition_config_selectorILNS1_17partition_subalgoE9EllbEEZZNS1_14partition_implILS5_9ELb0ES3_jPlS8_PNS0_10empty_typeENS0_5tupleIJS8_S9_EEENSB_IJS8_SA_EEENS0_18inequality_wrapperIZN2at6native12_GLOBAL__N_124unique_dim_cuda_templateIbEESt5tupleIJNSF_6TensorESK_SK_EERKSK_lbbbEUlllE0_EEPmJS9_EEE10hipError_tPvRmT3_T4_T5_T6_T7_T9_mT8_P12ihipStream_tbDpT10_ENKUlT_T0_E_clISt17integral_constantIbLb1EES1A_EEDaS15_S16_EUlS15_E_NS1_11comp_targetILNS1_3genE2ELNS1_11target_archE906ELNS1_3gpuE6ELNS1_3repE0EEENS1_30default_config_static_selectorELNS0_4arch9wavefront6targetE1EEEvT1_,"axG",@progbits,_ZN7rocprim17ROCPRIM_400000_NS6detail17trampoline_kernelINS0_14default_configENS1_25partition_config_selectorILNS1_17partition_subalgoE9EllbEEZZNS1_14partition_implILS5_9ELb0ES3_jPlS8_PNS0_10empty_typeENS0_5tupleIJS8_S9_EEENSB_IJS8_SA_EEENS0_18inequality_wrapperIZN2at6native12_GLOBAL__N_124unique_dim_cuda_templateIbEESt5tupleIJNSF_6TensorESK_SK_EERKSK_lbbbEUlllE0_EEPmJS9_EEE10hipError_tPvRmT3_T4_T5_T6_T7_T9_mT8_P12ihipStream_tbDpT10_ENKUlT_T0_E_clISt17integral_constantIbLb1EES1A_EEDaS15_S16_EUlS15_E_NS1_11comp_targetILNS1_3genE2ELNS1_11target_archE906ELNS1_3gpuE6ELNS1_3repE0EEENS1_30default_config_static_selectorELNS0_4arch9wavefront6targetE1EEEvT1_,comdat
.Lfunc_end1103:
	.size	_ZN7rocprim17ROCPRIM_400000_NS6detail17trampoline_kernelINS0_14default_configENS1_25partition_config_selectorILNS1_17partition_subalgoE9EllbEEZZNS1_14partition_implILS5_9ELb0ES3_jPlS8_PNS0_10empty_typeENS0_5tupleIJS8_S9_EEENSB_IJS8_SA_EEENS0_18inequality_wrapperIZN2at6native12_GLOBAL__N_124unique_dim_cuda_templateIbEESt5tupleIJNSF_6TensorESK_SK_EERKSK_lbbbEUlllE0_EEPmJS9_EEE10hipError_tPvRmT3_T4_T5_T6_T7_T9_mT8_P12ihipStream_tbDpT10_ENKUlT_T0_E_clISt17integral_constantIbLb1EES1A_EEDaS15_S16_EUlS15_E_NS1_11comp_targetILNS1_3genE2ELNS1_11target_archE906ELNS1_3gpuE6ELNS1_3repE0EEENS1_30default_config_static_selectorELNS0_4arch9wavefront6targetE1EEEvT1_, .Lfunc_end1103-_ZN7rocprim17ROCPRIM_400000_NS6detail17trampoline_kernelINS0_14default_configENS1_25partition_config_selectorILNS1_17partition_subalgoE9EllbEEZZNS1_14partition_implILS5_9ELb0ES3_jPlS8_PNS0_10empty_typeENS0_5tupleIJS8_S9_EEENSB_IJS8_SA_EEENS0_18inequality_wrapperIZN2at6native12_GLOBAL__N_124unique_dim_cuda_templateIbEESt5tupleIJNSF_6TensorESK_SK_EERKSK_lbbbEUlllE0_EEPmJS9_EEE10hipError_tPvRmT3_T4_T5_T6_T7_T9_mT8_P12ihipStream_tbDpT10_ENKUlT_T0_E_clISt17integral_constantIbLb1EES1A_EEDaS15_S16_EUlS15_E_NS1_11comp_targetILNS1_3genE2ELNS1_11target_archE906ELNS1_3gpuE6ELNS1_3repE0EEENS1_30default_config_static_selectorELNS0_4arch9wavefront6targetE1EEEvT1_
                                        ; -- End function
	.section	.AMDGPU.csdata,"",@progbits
; Kernel info:
; codeLenInByte = 0
; NumSgprs: 6
; NumVgprs: 0
; NumAgprs: 0
; TotalNumVgprs: 0
; ScratchSize: 0
; MemoryBound: 0
; FloatMode: 240
; IeeeMode: 1
; LDSByteSize: 0 bytes/workgroup (compile time only)
; SGPRBlocks: 0
; VGPRBlocks: 0
; NumSGPRsForWavesPerEU: 6
; NumVGPRsForWavesPerEU: 1
; AccumOffset: 4
; Occupancy: 8
; WaveLimiterHint : 0
; COMPUTE_PGM_RSRC2:SCRATCH_EN: 0
; COMPUTE_PGM_RSRC2:USER_SGPR: 2
; COMPUTE_PGM_RSRC2:TRAP_HANDLER: 0
; COMPUTE_PGM_RSRC2:TGID_X_EN: 1
; COMPUTE_PGM_RSRC2:TGID_Y_EN: 0
; COMPUTE_PGM_RSRC2:TGID_Z_EN: 0
; COMPUTE_PGM_RSRC2:TIDIG_COMP_CNT: 0
; COMPUTE_PGM_RSRC3_GFX90A:ACCUM_OFFSET: 0
; COMPUTE_PGM_RSRC3_GFX90A:TG_SPLIT: 0
	.section	.text._ZN7rocprim17ROCPRIM_400000_NS6detail17trampoline_kernelINS0_14default_configENS1_25partition_config_selectorILNS1_17partition_subalgoE9EllbEEZZNS1_14partition_implILS5_9ELb0ES3_jPlS8_PNS0_10empty_typeENS0_5tupleIJS8_S9_EEENSB_IJS8_SA_EEENS0_18inequality_wrapperIZN2at6native12_GLOBAL__N_124unique_dim_cuda_templateIbEESt5tupleIJNSF_6TensorESK_SK_EERKSK_lbbbEUlllE0_EEPmJS9_EEE10hipError_tPvRmT3_T4_T5_T6_T7_T9_mT8_P12ihipStream_tbDpT10_ENKUlT_T0_E_clISt17integral_constantIbLb1EES1A_EEDaS15_S16_EUlS15_E_NS1_11comp_targetILNS1_3genE10ELNS1_11target_archE1200ELNS1_3gpuE4ELNS1_3repE0EEENS1_30default_config_static_selectorELNS0_4arch9wavefront6targetE1EEEvT1_,"axG",@progbits,_ZN7rocprim17ROCPRIM_400000_NS6detail17trampoline_kernelINS0_14default_configENS1_25partition_config_selectorILNS1_17partition_subalgoE9EllbEEZZNS1_14partition_implILS5_9ELb0ES3_jPlS8_PNS0_10empty_typeENS0_5tupleIJS8_S9_EEENSB_IJS8_SA_EEENS0_18inequality_wrapperIZN2at6native12_GLOBAL__N_124unique_dim_cuda_templateIbEESt5tupleIJNSF_6TensorESK_SK_EERKSK_lbbbEUlllE0_EEPmJS9_EEE10hipError_tPvRmT3_T4_T5_T6_T7_T9_mT8_P12ihipStream_tbDpT10_ENKUlT_T0_E_clISt17integral_constantIbLb1EES1A_EEDaS15_S16_EUlS15_E_NS1_11comp_targetILNS1_3genE10ELNS1_11target_archE1200ELNS1_3gpuE4ELNS1_3repE0EEENS1_30default_config_static_selectorELNS0_4arch9wavefront6targetE1EEEvT1_,comdat
	.globl	_ZN7rocprim17ROCPRIM_400000_NS6detail17trampoline_kernelINS0_14default_configENS1_25partition_config_selectorILNS1_17partition_subalgoE9EllbEEZZNS1_14partition_implILS5_9ELb0ES3_jPlS8_PNS0_10empty_typeENS0_5tupleIJS8_S9_EEENSB_IJS8_SA_EEENS0_18inequality_wrapperIZN2at6native12_GLOBAL__N_124unique_dim_cuda_templateIbEESt5tupleIJNSF_6TensorESK_SK_EERKSK_lbbbEUlllE0_EEPmJS9_EEE10hipError_tPvRmT3_T4_T5_T6_T7_T9_mT8_P12ihipStream_tbDpT10_ENKUlT_T0_E_clISt17integral_constantIbLb1EES1A_EEDaS15_S16_EUlS15_E_NS1_11comp_targetILNS1_3genE10ELNS1_11target_archE1200ELNS1_3gpuE4ELNS1_3repE0EEENS1_30default_config_static_selectorELNS0_4arch9wavefront6targetE1EEEvT1_ ; -- Begin function _ZN7rocprim17ROCPRIM_400000_NS6detail17trampoline_kernelINS0_14default_configENS1_25partition_config_selectorILNS1_17partition_subalgoE9EllbEEZZNS1_14partition_implILS5_9ELb0ES3_jPlS8_PNS0_10empty_typeENS0_5tupleIJS8_S9_EEENSB_IJS8_SA_EEENS0_18inequality_wrapperIZN2at6native12_GLOBAL__N_124unique_dim_cuda_templateIbEESt5tupleIJNSF_6TensorESK_SK_EERKSK_lbbbEUlllE0_EEPmJS9_EEE10hipError_tPvRmT3_T4_T5_T6_T7_T9_mT8_P12ihipStream_tbDpT10_ENKUlT_T0_E_clISt17integral_constantIbLb1EES1A_EEDaS15_S16_EUlS15_E_NS1_11comp_targetILNS1_3genE10ELNS1_11target_archE1200ELNS1_3gpuE4ELNS1_3repE0EEENS1_30default_config_static_selectorELNS0_4arch9wavefront6targetE1EEEvT1_
	.p2align	8
	.type	_ZN7rocprim17ROCPRIM_400000_NS6detail17trampoline_kernelINS0_14default_configENS1_25partition_config_selectorILNS1_17partition_subalgoE9EllbEEZZNS1_14partition_implILS5_9ELb0ES3_jPlS8_PNS0_10empty_typeENS0_5tupleIJS8_S9_EEENSB_IJS8_SA_EEENS0_18inequality_wrapperIZN2at6native12_GLOBAL__N_124unique_dim_cuda_templateIbEESt5tupleIJNSF_6TensorESK_SK_EERKSK_lbbbEUlllE0_EEPmJS9_EEE10hipError_tPvRmT3_T4_T5_T6_T7_T9_mT8_P12ihipStream_tbDpT10_ENKUlT_T0_E_clISt17integral_constantIbLb1EES1A_EEDaS15_S16_EUlS15_E_NS1_11comp_targetILNS1_3genE10ELNS1_11target_archE1200ELNS1_3gpuE4ELNS1_3repE0EEENS1_30default_config_static_selectorELNS0_4arch9wavefront6targetE1EEEvT1_,@function
_ZN7rocprim17ROCPRIM_400000_NS6detail17trampoline_kernelINS0_14default_configENS1_25partition_config_selectorILNS1_17partition_subalgoE9EllbEEZZNS1_14partition_implILS5_9ELb0ES3_jPlS8_PNS0_10empty_typeENS0_5tupleIJS8_S9_EEENSB_IJS8_SA_EEENS0_18inequality_wrapperIZN2at6native12_GLOBAL__N_124unique_dim_cuda_templateIbEESt5tupleIJNSF_6TensorESK_SK_EERKSK_lbbbEUlllE0_EEPmJS9_EEE10hipError_tPvRmT3_T4_T5_T6_T7_T9_mT8_P12ihipStream_tbDpT10_ENKUlT_T0_E_clISt17integral_constantIbLb1EES1A_EEDaS15_S16_EUlS15_E_NS1_11comp_targetILNS1_3genE10ELNS1_11target_archE1200ELNS1_3gpuE4ELNS1_3repE0EEENS1_30default_config_static_selectorELNS0_4arch9wavefront6targetE1EEEvT1_: ; @_ZN7rocprim17ROCPRIM_400000_NS6detail17trampoline_kernelINS0_14default_configENS1_25partition_config_selectorILNS1_17partition_subalgoE9EllbEEZZNS1_14partition_implILS5_9ELb0ES3_jPlS8_PNS0_10empty_typeENS0_5tupleIJS8_S9_EEENSB_IJS8_SA_EEENS0_18inequality_wrapperIZN2at6native12_GLOBAL__N_124unique_dim_cuda_templateIbEESt5tupleIJNSF_6TensorESK_SK_EERKSK_lbbbEUlllE0_EEPmJS9_EEE10hipError_tPvRmT3_T4_T5_T6_T7_T9_mT8_P12ihipStream_tbDpT10_ENKUlT_T0_E_clISt17integral_constantIbLb1EES1A_EEDaS15_S16_EUlS15_E_NS1_11comp_targetILNS1_3genE10ELNS1_11target_archE1200ELNS1_3gpuE4ELNS1_3repE0EEENS1_30default_config_static_selectorELNS0_4arch9wavefront6targetE1EEEvT1_
; %bb.0:
	.section	.rodata,"a",@progbits
	.p2align	6, 0x0
	.amdhsa_kernel _ZN7rocprim17ROCPRIM_400000_NS6detail17trampoline_kernelINS0_14default_configENS1_25partition_config_selectorILNS1_17partition_subalgoE9EllbEEZZNS1_14partition_implILS5_9ELb0ES3_jPlS8_PNS0_10empty_typeENS0_5tupleIJS8_S9_EEENSB_IJS8_SA_EEENS0_18inequality_wrapperIZN2at6native12_GLOBAL__N_124unique_dim_cuda_templateIbEESt5tupleIJNSF_6TensorESK_SK_EERKSK_lbbbEUlllE0_EEPmJS9_EEE10hipError_tPvRmT3_T4_T5_T6_T7_T9_mT8_P12ihipStream_tbDpT10_ENKUlT_T0_E_clISt17integral_constantIbLb1EES1A_EEDaS15_S16_EUlS15_E_NS1_11comp_targetILNS1_3genE10ELNS1_11target_archE1200ELNS1_3gpuE4ELNS1_3repE0EEENS1_30default_config_static_selectorELNS0_4arch9wavefront6targetE1EEEvT1_
		.amdhsa_group_segment_fixed_size 0
		.amdhsa_private_segment_fixed_size 0
		.amdhsa_kernarg_size 136
		.amdhsa_user_sgpr_count 2
		.amdhsa_user_sgpr_dispatch_ptr 0
		.amdhsa_user_sgpr_queue_ptr 0
		.amdhsa_user_sgpr_kernarg_segment_ptr 1
		.amdhsa_user_sgpr_dispatch_id 0
		.amdhsa_user_sgpr_kernarg_preload_length 0
		.amdhsa_user_sgpr_kernarg_preload_offset 0
		.amdhsa_user_sgpr_private_segment_size 0
		.amdhsa_uses_dynamic_stack 0
		.amdhsa_enable_private_segment 0
		.amdhsa_system_sgpr_workgroup_id_x 1
		.amdhsa_system_sgpr_workgroup_id_y 0
		.amdhsa_system_sgpr_workgroup_id_z 0
		.amdhsa_system_sgpr_workgroup_info 0
		.amdhsa_system_vgpr_workitem_id 0
		.amdhsa_next_free_vgpr 1
		.amdhsa_next_free_sgpr 0
		.amdhsa_accum_offset 4
		.amdhsa_reserve_vcc 0
		.amdhsa_float_round_mode_32 0
		.amdhsa_float_round_mode_16_64 0
		.amdhsa_float_denorm_mode_32 3
		.amdhsa_float_denorm_mode_16_64 3
		.amdhsa_dx10_clamp 1
		.amdhsa_ieee_mode 1
		.amdhsa_fp16_overflow 0
		.amdhsa_tg_split 0
		.amdhsa_exception_fp_ieee_invalid_op 0
		.amdhsa_exception_fp_denorm_src 0
		.amdhsa_exception_fp_ieee_div_zero 0
		.amdhsa_exception_fp_ieee_overflow 0
		.amdhsa_exception_fp_ieee_underflow 0
		.amdhsa_exception_fp_ieee_inexact 0
		.amdhsa_exception_int_div_zero 0
	.end_amdhsa_kernel
	.section	.text._ZN7rocprim17ROCPRIM_400000_NS6detail17trampoline_kernelINS0_14default_configENS1_25partition_config_selectorILNS1_17partition_subalgoE9EllbEEZZNS1_14partition_implILS5_9ELb0ES3_jPlS8_PNS0_10empty_typeENS0_5tupleIJS8_S9_EEENSB_IJS8_SA_EEENS0_18inequality_wrapperIZN2at6native12_GLOBAL__N_124unique_dim_cuda_templateIbEESt5tupleIJNSF_6TensorESK_SK_EERKSK_lbbbEUlllE0_EEPmJS9_EEE10hipError_tPvRmT3_T4_T5_T6_T7_T9_mT8_P12ihipStream_tbDpT10_ENKUlT_T0_E_clISt17integral_constantIbLb1EES1A_EEDaS15_S16_EUlS15_E_NS1_11comp_targetILNS1_3genE10ELNS1_11target_archE1200ELNS1_3gpuE4ELNS1_3repE0EEENS1_30default_config_static_selectorELNS0_4arch9wavefront6targetE1EEEvT1_,"axG",@progbits,_ZN7rocprim17ROCPRIM_400000_NS6detail17trampoline_kernelINS0_14default_configENS1_25partition_config_selectorILNS1_17partition_subalgoE9EllbEEZZNS1_14partition_implILS5_9ELb0ES3_jPlS8_PNS0_10empty_typeENS0_5tupleIJS8_S9_EEENSB_IJS8_SA_EEENS0_18inequality_wrapperIZN2at6native12_GLOBAL__N_124unique_dim_cuda_templateIbEESt5tupleIJNSF_6TensorESK_SK_EERKSK_lbbbEUlllE0_EEPmJS9_EEE10hipError_tPvRmT3_T4_T5_T6_T7_T9_mT8_P12ihipStream_tbDpT10_ENKUlT_T0_E_clISt17integral_constantIbLb1EES1A_EEDaS15_S16_EUlS15_E_NS1_11comp_targetILNS1_3genE10ELNS1_11target_archE1200ELNS1_3gpuE4ELNS1_3repE0EEENS1_30default_config_static_selectorELNS0_4arch9wavefront6targetE1EEEvT1_,comdat
.Lfunc_end1104:
	.size	_ZN7rocprim17ROCPRIM_400000_NS6detail17trampoline_kernelINS0_14default_configENS1_25partition_config_selectorILNS1_17partition_subalgoE9EllbEEZZNS1_14partition_implILS5_9ELb0ES3_jPlS8_PNS0_10empty_typeENS0_5tupleIJS8_S9_EEENSB_IJS8_SA_EEENS0_18inequality_wrapperIZN2at6native12_GLOBAL__N_124unique_dim_cuda_templateIbEESt5tupleIJNSF_6TensorESK_SK_EERKSK_lbbbEUlllE0_EEPmJS9_EEE10hipError_tPvRmT3_T4_T5_T6_T7_T9_mT8_P12ihipStream_tbDpT10_ENKUlT_T0_E_clISt17integral_constantIbLb1EES1A_EEDaS15_S16_EUlS15_E_NS1_11comp_targetILNS1_3genE10ELNS1_11target_archE1200ELNS1_3gpuE4ELNS1_3repE0EEENS1_30default_config_static_selectorELNS0_4arch9wavefront6targetE1EEEvT1_, .Lfunc_end1104-_ZN7rocprim17ROCPRIM_400000_NS6detail17trampoline_kernelINS0_14default_configENS1_25partition_config_selectorILNS1_17partition_subalgoE9EllbEEZZNS1_14partition_implILS5_9ELb0ES3_jPlS8_PNS0_10empty_typeENS0_5tupleIJS8_S9_EEENSB_IJS8_SA_EEENS0_18inequality_wrapperIZN2at6native12_GLOBAL__N_124unique_dim_cuda_templateIbEESt5tupleIJNSF_6TensorESK_SK_EERKSK_lbbbEUlllE0_EEPmJS9_EEE10hipError_tPvRmT3_T4_T5_T6_T7_T9_mT8_P12ihipStream_tbDpT10_ENKUlT_T0_E_clISt17integral_constantIbLb1EES1A_EEDaS15_S16_EUlS15_E_NS1_11comp_targetILNS1_3genE10ELNS1_11target_archE1200ELNS1_3gpuE4ELNS1_3repE0EEENS1_30default_config_static_selectorELNS0_4arch9wavefront6targetE1EEEvT1_
                                        ; -- End function
	.section	.AMDGPU.csdata,"",@progbits
; Kernel info:
; codeLenInByte = 0
; NumSgprs: 6
; NumVgprs: 0
; NumAgprs: 0
; TotalNumVgprs: 0
; ScratchSize: 0
; MemoryBound: 0
; FloatMode: 240
; IeeeMode: 1
; LDSByteSize: 0 bytes/workgroup (compile time only)
; SGPRBlocks: 0
; VGPRBlocks: 0
; NumSGPRsForWavesPerEU: 6
; NumVGPRsForWavesPerEU: 1
; AccumOffset: 4
; Occupancy: 8
; WaveLimiterHint : 0
; COMPUTE_PGM_RSRC2:SCRATCH_EN: 0
; COMPUTE_PGM_RSRC2:USER_SGPR: 2
; COMPUTE_PGM_RSRC2:TRAP_HANDLER: 0
; COMPUTE_PGM_RSRC2:TGID_X_EN: 1
; COMPUTE_PGM_RSRC2:TGID_Y_EN: 0
; COMPUTE_PGM_RSRC2:TGID_Z_EN: 0
; COMPUTE_PGM_RSRC2:TIDIG_COMP_CNT: 0
; COMPUTE_PGM_RSRC3_GFX90A:ACCUM_OFFSET: 0
; COMPUTE_PGM_RSRC3_GFX90A:TG_SPLIT: 0
	.section	.text._ZN7rocprim17ROCPRIM_400000_NS6detail17trampoline_kernelINS0_14default_configENS1_25partition_config_selectorILNS1_17partition_subalgoE9EllbEEZZNS1_14partition_implILS5_9ELb0ES3_jPlS8_PNS0_10empty_typeENS0_5tupleIJS8_S9_EEENSB_IJS8_SA_EEENS0_18inequality_wrapperIZN2at6native12_GLOBAL__N_124unique_dim_cuda_templateIbEESt5tupleIJNSF_6TensorESK_SK_EERKSK_lbbbEUlllE0_EEPmJS9_EEE10hipError_tPvRmT3_T4_T5_T6_T7_T9_mT8_P12ihipStream_tbDpT10_ENKUlT_T0_E_clISt17integral_constantIbLb1EES1A_EEDaS15_S16_EUlS15_E_NS1_11comp_targetILNS1_3genE9ELNS1_11target_archE1100ELNS1_3gpuE3ELNS1_3repE0EEENS1_30default_config_static_selectorELNS0_4arch9wavefront6targetE1EEEvT1_,"axG",@progbits,_ZN7rocprim17ROCPRIM_400000_NS6detail17trampoline_kernelINS0_14default_configENS1_25partition_config_selectorILNS1_17partition_subalgoE9EllbEEZZNS1_14partition_implILS5_9ELb0ES3_jPlS8_PNS0_10empty_typeENS0_5tupleIJS8_S9_EEENSB_IJS8_SA_EEENS0_18inequality_wrapperIZN2at6native12_GLOBAL__N_124unique_dim_cuda_templateIbEESt5tupleIJNSF_6TensorESK_SK_EERKSK_lbbbEUlllE0_EEPmJS9_EEE10hipError_tPvRmT3_T4_T5_T6_T7_T9_mT8_P12ihipStream_tbDpT10_ENKUlT_T0_E_clISt17integral_constantIbLb1EES1A_EEDaS15_S16_EUlS15_E_NS1_11comp_targetILNS1_3genE9ELNS1_11target_archE1100ELNS1_3gpuE3ELNS1_3repE0EEENS1_30default_config_static_selectorELNS0_4arch9wavefront6targetE1EEEvT1_,comdat
	.globl	_ZN7rocprim17ROCPRIM_400000_NS6detail17trampoline_kernelINS0_14default_configENS1_25partition_config_selectorILNS1_17partition_subalgoE9EllbEEZZNS1_14partition_implILS5_9ELb0ES3_jPlS8_PNS0_10empty_typeENS0_5tupleIJS8_S9_EEENSB_IJS8_SA_EEENS0_18inequality_wrapperIZN2at6native12_GLOBAL__N_124unique_dim_cuda_templateIbEESt5tupleIJNSF_6TensorESK_SK_EERKSK_lbbbEUlllE0_EEPmJS9_EEE10hipError_tPvRmT3_T4_T5_T6_T7_T9_mT8_P12ihipStream_tbDpT10_ENKUlT_T0_E_clISt17integral_constantIbLb1EES1A_EEDaS15_S16_EUlS15_E_NS1_11comp_targetILNS1_3genE9ELNS1_11target_archE1100ELNS1_3gpuE3ELNS1_3repE0EEENS1_30default_config_static_selectorELNS0_4arch9wavefront6targetE1EEEvT1_ ; -- Begin function _ZN7rocprim17ROCPRIM_400000_NS6detail17trampoline_kernelINS0_14default_configENS1_25partition_config_selectorILNS1_17partition_subalgoE9EllbEEZZNS1_14partition_implILS5_9ELb0ES3_jPlS8_PNS0_10empty_typeENS0_5tupleIJS8_S9_EEENSB_IJS8_SA_EEENS0_18inequality_wrapperIZN2at6native12_GLOBAL__N_124unique_dim_cuda_templateIbEESt5tupleIJNSF_6TensorESK_SK_EERKSK_lbbbEUlllE0_EEPmJS9_EEE10hipError_tPvRmT3_T4_T5_T6_T7_T9_mT8_P12ihipStream_tbDpT10_ENKUlT_T0_E_clISt17integral_constantIbLb1EES1A_EEDaS15_S16_EUlS15_E_NS1_11comp_targetILNS1_3genE9ELNS1_11target_archE1100ELNS1_3gpuE3ELNS1_3repE0EEENS1_30default_config_static_selectorELNS0_4arch9wavefront6targetE1EEEvT1_
	.p2align	8
	.type	_ZN7rocprim17ROCPRIM_400000_NS6detail17trampoline_kernelINS0_14default_configENS1_25partition_config_selectorILNS1_17partition_subalgoE9EllbEEZZNS1_14partition_implILS5_9ELb0ES3_jPlS8_PNS0_10empty_typeENS0_5tupleIJS8_S9_EEENSB_IJS8_SA_EEENS0_18inequality_wrapperIZN2at6native12_GLOBAL__N_124unique_dim_cuda_templateIbEESt5tupleIJNSF_6TensorESK_SK_EERKSK_lbbbEUlllE0_EEPmJS9_EEE10hipError_tPvRmT3_T4_T5_T6_T7_T9_mT8_P12ihipStream_tbDpT10_ENKUlT_T0_E_clISt17integral_constantIbLb1EES1A_EEDaS15_S16_EUlS15_E_NS1_11comp_targetILNS1_3genE9ELNS1_11target_archE1100ELNS1_3gpuE3ELNS1_3repE0EEENS1_30default_config_static_selectorELNS0_4arch9wavefront6targetE1EEEvT1_,@function
_ZN7rocprim17ROCPRIM_400000_NS6detail17trampoline_kernelINS0_14default_configENS1_25partition_config_selectorILNS1_17partition_subalgoE9EllbEEZZNS1_14partition_implILS5_9ELb0ES3_jPlS8_PNS0_10empty_typeENS0_5tupleIJS8_S9_EEENSB_IJS8_SA_EEENS0_18inequality_wrapperIZN2at6native12_GLOBAL__N_124unique_dim_cuda_templateIbEESt5tupleIJNSF_6TensorESK_SK_EERKSK_lbbbEUlllE0_EEPmJS9_EEE10hipError_tPvRmT3_T4_T5_T6_T7_T9_mT8_P12ihipStream_tbDpT10_ENKUlT_T0_E_clISt17integral_constantIbLb1EES1A_EEDaS15_S16_EUlS15_E_NS1_11comp_targetILNS1_3genE9ELNS1_11target_archE1100ELNS1_3gpuE3ELNS1_3repE0EEENS1_30default_config_static_selectorELNS0_4arch9wavefront6targetE1EEEvT1_: ; @_ZN7rocprim17ROCPRIM_400000_NS6detail17trampoline_kernelINS0_14default_configENS1_25partition_config_selectorILNS1_17partition_subalgoE9EllbEEZZNS1_14partition_implILS5_9ELb0ES3_jPlS8_PNS0_10empty_typeENS0_5tupleIJS8_S9_EEENSB_IJS8_SA_EEENS0_18inequality_wrapperIZN2at6native12_GLOBAL__N_124unique_dim_cuda_templateIbEESt5tupleIJNSF_6TensorESK_SK_EERKSK_lbbbEUlllE0_EEPmJS9_EEE10hipError_tPvRmT3_T4_T5_T6_T7_T9_mT8_P12ihipStream_tbDpT10_ENKUlT_T0_E_clISt17integral_constantIbLb1EES1A_EEDaS15_S16_EUlS15_E_NS1_11comp_targetILNS1_3genE9ELNS1_11target_archE1100ELNS1_3gpuE3ELNS1_3repE0EEENS1_30default_config_static_selectorELNS0_4arch9wavefront6targetE1EEEvT1_
; %bb.0:
	.section	.rodata,"a",@progbits
	.p2align	6, 0x0
	.amdhsa_kernel _ZN7rocprim17ROCPRIM_400000_NS6detail17trampoline_kernelINS0_14default_configENS1_25partition_config_selectorILNS1_17partition_subalgoE9EllbEEZZNS1_14partition_implILS5_9ELb0ES3_jPlS8_PNS0_10empty_typeENS0_5tupleIJS8_S9_EEENSB_IJS8_SA_EEENS0_18inequality_wrapperIZN2at6native12_GLOBAL__N_124unique_dim_cuda_templateIbEESt5tupleIJNSF_6TensorESK_SK_EERKSK_lbbbEUlllE0_EEPmJS9_EEE10hipError_tPvRmT3_T4_T5_T6_T7_T9_mT8_P12ihipStream_tbDpT10_ENKUlT_T0_E_clISt17integral_constantIbLb1EES1A_EEDaS15_S16_EUlS15_E_NS1_11comp_targetILNS1_3genE9ELNS1_11target_archE1100ELNS1_3gpuE3ELNS1_3repE0EEENS1_30default_config_static_selectorELNS0_4arch9wavefront6targetE1EEEvT1_
		.amdhsa_group_segment_fixed_size 0
		.amdhsa_private_segment_fixed_size 0
		.amdhsa_kernarg_size 136
		.amdhsa_user_sgpr_count 2
		.amdhsa_user_sgpr_dispatch_ptr 0
		.amdhsa_user_sgpr_queue_ptr 0
		.amdhsa_user_sgpr_kernarg_segment_ptr 1
		.amdhsa_user_sgpr_dispatch_id 0
		.amdhsa_user_sgpr_kernarg_preload_length 0
		.amdhsa_user_sgpr_kernarg_preload_offset 0
		.amdhsa_user_sgpr_private_segment_size 0
		.amdhsa_uses_dynamic_stack 0
		.amdhsa_enable_private_segment 0
		.amdhsa_system_sgpr_workgroup_id_x 1
		.amdhsa_system_sgpr_workgroup_id_y 0
		.amdhsa_system_sgpr_workgroup_id_z 0
		.amdhsa_system_sgpr_workgroup_info 0
		.amdhsa_system_vgpr_workitem_id 0
		.amdhsa_next_free_vgpr 1
		.amdhsa_next_free_sgpr 0
		.amdhsa_accum_offset 4
		.amdhsa_reserve_vcc 0
		.amdhsa_float_round_mode_32 0
		.amdhsa_float_round_mode_16_64 0
		.amdhsa_float_denorm_mode_32 3
		.amdhsa_float_denorm_mode_16_64 3
		.amdhsa_dx10_clamp 1
		.amdhsa_ieee_mode 1
		.amdhsa_fp16_overflow 0
		.amdhsa_tg_split 0
		.amdhsa_exception_fp_ieee_invalid_op 0
		.amdhsa_exception_fp_denorm_src 0
		.amdhsa_exception_fp_ieee_div_zero 0
		.amdhsa_exception_fp_ieee_overflow 0
		.amdhsa_exception_fp_ieee_underflow 0
		.amdhsa_exception_fp_ieee_inexact 0
		.amdhsa_exception_int_div_zero 0
	.end_amdhsa_kernel
	.section	.text._ZN7rocprim17ROCPRIM_400000_NS6detail17trampoline_kernelINS0_14default_configENS1_25partition_config_selectorILNS1_17partition_subalgoE9EllbEEZZNS1_14partition_implILS5_9ELb0ES3_jPlS8_PNS0_10empty_typeENS0_5tupleIJS8_S9_EEENSB_IJS8_SA_EEENS0_18inequality_wrapperIZN2at6native12_GLOBAL__N_124unique_dim_cuda_templateIbEESt5tupleIJNSF_6TensorESK_SK_EERKSK_lbbbEUlllE0_EEPmJS9_EEE10hipError_tPvRmT3_T4_T5_T6_T7_T9_mT8_P12ihipStream_tbDpT10_ENKUlT_T0_E_clISt17integral_constantIbLb1EES1A_EEDaS15_S16_EUlS15_E_NS1_11comp_targetILNS1_3genE9ELNS1_11target_archE1100ELNS1_3gpuE3ELNS1_3repE0EEENS1_30default_config_static_selectorELNS0_4arch9wavefront6targetE1EEEvT1_,"axG",@progbits,_ZN7rocprim17ROCPRIM_400000_NS6detail17trampoline_kernelINS0_14default_configENS1_25partition_config_selectorILNS1_17partition_subalgoE9EllbEEZZNS1_14partition_implILS5_9ELb0ES3_jPlS8_PNS0_10empty_typeENS0_5tupleIJS8_S9_EEENSB_IJS8_SA_EEENS0_18inequality_wrapperIZN2at6native12_GLOBAL__N_124unique_dim_cuda_templateIbEESt5tupleIJNSF_6TensorESK_SK_EERKSK_lbbbEUlllE0_EEPmJS9_EEE10hipError_tPvRmT3_T4_T5_T6_T7_T9_mT8_P12ihipStream_tbDpT10_ENKUlT_T0_E_clISt17integral_constantIbLb1EES1A_EEDaS15_S16_EUlS15_E_NS1_11comp_targetILNS1_3genE9ELNS1_11target_archE1100ELNS1_3gpuE3ELNS1_3repE0EEENS1_30default_config_static_selectorELNS0_4arch9wavefront6targetE1EEEvT1_,comdat
.Lfunc_end1105:
	.size	_ZN7rocprim17ROCPRIM_400000_NS6detail17trampoline_kernelINS0_14default_configENS1_25partition_config_selectorILNS1_17partition_subalgoE9EllbEEZZNS1_14partition_implILS5_9ELb0ES3_jPlS8_PNS0_10empty_typeENS0_5tupleIJS8_S9_EEENSB_IJS8_SA_EEENS0_18inequality_wrapperIZN2at6native12_GLOBAL__N_124unique_dim_cuda_templateIbEESt5tupleIJNSF_6TensorESK_SK_EERKSK_lbbbEUlllE0_EEPmJS9_EEE10hipError_tPvRmT3_T4_T5_T6_T7_T9_mT8_P12ihipStream_tbDpT10_ENKUlT_T0_E_clISt17integral_constantIbLb1EES1A_EEDaS15_S16_EUlS15_E_NS1_11comp_targetILNS1_3genE9ELNS1_11target_archE1100ELNS1_3gpuE3ELNS1_3repE0EEENS1_30default_config_static_selectorELNS0_4arch9wavefront6targetE1EEEvT1_, .Lfunc_end1105-_ZN7rocprim17ROCPRIM_400000_NS6detail17trampoline_kernelINS0_14default_configENS1_25partition_config_selectorILNS1_17partition_subalgoE9EllbEEZZNS1_14partition_implILS5_9ELb0ES3_jPlS8_PNS0_10empty_typeENS0_5tupleIJS8_S9_EEENSB_IJS8_SA_EEENS0_18inequality_wrapperIZN2at6native12_GLOBAL__N_124unique_dim_cuda_templateIbEESt5tupleIJNSF_6TensorESK_SK_EERKSK_lbbbEUlllE0_EEPmJS9_EEE10hipError_tPvRmT3_T4_T5_T6_T7_T9_mT8_P12ihipStream_tbDpT10_ENKUlT_T0_E_clISt17integral_constantIbLb1EES1A_EEDaS15_S16_EUlS15_E_NS1_11comp_targetILNS1_3genE9ELNS1_11target_archE1100ELNS1_3gpuE3ELNS1_3repE0EEENS1_30default_config_static_selectorELNS0_4arch9wavefront6targetE1EEEvT1_
                                        ; -- End function
	.section	.AMDGPU.csdata,"",@progbits
; Kernel info:
; codeLenInByte = 0
; NumSgprs: 6
; NumVgprs: 0
; NumAgprs: 0
; TotalNumVgprs: 0
; ScratchSize: 0
; MemoryBound: 0
; FloatMode: 240
; IeeeMode: 1
; LDSByteSize: 0 bytes/workgroup (compile time only)
; SGPRBlocks: 0
; VGPRBlocks: 0
; NumSGPRsForWavesPerEU: 6
; NumVGPRsForWavesPerEU: 1
; AccumOffset: 4
; Occupancy: 8
; WaveLimiterHint : 0
; COMPUTE_PGM_RSRC2:SCRATCH_EN: 0
; COMPUTE_PGM_RSRC2:USER_SGPR: 2
; COMPUTE_PGM_RSRC2:TRAP_HANDLER: 0
; COMPUTE_PGM_RSRC2:TGID_X_EN: 1
; COMPUTE_PGM_RSRC2:TGID_Y_EN: 0
; COMPUTE_PGM_RSRC2:TGID_Z_EN: 0
; COMPUTE_PGM_RSRC2:TIDIG_COMP_CNT: 0
; COMPUTE_PGM_RSRC3_GFX90A:ACCUM_OFFSET: 0
; COMPUTE_PGM_RSRC3_GFX90A:TG_SPLIT: 0
	.section	.text._ZN7rocprim17ROCPRIM_400000_NS6detail17trampoline_kernelINS0_14default_configENS1_25partition_config_selectorILNS1_17partition_subalgoE9EllbEEZZNS1_14partition_implILS5_9ELb0ES3_jPlS8_PNS0_10empty_typeENS0_5tupleIJS8_S9_EEENSB_IJS8_SA_EEENS0_18inequality_wrapperIZN2at6native12_GLOBAL__N_124unique_dim_cuda_templateIbEESt5tupleIJNSF_6TensorESK_SK_EERKSK_lbbbEUlllE0_EEPmJS9_EEE10hipError_tPvRmT3_T4_T5_T6_T7_T9_mT8_P12ihipStream_tbDpT10_ENKUlT_T0_E_clISt17integral_constantIbLb1EES1A_EEDaS15_S16_EUlS15_E_NS1_11comp_targetILNS1_3genE8ELNS1_11target_archE1030ELNS1_3gpuE2ELNS1_3repE0EEENS1_30default_config_static_selectorELNS0_4arch9wavefront6targetE1EEEvT1_,"axG",@progbits,_ZN7rocprim17ROCPRIM_400000_NS6detail17trampoline_kernelINS0_14default_configENS1_25partition_config_selectorILNS1_17partition_subalgoE9EllbEEZZNS1_14partition_implILS5_9ELb0ES3_jPlS8_PNS0_10empty_typeENS0_5tupleIJS8_S9_EEENSB_IJS8_SA_EEENS0_18inequality_wrapperIZN2at6native12_GLOBAL__N_124unique_dim_cuda_templateIbEESt5tupleIJNSF_6TensorESK_SK_EERKSK_lbbbEUlllE0_EEPmJS9_EEE10hipError_tPvRmT3_T4_T5_T6_T7_T9_mT8_P12ihipStream_tbDpT10_ENKUlT_T0_E_clISt17integral_constantIbLb1EES1A_EEDaS15_S16_EUlS15_E_NS1_11comp_targetILNS1_3genE8ELNS1_11target_archE1030ELNS1_3gpuE2ELNS1_3repE0EEENS1_30default_config_static_selectorELNS0_4arch9wavefront6targetE1EEEvT1_,comdat
	.globl	_ZN7rocprim17ROCPRIM_400000_NS6detail17trampoline_kernelINS0_14default_configENS1_25partition_config_selectorILNS1_17partition_subalgoE9EllbEEZZNS1_14partition_implILS5_9ELb0ES3_jPlS8_PNS0_10empty_typeENS0_5tupleIJS8_S9_EEENSB_IJS8_SA_EEENS0_18inequality_wrapperIZN2at6native12_GLOBAL__N_124unique_dim_cuda_templateIbEESt5tupleIJNSF_6TensorESK_SK_EERKSK_lbbbEUlllE0_EEPmJS9_EEE10hipError_tPvRmT3_T4_T5_T6_T7_T9_mT8_P12ihipStream_tbDpT10_ENKUlT_T0_E_clISt17integral_constantIbLb1EES1A_EEDaS15_S16_EUlS15_E_NS1_11comp_targetILNS1_3genE8ELNS1_11target_archE1030ELNS1_3gpuE2ELNS1_3repE0EEENS1_30default_config_static_selectorELNS0_4arch9wavefront6targetE1EEEvT1_ ; -- Begin function _ZN7rocprim17ROCPRIM_400000_NS6detail17trampoline_kernelINS0_14default_configENS1_25partition_config_selectorILNS1_17partition_subalgoE9EllbEEZZNS1_14partition_implILS5_9ELb0ES3_jPlS8_PNS0_10empty_typeENS0_5tupleIJS8_S9_EEENSB_IJS8_SA_EEENS0_18inequality_wrapperIZN2at6native12_GLOBAL__N_124unique_dim_cuda_templateIbEESt5tupleIJNSF_6TensorESK_SK_EERKSK_lbbbEUlllE0_EEPmJS9_EEE10hipError_tPvRmT3_T4_T5_T6_T7_T9_mT8_P12ihipStream_tbDpT10_ENKUlT_T0_E_clISt17integral_constantIbLb1EES1A_EEDaS15_S16_EUlS15_E_NS1_11comp_targetILNS1_3genE8ELNS1_11target_archE1030ELNS1_3gpuE2ELNS1_3repE0EEENS1_30default_config_static_selectorELNS0_4arch9wavefront6targetE1EEEvT1_
	.p2align	8
	.type	_ZN7rocprim17ROCPRIM_400000_NS6detail17trampoline_kernelINS0_14default_configENS1_25partition_config_selectorILNS1_17partition_subalgoE9EllbEEZZNS1_14partition_implILS5_9ELb0ES3_jPlS8_PNS0_10empty_typeENS0_5tupleIJS8_S9_EEENSB_IJS8_SA_EEENS0_18inequality_wrapperIZN2at6native12_GLOBAL__N_124unique_dim_cuda_templateIbEESt5tupleIJNSF_6TensorESK_SK_EERKSK_lbbbEUlllE0_EEPmJS9_EEE10hipError_tPvRmT3_T4_T5_T6_T7_T9_mT8_P12ihipStream_tbDpT10_ENKUlT_T0_E_clISt17integral_constantIbLb1EES1A_EEDaS15_S16_EUlS15_E_NS1_11comp_targetILNS1_3genE8ELNS1_11target_archE1030ELNS1_3gpuE2ELNS1_3repE0EEENS1_30default_config_static_selectorELNS0_4arch9wavefront6targetE1EEEvT1_,@function
_ZN7rocprim17ROCPRIM_400000_NS6detail17trampoline_kernelINS0_14default_configENS1_25partition_config_selectorILNS1_17partition_subalgoE9EllbEEZZNS1_14partition_implILS5_9ELb0ES3_jPlS8_PNS0_10empty_typeENS0_5tupleIJS8_S9_EEENSB_IJS8_SA_EEENS0_18inequality_wrapperIZN2at6native12_GLOBAL__N_124unique_dim_cuda_templateIbEESt5tupleIJNSF_6TensorESK_SK_EERKSK_lbbbEUlllE0_EEPmJS9_EEE10hipError_tPvRmT3_T4_T5_T6_T7_T9_mT8_P12ihipStream_tbDpT10_ENKUlT_T0_E_clISt17integral_constantIbLb1EES1A_EEDaS15_S16_EUlS15_E_NS1_11comp_targetILNS1_3genE8ELNS1_11target_archE1030ELNS1_3gpuE2ELNS1_3repE0EEENS1_30default_config_static_selectorELNS0_4arch9wavefront6targetE1EEEvT1_: ; @_ZN7rocprim17ROCPRIM_400000_NS6detail17trampoline_kernelINS0_14default_configENS1_25partition_config_selectorILNS1_17partition_subalgoE9EllbEEZZNS1_14partition_implILS5_9ELb0ES3_jPlS8_PNS0_10empty_typeENS0_5tupleIJS8_S9_EEENSB_IJS8_SA_EEENS0_18inequality_wrapperIZN2at6native12_GLOBAL__N_124unique_dim_cuda_templateIbEESt5tupleIJNSF_6TensorESK_SK_EERKSK_lbbbEUlllE0_EEPmJS9_EEE10hipError_tPvRmT3_T4_T5_T6_T7_T9_mT8_P12ihipStream_tbDpT10_ENKUlT_T0_E_clISt17integral_constantIbLb1EES1A_EEDaS15_S16_EUlS15_E_NS1_11comp_targetILNS1_3genE8ELNS1_11target_archE1030ELNS1_3gpuE2ELNS1_3repE0EEENS1_30default_config_static_selectorELNS0_4arch9wavefront6targetE1EEEvT1_
; %bb.0:
	.section	.rodata,"a",@progbits
	.p2align	6, 0x0
	.amdhsa_kernel _ZN7rocprim17ROCPRIM_400000_NS6detail17trampoline_kernelINS0_14default_configENS1_25partition_config_selectorILNS1_17partition_subalgoE9EllbEEZZNS1_14partition_implILS5_9ELb0ES3_jPlS8_PNS0_10empty_typeENS0_5tupleIJS8_S9_EEENSB_IJS8_SA_EEENS0_18inequality_wrapperIZN2at6native12_GLOBAL__N_124unique_dim_cuda_templateIbEESt5tupleIJNSF_6TensorESK_SK_EERKSK_lbbbEUlllE0_EEPmJS9_EEE10hipError_tPvRmT3_T4_T5_T6_T7_T9_mT8_P12ihipStream_tbDpT10_ENKUlT_T0_E_clISt17integral_constantIbLb1EES1A_EEDaS15_S16_EUlS15_E_NS1_11comp_targetILNS1_3genE8ELNS1_11target_archE1030ELNS1_3gpuE2ELNS1_3repE0EEENS1_30default_config_static_selectorELNS0_4arch9wavefront6targetE1EEEvT1_
		.amdhsa_group_segment_fixed_size 0
		.amdhsa_private_segment_fixed_size 0
		.amdhsa_kernarg_size 136
		.amdhsa_user_sgpr_count 2
		.amdhsa_user_sgpr_dispatch_ptr 0
		.amdhsa_user_sgpr_queue_ptr 0
		.amdhsa_user_sgpr_kernarg_segment_ptr 1
		.amdhsa_user_sgpr_dispatch_id 0
		.amdhsa_user_sgpr_kernarg_preload_length 0
		.amdhsa_user_sgpr_kernarg_preload_offset 0
		.amdhsa_user_sgpr_private_segment_size 0
		.amdhsa_uses_dynamic_stack 0
		.amdhsa_enable_private_segment 0
		.amdhsa_system_sgpr_workgroup_id_x 1
		.amdhsa_system_sgpr_workgroup_id_y 0
		.amdhsa_system_sgpr_workgroup_id_z 0
		.amdhsa_system_sgpr_workgroup_info 0
		.amdhsa_system_vgpr_workitem_id 0
		.amdhsa_next_free_vgpr 1
		.amdhsa_next_free_sgpr 0
		.amdhsa_accum_offset 4
		.amdhsa_reserve_vcc 0
		.amdhsa_float_round_mode_32 0
		.amdhsa_float_round_mode_16_64 0
		.amdhsa_float_denorm_mode_32 3
		.amdhsa_float_denorm_mode_16_64 3
		.amdhsa_dx10_clamp 1
		.amdhsa_ieee_mode 1
		.amdhsa_fp16_overflow 0
		.amdhsa_tg_split 0
		.amdhsa_exception_fp_ieee_invalid_op 0
		.amdhsa_exception_fp_denorm_src 0
		.amdhsa_exception_fp_ieee_div_zero 0
		.amdhsa_exception_fp_ieee_overflow 0
		.amdhsa_exception_fp_ieee_underflow 0
		.amdhsa_exception_fp_ieee_inexact 0
		.amdhsa_exception_int_div_zero 0
	.end_amdhsa_kernel
	.section	.text._ZN7rocprim17ROCPRIM_400000_NS6detail17trampoline_kernelINS0_14default_configENS1_25partition_config_selectorILNS1_17partition_subalgoE9EllbEEZZNS1_14partition_implILS5_9ELb0ES3_jPlS8_PNS0_10empty_typeENS0_5tupleIJS8_S9_EEENSB_IJS8_SA_EEENS0_18inequality_wrapperIZN2at6native12_GLOBAL__N_124unique_dim_cuda_templateIbEESt5tupleIJNSF_6TensorESK_SK_EERKSK_lbbbEUlllE0_EEPmJS9_EEE10hipError_tPvRmT3_T4_T5_T6_T7_T9_mT8_P12ihipStream_tbDpT10_ENKUlT_T0_E_clISt17integral_constantIbLb1EES1A_EEDaS15_S16_EUlS15_E_NS1_11comp_targetILNS1_3genE8ELNS1_11target_archE1030ELNS1_3gpuE2ELNS1_3repE0EEENS1_30default_config_static_selectorELNS0_4arch9wavefront6targetE1EEEvT1_,"axG",@progbits,_ZN7rocprim17ROCPRIM_400000_NS6detail17trampoline_kernelINS0_14default_configENS1_25partition_config_selectorILNS1_17partition_subalgoE9EllbEEZZNS1_14partition_implILS5_9ELb0ES3_jPlS8_PNS0_10empty_typeENS0_5tupleIJS8_S9_EEENSB_IJS8_SA_EEENS0_18inequality_wrapperIZN2at6native12_GLOBAL__N_124unique_dim_cuda_templateIbEESt5tupleIJNSF_6TensorESK_SK_EERKSK_lbbbEUlllE0_EEPmJS9_EEE10hipError_tPvRmT3_T4_T5_T6_T7_T9_mT8_P12ihipStream_tbDpT10_ENKUlT_T0_E_clISt17integral_constantIbLb1EES1A_EEDaS15_S16_EUlS15_E_NS1_11comp_targetILNS1_3genE8ELNS1_11target_archE1030ELNS1_3gpuE2ELNS1_3repE0EEENS1_30default_config_static_selectorELNS0_4arch9wavefront6targetE1EEEvT1_,comdat
.Lfunc_end1106:
	.size	_ZN7rocprim17ROCPRIM_400000_NS6detail17trampoline_kernelINS0_14default_configENS1_25partition_config_selectorILNS1_17partition_subalgoE9EllbEEZZNS1_14partition_implILS5_9ELb0ES3_jPlS8_PNS0_10empty_typeENS0_5tupleIJS8_S9_EEENSB_IJS8_SA_EEENS0_18inequality_wrapperIZN2at6native12_GLOBAL__N_124unique_dim_cuda_templateIbEESt5tupleIJNSF_6TensorESK_SK_EERKSK_lbbbEUlllE0_EEPmJS9_EEE10hipError_tPvRmT3_T4_T5_T6_T7_T9_mT8_P12ihipStream_tbDpT10_ENKUlT_T0_E_clISt17integral_constantIbLb1EES1A_EEDaS15_S16_EUlS15_E_NS1_11comp_targetILNS1_3genE8ELNS1_11target_archE1030ELNS1_3gpuE2ELNS1_3repE0EEENS1_30default_config_static_selectorELNS0_4arch9wavefront6targetE1EEEvT1_, .Lfunc_end1106-_ZN7rocprim17ROCPRIM_400000_NS6detail17trampoline_kernelINS0_14default_configENS1_25partition_config_selectorILNS1_17partition_subalgoE9EllbEEZZNS1_14partition_implILS5_9ELb0ES3_jPlS8_PNS0_10empty_typeENS0_5tupleIJS8_S9_EEENSB_IJS8_SA_EEENS0_18inequality_wrapperIZN2at6native12_GLOBAL__N_124unique_dim_cuda_templateIbEESt5tupleIJNSF_6TensorESK_SK_EERKSK_lbbbEUlllE0_EEPmJS9_EEE10hipError_tPvRmT3_T4_T5_T6_T7_T9_mT8_P12ihipStream_tbDpT10_ENKUlT_T0_E_clISt17integral_constantIbLb1EES1A_EEDaS15_S16_EUlS15_E_NS1_11comp_targetILNS1_3genE8ELNS1_11target_archE1030ELNS1_3gpuE2ELNS1_3repE0EEENS1_30default_config_static_selectorELNS0_4arch9wavefront6targetE1EEEvT1_
                                        ; -- End function
	.section	.AMDGPU.csdata,"",@progbits
; Kernel info:
; codeLenInByte = 0
; NumSgprs: 6
; NumVgprs: 0
; NumAgprs: 0
; TotalNumVgprs: 0
; ScratchSize: 0
; MemoryBound: 0
; FloatMode: 240
; IeeeMode: 1
; LDSByteSize: 0 bytes/workgroup (compile time only)
; SGPRBlocks: 0
; VGPRBlocks: 0
; NumSGPRsForWavesPerEU: 6
; NumVGPRsForWavesPerEU: 1
; AccumOffset: 4
; Occupancy: 8
; WaveLimiterHint : 0
; COMPUTE_PGM_RSRC2:SCRATCH_EN: 0
; COMPUTE_PGM_RSRC2:USER_SGPR: 2
; COMPUTE_PGM_RSRC2:TRAP_HANDLER: 0
; COMPUTE_PGM_RSRC2:TGID_X_EN: 1
; COMPUTE_PGM_RSRC2:TGID_Y_EN: 0
; COMPUTE_PGM_RSRC2:TGID_Z_EN: 0
; COMPUTE_PGM_RSRC2:TIDIG_COMP_CNT: 0
; COMPUTE_PGM_RSRC3_GFX90A:ACCUM_OFFSET: 0
; COMPUTE_PGM_RSRC3_GFX90A:TG_SPLIT: 0
	.section	.text._ZN7rocprim17ROCPRIM_400000_NS6detail17trampoline_kernelINS0_14default_configENS1_25partition_config_selectorILNS1_17partition_subalgoE9EllbEEZZNS1_14partition_implILS5_9ELb0ES3_jPlS8_PNS0_10empty_typeENS0_5tupleIJS8_S9_EEENSB_IJS8_SA_EEENS0_18inequality_wrapperIZN2at6native12_GLOBAL__N_124unique_dim_cuda_templateIbEESt5tupleIJNSF_6TensorESK_SK_EERKSK_lbbbEUlllE0_EEPmJS9_EEE10hipError_tPvRmT3_T4_T5_T6_T7_T9_mT8_P12ihipStream_tbDpT10_ENKUlT_T0_E_clISt17integral_constantIbLb1EES19_IbLb0EEEEDaS15_S16_EUlS15_E_NS1_11comp_targetILNS1_3genE0ELNS1_11target_archE4294967295ELNS1_3gpuE0ELNS1_3repE0EEENS1_30default_config_static_selectorELNS0_4arch9wavefront6targetE1EEEvT1_,"axG",@progbits,_ZN7rocprim17ROCPRIM_400000_NS6detail17trampoline_kernelINS0_14default_configENS1_25partition_config_selectorILNS1_17partition_subalgoE9EllbEEZZNS1_14partition_implILS5_9ELb0ES3_jPlS8_PNS0_10empty_typeENS0_5tupleIJS8_S9_EEENSB_IJS8_SA_EEENS0_18inequality_wrapperIZN2at6native12_GLOBAL__N_124unique_dim_cuda_templateIbEESt5tupleIJNSF_6TensorESK_SK_EERKSK_lbbbEUlllE0_EEPmJS9_EEE10hipError_tPvRmT3_T4_T5_T6_T7_T9_mT8_P12ihipStream_tbDpT10_ENKUlT_T0_E_clISt17integral_constantIbLb1EES19_IbLb0EEEEDaS15_S16_EUlS15_E_NS1_11comp_targetILNS1_3genE0ELNS1_11target_archE4294967295ELNS1_3gpuE0ELNS1_3repE0EEENS1_30default_config_static_selectorELNS0_4arch9wavefront6targetE1EEEvT1_,comdat
	.globl	_ZN7rocprim17ROCPRIM_400000_NS6detail17trampoline_kernelINS0_14default_configENS1_25partition_config_selectorILNS1_17partition_subalgoE9EllbEEZZNS1_14partition_implILS5_9ELb0ES3_jPlS8_PNS0_10empty_typeENS0_5tupleIJS8_S9_EEENSB_IJS8_SA_EEENS0_18inequality_wrapperIZN2at6native12_GLOBAL__N_124unique_dim_cuda_templateIbEESt5tupleIJNSF_6TensorESK_SK_EERKSK_lbbbEUlllE0_EEPmJS9_EEE10hipError_tPvRmT3_T4_T5_T6_T7_T9_mT8_P12ihipStream_tbDpT10_ENKUlT_T0_E_clISt17integral_constantIbLb1EES19_IbLb0EEEEDaS15_S16_EUlS15_E_NS1_11comp_targetILNS1_3genE0ELNS1_11target_archE4294967295ELNS1_3gpuE0ELNS1_3repE0EEENS1_30default_config_static_selectorELNS0_4arch9wavefront6targetE1EEEvT1_ ; -- Begin function _ZN7rocprim17ROCPRIM_400000_NS6detail17trampoline_kernelINS0_14default_configENS1_25partition_config_selectorILNS1_17partition_subalgoE9EllbEEZZNS1_14partition_implILS5_9ELb0ES3_jPlS8_PNS0_10empty_typeENS0_5tupleIJS8_S9_EEENSB_IJS8_SA_EEENS0_18inequality_wrapperIZN2at6native12_GLOBAL__N_124unique_dim_cuda_templateIbEESt5tupleIJNSF_6TensorESK_SK_EERKSK_lbbbEUlllE0_EEPmJS9_EEE10hipError_tPvRmT3_T4_T5_T6_T7_T9_mT8_P12ihipStream_tbDpT10_ENKUlT_T0_E_clISt17integral_constantIbLb1EES19_IbLb0EEEEDaS15_S16_EUlS15_E_NS1_11comp_targetILNS1_3genE0ELNS1_11target_archE4294967295ELNS1_3gpuE0ELNS1_3repE0EEENS1_30default_config_static_selectorELNS0_4arch9wavefront6targetE1EEEvT1_
	.p2align	8
	.type	_ZN7rocprim17ROCPRIM_400000_NS6detail17trampoline_kernelINS0_14default_configENS1_25partition_config_selectorILNS1_17partition_subalgoE9EllbEEZZNS1_14partition_implILS5_9ELb0ES3_jPlS8_PNS0_10empty_typeENS0_5tupleIJS8_S9_EEENSB_IJS8_SA_EEENS0_18inequality_wrapperIZN2at6native12_GLOBAL__N_124unique_dim_cuda_templateIbEESt5tupleIJNSF_6TensorESK_SK_EERKSK_lbbbEUlllE0_EEPmJS9_EEE10hipError_tPvRmT3_T4_T5_T6_T7_T9_mT8_P12ihipStream_tbDpT10_ENKUlT_T0_E_clISt17integral_constantIbLb1EES19_IbLb0EEEEDaS15_S16_EUlS15_E_NS1_11comp_targetILNS1_3genE0ELNS1_11target_archE4294967295ELNS1_3gpuE0ELNS1_3repE0EEENS1_30default_config_static_selectorELNS0_4arch9wavefront6targetE1EEEvT1_,@function
_ZN7rocprim17ROCPRIM_400000_NS6detail17trampoline_kernelINS0_14default_configENS1_25partition_config_selectorILNS1_17partition_subalgoE9EllbEEZZNS1_14partition_implILS5_9ELb0ES3_jPlS8_PNS0_10empty_typeENS0_5tupleIJS8_S9_EEENSB_IJS8_SA_EEENS0_18inequality_wrapperIZN2at6native12_GLOBAL__N_124unique_dim_cuda_templateIbEESt5tupleIJNSF_6TensorESK_SK_EERKSK_lbbbEUlllE0_EEPmJS9_EEE10hipError_tPvRmT3_T4_T5_T6_T7_T9_mT8_P12ihipStream_tbDpT10_ENKUlT_T0_E_clISt17integral_constantIbLb1EES19_IbLb0EEEEDaS15_S16_EUlS15_E_NS1_11comp_targetILNS1_3genE0ELNS1_11target_archE4294967295ELNS1_3gpuE0ELNS1_3repE0EEENS1_30default_config_static_selectorELNS0_4arch9wavefront6targetE1EEEvT1_: ; @_ZN7rocprim17ROCPRIM_400000_NS6detail17trampoline_kernelINS0_14default_configENS1_25partition_config_selectorILNS1_17partition_subalgoE9EllbEEZZNS1_14partition_implILS5_9ELb0ES3_jPlS8_PNS0_10empty_typeENS0_5tupleIJS8_S9_EEENSB_IJS8_SA_EEENS0_18inequality_wrapperIZN2at6native12_GLOBAL__N_124unique_dim_cuda_templateIbEESt5tupleIJNSF_6TensorESK_SK_EERKSK_lbbbEUlllE0_EEPmJS9_EEE10hipError_tPvRmT3_T4_T5_T6_T7_T9_mT8_P12ihipStream_tbDpT10_ENKUlT_T0_E_clISt17integral_constantIbLb1EES19_IbLb0EEEEDaS15_S16_EUlS15_E_NS1_11comp_targetILNS1_3genE0ELNS1_11target_archE4294967295ELNS1_3gpuE0ELNS1_3repE0EEENS1_30default_config_static_selectorELNS0_4arch9wavefront6targetE1EEEvT1_
; %bb.0:
	.section	.rodata,"a",@progbits
	.p2align	6, 0x0
	.amdhsa_kernel _ZN7rocprim17ROCPRIM_400000_NS6detail17trampoline_kernelINS0_14default_configENS1_25partition_config_selectorILNS1_17partition_subalgoE9EllbEEZZNS1_14partition_implILS5_9ELb0ES3_jPlS8_PNS0_10empty_typeENS0_5tupleIJS8_S9_EEENSB_IJS8_SA_EEENS0_18inequality_wrapperIZN2at6native12_GLOBAL__N_124unique_dim_cuda_templateIbEESt5tupleIJNSF_6TensorESK_SK_EERKSK_lbbbEUlllE0_EEPmJS9_EEE10hipError_tPvRmT3_T4_T5_T6_T7_T9_mT8_P12ihipStream_tbDpT10_ENKUlT_T0_E_clISt17integral_constantIbLb1EES19_IbLb0EEEEDaS15_S16_EUlS15_E_NS1_11comp_targetILNS1_3genE0ELNS1_11target_archE4294967295ELNS1_3gpuE0ELNS1_3repE0EEENS1_30default_config_static_selectorELNS0_4arch9wavefront6targetE1EEEvT1_
		.amdhsa_group_segment_fixed_size 0
		.amdhsa_private_segment_fixed_size 0
		.amdhsa_kernarg_size 120
		.amdhsa_user_sgpr_count 2
		.amdhsa_user_sgpr_dispatch_ptr 0
		.amdhsa_user_sgpr_queue_ptr 0
		.amdhsa_user_sgpr_kernarg_segment_ptr 1
		.amdhsa_user_sgpr_dispatch_id 0
		.amdhsa_user_sgpr_kernarg_preload_length 0
		.amdhsa_user_sgpr_kernarg_preload_offset 0
		.amdhsa_user_sgpr_private_segment_size 0
		.amdhsa_uses_dynamic_stack 0
		.amdhsa_enable_private_segment 0
		.amdhsa_system_sgpr_workgroup_id_x 1
		.amdhsa_system_sgpr_workgroup_id_y 0
		.amdhsa_system_sgpr_workgroup_id_z 0
		.amdhsa_system_sgpr_workgroup_info 0
		.amdhsa_system_vgpr_workitem_id 0
		.amdhsa_next_free_vgpr 1
		.amdhsa_next_free_sgpr 0
		.amdhsa_accum_offset 4
		.amdhsa_reserve_vcc 0
		.amdhsa_float_round_mode_32 0
		.amdhsa_float_round_mode_16_64 0
		.amdhsa_float_denorm_mode_32 3
		.amdhsa_float_denorm_mode_16_64 3
		.amdhsa_dx10_clamp 1
		.amdhsa_ieee_mode 1
		.amdhsa_fp16_overflow 0
		.amdhsa_tg_split 0
		.amdhsa_exception_fp_ieee_invalid_op 0
		.amdhsa_exception_fp_denorm_src 0
		.amdhsa_exception_fp_ieee_div_zero 0
		.amdhsa_exception_fp_ieee_overflow 0
		.amdhsa_exception_fp_ieee_underflow 0
		.amdhsa_exception_fp_ieee_inexact 0
		.amdhsa_exception_int_div_zero 0
	.end_amdhsa_kernel
	.section	.text._ZN7rocprim17ROCPRIM_400000_NS6detail17trampoline_kernelINS0_14default_configENS1_25partition_config_selectorILNS1_17partition_subalgoE9EllbEEZZNS1_14partition_implILS5_9ELb0ES3_jPlS8_PNS0_10empty_typeENS0_5tupleIJS8_S9_EEENSB_IJS8_SA_EEENS0_18inequality_wrapperIZN2at6native12_GLOBAL__N_124unique_dim_cuda_templateIbEESt5tupleIJNSF_6TensorESK_SK_EERKSK_lbbbEUlllE0_EEPmJS9_EEE10hipError_tPvRmT3_T4_T5_T6_T7_T9_mT8_P12ihipStream_tbDpT10_ENKUlT_T0_E_clISt17integral_constantIbLb1EES19_IbLb0EEEEDaS15_S16_EUlS15_E_NS1_11comp_targetILNS1_3genE0ELNS1_11target_archE4294967295ELNS1_3gpuE0ELNS1_3repE0EEENS1_30default_config_static_selectorELNS0_4arch9wavefront6targetE1EEEvT1_,"axG",@progbits,_ZN7rocprim17ROCPRIM_400000_NS6detail17trampoline_kernelINS0_14default_configENS1_25partition_config_selectorILNS1_17partition_subalgoE9EllbEEZZNS1_14partition_implILS5_9ELb0ES3_jPlS8_PNS0_10empty_typeENS0_5tupleIJS8_S9_EEENSB_IJS8_SA_EEENS0_18inequality_wrapperIZN2at6native12_GLOBAL__N_124unique_dim_cuda_templateIbEESt5tupleIJNSF_6TensorESK_SK_EERKSK_lbbbEUlllE0_EEPmJS9_EEE10hipError_tPvRmT3_T4_T5_T6_T7_T9_mT8_P12ihipStream_tbDpT10_ENKUlT_T0_E_clISt17integral_constantIbLb1EES19_IbLb0EEEEDaS15_S16_EUlS15_E_NS1_11comp_targetILNS1_3genE0ELNS1_11target_archE4294967295ELNS1_3gpuE0ELNS1_3repE0EEENS1_30default_config_static_selectorELNS0_4arch9wavefront6targetE1EEEvT1_,comdat
.Lfunc_end1107:
	.size	_ZN7rocprim17ROCPRIM_400000_NS6detail17trampoline_kernelINS0_14default_configENS1_25partition_config_selectorILNS1_17partition_subalgoE9EllbEEZZNS1_14partition_implILS5_9ELb0ES3_jPlS8_PNS0_10empty_typeENS0_5tupleIJS8_S9_EEENSB_IJS8_SA_EEENS0_18inequality_wrapperIZN2at6native12_GLOBAL__N_124unique_dim_cuda_templateIbEESt5tupleIJNSF_6TensorESK_SK_EERKSK_lbbbEUlllE0_EEPmJS9_EEE10hipError_tPvRmT3_T4_T5_T6_T7_T9_mT8_P12ihipStream_tbDpT10_ENKUlT_T0_E_clISt17integral_constantIbLb1EES19_IbLb0EEEEDaS15_S16_EUlS15_E_NS1_11comp_targetILNS1_3genE0ELNS1_11target_archE4294967295ELNS1_3gpuE0ELNS1_3repE0EEENS1_30default_config_static_selectorELNS0_4arch9wavefront6targetE1EEEvT1_, .Lfunc_end1107-_ZN7rocprim17ROCPRIM_400000_NS6detail17trampoline_kernelINS0_14default_configENS1_25partition_config_selectorILNS1_17partition_subalgoE9EllbEEZZNS1_14partition_implILS5_9ELb0ES3_jPlS8_PNS0_10empty_typeENS0_5tupleIJS8_S9_EEENSB_IJS8_SA_EEENS0_18inequality_wrapperIZN2at6native12_GLOBAL__N_124unique_dim_cuda_templateIbEESt5tupleIJNSF_6TensorESK_SK_EERKSK_lbbbEUlllE0_EEPmJS9_EEE10hipError_tPvRmT3_T4_T5_T6_T7_T9_mT8_P12ihipStream_tbDpT10_ENKUlT_T0_E_clISt17integral_constantIbLb1EES19_IbLb0EEEEDaS15_S16_EUlS15_E_NS1_11comp_targetILNS1_3genE0ELNS1_11target_archE4294967295ELNS1_3gpuE0ELNS1_3repE0EEENS1_30default_config_static_selectorELNS0_4arch9wavefront6targetE1EEEvT1_
                                        ; -- End function
	.section	.AMDGPU.csdata,"",@progbits
; Kernel info:
; codeLenInByte = 0
; NumSgprs: 6
; NumVgprs: 0
; NumAgprs: 0
; TotalNumVgprs: 0
; ScratchSize: 0
; MemoryBound: 0
; FloatMode: 240
; IeeeMode: 1
; LDSByteSize: 0 bytes/workgroup (compile time only)
; SGPRBlocks: 0
; VGPRBlocks: 0
; NumSGPRsForWavesPerEU: 6
; NumVGPRsForWavesPerEU: 1
; AccumOffset: 4
; Occupancy: 8
; WaveLimiterHint : 0
; COMPUTE_PGM_RSRC2:SCRATCH_EN: 0
; COMPUTE_PGM_RSRC2:USER_SGPR: 2
; COMPUTE_PGM_RSRC2:TRAP_HANDLER: 0
; COMPUTE_PGM_RSRC2:TGID_X_EN: 1
; COMPUTE_PGM_RSRC2:TGID_Y_EN: 0
; COMPUTE_PGM_RSRC2:TGID_Z_EN: 0
; COMPUTE_PGM_RSRC2:TIDIG_COMP_CNT: 0
; COMPUTE_PGM_RSRC3_GFX90A:ACCUM_OFFSET: 0
; COMPUTE_PGM_RSRC3_GFX90A:TG_SPLIT: 0
	.section	.text._ZN7rocprim17ROCPRIM_400000_NS6detail17trampoline_kernelINS0_14default_configENS1_25partition_config_selectorILNS1_17partition_subalgoE9EllbEEZZNS1_14partition_implILS5_9ELb0ES3_jPlS8_PNS0_10empty_typeENS0_5tupleIJS8_S9_EEENSB_IJS8_SA_EEENS0_18inequality_wrapperIZN2at6native12_GLOBAL__N_124unique_dim_cuda_templateIbEESt5tupleIJNSF_6TensorESK_SK_EERKSK_lbbbEUlllE0_EEPmJS9_EEE10hipError_tPvRmT3_T4_T5_T6_T7_T9_mT8_P12ihipStream_tbDpT10_ENKUlT_T0_E_clISt17integral_constantIbLb1EES19_IbLb0EEEEDaS15_S16_EUlS15_E_NS1_11comp_targetILNS1_3genE5ELNS1_11target_archE942ELNS1_3gpuE9ELNS1_3repE0EEENS1_30default_config_static_selectorELNS0_4arch9wavefront6targetE1EEEvT1_,"axG",@progbits,_ZN7rocprim17ROCPRIM_400000_NS6detail17trampoline_kernelINS0_14default_configENS1_25partition_config_selectorILNS1_17partition_subalgoE9EllbEEZZNS1_14partition_implILS5_9ELb0ES3_jPlS8_PNS0_10empty_typeENS0_5tupleIJS8_S9_EEENSB_IJS8_SA_EEENS0_18inequality_wrapperIZN2at6native12_GLOBAL__N_124unique_dim_cuda_templateIbEESt5tupleIJNSF_6TensorESK_SK_EERKSK_lbbbEUlllE0_EEPmJS9_EEE10hipError_tPvRmT3_T4_T5_T6_T7_T9_mT8_P12ihipStream_tbDpT10_ENKUlT_T0_E_clISt17integral_constantIbLb1EES19_IbLb0EEEEDaS15_S16_EUlS15_E_NS1_11comp_targetILNS1_3genE5ELNS1_11target_archE942ELNS1_3gpuE9ELNS1_3repE0EEENS1_30default_config_static_selectorELNS0_4arch9wavefront6targetE1EEEvT1_,comdat
	.globl	_ZN7rocprim17ROCPRIM_400000_NS6detail17trampoline_kernelINS0_14default_configENS1_25partition_config_selectorILNS1_17partition_subalgoE9EllbEEZZNS1_14partition_implILS5_9ELb0ES3_jPlS8_PNS0_10empty_typeENS0_5tupleIJS8_S9_EEENSB_IJS8_SA_EEENS0_18inequality_wrapperIZN2at6native12_GLOBAL__N_124unique_dim_cuda_templateIbEESt5tupleIJNSF_6TensorESK_SK_EERKSK_lbbbEUlllE0_EEPmJS9_EEE10hipError_tPvRmT3_T4_T5_T6_T7_T9_mT8_P12ihipStream_tbDpT10_ENKUlT_T0_E_clISt17integral_constantIbLb1EES19_IbLb0EEEEDaS15_S16_EUlS15_E_NS1_11comp_targetILNS1_3genE5ELNS1_11target_archE942ELNS1_3gpuE9ELNS1_3repE0EEENS1_30default_config_static_selectorELNS0_4arch9wavefront6targetE1EEEvT1_ ; -- Begin function _ZN7rocprim17ROCPRIM_400000_NS6detail17trampoline_kernelINS0_14default_configENS1_25partition_config_selectorILNS1_17partition_subalgoE9EllbEEZZNS1_14partition_implILS5_9ELb0ES3_jPlS8_PNS0_10empty_typeENS0_5tupleIJS8_S9_EEENSB_IJS8_SA_EEENS0_18inequality_wrapperIZN2at6native12_GLOBAL__N_124unique_dim_cuda_templateIbEESt5tupleIJNSF_6TensorESK_SK_EERKSK_lbbbEUlllE0_EEPmJS9_EEE10hipError_tPvRmT3_T4_T5_T6_T7_T9_mT8_P12ihipStream_tbDpT10_ENKUlT_T0_E_clISt17integral_constantIbLb1EES19_IbLb0EEEEDaS15_S16_EUlS15_E_NS1_11comp_targetILNS1_3genE5ELNS1_11target_archE942ELNS1_3gpuE9ELNS1_3repE0EEENS1_30default_config_static_selectorELNS0_4arch9wavefront6targetE1EEEvT1_
	.p2align	8
	.type	_ZN7rocprim17ROCPRIM_400000_NS6detail17trampoline_kernelINS0_14default_configENS1_25partition_config_selectorILNS1_17partition_subalgoE9EllbEEZZNS1_14partition_implILS5_9ELb0ES3_jPlS8_PNS0_10empty_typeENS0_5tupleIJS8_S9_EEENSB_IJS8_SA_EEENS0_18inequality_wrapperIZN2at6native12_GLOBAL__N_124unique_dim_cuda_templateIbEESt5tupleIJNSF_6TensorESK_SK_EERKSK_lbbbEUlllE0_EEPmJS9_EEE10hipError_tPvRmT3_T4_T5_T6_T7_T9_mT8_P12ihipStream_tbDpT10_ENKUlT_T0_E_clISt17integral_constantIbLb1EES19_IbLb0EEEEDaS15_S16_EUlS15_E_NS1_11comp_targetILNS1_3genE5ELNS1_11target_archE942ELNS1_3gpuE9ELNS1_3repE0EEENS1_30default_config_static_selectorELNS0_4arch9wavefront6targetE1EEEvT1_,@function
_ZN7rocprim17ROCPRIM_400000_NS6detail17trampoline_kernelINS0_14default_configENS1_25partition_config_selectorILNS1_17partition_subalgoE9EllbEEZZNS1_14partition_implILS5_9ELb0ES3_jPlS8_PNS0_10empty_typeENS0_5tupleIJS8_S9_EEENSB_IJS8_SA_EEENS0_18inequality_wrapperIZN2at6native12_GLOBAL__N_124unique_dim_cuda_templateIbEESt5tupleIJNSF_6TensorESK_SK_EERKSK_lbbbEUlllE0_EEPmJS9_EEE10hipError_tPvRmT3_T4_T5_T6_T7_T9_mT8_P12ihipStream_tbDpT10_ENKUlT_T0_E_clISt17integral_constantIbLb1EES19_IbLb0EEEEDaS15_S16_EUlS15_E_NS1_11comp_targetILNS1_3genE5ELNS1_11target_archE942ELNS1_3gpuE9ELNS1_3repE0EEENS1_30default_config_static_selectorELNS0_4arch9wavefront6targetE1EEEvT1_: ; @_ZN7rocprim17ROCPRIM_400000_NS6detail17trampoline_kernelINS0_14default_configENS1_25partition_config_selectorILNS1_17partition_subalgoE9EllbEEZZNS1_14partition_implILS5_9ELb0ES3_jPlS8_PNS0_10empty_typeENS0_5tupleIJS8_S9_EEENSB_IJS8_SA_EEENS0_18inequality_wrapperIZN2at6native12_GLOBAL__N_124unique_dim_cuda_templateIbEESt5tupleIJNSF_6TensorESK_SK_EERKSK_lbbbEUlllE0_EEPmJS9_EEE10hipError_tPvRmT3_T4_T5_T6_T7_T9_mT8_P12ihipStream_tbDpT10_ENKUlT_T0_E_clISt17integral_constantIbLb1EES19_IbLb0EEEEDaS15_S16_EUlS15_E_NS1_11comp_targetILNS1_3genE5ELNS1_11target_archE942ELNS1_3gpuE9ELNS1_3repE0EEENS1_30default_config_static_selectorELNS0_4arch9wavefront6targetE1EEEvT1_
; %bb.0:
	s_load_dwordx8 s[20:27], s[0:1], 0x40
	s_load_dwordx4 s[4:7], s[0:1], 0x8
	s_load_dwordx2 s[12:13], s[0:1], 0x18
	s_load_dword s3, s[0:1], 0x70
	s_mul_i32 s8, s2, 0xe00
	s_waitcnt lgkmcnt(0)
	v_mov_b32_e32 v2, s24
	s_lshl_b64 s[14:15], s[6:7], 3
	s_add_u32 s18, s4, s14
	s_mul_i32 s4, s3, 0xe00
	s_addc_u32 s19, s5, s15
	s_add_i32 s10, s3, -1
	s_add_i32 s3, s4, s6
	s_sub_i32 s3, s24, s3
	s_addk_i32 s3, 0xe00
	s_add_u32 s4, s6, s4
	s_addc_u32 s5, s7, 0
	v_mov_b32_e32 v3, s25
	s_cmp_eq_u32 s2, s10
	s_load_dwordx2 s[22:23], s[22:23], 0x0
	v_cmp_ge_u64_e32 vcc, s[4:5], v[2:3]
	s_cselect_b64 s[24:25], -1, 0
	s_mov_b32 s9, 0
	s_and_b64 s[10:11], s[24:25], vcc
	s_xor_b64 s[34:35], s[10:11], -1
	s_lshl_b64 s[16:17], s[8:9], 3
	s_add_u32 s8, s18, s16
	s_mov_b64 s[4:5], -1
	s_addc_u32 s9, s19, s17
	s_and_b64 vcc, exec, s[34:35]
	s_cbranch_vccz .LBB1108_2
; %bb.1:
	v_lshlrev_b32_e32 v2, 3, v0
	v_mov_b32_e32 v3, 0
	v_lshl_add_u64 v[4:5], s[8:9], 0, v[2:3]
	v_add_co_u32_e32 v8, vcc, 0x1000, v4
	global_load_dwordx2 v[6:7], v2, s[8:9]
	s_nop 0
	v_addc_co_u32_e32 v9, vcc, 0, v5, vcc
	v_add_co_u32_e32 v10, vcc, 0x2000, v4
	s_mov_b64 s[4:5], 0
	s_nop 0
	v_addc_co_u32_e32 v11, vcc, 0, v5, vcc
	v_add_co_u32_e32 v12, vcc, 0x3000, v4
	s_nop 1
	v_addc_co_u32_e32 v13, vcc, 0, v5, vcc
	v_add_co_u32_e32 v14, vcc, 0x4000, v4
	s_nop 1
	v_addc_co_u32_e32 v15, vcc, 0, v5, vcc
	global_load_dwordx2 v[16:17], v[8:9], off
	global_load_dwordx2 v[18:19], v[10:11], off
	;; [unrolled: 1-line block ×4, first 2 shown]
	v_add_co_u32_e32 v8, vcc, 0x5000, v4
	s_nop 1
	v_addc_co_u32_e32 v9, vcc, 0, v5, vcc
	v_add_co_u32_e32 v4, vcc, 0x6000, v4
	global_load_dwordx2 v[8:9], v[8:9], off
	s_nop 0
	v_addc_co_u32_e32 v5, vcc, 0, v5, vcc
	global_load_dwordx2 v[4:5], v[4:5], off
	s_waitcnt vmcnt(5)
	ds_write2st64_b64 v2, v[6:7], v[16:17] offset1:8
	s_waitcnt vmcnt(3)
	ds_write2st64_b64 v2, v[18:19], v[20:21] offset0:16 offset1:24
	s_waitcnt vmcnt(1)
	ds_write2st64_b64 v2, v[22:23], v[8:9] offset0:32 offset1:40
	s_waitcnt vmcnt(0)
	ds_write_b64 v2, v[4:5] offset:24576
	s_waitcnt lgkmcnt(0)
	s_barrier
.LBB1108_2:
	s_load_dwordx4 s[28:31], s[0:1], 0x60
	s_andn2_b64 vcc, exec, s[4:5]
	v_cmp_gt_u32_e64 s[4:5], s3, v0
	s_cbranch_vccnz .LBB1108_18
; %bb.3:
                                        ; implicit-def: $vgpr2_vgpr3_vgpr4_vgpr5_vgpr6_vgpr7_vgpr8_vgpr9_vgpr10_vgpr11_vgpr12_vgpr13_vgpr14_vgpr15_vgpr16_vgpr17
	s_and_saveexec_b64 s[18:19], s[4:5]
	s_cbranch_execz .LBB1108_5
; %bb.4:
	v_lshlrev_b32_e32 v1, 3, v0
	global_load_dwordx2 v[2:3], v1, s[8:9]
.LBB1108_5:
	s_or_b64 exec, exec, s[18:19]
	v_or_b32_e32 v1, 0x200, v0
	v_cmp_gt_u32_e32 vcc, s3, v1
	s_and_saveexec_b64 s[4:5], vcc
	s_cbranch_execz .LBB1108_7
; %bb.6:
	v_lshlrev_b32_e32 v1, 3, v1
	global_load_dwordx2 v[4:5], v1, s[8:9]
.LBB1108_7:
	s_or_b64 exec, exec, s[4:5]
	v_or_b32_e32 v1, 0x400, v0
	v_cmp_gt_u32_e32 vcc, s3, v1
	s_and_saveexec_b64 s[4:5], vcc
	;; [unrolled: 9-line block ×6, first 2 shown]
	s_cbranch_execz .LBB1108_17
; %bb.16:
	v_lshlrev_b32_e32 v1, 3, v1
	global_load_dwordx2 v[14:15], v1, s[8:9]
.LBB1108_17:
	s_or_b64 exec, exec, s[4:5]
	v_lshlrev_b32_e32 v1, 3, v0
	s_waitcnt vmcnt(0)
	ds_write2st64_b64 v1, v[2:3], v[4:5] offset1:8
	ds_write2st64_b64 v1, v[6:7], v[8:9] offset0:16 offset1:24
	ds_write2st64_b64 v1, v[10:11], v[12:13] offset0:32 offset1:40
	ds_write_b64 v1, v[14:15] offset:24576
	s_waitcnt lgkmcnt(0)
	s_barrier
.LBB1108_18:
	v_mul_u32_u24_e32 v1, 7, v0
	v_lshlrev_b32_e32 v38, 3, v1
	s_waitcnt lgkmcnt(0)
	ds_read2_b64 v[22:25], v38 offset1:1
	ds_read2_b64 v[18:21], v38 offset0:2 offset1:3
	ds_read2_b64 v[14:17], v38 offset0:4 offset1:5
	ds_read_b64 v[28:29], v38 offset:48
	s_add_u32 s4, s12, s14
	s_addc_u32 s5, s13, s15
	s_add_u32 s4, s4, s16
	s_addc_u32 s5, s5, s17
	s_mov_b64 s[12:13], -1
	s_and_b64 vcc, exec, s[34:35]
	s_waitcnt lgkmcnt(0)
	s_barrier
	s_cbranch_vccz .LBB1108_20
; %bb.19:
	v_lshlrev_b32_e32 v2, 3, v0
	v_mov_b32_e32 v3, 0
	v_lshl_add_u64 v[4:5], s[4:5], 0, v[2:3]
	v_add_co_u32_e32 v8, vcc, 0x1000, v4
	global_load_dwordx2 v[6:7], v2, s[4:5]
	s_nop 0
	v_addc_co_u32_e32 v9, vcc, 0, v5, vcc
	v_add_co_u32_e32 v10, vcc, 0x2000, v4
	s_mov_b64 s[12:13], 0
	s_nop 0
	v_addc_co_u32_e32 v11, vcc, 0, v5, vcc
	v_add_co_u32_e32 v12, vcc, 0x3000, v4
	s_nop 1
	v_addc_co_u32_e32 v13, vcc, 0, v5, vcc
	v_add_co_u32_e32 v26, vcc, 0x4000, v4
	s_nop 1
	v_addc_co_u32_e32 v27, vcc, 0, v5, vcc
	global_load_dwordx2 v[30:31], v[8:9], off
	global_load_dwordx2 v[32:33], v[10:11], off
	;; [unrolled: 1-line block ×4, first 2 shown]
	v_add_co_u32_e32 v8, vcc, 0x5000, v4
	s_nop 1
	v_addc_co_u32_e32 v9, vcc, 0, v5, vcc
	v_add_co_u32_e32 v4, vcc, 0x6000, v4
	global_load_dwordx2 v[8:9], v[8:9], off
	s_nop 0
	v_addc_co_u32_e32 v5, vcc, 0, v5, vcc
	global_load_dwordx2 v[4:5], v[4:5], off
	s_waitcnt vmcnt(5)
	ds_write2st64_b64 v2, v[6:7], v[30:31] offset1:8
	s_waitcnt vmcnt(3)
	ds_write2st64_b64 v2, v[32:33], v[34:35] offset0:16 offset1:24
	s_waitcnt vmcnt(1)
	ds_write2st64_b64 v2, v[36:37], v[8:9] offset0:32 offset1:40
	s_waitcnt vmcnt(0)
	ds_write_b64 v2, v[4:5] offset:24576
	s_waitcnt lgkmcnt(0)
	s_barrier
.LBB1108_20:
	s_andn2_b64 vcc, exec, s[12:13]
	s_cbranch_vccnz .LBB1108_36
; %bb.21:
	v_cmp_gt_u32_e32 vcc, s3, v0
                                        ; implicit-def: $vgpr2_vgpr3
	s_and_saveexec_b64 s[12:13], vcc
	s_cbranch_execz .LBB1108_23
; %bb.22:
	v_lshlrev_b32_e32 v2, 3, v0
	global_load_dwordx2 v[2:3], v2, s[4:5]
.LBB1108_23:
	s_or_b64 exec, exec, s[12:13]
	v_or_b32_e32 v6, 0x200, v0
	v_cmp_gt_u32_e32 vcc, s3, v6
                                        ; implicit-def: $vgpr4_vgpr5
	s_and_saveexec_b64 s[12:13], vcc
	s_cbranch_execz .LBB1108_25
; %bb.24:
	v_lshlrev_b32_e32 v4, 3, v6
	global_load_dwordx2 v[4:5], v4, s[4:5]
.LBB1108_25:
	s_or_b64 exec, exec, s[12:13]
	v_or_b32_e32 v8, 0x400, v0
	v_cmp_gt_u32_e32 vcc, s3, v8
                                        ; implicit-def: $vgpr6_vgpr7
	s_and_saveexec_b64 s[12:13], vcc
	s_cbranch_execz .LBB1108_27
; %bb.26:
	v_lshlrev_b32_e32 v6, 3, v8
	global_load_dwordx2 v[6:7], v6, s[4:5]
.LBB1108_27:
	s_or_b64 exec, exec, s[12:13]
	v_or_b32_e32 v10, 0x600, v0
	v_cmp_gt_u32_e32 vcc, s3, v10
                                        ; implicit-def: $vgpr8_vgpr9
	s_and_saveexec_b64 s[12:13], vcc
	s_cbranch_execz .LBB1108_29
; %bb.28:
	v_lshlrev_b32_e32 v8, 3, v10
	global_load_dwordx2 v[8:9], v8, s[4:5]
.LBB1108_29:
	s_or_b64 exec, exec, s[12:13]
	v_or_b32_e32 v12, 0x800, v0
	v_cmp_gt_u32_e32 vcc, s3, v12
                                        ; implicit-def: $vgpr10_vgpr11
	s_and_saveexec_b64 s[12:13], vcc
	s_cbranch_execz .LBB1108_31
; %bb.30:
	v_lshlrev_b32_e32 v10, 3, v12
	global_load_dwordx2 v[10:11], v10, s[4:5]
.LBB1108_31:
	s_or_b64 exec, exec, s[12:13]
	v_or_b32_e32 v26, 0xa00, v0
	v_cmp_gt_u32_e32 vcc, s3, v26
                                        ; implicit-def: $vgpr12_vgpr13
	s_and_saveexec_b64 s[12:13], vcc
	s_cbranch_execz .LBB1108_33
; %bb.32:
	v_lshlrev_b32_e32 v12, 3, v26
	global_load_dwordx2 v[12:13], v12, s[4:5]
.LBB1108_33:
	s_or_b64 exec, exec, s[12:13]
	v_or_b32_e32 v30, 0xc00, v0
	v_cmp_gt_u32_e32 vcc, s3, v30
                                        ; implicit-def: $vgpr26_vgpr27
	s_and_saveexec_b64 s[12:13], vcc
	s_cbranch_execz .LBB1108_35
; %bb.34:
	v_lshlrev_b32_e32 v26, 3, v30
	global_load_dwordx2 v[26:27], v26, s[4:5]
.LBB1108_35:
	s_or_b64 exec, exec, s[12:13]
	s_movk_i32 s4, 0xffd0
	v_mad_i32_i24 v30, v0, s4, v38
	s_waitcnt vmcnt(0)
	ds_write2st64_b64 v30, v[2:3], v[4:5] offset1:8
	ds_write2st64_b64 v30, v[6:7], v[8:9] offset0:16 offset1:24
	ds_write2st64_b64 v30, v[10:11], v[12:13] offset0:32 offset1:40
	ds_write_b64 v30, v[26:27] offset:24576
	s_waitcnt lgkmcnt(0)
	s_barrier
.LBB1108_36:
	ds_read2_b64 v[10:13], v38 offset1:1
	ds_read2_b64 v[6:9], v38 offset0:2 offset1:3
	ds_read2_b64 v[2:5], v38 offset0:4 offset1:5
	ds_read_b64 v[26:27], v38 offset:48
	s_cmp_lg_u32 s2, 0
	s_cselect_b64 s[16:17], -1, 0
	s_cmp_lg_u64 s[6:7], 0
	s_cselect_b64 s[4:5], -1, 0
	s_or_b64 s[4:5], s[16:17], s[4:5]
	v_add_u32_e32 v43, 1, v1
	v_add_u32_e32 v40, 2, v1
	;; [unrolled: 1-line block ×6, first 2 shown]
	s_mov_b64 s[12:13], 0
	s_and_b64 vcc, exec, s[4:5]
	v_cmp_lt_i64_e64 s[14:15], s[26:27], 1
	v_cmp_gt_i64_e64 s[18:19], s[26:27], 0
	s_waitcnt lgkmcnt(0)
	s_barrier
	s_cbranch_vccz .LBB1108_45
; %bb.37:
	s_add_u32 s4, s8, -8
	s_addc_u32 s5, s9, -1
	s_load_dwordx2 s[12:13], s[4:5], 0x0
	v_lshlrev_b32_e32 v39, 3, v0
	s_mov_b64 s[6:7], 0
	s_and_b64 vcc, exec, s[34:35]
	ds_write_b64 v39, v[28:29]
	s_cbranch_vccz .LBB1108_47
; %bb.38:
	v_cndmask_b32_e64 v30, 0, 1, s[18:19]
	v_cmp_ne_u32_e64 s[4:5], 1, v30
	s_andn2_b64 vcc, exec, s[18:19]
	s_cbranch_vccnz .LBB1108_48
; %bb.39:
	v_mov_b64_e32 v[32:33], s[28:29]
	v_mad_u64_u32 v[30:31], s[6:7], v16, s26, v[32:33]
	v_mul_lo_u32 v34, v16, s27
	v_mul_lo_u32 v35, v17, s26
	v_add3_u32 v31, v35, v31, v34
	v_mad_u64_u32 v[32:33], s[6:7], v28, s26, v[32:33]
	v_mul_lo_u32 v34, v28, s27
	v_mul_lo_u32 v35, v29, s26
	v_add3_u32 v33, v35, v33, v34
	global_load_ubyte v34, v[30:31], off
	global_load_ubyte v35, v[32:33], off
	s_mov_b64 s[8:9], -1
	s_waitcnt vmcnt(1)
	v_cmp_ne_u16_e32 vcc, 0, v34
	s_waitcnt vmcnt(0)
	v_cmp_ne_u16_e64 s[6:7], 0, v35
	s_xor_b64 s[6:7], vcc, s[6:7]
	s_xor_b64 s[6:7], s[6:7], -1
	s_and_saveexec_b64 s[18:19], s[6:7]
	s_cbranch_execz .LBB1108_50
; %bb.40:
	s_mov_b64 s[40:41], 1
	s_mov_b64 s[36:37], 0
                                        ; implicit-def: $sgpr38_sgpr39
	s_branch .LBB1108_43
.LBB1108_41:                            ;   in Loop: Header=BB1108_43 Depth=1
	v_lshl_add_u64 v[34:35], v[30:31], 0, s[40:41]
	v_lshl_add_u64 v[36:37], v[32:33], 0, s[40:41]
	global_load_ubyte v46, v[34:35], off
	global_load_ubyte v47, v[36:37], off
	s_waitcnt vmcnt(1)
	v_cmp_ne_u16_e64 s[6:7], 0, v46
	s_waitcnt vmcnt(0)
	v_cmp_ne_u16_e64 s[8:9], 0, v47
	s_xor_b64 s[8:9], s[6:7], s[8:9]
	s_add_u32 s6, s40, 1
	s_addc_u32 s7, s41, 0
	s_andn2_b64 s[38:39], s[38:39], exec
	s_and_b64 s[8:9], s[8:9], exec
	s_or_b64 s[38:39], s[38:39], s[8:9]
.LBB1108_42:                            ;   in Loop: Header=BB1108_43 Depth=1
	s_and_b64 s[8:9], exec, s[38:39]
	s_or_b64 s[36:37], s[8:9], s[36:37]
	v_mov_b64_e32 v[34:35], s[40:41]
	s_mov_b64 s[40:41], s[6:7]
	s_andn2_b64 exec, exec, s[36:37]
	s_cbranch_execz .LBB1108_49
.LBB1108_43:                            ; =>This Inner Loop Header: Depth=1
	s_or_b64 s[38:39], s[38:39], exec
	s_cmp_eq_u64 s[26:27], s[40:41]
	s_cbranch_scc0 .LBB1108_41
; %bb.44:                               ;   in Loop: Header=BB1108_43 Depth=1
                                        ; implicit-def: $sgpr6_sgpr7
	s_mov_b64 s[40:41], s[26:27]
	s_branch .LBB1108_42
.LBB1108_45:
                                        ; implicit-def: $sgpr36_sgpr37
                                        ; implicit-def: $vgpr46
                                        ; implicit-def: $vgpr32
                                        ; implicit-def: $vgpr33
                                        ; implicit-def: $vgpr34
	s_branch .LBB1108_173
.LBB1108_46:
                                        ; implicit-def: $vgpr30_vgpr31
	s_branch .LBB1108_306
.LBB1108_47:
                                        ; implicit-def: $sgpr36_sgpr37
                                        ; implicit-def: $vgpr46
                                        ; implicit-def: $vgpr32
                                        ; implicit-def: $vgpr33
                                        ; implicit-def: $vgpr34
	s_cbranch_execnz .LBB1108_106
	s_branch .LBB1108_172
.LBB1108_48:
	v_mov_b32_e32 v30, 0
	s_branch .LBB1108_58
.LBB1108_49:
	s_or_b64 exec, exec, s[36:37]
	v_cmp_gt_i64_e64 s[6:7], s[26:27], v[34:35]
	s_orn2_b64 s[8:9], s[6:7], exec
.LBB1108_50:
	s_or_b64 exec, exec, s[18:19]
	v_mov_b64_e32 v[32:33], s[28:29]
	v_mad_u64_u32 v[32:33], s[6:7], v14, s26, v[32:33]
	v_mul_lo_u32 v34, v14, s27
	v_mul_lo_u32 v35, v15, s26
	v_add3_u32 v33, v35, v33, v34
	global_load_ubyte v34, v[32:33], off
	s_waitcnt vmcnt(0)
	v_cmp_ne_u16_e64 s[6:7], 0, v34
	s_xor_b64 s[18:19], vcc, s[6:7]
	s_mov_b64 s[6:7], -1
	s_xor_b64 s[36:37], s[18:19], -1
	s_and_saveexec_b64 s[18:19], s[36:37]
	s_cbranch_execz .LBB1108_57
; %bb.51:
	s_mov_b64 s[40:41], 1
	s_mov_b64 s[36:37], 0
                                        ; implicit-def: $sgpr38_sgpr39
	s_branch .LBB1108_54
.LBB1108_52:                            ;   in Loop: Header=BB1108_54 Depth=1
	v_lshl_add_u64 v[34:35], v[32:33], 0, s[40:41]
	v_lshl_add_u64 v[36:37], v[30:31], 0, s[40:41]
	global_load_ubyte v46, v[34:35], off
	global_load_ubyte v47, v[36:37], off
	s_waitcnt vmcnt(1)
	v_cmp_ne_u16_e32 vcc, 0, v46
	s_waitcnt vmcnt(0)
	v_cmp_ne_u16_e64 s[6:7], 0, v47
	s_xor_b64 s[42:43], vcc, s[6:7]
	s_add_u32 s6, s40, 1
	s_addc_u32 s7, s41, 0
	s_andn2_b64 s[38:39], s[38:39], exec
	s_and_b64 s[42:43], s[42:43], exec
	s_or_b64 s[38:39], s[38:39], s[42:43]
.LBB1108_53:                            ;   in Loop: Header=BB1108_54 Depth=1
	s_and_b64 s[42:43], exec, s[38:39]
	s_or_b64 s[36:37], s[42:43], s[36:37]
	v_mov_b64_e32 v[34:35], s[40:41]
	s_mov_b64 s[40:41], s[6:7]
	s_andn2_b64 exec, exec, s[36:37]
	s_cbranch_execz .LBB1108_56
.LBB1108_54:                            ; =>This Inner Loop Header: Depth=1
	s_or_b64 s[38:39], s[38:39], exec
	s_cmp_eq_u64 s[26:27], s[40:41]
	s_cbranch_scc0 .LBB1108_52
; %bb.55:                               ;   in Loop: Header=BB1108_54 Depth=1
                                        ; implicit-def: $sgpr6_sgpr7
	s_mov_b64 s[40:41], s[26:27]
	s_branch .LBB1108_53
.LBB1108_56:
	s_or_b64 exec, exec, s[36:37]
	v_cmp_gt_i64_e32 vcc, s[26:27], v[34:35]
	s_orn2_b64 s[6:7], vcc, exec
.LBB1108_57:
	s_or_b64 exec, exec, s[18:19]
	v_cndmask_b32_e64 v30, 0, 1, s[8:9]
.LBB1108_58:
	v_lshlrev_b16_e32 v31, 8, v0
	v_lshlrev_b16_e32 v32, 8, v0
	v_mov_b32_e32 v34, 8
	v_lshrrev_b32_sdwa v32, v34, v32 dst_sel:BYTE_1 dst_unused:UNUSED_PAD src0_sel:DWORD src1_sel:DWORD
	v_lshrrev_b32_sdwa v31, v34, v31 dst_sel:BYTE_1 dst_unused:UNUSED_PAD src0_sel:DWORD src1_sel:DWORD
	v_cndmask_b32_e64 v33, 0, 1, s[6:7]
	v_or_b32_sdwa v32, v0, v32 dst_sel:DWORD dst_unused:UNUSED_PAD src0_sel:BYTE_0 src1_sel:DWORD
	v_or_b32_sdwa v31, v0, v31 dst_sel:WORD_1 dst_unused:UNUSED_PAD src0_sel:BYTE_0 src1_sel:DWORD
	v_lshlrev_b32_e32 v30, 16, v30
	v_or_b32_sdwa v46, v32, v31 dst_sel:DWORD dst_unused:UNUSED_PAD src0_sel:WORD_0 src1_sel:DWORD
	v_lshlrev_b16_e32 v31, 8, v33
	s_and_b64 vcc, exec, s[4:5]
	v_or_b32_e32 v47, v31, v30
	s_cbranch_vccnz .LBB1108_65
; %bb.59:
	v_mov_b64_e32 v[32:33], s[28:29]
	v_mad_u64_u32 v[30:31], s[6:7], v20, s26, v[32:33]
	v_mul_lo_u32 v34, v20, s27
	v_mul_lo_u32 v35, v21, s26
	v_add3_u32 v31, v35, v31, v34
	v_mad_u64_u32 v[32:33], s[6:7], v14, s26, v[32:33]
	v_mul_lo_u32 v34, v14, s27
	v_mul_lo_u32 v35, v15, s26
	v_add3_u32 v33, v35, v33, v34
	global_load_ubyte v34, v[30:31], off
	global_load_ubyte v35, v[32:33], off
	s_waitcnt vmcnt(1)
	v_cmp_ne_u16_e32 vcc, 0, v34
	s_waitcnt vmcnt(0)
	v_cmp_ne_u16_e64 s[6:7], 0, v35
	s_xor_b64 s[8:9], vcc, s[6:7]
	s_mov_b64 s[6:7], -1
	s_xor_b64 s[8:9], s[8:9], -1
	s_and_saveexec_b64 s[18:19], s[8:9]
	s_cbranch_execz .LBB1108_67
; %bb.60:
	s_mov_b64 s[40:41], 1
	s_mov_b64 s[36:37], 0
                                        ; implicit-def: $sgpr38_sgpr39
	s_branch .LBB1108_63
.LBB1108_61:                            ;   in Loop: Header=BB1108_63 Depth=1
	v_lshl_add_u64 v[34:35], v[30:31], 0, s[40:41]
	v_lshl_add_u64 v[36:37], v[32:33], 0, s[40:41]
	global_load_ubyte v48, v[34:35], off
	global_load_ubyte v49, v[36:37], off
	s_waitcnt vmcnt(1)
	v_cmp_ne_u16_e64 s[6:7], 0, v48
	s_waitcnt vmcnt(0)
	v_cmp_ne_u16_e64 s[8:9], 0, v49
	s_xor_b64 s[8:9], s[6:7], s[8:9]
	s_add_u32 s6, s40, 1
	s_addc_u32 s7, s41, 0
	s_andn2_b64 s[38:39], s[38:39], exec
	s_and_b64 s[8:9], s[8:9], exec
	s_or_b64 s[38:39], s[38:39], s[8:9]
.LBB1108_62:                            ;   in Loop: Header=BB1108_63 Depth=1
	s_and_b64 s[8:9], exec, s[38:39]
	s_or_b64 s[36:37], s[8:9], s[36:37]
	v_mov_b64_e32 v[34:35], s[40:41]
	s_mov_b64 s[40:41], s[6:7]
	s_andn2_b64 exec, exec, s[36:37]
	s_cbranch_execz .LBB1108_66
.LBB1108_63:                            ; =>This Inner Loop Header: Depth=1
	s_or_b64 s[38:39], s[38:39], exec
	s_cmp_eq_u64 s[26:27], s[40:41]
	s_cbranch_scc0 .LBB1108_61
; %bb.64:                               ;   in Loop: Header=BB1108_63 Depth=1
                                        ; implicit-def: $sgpr6_sgpr7
	s_mov_b64 s[40:41], s[26:27]
	s_branch .LBB1108_62
.LBB1108_65:
                                        ; implicit-def: $sgpr6_sgpr7
                                        ; implicit-def: $vgpr32_vgpr33
	s_cbranch_execnz .LBB1108_75
	s_branch .LBB1108_76
.LBB1108_66:
	s_or_b64 exec, exec, s[36:37]
	v_cmp_gt_i64_e64 s[6:7], s[26:27], v[34:35]
	s_orn2_b64 s[6:7], s[6:7], exec
.LBB1108_67:
	s_or_b64 exec, exec, s[18:19]
	v_mov_b64_e32 v[32:33], s[28:29]
	v_mad_u64_u32 v[34:35], s[8:9], v18, s26, v[32:33]
	v_mul_lo_u32 v32, v18, s27
	v_mul_lo_u32 v33, v19, s26
	v_add3_u32 v35, v33, v35, v32
	global_load_ubyte v36, v[34:35], off
	v_mov_b32_e32 v32, 8
	v_cndmask_b32_e64 v33, 0, 1, s[6:7]
	s_mov_b32 s6, 0x3020104
	v_lshrrev_b32_sdwa v48, v32, v47 dst_sel:BYTE_1 dst_unused:UNUSED_PAD src0_sel:DWORD src1_sel:DWORD
	v_perm_b32 v32, v46, v46, s6
	v_or_b32_e32 v33, v33, v48
	v_bfe_u32 v37, v47, 16, 8
	v_and_b32_e32 v33, 0xffff, v33
	v_lshl_or_b32 v33, v37, 16, v33
	s_waitcnt vmcnt(0)
	v_cmp_ne_u16_e64 s[6:7], 0, v36
	s_xor_b64 s[8:9], vcc, s[6:7]
	s_mov_b64 s[6:7], -1
	s_xor_b64 s[18:19], s[8:9], -1
	s_and_saveexec_b64 s[8:9], s[18:19]
	s_cbranch_execz .LBB1108_74
; %bb.68:
	s_mov_b64 s[38:39], 1
	s_mov_b64 s[18:19], 0
                                        ; implicit-def: $sgpr36_sgpr37
	s_branch .LBB1108_71
.LBB1108_69:                            ;   in Loop: Header=BB1108_71 Depth=1
	v_lshl_add_u64 v[36:37], v[34:35], 0, s[38:39]
	v_lshl_add_u64 v[48:49], v[30:31], 0, s[38:39]
	global_load_ubyte v50, v[36:37], off
	global_load_ubyte v51, v[48:49], off
	s_waitcnt vmcnt(1)
	v_cmp_ne_u16_e32 vcc, 0, v50
	s_waitcnt vmcnt(0)
	v_cmp_ne_u16_e64 s[6:7], 0, v51
	s_xor_b64 s[40:41], vcc, s[6:7]
	s_add_u32 s6, s38, 1
	s_addc_u32 s7, s39, 0
	s_andn2_b64 s[36:37], s[36:37], exec
	s_and_b64 s[40:41], s[40:41], exec
	s_or_b64 s[36:37], s[36:37], s[40:41]
.LBB1108_70:                            ;   in Loop: Header=BB1108_71 Depth=1
	s_and_b64 s[40:41], exec, s[36:37]
	s_or_b64 s[18:19], s[40:41], s[18:19]
	v_mov_b64_e32 v[36:37], s[38:39]
	s_mov_b64 s[38:39], s[6:7]
	s_andn2_b64 exec, exec, s[18:19]
	s_cbranch_execz .LBB1108_73
.LBB1108_71:                            ; =>This Inner Loop Header: Depth=1
	s_or_b64 s[36:37], s[36:37], exec
	s_cmp_eq_u64 s[26:27], s[38:39]
	s_cbranch_scc0 .LBB1108_69
; %bb.72:                               ;   in Loop: Header=BB1108_71 Depth=1
                                        ; implicit-def: $sgpr6_sgpr7
	s_mov_b64 s[38:39], s[26:27]
	s_branch .LBB1108_70
.LBB1108_73:
	s_or_b64 exec, exec, s[18:19]
	v_cmp_gt_i64_e32 vcc, s[26:27], v[36:37]
	s_orn2_b64 s[6:7], vcc, exec
.LBB1108_74:
	s_or_b64 exec, exec, s[8:9]
	s_branch .LBB1108_76
.LBB1108_75:
	v_mov_b32_e32 v30, 8
	v_lshrrev_b32_sdwa v30, v30, v47 dst_sel:BYTE_1 dst_unused:UNUSED_PAD src0_sel:DWORD src1_sel:DWORD
	v_bfe_u32 v31, v47, 16, 8
	s_mov_b32 s8, 0x3020104
	v_lshl_or_b32 v33, v31, 16, v30
	v_perm_b32 v32, v46, v46, s8
	s_andn2_b64 s[6:7], s[6:7], exec
.LBB1108_76:
	v_mov_b32_e32 v31, 8
	v_cndmask_b32_e64 v30, 0, 1, s[6:7]
	s_movk_i32 s6, 0xff
	v_lshrrev_b32_sdwa v34, v31, v32 dst_sel:BYTE_1 dst_unused:UNUSED_PAD src0_sel:DWORD src1_sel:DWORD
	v_lshlrev_b16_e32 v30, 8, v30
	v_or_b32_sdwa v34, v32, v34 dst_sel:DWORD dst_unused:UNUSED_PAD src0_sel:BYTE_0 src1_sel:DWORD
	v_and_b32_sdwa v32, v32, s6 dst_sel:DWORD dst_unused:UNUSED_PAD src0_sel:WORD_1 src1_sel:DWORD
	v_or_b32_sdwa v30, v32, v30 dst_sel:WORD_1 dst_unused:UNUSED_PAD src0_sel:DWORD src1_sel:DWORD
	s_and_b64 vcc, exec, s[4:5]
	v_or_b32_sdwa v46, v34, v30 dst_sel:DWORD dst_unused:UNUSED_PAD src0_sel:WORD_0 src1_sel:DWORD
	v_lshrrev_b32_sdwa v30, v31, v33 dst_sel:BYTE_1 dst_unused:UNUSED_PAD src0_sel:DWORD src1_sel:DWORD
	v_bfe_u32 v31, v33, 16, 8
	v_or_b32_sdwa v30, v33, v30 dst_sel:DWORD dst_unused:UNUSED_PAD src0_sel:BYTE_0 src1_sel:DWORD
	v_and_b32_e32 v30, 0xffff, v30
	v_lshl_or_b32 v47, v31, 16, v30
	s_cbranch_vccnz .LBB1108_83
; %bb.77:
	v_mov_b64_e32 v[32:33], s[28:29]
	v_mad_u64_u32 v[30:31], s[6:7], v24, s26, v[32:33]
	v_mul_lo_u32 v34, v24, s27
	v_mul_lo_u32 v35, v25, s26
	v_add3_u32 v31, v35, v31, v34
	v_mad_u64_u32 v[32:33], s[6:7], v18, s26, v[32:33]
	v_mul_lo_u32 v34, v18, s27
	v_mul_lo_u32 v35, v19, s26
	v_add3_u32 v33, v35, v33, v34
	global_load_ubyte v34, v[30:31], off
	global_load_ubyte v35, v[32:33], off
	s_waitcnt vmcnt(1)
	v_cmp_ne_u16_e32 vcc, 0, v34
	s_waitcnt vmcnt(0)
	v_cmp_ne_u16_e64 s[6:7], 0, v35
	s_xor_b64 s[8:9], vcc, s[6:7]
	s_mov_b64 s[6:7], -1
	s_xor_b64 s[8:9], s[8:9], -1
	s_and_saveexec_b64 s[18:19], s[8:9]
	s_cbranch_execz .LBB1108_85
; %bb.78:
	s_mov_b64 s[40:41], 1
	s_mov_b64 s[36:37], 0
                                        ; implicit-def: $sgpr38_sgpr39
	s_branch .LBB1108_81
.LBB1108_79:                            ;   in Loop: Header=BB1108_81 Depth=1
	v_lshl_add_u64 v[34:35], v[30:31], 0, s[40:41]
	v_lshl_add_u64 v[36:37], v[32:33], 0, s[40:41]
	global_load_ubyte v48, v[34:35], off
	global_load_ubyte v49, v[36:37], off
	s_waitcnt vmcnt(1)
	v_cmp_ne_u16_e64 s[6:7], 0, v48
	s_waitcnt vmcnt(0)
	v_cmp_ne_u16_e64 s[8:9], 0, v49
	s_xor_b64 s[8:9], s[6:7], s[8:9]
	s_add_u32 s6, s40, 1
	s_addc_u32 s7, s41, 0
	s_andn2_b64 s[38:39], s[38:39], exec
	s_and_b64 s[8:9], s[8:9], exec
	s_or_b64 s[38:39], s[38:39], s[8:9]
.LBB1108_80:                            ;   in Loop: Header=BB1108_81 Depth=1
	s_and_b64 s[8:9], exec, s[38:39]
	s_or_b64 s[36:37], s[8:9], s[36:37]
	v_mov_b64_e32 v[34:35], s[40:41]
	s_mov_b64 s[40:41], s[6:7]
	s_andn2_b64 exec, exec, s[36:37]
	s_cbranch_execz .LBB1108_84
.LBB1108_81:                            ; =>This Inner Loop Header: Depth=1
	s_or_b64 s[38:39], s[38:39], exec
	s_cmp_eq_u64 s[26:27], s[40:41]
	s_cbranch_scc0 .LBB1108_79
; %bb.82:                               ;   in Loop: Header=BB1108_81 Depth=1
                                        ; implicit-def: $sgpr6_sgpr7
	s_mov_b64 s[40:41], s[26:27]
	s_branch .LBB1108_80
.LBB1108_83:
                                        ; implicit-def: $sgpr6_sgpr7
                                        ; implicit-def: $vgpr32_vgpr33
	s_cbranch_execnz .LBB1108_93
	s_branch .LBB1108_94
.LBB1108_84:
	s_or_b64 exec, exec, s[36:37]
	v_cmp_gt_i64_e64 s[6:7], s[26:27], v[34:35]
	s_orn2_b64 s[6:7], s[6:7], exec
.LBB1108_85:
	s_or_b64 exec, exec, s[18:19]
	v_mov_b64_e32 v[32:33], s[28:29]
	v_mad_u64_u32 v[34:35], s[8:9], v22, s26, v[32:33]
	v_mul_lo_u32 v32, v22, s27
	v_mul_lo_u32 v33, v23, s26
	v_add3_u32 v35, v33, v35, v32
	global_load_ubyte v36, v[34:35], off
	v_mov_b32_e32 v33, 8
	v_lshrrev_b32_e32 v48, 24, v46
	v_lshrrev_b32_sdwa v49, v33, v47 dst_sel:BYTE_1 dst_unused:UNUSED_PAD src0_sel:DWORD src1_sel:DWORD
	v_cndmask_b32_e64 v32, 0, 1, s[6:7]
	v_lshrrev_b32_sdwa v33, v33, v46 dst_sel:BYTE_1 dst_unused:UNUSED_PAD src0_sel:DWORD src1_sel:DWORD
	v_lshlrev_b16_e32 v48, 8, v48
	v_or_b32_sdwa v49, v47, v49 dst_sel:DWORD dst_unused:UNUSED_PAD src0_sel:BYTE_0 src1_sel:DWORD
	v_bfe_u32 v37, v47, 16, 8
	v_or_b32_sdwa v33, v46, v33 dst_sel:DWORD dst_unused:UNUSED_PAD src0_sel:BYTE_0 src1_sel:DWORD
	v_or_b32_sdwa v32, v32, v48 dst_sel:WORD_1 dst_unused:UNUSED_PAD src0_sel:DWORD src1_sel:DWORD
	v_and_b32_e32 v48, 0xffff, v49
	v_or_b32_sdwa v32, v33, v32 dst_sel:DWORD dst_unused:UNUSED_PAD src0_sel:WORD_0 src1_sel:DWORD
	v_lshl_or_b32 v33, v37, 16, v48
	s_waitcnt vmcnt(0)
	v_cmp_ne_u16_e64 s[6:7], 0, v36
	s_xor_b64 s[8:9], vcc, s[6:7]
	s_mov_b64 s[6:7], -1
	s_xor_b64 s[18:19], s[8:9], -1
	s_and_saveexec_b64 s[8:9], s[18:19]
	s_cbranch_execz .LBB1108_92
; %bb.86:
	s_mov_b64 s[38:39], 1
	s_mov_b64 s[18:19], 0
                                        ; implicit-def: $sgpr36_sgpr37
	s_branch .LBB1108_89
.LBB1108_87:                            ;   in Loop: Header=BB1108_89 Depth=1
	v_lshl_add_u64 v[36:37], v[34:35], 0, s[38:39]
	v_lshl_add_u64 v[48:49], v[30:31], 0, s[38:39]
	global_load_ubyte v50, v[36:37], off
	global_load_ubyte v51, v[48:49], off
	s_waitcnt vmcnt(1)
	v_cmp_ne_u16_e32 vcc, 0, v50
	s_waitcnt vmcnt(0)
	v_cmp_ne_u16_e64 s[6:7], 0, v51
	s_xor_b64 s[40:41], vcc, s[6:7]
	s_add_u32 s6, s38, 1
	s_addc_u32 s7, s39, 0
	s_andn2_b64 s[36:37], s[36:37], exec
	s_and_b64 s[40:41], s[40:41], exec
	s_or_b64 s[36:37], s[36:37], s[40:41]
.LBB1108_88:                            ;   in Loop: Header=BB1108_89 Depth=1
	s_and_b64 s[40:41], exec, s[36:37]
	s_or_b64 s[18:19], s[40:41], s[18:19]
	v_mov_b64_e32 v[36:37], s[38:39]
	s_mov_b64 s[38:39], s[6:7]
	s_andn2_b64 exec, exec, s[18:19]
	s_cbranch_execz .LBB1108_91
.LBB1108_89:                            ; =>This Inner Loop Header: Depth=1
	s_or_b64 s[36:37], s[36:37], exec
	s_cmp_eq_u64 s[26:27], s[38:39]
	s_cbranch_scc0 .LBB1108_87
; %bb.90:                               ;   in Loop: Header=BB1108_89 Depth=1
                                        ; implicit-def: $sgpr6_sgpr7
	s_mov_b64 s[38:39], s[26:27]
	s_branch .LBB1108_88
.LBB1108_91:
	s_or_b64 exec, exec, s[18:19]
	v_cmp_gt_i64_e32 vcc, s[26:27], v[36:37]
	s_orn2_b64 s[6:7], vcc, exec
.LBB1108_92:
	s_or_b64 exec, exec, s[8:9]
	s_branch .LBB1108_94
.LBB1108_93:
	v_mov_b32_e32 v30, 8
	v_lshrrev_b32_sdwa v31, v30, v47 dst_sel:BYTE_1 dst_unused:UNUSED_PAD src0_sel:DWORD src1_sel:DWORD
	v_lshrrev_b32_sdwa v30, v30, v46 dst_sel:BYTE_1 dst_unused:UNUSED_PAD src0_sel:DWORD src1_sel:DWORD
	v_or_b32_sdwa v31, v47, v31 dst_sel:DWORD dst_unused:UNUSED_PAD src0_sel:BYTE_0 src1_sel:DWORD
	v_or_b32_sdwa v30, v46, v30 dst_sel:DWORD dst_unused:UNUSED_PAD src0_sel:BYTE_0 src1_sel:DWORD
	v_and_b32_e32 v31, 0xffff, v31
	v_bfe_u32 v32, v47, 16, 8
	v_and_b32_e32 v30, 0xffff, v30
	s_mov_b32 s8, 0xff000000
	v_lshl_or_b32 v33, v32, 16, v31
	v_and_or_b32 v32, v46, s8, v30
	s_andn2_b64 s[6:7], s[6:7], exec
.LBB1108_94:
	v_cmp_ne_u32_e32 vcc, 0, v0
	s_waitcnt lgkmcnt(0)
	v_mov_b64_e32 v[34:35], s[12:13]
	s_barrier
	s_and_saveexec_b64 s[8:9], vcc
	s_cbranch_execz .LBB1108_96
; %bb.95:
	v_add_u32_e32 v30, -8, v39
	ds_read_b64 v[34:35], v30
.LBB1108_96:
	s_or_b64 exec, exec, s[8:9]
	v_cndmask_b32_e64 v30, 0, 1, s[6:7]
	v_lshlrev_b16_e32 v30, 8, v30
	s_movk_i32 s6, 0xff
	v_or_b32_sdwa v46, v32, v30 dst_sel:DWORD dst_unused:UNUSED_PAD src0_sel:BYTE_0 src1_sel:DWORD
	v_lshrrev_b32_e32 v30, 24, v32
	v_lshlrev_b16_e32 v30, 8, v30
	v_and_b32_sdwa v31, v32, s6 dst_sel:DWORD dst_unused:UNUSED_PAD src0_sel:WORD_1 src1_sel:DWORD
	v_or_b32_sdwa v32, v31, v30 dst_sel:WORD_1 dst_unused:UNUSED_PAD src0_sel:DWORD src1_sel:DWORD
	s_mov_b64 s[6:7], 0
	s_and_b64 vcc, exec, s[4:5]
	s_mov_b64 s[36:37], 0
	s_cbranch_vccnz .LBB1108_105
; %bb.97:
	v_mov_b64_e32 v[36:37], s[28:29]
	s_waitcnt lgkmcnt(0)
	v_mad_u64_u32 v[30:31], s[4:5], v34, s26, v[36:37]
	v_mul_lo_u32 v34, v34, s27
	v_mul_lo_u32 v35, v35, s26
	v_add3_u32 v31, v35, v31, v34
	v_mad_u64_u32 v[34:35], s[4:5], v22, s26, v[36:37]
	v_mul_lo_u32 v36, v22, s27
	v_mul_lo_u32 v37, v23, s26
	v_add3_u32 v35, v37, v35, v36
	global_load_ubyte v36, v[30:31], off
	global_load_ubyte v37, v[34:35], off
	s_mov_b64 s[36:37], -1
	s_waitcnt vmcnt(1)
	v_cmp_ne_u16_e32 vcc, 0, v36
	s_waitcnt vmcnt(0)
	v_cmp_ne_u16_e64 s[4:5], 0, v37
	s_xor_b64 s[4:5], vcc, s[4:5]
	s_xor_b64 s[4:5], s[4:5], -1
	s_and_saveexec_b64 s[8:9], s[4:5]
	s_cbranch_execz .LBB1108_104
; %bb.98:
	s_mov_b64 s[38:39], 1
	s_mov_b64 s[18:19], 0
                                        ; implicit-def: $sgpr36_sgpr37
	s_branch .LBB1108_101
.LBB1108_99:                            ;   in Loop: Header=BB1108_101 Depth=1
	v_lshl_add_u64 v[36:37], v[30:31], 0, s[38:39]
	v_lshl_add_u64 v[48:49], v[34:35], 0, s[38:39]
	global_load_ubyte v47, v[36:37], off
	global_load_ubyte v50, v[48:49], off
	s_waitcnt vmcnt(1)
	v_cmp_ne_u16_e32 vcc, 0, v47
	s_waitcnt vmcnt(0)
	v_cmp_ne_u16_e64 s[4:5], 0, v50
	s_xor_b64 s[40:41], vcc, s[4:5]
	s_add_u32 s4, s38, 1
	s_addc_u32 s5, s39, 0
	s_andn2_b64 s[36:37], s[36:37], exec
	s_and_b64 s[40:41], s[40:41], exec
	s_or_b64 s[36:37], s[36:37], s[40:41]
.LBB1108_100:                           ;   in Loop: Header=BB1108_101 Depth=1
	s_and_b64 s[40:41], exec, s[36:37]
	s_or_b64 s[18:19], s[40:41], s[18:19]
	v_mov_b64_e32 v[36:37], s[38:39]
	s_mov_b64 s[38:39], s[4:5]
	s_andn2_b64 exec, exec, s[18:19]
	s_cbranch_execz .LBB1108_103
.LBB1108_101:                           ; =>This Inner Loop Header: Depth=1
	s_or_b64 s[36:37], s[36:37], exec
	s_cmp_eq_u64 s[26:27], s[38:39]
	s_cbranch_scc0 .LBB1108_99
; %bb.102:                              ;   in Loop: Header=BB1108_101 Depth=1
                                        ; implicit-def: $sgpr4_sgpr5
	s_mov_b64 s[38:39], s[26:27]
	s_branch .LBB1108_100
.LBB1108_103:
	s_or_b64 exec, exec, s[18:19]
	v_cmp_gt_i64_e32 vcc, s[26:27], v[36:37]
	s_orn2_b64 s[36:37], vcc, exec
.LBB1108_104:
	s_or_b64 exec, exec, s[8:9]
.LBB1108_105:
	s_waitcnt lgkmcnt(0)
	v_or_b32_sdwa v34, v46, v32 dst_sel:DWORD dst_unused:UNUSED_PAD src0_sel:WORD_0 src1_sel:DWORD
	v_lshrrev_b32_e32 v32, 8, v33
	v_lshrrev_b32_e32 v46, 16, v33
	s_and_b64 vcc, exec, s[6:7]
	s_cbranch_vccz .LBB1108_172
.LBB1108_106:
	v_cmp_gt_u32_e32 vcc, s3, v42
	s_xor_b64 s[14:15], s[14:15], -1
	s_mov_b64 s[36:37], -1
	s_and_b64 s[4:5], vcc, s[14:15]
	s_mov_b64 s[8:9], 0
	s_mov_b64 s[6:7], 0
	s_and_saveexec_b64 s[18:19], s[4:5]
	s_cbranch_execz .LBB1108_115
; %bb.107:
	v_mov_b64_e32 v[32:33], s[28:29]
	v_mad_u64_u32 v[30:31], s[4:5], v16, s26, v[32:33]
	v_mul_lo_u32 v34, v16, s27
	v_mul_lo_u32 v35, v17, s26
	v_add3_u32 v31, v35, v31, v34
	v_mad_u64_u32 v[32:33], s[4:5], v28, s26, v[32:33]
	v_mul_lo_u32 v34, v28, s27
	v_mul_lo_u32 v35, v29, s26
	v_add3_u32 v33, v35, v33, v34
	global_load_ubyte v34, v[30:31], off
	global_load_ubyte v35, v[32:33], off
	s_waitcnt vmcnt(1)
	v_cmp_ne_u16_e32 vcc, 0, v34
	s_waitcnt vmcnt(0)
	v_cmp_ne_u16_e64 s[4:5], 0, v35
	s_xor_b64 s[4:5], vcc, s[4:5]
	s_xor_b64 s[4:5], s[4:5], -1
	s_and_saveexec_b64 s[6:7], s[4:5]
	s_cbranch_execz .LBB1108_114
; %bb.108:
	s_mov_b64 s[40:41], 1
	s_mov_b64 s[36:37], 0
                                        ; implicit-def: $sgpr38_sgpr39
	s_branch .LBB1108_111
.LBB1108_109:                           ;   in Loop: Header=BB1108_111 Depth=1
	v_lshl_add_u64 v[34:35], v[30:31], 0, s[40:41]
	v_lshl_add_u64 v[36:37], v[32:33], 0, s[40:41]
	global_load_ubyte v46, v[34:35], off
	global_load_ubyte v47, v[36:37], off
	s_waitcnt vmcnt(1)
	v_cmp_ne_u16_e32 vcc, 0, v46
	s_waitcnt vmcnt(0)
	v_cmp_ne_u16_e64 s[4:5], 0, v47
	s_xor_b64 s[42:43], vcc, s[4:5]
	s_add_u32 s4, s40, 1
	s_addc_u32 s5, s41, 0
	s_andn2_b64 s[38:39], s[38:39], exec
	s_and_b64 s[42:43], s[42:43], exec
	s_or_b64 s[38:39], s[38:39], s[42:43]
.LBB1108_110:                           ;   in Loop: Header=BB1108_111 Depth=1
	s_and_b64 s[42:43], exec, s[38:39]
	s_or_b64 s[36:37], s[42:43], s[36:37]
	v_mov_b64_e32 v[34:35], s[40:41]
	s_mov_b64 s[40:41], s[4:5]
	s_andn2_b64 exec, exec, s[36:37]
	s_cbranch_execz .LBB1108_113
.LBB1108_111:                           ; =>This Inner Loop Header: Depth=1
	s_or_b64 s[38:39], s[38:39], exec
	s_cmp_eq_u64 s[26:27], s[40:41]
	s_cbranch_scc0 .LBB1108_109
; %bb.112:                              ;   in Loop: Header=BB1108_111 Depth=1
                                        ; implicit-def: $sgpr4_sgpr5
	s_mov_b64 s[40:41], s[26:27]
	s_branch .LBB1108_110
.LBB1108_113:
	s_or_b64 exec, exec, s[36:37]
	v_cmp_gt_i64_e32 vcc, s[26:27], v[34:35]
	s_orn2_b64 s[36:37], vcc, exec
.LBB1108_114:
	s_or_b64 exec, exec, s[6:7]
	s_and_b64 s[6:7], s[36:37], exec
.LBB1108_115:
	s_or_b64 exec, exec, s[18:19]
	v_cmp_gt_u32_e32 vcc, s3, v45
	s_and_b64 s[4:5], vcc, s[14:15]
	s_and_saveexec_b64 s[18:19], s[4:5]
	s_cbranch_execz .LBB1108_124
; %bb.116:
	v_mov_b64_e32 v[32:33], s[28:29]
	v_mad_u64_u32 v[30:31], s[4:5], v14, s26, v[32:33]
	v_mul_lo_u32 v34, v14, s27
	v_mul_lo_u32 v35, v15, s26
	v_add3_u32 v31, v35, v31, v34
	v_mad_u64_u32 v[32:33], s[4:5], v16, s26, v[32:33]
	v_mul_lo_u32 v34, v16, s27
	v_mul_lo_u32 v35, v17, s26
	v_add3_u32 v33, v35, v33, v34
	global_load_ubyte v34, v[30:31], off
	global_load_ubyte v35, v[32:33], off
	s_waitcnt vmcnt(1)
	v_cmp_ne_u16_e32 vcc, 0, v34
	s_waitcnt vmcnt(0)
	v_cmp_ne_u16_e64 s[4:5], 0, v35
	s_xor_b64 s[8:9], vcc, s[4:5]
	s_mov_b64 s[4:5], -1
	s_xor_b64 s[36:37], s[8:9], -1
	s_and_saveexec_b64 s[8:9], s[36:37]
	s_cbranch_execz .LBB1108_123
; %bb.117:
	s_mov_b64 s[40:41], 1
	s_mov_b64 s[36:37], 0
                                        ; implicit-def: $sgpr38_sgpr39
	s_branch .LBB1108_120
.LBB1108_118:                           ;   in Loop: Header=BB1108_120 Depth=1
	v_lshl_add_u64 v[34:35], v[30:31], 0, s[40:41]
	v_lshl_add_u64 v[36:37], v[32:33], 0, s[40:41]
	global_load_ubyte v46, v[34:35], off
	global_load_ubyte v47, v[36:37], off
	s_waitcnt vmcnt(1)
	v_cmp_ne_u16_e32 vcc, 0, v46
	s_waitcnt vmcnt(0)
	v_cmp_ne_u16_e64 s[4:5], 0, v47
	s_xor_b64 s[42:43], vcc, s[4:5]
	s_add_u32 s4, s40, 1
	s_addc_u32 s5, s41, 0
	s_andn2_b64 s[38:39], s[38:39], exec
	s_and_b64 s[42:43], s[42:43], exec
	s_or_b64 s[38:39], s[38:39], s[42:43]
.LBB1108_119:                           ;   in Loop: Header=BB1108_120 Depth=1
	s_and_b64 s[42:43], exec, s[38:39]
	s_or_b64 s[36:37], s[42:43], s[36:37]
	v_mov_b64_e32 v[34:35], s[40:41]
	s_mov_b64 s[40:41], s[4:5]
	s_andn2_b64 exec, exec, s[36:37]
	s_cbranch_execz .LBB1108_122
.LBB1108_120:                           ; =>This Inner Loop Header: Depth=1
	s_or_b64 s[38:39], s[38:39], exec
	s_cmp_eq_u64 s[26:27], s[40:41]
	s_cbranch_scc0 .LBB1108_118
; %bb.121:                              ;   in Loop: Header=BB1108_120 Depth=1
                                        ; implicit-def: $sgpr4_sgpr5
	s_mov_b64 s[40:41], s[26:27]
	s_branch .LBB1108_119
.LBB1108_122:
	s_or_b64 exec, exec, s[36:37]
	v_cmp_gt_i64_e32 vcc, s[26:27], v[34:35]
	s_orn2_b64 s[4:5], vcc, exec
.LBB1108_123:
	s_or_b64 exec, exec, s[8:9]
	s_and_b64 s[8:9], s[4:5], exec
.LBB1108_124:
	s_or_b64 exec, exec, s[18:19]
	v_cmp_gt_u32_e32 vcc, s3, v41
	s_mov_b64 s[40:41], -1
	s_and_b64 s[4:5], vcc, s[14:15]
	s_mov_b64 s[36:37], 0
	s_mov_b64 s[18:19], 0
	s_and_saveexec_b64 s[38:39], s[4:5]
	s_cbranch_execz .LBB1108_133
; %bb.125:
	v_mov_b64_e32 v[32:33], s[28:29]
	v_mad_u64_u32 v[30:31], s[4:5], v20, s26, v[32:33]
	v_mul_lo_u32 v34, v20, s27
	v_mul_lo_u32 v35, v21, s26
	v_add3_u32 v31, v35, v31, v34
	v_mad_u64_u32 v[32:33], s[4:5], v14, s26, v[32:33]
	v_mul_lo_u32 v34, v14, s27
	v_mul_lo_u32 v35, v15, s26
	v_add3_u32 v33, v35, v33, v34
	global_load_ubyte v34, v[30:31], off
	global_load_ubyte v35, v[32:33], off
	s_waitcnt vmcnt(1)
	v_cmp_ne_u16_e32 vcc, 0, v34
	s_waitcnt vmcnt(0)
	v_cmp_ne_u16_e64 s[4:5], 0, v35
	s_xor_b64 s[4:5], vcc, s[4:5]
	s_xor_b64 s[4:5], s[4:5], -1
	s_and_saveexec_b64 s[18:19], s[4:5]
	s_cbranch_execz .LBB1108_132
; %bb.126:
	s_mov_b64 s[44:45], 1
	s_mov_b64 s[40:41], 0
                                        ; implicit-def: $sgpr42_sgpr43
	s_branch .LBB1108_129
.LBB1108_127:                           ;   in Loop: Header=BB1108_129 Depth=1
	v_lshl_add_u64 v[34:35], v[30:31], 0, s[44:45]
	v_lshl_add_u64 v[36:37], v[32:33], 0, s[44:45]
	global_load_ubyte v46, v[34:35], off
	global_load_ubyte v47, v[36:37], off
	s_waitcnt vmcnt(1)
	v_cmp_ne_u16_e32 vcc, 0, v46
	s_waitcnt vmcnt(0)
	v_cmp_ne_u16_e64 s[4:5], 0, v47
	s_xor_b64 s[46:47], vcc, s[4:5]
	s_add_u32 s4, s44, 1
	s_addc_u32 s5, s45, 0
	s_andn2_b64 s[42:43], s[42:43], exec
	s_and_b64 s[46:47], s[46:47], exec
	s_or_b64 s[42:43], s[42:43], s[46:47]
.LBB1108_128:                           ;   in Loop: Header=BB1108_129 Depth=1
	s_and_b64 s[46:47], exec, s[42:43]
	s_or_b64 s[40:41], s[46:47], s[40:41]
	v_mov_b64_e32 v[34:35], s[44:45]
	s_mov_b64 s[44:45], s[4:5]
	s_andn2_b64 exec, exec, s[40:41]
	s_cbranch_execz .LBB1108_131
.LBB1108_129:                           ; =>This Inner Loop Header: Depth=1
	s_or_b64 s[42:43], s[42:43], exec
	s_cmp_eq_u64 s[26:27], s[44:45]
	s_cbranch_scc0 .LBB1108_127
; %bb.130:                              ;   in Loop: Header=BB1108_129 Depth=1
                                        ; implicit-def: $sgpr4_sgpr5
	s_mov_b64 s[44:45], s[26:27]
	s_branch .LBB1108_128
.LBB1108_131:
	s_or_b64 exec, exec, s[40:41]
	v_cmp_gt_i64_e32 vcc, s[26:27], v[34:35]
	s_orn2_b64 s[40:41], vcc, exec
.LBB1108_132:
	s_or_b64 exec, exec, s[18:19]
	s_and_b64 s[18:19], s[40:41], exec
.LBB1108_133:
	s_or_b64 exec, exec, s[38:39]
	v_cmp_gt_u32_e32 vcc, s3, v44
	s_and_b64 s[4:5], vcc, s[14:15]
	s_and_saveexec_b64 s[38:39], s[4:5]
	s_cbranch_execz .LBB1108_142
; %bb.134:
	v_mov_b64_e32 v[32:33], s[28:29]
	v_mad_u64_u32 v[30:31], s[4:5], v18, s26, v[32:33]
	v_mul_lo_u32 v34, v18, s27
	v_mul_lo_u32 v35, v19, s26
	v_add3_u32 v31, v35, v31, v34
	v_mad_u64_u32 v[32:33], s[4:5], v20, s26, v[32:33]
	v_mul_lo_u32 v34, v20, s27
	v_mul_lo_u32 v35, v21, s26
	v_add3_u32 v33, v35, v33, v34
	global_load_ubyte v34, v[30:31], off
	global_load_ubyte v35, v[32:33], off
	s_waitcnt vmcnt(1)
	v_cmp_ne_u16_e32 vcc, 0, v34
	s_waitcnt vmcnt(0)
	v_cmp_ne_u16_e64 s[4:5], 0, v35
	s_xor_b64 s[36:37], vcc, s[4:5]
	s_mov_b64 s[4:5], -1
	s_xor_b64 s[40:41], s[36:37], -1
	s_and_saveexec_b64 s[36:37], s[40:41]
	s_cbranch_execz .LBB1108_141
; %bb.135:
	s_mov_b64 s[44:45], 1
	s_mov_b64 s[40:41], 0
                                        ; implicit-def: $sgpr42_sgpr43
	s_branch .LBB1108_138
.LBB1108_136:                           ;   in Loop: Header=BB1108_138 Depth=1
	v_lshl_add_u64 v[34:35], v[30:31], 0, s[44:45]
	v_lshl_add_u64 v[36:37], v[32:33], 0, s[44:45]
	global_load_ubyte v46, v[34:35], off
	global_load_ubyte v47, v[36:37], off
	s_waitcnt vmcnt(1)
	v_cmp_ne_u16_e32 vcc, 0, v46
	s_waitcnt vmcnt(0)
	v_cmp_ne_u16_e64 s[4:5], 0, v47
	s_xor_b64 s[46:47], vcc, s[4:5]
	s_add_u32 s4, s44, 1
	s_addc_u32 s5, s45, 0
	s_andn2_b64 s[42:43], s[42:43], exec
	s_and_b64 s[46:47], s[46:47], exec
	s_or_b64 s[42:43], s[42:43], s[46:47]
.LBB1108_137:                           ;   in Loop: Header=BB1108_138 Depth=1
	s_and_b64 s[46:47], exec, s[42:43]
	s_or_b64 s[40:41], s[46:47], s[40:41]
	v_mov_b64_e32 v[34:35], s[44:45]
	s_mov_b64 s[44:45], s[4:5]
	s_andn2_b64 exec, exec, s[40:41]
	s_cbranch_execz .LBB1108_140
.LBB1108_138:                           ; =>This Inner Loop Header: Depth=1
	s_or_b64 s[42:43], s[42:43], exec
	s_cmp_eq_u64 s[26:27], s[44:45]
	s_cbranch_scc0 .LBB1108_136
; %bb.139:                              ;   in Loop: Header=BB1108_138 Depth=1
                                        ; implicit-def: $sgpr4_sgpr5
	s_mov_b64 s[44:45], s[26:27]
	s_branch .LBB1108_137
.LBB1108_140:
	s_or_b64 exec, exec, s[40:41]
	v_cmp_gt_i64_e32 vcc, s[26:27], v[34:35]
	s_orn2_b64 s[4:5], vcc, exec
.LBB1108_141:
	s_or_b64 exec, exec, s[36:37]
	s_and_b64 s[36:37], s[4:5], exec
.LBB1108_142:
	s_or_b64 exec, exec, s[38:39]
	v_cmp_gt_u32_e32 vcc, s3, v40
	s_mov_b64 s[44:45], -1
	s_and_b64 s[4:5], vcc, s[14:15]
	s_mov_b64 s[38:39], 0
	s_mov_b64 s[40:41], 0
	s_and_saveexec_b64 s[42:43], s[4:5]
	s_cbranch_execz .LBB1108_151
; %bb.143:
	v_mov_b64_e32 v[32:33], s[28:29]
	v_mad_u64_u32 v[30:31], s[4:5], v24, s26, v[32:33]
	v_mul_lo_u32 v34, v24, s27
	v_mul_lo_u32 v35, v25, s26
	v_add3_u32 v31, v35, v31, v34
	v_mad_u64_u32 v[32:33], s[4:5], v18, s26, v[32:33]
	v_mul_lo_u32 v34, v18, s27
	v_mul_lo_u32 v35, v19, s26
	v_add3_u32 v33, v35, v33, v34
	global_load_ubyte v34, v[30:31], off
	global_load_ubyte v35, v[32:33], off
	s_waitcnt vmcnt(1)
	v_cmp_ne_u16_e32 vcc, 0, v34
	s_waitcnt vmcnt(0)
	v_cmp_ne_u16_e64 s[4:5], 0, v35
	s_xor_b64 s[4:5], vcc, s[4:5]
	s_xor_b64 s[4:5], s[4:5], -1
	s_and_saveexec_b64 s[40:41], s[4:5]
	s_cbranch_execz .LBB1108_150
; %bb.144:
	s_mov_b64 s[48:49], 1
	s_mov_b64 s[44:45], 0
                                        ; implicit-def: $sgpr46_sgpr47
	s_branch .LBB1108_147
.LBB1108_145:                           ;   in Loop: Header=BB1108_147 Depth=1
	v_lshl_add_u64 v[34:35], v[30:31], 0, s[48:49]
	v_lshl_add_u64 v[36:37], v[32:33], 0, s[48:49]
	global_load_ubyte v46, v[34:35], off
	global_load_ubyte v47, v[36:37], off
	s_waitcnt vmcnt(1)
	v_cmp_ne_u16_e32 vcc, 0, v46
	s_waitcnt vmcnt(0)
	v_cmp_ne_u16_e64 s[4:5], 0, v47
	s_xor_b64 s[50:51], vcc, s[4:5]
	s_add_u32 s4, s48, 1
	s_addc_u32 s5, s49, 0
	s_andn2_b64 s[46:47], s[46:47], exec
	s_and_b64 s[50:51], s[50:51], exec
	s_or_b64 s[46:47], s[46:47], s[50:51]
.LBB1108_146:                           ;   in Loop: Header=BB1108_147 Depth=1
	s_and_b64 s[50:51], exec, s[46:47]
	s_or_b64 s[44:45], s[50:51], s[44:45]
	v_mov_b64_e32 v[34:35], s[48:49]
	s_mov_b64 s[48:49], s[4:5]
	s_andn2_b64 exec, exec, s[44:45]
	s_cbranch_execz .LBB1108_149
.LBB1108_147:                           ; =>This Inner Loop Header: Depth=1
	s_or_b64 s[46:47], s[46:47], exec
	s_cmp_eq_u64 s[26:27], s[48:49]
	s_cbranch_scc0 .LBB1108_145
; %bb.148:                              ;   in Loop: Header=BB1108_147 Depth=1
                                        ; implicit-def: $sgpr4_sgpr5
	s_mov_b64 s[48:49], s[26:27]
	s_branch .LBB1108_146
.LBB1108_149:
	s_or_b64 exec, exec, s[44:45]
	v_cmp_gt_i64_e32 vcc, s[26:27], v[34:35]
	s_orn2_b64 s[44:45], vcc, exec
.LBB1108_150:
	s_or_b64 exec, exec, s[40:41]
	s_and_b64 s[40:41], s[44:45], exec
.LBB1108_151:
	s_or_b64 exec, exec, s[42:43]
	v_cmp_gt_u32_e32 vcc, s3, v43
	s_and_b64 s[4:5], vcc, s[14:15]
	s_and_saveexec_b64 s[42:43], s[4:5]
	s_cbranch_execz .LBB1108_160
; %bb.152:
	v_mov_b64_e32 v[32:33], s[28:29]
	v_mad_u64_u32 v[30:31], s[4:5], v22, s26, v[32:33]
	v_mul_lo_u32 v34, v22, s27
	v_mul_lo_u32 v35, v23, s26
	v_add3_u32 v31, v35, v31, v34
	v_mad_u64_u32 v[32:33], s[4:5], v24, s26, v[32:33]
	v_mul_lo_u32 v34, v24, s27
	v_mul_lo_u32 v35, v25, s26
	v_add3_u32 v33, v35, v33, v34
	global_load_ubyte v34, v[30:31], off
	global_load_ubyte v35, v[32:33], off
	s_waitcnt vmcnt(1)
	v_cmp_ne_u16_e32 vcc, 0, v34
	s_waitcnt vmcnt(0)
	v_cmp_ne_u16_e64 s[4:5], 0, v35
	s_xor_b64 s[38:39], vcc, s[4:5]
	s_mov_b64 s[4:5], -1
	s_xor_b64 s[44:45], s[38:39], -1
	s_and_saveexec_b64 s[38:39], s[44:45]
	s_cbranch_execz .LBB1108_159
; %bb.153:
	s_mov_b64 s[48:49], 1
	s_mov_b64 s[44:45], 0
                                        ; implicit-def: $sgpr46_sgpr47
	s_branch .LBB1108_156
.LBB1108_154:                           ;   in Loop: Header=BB1108_156 Depth=1
	v_lshl_add_u64 v[34:35], v[30:31], 0, s[48:49]
	v_lshl_add_u64 v[36:37], v[32:33], 0, s[48:49]
	global_load_ubyte v46, v[34:35], off
	global_load_ubyte v47, v[36:37], off
	s_waitcnt vmcnt(1)
	v_cmp_ne_u16_e32 vcc, 0, v46
	s_waitcnt vmcnt(0)
	v_cmp_ne_u16_e64 s[4:5], 0, v47
	s_xor_b64 s[50:51], vcc, s[4:5]
	s_add_u32 s4, s48, 1
	s_addc_u32 s5, s49, 0
	s_andn2_b64 s[46:47], s[46:47], exec
	s_and_b64 s[50:51], s[50:51], exec
	s_or_b64 s[46:47], s[46:47], s[50:51]
.LBB1108_155:                           ;   in Loop: Header=BB1108_156 Depth=1
	s_and_b64 s[50:51], exec, s[46:47]
	s_or_b64 s[44:45], s[50:51], s[44:45]
	v_mov_b64_e32 v[34:35], s[48:49]
	s_mov_b64 s[48:49], s[4:5]
	s_andn2_b64 exec, exec, s[44:45]
	s_cbranch_execz .LBB1108_158
.LBB1108_156:                           ; =>This Inner Loop Header: Depth=1
	s_or_b64 s[46:47], s[46:47], exec
	s_cmp_eq_u64 s[26:27], s[48:49]
	s_cbranch_scc0 .LBB1108_154
; %bb.157:                              ;   in Loop: Header=BB1108_156 Depth=1
                                        ; implicit-def: $sgpr4_sgpr5
	s_mov_b64 s[48:49], s[26:27]
	s_branch .LBB1108_155
.LBB1108_158:
	s_or_b64 exec, exec, s[44:45]
	v_cmp_gt_i64_e32 vcc, s[26:27], v[34:35]
	s_orn2_b64 s[4:5], vcc, exec
.LBB1108_159:
	s_or_b64 exec, exec, s[38:39]
	s_and_b64 s[38:39], s[4:5], exec
.LBB1108_160:
	s_or_b64 exec, exec, s[42:43]
	v_cmp_ne_u32_e32 vcc, 0, v0
	s_waitcnt lgkmcnt(0)
	v_mov_b64_e32 v[32:33], s[12:13]
	s_barrier
	s_and_saveexec_b64 s[4:5], vcc
	s_cbranch_execz .LBB1108_162
; %bb.161:
	v_add_u32_e32 v30, -8, v39
	ds_read_b64 v[32:33], v30
.LBB1108_162:
	s_or_b64 exec, exec, s[4:5]
	v_cndmask_b32_e64 v31, 0, 1, s[36:37]
	v_cndmask_b32_e64 v30, 0, 1, s[40:41]
	;; [unrolled: 1-line block ×3, first 2 shown]
	v_cmp_gt_u32_e32 vcc, s3, v1
	v_lshlrev_b16_e32 v31, 8, v31
	s_mov_b64 s[38:39], -1
	s_and_b64 s[4:5], vcc, s[14:15]
	v_lshlrev_b16_e32 v36, 8, v34
	v_or_b32_sdwa v37, v30, v31 dst_sel:WORD_1 dst_unused:UNUSED_PAD src0_sel:DWORD src1_sel:DWORD
	s_mov_b64 s[36:37], 0
	s_and_saveexec_b64 s[12:13], s[4:5]
	s_cbranch_execz .LBB1108_171
; %bb.163:
	v_mov_b64_e32 v[34:35], s[28:29]
	s_waitcnt lgkmcnt(0)
	v_mad_u64_u32 v[30:31], s[4:5], v32, s26, v[34:35]
	v_mul_lo_u32 v32, v32, s27
	v_mul_lo_u32 v33, v33, s26
	v_add3_u32 v31, v33, v31, v32
	v_mad_u64_u32 v[32:33], s[4:5], v22, s26, v[34:35]
	v_mul_lo_u32 v34, v22, s27
	v_mul_lo_u32 v35, v23, s26
	v_add3_u32 v33, v35, v33, v34
	global_load_ubyte v34, v[30:31], off
	global_load_ubyte v35, v[32:33], off
	s_waitcnt vmcnt(1)
	v_cmp_ne_u16_e32 vcc, 0, v34
	s_waitcnt vmcnt(0)
	v_cmp_ne_u16_e64 s[4:5], 0, v35
	s_xor_b64 s[4:5], vcc, s[4:5]
	s_xor_b64 s[4:5], s[4:5], -1
	s_and_saveexec_b64 s[14:15], s[4:5]
	s_cbranch_execz .LBB1108_170
; %bb.164:
	s_mov_b64 s[40:41], 1
                                        ; implicit-def: $sgpr38_sgpr39
	s_branch .LBB1108_167
.LBB1108_165:                           ;   in Loop: Header=BB1108_167 Depth=1
	v_lshl_add_u64 v[34:35], v[30:31], 0, s[40:41]
	v_lshl_add_u64 v[46:47], v[32:33], 0, s[40:41]
	global_load_ubyte v39, v[34:35], off
	global_load_ubyte v48, v[46:47], off
	s_waitcnt vmcnt(1)
	v_cmp_ne_u16_e32 vcc, 0, v39
	s_waitcnt vmcnt(0)
	v_cmp_ne_u16_e64 s[4:5], 0, v48
	s_xor_b64 s[42:43], vcc, s[4:5]
	s_add_u32 s4, s40, 1
	s_addc_u32 s5, s41, 0
	s_andn2_b64 s[38:39], s[38:39], exec
	s_and_b64 s[42:43], s[42:43], exec
	s_or_b64 s[38:39], s[38:39], s[42:43]
.LBB1108_166:                           ;   in Loop: Header=BB1108_167 Depth=1
	s_and_b64 s[42:43], exec, s[38:39]
	s_or_b64 s[36:37], s[42:43], s[36:37]
	v_mov_b64_e32 v[34:35], s[40:41]
	s_mov_b64 s[40:41], s[4:5]
	s_andn2_b64 exec, exec, s[36:37]
	s_cbranch_execz .LBB1108_169
.LBB1108_167:                           ; =>This Inner Loop Header: Depth=1
	s_or_b64 s[38:39], s[38:39], exec
	s_cmp_eq_u64 s[26:27], s[40:41]
	s_cbranch_scc0 .LBB1108_165
; %bb.168:                              ;   in Loop: Header=BB1108_167 Depth=1
                                        ; implicit-def: $sgpr4_sgpr5
	s_mov_b64 s[40:41], s[26:27]
	s_branch .LBB1108_166
.LBB1108_169:
	s_or_b64 exec, exec, s[36:37]
	v_cmp_gt_i64_e32 vcc, s[26:27], v[34:35]
	s_orn2_b64 s[38:39], vcc, exec
.LBB1108_170:
	s_or_b64 exec, exec, s[14:15]
	s_and_b64 s[36:37], s[38:39], exec
.LBB1108_171:
	s_or_b64 exec, exec, s[12:13]
	s_waitcnt lgkmcnt(0)
	v_cndmask_b32_e64 v33, 0, 1, s[18:19]
	v_cndmask_b32_e64 v32, 0, 1, s[8:9]
	;; [unrolled: 1-line block ×3, first 2 shown]
	v_or_b32_e32 v34, v36, v37
.LBB1108_172:
	s_waitcnt lgkmcnt(0)
	s_mov_b64 s[12:13], -1
	s_cbranch_execnz .LBB1108_46
.LBB1108_173:
	s_movk_i32 s4, 0xffd0
	v_mad_i32_i24 v38, v0, s4, v38
	v_cmp_lt_i64_e64 s[14:15], s[26:27], 1
	s_mov_b64 s[6:7], 0
	v_cmp_gt_i64_e64 s[8:9], s[26:27], 0
	s_and_b64 vcc, exec, s[34:35]
	ds_write_b64 v38, v[28:29]
	s_cbranch_vccz .LBB1108_181
; %bb.174:
	v_cndmask_b32_e64 v30, 0, 1, s[8:9]
	v_cmp_ne_u32_e64 s[4:5], 1, v30
	s_andn2_b64 vcc, exec, s[8:9]
	s_cbranch_vccnz .LBB1108_182
; %bb.175:
	v_mov_b64_e32 v[32:33], s[28:29]
	v_mad_u64_u32 v[30:31], s[6:7], v16, s26, v[32:33]
	v_mul_lo_u32 v34, v16, s27
	v_mul_lo_u32 v35, v17, s26
	v_add3_u32 v31, v35, v31, v34
	v_mad_u64_u32 v[32:33], s[6:7], v28, s26, v[32:33]
	v_mul_lo_u32 v34, v28, s27
	v_mul_lo_u32 v35, v29, s26
	v_add3_u32 v33, v35, v33, v34
	global_load_ubyte v34, v[30:31], off
	global_load_ubyte v35, v[32:33], off
	s_mov_b64 s[8:9], -1
	s_waitcnt vmcnt(1)
	v_cmp_ne_u16_e32 vcc, 0, v34
	s_waitcnt vmcnt(0)
	v_cmp_ne_u16_e64 s[6:7], 0, v35
	s_xor_b64 s[6:7], vcc, s[6:7]
	s_xor_b64 s[6:7], s[6:7], -1
	s_and_saveexec_b64 s[18:19], s[6:7]
	s_cbranch_execz .LBB1108_184
; %bb.176:
	s_mov_b64 s[40:41], 1
	s_mov_b64 s[36:37], 0
                                        ; implicit-def: $sgpr38_sgpr39
	s_branch .LBB1108_179
.LBB1108_177:                           ;   in Loop: Header=BB1108_179 Depth=1
	v_lshl_add_u64 v[34:35], v[30:31], 0, s[40:41]
	v_lshl_add_u64 v[36:37], v[32:33], 0, s[40:41]
	global_load_ubyte v39, v[34:35], off
	global_load_ubyte v46, v[36:37], off
	s_waitcnt vmcnt(1)
	v_cmp_ne_u16_e64 s[6:7], 0, v39
	s_waitcnt vmcnt(0)
	v_cmp_ne_u16_e64 s[8:9], 0, v46
	s_xor_b64 s[8:9], s[6:7], s[8:9]
	s_add_u32 s6, s40, 1
	s_addc_u32 s7, s41, 0
	s_andn2_b64 s[38:39], s[38:39], exec
	s_and_b64 s[8:9], s[8:9], exec
	s_or_b64 s[38:39], s[38:39], s[8:9]
.LBB1108_178:                           ;   in Loop: Header=BB1108_179 Depth=1
	s_and_b64 s[8:9], exec, s[38:39]
	s_or_b64 s[36:37], s[8:9], s[36:37]
	v_mov_b64_e32 v[34:35], s[40:41]
	s_mov_b64 s[40:41], s[6:7]
	s_andn2_b64 exec, exec, s[36:37]
	s_cbranch_execz .LBB1108_183
.LBB1108_179:                           ; =>This Inner Loop Header: Depth=1
	s_or_b64 s[38:39], s[38:39], exec
	s_cmp_eq_u64 s[26:27], s[40:41]
	s_cbranch_scc0 .LBB1108_177
; %bb.180:                              ;   in Loop: Header=BB1108_179 Depth=1
                                        ; implicit-def: $sgpr6_sgpr7
	s_mov_b64 s[40:41], s[26:27]
	s_branch .LBB1108_178
.LBB1108_181:
                                        ; implicit-def: $sgpr36_sgpr37
                                        ; implicit-def: $vgpr46
                                        ; implicit-def: $vgpr32
                                        ; implicit-def: $vgpr33
                                        ; implicit-def: $vgpr34
                                        ; implicit-def: $vgpr30_vgpr31
	s_cbranch_execnz .LBB1108_240
	s_branch .LBB1108_306
.LBB1108_182:
	v_mov_b32_e32 v30, 0
	s_branch .LBB1108_192
.LBB1108_183:
	s_or_b64 exec, exec, s[36:37]
	v_cmp_gt_i64_e64 s[6:7], s[26:27], v[34:35]
	s_orn2_b64 s[8:9], s[6:7], exec
.LBB1108_184:
	s_or_b64 exec, exec, s[18:19]
	v_mov_b64_e32 v[32:33], s[28:29]
	v_mad_u64_u32 v[32:33], s[6:7], v14, s26, v[32:33]
	v_mul_lo_u32 v34, v14, s27
	v_mul_lo_u32 v35, v15, s26
	v_add3_u32 v33, v35, v33, v34
	global_load_ubyte v34, v[32:33], off
	s_waitcnt vmcnt(0)
	v_cmp_ne_u16_e64 s[6:7], 0, v34
	s_xor_b64 s[18:19], vcc, s[6:7]
	s_mov_b64 s[6:7], -1
	s_xor_b64 s[36:37], s[18:19], -1
	s_and_saveexec_b64 s[18:19], s[36:37]
	s_cbranch_execz .LBB1108_191
; %bb.185:
	s_mov_b64 s[40:41], 1
	s_mov_b64 s[36:37], 0
                                        ; implicit-def: $sgpr38_sgpr39
	s_branch .LBB1108_188
.LBB1108_186:                           ;   in Loop: Header=BB1108_188 Depth=1
	v_lshl_add_u64 v[34:35], v[32:33], 0, s[40:41]
	v_lshl_add_u64 v[36:37], v[30:31], 0, s[40:41]
	global_load_ubyte v39, v[34:35], off
	global_load_ubyte v46, v[36:37], off
	s_waitcnt vmcnt(1)
	v_cmp_ne_u16_e32 vcc, 0, v39
	s_waitcnt vmcnt(0)
	v_cmp_ne_u16_e64 s[6:7], 0, v46
	s_xor_b64 s[42:43], vcc, s[6:7]
	s_add_u32 s6, s40, 1
	s_addc_u32 s7, s41, 0
	s_andn2_b64 s[38:39], s[38:39], exec
	s_and_b64 s[42:43], s[42:43], exec
	s_or_b64 s[38:39], s[38:39], s[42:43]
.LBB1108_187:                           ;   in Loop: Header=BB1108_188 Depth=1
	s_and_b64 s[42:43], exec, s[38:39]
	s_or_b64 s[36:37], s[42:43], s[36:37]
	v_mov_b64_e32 v[34:35], s[40:41]
	s_mov_b64 s[40:41], s[6:7]
	s_andn2_b64 exec, exec, s[36:37]
	s_cbranch_execz .LBB1108_190
.LBB1108_188:                           ; =>This Inner Loop Header: Depth=1
	s_or_b64 s[38:39], s[38:39], exec
	s_cmp_eq_u64 s[26:27], s[40:41]
	s_cbranch_scc0 .LBB1108_186
; %bb.189:                              ;   in Loop: Header=BB1108_188 Depth=1
                                        ; implicit-def: $sgpr6_sgpr7
	s_mov_b64 s[40:41], s[26:27]
	s_branch .LBB1108_187
.LBB1108_190:
	s_or_b64 exec, exec, s[36:37]
	v_cmp_gt_i64_e32 vcc, s[26:27], v[34:35]
	s_orn2_b64 s[6:7], vcc, exec
.LBB1108_191:
	s_or_b64 exec, exec, s[18:19]
	v_cndmask_b32_e64 v30, 0, 1, s[8:9]
.LBB1108_192:
	v_lshlrev_b16_e32 v31, 8, v0
	v_lshlrev_b16_e32 v32, 8, v0
	v_mov_b32_e32 v34, 8
	v_lshrrev_b32_sdwa v32, v34, v32 dst_sel:BYTE_1 dst_unused:UNUSED_PAD src0_sel:DWORD src1_sel:DWORD
	v_lshrrev_b32_sdwa v31, v34, v31 dst_sel:BYTE_1 dst_unused:UNUSED_PAD src0_sel:DWORD src1_sel:DWORD
	v_cndmask_b32_e64 v33, 0, 1, s[6:7]
	v_or_b32_sdwa v32, v0, v32 dst_sel:DWORD dst_unused:UNUSED_PAD src0_sel:BYTE_0 src1_sel:DWORD
	v_or_b32_sdwa v31, v0, v31 dst_sel:WORD_1 dst_unused:UNUSED_PAD src0_sel:BYTE_0 src1_sel:DWORD
	v_lshlrev_b32_e32 v30, 16, v30
	v_or_b32_sdwa v39, v32, v31 dst_sel:DWORD dst_unused:UNUSED_PAD src0_sel:WORD_0 src1_sel:DWORD
	v_lshlrev_b16_e32 v31, 8, v33
	s_and_b64 vcc, exec, s[4:5]
	v_or_b32_e32 v46, v31, v30
	s_cbranch_vccnz .LBB1108_199
; %bb.193:
	v_mov_b64_e32 v[32:33], s[28:29]
	v_mad_u64_u32 v[30:31], s[6:7], v20, s26, v[32:33]
	v_mul_lo_u32 v34, v20, s27
	v_mul_lo_u32 v35, v21, s26
	v_add3_u32 v31, v35, v31, v34
	v_mad_u64_u32 v[32:33], s[6:7], v14, s26, v[32:33]
	v_mul_lo_u32 v34, v14, s27
	v_mul_lo_u32 v35, v15, s26
	v_add3_u32 v33, v35, v33, v34
	global_load_ubyte v34, v[30:31], off
	global_load_ubyte v35, v[32:33], off
	s_waitcnt vmcnt(1)
	v_cmp_ne_u16_e32 vcc, 0, v34
	s_waitcnt vmcnt(0)
	v_cmp_ne_u16_e64 s[6:7], 0, v35
	s_xor_b64 s[8:9], vcc, s[6:7]
	s_mov_b64 s[6:7], -1
	s_xor_b64 s[8:9], s[8:9], -1
	s_and_saveexec_b64 s[18:19], s[8:9]
	s_cbranch_execz .LBB1108_201
; %bb.194:
	s_mov_b64 s[40:41], 1
	s_mov_b64 s[36:37], 0
                                        ; implicit-def: $sgpr38_sgpr39
	s_branch .LBB1108_197
.LBB1108_195:                           ;   in Loop: Header=BB1108_197 Depth=1
	v_lshl_add_u64 v[34:35], v[30:31], 0, s[40:41]
	v_lshl_add_u64 v[36:37], v[32:33], 0, s[40:41]
	global_load_ubyte v47, v[34:35], off
	global_load_ubyte v48, v[36:37], off
	s_waitcnt vmcnt(1)
	v_cmp_ne_u16_e64 s[6:7], 0, v47
	s_waitcnt vmcnt(0)
	v_cmp_ne_u16_e64 s[8:9], 0, v48
	s_xor_b64 s[8:9], s[6:7], s[8:9]
	s_add_u32 s6, s40, 1
	s_addc_u32 s7, s41, 0
	s_andn2_b64 s[38:39], s[38:39], exec
	s_and_b64 s[8:9], s[8:9], exec
	s_or_b64 s[38:39], s[38:39], s[8:9]
.LBB1108_196:                           ;   in Loop: Header=BB1108_197 Depth=1
	s_and_b64 s[8:9], exec, s[38:39]
	s_or_b64 s[36:37], s[8:9], s[36:37]
	v_mov_b64_e32 v[34:35], s[40:41]
	s_mov_b64 s[40:41], s[6:7]
	s_andn2_b64 exec, exec, s[36:37]
	s_cbranch_execz .LBB1108_200
.LBB1108_197:                           ; =>This Inner Loop Header: Depth=1
	s_or_b64 s[38:39], s[38:39], exec
	s_cmp_eq_u64 s[26:27], s[40:41]
	s_cbranch_scc0 .LBB1108_195
; %bb.198:                              ;   in Loop: Header=BB1108_197 Depth=1
                                        ; implicit-def: $sgpr6_sgpr7
	s_mov_b64 s[40:41], s[26:27]
	s_branch .LBB1108_196
.LBB1108_199:
                                        ; implicit-def: $sgpr6_sgpr7
                                        ; implicit-def: $vgpr32_vgpr33
	s_cbranch_execnz .LBB1108_209
	s_branch .LBB1108_210
.LBB1108_200:
	s_or_b64 exec, exec, s[36:37]
	v_cmp_gt_i64_e64 s[6:7], s[26:27], v[34:35]
	s_orn2_b64 s[6:7], s[6:7], exec
.LBB1108_201:
	s_or_b64 exec, exec, s[18:19]
	v_mov_b64_e32 v[32:33], s[28:29]
	v_mad_u64_u32 v[34:35], s[8:9], v18, s26, v[32:33]
	v_mul_lo_u32 v32, v18, s27
	v_mul_lo_u32 v33, v19, s26
	v_add3_u32 v35, v33, v35, v32
	global_load_ubyte v36, v[34:35], off
	v_mov_b32_e32 v32, 8
	v_cndmask_b32_e64 v33, 0, 1, s[6:7]
	s_mov_b32 s6, 0x3020104
	v_lshrrev_b32_sdwa v47, v32, v46 dst_sel:BYTE_1 dst_unused:UNUSED_PAD src0_sel:DWORD src1_sel:DWORD
	v_perm_b32 v32, v39, v39, s6
	v_or_b32_e32 v33, v33, v47
	v_bfe_u32 v37, v46, 16, 8
	v_and_b32_e32 v33, 0xffff, v33
	v_lshl_or_b32 v33, v37, 16, v33
	s_waitcnt vmcnt(0)
	v_cmp_ne_u16_e64 s[6:7], 0, v36
	s_xor_b64 s[8:9], vcc, s[6:7]
	s_mov_b64 s[6:7], -1
	s_xor_b64 s[18:19], s[8:9], -1
	s_and_saveexec_b64 s[8:9], s[18:19]
	s_cbranch_execz .LBB1108_208
; %bb.202:
	s_mov_b64 s[38:39], 1
	s_mov_b64 s[18:19], 0
                                        ; implicit-def: $sgpr36_sgpr37
	s_branch .LBB1108_205
.LBB1108_203:                           ;   in Loop: Header=BB1108_205 Depth=1
	v_lshl_add_u64 v[36:37], v[34:35], 0, s[38:39]
	v_lshl_add_u64 v[48:49], v[30:31], 0, s[38:39]
	global_load_ubyte v47, v[36:37], off
	global_load_ubyte v50, v[48:49], off
	s_waitcnt vmcnt(1)
	v_cmp_ne_u16_e32 vcc, 0, v47
	s_waitcnt vmcnt(0)
	v_cmp_ne_u16_e64 s[6:7], 0, v50
	s_xor_b64 s[40:41], vcc, s[6:7]
	s_add_u32 s6, s38, 1
	s_addc_u32 s7, s39, 0
	s_andn2_b64 s[36:37], s[36:37], exec
	s_and_b64 s[40:41], s[40:41], exec
	s_or_b64 s[36:37], s[36:37], s[40:41]
.LBB1108_204:                           ;   in Loop: Header=BB1108_205 Depth=1
	s_and_b64 s[40:41], exec, s[36:37]
	s_or_b64 s[18:19], s[40:41], s[18:19]
	v_mov_b64_e32 v[36:37], s[38:39]
	s_mov_b64 s[38:39], s[6:7]
	s_andn2_b64 exec, exec, s[18:19]
	s_cbranch_execz .LBB1108_207
.LBB1108_205:                           ; =>This Inner Loop Header: Depth=1
	s_or_b64 s[36:37], s[36:37], exec
	s_cmp_eq_u64 s[26:27], s[38:39]
	s_cbranch_scc0 .LBB1108_203
; %bb.206:                              ;   in Loop: Header=BB1108_205 Depth=1
                                        ; implicit-def: $sgpr6_sgpr7
	s_mov_b64 s[38:39], s[26:27]
	s_branch .LBB1108_204
.LBB1108_207:
	s_or_b64 exec, exec, s[18:19]
	v_cmp_gt_i64_e32 vcc, s[26:27], v[36:37]
	s_orn2_b64 s[6:7], vcc, exec
.LBB1108_208:
	s_or_b64 exec, exec, s[8:9]
	s_branch .LBB1108_210
.LBB1108_209:
	v_mov_b32_e32 v30, 8
	v_lshrrev_b32_sdwa v30, v30, v46 dst_sel:BYTE_1 dst_unused:UNUSED_PAD src0_sel:DWORD src1_sel:DWORD
	v_bfe_u32 v31, v46, 16, 8
	s_mov_b32 s8, 0x3020104
	v_lshl_or_b32 v33, v31, 16, v30
	v_perm_b32 v32, v39, v39, s8
	s_andn2_b64 s[6:7], s[6:7], exec
.LBB1108_210:
	v_mov_b32_e32 v31, 8
	v_cndmask_b32_e64 v30, 0, 1, s[6:7]
	s_movk_i32 s6, 0xff
	v_lshrrev_b32_sdwa v34, v31, v32 dst_sel:BYTE_1 dst_unused:UNUSED_PAD src0_sel:DWORD src1_sel:DWORD
	v_lshlrev_b16_e32 v30, 8, v30
	v_or_b32_sdwa v34, v32, v34 dst_sel:DWORD dst_unused:UNUSED_PAD src0_sel:BYTE_0 src1_sel:DWORD
	v_and_b32_sdwa v32, v32, s6 dst_sel:DWORD dst_unused:UNUSED_PAD src0_sel:WORD_1 src1_sel:DWORD
	v_or_b32_sdwa v30, v32, v30 dst_sel:WORD_1 dst_unused:UNUSED_PAD src0_sel:DWORD src1_sel:DWORD
	s_and_b64 vcc, exec, s[4:5]
	v_or_b32_sdwa v39, v34, v30 dst_sel:DWORD dst_unused:UNUSED_PAD src0_sel:WORD_0 src1_sel:DWORD
	v_lshrrev_b32_sdwa v30, v31, v33 dst_sel:BYTE_1 dst_unused:UNUSED_PAD src0_sel:DWORD src1_sel:DWORD
	v_bfe_u32 v31, v33, 16, 8
	v_or_b32_sdwa v30, v33, v30 dst_sel:DWORD dst_unused:UNUSED_PAD src0_sel:BYTE_0 src1_sel:DWORD
	v_and_b32_e32 v30, 0xffff, v30
	v_lshl_or_b32 v46, v31, 16, v30
	s_cbranch_vccnz .LBB1108_217
; %bb.211:
	v_mov_b64_e32 v[32:33], s[28:29]
	v_mad_u64_u32 v[30:31], s[6:7], v24, s26, v[32:33]
	v_mul_lo_u32 v34, v24, s27
	v_mul_lo_u32 v35, v25, s26
	v_add3_u32 v31, v35, v31, v34
	v_mad_u64_u32 v[32:33], s[6:7], v18, s26, v[32:33]
	v_mul_lo_u32 v34, v18, s27
	v_mul_lo_u32 v35, v19, s26
	v_add3_u32 v33, v35, v33, v34
	global_load_ubyte v34, v[30:31], off
	global_load_ubyte v35, v[32:33], off
	s_waitcnt vmcnt(1)
	v_cmp_ne_u16_e32 vcc, 0, v34
	s_waitcnt vmcnt(0)
	v_cmp_ne_u16_e64 s[6:7], 0, v35
	s_xor_b64 s[8:9], vcc, s[6:7]
	s_mov_b64 s[6:7], -1
	s_xor_b64 s[8:9], s[8:9], -1
	s_and_saveexec_b64 s[18:19], s[8:9]
	s_cbranch_execz .LBB1108_219
; %bb.212:
	s_mov_b64 s[40:41], 1
	s_mov_b64 s[36:37], 0
                                        ; implicit-def: $sgpr38_sgpr39
	s_branch .LBB1108_215
.LBB1108_213:                           ;   in Loop: Header=BB1108_215 Depth=1
	v_lshl_add_u64 v[34:35], v[30:31], 0, s[40:41]
	v_lshl_add_u64 v[36:37], v[32:33], 0, s[40:41]
	global_load_ubyte v47, v[34:35], off
	global_load_ubyte v48, v[36:37], off
	s_waitcnt vmcnt(1)
	v_cmp_ne_u16_e64 s[6:7], 0, v47
	s_waitcnt vmcnt(0)
	v_cmp_ne_u16_e64 s[8:9], 0, v48
	s_xor_b64 s[8:9], s[6:7], s[8:9]
	s_add_u32 s6, s40, 1
	s_addc_u32 s7, s41, 0
	s_andn2_b64 s[38:39], s[38:39], exec
	s_and_b64 s[8:9], s[8:9], exec
	s_or_b64 s[38:39], s[38:39], s[8:9]
.LBB1108_214:                           ;   in Loop: Header=BB1108_215 Depth=1
	s_and_b64 s[8:9], exec, s[38:39]
	s_or_b64 s[36:37], s[8:9], s[36:37]
	v_mov_b64_e32 v[34:35], s[40:41]
	s_mov_b64 s[40:41], s[6:7]
	s_andn2_b64 exec, exec, s[36:37]
	s_cbranch_execz .LBB1108_218
.LBB1108_215:                           ; =>This Inner Loop Header: Depth=1
	s_or_b64 s[38:39], s[38:39], exec
	s_cmp_eq_u64 s[26:27], s[40:41]
	s_cbranch_scc0 .LBB1108_213
; %bb.216:                              ;   in Loop: Header=BB1108_215 Depth=1
                                        ; implicit-def: $sgpr6_sgpr7
	s_mov_b64 s[40:41], s[26:27]
	s_branch .LBB1108_214
.LBB1108_217:
                                        ; implicit-def: $sgpr6_sgpr7
                                        ; implicit-def: $vgpr32_vgpr33
	s_cbranch_execnz .LBB1108_227
	s_branch .LBB1108_228
.LBB1108_218:
	s_or_b64 exec, exec, s[36:37]
	v_cmp_gt_i64_e64 s[6:7], s[26:27], v[34:35]
	s_orn2_b64 s[6:7], s[6:7], exec
.LBB1108_219:
	s_or_b64 exec, exec, s[18:19]
	v_mov_b64_e32 v[32:33], s[28:29]
	v_mad_u64_u32 v[34:35], s[8:9], v22, s26, v[32:33]
	v_mul_lo_u32 v32, v22, s27
	v_mul_lo_u32 v33, v23, s26
	v_add3_u32 v35, v33, v35, v32
	global_load_ubyte v36, v[34:35], off
	v_mov_b32_e32 v33, 8
	v_lshrrev_b32_e32 v47, 24, v39
	v_lshrrev_b32_sdwa v48, v33, v46 dst_sel:BYTE_1 dst_unused:UNUSED_PAD src0_sel:DWORD src1_sel:DWORD
	v_cndmask_b32_e64 v32, 0, 1, s[6:7]
	v_lshrrev_b32_sdwa v33, v33, v39 dst_sel:BYTE_1 dst_unused:UNUSED_PAD src0_sel:DWORD src1_sel:DWORD
	v_lshlrev_b16_e32 v47, 8, v47
	v_or_b32_sdwa v48, v46, v48 dst_sel:DWORD dst_unused:UNUSED_PAD src0_sel:BYTE_0 src1_sel:DWORD
	v_bfe_u32 v37, v46, 16, 8
	v_or_b32_sdwa v33, v39, v33 dst_sel:DWORD dst_unused:UNUSED_PAD src0_sel:BYTE_0 src1_sel:DWORD
	v_or_b32_sdwa v32, v32, v47 dst_sel:WORD_1 dst_unused:UNUSED_PAD src0_sel:DWORD src1_sel:DWORD
	v_and_b32_e32 v47, 0xffff, v48
	v_or_b32_sdwa v32, v33, v32 dst_sel:DWORD dst_unused:UNUSED_PAD src0_sel:WORD_0 src1_sel:DWORD
	v_lshl_or_b32 v33, v37, 16, v47
	s_waitcnt vmcnt(0)
	v_cmp_ne_u16_e64 s[6:7], 0, v36
	s_xor_b64 s[8:9], vcc, s[6:7]
	s_mov_b64 s[6:7], -1
	s_xor_b64 s[18:19], s[8:9], -1
	s_and_saveexec_b64 s[8:9], s[18:19]
	s_cbranch_execz .LBB1108_226
; %bb.220:
	s_mov_b64 s[38:39], 1
	s_mov_b64 s[18:19], 0
                                        ; implicit-def: $sgpr36_sgpr37
	s_branch .LBB1108_223
.LBB1108_221:                           ;   in Loop: Header=BB1108_223 Depth=1
	v_lshl_add_u64 v[36:37], v[34:35], 0, s[38:39]
	v_lshl_add_u64 v[48:49], v[30:31], 0, s[38:39]
	global_load_ubyte v47, v[36:37], off
	global_load_ubyte v50, v[48:49], off
	s_waitcnt vmcnt(1)
	v_cmp_ne_u16_e32 vcc, 0, v47
	s_waitcnt vmcnt(0)
	v_cmp_ne_u16_e64 s[6:7], 0, v50
	s_xor_b64 s[40:41], vcc, s[6:7]
	s_add_u32 s6, s38, 1
	s_addc_u32 s7, s39, 0
	s_andn2_b64 s[36:37], s[36:37], exec
	s_and_b64 s[40:41], s[40:41], exec
	s_or_b64 s[36:37], s[36:37], s[40:41]
.LBB1108_222:                           ;   in Loop: Header=BB1108_223 Depth=1
	s_and_b64 s[40:41], exec, s[36:37]
	s_or_b64 s[18:19], s[40:41], s[18:19]
	v_mov_b64_e32 v[36:37], s[38:39]
	s_mov_b64 s[38:39], s[6:7]
	s_andn2_b64 exec, exec, s[18:19]
	s_cbranch_execz .LBB1108_225
.LBB1108_223:                           ; =>This Inner Loop Header: Depth=1
	s_or_b64 s[36:37], s[36:37], exec
	s_cmp_eq_u64 s[26:27], s[38:39]
	s_cbranch_scc0 .LBB1108_221
; %bb.224:                              ;   in Loop: Header=BB1108_223 Depth=1
                                        ; implicit-def: $sgpr6_sgpr7
	s_mov_b64 s[38:39], s[26:27]
	s_branch .LBB1108_222
.LBB1108_225:
	s_or_b64 exec, exec, s[18:19]
	v_cmp_gt_i64_e32 vcc, s[26:27], v[36:37]
	s_orn2_b64 s[6:7], vcc, exec
.LBB1108_226:
	s_or_b64 exec, exec, s[8:9]
	s_branch .LBB1108_228
.LBB1108_227:
	v_mov_b32_e32 v30, 8
	v_lshrrev_b32_sdwa v31, v30, v46 dst_sel:BYTE_1 dst_unused:UNUSED_PAD src0_sel:DWORD src1_sel:DWORD
	v_lshrrev_b32_sdwa v30, v30, v39 dst_sel:BYTE_1 dst_unused:UNUSED_PAD src0_sel:DWORD src1_sel:DWORD
	v_or_b32_sdwa v31, v46, v31 dst_sel:DWORD dst_unused:UNUSED_PAD src0_sel:BYTE_0 src1_sel:DWORD
	v_or_b32_sdwa v30, v39, v30 dst_sel:DWORD dst_unused:UNUSED_PAD src0_sel:BYTE_0 src1_sel:DWORD
	v_and_b32_e32 v31, 0xffff, v31
	v_bfe_u32 v32, v46, 16, 8
	v_and_b32_e32 v30, 0xffff, v30
	s_mov_b32 s8, 0xff000000
	v_lshl_or_b32 v33, v32, 16, v31
	v_and_or_b32 v32, v39, s8, v30
	s_andn2_b64 s[6:7], s[6:7], exec
.LBB1108_228:
	v_mov_b32_e32 v31, 8
	v_lshrrev_b32_sdwa v31, v31, v33 dst_sel:BYTE_1 dst_unused:UNUSED_PAD src0_sel:DWORD src1_sel:DWORD
	v_cndmask_b32_e64 v30, 0, 1, s[6:7]
	v_or_b32_sdwa v31, v33, v31 dst_sel:DWORD dst_unused:UNUSED_PAD src0_sel:BYTE_0 src1_sel:DWORD
	v_and_b32_e32 v31, 0xffff, v31
	v_bfe_u32 v33, v33, 16, 8
	s_movk_i32 s6, 0xff
	v_lshl_or_b32 v31, v33, 16, v31
	v_lshrrev_b32_e32 v33, 24, v32
	v_lshlrev_b16_e32 v33, 8, v33
	v_and_b32_sdwa v32, v32, s6 dst_sel:DWORD dst_unused:UNUSED_PAD src0_sel:WORD_1 src1_sel:DWORD
	v_lshlrev_b16_e32 v30, 8, v30
	v_or_b32_sdwa v32, v32, v33 dst_sel:WORD_1 dst_unused:UNUSED_PAD src0_sel:DWORD src1_sel:DWORD
	v_or_b32_e32 v30, 1, v30
	v_or_b32_sdwa v30, v30, v32 dst_sel:DWORD dst_unused:UNUSED_PAD src0_sel:WORD_0 src1_sel:DWORD
	v_cmp_ne_u32_e32 vcc, 0, v0
	s_waitcnt lgkmcnt(0)
	s_barrier
	s_waitcnt lgkmcnt(0)
                                        ; implicit-def: $sgpr36_sgpr37
                                        ; implicit-def: $vgpr46
                                        ; implicit-def: $vgpr32
                                        ; implicit-def: $vgpr33
                                        ; implicit-def: $vgpr34
	s_and_saveexec_b64 s[6:7], vcc
	s_xor_b64 s[6:7], exec, s[6:7]
	s_cbranch_execz .LBB1108_239
; %bb.229:
	s_mov_b32 s33, 0x3020104
	s_and_b64 vcc, exec, s[4:5]
	s_mov_b64 s[4:5], 0
	s_cbranch_vccnz .LBB1108_238
; %bb.230:
	v_add_u32_e32 v32, -8, v38
	ds_read_b64 v[32:33], v32
	v_mov_b64_e32 v[34:35], s[28:29]
	s_waitcnt lgkmcnt(0)
	v_mul_lo_u32 v36, v32, s27
	v_mul_lo_u32 v37, v33, s26
	v_mad_u64_u32 v[32:33], s[4:5], v32, s26, v[34:35]
	v_add3_u32 v33, v37, v33, v36
	v_mad_u64_u32 v[34:35], s[4:5], v22, s26, v[34:35]
	v_mul_lo_u32 v36, v22, s27
	v_mul_lo_u32 v37, v23, s26
	v_add3_u32 v35, v37, v35, v36
	global_load_ubyte v36, v[32:33], off
	global_load_ubyte v37, v[34:35], off
	s_waitcnt vmcnt(1)
	v_cmp_ne_u16_e32 vcc, 0, v36
	s_waitcnt vmcnt(0)
	v_cmp_ne_u16_e64 s[4:5], 0, v37
	s_xor_b64 s[8:9], vcc, s[4:5]
	s_mov_b64 s[4:5], -1
	s_xor_b64 s[18:19], s[8:9], -1
	s_and_saveexec_b64 s[8:9], s[18:19]
	s_cbranch_execz .LBB1108_237
; %bb.231:
	s_mov_b64 s[38:39], 1
	s_mov_b64 s[18:19], 0
                                        ; implicit-def: $sgpr36_sgpr37
	s_branch .LBB1108_234
.LBB1108_232:                           ;   in Loop: Header=BB1108_234 Depth=1
	v_lshl_add_u64 v[36:37], v[32:33], 0, s[38:39]
	v_lshl_add_u64 v[46:47], v[34:35], 0, s[38:39]
	global_load_ubyte v39, v[36:37], off
	global_load_ubyte v48, v[46:47], off
	s_waitcnt vmcnt(1)
	v_cmp_ne_u16_e32 vcc, 0, v39
	s_waitcnt vmcnt(0)
	v_cmp_ne_u16_e64 s[4:5], 0, v48
	s_xor_b64 s[40:41], vcc, s[4:5]
	s_add_u32 s4, s38, 1
	s_addc_u32 s5, s39, 0
	s_andn2_b64 s[36:37], s[36:37], exec
	s_and_b64 s[40:41], s[40:41], exec
	s_or_b64 s[36:37], s[36:37], s[40:41]
.LBB1108_233:                           ;   in Loop: Header=BB1108_234 Depth=1
	s_and_b64 s[40:41], exec, s[36:37]
	s_or_b64 s[18:19], s[40:41], s[18:19]
	v_mov_b64_e32 v[36:37], s[38:39]
	s_mov_b64 s[38:39], s[4:5]
	s_andn2_b64 exec, exec, s[18:19]
	s_cbranch_execz .LBB1108_236
.LBB1108_234:                           ; =>This Inner Loop Header: Depth=1
	s_or_b64 s[36:37], s[36:37], exec
	s_cmp_eq_u64 s[26:27], s[38:39]
	s_cbranch_scc0 .LBB1108_232
; %bb.235:                              ;   in Loop: Header=BB1108_234 Depth=1
                                        ; implicit-def: $sgpr4_sgpr5
	s_mov_b64 s[38:39], s[26:27]
	s_branch .LBB1108_233
.LBB1108_236:
	s_or_b64 exec, exec, s[18:19]
	v_cmp_gt_i64_e32 vcc, s[26:27], v[36:37]
	s_orn2_b64 s[4:5], vcc, exec
.LBB1108_237:
	s_or_b64 exec, exec, s[8:9]
.LBB1108_238:
	v_perm_b32 v34, v30, v30, s33
	v_lshrrev_b32_e32 v32, 8, v31
	v_lshrrev_b32_e32 v46, 16, v31
	s_and_b64 s[36:37], s[4:5], exec
	s_or_b64 s[12:13], s[12:13], exec
	v_mov_b32_e32 v33, v31
                                        ; implicit-def: $vgpr30_vgpr31
.LBB1108_239:
	s_or_b64 exec, exec, s[6:7]
	s_branch .LBB1108_306
.LBB1108_240:
	v_cmp_gt_u32_e32 vcc, s3, v42
	s_xor_b64 s[6:7], s[14:15], -1
	s_mov_b64 s[36:37], -1
	s_and_b64 s[4:5], vcc, s[6:7]
	s_mov_b64 s[14:15], 0
	v_mul_lo_u32 v39, v16, s27
	v_mul_lo_u32 v46, v17, s26
	s_mov_b64 s[8:9], 0
	s_and_saveexec_b64 s[18:19], s[4:5]
	s_cbranch_execz .LBB1108_249
; %bb.241:
	v_mov_b64_e32 v[32:33], s[28:29]
	v_mad_u64_u32 v[30:31], s[4:5], v16, s26, v[32:33]
	v_add3_u32 v31, v46, v31, v39
	v_mad_u64_u32 v[32:33], s[4:5], v28, s26, v[32:33]
	v_mul_lo_u32 v34, v28, s27
	v_mul_lo_u32 v35, v29, s26
	v_add3_u32 v33, v35, v33, v34
	global_load_ubyte v34, v[30:31], off
	global_load_ubyte v35, v[32:33], off
	s_waitcnt vmcnt(1)
	v_cmp_ne_u16_e32 vcc, 0, v34
	s_waitcnt vmcnt(0)
	v_cmp_ne_u16_e64 s[4:5], 0, v35
	s_xor_b64 s[4:5], vcc, s[4:5]
	s_xor_b64 s[4:5], s[4:5], -1
	s_and_saveexec_b64 s[8:9], s[4:5]
	s_cbranch_execz .LBB1108_248
; %bb.242:
	s_mov_b64 s[40:41], 1
	s_mov_b64 s[36:37], 0
                                        ; implicit-def: $sgpr38_sgpr39
	s_branch .LBB1108_245
.LBB1108_243:                           ;   in Loop: Header=BB1108_245 Depth=1
	v_lshl_add_u64 v[34:35], v[30:31], 0, s[40:41]
	v_lshl_add_u64 v[36:37], v[32:33], 0, s[40:41]
	global_load_ubyte v47, v[34:35], off
	global_load_ubyte v48, v[36:37], off
	s_waitcnt vmcnt(1)
	v_cmp_ne_u16_e32 vcc, 0, v47
	s_waitcnt vmcnt(0)
	v_cmp_ne_u16_e64 s[4:5], 0, v48
	s_xor_b64 s[42:43], vcc, s[4:5]
	s_add_u32 s4, s40, 1
	s_addc_u32 s5, s41, 0
	s_andn2_b64 s[38:39], s[38:39], exec
	s_and_b64 s[42:43], s[42:43], exec
	s_or_b64 s[38:39], s[38:39], s[42:43]
.LBB1108_244:                           ;   in Loop: Header=BB1108_245 Depth=1
	s_and_b64 s[42:43], exec, s[38:39]
	s_or_b64 s[36:37], s[42:43], s[36:37]
	v_mov_b64_e32 v[34:35], s[40:41]
	s_mov_b64 s[40:41], s[4:5]
	s_andn2_b64 exec, exec, s[36:37]
	s_cbranch_execz .LBB1108_247
.LBB1108_245:                           ; =>This Inner Loop Header: Depth=1
	s_or_b64 s[38:39], s[38:39], exec
	s_cmp_eq_u64 s[26:27], s[40:41]
	s_cbranch_scc0 .LBB1108_243
; %bb.246:                              ;   in Loop: Header=BB1108_245 Depth=1
                                        ; implicit-def: $sgpr4_sgpr5
	s_mov_b64 s[40:41], s[26:27]
	s_branch .LBB1108_244
.LBB1108_247:
	s_or_b64 exec, exec, s[36:37]
	v_cmp_gt_i64_e32 vcc, s[26:27], v[34:35]
	s_orn2_b64 s[36:37], vcc, exec
.LBB1108_248:
	s_or_b64 exec, exec, s[8:9]
	s_and_b64 s[8:9], s[36:37], exec
.LBB1108_249:
	s_or_b64 exec, exec, s[18:19]
	v_cmp_gt_u32_e32 vcc, s3, v45
	s_and_b64 s[4:5], vcc, s[6:7]
	v_mul_lo_u32 v36, v14, s27
	v_mul_lo_u32 v37, v15, s26
	s_and_saveexec_b64 s[18:19], s[4:5]
	s_cbranch_execz .LBB1108_258
; %bb.250:
	v_mov_b64_e32 v[32:33], s[28:29]
	v_mad_u64_u32 v[30:31], s[4:5], v14, s26, v[32:33]
	v_add3_u32 v31, v37, v31, v36
	v_mad_u64_u32 v[32:33], s[4:5], v16, s26, v[32:33]
	v_add3_u32 v33, v46, v33, v39
	global_load_ubyte v34, v[30:31], off
	global_load_ubyte v35, v[32:33], off
	s_waitcnt vmcnt(1)
	v_cmp_ne_u16_e32 vcc, 0, v34
	s_waitcnt vmcnt(0)
	v_cmp_ne_u16_e64 s[4:5], 0, v35
	s_xor_b64 s[14:15], vcc, s[4:5]
	s_mov_b64 s[4:5], -1
	s_xor_b64 s[36:37], s[14:15], -1
	s_and_saveexec_b64 s[14:15], s[36:37]
	s_cbranch_execz .LBB1108_257
; %bb.251:
	s_mov_b64 s[40:41], 1
	s_mov_b64 s[36:37], 0
                                        ; implicit-def: $sgpr38_sgpr39
	s_branch .LBB1108_254
.LBB1108_252:                           ;   in Loop: Header=BB1108_254 Depth=1
	v_lshl_add_u64 v[34:35], v[30:31], 0, s[40:41]
	v_lshl_add_u64 v[46:47], v[32:33], 0, s[40:41]
	global_load_ubyte v39, v[34:35], off
	global_load_ubyte v48, v[46:47], off
	s_waitcnt vmcnt(1)
	v_cmp_ne_u16_e32 vcc, 0, v39
	s_waitcnt vmcnt(0)
	v_cmp_ne_u16_e64 s[4:5], 0, v48
	s_xor_b64 s[42:43], vcc, s[4:5]
	s_add_u32 s4, s40, 1
	s_addc_u32 s5, s41, 0
	s_andn2_b64 s[38:39], s[38:39], exec
	s_and_b64 s[42:43], s[42:43], exec
	s_or_b64 s[38:39], s[38:39], s[42:43]
.LBB1108_253:                           ;   in Loop: Header=BB1108_254 Depth=1
	s_and_b64 s[42:43], exec, s[38:39]
	s_or_b64 s[36:37], s[42:43], s[36:37]
	v_mov_b64_e32 v[34:35], s[40:41]
	s_mov_b64 s[40:41], s[4:5]
	s_andn2_b64 exec, exec, s[36:37]
	s_cbranch_execz .LBB1108_256
.LBB1108_254:                           ; =>This Inner Loop Header: Depth=1
	s_or_b64 s[38:39], s[38:39], exec
	s_cmp_eq_u64 s[26:27], s[40:41]
	s_cbranch_scc0 .LBB1108_252
; %bb.255:                              ;   in Loop: Header=BB1108_254 Depth=1
                                        ; implicit-def: $sgpr4_sgpr5
	s_mov_b64 s[40:41], s[26:27]
	s_branch .LBB1108_253
.LBB1108_256:
	s_or_b64 exec, exec, s[36:37]
	v_cmp_gt_i64_e32 vcc, s[26:27], v[34:35]
	s_orn2_b64 s[4:5], vcc, exec
.LBB1108_257:
	s_or_b64 exec, exec, s[14:15]
	s_and_b64 s[14:15], s[4:5], exec
.LBB1108_258:
	s_or_b64 exec, exec, s[18:19]
	v_cmp_gt_u32_e32 vcc, s3, v41
	s_mov_b64 s[40:41], -1
	s_and_b64 s[4:5], vcc, s[6:7]
	s_mov_b64 s[18:19], 0
	v_mul_lo_u32 v39, v20, s27
	v_mul_lo_u32 v46, v21, s26
	s_mov_b64 s[36:37], 0
	s_and_saveexec_b64 s[38:39], s[4:5]
	s_cbranch_execz .LBB1108_267
; %bb.259:
	v_mov_b64_e32 v[32:33], s[28:29]
	v_mad_u64_u32 v[30:31], s[4:5], v20, s26, v[32:33]
	v_add3_u32 v31, v46, v31, v39
	v_mad_u64_u32 v[32:33], s[4:5], v14, s26, v[32:33]
	v_add3_u32 v33, v37, v33, v36
	global_load_ubyte v34, v[30:31], off
	global_load_ubyte v35, v[32:33], off
	s_waitcnt vmcnt(1)
	v_cmp_ne_u16_e32 vcc, 0, v34
	s_waitcnt vmcnt(0)
	v_cmp_ne_u16_e64 s[4:5], 0, v35
	s_xor_b64 s[4:5], vcc, s[4:5]
	s_xor_b64 s[4:5], s[4:5], -1
	s_and_saveexec_b64 s[36:37], s[4:5]
	s_cbranch_execz .LBB1108_266
; %bb.260:
	s_mov_b64 s[44:45], 1
	s_mov_b64 s[40:41], 0
                                        ; implicit-def: $sgpr42_sgpr43
	s_branch .LBB1108_263
.LBB1108_261:                           ;   in Loop: Header=BB1108_263 Depth=1
	v_lshl_add_u64 v[34:35], v[30:31], 0, s[44:45]
	v_lshl_add_u64 v[36:37], v[32:33], 0, s[44:45]
	global_load_ubyte v47, v[34:35], off
	global_load_ubyte v48, v[36:37], off
	s_waitcnt vmcnt(1)
	v_cmp_ne_u16_e32 vcc, 0, v47
	s_waitcnt vmcnt(0)
	v_cmp_ne_u16_e64 s[4:5], 0, v48
	s_xor_b64 s[46:47], vcc, s[4:5]
	s_add_u32 s4, s44, 1
	s_addc_u32 s5, s45, 0
	s_andn2_b64 s[42:43], s[42:43], exec
	s_and_b64 s[46:47], s[46:47], exec
	s_or_b64 s[42:43], s[42:43], s[46:47]
.LBB1108_262:                           ;   in Loop: Header=BB1108_263 Depth=1
	s_and_b64 s[46:47], exec, s[42:43]
	s_or_b64 s[40:41], s[46:47], s[40:41]
	v_mov_b64_e32 v[34:35], s[44:45]
	s_mov_b64 s[44:45], s[4:5]
	s_andn2_b64 exec, exec, s[40:41]
	s_cbranch_execz .LBB1108_265
.LBB1108_263:                           ; =>This Inner Loop Header: Depth=1
	s_or_b64 s[42:43], s[42:43], exec
	s_cmp_eq_u64 s[26:27], s[44:45]
	s_cbranch_scc0 .LBB1108_261
; %bb.264:                              ;   in Loop: Header=BB1108_263 Depth=1
                                        ; implicit-def: $sgpr4_sgpr5
	s_mov_b64 s[44:45], s[26:27]
	s_branch .LBB1108_262
.LBB1108_265:
	s_or_b64 exec, exec, s[40:41]
	v_cmp_gt_i64_e32 vcc, s[26:27], v[34:35]
	s_orn2_b64 s[40:41], vcc, exec
.LBB1108_266:
	s_or_b64 exec, exec, s[36:37]
	s_and_b64 s[36:37], s[40:41], exec
.LBB1108_267:
	s_or_b64 exec, exec, s[38:39]
	v_cmp_gt_u32_e32 vcc, s3, v44
	s_and_b64 s[4:5], vcc, s[6:7]
	v_mul_lo_u32 v36, v18, s27
	v_mul_lo_u32 v37, v19, s26
	s_and_saveexec_b64 s[38:39], s[4:5]
	s_cbranch_execz .LBB1108_276
; %bb.268:
	v_mov_b64_e32 v[32:33], s[28:29]
	v_mad_u64_u32 v[30:31], s[4:5], v18, s26, v[32:33]
	v_add3_u32 v31, v37, v31, v36
	v_mad_u64_u32 v[32:33], s[4:5], v20, s26, v[32:33]
	v_add3_u32 v33, v46, v33, v39
	global_load_ubyte v34, v[30:31], off
	global_load_ubyte v35, v[32:33], off
	s_waitcnt vmcnt(1)
	v_cmp_ne_u16_e32 vcc, 0, v34
	s_waitcnt vmcnt(0)
	v_cmp_ne_u16_e64 s[4:5], 0, v35
	s_xor_b64 s[18:19], vcc, s[4:5]
	s_mov_b64 s[4:5], -1
	s_xor_b64 s[40:41], s[18:19], -1
	s_and_saveexec_b64 s[18:19], s[40:41]
	s_cbranch_execz .LBB1108_275
; %bb.269:
	s_mov_b64 s[44:45], 1
	s_mov_b64 s[40:41], 0
                                        ; implicit-def: $sgpr42_sgpr43
	s_branch .LBB1108_272
.LBB1108_270:                           ;   in Loop: Header=BB1108_272 Depth=1
	v_lshl_add_u64 v[34:35], v[30:31], 0, s[44:45]
	v_lshl_add_u64 v[46:47], v[32:33], 0, s[44:45]
	global_load_ubyte v39, v[34:35], off
	global_load_ubyte v48, v[46:47], off
	s_waitcnt vmcnt(1)
	v_cmp_ne_u16_e32 vcc, 0, v39
	s_waitcnt vmcnt(0)
	v_cmp_ne_u16_e64 s[4:5], 0, v48
	s_xor_b64 s[46:47], vcc, s[4:5]
	s_add_u32 s4, s44, 1
	s_addc_u32 s5, s45, 0
	s_andn2_b64 s[42:43], s[42:43], exec
	s_and_b64 s[46:47], s[46:47], exec
	s_or_b64 s[42:43], s[42:43], s[46:47]
.LBB1108_271:                           ;   in Loop: Header=BB1108_272 Depth=1
	s_and_b64 s[46:47], exec, s[42:43]
	s_or_b64 s[40:41], s[46:47], s[40:41]
	v_mov_b64_e32 v[34:35], s[44:45]
	s_mov_b64 s[44:45], s[4:5]
	s_andn2_b64 exec, exec, s[40:41]
	s_cbranch_execz .LBB1108_274
.LBB1108_272:                           ; =>This Inner Loop Header: Depth=1
	s_or_b64 s[42:43], s[42:43], exec
	s_cmp_eq_u64 s[26:27], s[44:45]
	s_cbranch_scc0 .LBB1108_270
; %bb.273:                              ;   in Loop: Header=BB1108_272 Depth=1
                                        ; implicit-def: $sgpr4_sgpr5
	s_mov_b64 s[44:45], s[26:27]
	s_branch .LBB1108_271
.LBB1108_274:
	s_or_b64 exec, exec, s[40:41]
	v_cmp_gt_i64_e32 vcc, s[26:27], v[34:35]
	s_orn2_b64 s[4:5], vcc, exec
.LBB1108_275:
	s_or_b64 exec, exec, s[18:19]
	s_and_b64 s[18:19], s[4:5], exec
.LBB1108_276:
	s_or_b64 exec, exec, s[38:39]
	v_cmp_gt_u32_e32 vcc, s3, v40
	s_mov_b64 s[44:45], -1
	s_and_b64 s[4:5], vcc, s[6:7]
	s_mov_b64 s[38:39], 0
	v_mul_lo_u32 v39, v24, s27
	v_mul_lo_u32 v46, v25, s26
	s_mov_b64 s[40:41], 0
	s_and_saveexec_b64 s[42:43], s[4:5]
	s_cbranch_execz .LBB1108_285
; %bb.277:
	v_mov_b64_e32 v[32:33], s[28:29]
	v_mad_u64_u32 v[30:31], s[4:5], v24, s26, v[32:33]
	v_add3_u32 v31, v46, v31, v39
	v_mad_u64_u32 v[32:33], s[4:5], v18, s26, v[32:33]
	v_add3_u32 v33, v37, v33, v36
	global_load_ubyte v34, v[30:31], off
	global_load_ubyte v35, v[32:33], off
	s_waitcnt vmcnt(1)
	v_cmp_ne_u16_e32 vcc, 0, v34
	s_waitcnt vmcnt(0)
	v_cmp_ne_u16_e64 s[4:5], 0, v35
	s_xor_b64 s[4:5], vcc, s[4:5]
	s_xor_b64 s[4:5], s[4:5], -1
	s_and_saveexec_b64 s[40:41], s[4:5]
	s_cbranch_execz .LBB1108_284
; %bb.278:
	s_mov_b64 s[48:49], 1
	s_mov_b64 s[44:45], 0
                                        ; implicit-def: $sgpr46_sgpr47
	s_branch .LBB1108_281
.LBB1108_279:                           ;   in Loop: Header=BB1108_281 Depth=1
	v_lshl_add_u64 v[34:35], v[30:31], 0, s[48:49]
	v_lshl_add_u64 v[36:37], v[32:33], 0, s[48:49]
	global_load_ubyte v47, v[34:35], off
	global_load_ubyte v48, v[36:37], off
	s_waitcnt vmcnt(1)
	v_cmp_ne_u16_e32 vcc, 0, v47
	s_waitcnt vmcnt(0)
	v_cmp_ne_u16_e64 s[4:5], 0, v48
	s_xor_b64 s[50:51], vcc, s[4:5]
	s_add_u32 s4, s48, 1
	s_addc_u32 s5, s49, 0
	s_andn2_b64 s[46:47], s[46:47], exec
	s_and_b64 s[50:51], s[50:51], exec
	s_or_b64 s[46:47], s[46:47], s[50:51]
.LBB1108_280:                           ;   in Loop: Header=BB1108_281 Depth=1
	s_and_b64 s[50:51], exec, s[46:47]
	s_or_b64 s[44:45], s[50:51], s[44:45]
	v_mov_b64_e32 v[34:35], s[48:49]
	s_mov_b64 s[48:49], s[4:5]
	s_andn2_b64 exec, exec, s[44:45]
	s_cbranch_execz .LBB1108_283
.LBB1108_281:                           ; =>This Inner Loop Header: Depth=1
	s_or_b64 s[46:47], s[46:47], exec
	s_cmp_eq_u64 s[26:27], s[48:49]
	s_cbranch_scc0 .LBB1108_279
; %bb.282:                              ;   in Loop: Header=BB1108_281 Depth=1
                                        ; implicit-def: $sgpr4_sgpr5
	s_mov_b64 s[48:49], s[26:27]
	s_branch .LBB1108_280
.LBB1108_283:
	s_or_b64 exec, exec, s[44:45]
	v_cmp_gt_i64_e32 vcc, s[26:27], v[34:35]
	s_orn2_b64 s[44:45], vcc, exec
.LBB1108_284:
	s_or_b64 exec, exec, s[40:41]
	s_and_b64 s[40:41], s[44:45], exec
.LBB1108_285:
	s_or_b64 exec, exec, s[42:43]
	v_cmp_gt_u32_e32 vcc, s3, v43
	s_and_b64 s[4:5], vcc, s[6:7]
	s_and_saveexec_b64 s[42:43], s[4:5]
	s_cbranch_execz .LBB1108_294
; %bb.286:
	v_mov_b64_e32 v[32:33], s[28:29]
	v_mad_u64_u32 v[30:31], s[4:5], v22, s26, v[32:33]
	v_mul_lo_u32 v34, v22, s27
	v_mul_lo_u32 v35, v23, s26
	v_add3_u32 v31, v35, v31, v34
	v_mad_u64_u32 v[32:33], s[4:5], v24, s26, v[32:33]
	v_add3_u32 v33, v46, v33, v39
	global_load_ubyte v34, v[30:31], off
	global_load_ubyte v35, v[32:33], off
	s_waitcnt vmcnt(1)
	v_cmp_ne_u16_e32 vcc, 0, v34
	s_waitcnt vmcnt(0)
	v_cmp_ne_u16_e64 s[4:5], 0, v35
	s_xor_b64 s[38:39], vcc, s[4:5]
	s_mov_b64 s[4:5], -1
	s_xor_b64 s[44:45], s[38:39], -1
	s_and_saveexec_b64 s[38:39], s[44:45]
	s_cbranch_execz .LBB1108_293
; %bb.287:
	s_mov_b64 s[48:49], 1
	s_mov_b64 s[44:45], 0
                                        ; implicit-def: $sgpr46_sgpr47
	s_branch .LBB1108_290
.LBB1108_288:                           ;   in Loop: Header=BB1108_290 Depth=1
	v_lshl_add_u64 v[34:35], v[30:31], 0, s[48:49]
	v_lshl_add_u64 v[36:37], v[32:33], 0, s[48:49]
	global_load_ubyte v39, v[34:35], off
	global_load_ubyte v46, v[36:37], off
	s_waitcnt vmcnt(1)
	v_cmp_ne_u16_e32 vcc, 0, v39
	s_waitcnt vmcnt(0)
	v_cmp_ne_u16_e64 s[4:5], 0, v46
	s_xor_b64 s[50:51], vcc, s[4:5]
	s_add_u32 s4, s48, 1
	s_addc_u32 s5, s49, 0
	s_andn2_b64 s[46:47], s[46:47], exec
	s_and_b64 s[50:51], s[50:51], exec
	s_or_b64 s[46:47], s[46:47], s[50:51]
.LBB1108_289:                           ;   in Loop: Header=BB1108_290 Depth=1
	s_and_b64 s[50:51], exec, s[46:47]
	s_or_b64 s[44:45], s[50:51], s[44:45]
	v_mov_b64_e32 v[34:35], s[48:49]
	s_mov_b64 s[48:49], s[4:5]
	s_andn2_b64 exec, exec, s[44:45]
	s_cbranch_execz .LBB1108_292
.LBB1108_290:                           ; =>This Inner Loop Header: Depth=1
	s_or_b64 s[46:47], s[46:47], exec
	s_cmp_eq_u64 s[26:27], s[48:49]
	s_cbranch_scc0 .LBB1108_288
; %bb.291:                              ;   in Loop: Header=BB1108_290 Depth=1
                                        ; implicit-def: $sgpr4_sgpr5
	s_mov_b64 s[48:49], s[26:27]
	s_branch .LBB1108_289
.LBB1108_292:
	s_or_b64 exec, exec, s[44:45]
	v_cmp_gt_i64_e32 vcc, s[26:27], v[34:35]
	s_orn2_b64 s[4:5], vcc, exec
.LBB1108_293:
	s_or_b64 exec, exec, s[38:39]
	s_and_b64 s[38:39], s[4:5], exec
.LBB1108_294:
	s_or_b64 exec, exec, s[42:43]
	v_cndmask_b32_e64 v31, 0, 1, s[18:19]
	v_cndmask_b32_e64 v30, 0, 1, s[40:41]
	;; [unrolled: 1-line block ×3, first 2 shown]
	v_lshlrev_b16_e32 v31, 8, v31
	v_cndmask_b32_e64 v33, 0, 1, s[36:37]
	v_cndmask_b32_e64 v34, 0, 1, s[38:39]
	v_or_b32_sdwa v30, v30, v31 dst_sel:WORD_1 dst_unused:UNUSED_PAD src0_sel:DWORD src1_sel:DWORD
	v_lshlrev_b16_e32 v31, 8, v32
	v_lshlrev_b16_e32 v34, 8, v34
	v_or_b32_e32 v31, v33, v31
	v_or_b32_e32 v34, 1, v34
	v_and_b32_e32 v31, 0xffff, v31
	v_cndmask_b32_e64 v46, 0, 1, s[8:9]
	v_or_b32_sdwa v30, v34, v30 dst_sel:DWORD dst_unused:UNUSED_PAD src0_sel:WORD_0 src1_sel:DWORD
	v_lshl_or_b32 v31, v46, 16, v31
	v_cmp_ne_u32_e32 vcc, 0, v0
	s_waitcnt lgkmcnt(0)
	s_barrier
	s_waitcnt lgkmcnt(0)
                                        ; implicit-def: $sgpr36_sgpr37
                                        ; implicit-def: $vgpr34
	s_and_saveexec_b64 s[8:9], vcc
	s_cbranch_execz .LBB1108_305
; %bb.295:
	v_cmp_gt_u32_e32 vcc, s3, v1
	s_mov_b64 s[18:19], -1
	s_and_b64 s[14:15], vcc, s[6:7]
	s_mov_b32 s33, 0x3020104
	s_mov_b64 s[4:5], 0
	s_and_saveexec_b64 s[6:7], s[14:15]
	s_cbranch_execz .LBB1108_304
; %bb.296:
	v_add_u32_e32 v31, -8, v38
	ds_read_b64 v[34:35], v31
	v_mov_b64_e32 v[36:37], s[28:29]
	s_waitcnt lgkmcnt(0)
	v_mul_lo_u32 v31, v34, s27
	v_mul_lo_u32 v38, v35, s26
	v_mad_u64_u32 v[34:35], s[4:5], v34, s26, v[36:37]
	v_add3_u32 v35, v38, v35, v31
	v_mad_u64_u32 v[36:37], s[4:5], v22, s26, v[36:37]
	v_mul_lo_u32 v31, v22, s27
	v_mul_lo_u32 v38, v23, s26
	v_add3_u32 v37, v38, v37, v31
	global_load_ubyte v31, v[34:35], off
	global_load_ubyte v38, v[36:37], off
	s_waitcnt vmcnt(1)
	v_cmp_ne_u16_e32 vcc, 0, v31
	s_waitcnt vmcnt(0)
	v_cmp_ne_u16_e64 s[4:5], 0, v38
	s_xor_b64 s[4:5], vcc, s[4:5]
	s_xor_b64 s[4:5], s[4:5], -1
	s_and_saveexec_b64 s[14:15], s[4:5]
	s_cbranch_execz .LBB1108_303
; %bb.297:
	s_mov_b64 s[36:37], 1
	s_mov_b64 s[18:19], 0
                                        ; implicit-def: $sgpr28_sgpr29
	s_branch .LBB1108_300
.LBB1108_298:                           ;   in Loop: Header=BB1108_300 Depth=1
	v_lshl_add_u64 v[38:39], v[34:35], 0, s[36:37]
	v_lshl_add_u64 v[48:49], v[36:37], 0, s[36:37]
	global_load_ubyte v31, v[38:39], off
	global_load_ubyte v47, v[48:49], off
	s_waitcnt vmcnt(1)
	v_cmp_ne_u16_e32 vcc, 0, v31
	s_waitcnt vmcnt(0)
	v_cmp_ne_u16_e64 s[4:5], 0, v47
	s_xor_b64 s[38:39], vcc, s[4:5]
	s_add_u32 s4, s36, 1
	s_addc_u32 s5, s37, 0
	s_andn2_b64 s[28:29], s[28:29], exec
	s_and_b64 s[38:39], s[38:39], exec
	s_or_b64 s[28:29], s[28:29], s[38:39]
.LBB1108_299:                           ;   in Loop: Header=BB1108_300 Depth=1
	s_and_b64 s[38:39], exec, s[28:29]
	s_or_b64 s[18:19], s[38:39], s[18:19]
	v_mov_b64_e32 v[38:39], s[36:37]
	s_mov_b64 s[36:37], s[4:5]
	s_andn2_b64 exec, exec, s[18:19]
	s_cbranch_execz .LBB1108_302
.LBB1108_300:                           ; =>This Inner Loop Header: Depth=1
	s_or_b64 s[28:29], s[28:29], exec
	s_cmp_eq_u64 s[26:27], s[36:37]
	s_cbranch_scc0 .LBB1108_298
; %bb.301:                              ;   in Loop: Header=BB1108_300 Depth=1
                                        ; implicit-def: $sgpr4_sgpr5
	s_mov_b64 s[36:37], s[26:27]
	s_branch .LBB1108_299
.LBB1108_302:
	s_or_b64 exec, exec, s[18:19]
	v_cmp_gt_i64_e32 vcc, s[26:27], v[38:39]
	s_orn2_b64 s[18:19], vcc, exec
.LBB1108_303:
	s_or_b64 exec, exec, s[14:15]
	s_and_b64 s[4:5], s[18:19], exec
.LBB1108_304:
	s_or_b64 exec, exec, s[6:7]
	v_perm_b32 v34, v30, v30, s33
	s_and_b64 s[36:37], s[4:5], exec
	s_or_b64 s[12:13], s[12:13], exec
                                        ; implicit-def: $vgpr30_vgpr31
.LBB1108_305:
	s_or_b64 exec, exec, s[8:9]
.LBB1108_306:
	s_and_saveexec_b64 s[4:5], s[12:13]
	s_cbranch_execz .LBB1108_308
; %bb.307:
	v_lshlrev_b16_e32 v31, 8, v32
	v_and_b32_e32 v32, 0xff, v46
	v_or_b32_sdwa v31, v33, v31 dst_sel:DWORD dst_unused:UNUSED_PAD src0_sel:BYTE_0 src1_sel:DWORD
	v_lshlrev_b32_e32 v32, 16, v32
	s_movk_i32 s6, 0xff
	v_or_b32_sdwa v31, v31, v32 dst_sel:DWORD dst_unused:UNUSED_PAD src0_sel:WORD_0 src1_sel:DWORD
	v_lshrrev_b32_e32 v32, 24, v34
	v_lshlrev_b16_e32 v32, 8, v32
	v_and_b32_sdwa v33, v34, s6 dst_sel:DWORD dst_unused:UNUSED_PAD src0_sel:WORD_1 src1_sel:DWORD
	v_or_b32_sdwa v32, v33, v32 dst_sel:WORD_1 dst_unused:UNUSED_PAD src0_sel:DWORD src1_sel:DWORD
	v_mov_b32_e32 v33, 8
	v_cndmask_b32_e64 v30, 0, 1, s[36:37]
	v_lshrrev_b32_sdwa v33, v33, v34 dst_sel:BYTE_1 dst_unused:UNUSED_PAD src0_sel:DWORD src1_sel:DWORD
	s_nop 0
	v_or_b32_e32 v30, v30, v33
	v_or_b32_sdwa v30, v30, v32 dst_sel:DWORD dst_unused:UNUSED_PAD src0_sel:WORD_0 src1_sel:DWORD
.LBB1108_308:
	s_or_b64 exec, exec, s[4:5]
	s_andn2_b64 vcc, exec, s[10:11]
	s_cbranch_vccnz .LBB1108_310
; %bb.309:
	v_and_b32_e32 v32, 0xffff0000, v30
	v_cmp_gt_u32_e32 vcc, s3, v1
	s_mov_b32 s4, 0x40c0100
	s_nop 0
	v_cndmask_b32_e32 v1, v32, v30, vcc
	v_and_b32_e32 v1, 0xffff00ff, v1
	v_cmp_gt_u32_e32 vcc, s3, v43
	s_nop 1
	v_cndmask_b32_e32 v1, v1, v30, vcc
	v_lshrrev_b32_e32 v32, 24, v1
	v_perm_b32 v1, v32, v1, s4
	v_cmp_gt_u32_e32 vcc, s3, v40
	v_and_b32_e32 v32, 0xffffff00, v31
	s_nop 0
	v_cndmask_b32_e32 v1, v1, v30, vcc
	v_and_b32_e32 v1, 0xffffff, v1
	v_cmp_gt_u32_e32 vcc, s3, v44
	s_nop 1
	v_cndmask_b32_e32 v1, v1, v30, vcc
	v_cmp_gt_u32_e32 vcc, s3, v41
	s_nop 1
	v_cndmask_b32_e32 v32, v32, v31, vcc
	v_and_b32_e32 v32, 0xffff00ff, v32
	v_cndmask_b32_e32 v1, v1, v30, vcc
	v_cmp_gt_u32_e32 vcc, s3, v45
	s_nop 1
	v_cndmask_b32_e32 v32, v32, v31, vcc
	v_lshrrev_b32_e32 v33, 24, v32
	v_cndmask_b32_e32 v1, v1, v30, vcc
	v_perm_b32 v32, v33, v32, s4
	v_cmp_gt_u32_e32 vcc, s3, v42
	s_mov_b32 s3, 0x3020104
	s_nop 0
	v_cndmask_b32_e32 v1, v1, v30, vcc
	v_cndmask_b32_e32 v30, v32, v31, vcc
	v_mov_b32_e32 v31, 8
	v_lshrrev_b32_sdwa v31, v31, v30 dst_sel:BYTE_1 dst_unused:UNUSED_PAD src0_sel:DWORD src1_sel:DWORD
	s_nop 0
	v_or_b32_sdwa v31, v30, v31 dst_sel:DWORD dst_unused:UNUSED_PAD src0_sel:BYTE_0 src1_sel:DWORD
	v_and_b32_e32 v31, 0xffff, v31
	v_bfe_u32 v30, v30, 16, 8
	v_lshl_or_b32 v31, v30, 16, v31
	v_perm_b32 v30, v1, v1, s3
.LBB1108_310:
	v_and_b32_e32 v1, 0xff, v30
	v_bfe_u32 v43, v30, 8, 8
	v_bfe_u32 v45, v30, 16, 8
	v_alignbit_b32 v32, v31, v30, 24
	v_and_b32_e32 v47, 0xff, v32
	v_and_b32_e32 v48, 0xff, v31
	v_add3_u32 v33, v43, v1, v45
	v_bfe_u32 v49, v31, 8, 8
	v_bfe_u32 v32, v31, 16, 8
	v_add3_u32 v33, v33, v47, v48
	v_add3_u32 v52, v33, v49, v32
	v_mbcnt_lo_u32_b32 v32, -1, 0
	v_mbcnt_hi_u32_b32 v50, -1, v32
	v_and_b32_e32 v32, 15, v50
	v_cmp_eq_u32_e64 s[14:15], 0, v32
	v_cmp_lt_u32_e64 s[12:13], 1, v32
	v_cmp_lt_u32_e64 s[10:11], 3, v32
	;; [unrolled: 1-line block ×3, first 2 shown]
	v_and_b32_e32 v32, 16, v50
	v_cmp_eq_u32_e64 s[6:7], 0, v32
	v_or_b32_e32 v32, 63, v0
	v_cmp_lt_u32_e64 s[18:19], 31, v50
	v_lshrrev_b32_e32 v51, 6, v0
	v_cmp_eq_u32_e64 s[4:5], v32, v0
	s_and_b64 vcc, exec, s[16:17]
	s_waitcnt lgkmcnt(0)
	s_barrier
	s_cbranch_vccz .LBB1108_341
; %bb.311:
	v_mov_b32_dpp v32, v52 row_shr:1 row_mask:0xf bank_mask:0xf
	v_cndmask_b32_e64 v32, v32, 0, s[14:15]
	v_add_u32_e32 v32, v32, v52
	s_nop 1
	v_mov_b32_dpp v33, v32 row_shr:2 row_mask:0xf bank_mask:0xf
	v_cndmask_b32_e64 v33, 0, v33, s[12:13]
	v_add_u32_e32 v32, v32, v33
	s_nop 1
	;; [unrolled: 4-line block ×4, first 2 shown]
	v_mov_b32_dpp v33, v32 row_bcast:15 row_mask:0xf bank_mask:0xf
	v_cndmask_b32_e64 v33, v33, 0, s[6:7]
	v_add_u32_e32 v32, v32, v33
	s_nop 1
	v_mov_b32_dpp v33, v32 row_bcast:31 row_mask:0xf bank_mask:0xf
	v_cndmask_b32_e64 v33, 0, v33, s[18:19]
	v_add_u32_e32 v32, v32, v33
	s_and_saveexec_b64 s[16:17], s[4:5]
	s_cbranch_execz .LBB1108_313
; %bb.312:
	v_lshlrev_b32_e32 v33, 2, v51
	ds_write_b32 v33, v32
.LBB1108_313:
	s_or_b64 exec, exec, s[16:17]
	v_cmp_gt_u32_e32 vcc, 8, v0
	s_waitcnt lgkmcnt(0)
	s_barrier
	s_and_saveexec_b64 s[16:17], vcc
	s_cbranch_execz .LBB1108_315
; %bb.314:
	v_lshlrev_b32_e32 v33, 2, v0
	ds_read_b32 v34, v33
	v_and_b32_e32 v35, 7, v50
	v_cmp_ne_u32_e32 vcc, 0, v35
	s_waitcnt lgkmcnt(0)
	v_mov_b32_dpp v36, v34 row_shr:1 row_mask:0xf bank_mask:0xf
	v_cndmask_b32_e32 v36, 0, v36, vcc
	v_add_u32_e32 v34, v36, v34
	v_cmp_lt_u32_e32 vcc, 1, v35
	s_nop 0
	v_mov_b32_dpp v36, v34 row_shr:2 row_mask:0xf bank_mask:0xf
	v_cndmask_b32_e32 v36, 0, v36, vcc
	v_add_u32_e32 v34, v34, v36
	v_cmp_lt_u32_e32 vcc, 3, v35
	s_nop 0
	v_mov_b32_dpp v36, v34 row_shr:4 row_mask:0xf bank_mask:0xf
	v_cndmask_b32_e32 v35, 0, v36, vcc
	v_add_u32_e32 v34, v34, v35
	ds_write_b32 v33, v34
.LBB1108_315:
	s_or_b64 exec, exec, s[16:17]
	v_cmp_gt_u32_e32 vcc, 64, v0
	v_cmp_lt_u32_e64 s[16:17], 63, v0
	s_waitcnt lgkmcnt(0)
	s_barrier
	s_waitcnt lgkmcnt(0)
                                        ; implicit-def: $vgpr42
	s_and_saveexec_b64 s[26:27], s[16:17]
	s_cbranch_execz .LBB1108_317
; %bb.316:
	v_lshl_add_u32 v33, v51, 2, -4
	ds_read_b32 v42, v33
	s_waitcnt lgkmcnt(0)
	v_add_u32_e32 v32, v42, v32
.LBB1108_317:
	s_or_b64 exec, exec, s[26:27]
	v_add_u32_e32 v33, -1, v50
	v_and_b32_e32 v34, 64, v50
	v_cmp_lt_i32_e64 s[16:17], v33, v34
	s_nop 1
	v_cndmask_b32_e64 v33, v33, v50, s[16:17]
	v_lshlrev_b32_e32 v33, 2, v33
	ds_bpermute_b32 v44, v33, v32
	v_cmp_eq_u32_e64 s[16:17], 0, v50
	s_and_saveexec_b64 s[26:27], vcc
	s_cbranch_execz .LBB1108_340
; %bb.318:
	v_mov_b32_e32 v41, 0
	ds_read_b32 v32, v41 offset:28
	s_and_saveexec_b64 s[28:29], s[16:17]
	s_cbranch_execz .LBB1108_320
; %bb.319:
	s_add_i32 s36, s2, 64
	s_mov_b32 s37, 0
	s_lshl_b64 s[36:37], s[36:37], 3
	s_add_u32 s36, s30, s36
	v_mov_b32_e32 v33, 1
	s_addc_u32 s37, s31, s37
	s_waitcnt lgkmcnt(0)
	global_store_dwordx2 v41, v[32:33], s[36:37] sc1
.LBB1108_320:
	s_or_b64 exec, exec, s[28:29]
	v_xad_u32 v34, v50, -1, s2
	v_add_u32_e32 v40, 64, v34
	v_lshl_add_u64 v[36:37], v[40:41], 3, s[30:31]
	global_load_dwordx2 v[38:39], v[36:37], off sc1
	s_waitcnt vmcnt(0)
	v_cmp_eq_u16_sdwa s[36:37], v39, v41 src0_sel:BYTE_0 src1_sel:DWORD
	s_and_saveexec_b64 s[28:29], s[36:37]
	s_cbranch_execz .LBB1108_326
; %bb.321:
	s_mov_b32 s3, 1
	s_mov_b64 s[36:37], 0
	v_mov_b32_e32 v33, 0
.LBB1108_322:                           ; =>This Loop Header: Depth=1
                                        ;     Child Loop BB1108_323 Depth 2
	s_max_u32 s33, s3, 1
.LBB1108_323:                           ;   Parent Loop BB1108_322 Depth=1
                                        ; =>  This Inner Loop Header: Depth=2
	s_add_i32 s33, s33, -1
	s_cmp_eq_u32 s33, 0
	s_sleep 1
	s_cbranch_scc0 .LBB1108_323
; %bb.324:                              ;   in Loop: Header=BB1108_322 Depth=1
	global_load_dwordx2 v[38:39], v[36:37], off sc1
	s_cmp_lt_u32 s3, 32
	s_cselect_b64 s[38:39], -1, 0
	s_cmp_lg_u64 s[38:39], 0
	s_addc_u32 s3, s3, 0
	s_waitcnt vmcnt(0)
	v_cmp_ne_u16_sdwa s[38:39], v39, v33 src0_sel:BYTE_0 src1_sel:DWORD
	s_or_b64 s[36:37], s[38:39], s[36:37]
	s_andn2_b64 exec, exec, s[36:37]
	s_cbranch_execnz .LBB1108_322
; %bb.325:
	s_or_b64 exec, exec, s[36:37]
.LBB1108_326:
	s_or_b64 exec, exec, s[28:29]
	v_and_b32_e32 v46, 63, v50
	v_mov_b32_e32 v33, 2
	v_cmp_ne_u32_e32 vcc, 63, v46
	v_cmp_eq_u16_sdwa s[28:29], v39, v33 src0_sel:BYTE_0 src1_sel:DWORD
	v_lshlrev_b64 v[36:37], v50, -1
	v_addc_co_u32_e32 v41, vcc, 0, v50, vcc
	v_and_b32_e32 v35, s29, v37
	v_lshlrev_b32_e32 v53, 2, v41
	v_or_b32_e32 v35, 0x80000000, v35
	ds_bpermute_b32 v41, v53, v38
	v_and_b32_e32 v40, s28, v36
	v_ffbl_b32_e32 v35, v35
	v_add_u32_e32 v35, 32, v35
	v_ffbl_b32_e32 v40, v40
	v_min_u32_e32 v35, v40, v35
	v_cmp_lt_u32_e32 vcc, v46, v35
	v_add_u32_e32 v55, 2, v46
	v_add_u32_e32 v57, 4, v46
	s_waitcnt lgkmcnt(0)
	v_cndmask_b32_e32 v40, 0, v41, vcc
	v_cmp_gt_u32_e32 vcc, 62, v46
	v_add_u32_e32 v38, v40, v38
	v_add_u32_e32 v59, 8, v46
	v_cndmask_b32_e64 v40, 0, 1, vcc
	v_lshlrev_b32_e32 v40, 1, v40
	v_add_lshl_u32 v54, v40, v50, 2
	ds_bpermute_b32 v40, v54, v38
	v_cmp_le_u32_e32 vcc, v55, v35
	v_add_u32_e32 v62, 16, v46
	v_add_u32_e32 v64, 32, v46
	s_waitcnt lgkmcnt(0)
	v_cndmask_b32_e32 v40, 0, v40, vcc
	v_cmp_gt_u32_e32 vcc, 60, v46
	v_add_u32_e32 v38, v38, v40
	s_nop 0
	v_cndmask_b32_e64 v40, 0, 1, vcc
	v_lshlrev_b32_e32 v40, 2, v40
	v_add_lshl_u32 v56, v40, v50, 2
	ds_bpermute_b32 v40, v56, v38
	v_cmp_le_u32_e32 vcc, v57, v35
	s_waitcnt lgkmcnt(0)
	s_nop 0
	v_cndmask_b32_e32 v40, 0, v40, vcc
	v_cmp_gt_u32_e32 vcc, 56, v46
	v_add_u32_e32 v38, v38, v40
	s_nop 0
	v_cndmask_b32_e64 v40, 0, 1, vcc
	v_lshlrev_b32_e32 v40, 3, v40
	v_add_lshl_u32 v58, v40, v50, 2
	ds_bpermute_b32 v40, v58, v38
	v_cmp_le_u32_e32 vcc, v59, v35
	s_waitcnt lgkmcnt(0)
	s_nop 0
	;; [unrolled: 11-line block ×4, first 2 shown]
	v_cndmask_b32_e32 v35, 0, v40, vcc
	v_add_u32_e32 v38, v38, v35
	v_mov_b32_e32 v35, 0
	s_branch .LBB1108_328
.LBB1108_327:                           ;   in Loop: Header=BB1108_328 Depth=1
	s_or_b64 exec, exec, s[28:29]
	v_cmp_eq_u16_sdwa s[28:29], v39, v33 src0_sel:BYTE_0 src1_sel:DWORD
	ds_bpermute_b32 v65, v53, v38
	v_subrev_u32_e32 v34, 64, v34
	v_and_b32_e32 v40, s29, v37
	v_or_b32_e32 v40, 0x80000000, v40
	v_and_b32_e32 v41, s28, v36
	v_ffbl_b32_e32 v40, v40
	v_add_u32_e32 v40, 32, v40
	v_ffbl_b32_e32 v41, v41
	v_min_u32_e32 v40, v41, v40
	v_cmp_lt_u32_e32 vcc, v46, v40
	s_waitcnt lgkmcnt(0)
	s_nop 0
	v_cndmask_b32_e32 v41, 0, v65, vcc
	v_add_u32_e32 v38, v41, v38
	ds_bpermute_b32 v41, v54, v38
	v_cmp_le_u32_e32 vcc, v55, v40
	s_waitcnt lgkmcnt(0)
	s_nop 0
	v_cndmask_b32_e32 v41, 0, v41, vcc
	v_add_u32_e32 v38, v38, v41
	ds_bpermute_b32 v41, v56, v38
	v_cmp_le_u32_e32 vcc, v57, v40
	;; [unrolled: 6-line block ×5, first 2 shown]
	s_waitcnt lgkmcnt(0)
	s_nop 0
	v_cndmask_b32_e32 v40, 0, v41, vcc
	v_add3_u32 v38, v40, v60, v38
.LBB1108_328:                           ; =>This Loop Header: Depth=1
                                        ;     Child Loop BB1108_331 Depth 2
                                        ;       Child Loop BB1108_332 Depth 3
	v_cmp_ne_u16_sdwa s[28:29], v39, v33 src0_sel:BYTE_0 src1_sel:DWORD
	v_mov_b32_e32 v60, v38
	s_nop 0
	v_cndmask_b32_e64 v39, 0, 1, s[28:29]
	;;#ASMSTART
	;;#ASMEND
	s_nop 0
	v_cmp_ne_u32_e32 vcc, 0, v39
	s_cmp_lg_u64 vcc, exec
	s_cbranch_scc1 .LBB1108_335
; %bb.329:                              ;   in Loop: Header=BB1108_328 Depth=1
	v_lshl_add_u64 v[40:41], v[34:35], 3, s[30:31]
	global_load_dwordx2 v[38:39], v[40:41], off sc1
	s_waitcnt vmcnt(0)
	v_cmp_eq_u16_sdwa s[36:37], v39, v35 src0_sel:BYTE_0 src1_sel:DWORD
	s_and_saveexec_b64 s[28:29], s[36:37]
	s_cbranch_execz .LBB1108_327
; %bb.330:                              ;   in Loop: Header=BB1108_328 Depth=1
	s_mov_b32 s3, 1
	s_mov_b64 s[36:37], 0
.LBB1108_331:                           ;   Parent Loop BB1108_328 Depth=1
                                        ; =>  This Loop Header: Depth=2
                                        ;       Child Loop BB1108_332 Depth 3
	s_max_u32 s33, s3, 1
.LBB1108_332:                           ;   Parent Loop BB1108_328 Depth=1
                                        ;     Parent Loop BB1108_331 Depth=2
                                        ; =>    This Inner Loop Header: Depth=3
	s_add_i32 s33, s33, -1
	s_cmp_eq_u32 s33, 0
	s_sleep 1
	s_cbranch_scc0 .LBB1108_332
; %bb.333:                              ;   in Loop: Header=BB1108_331 Depth=2
	global_load_dwordx2 v[38:39], v[40:41], off sc1
	s_cmp_lt_u32 s3, 32
	s_cselect_b64 s[38:39], -1, 0
	s_cmp_lg_u64 s[38:39], 0
	s_addc_u32 s3, s3, 0
	s_waitcnt vmcnt(0)
	v_cmp_ne_u16_sdwa s[38:39], v39, v35 src0_sel:BYTE_0 src1_sel:DWORD
	s_or_b64 s[36:37], s[38:39], s[36:37]
	s_andn2_b64 exec, exec, s[36:37]
	s_cbranch_execnz .LBB1108_331
; %bb.334:                              ;   in Loop: Header=BB1108_328 Depth=1
	s_or_b64 exec, exec, s[36:37]
	s_branch .LBB1108_327
.LBB1108_335:                           ;   in Loop: Header=BB1108_328 Depth=1
                                        ; implicit-def: $vgpr38
                                        ; implicit-def: $vgpr39
	s_cbranch_execz .LBB1108_328
; %bb.336:
	s_and_saveexec_b64 s[28:29], s[16:17]
	s_cbranch_execz .LBB1108_338
; %bb.337:
	s_add_i32 s2, s2, 64
	s_mov_b32 s3, 0
	s_lshl_b64 s[2:3], s[2:3], 3
	s_add_u32 s2, s30, s2
	v_add_u32_e32 v34, v60, v32
	v_mov_b32_e32 v35, 2
	s_addc_u32 s3, s31, s3
	v_mov_b32_e32 v33, 0
	global_store_dwordx2 v33, v[34:35], s[2:3] sc1
	s_movk_i32 s2, 0x7000
	v_add_u32_e64 v33, s2, 0
	ds_write2_b32 v33, v32, v60 offset1:2
.LBB1108_338:
	s_or_b64 exec, exec, s[28:29]
	v_cmp_eq_u32_e32 vcc, 0, v0
	s_and_b64 exec, exec, vcc
	s_cbranch_execz .LBB1108_340
; %bb.339:
	v_mov_b32_e32 v32, 0
	ds_write_b32 v32, v60 offset:28
.LBB1108_340:
	s_or_b64 exec, exec, s[26:27]
	v_mov_b32_e32 v32, 0
	s_waitcnt lgkmcnt(0)
	s_barrier
	ds_read_b32 v32, v32 offset:28
	v_cndmask_b32_e64 v33, v44, v42, s[16:17]
	v_cmp_ne_u32_e32 vcc, 0, v0
	s_movk_i32 s2, 0x7000
	s_waitcnt lgkmcnt(0)
	v_cndmask_b32_e32 v33, 0, v33, vcc
	v_add_u32_e32 v46, v32, v33
	v_add_u32_e64 v32, s2, 0
	v_add_u32_e32 v44, v46, v1
	s_barrier
	ds_read2_b32 v[32:33], v32 offset1:2
	v_add_u32_e32 v42, v44, v43
	v_add_u32_e32 v40, v42, v45
	v_add_u32_e32 v38, v40, v47
	v_add_u32_e32 v36, v38, v48
	v_add_u32_e32 v34, v36, v49
	s_waitcnt lgkmcnt(0)
	v_readfirstlane_b32 s26, v32
	v_readfirstlane_b32 s16, v33
	v_lshrrev_b64 v[32:33], 24, v[30:31]
	s_branch .LBB1108_351
.LBB1108_341:
                                        ; implicit-def: $vgpr34
                                        ; implicit-def: $vgpr36
                                        ; implicit-def: $vgpr38
                                        ; implicit-def: $vgpr40
                                        ; implicit-def: $vgpr42
                                        ; implicit-def: $vgpr44
                                        ; implicit-def: $vgpr46
                                        ; implicit-def: $sgpr16
                                        ; implicit-def: $sgpr26
	v_lshrrev_b64 v[32:33], 24, v[30:31]
	s_cbranch_execz .LBB1108_351
; %bb.342:
	s_nop 0
	v_mov_b32_dpp v33, v52 row_shr:1 row_mask:0xf bank_mask:0xf
	v_cndmask_b32_e64 v33, v33, 0, s[14:15]
	v_add_u32_e32 v33, v33, v52
	s_nop 1
	v_mov_b32_dpp v34, v33 row_shr:2 row_mask:0xf bank_mask:0xf
	v_cndmask_b32_e64 v34, 0, v34, s[12:13]
	v_add_u32_e32 v33, v33, v34
	;; [unrolled: 4-line block ×4, first 2 shown]
	s_nop 1
	v_mov_b32_dpp v34, v33 row_bcast:15 row_mask:0xf bank_mask:0xf
	v_cndmask_b32_e64 v34, v34, 0, s[6:7]
	v_add_u32_e32 v33, v33, v34
	s_nop 1
	v_mov_b32_dpp v34, v33 row_bcast:31 row_mask:0xf bank_mask:0xf
	v_cndmask_b32_e64 v34, 0, v34, s[18:19]
	v_add_u32_e32 v33, v33, v34
	s_and_saveexec_b64 s[2:3], s[4:5]
	s_cbranch_execz .LBB1108_344
; %bb.343:
	v_lshlrev_b32_e32 v34, 2, v51
	ds_write_b32 v34, v33
.LBB1108_344:
	s_or_b64 exec, exec, s[2:3]
	v_cmp_gt_u32_e32 vcc, 8, v0
	s_waitcnt lgkmcnt(0)
	s_barrier
	s_and_saveexec_b64 s[2:3], vcc
	s_cbranch_execz .LBB1108_346
; %bb.345:
	v_lshlrev_b32_e32 v34, 2, v0
	ds_read_b32 v35, v34
	v_and_b32_e32 v36, 7, v50
	v_cmp_ne_u32_e32 vcc, 0, v36
	s_waitcnt lgkmcnt(0)
	v_mov_b32_dpp v37, v35 row_shr:1 row_mask:0xf bank_mask:0xf
	v_cndmask_b32_e32 v37, 0, v37, vcc
	v_add_u32_e32 v35, v37, v35
	v_cmp_lt_u32_e32 vcc, 1, v36
	s_nop 0
	v_mov_b32_dpp v37, v35 row_shr:2 row_mask:0xf bank_mask:0xf
	v_cndmask_b32_e32 v37, 0, v37, vcc
	v_add_u32_e32 v35, v35, v37
	v_cmp_lt_u32_e32 vcc, 3, v36
	s_nop 0
	v_mov_b32_dpp v37, v35 row_shr:4 row_mask:0xf bank_mask:0xf
	v_cndmask_b32_e32 v36, 0, v37, vcc
	v_add_u32_e32 v35, v35, v36
	ds_write_b32 v34, v35
.LBB1108_346:
	s_or_b64 exec, exec, s[2:3]
	v_cmp_lt_u32_e32 vcc, 63, v0
	v_mov_b32_e32 v35, 0
	v_mov_b32_e32 v34, 0
	s_waitcnt lgkmcnt(0)
	s_barrier
	s_and_saveexec_b64 s[2:3], vcc
	s_cbranch_execz .LBB1108_348
; %bb.347:
	v_lshl_add_u32 v34, v51, 2, -4
	ds_read_b32 v34, v34
.LBB1108_348:
	s_or_b64 exec, exec, s[2:3]
	v_add_u32_e32 v36, -1, v50
	v_and_b32_e32 v37, 64, v50
	v_cmp_lt_i32_e32 vcc, v36, v37
	s_waitcnt lgkmcnt(0)
	v_add_u32_e32 v33, v34, v33
	ds_read_b32 v35, v35 offset:28
	v_cndmask_b32_e32 v36, v36, v50, vcc
	v_lshlrev_b32_e32 v36, 2, v36
	ds_bpermute_b32 v33, v36, v33
	s_mov_b32 s16, 0
	v_cmp_eq_u32_e32 vcc, 0, v0
	s_waitcnt lgkmcnt(1)
	v_readfirstlane_b32 s26, v35
	s_and_saveexec_b64 s[2:3], vcc
	s_cbranch_execz .LBB1108_350
; %bb.349:
	v_mov_b32_e32 v35, 0
	v_mov_b32_e32 v36, s26
	;; [unrolled: 1-line block ×3, first 2 shown]
	global_store_dwordx2 v35, v[36:37], s[30:31] offset:512 sc1
.LBB1108_350:
	s_or_b64 exec, exec, s[2:3]
	v_cmp_eq_u32_e64 s[2:3], 0, v50
	s_waitcnt lgkmcnt(0)
	s_barrier
	v_cndmask_b32_e64 v33, v33, v34, s[2:3]
	v_cndmask_b32_e64 v46, v33, 0, vcc
	v_add_u32_e32 v44, v46, v1
	v_add_u32_e32 v42, v44, v43
	;; [unrolled: 1-line block ×6, first 2 shown]
.LBB1108_351:
	s_load_dwordx4 s[4:7], s[0:1], 0x28
	s_cmpk_lt_u32 s26, 0x201
	s_cselect_b64 s[2:3], -1, 0
	v_lshrrev_b32_e32 v33, 8, v30
	v_lshrrev_b32_e32 v1, 8, v31
	s_mov_b64 s[0:1], -1
	s_and_b64 vcc, exec, s[2:3]
	s_cbranch_vccz .LBB1108_374
; %bb.352:
	s_add_i32 s8, s16, s26
	v_cmp_gt_u32_e32 vcc, s8, v46
	s_or_b64 s[10:11], s[34:35], vcc
	s_and_saveexec_b64 s[0:1], s[10:11]
	s_cbranch_execz .LBB1108_355
; %bb.353:
	v_and_b32_e32 v35, 1, v30
	v_cmp_eq_u32_e32 vcc, 1, v35
	s_and_b64 exec, exec, vcc
	s_cbranch_execz .LBB1108_355
; %bb.354:
	s_lshl_b64 s[10:11], s[22:23], 3
	s_waitcnt lgkmcnt(0)
	s_add_u32 s10, s4, s10
	s_addc_u32 s11, s5, s11
	v_mov_b32_e32 v47, 0
	v_lshl_add_u64 v[48:49], v[46:47], 3, s[10:11]
	global_store_dwordx2 v[48:49], v[22:23], off
.LBB1108_355:
	s_or_b64 exec, exec, s[0:1]
	v_cmp_gt_u32_e32 vcc, s8, v44
	s_or_b64 s[10:11], s[34:35], vcc
	s_and_saveexec_b64 s[0:1], s[10:11]
	s_cbranch_execz .LBB1108_358
; %bb.356:
	v_and_b32_e32 v35, 1, v33
	v_cmp_eq_u32_e32 vcc, 1, v35
	s_and_b64 exec, exec, vcc
	s_cbranch_execz .LBB1108_358
; %bb.357:
	s_lshl_b64 s[10:11], s[22:23], 3
	s_waitcnt lgkmcnt(0)
	s_add_u32 s10, s4, s10
	s_addc_u32 s11, s5, s11
	v_mov_b32_e32 v45, 0
	v_lshl_add_u64 v[48:49], v[44:45], 3, s[10:11]
	global_store_dwordx2 v[48:49], v[24:25], off
.LBB1108_358:
	s_or_b64 exec, exec, s[0:1]
	v_cmp_gt_u32_e32 vcc, s8, v42
	s_or_b64 s[10:11], s[34:35], vcc
	s_and_saveexec_b64 s[0:1], s[10:11]
	s_cbranch_execz .LBB1108_361
; %bb.359:
	v_mov_b32_e32 v35, 1
	v_and_b32_sdwa v35, v35, v30 dst_sel:DWORD dst_unused:UNUSED_PAD src0_sel:DWORD src1_sel:WORD_1
	v_cmp_eq_u32_e32 vcc, 1, v35
	s_and_b64 exec, exec, vcc
	s_cbranch_execz .LBB1108_361
; %bb.360:
	s_lshl_b64 s[10:11], s[22:23], 3
	s_waitcnt lgkmcnt(0)
	s_add_u32 s10, s4, s10
	s_addc_u32 s11, s5, s11
	v_mov_b32_e32 v43, 0
	v_lshl_add_u64 v[48:49], v[42:43], 3, s[10:11]
	global_store_dwordx2 v[48:49], v[18:19], off
.LBB1108_361:
	s_or_b64 exec, exec, s[0:1]
	v_cmp_gt_u32_e32 vcc, s8, v40
	s_or_b64 s[10:11], s[34:35], vcc
	s_and_saveexec_b64 s[0:1], s[10:11]
	s_cbranch_execz .LBB1108_364
; %bb.362:
	v_and_b32_e32 v35, 1, v32
	v_cmp_eq_u32_e32 vcc, 1, v35
	s_and_b64 exec, exec, vcc
	s_cbranch_execz .LBB1108_364
; %bb.363:
	s_lshl_b64 s[10:11], s[22:23], 3
	s_waitcnt lgkmcnt(0)
	s_add_u32 s10, s4, s10
	s_addc_u32 s11, s5, s11
	v_mov_b32_e32 v41, 0
	v_lshl_add_u64 v[48:49], v[40:41], 3, s[10:11]
	global_store_dwordx2 v[48:49], v[20:21], off
.LBB1108_364:
	s_or_b64 exec, exec, s[0:1]
	v_cmp_gt_u32_e32 vcc, s8, v38
	s_or_b64 s[10:11], s[34:35], vcc
	s_and_saveexec_b64 s[0:1], s[10:11]
	s_cbranch_execz .LBB1108_367
; %bb.365:
	v_and_b32_e32 v35, 1, v31
	v_cmp_eq_u32_e32 vcc, 1, v35
	s_and_b64 exec, exec, vcc
	s_cbranch_execz .LBB1108_367
; %bb.366:
	s_lshl_b64 s[10:11], s[22:23], 3
	s_waitcnt lgkmcnt(0)
	s_add_u32 s10, s4, s10
	s_addc_u32 s11, s5, s11
	v_mov_b32_e32 v39, 0
	v_lshl_add_u64 v[48:49], v[38:39], 3, s[10:11]
	global_store_dwordx2 v[48:49], v[14:15], off
.LBB1108_367:
	;; [unrolled: 19-line block ×3, first 2 shown]
	s_or_b64 exec, exec, s[0:1]
	v_cmp_gt_u32_e32 vcc, s8, v34
	s_or_b64 s[8:9], s[34:35], vcc
	s_and_saveexec_b64 s[0:1], s[8:9]
	s_cbranch_execz .LBB1108_373
; %bb.371:
	v_mov_b32_e32 v35, 1
	v_and_b32_sdwa v35, v35, v31 dst_sel:DWORD dst_unused:UNUSED_PAD src0_sel:DWORD src1_sel:WORD_1
	v_cmp_eq_u32_e32 vcc, 1, v35
	s_and_b64 exec, exec, vcc
	s_cbranch_execz .LBB1108_373
; %bb.372:
	s_lshl_b64 s[8:9], s[22:23], 3
	s_waitcnt lgkmcnt(0)
	s_add_u32 s8, s4, s8
	s_addc_u32 s9, s5, s9
	v_mov_b32_e32 v35, 0
	v_lshl_add_u64 v[48:49], v[34:35], 3, s[8:9]
	global_store_dwordx2 v[48:49], v[28:29], off
.LBB1108_373:
	s_or_b64 exec, exec, s[0:1]
	s_mov_b64 s[0:1], 0
.LBB1108_374:
	v_and_b32_e32 v48, 1, v30
	s_and_b64 vcc, exec, s[0:1]
	v_cmp_eq_u32_e64 s[0:1], 1, v48
	s_cbranch_vccz .LBB1108_393
; %bb.375:
	s_and_saveexec_b64 s[8:9], s[0:1]
	s_cbranch_execz .LBB1108_377
; %bb.376:
	v_subrev_u32_e32 v35, s16, v46
	v_lshlrev_b32_e32 v35, 3, v35
	ds_write_b64 v35, v[22:23]
.LBB1108_377:
	s_or_b64 exec, exec, s[8:9]
	v_and_b32_e32 v22, 1, v33
	v_cmp_eq_u32_e32 vcc, 1, v22
	s_and_saveexec_b64 s[0:1], vcc
	s_cbranch_execz .LBB1108_379
; %bb.378:
	v_subrev_u32_e32 v22, s16, v44
	v_lshlrev_b32_e32 v22, 3, v22
	ds_write_b64 v22, v[24:25]
.LBB1108_379:
	s_or_b64 exec, exec, s[0:1]
	v_mov_b32_e32 v22, 1
	v_and_b32_sdwa v22, v22, v30 dst_sel:DWORD dst_unused:UNUSED_PAD src0_sel:DWORD src1_sel:WORD_1
	v_cmp_eq_u32_e32 vcc, 1, v22
	s_and_saveexec_b64 s[0:1], vcc
	s_cbranch_execz .LBB1108_381
; %bb.380:
	v_subrev_u32_e32 v22, s16, v42
	v_lshlrev_b32_e32 v22, 3, v22
	ds_write_b64 v22, v[18:19]
.LBB1108_381:
	s_or_b64 exec, exec, s[0:1]
	v_and_b32_e32 v18, 1, v32
	v_cmp_eq_u32_e32 vcc, 1, v18
	s_and_saveexec_b64 s[0:1], vcc
	s_cbranch_execz .LBB1108_383
; %bb.382:
	v_subrev_u32_e32 v18, s16, v40
	v_lshlrev_b32_e32 v18, 3, v18
	ds_write_b64 v18, v[20:21]
.LBB1108_383:
	s_or_b64 exec, exec, s[0:1]
	v_and_b32_e32 v18, 1, v31
	;; [unrolled: 10-line block ×3, first 2 shown]
	v_cmp_eq_u32_e32 vcc, 1, v14
	s_and_saveexec_b64 s[0:1], vcc
	s_cbranch_execz .LBB1108_387
; %bb.386:
	v_subrev_u32_e32 v14, s16, v36
	v_lshlrev_b32_e32 v14, 3, v14
	ds_write_b64 v14, v[16:17]
.LBB1108_387:
	s_or_b64 exec, exec, s[0:1]
	v_mov_b32_e32 v14, 1
	v_and_b32_sdwa v14, v14, v31 dst_sel:DWORD dst_unused:UNUSED_PAD src0_sel:DWORD src1_sel:WORD_1
	v_cmp_eq_u32_e32 vcc, 1, v14
	s_and_saveexec_b64 s[0:1], vcc
	s_cbranch_execz .LBB1108_389
; %bb.388:
	v_subrev_u32_e32 v14, s16, v34
	v_lshlrev_b32_e32 v14, 3, v14
	ds_write_b64 v14, v[28:29]
.LBB1108_389:
	s_or_b64 exec, exec, s[0:1]
	v_cmp_gt_u32_e32 vcc, s26, v0
	s_waitcnt lgkmcnt(0)
	s_barrier
	s_and_saveexec_b64 s[0:1], vcc
	s_cbranch_execz .LBB1108_392
; %bb.390:
	s_mov_b32 s17, 0
	s_lshl_b64 s[8:9], s[22:23], 3
	s_lshl_b64 s[10:11], s[16:17], 3
	s_add_u32 s8, s8, s10
	s_addc_u32 s9, s9, s11
	s_add_u32 s4, s4, s8
	v_lshlrev_b32_e32 v14, 3, v0
	v_mov_b32_e32 v15, 0
	s_addc_u32 s5, s5, s9
	v_lshl_add_u64 v[16:17], s[4:5], 0, v[14:15]
	s_mov_b64 s[4:5], 0
	s_mov_b64 s[8:9], 0x1000
	v_mov_b32_e32 v15, v0
.LBB1108_391:                           ; =>This Inner Loop Header: Depth=1
	ds_read_b64 v[18:19], v14
	v_add_u32_e32 v15, 0x200, v15
	v_cmp_le_u32_e32 vcc, s26, v15
	v_add_u32_e32 v14, 0x1000, v14
	s_or_b64 s[4:5], vcc, s[4:5]
	s_waitcnt lgkmcnt(0)
	global_store_dwordx2 v[16:17], v[18:19], off
	v_lshl_add_u64 v[16:17], v[16:17], 0, s[8:9]
	s_andn2_b64 exec, exec, s[4:5]
	s_cbranch_execnz .LBB1108_391
.LBB1108_392:
	s_or_b64 exec, exec, s[0:1]
.LBB1108_393:
	s_mov_b64 s[0:1], -1
	s_and_b64 vcc, exec, s[2:3]
	s_waitcnt lgkmcnt(0)
	s_barrier
	s_cbranch_vccnz .LBB1108_397
; %bb.394:
	s_and_b64 vcc, exec, s[0:1]
	s_cbranch_vccnz .LBB1108_419
.LBB1108_395:
	v_cmp_eq_u32_e32 vcc, 0, v0
	s_and_b64 s[0:1], vcc, s[24:25]
	s_and_saveexec_b64 s[2:3], s[0:1]
	s_cbranch_execnz .LBB1108_437
.LBB1108_396:
	s_endpgm
.LBB1108_397:
	s_add_i32 s2, s16, s26
	v_cmp_gt_u32_e32 vcc, s2, v46
	s_or_b64 s[4:5], s[34:35], vcc
	s_and_saveexec_b64 s[0:1], s[4:5]
	s_cbranch_execz .LBB1108_400
; %bb.398:
	v_cmp_eq_u32_e32 vcc, 1, v48
	s_and_b64 exec, exec, vcc
	s_cbranch_execz .LBB1108_400
; %bb.399:
	s_lshl_b64 s[4:5], s[22:23], 3
	s_add_u32 s4, s6, s4
	s_addc_u32 s5, s7, s5
	v_mov_b32_e32 v47, 0
	v_lshl_add_u64 v[14:15], v[46:47], 3, s[4:5]
	global_store_dwordx2 v[14:15], v[10:11], off
.LBB1108_400:
	s_or_b64 exec, exec, s[0:1]
	v_cmp_gt_u32_e32 vcc, s2, v44
	s_or_b64 s[4:5], s[34:35], vcc
	s_and_saveexec_b64 s[0:1], s[4:5]
	s_cbranch_execz .LBB1108_403
; %bb.401:
	v_and_b32_e32 v14, 1, v33
	v_cmp_eq_u32_e32 vcc, 1, v14
	s_and_b64 exec, exec, vcc
	s_cbranch_execz .LBB1108_403
; %bb.402:
	s_lshl_b64 s[4:5], s[22:23], 3
	s_add_u32 s4, s6, s4
	s_addc_u32 s5, s7, s5
	v_mov_b32_e32 v45, 0
	v_lshl_add_u64 v[14:15], v[44:45], 3, s[4:5]
	global_store_dwordx2 v[14:15], v[12:13], off
.LBB1108_403:
	s_or_b64 exec, exec, s[0:1]
	v_cmp_gt_u32_e32 vcc, s2, v42
	s_or_b64 s[4:5], s[34:35], vcc
	s_and_saveexec_b64 s[0:1], s[4:5]
	s_cbranch_execz .LBB1108_406
; %bb.404:
	v_mov_b32_e32 v14, 1
	v_and_b32_sdwa v14, v14, v30 dst_sel:DWORD dst_unused:UNUSED_PAD src0_sel:DWORD src1_sel:WORD_1
	v_cmp_eq_u32_e32 vcc, 1, v14
	s_and_b64 exec, exec, vcc
	s_cbranch_execz .LBB1108_406
; %bb.405:
	s_lshl_b64 s[4:5], s[22:23], 3
	s_add_u32 s4, s6, s4
	s_addc_u32 s5, s7, s5
	v_mov_b32_e32 v43, 0
	v_lshl_add_u64 v[14:15], v[42:43], 3, s[4:5]
	global_store_dwordx2 v[14:15], v[6:7], off
.LBB1108_406:
	s_or_b64 exec, exec, s[0:1]
	v_cmp_gt_u32_e32 vcc, s2, v40
	s_or_b64 s[4:5], s[34:35], vcc
	s_and_saveexec_b64 s[0:1], s[4:5]
	s_cbranch_execz .LBB1108_409
; %bb.407:
	v_and_b32_e32 v14, 1, v32
	v_cmp_eq_u32_e32 vcc, 1, v14
	s_and_b64 exec, exec, vcc
	s_cbranch_execz .LBB1108_409
; %bb.408:
	s_lshl_b64 s[4:5], s[22:23], 3
	s_add_u32 s4, s6, s4
	s_addc_u32 s5, s7, s5
	v_mov_b32_e32 v41, 0
	v_lshl_add_u64 v[14:15], v[40:41], 3, s[4:5]
	global_store_dwordx2 v[14:15], v[8:9], off
.LBB1108_409:
	s_or_b64 exec, exec, s[0:1]
	v_cmp_gt_u32_e32 vcc, s2, v38
	s_or_b64 s[4:5], s[34:35], vcc
	s_and_saveexec_b64 s[0:1], s[4:5]
	s_cbranch_execz .LBB1108_412
; %bb.410:
	v_and_b32_e32 v14, 1, v31
	v_cmp_eq_u32_e32 vcc, 1, v14
	s_and_b64 exec, exec, vcc
	s_cbranch_execz .LBB1108_412
; %bb.411:
	s_lshl_b64 s[4:5], s[22:23], 3
	s_add_u32 s4, s6, s4
	s_addc_u32 s5, s7, s5
	v_mov_b32_e32 v39, 0
	v_lshl_add_u64 v[14:15], v[38:39], 3, s[4:5]
	global_store_dwordx2 v[14:15], v[2:3], off
.LBB1108_412:
	;; [unrolled: 18-line block ×3, first 2 shown]
	s_or_b64 exec, exec, s[0:1]
	v_cmp_gt_u32_e32 vcc, s2, v34
	s_or_b64 s[2:3], s[34:35], vcc
	s_and_saveexec_b64 s[0:1], s[2:3]
	s_cbranch_execz .LBB1108_418
; %bb.416:
	v_mov_b32_e32 v14, 1
	v_and_b32_sdwa v14, v14, v31 dst_sel:DWORD dst_unused:UNUSED_PAD src0_sel:DWORD src1_sel:WORD_1
	v_cmp_eq_u32_e32 vcc, 1, v14
	s_and_b64 exec, exec, vcc
	s_cbranch_execz .LBB1108_418
; %bb.417:
	s_lshl_b64 s[2:3], s[22:23], 3
	s_add_u32 s2, s6, s2
	s_addc_u32 s3, s7, s3
	v_mov_b32_e32 v35, 0
	v_lshl_add_u64 v[14:15], v[34:35], 3, s[2:3]
	global_store_dwordx2 v[14:15], v[26:27], off
.LBB1108_418:
	s_or_b64 exec, exec, s[0:1]
	s_branch .LBB1108_395
.LBB1108_419:
	v_cmp_eq_u32_e32 vcc, 1, v48
	s_and_saveexec_b64 s[0:1], vcc
	s_cbranch_execz .LBB1108_421
; %bb.420:
	v_subrev_u32_e32 v14, s16, v46
	v_lshlrev_b32_e32 v14, 3, v14
	ds_write_b64 v14, v[10:11]
.LBB1108_421:
	s_or_b64 exec, exec, s[0:1]
	v_and_b32_e32 v10, 1, v33
	v_cmp_eq_u32_e32 vcc, 1, v10
	s_and_saveexec_b64 s[0:1], vcc
	s_cbranch_execz .LBB1108_423
; %bb.422:
	v_subrev_u32_e32 v10, s16, v44
	v_lshlrev_b32_e32 v10, 3, v10
	ds_write_b64 v10, v[12:13]
.LBB1108_423:
	s_or_b64 exec, exec, s[0:1]
	v_mov_b32_e32 v10, 1
	v_and_b32_sdwa v10, v10, v30 dst_sel:DWORD dst_unused:UNUSED_PAD src0_sel:DWORD src1_sel:WORD_1
	v_cmp_eq_u32_e32 vcc, 1, v10
	s_and_saveexec_b64 s[0:1], vcc
	s_cbranch_execz .LBB1108_425
; %bb.424:
	v_subrev_u32_e32 v10, s16, v42
	v_lshlrev_b32_e32 v10, 3, v10
	ds_write_b64 v10, v[6:7]
.LBB1108_425:
	s_or_b64 exec, exec, s[0:1]
	v_and_b32_e32 v6, 1, v32
	v_cmp_eq_u32_e32 vcc, 1, v6
	s_and_saveexec_b64 s[0:1], vcc
	s_cbranch_execz .LBB1108_427
; %bb.426:
	v_subrev_u32_e32 v6, s16, v40
	v_lshlrev_b32_e32 v6, 3, v6
	ds_write_b64 v6, v[8:9]
.LBB1108_427:
	s_or_b64 exec, exec, s[0:1]
	v_and_b32_e32 v6, 1, v31
	v_cmp_eq_u32_e32 vcc, 1, v6
	s_and_saveexec_b64 s[0:1], vcc
	s_cbranch_execz .LBB1108_429
; %bb.428:
	v_subrev_u32_e32 v6, s16, v38
	v_lshlrev_b32_e32 v6, 3, v6
	ds_write_b64 v6, v[2:3]
.LBB1108_429:
	s_or_b64 exec, exec, s[0:1]
	v_and_b32_e32 v1, 1, v1
	v_cmp_eq_u32_e32 vcc, 1, v1
	s_and_saveexec_b64 s[0:1], vcc
	s_cbranch_execz .LBB1108_431
; %bb.430:
	v_subrev_u32_e32 v1, s16, v36
	v_lshlrev_b32_e32 v1, 3, v1
	ds_write_b64 v1, v[4:5]
.LBB1108_431:
	s_or_b64 exec, exec, s[0:1]
	v_mov_b32_e32 v1, 1
	v_and_b32_sdwa v1, v1, v31 dst_sel:DWORD dst_unused:UNUSED_PAD src0_sel:DWORD src1_sel:WORD_1
	v_cmp_eq_u32_e32 vcc, 1, v1
	s_and_saveexec_b64 s[0:1], vcc
	s_cbranch_execz .LBB1108_433
; %bb.432:
	v_subrev_u32_e32 v1, s16, v34
	v_lshlrev_b32_e32 v1, 3, v1
	ds_write_b64 v1, v[26:27]
.LBB1108_433:
	s_or_b64 exec, exec, s[0:1]
	v_cmp_gt_u32_e32 vcc, s26, v0
	s_waitcnt lgkmcnt(0)
	s_barrier
	s_and_saveexec_b64 s[0:1], vcc
	s_cbranch_execz .LBB1108_436
; %bb.434:
	s_mov_b32 s17, 0
	s_lshl_b64 s[2:3], s[22:23], 3
	s_lshl_b64 s[4:5], s[16:17], 3
	s_add_u32 s2, s2, s4
	s_addc_u32 s3, s3, s5
	s_add_u32 s2, s6, s2
	v_lshlrev_b32_e32 v2, 3, v0
	v_mov_b32_e32 v3, 0
	s_addc_u32 s3, s7, s3
	v_lshl_add_u64 v[4:5], s[2:3], 0, v[2:3]
	s_mov_b64 s[2:3], 0
	s_mov_b64 s[4:5], 0x1000
	v_mov_b32_e32 v1, v0
.LBB1108_435:                           ; =>This Inner Loop Header: Depth=1
	ds_read_b64 v[6:7], v2
	v_add_u32_e32 v1, 0x200, v1
	v_cmp_le_u32_e32 vcc, s26, v1
	v_add_u32_e32 v2, 0x1000, v2
	s_or_b64 s[2:3], vcc, s[2:3]
	s_waitcnt lgkmcnt(0)
	global_store_dwordx2 v[4:5], v[6:7], off
	v_lshl_add_u64 v[4:5], v[4:5], 0, s[4:5]
	s_andn2_b64 exec, exec, s[2:3]
	s_cbranch_execnz .LBB1108_435
.LBB1108_436:
	s_or_b64 exec, exec, s[0:1]
	v_cmp_eq_u32_e32 vcc, 0, v0
	s_and_b64 s[0:1], vcc, s[24:25]
	s_and_saveexec_b64 s[2:3], s[0:1]
	s_cbranch_execz .LBB1108_396
.LBB1108_437:
	s_add_u32 s0, s22, s26
	s_addc_u32 s1, s23, 0
	s_add_u32 s0, s0, s16
	s_addc_u32 s1, s1, 0
	v_mov_b32_e32 v2, 0
	v_mov_b64_e32 v[0:1], s[0:1]
	global_store_dwordx2 v2, v[0:1], s[20:21]
	s_endpgm
	.section	.rodata,"a",@progbits
	.p2align	6, 0x0
	.amdhsa_kernel _ZN7rocprim17ROCPRIM_400000_NS6detail17trampoline_kernelINS0_14default_configENS1_25partition_config_selectorILNS1_17partition_subalgoE9EllbEEZZNS1_14partition_implILS5_9ELb0ES3_jPlS8_PNS0_10empty_typeENS0_5tupleIJS8_S9_EEENSB_IJS8_SA_EEENS0_18inequality_wrapperIZN2at6native12_GLOBAL__N_124unique_dim_cuda_templateIbEESt5tupleIJNSF_6TensorESK_SK_EERKSK_lbbbEUlllE0_EEPmJS9_EEE10hipError_tPvRmT3_T4_T5_T6_T7_T9_mT8_P12ihipStream_tbDpT10_ENKUlT_T0_E_clISt17integral_constantIbLb1EES19_IbLb0EEEEDaS15_S16_EUlS15_E_NS1_11comp_targetILNS1_3genE5ELNS1_11target_archE942ELNS1_3gpuE9ELNS1_3repE0EEENS1_30default_config_static_selectorELNS0_4arch9wavefront6targetE1EEEvT1_
		.amdhsa_group_segment_fixed_size 28684
		.amdhsa_private_segment_fixed_size 0
		.amdhsa_kernarg_size 120
		.amdhsa_user_sgpr_count 2
		.amdhsa_user_sgpr_dispatch_ptr 0
		.amdhsa_user_sgpr_queue_ptr 0
		.amdhsa_user_sgpr_kernarg_segment_ptr 1
		.amdhsa_user_sgpr_dispatch_id 0
		.amdhsa_user_sgpr_kernarg_preload_length 0
		.amdhsa_user_sgpr_kernarg_preload_offset 0
		.amdhsa_user_sgpr_private_segment_size 0
		.amdhsa_uses_dynamic_stack 0
		.amdhsa_enable_private_segment 0
		.amdhsa_system_sgpr_workgroup_id_x 1
		.amdhsa_system_sgpr_workgroup_id_y 0
		.amdhsa_system_sgpr_workgroup_id_z 0
		.amdhsa_system_sgpr_workgroup_info 0
		.amdhsa_system_vgpr_workitem_id 0
		.amdhsa_next_free_vgpr 66
		.amdhsa_next_free_sgpr 52
		.amdhsa_accum_offset 68
		.amdhsa_reserve_vcc 1
		.amdhsa_float_round_mode_32 0
		.amdhsa_float_round_mode_16_64 0
		.amdhsa_float_denorm_mode_32 3
		.amdhsa_float_denorm_mode_16_64 3
		.amdhsa_dx10_clamp 1
		.amdhsa_ieee_mode 1
		.amdhsa_fp16_overflow 0
		.amdhsa_tg_split 0
		.amdhsa_exception_fp_ieee_invalid_op 0
		.amdhsa_exception_fp_denorm_src 0
		.amdhsa_exception_fp_ieee_div_zero 0
		.amdhsa_exception_fp_ieee_overflow 0
		.amdhsa_exception_fp_ieee_underflow 0
		.amdhsa_exception_fp_ieee_inexact 0
		.amdhsa_exception_int_div_zero 0
	.end_amdhsa_kernel
	.section	.text._ZN7rocprim17ROCPRIM_400000_NS6detail17trampoline_kernelINS0_14default_configENS1_25partition_config_selectorILNS1_17partition_subalgoE9EllbEEZZNS1_14partition_implILS5_9ELb0ES3_jPlS8_PNS0_10empty_typeENS0_5tupleIJS8_S9_EEENSB_IJS8_SA_EEENS0_18inequality_wrapperIZN2at6native12_GLOBAL__N_124unique_dim_cuda_templateIbEESt5tupleIJNSF_6TensorESK_SK_EERKSK_lbbbEUlllE0_EEPmJS9_EEE10hipError_tPvRmT3_T4_T5_T6_T7_T9_mT8_P12ihipStream_tbDpT10_ENKUlT_T0_E_clISt17integral_constantIbLb1EES19_IbLb0EEEEDaS15_S16_EUlS15_E_NS1_11comp_targetILNS1_3genE5ELNS1_11target_archE942ELNS1_3gpuE9ELNS1_3repE0EEENS1_30default_config_static_selectorELNS0_4arch9wavefront6targetE1EEEvT1_,"axG",@progbits,_ZN7rocprim17ROCPRIM_400000_NS6detail17trampoline_kernelINS0_14default_configENS1_25partition_config_selectorILNS1_17partition_subalgoE9EllbEEZZNS1_14partition_implILS5_9ELb0ES3_jPlS8_PNS0_10empty_typeENS0_5tupleIJS8_S9_EEENSB_IJS8_SA_EEENS0_18inequality_wrapperIZN2at6native12_GLOBAL__N_124unique_dim_cuda_templateIbEESt5tupleIJNSF_6TensorESK_SK_EERKSK_lbbbEUlllE0_EEPmJS9_EEE10hipError_tPvRmT3_T4_T5_T6_T7_T9_mT8_P12ihipStream_tbDpT10_ENKUlT_T0_E_clISt17integral_constantIbLb1EES19_IbLb0EEEEDaS15_S16_EUlS15_E_NS1_11comp_targetILNS1_3genE5ELNS1_11target_archE942ELNS1_3gpuE9ELNS1_3repE0EEENS1_30default_config_static_selectorELNS0_4arch9wavefront6targetE1EEEvT1_,comdat
.Lfunc_end1108:
	.size	_ZN7rocprim17ROCPRIM_400000_NS6detail17trampoline_kernelINS0_14default_configENS1_25partition_config_selectorILNS1_17partition_subalgoE9EllbEEZZNS1_14partition_implILS5_9ELb0ES3_jPlS8_PNS0_10empty_typeENS0_5tupleIJS8_S9_EEENSB_IJS8_SA_EEENS0_18inequality_wrapperIZN2at6native12_GLOBAL__N_124unique_dim_cuda_templateIbEESt5tupleIJNSF_6TensorESK_SK_EERKSK_lbbbEUlllE0_EEPmJS9_EEE10hipError_tPvRmT3_T4_T5_T6_T7_T9_mT8_P12ihipStream_tbDpT10_ENKUlT_T0_E_clISt17integral_constantIbLb1EES19_IbLb0EEEEDaS15_S16_EUlS15_E_NS1_11comp_targetILNS1_3genE5ELNS1_11target_archE942ELNS1_3gpuE9ELNS1_3repE0EEENS1_30default_config_static_selectorELNS0_4arch9wavefront6targetE1EEEvT1_, .Lfunc_end1108-_ZN7rocprim17ROCPRIM_400000_NS6detail17trampoline_kernelINS0_14default_configENS1_25partition_config_selectorILNS1_17partition_subalgoE9EllbEEZZNS1_14partition_implILS5_9ELb0ES3_jPlS8_PNS0_10empty_typeENS0_5tupleIJS8_S9_EEENSB_IJS8_SA_EEENS0_18inequality_wrapperIZN2at6native12_GLOBAL__N_124unique_dim_cuda_templateIbEESt5tupleIJNSF_6TensorESK_SK_EERKSK_lbbbEUlllE0_EEPmJS9_EEE10hipError_tPvRmT3_T4_T5_T6_T7_T9_mT8_P12ihipStream_tbDpT10_ENKUlT_T0_E_clISt17integral_constantIbLb1EES19_IbLb0EEEEDaS15_S16_EUlS15_E_NS1_11comp_targetILNS1_3genE5ELNS1_11target_archE942ELNS1_3gpuE9ELNS1_3repE0EEENS1_30default_config_static_selectorELNS0_4arch9wavefront6targetE1EEEvT1_
                                        ; -- End function
	.section	.AMDGPU.csdata,"",@progbits
; Kernel info:
; codeLenInByte = 15556
; NumSgprs: 58
; NumVgprs: 66
; NumAgprs: 0
; TotalNumVgprs: 66
; ScratchSize: 0
; MemoryBound: 0
; FloatMode: 240
; IeeeMode: 1
; LDSByteSize: 28684 bytes/workgroup (compile time only)
; SGPRBlocks: 7
; VGPRBlocks: 8
; NumSGPRsForWavesPerEU: 58
; NumVGPRsForWavesPerEU: 66
; AccumOffset: 68
; Occupancy: 4
; WaveLimiterHint : 1
; COMPUTE_PGM_RSRC2:SCRATCH_EN: 0
; COMPUTE_PGM_RSRC2:USER_SGPR: 2
; COMPUTE_PGM_RSRC2:TRAP_HANDLER: 0
; COMPUTE_PGM_RSRC2:TGID_X_EN: 1
; COMPUTE_PGM_RSRC2:TGID_Y_EN: 0
; COMPUTE_PGM_RSRC2:TGID_Z_EN: 0
; COMPUTE_PGM_RSRC2:TIDIG_COMP_CNT: 0
; COMPUTE_PGM_RSRC3_GFX90A:ACCUM_OFFSET: 16
; COMPUTE_PGM_RSRC3_GFX90A:TG_SPLIT: 0
	.section	.text._ZN7rocprim17ROCPRIM_400000_NS6detail17trampoline_kernelINS0_14default_configENS1_25partition_config_selectorILNS1_17partition_subalgoE9EllbEEZZNS1_14partition_implILS5_9ELb0ES3_jPlS8_PNS0_10empty_typeENS0_5tupleIJS8_S9_EEENSB_IJS8_SA_EEENS0_18inequality_wrapperIZN2at6native12_GLOBAL__N_124unique_dim_cuda_templateIbEESt5tupleIJNSF_6TensorESK_SK_EERKSK_lbbbEUlllE0_EEPmJS9_EEE10hipError_tPvRmT3_T4_T5_T6_T7_T9_mT8_P12ihipStream_tbDpT10_ENKUlT_T0_E_clISt17integral_constantIbLb1EES19_IbLb0EEEEDaS15_S16_EUlS15_E_NS1_11comp_targetILNS1_3genE4ELNS1_11target_archE910ELNS1_3gpuE8ELNS1_3repE0EEENS1_30default_config_static_selectorELNS0_4arch9wavefront6targetE1EEEvT1_,"axG",@progbits,_ZN7rocprim17ROCPRIM_400000_NS6detail17trampoline_kernelINS0_14default_configENS1_25partition_config_selectorILNS1_17partition_subalgoE9EllbEEZZNS1_14partition_implILS5_9ELb0ES3_jPlS8_PNS0_10empty_typeENS0_5tupleIJS8_S9_EEENSB_IJS8_SA_EEENS0_18inequality_wrapperIZN2at6native12_GLOBAL__N_124unique_dim_cuda_templateIbEESt5tupleIJNSF_6TensorESK_SK_EERKSK_lbbbEUlllE0_EEPmJS9_EEE10hipError_tPvRmT3_T4_T5_T6_T7_T9_mT8_P12ihipStream_tbDpT10_ENKUlT_T0_E_clISt17integral_constantIbLb1EES19_IbLb0EEEEDaS15_S16_EUlS15_E_NS1_11comp_targetILNS1_3genE4ELNS1_11target_archE910ELNS1_3gpuE8ELNS1_3repE0EEENS1_30default_config_static_selectorELNS0_4arch9wavefront6targetE1EEEvT1_,comdat
	.globl	_ZN7rocprim17ROCPRIM_400000_NS6detail17trampoline_kernelINS0_14default_configENS1_25partition_config_selectorILNS1_17partition_subalgoE9EllbEEZZNS1_14partition_implILS5_9ELb0ES3_jPlS8_PNS0_10empty_typeENS0_5tupleIJS8_S9_EEENSB_IJS8_SA_EEENS0_18inequality_wrapperIZN2at6native12_GLOBAL__N_124unique_dim_cuda_templateIbEESt5tupleIJNSF_6TensorESK_SK_EERKSK_lbbbEUlllE0_EEPmJS9_EEE10hipError_tPvRmT3_T4_T5_T6_T7_T9_mT8_P12ihipStream_tbDpT10_ENKUlT_T0_E_clISt17integral_constantIbLb1EES19_IbLb0EEEEDaS15_S16_EUlS15_E_NS1_11comp_targetILNS1_3genE4ELNS1_11target_archE910ELNS1_3gpuE8ELNS1_3repE0EEENS1_30default_config_static_selectorELNS0_4arch9wavefront6targetE1EEEvT1_ ; -- Begin function _ZN7rocprim17ROCPRIM_400000_NS6detail17trampoline_kernelINS0_14default_configENS1_25partition_config_selectorILNS1_17partition_subalgoE9EllbEEZZNS1_14partition_implILS5_9ELb0ES3_jPlS8_PNS0_10empty_typeENS0_5tupleIJS8_S9_EEENSB_IJS8_SA_EEENS0_18inequality_wrapperIZN2at6native12_GLOBAL__N_124unique_dim_cuda_templateIbEESt5tupleIJNSF_6TensorESK_SK_EERKSK_lbbbEUlllE0_EEPmJS9_EEE10hipError_tPvRmT3_T4_T5_T6_T7_T9_mT8_P12ihipStream_tbDpT10_ENKUlT_T0_E_clISt17integral_constantIbLb1EES19_IbLb0EEEEDaS15_S16_EUlS15_E_NS1_11comp_targetILNS1_3genE4ELNS1_11target_archE910ELNS1_3gpuE8ELNS1_3repE0EEENS1_30default_config_static_selectorELNS0_4arch9wavefront6targetE1EEEvT1_
	.p2align	8
	.type	_ZN7rocprim17ROCPRIM_400000_NS6detail17trampoline_kernelINS0_14default_configENS1_25partition_config_selectorILNS1_17partition_subalgoE9EllbEEZZNS1_14partition_implILS5_9ELb0ES3_jPlS8_PNS0_10empty_typeENS0_5tupleIJS8_S9_EEENSB_IJS8_SA_EEENS0_18inequality_wrapperIZN2at6native12_GLOBAL__N_124unique_dim_cuda_templateIbEESt5tupleIJNSF_6TensorESK_SK_EERKSK_lbbbEUlllE0_EEPmJS9_EEE10hipError_tPvRmT3_T4_T5_T6_T7_T9_mT8_P12ihipStream_tbDpT10_ENKUlT_T0_E_clISt17integral_constantIbLb1EES19_IbLb0EEEEDaS15_S16_EUlS15_E_NS1_11comp_targetILNS1_3genE4ELNS1_11target_archE910ELNS1_3gpuE8ELNS1_3repE0EEENS1_30default_config_static_selectorELNS0_4arch9wavefront6targetE1EEEvT1_,@function
_ZN7rocprim17ROCPRIM_400000_NS6detail17trampoline_kernelINS0_14default_configENS1_25partition_config_selectorILNS1_17partition_subalgoE9EllbEEZZNS1_14partition_implILS5_9ELb0ES3_jPlS8_PNS0_10empty_typeENS0_5tupleIJS8_S9_EEENSB_IJS8_SA_EEENS0_18inequality_wrapperIZN2at6native12_GLOBAL__N_124unique_dim_cuda_templateIbEESt5tupleIJNSF_6TensorESK_SK_EERKSK_lbbbEUlllE0_EEPmJS9_EEE10hipError_tPvRmT3_T4_T5_T6_T7_T9_mT8_P12ihipStream_tbDpT10_ENKUlT_T0_E_clISt17integral_constantIbLb1EES19_IbLb0EEEEDaS15_S16_EUlS15_E_NS1_11comp_targetILNS1_3genE4ELNS1_11target_archE910ELNS1_3gpuE8ELNS1_3repE0EEENS1_30default_config_static_selectorELNS0_4arch9wavefront6targetE1EEEvT1_: ; @_ZN7rocprim17ROCPRIM_400000_NS6detail17trampoline_kernelINS0_14default_configENS1_25partition_config_selectorILNS1_17partition_subalgoE9EllbEEZZNS1_14partition_implILS5_9ELb0ES3_jPlS8_PNS0_10empty_typeENS0_5tupleIJS8_S9_EEENSB_IJS8_SA_EEENS0_18inequality_wrapperIZN2at6native12_GLOBAL__N_124unique_dim_cuda_templateIbEESt5tupleIJNSF_6TensorESK_SK_EERKSK_lbbbEUlllE0_EEPmJS9_EEE10hipError_tPvRmT3_T4_T5_T6_T7_T9_mT8_P12ihipStream_tbDpT10_ENKUlT_T0_E_clISt17integral_constantIbLb1EES19_IbLb0EEEEDaS15_S16_EUlS15_E_NS1_11comp_targetILNS1_3genE4ELNS1_11target_archE910ELNS1_3gpuE8ELNS1_3repE0EEENS1_30default_config_static_selectorELNS0_4arch9wavefront6targetE1EEEvT1_
; %bb.0:
	.section	.rodata,"a",@progbits
	.p2align	6, 0x0
	.amdhsa_kernel _ZN7rocprim17ROCPRIM_400000_NS6detail17trampoline_kernelINS0_14default_configENS1_25partition_config_selectorILNS1_17partition_subalgoE9EllbEEZZNS1_14partition_implILS5_9ELb0ES3_jPlS8_PNS0_10empty_typeENS0_5tupleIJS8_S9_EEENSB_IJS8_SA_EEENS0_18inequality_wrapperIZN2at6native12_GLOBAL__N_124unique_dim_cuda_templateIbEESt5tupleIJNSF_6TensorESK_SK_EERKSK_lbbbEUlllE0_EEPmJS9_EEE10hipError_tPvRmT3_T4_T5_T6_T7_T9_mT8_P12ihipStream_tbDpT10_ENKUlT_T0_E_clISt17integral_constantIbLb1EES19_IbLb0EEEEDaS15_S16_EUlS15_E_NS1_11comp_targetILNS1_3genE4ELNS1_11target_archE910ELNS1_3gpuE8ELNS1_3repE0EEENS1_30default_config_static_selectorELNS0_4arch9wavefront6targetE1EEEvT1_
		.amdhsa_group_segment_fixed_size 0
		.amdhsa_private_segment_fixed_size 0
		.amdhsa_kernarg_size 120
		.amdhsa_user_sgpr_count 2
		.amdhsa_user_sgpr_dispatch_ptr 0
		.amdhsa_user_sgpr_queue_ptr 0
		.amdhsa_user_sgpr_kernarg_segment_ptr 1
		.amdhsa_user_sgpr_dispatch_id 0
		.amdhsa_user_sgpr_kernarg_preload_length 0
		.amdhsa_user_sgpr_kernarg_preload_offset 0
		.amdhsa_user_sgpr_private_segment_size 0
		.amdhsa_uses_dynamic_stack 0
		.amdhsa_enable_private_segment 0
		.amdhsa_system_sgpr_workgroup_id_x 1
		.amdhsa_system_sgpr_workgroup_id_y 0
		.amdhsa_system_sgpr_workgroup_id_z 0
		.amdhsa_system_sgpr_workgroup_info 0
		.amdhsa_system_vgpr_workitem_id 0
		.amdhsa_next_free_vgpr 1
		.amdhsa_next_free_sgpr 0
		.amdhsa_accum_offset 4
		.amdhsa_reserve_vcc 0
		.amdhsa_float_round_mode_32 0
		.amdhsa_float_round_mode_16_64 0
		.amdhsa_float_denorm_mode_32 3
		.amdhsa_float_denorm_mode_16_64 3
		.amdhsa_dx10_clamp 1
		.amdhsa_ieee_mode 1
		.amdhsa_fp16_overflow 0
		.amdhsa_tg_split 0
		.amdhsa_exception_fp_ieee_invalid_op 0
		.amdhsa_exception_fp_denorm_src 0
		.amdhsa_exception_fp_ieee_div_zero 0
		.amdhsa_exception_fp_ieee_overflow 0
		.amdhsa_exception_fp_ieee_underflow 0
		.amdhsa_exception_fp_ieee_inexact 0
		.amdhsa_exception_int_div_zero 0
	.end_amdhsa_kernel
	.section	.text._ZN7rocprim17ROCPRIM_400000_NS6detail17trampoline_kernelINS0_14default_configENS1_25partition_config_selectorILNS1_17partition_subalgoE9EllbEEZZNS1_14partition_implILS5_9ELb0ES3_jPlS8_PNS0_10empty_typeENS0_5tupleIJS8_S9_EEENSB_IJS8_SA_EEENS0_18inequality_wrapperIZN2at6native12_GLOBAL__N_124unique_dim_cuda_templateIbEESt5tupleIJNSF_6TensorESK_SK_EERKSK_lbbbEUlllE0_EEPmJS9_EEE10hipError_tPvRmT3_T4_T5_T6_T7_T9_mT8_P12ihipStream_tbDpT10_ENKUlT_T0_E_clISt17integral_constantIbLb1EES19_IbLb0EEEEDaS15_S16_EUlS15_E_NS1_11comp_targetILNS1_3genE4ELNS1_11target_archE910ELNS1_3gpuE8ELNS1_3repE0EEENS1_30default_config_static_selectorELNS0_4arch9wavefront6targetE1EEEvT1_,"axG",@progbits,_ZN7rocprim17ROCPRIM_400000_NS6detail17trampoline_kernelINS0_14default_configENS1_25partition_config_selectorILNS1_17partition_subalgoE9EllbEEZZNS1_14partition_implILS5_9ELb0ES3_jPlS8_PNS0_10empty_typeENS0_5tupleIJS8_S9_EEENSB_IJS8_SA_EEENS0_18inequality_wrapperIZN2at6native12_GLOBAL__N_124unique_dim_cuda_templateIbEESt5tupleIJNSF_6TensorESK_SK_EERKSK_lbbbEUlllE0_EEPmJS9_EEE10hipError_tPvRmT3_T4_T5_T6_T7_T9_mT8_P12ihipStream_tbDpT10_ENKUlT_T0_E_clISt17integral_constantIbLb1EES19_IbLb0EEEEDaS15_S16_EUlS15_E_NS1_11comp_targetILNS1_3genE4ELNS1_11target_archE910ELNS1_3gpuE8ELNS1_3repE0EEENS1_30default_config_static_selectorELNS0_4arch9wavefront6targetE1EEEvT1_,comdat
.Lfunc_end1109:
	.size	_ZN7rocprim17ROCPRIM_400000_NS6detail17trampoline_kernelINS0_14default_configENS1_25partition_config_selectorILNS1_17partition_subalgoE9EllbEEZZNS1_14partition_implILS5_9ELb0ES3_jPlS8_PNS0_10empty_typeENS0_5tupleIJS8_S9_EEENSB_IJS8_SA_EEENS0_18inequality_wrapperIZN2at6native12_GLOBAL__N_124unique_dim_cuda_templateIbEESt5tupleIJNSF_6TensorESK_SK_EERKSK_lbbbEUlllE0_EEPmJS9_EEE10hipError_tPvRmT3_T4_T5_T6_T7_T9_mT8_P12ihipStream_tbDpT10_ENKUlT_T0_E_clISt17integral_constantIbLb1EES19_IbLb0EEEEDaS15_S16_EUlS15_E_NS1_11comp_targetILNS1_3genE4ELNS1_11target_archE910ELNS1_3gpuE8ELNS1_3repE0EEENS1_30default_config_static_selectorELNS0_4arch9wavefront6targetE1EEEvT1_, .Lfunc_end1109-_ZN7rocprim17ROCPRIM_400000_NS6detail17trampoline_kernelINS0_14default_configENS1_25partition_config_selectorILNS1_17partition_subalgoE9EllbEEZZNS1_14partition_implILS5_9ELb0ES3_jPlS8_PNS0_10empty_typeENS0_5tupleIJS8_S9_EEENSB_IJS8_SA_EEENS0_18inequality_wrapperIZN2at6native12_GLOBAL__N_124unique_dim_cuda_templateIbEESt5tupleIJNSF_6TensorESK_SK_EERKSK_lbbbEUlllE0_EEPmJS9_EEE10hipError_tPvRmT3_T4_T5_T6_T7_T9_mT8_P12ihipStream_tbDpT10_ENKUlT_T0_E_clISt17integral_constantIbLb1EES19_IbLb0EEEEDaS15_S16_EUlS15_E_NS1_11comp_targetILNS1_3genE4ELNS1_11target_archE910ELNS1_3gpuE8ELNS1_3repE0EEENS1_30default_config_static_selectorELNS0_4arch9wavefront6targetE1EEEvT1_
                                        ; -- End function
	.section	.AMDGPU.csdata,"",@progbits
; Kernel info:
; codeLenInByte = 0
; NumSgprs: 6
; NumVgprs: 0
; NumAgprs: 0
; TotalNumVgprs: 0
; ScratchSize: 0
; MemoryBound: 0
; FloatMode: 240
; IeeeMode: 1
; LDSByteSize: 0 bytes/workgroup (compile time only)
; SGPRBlocks: 0
; VGPRBlocks: 0
; NumSGPRsForWavesPerEU: 6
; NumVGPRsForWavesPerEU: 1
; AccumOffset: 4
; Occupancy: 8
; WaveLimiterHint : 0
; COMPUTE_PGM_RSRC2:SCRATCH_EN: 0
; COMPUTE_PGM_RSRC2:USER_SGPR: 2
; COMPUTE_PGM_RSRC2:TRAP_HANDLER: 0
; COMPUTE_PGM_RSRC2:TGID_X_EN: 1
; COMPUTE_PGM_RSRC2:TGID_Y_EN: 0
; COMPUTE_PGM_RSRC2:TGID_Z_EN: 0
; COMPUTE_PGM_RSRC2:TIDIG_COMP_CNT: 0
; COMPUTE_PGM_RSRC3_GFX90A:ACCUM_OFFSET: 0
; COMPUTE_PGM_RSRC3_GFX90A:TG_SPLIT: 0
	.section	.text._ZN7rocprim17ROCPRIM_400000_NS6detail17trampoline_kernelINS0_14default_configENS1_25partition_config_selectorILNS1_17partition_subalgoE9EllbEEZZNS1_14partition_implILS5_9ELb0ES3_jPlS8_PNS0_10empty_typeENS0_5tupleIJS8_S9_EEENSB_IJS8_SA_EEENS0_18inequality_wrapperIZN2at6native12_GLOBAL__N_124unique_dim_cuda_templateIbEESt5tupleIJNSF_6TensorESK_SK_EERKSK_lbbbEUlllE0_EEPmJS9_EEE10hipError_tPvRmT3_T4_T5_T6_T7_T9_mT8_P12ihipStream_tbDpT10_ENKUlT_T0_E_clISt17integral_constantIbLb1EES19_IbLb0EEEEDaS15_S16_EUlS15_E_NS1_11comp_targetILNS1_3genE3ELNS1_11target_archE908ELNS1_3gpuE7ELNS1_3repE0EEENS1_30default_config_static_selectorELNS0_4arch9wavefront6targetE1EEEvT1_,"axG",@progbits,_ZN7rocprim17ROCPRIM_400000_NS6detail17trampoline_kernelINS0_14default_configENS1_25partition_config_selectorILNS1_17partition_subalgoE9EllbEEZZNS1_14partition_implILS5_9ELb0ES3_jPlS8_PNS0_10empty_typeENS0_5tupleIJS8_S9_EEENSB_IJS8_SA_EEENS0_18inequality_wrapperIZN2at6native12_GLOBAL__N_124unique_dim_cuda_templateIbEESt5tupleIJNSF_6TensorESK_SK_EERKSK_lbbbEUlllE0_EEPmJS9_EEE10hipError_tPvRmT3_T4_T5_T6_T7_T9_mT8_P12ihipStream_tbDpT10_ENKUlT_T0_E_clISt17integral_constantIbLb1EES19_IbLb0EEEEDaS15_S16_EUlS15_E_NS1_11comp_targetILNS1_3genE3ELNS1_11target_archE908ELNS1_3gpuE7ELNS1_3repE0EEENS1_30default_config_static_selectorELNS0_4arch9wavefront6targetE1EEEvT1_,comdat
	.globl	_ZN7rocprim17ROCPRIM_400000_NS6detail17trampoline_kernelINS0_14default_configENS1_25partition_config_selectorILNS1_17partition_subalgoE9EllbEEZZNS1_14partition_implILS5_9ELb0ES3_jPlS8_PNS0_10empty_typeENS0_5tupleIJS8_S9_EEENSB_IJS8_SA_EEENS0_18inequality_wrapperIZN2at6native12_GLOBAL__N_124unique_dim_cuda_templateIbEESt5tupleIJNSF_6TensorESK_SK_EERKSK_lbbbEUlllE0_EEPmJS9_EEE10hipError_tPvRmT3_T4_T5_T6_T7_T9_mT8_P12ihipStream_tbDpT10_ENKUlT_T0_E_clISt17integral_constantIbLb1EES19_IbLb0EEEEDaS15_S16_EUlS15_E_NS1_11comp_targetILNS1_3genE3ELNS1_11target_archE908ELNS1_3gpuE7ELNS1_3repE0EEENS1_30default_config_static_selectorELNS0_4arch9wavefront6targetE1EEEvT1_ ; -- Begin function _ZN7rocprim17ROCPRIM_400000_NS6detail17trampoline_kernelINS0_14default_configENS1_25partition_config_selectorILNS1_17partition_subalgoE9EllbEEZZNS1_14partition_implILS5_9ELb0ES3_jPlS8_PNS0_10empty_typeENS0_5tupleIJS8_S9_EEENSB_IJS8_SA_EEENS0_18inequality_wrapperIZN2at6native12_GLOBAL__N_124unique_dim_cuda_templateIbEESt5tupleIJNSF_6TensorESK_SK_EERKSK_lbbbEUlllE0_EEPmJS9_EEE10hipError_tPvRmT3_T4_T5_T6_T7_T9_mT8_P12ihipStream_tbDpT10_ENKUlT_T0_E_clISt17integral_constantIbLb1EES19_IbLb0EEEEDaS15_S16_EUlS15_E_NS1_11comp_targetILNS1_3genE3ELNS1_11target_archE908ELNS1_3gpuE7ELNS1_3repE0EEENS1_30default_config_static_selectorELNS0_4arch9wavefront6targetE1EEEvT1_
	.p2align	8
	.type	_ZN7rocprim17ROCPRIM_400000_NS6detail17trampoline_kernelINS0_14default_configENS1_25partition_config_selectorILNS1_17partition_subalgoE9EllbEEZZNS1_14partition_implILS5_9ELb0ES3_jPlS8_PNS0_10empty_typeENS0_5tupleIJS8_S9_EEENSB_IJS8_SA_EEENS0_18inequality_wrapperIZN2at6native12_GLOBAL__N_124unique_dim_cuda_templateIbEESt5tupleIJNSF_6TensorESK_SK_EERKSK_lbbbEUlllE0_EEPmJS9_EEE10hipError_tPvRmT3_T4_T5_T6_T7_T9_mT8_P12ihipStream_tbDpT10_ENKUlT_T0_E_clISt17integral_constantIbLb1EES19_IbLb0EEEEDaS15_S16_EUlS15_E_NS1_11comp_targetILNS1_3genE3ELNS1_11target_archE908ELNS1_3gpuE7ELNS1_3repE0EEENS1_30default_config_static_selectorELNS0_4arch9wavefront6targetE1EEEvT1_,@function
_ZN7rocprim17ROCPRIM_400000_NS6detail17trampoline_kernelINS0_14default_configENS1_25partition_config_selectorILNS1_17partition_subalgoE9EllbEEZZNS1_14partition_implILS5_9ELb0ES3_jPlS8_PNS0_10empty_typeENS0_5tupleIJS8_S9_EEENSB_IJS8_SA_EEENS0_18inequality_wrapperIZN2at6native12_GLOBAL__N_124unique_dim_cuda_templateIbEESt5tupleIJNSF_6TensorESK_SK_EERKSK_lbbbEUlllE0_EEPmJS9_EEE10hipError_tPvRmT3_T4_T5_T6_T7_T9_mT8_P12ihipStream_tbDpT10_ENKUlT_T0_E_clISt17integral_constantIbLb1EES19_IbLb0EEEEDaS15_S16_EUlS15_E_NS1_11comp_targetILNS1_3genE3ELNS1_11target_archE908ELNS1_3gpuE7ELNS1_3repE0EEENS1_30default_config_static_selectorELNS0_4arch9wavefront6targetE1EEEvT1_: ; @_ZN7rocprim17ROCPRIM_400000_NS6detail17trampoline_kernelINS0_14default_configENS1_25partition_config_selectorILNS1_17partition_subalgoE9EllbEEZZNS1_14partition_implILS5_9ELb0ES3_jPlS8_PNS0_10empty_typeENS0_5tupleIJS8_S9_EEENSB_IJS8_SA_EEENS0_18inequality_wrapperIZN2at6native12_GLOBAL__N_124unique_dim_cuda_templateIbEESt5tupleIJNSF_6TensorESK_SK_EERKSK_lbbbEUlllE0_EEPmJS9_EEE10hipError_tPvRmT3_T4_T5_T6_T7_T9_mT8_P12ihipStream_tbDpT10_ENKUlT_T0_E_clISt17integral_constantIbLb1EES19_IbLb0EEEEDaS15_S16_EUlS15_E_NS1_11comp_targetILNS1_3genE3ELNS1_11target_archE908ELNS1_3gpuE7ELNS1_3repE0EEENS1_30default_config_static_selectorELNS0_4arch9wavefront6targetE1EEEvT1_
; %bb.0:
	.section	.rodata,"a",@progbits
	.p2align	6, 0x0
	.amdhsa_kernel _ZN7rocprim17ROCPRIM_400000_NS6detail17trampoline_kernelINS0_14default_configENS1_25partition_config_selectorILNS1_17partition_subalgoE9EllbEEZZNS1_14partition_implILS5_9ELb0ES3_jPlS8_PNS0_10empty_typeENS0_5tupleIJS8_S9_EEENSB_IJS8_SA_EEENS0_18inequality_wrapperIZN2at6native12_GLOBAL__N_124unique_dim_cuda_templateIbEESt5tupleIJNSF_6TensorESK_SK_EERKSK_lbbbEUlllE0_EEPmJS9_EEE10hipError_tPvRmT3_T4_T5_T6_T7_T9_mT8_P12ihipStream_tbDpT10_ENKUlT_T0_E_clISt17integral_constantIbLb1EES19_IbLb0EEEEDaS15_S16_EUlS15_E_NS1_11comp_targetILNS1_3genE3ELNS1_11target_archE908ELNS1_3gpuE7ELNS1_3repE0EEENS1_30default_config_static_selectorELNS0_4arch9wavefront6targetE1EEEvT1_
		.amdhsa_group_segment_fixed_size 0
		.amdhsa_private_segment_fixed_size 0
		.amdhsa_kernarg_size 120
		.amdhsa_user_sgpr_count 2
		.amdhsa_user_sgpr_dispatch_ptr 0
		.amdhsa_user_sgpr_queue_ptr 0
		.amdhsa_user_sgpr_kernarg_segment_ptr 1
		.amdhsa_user_sgpr_dispatch_id 0
		.amdhsa_user_sgpr_kernarg_preload_length 0
		.amdhsa_user_sgpr_kernarg_preload_offset 0
		.amdhsa_user_sgpr_private_segment_size 0
		.amdhsa_uses_dynamic_stack 0
		.amdhsa_enable_private_segment 0
		.amdhsa_system_sgpr_workgroup_id_x 1
		.amdhsa_system_sgpr_workgroup_id_y 0
		.amdhsa_system_sgpr_workgroup_id_z 0
		.amdhsa_system_sgpr_workgroup_info 0
		.amdhsa_system_vgpr_workitem_id 0
		.amdhsa_next_free_vgpr 1
		.amdhsa_next_free_sgpr 0
		.amdhsa_accum_offset 4
		.amdhsa_reserve_vcc 0
		.amdhsa_float_round_mode_32 0
		.amdhsa_float_round_mode_16_64 0
		.amdhsa_float_denorm_mode_32 3
		.amdhsa_float_denorm_mode_16_64 3
		.amdhsa_dx10_clamp 1
		.amdhsa_ieee_mode 1
		.amdhsa_fp16_overflow 0
		.amdhsa_tg_split 0
		.amdhsa_exception_fp_ieee_invalid_op 0
		.amdhsa_exception_fp_denorm_src 0
		.amdhsa_exception_fp_ieee_div_zero 0
		.amdhsa_exception_fp_ieee_overflow 0
		.amdhsa_exception_fp_ieee_underflow 0
		.amdhsa_exception_fp_ieee_inexact 0
		.amdhsa_exception_int_div_zero 0
	.end_amdhsa_kernel
	.section	.text._ZN7rocprim17ROCPRIM_400000_NS6detail17trampoline_kernelINS0_14default_configENS1_25partition_config_selectorILNS1_17partition_subalgoE9EllbEEZZNS1_14partition_implILS5_9ELb0ES3_jPlS8_PNS0_10empty_typeENS0_5tupleIJS8_S9_EEENSB_IJS8_SA_EEENS0_18inequality_wrapperIZN2at6native12_GLOBAL__N_124unique_dim_cuda_templateIbEESt5tupleIJNSF_6TensorESK_SK_EERKSK_lbbbEUlllE0_EEPmJS9_EEE10hipError_tPvRmT3_T4_T5_T6_T7_T9_mT8_P12ihipStream_tbDpT10_ENKUlT_T0_E_clISt17integral_constantIbLb1EES19_IbLb0EEEEDaS15_S16_EUlS15_E_NS1_11comp_targetILNS1_3genE3ELNS1_11target_archE908ELNS1_3gpuE7ELNS1_3repE0EEENS1_30default_config_static_selectorELNS0_4arch9wavefront6targetE1EEEvT1_,"axG",@progbits,_ZN7rocprim17ROCPRIM_400000_NS6detail17trampoline_kernelINS0_14default_configENS1_25partition_config_selectorILNS1_17partition_subalgoE9EllbEEZZNS1_14partition_implILS5_9ELb0ES3_jPlS8_PNS0_10empty_typeENS0_5tupleIJS8_S9_EEENSB_IJS8_SA_EEENS0_18inequality_wrapperIZN2at6native12_GLOBAL__N_124unique_dim_cuda_templateIbEESt5tupleIJNSF_6TensorESK_SK_EERKSK_lbbbEUlllE0_EEPmJS9_EEE10hipError_tPvRmT3_T4_T5_T6_T7_T9_mT8_P12ihipStream_tbDpT10_ENKUlT_T0_E_clISt17integral_constantIbLb1EES19_IbLb0EEEEDaS15_S16_EUlS15_E_NS1_11comp_targetILNS1_3genE3ELNS1_11target_archE908ELNS1_3gpuE7ELNS1_3repE0EEENS1_30default_config_static_selectorELNS0_4arch9wavefront6targetE1EEEvT1_,comdat
.Lfunc_end1110:
	.size	_ZN7rocprim17ROCPRIM_400000_NS6detail17trampoline_kernelINS0_14default_configENS1_25partition_config_selectorILNS1_17partition_subalgoE9EllbEEZZNS1_14partition_implILS5_9ELb0ES3_jPlS8_PNS0_10empty_typeENS0_5tupleIJS8_S9_EEENSB_IJS8_SA_EEENS0_18inequality_wrapperIZN2at6native12_GLOBAL__N_124unique_dim_cuda_templateIbEESt5tupleIJNSF_6TensorESK_SK_EERKSK_lbbbEUlllE0_EEPmJS9_EEE10hipError_tPvRmT3_T4_T5_T6_T7_T9_mT8_P12ihipStream_tbDpT10_ENKUlT_T0_E_clISt17integral_constantIbLb1EES19_IbLb0EEEEDaS15_S16_EUlS15_E_NS1_11comp_targetILNS1_3genE3ELNS1_11target_archE908ELNS1_3gpuE7ELNS1_3repE0EEENS1_30default_config_static_selectorELNS0_4arch9wavefront6targetE1EEEvT1_, .Lfunc_end1110-_ZN7rocprim17ROCPRIM_400000_NS6detail17trampoline_kernelINS0_14default_configENS1_25partition_config_selectorILNS1_17partition_subalgoE9EllbEEZZNS1_14partition_implILS5_9ELb0ES3_jPlS8_PNS0_10empty_typeENS0_5tupleIJS8_S9_EEENSB_IJS8_SA_EEENS0_18inequality_wrapperIZN2at6native12_GLOBAL__N_124unique_dim_cuda_templateIbEESt5tupleIJNSF_6TensorESK_SK_EERKSK_lbbbEUlllE0_EEPmJS9_EEE10hipError_tPvRmT3_T4_T5_T6_T7_T9_mT8_P12ihipStream_tbDpT10_ENKUlT_T0_E_clISt17integral_constantIbLb1EES19_IbLb0EEEEDaS15_S16_EUlS15_E_NS1_11comp_targetILNS1_3genE3ELNS1_11target_archE908ELNS1_3gpuE7ELNS1_3repE0EEENS1_30default_config_static_selectorELNS0_4arch9wavefront6targetE1EEEvT1_
                                        ; -- End function
	.section	.AMDGPU.csdata,"",@progbits
; Kernel info:
; codeLenInByte = 0
; NumSgprs: 6
; NumVgprs: 0
; NumAgprs: 0
; TotalNumVgprs: 0
; ScratchSize: 0
; MemoryBound: 0
; FloatMode: 240
; IeeeMode: 1
; LDSByteSize: 0 bytes/workgroup (compile time only)
; SGPRBlocks: 0
; VGPRBlocks: 0
; NumSGPRsForWavesPerEU: 6
; NumVGPRsForWavesPerEU: 1
; AccumOffset: 4
; Occupancy: 8
; WaveLimiterHint : 0
; COMPUTE_PGM_RSRC2:SCRATCH_EN: 0
; COMPUTE_PGM_RSRC2:USER_SGPR: 2
; COMPUTE_PGM_RSRC2:TRAP_HANDLER: 0
; COMPUTE_PGM_RSRC2:TGID_X_EN: 1
; COMPUTE_PGM_RSRC2:TGID_Y_EN: 0
; COMPUTE_PGM_RSRC2:TGID_Z_EN: 0
; COMPUTE_PGM_RSRC2:TIDIG_COMP_CNT: 0
; COMPUTE_PGM_RSRC3_GFX90A:ACCUM_OFFSET: 0
; COMPUTE_PGM_RSRC3_GFX90A:TG_SPLIT: 0
	.section	.text._ZN7rocprim17ROCPRIM_400000_NS6detail17trampoline_kernelINS0_14default_configENS1_25partition_config_selectorILNS1_17partition_subalgoE9EllbEEZZNS1_14partition_implILS5_9ELb0ES3_jPlS8_PNS0_10empty_typeENS0_5tupleIJS8_S9_EEENSB_IJS8_SA_EEENS0_18inequality_wrapperIZN2at6native12_GLOBAL__N_124unique_dim_cuda_templateIbEESt5tupleIJNSF_6TensorESK_SK_EERKSK_lbbbEUlllE0_EEPmJS9_EEE10hipError_tPvRmT3_T4_T5_T6_T7_T9_mT8_P12ihipStream_tbDpT10_ENKUlT_T0_E_clISt17integral_constantIbLb1EES19_IbLb0EEEEDaS15_S16_EUlS15_E_NS1_11comp_targetILNS1_3genE2ELNS1_11target_archE906ELNS1_3gpuE6ELNS1_3repE0EEENS1_30default_config_static_selectorELNS0_4arch9wavefront6targetE1EEEvT1_,"axG",@progbits,_ZN7rocprim17ROCPRIM_400000_NS6detail17trampoline_kernelINS0_14default_configENS1_25partition_config_selectorILNS1_17partition_subalgoE9EllbEEZZNS1_14partition_implILS5_9ELb0ES3_jPlS8_PNS0_10empty_typeENS0_5tupleIJS8_S9_EEENSB_IJS8_SA_EEENS0_18inequality_wrapperIZN2at6native12_GLOBAL__N_124unique_dim_cuda_templateIbEESt5tupleIJNSF_6TensorESK_SK_EERKSK_lbbbEUlllE0_EEPmJS9_EEE10hipError_tPvRmT3_T4_T5_T6_T7_T9_mT8_P12ihipStream_tbDpT10_ENKUlT_T0_E_clISt17integral_constantIbLb1EES19_IbLb0EEEEDaS15_S16_EUlS15_E_NS1_11comp_targetILNS1_3genE2ELNS1_11target_archE906ELNS1_3gpuE6ELNS1_3repE0EEENS1_30default_config_static_selectorELNS0_4arch9wavefront6targetE1EEEvT1_,comdat
	.globl	_ZN7rocprim17ROCPRIM_400000_NS6detail17trampoline_kernelINS0_14default_configENS1_25partition_config_selectorILNS1_17partition_subalgoE9EllbEEZZNS1_14partition_implILS5_9ELb0ES3_jPlS8_PNS0_10empty_typeENS0_5tupleIJS8_S9_EEENSB_IJS8_SA_EEENS0_18inequality_wrapperIZN2at6native12_GLOBAL__N_124unique_dim_cuda_templateIbEESt5tupleIJNSF_6TensorESK_SK_EERKSK_lbbbEUlllE0_EEPmJS9_EEE10hipError_tPvRmT3_T4_T5_T6_T7_T9_mT8_P12ihipStream_tbDpT10_ENKUlT_T0_E_clISt17integral_constantIbLb1EES19_IbLb0EEEEDaS15_S16_EUlS15_E_NS1_11comp_targetILNS1_3genE2ELNS1_11target_archE906ELNS1_3gpuE6ELNS1_3repE0EEENS1_30default_config_static_selectorELNS0_4arch9wavefront6targetE1EEEvT1_ ; -- Begin function _ZN7rocprim17ROCPRIM_400000_NS6detail17trampoline_kernelINS0_14default_configENS1_25partition_config_selectorILNS1_17partition_subalgoE9EllbEEZZNS1_14partition_implILS5_9ELb0ES3_jPlS8_PNS0_10empty_typeENS0_5tupleIJS8_S9_EEENSB_IJS8_SA_EEENS0_18inequality_wrapperIZN2at6native12_GLOBAL__N_124unique_dim_cuda_templateIbEESt5tupleIJNSF_6TensorESK_SK_EERKSK_lbbbEUlllE0_EEPmJS9_EEE10hipError_tPvRmT3_T4_T5_T6_T7_T9_mT8_P12ihipStream_tbDpT10_ENKUlT_T0_E_clISt17integral_constantIbLb1EES19_IbLb0EEEEDaS15_S16_EUlS15_E_NS1_11comp_targetILNS1_3genE2ELNS1_11target_archE906ELNS1_3gpuE6ELNS1_3repE0EEENS1_30default_config_static_selectorELNS0_4arch9wavefront6targetE1EEEvT1_
	.p2align	8
	.type	_ZN7rocprim17ROCPRIM_400000_NS6detail17trampoline_kernelINS0_14default_configENS1_25partition_config_selectorILNS1_17partition_subalgoE9EllbEEZZNS1_14partition_implILS5_9ELb0ES3_jPlS8_PNS0_10empty_typeENS0_5tupleIJS8_S9_EEENSB_IJS8_SA_EEENS0_18inequality_wrapperIZN2at6native12_GLOBAL__N_124unique_dim_cuda_templateIbEESt5tupleIJNSF_6TensorESK_SK_EERKSK_lbbbEUlllE0_EEPmJS9_EEE10hipError_tPvRmT3_T4_T5_T6_T7_T9_mT8_P12ihipStream_tbDpT10_ENKUlT_T0_E_clISt17integral_constantIbLb1EES19_IbLb0EEEEDaS15_S16_EUlS15_E_NS1_11comp_targetILNS1_3genE2ELNS1_11target_archE906ELNS1_3gpuE6ELNS1_3repE0EEENS1_30default_config_static_selectorELNS0_4arch9wavefront6targetE1EEEvT1_,@function
_ZN7rocprim17ROCPRIM_400000_NS6detail17trampoline_kernelINS0_14default_configENS1_25partition_config_selectorILNS1_17partition_subalgoE9EllbEEZZNS1_14partition_implILS5_9ELb0ES3_jPlS8_PNS0_10empty_typeENS0_5tupleIJS8_S9_EEENSB_IJS8_SA_EEENS0_18inequality_wrapperIZN2at6native12_GLOBAL__N_124unique_dim_cuda_templateIbEESt5tupleIJNSF_6TensorESK_SK_EERKSK_lbbbEUlllE0_EEPmJS9_EEE10hipError_tPvRmT3_T4_T5_T6_T7_T9_mT8_P12ihipStream_tbDpT10_ENKUlT_T0_E_clISt17integral_constantIbLb1EES19_IbLb0EEEEDaS15_S16_EUlS15_E_NS1_11comp_targetILNS1_3genE2ELNS1_11target_archE906ELNS1_3gpuE6ELNS1_3repE0EEENS1_30default_config_static_selectorELNS0_4arch9wavefront6targetE1EEEvT1_: ; @_ZN7rocprim17ROCPRIM_400000_NS6detail17trampoline_kernelINS0_14default_configENS1_25partition_config_selectorILNS1_17partition_subalgoE9EllbEEZZNS1_14partition_implILS5_9ELb0ES3_jPlS8_PNS0_10empty_typeENS0_5tupleIJS8_S9_EEENSB_IJS8_SA_EEENS0_18inequality_wrapperIZN2at6native12_GLOBAL__N_124unique_dim_cuda_templateIbEESt5tupleIJNSF_6TensorESK_SK_EERKSK_lbbbEUlllE0_EEPmJS9_EEE10hipError_tPvRmT3_T4_T5_T6_T7_T9_mT8_P12ihipStream_tbDpT10_ENKUlT_T0_E_clISt17integral_constantIbLb1EES19_IbLb0EEEEDaS15_S16_EUlS15_E_NS1_11comp_targetILNS1_3genE2ELNS1_11target_archE906ELNS1_3gpuE6ELNS1_3repE0EEENS1_30default_config_static_selectorELNS0_4arch9wavefront6targetE1EEEvT1_
; %bb.0:
	.section	.rodata,"a",@progbits
	.p2align	6, 0x0
	.amdhsa_kernel _ZN7rocprim17ROCPRIM_400000_NS6detail17trampoline_kernelINS0_14default_configENS1_25partition_config_selectorILNS1_17partition_subalgoE9EllbEEZZNS1_14partition_implILS5_9ELb0ES3_jPlS8_PNS0_10empty_typeENS0_5tupleIJS8_S9_EEENSB_IJS8_SA_EEENS0_18inequality_wrapperIZN2at6native12_GLOBAL__N_124unique_dim_cuda_templateIbEESt5tupleIJNSF_6TensorESK_SK_EERKSK_lbbbEUlllE0_EEPmJS9_EEE10hipError_tPvRmT3_T4_T5_T6_T7_T9_mT8_P12ihipStream_tbDpT10_ENKUlT_T0_E_clISt17integral_constantIbLb1EES19_IbLb0EEEEDaS15_S16_EUlS15_E_NS1_11comp_targetILNS1_3genE2ELNS1_11target_archE906ELNS1_3gpuE6ELNS1_3repE0EEENS1_30default_config_static_selectorELNS0_4arch9wavefront6targetE1EEEvT1_
		.amdhsa_group_segment_fixed_size 0
		.amdhsa_private_segment_fixed_size 0
		.amdhsa_kernarg_size 120
		.amdhsa_user_sgpr_count 2
		.amdhsa_user_sgpr_dispatch_ptr 0
		.amdhsa_user_sgpr_queue_ptr 0
		.amdhsa_user_sgpr_kernarg_segment_ptr 1
		.amdhsa_user_sgpr_dispatch_id 0
		.amdhsa_user_sgpr_kernarg_preload_length 0
		.amdhsa_user_sgpr_kernarg_preload_offset 0
		.amdhsa_user_sgpr_private_segment_size 0
		.amdhsa_uses_dynamic_stack 0
		.amdhsa_enable_private_segment 0
		.amdhsa_system_sgpr_workgroup_id_x 1
		.amdhsa_system_sgpr_workgroup_id_y 0
		.amdhsa_system_sgpr_workgroup_id_z 0
		.amdhsa_system_sgpr_workgroup_info 0
		.amdhsa_system_vgpr_workitem_id 0
		.amdhsa_next_free_vgpr 1
		.amdhsa_next_free_sgpr 0
		.amdhsa_accum_offset 4
		.amdhsa_reserve_vcc 0
		.amdhsa_float_round_mode_32 0
		.amdhsa_float_round_mode_16_64 0
		.amdhsa_float_denorm_mode_32 3
		.amdhsa_float_denorm_mode_16_64 3
		.amdhsa_dx10_clamp 1
		.amdhsa_ieee_mode 1
		.amdhsa_fp16_overflow 0
		.amdhsa_tg_split 0
		.amdhsa_exception_fp_ieee_invalid_op 0
		.amdhsa_exception_fp_denorm_src 0
		.amdhsa_exception_fp_ieee_div_zero 0
		.amdhsa_exception_fp_ieee_overflow 0
		.amdhsa_exception_fp_ieee_underflow 0
		.amdhsa_exception_fp_ieee_inexact 0
		.amdhsa_exception_int_div_zero 0
	.end_amdhsa_kernel
	.section	.text._ZN7rocprim17ROCPRIM_400000_NS6detail17trampoline_kernelINS0_14default_configENS1_25partition_config_selectorILNS1_17partition_subalgoE9EllbEEZZNS1_14partition_implILS5_9ELb0ES3_jPlS8_PNS0_10empty_typeENS0_5tupleIJS8_S9_EEENSB_IJS8_SA_EEENS0_18inequality_wrapperIZN2at6native12_GLOBAL__N_124unique_dim_cuda_templateIbEESt5tupleIJNSF_6TensorESK_SK_EERKSK_lbbbEUlllE0_EEPmJS9_EEE10hipError_tPvRmT3_T4_T5_T6_T7_T9_mT8_P12ihipStream_tbDpT10_ENKUlT_T0_E_clISt17integral_constantIbLb1EES19_IbLb0EEEEDaS15_S16_EUlS15_E_NS1_11comp_targetILNS1_3genE2ELNS1_11target_archE906ELNS1_3gpuE6ELNS1_3repE0EEENS1_30default_config_static_selectorELNS0_4arch9wavefront6targetE1EEEvT1_,"axG",@progbits,_ZN7rocprim17ROCPRIM_400000_NS6detail17trampoline_kernelINS0_14default_configENS1_25partition_config_selectorILNS1_17partition_subalgoE9EllbEEZZNS1_14partition_implILS5_9ELb0ES3_jPlS8_PNS0_10empty_typeENS0_5tupleIJS8_S9_EEENSB_IJS8_SA_EEENS0_18inequality_wrapperIZN2at6native12_GLOBAL__N_124unique_dim_cuda_templateIbEESt5tupleIJNSF_6TensorESK_SK_EERKSK_lbbbEUlllE0_EEPmJS9_EEE10hipError_tPvRmT3_T4_T5_T6_T7_T9_mT8_P12ihipStream_tbDpT10_ENKUlT_T0_E_clISt17integral_constantIbLb1EES19_IbLb0EEEEDaS15_S16_EUlS15_E_NS1_11comp_targetILNS1_3genE2ELNS1_11target_archE906ELNS1_3gpuE6ELNS1_3repE0EEENS1_30default_config_static_selectorELNS0_4arch9wavefront6targetE1EEEvT1_,comdat
.Lfunc_end1111:
	.size	_ZN7rocprim17ROCPRIM_400000_NS6detail17trampoline_kernelINS0_14default_configENS1_25partition_config_selectorILNS1_17partition_subalgoE9EllbEEZZNS1_14partition_implILS5_9ELb0ES3_jPlS8_PNS0_10empty_typeENS0_5tupleIJS8_S9_EEENSB_IJS8_SA_EEENS0_18inequality_wrapperIZN2at6native12_GLOBAL__N_124unique_dim_cuda_templateIbEESt5tupleIJNSF_6TensorESK_SK_EERKSK_lbbbEUlllE0_EEPmJS9_EEE10hipError_tPvRmT3_T4_T5_T6_T7_T9_mT8_P12ihipStream_tbDpT10_ENKUlT_T0_E_clISt17integral_constantIbLb1EES19_IbLb0EEEEDaS15_S16_EUlS15_E_NS1_11comp_targetILNS1_3genE2ELNS1_11target_archE906ELNS1_3gpuE6ELNS1_3repE0EEENS1_30default_config_static_selectorELNS0_4arch9wavefront6targetE1EEEvT1_, .Lfunc_end1111-_ZN7rocprim17ROCPRIM_400000_NS6detail17trampoline_kernelINS0_14default_configENS1_25partition_config_selectorILNS1_17partition_subalgoE9EllbEEZZNS1_14partition_implILS5_9ELb0ES3_jPlS8_PNS0_10empty_typeENS0_5tupleIJS8_S9_EEENSB_IJS8_SA_EEENS0_18inequality_wrapperIZN2at6native12_GLOBAL__N_124unique_dim_cuda_templateIbEESt5tupleIJNSF_6TensorESK_SK_EERKSK_lbbbEUlllE0_EEPmJS9_EEE10hipError_tPvRmT3_T4_T5_T6_T7_T9_mT8_P12ihipStream_tbDpT10_ENKUlT_T0_E_clISt17integral_constantIbLb1EES19_IbLb0EEEEDaS15_S16_EUlS15_E_NS1_11comp_targetILNS1_3genE2ELNS1_11target_archE906ELNS1_3gpuE6ELNS1_3repE0EEENS1_30default_config_static_selectorELNS0_4arch9wavefront6targetE1EEEvT1_
                                        ; -- End function
	.section	.AMDGPU.csdata,"",@progbits
; Kernel info:
; codeLenInByte = 0
; NumSgprs: 6
; NumVgprs: 0
; NumAgprs: 0
; TotalNumVgprs: 0
; ScratchSize: 0
; MemoryBound: 0
; FloatMode: 240
; IeeeMode: 1
; LDSByteSize: 0 bytes/workgroup (compile time only)
; SGPRBlocks: 0
; VGPRBlocks: 0
; NumSGPRsForWavesPerEU: 6
; NumVGPRsForWavesPerEU: 1
; AccumOffset: 4
; Occupancy: 8
; WaveLimiterHint : 0
; COMPUTE_PGM_RSRC2:SCRATCH_EN: 0
; COMPUTE_PGM_RSRC2:USER_SGPR: 2
; COMPUTE_PGM_RSRC2:TRAP_HANDLER: 0
; COMPUTE_PGM_RSRC2:TGID_X_EN: 1
; COMPUTE_PGM_RSRC2:TGID_Y_EN: 0
; COMPUTE_PGM_RSRC2:TGID_Z_EN: 0
; COMPUTE_PGM_RSRC2:TIDIG_COMP_CNT: 0
; COMPUTE_PGM_RSRC3_GFX90A:ACCUM_OFFSET: 0
; COMPUTE_PGM_RSRC3_GFX90A:TG_SPLIT: 0
	.section	.text._ZN7rocprim17ROCPRIM_400000_NS6detail17trampoline_kernelINS0_14default_configENS1_25partition_config_selectorILNS1_17partition_subalgoE9EllbEEZZNS1_14partition_implILS5_9ELb0ES3_jPlS8_PNS0_10empty_typeENS0_5tupleIJS8_S9_EEENSB_IJS8_SA_EEENS0_18inequality_wrapperIZN2at6native12_GLOBAL__N_124unique_dim_cuda_templateIbEESt5tupleIJNSF_6TensorESK_SK_EERKSK_lbbbEUlllE0_EEPmJS9_EEE10hipError_tPvRmT3_T4_T5_T6_T7_T9_mT8_P12ihipStream_tbDpT10_ENKUlT_T0_E_clISt17integral_constantIbLb1EES19_IbLb0EEEEDaS15_S16_EUlS15_E_NS1_11comp_targetILNS1_3genE10ELNS1_11target_archE1200ELNS1_3gpuE4ELNS1_3repE0EEENS1_30default_config_static_selectorELNS0_4arch9wavefront6targetE1EEEvT1_,"axG",@progbits,_ZN7rocprim17ROCPRIM_400000_NS6detail17trampoline_kernelINS0_14default_configENS1_25partition_config_selectorILNS1_17partition_subalgoE9EllbEEZZNS1_14partition_implILS5_9ELb0ES3_jPlS8_PNS0_10empty_typeENS0_5tupleIJS8_S9_EEENSB_IJS8_SA_EEENS0_18inequality_wrapperIZN2at6native12_GLOBAL__N_124unique_dim_cuda_templateIbEESt5tupleIJNSF_6TensorESK_SK_EERKSK_lbbbEUlllE0_EEPmJS9_EEE10hipError_tPvRmT3_T4_T5_T6_T7_T9_mT8_P12ihipStream_tbDpT10_ENKUlT_T0_E_clISt17integral_constantIbLb1EES19_IbLb0EEEEDaS15_S16_EUlS15_E_NS1_11comp_targetILNS1_3genE10ELNS1_11target_archE1200ELNS1_3gpuE4ELNS1_3repE0EEENS1_30default_config_static_selectorELNS0_4arch9wavefront6targetE1EEEvT1_,comdat
	.globl	_ZN7rocprim17ROCPRIM_400000_NS6detail17trampoline_kernelINS0_14default_configENS1_25partition_config_selectorILNS1_17partition_subalgoE9EllbEEZZNS1_14partition_implILS5_9ELb0ES3_jPlS8_PNS0_10empty_typeENS0_5tupleIJS8_S9_EEENSB_IJS8_SA_EEENS0_18inequality_wrapperIZN2at6native12_GLOBAL__N_124unique_dim_cuda_templateIbEESt5tupleIJNSF_6TensorESK_SK_EERKSK_lbbbEUlllE0_EEPmJS9_EEE10hipError_tPvRmT3_T4_T5_T6_T7_T9_mT8_P12ihipStream_tbDpT10_ENKUlT_T0_E_clISt17integral_constantIbLb1EES19_IbLb0EEEEDaS15_S16_EUlS15_E_NS1_11comp_targetILNS1_3genE10ELNS1_11target_archE1200ELNS1_3gpuE4ELNS1_3repE0EEENS1_30default_config_static_selectorELNS0_4arch9wavefront6targetE1EEEvT1_ ; -- Begin function _ZN7rocprim17ROCPRIM_400000_NS6detail17trampoline_kernelINS0_14default_configENS1_25partition_config_selectorILNS1_17partition_subalgoE9EllbEEZZNS1_14partition_implILS5_9ELb0ES3_jPlS8_PNS0_10empty_typeENS0_5tupleIJS8_S9_EEENSB_IJS8_SA_EEENS0_18inequality_wrapperIZN2at6native12_GLOBAL__N_124unique_dim_cuda_templateIbEESt5tupleIJNSF_6TensorESK_SK_EERKSK_lbbbEUlllE0_EEPmJS9_EEE10hipError_tPvRmT3_T4_T5_T6_T7_T9_mT8_P12ihipStream_tbDpT10_ENKUlT_T0_E_clISt17integral_constantIbLb1EES19_IbLb0EEEEDaS15_S16_EUlS15_E_NS1_11comp_targetILNS1_3genE10ELNS1_11target_archE1200ELNS1_3gpuE4ELNS1_3repE0EEENS1_30default_config_static_selectorELNS0_4arch9wavefront6targetE1EEEvT1_
	.p2align	8
	.type	_ZN7rocprim17ROCPRIM_400000_NS6detail17trampoline_kernelINS0_14default_configENS1_25partition_config_selectorILNS1_17partition_subalgoE9EllbEEZZNS1_14partition_implILS5_9ELb0ES3_jPlS8_PNS0_10empty_typeENS0_5tupleIJS8_S9_EEENSB_IJS8_SA_EEENS0_18inequality_wrapperIZN2at6native12_GLOBAL__N_124unique_dim_cuda_templateIbEESt5tupleIJNSF_6TensorESK_SK_EERKSK_lbbbEUlllE0_EEPmJS9_EEE10hipError_tPvRmT3_T4_T5_T6_T7_T9_mT8_P12ihipStream_tbDpT10_ENKUlT_T0_E_clISt17integral_constantIbLb1EES19_IbLb0EEEEDaS15_S16_EUlS15_E_NS1_11comp_targetILNS1_3genE10ELNS1_11target_archE1200ELNS1_3gpuE4ELNS1_3repE0EEENS1_30default_config_static_selectorELNS0_4arch9wavefront6targetE1EEEvT1_,@function
_ZN7rocprim17ROCPRIM_400000_NS6detail17trampoline_kernelINS0_14default_configENS1_25partition_config_selectorILNS1_17partition_subalgoE9EllbEEZZNS1_14partition_implILS5_9ELb0ES3_jPlS8_PNS0_10empty_typeENS0_5tupleIJS8_S9_EEENSB_IJS8_SA_EEENS0_18inequality_wrapperIZN2at6native12_GLOBAL__N_124unique_dim_cuda_templateIbEESt5tupleIJNSF_6TensorESK_SK_EERKSK_lbbbEUlllE0_EEPmJS9_EEE10hipError_tPvRmT3_T4_T5_T6_T7_T9_mT8_P12ihipStream_tbDpT10_ENKUlT_T0_E_clISt17integral_constantIbLb1EES19_IbLb0EEEEDaS15_S16_EUlS15_E_NS1_11comp_targetILNS1_3genE10ELNS1_11target_archE1200ELNS1_3gpuE4ELNS1_3repE0EEENS1_30default_config_static_selectorELNS0_4arch9wavefront6targetE1EEEvT1_: ; @_ZN7rocprim17ROCPRIM_400000_NS6detail17trampoline_kernelINS0_14default_configENS1_25partition_config_selectorILNS1_17partition_subalgoE9EllbEEZZNS1_14partition_implILS5_9ELb0ES3_jPlS8_PNS0_10empty_typeENS0_5tupleIJS8_S9_EEENSB_IJS8_SA_EEENS0_18inequality_wrapperIZN2at6native12_GLOBAL__N_124unique_dim_cuda_templateIbEESt5tupleIJNSF_6TensorESK_SK_EERKSK_lbbbEUlllE0_EEPmJS9_EEE10hipError_tPvRmT3_T4_T5_T6_T7_T9_mT8_P12ihipStream_tbDpT10_ENKUlT_T0_E_clISt17integral_constantIbLb1EES19_IbLb0EEEEDaS15_S16_EUlS15_E_NS1_11comp_targetILNS1_3genE10ELNS1_11target_archE1200ELNS1_3gpuE4ELNS1_3repE0EEENS1_30default_config_static_selectorELNS0_4arch9wavefront6targetE1EEEvT1_
; %bb.0:
	.section	.rodata,"a",@progbits
	.p2align	6, 0x0
	.amdhsa_kernel _ZN7rocprim17ROCPRIM_400000_NS6detail17trampoline_kernelINS0_14default_configENS1_25partition_config_selectorILNS1_17partition_subalgoE9EllbEEZZNS1_14partition_implILS5_9ELb0ES3_jPlS8_PNS0_10empty_typeENS0_5tupleIJS8_S9_EEENSB_IJS8_SA_EEENS0_18inequality_wrapperIZN2at6native12_GLOBAL__N_124unique_dim_cuda_templateIbEESt5tupleIJNSF_6TensorESK_SK_EERKSK_lbbbEUlllE0_EEPmJS9_EEE10hipError_tPvRmT3_T4_T5_T6_T7_T9_mT8_P12ihipStream_tbDpT10_ENKUlT_T0_E_clISt17integral_constantIbLb1EES19_IbLb0EEEEDaS15_S16_EUlS15_E_NS1_11comp_targetILNS1_3genE10ELNS1_11target_archE1200ELNS1_3gpuE4ELNS1_3repE0EEENS1_30default_config_static_selectorELNS0_4arch9wavefront6targetE1EEEvT1_
		.amdhsa_group_segment_fixed_size 0
		.amdhsa_private_segment_fixed_size 0
		.amdhsa_kernarg_size 120
		.amdhsa_user_sgpr_count 2
		.amdhsa_user_sgpr_dispatch_ptr 0
		.amdhsa_user_sgpr_queue_ptr 0
		.amdhsa_user_sgpr_kernarg_segment_ptr 1
		.amdhsa_user_sgpr_dispatch_id 0
		.amdhsa_user_sgpr_kernarg_preload_length 0
		.amdhsa_user_sgpr_kernarg_preload_offset 0
		.amdhsa_user_sgpr_private_segment_size 0
		.amdhsa_uses_dynamic_stack 0
		.amdhsa_enable_private_segment 0
		.amdhsa_system_sgpr_workgroup_id_x 1
		.amdhsa_system_sgpr_workgroup_id_y 0
		.amdhsa_system_sgpr_workgroup_id_z 0
		.amdhsa_system_sgpr_workgroup_info 0
		.amdhsa_system_vgpr_workitem_id 0
		.amdhsa_next_free_vgpr 1
		.amdhsa_next_free_sgpr 0
		.amdhsa_accum_offset 4
		.amdhsa_reserve_vcc 0
		.amdhsa_float_round_mode_32 0
		.amdhsa_float_round_mode_16_64 0
		.amdhsa_float_denorm_mode_32 3
		.amdhsa_float_denorm_mode_16_64 3
		.amdhsa_dx10_clamp 1
		.amdhsa_ieee_mode 1
		.amdhsa_fp16_overflow 0
		.amdhsa_tg_split 0
		.amdhsa_exception_fp_ieee_invalid_op 0
		.amdhsa_exception_fp_denorm_src 0
		.amdhsa_exception_fp_ieee_div_zero 0
		.amdhsa_exception_fp_ieee_overflow 0
		.amdhsa_exception_fp_ieee_underflow 0
		.amdhsa_exception_fp_ieee_inexact 0
		.amdhsa_exception_int_div_zero 0
	.end_amdhsa_kernel
	.section	.text._ZN7rocprim17ROCPRIM_400000_NS6detail17trampoline_kernelINS0_14default_configENS1_25partition_config_selectorILNS1_17partition_subalgoE9EllbEEZZNS1_14partition_implILS5_9ELb0ES3_jPlS8_PNS0_10empty_typeENS0_5tupleIJS8_S9_EEENSB_IJS8_SA_EEENS0_18inequality_wrapperIZN2at6native12_GLOBAL__N_124unique_dim_cuda_templateIbEESt5tupleIJNSF_6TensorESK_SK_EERKSK_lbbbEUlllE0_EEPmJS9_EEE10hipError_tPvRmT3_T4_T5_T6_T7_T9_mT8_P12ihipStream_tbDpT10_ENKUlT_T0_E_clISt17integral_constantIbLb1EES19_IbLb0EEEEDaS15_S16_EUlS15_E_NS1_11comp_targetILNS1_3genE10ELNS1_11target_archE1200ELNS1_3gpuE4ELNS1_3repE0EEENS1_30default_config_static_selectorELNS0_4arch9wavefront6targetE1EEEvT1_,"axG",@progbits,_ZN7rocprim17ROCPRIM_400000_NS6detail17trampoline_kernelINS0_14default_configENS1_25partition_config_selectorILNS1_17partition_subalgoE9EllbEEZZNS1_14partition_implILS5_9ELb0ES3_jPlS8_PNS0_10empty_typeENS0_5tupleIJS8_S9_EEENSB_IJS8_SA_EEENS0_18inequality_wrapperIZN2at6native12_GLOBAL__N_124unique_dim_cuda_templateIbEESt5tupleIJNSF_6TensorESK_SK_EERKSK_lbbbEUlllE0_EEPmJS9_EEE10hipError_tPvRmT3_T4_T5_T6_T7_T9_mT8_P12ihipStream_tbDpT10_ENKUlT_T0_E_clISt17integral_constantIbLb1EES19_IbLb0EEEEDaS15_S16_EUlS15_E_NS1_11comp_targetILNS1_3genE10ELNS1_11target_archE1200ELNS1_3gpuE4ELNS1_3repE0EEENS1_30default_config_static_selectorELNS0_4arch9wavefront6targetE1EEEvT1_,comdat
.Lfunc_end1112:
	.size	_ZN7rocprim17ROCPRIM_400000_NS6detail17trampoline_kernelINS0_14default_configENS1_25partition_config_selectorILNS1_17partition_subalgoE9EllbEEZZNS1_14partition_implILS5_9ELb0ES3_jPlS8_PNS0_10empty_typeENS0_5tupleIJS8_S9_EEENSB_IJS8_SA_EEENS0_18inequality_wrapperIZN2at6native12_GLOBAL__N_124unique_dim_cuda_templateIbEESt5tupleIJNSF_6TensorESK_SK_EERKSK_lbbbEUlllE0_EEPmJS9_EEE10hipError_tPvRmT3_T4_T5_T6_T7_T9_mT8_P12ihipStream_tbDpT10_ENKUlT_T0_E_clISt17integral_constantIbLb1EES19_IbLb0EEEEDaS15_S16_EUlS15_E_NS1_11comp_targetILNS1_3genE10ELNS1_11target_archE1200ELNS1_3gpuE4ELNS1_3repE0EEENS1_30default_config_static_selectorELNS0_4arch9wavefront6targetE1EEEvT1_, .Lfunc_end1112-_ZN7rocprim17ROCPRIM_400000_NS6detail17trampoline_kernelINS0_14default_configENS1_25partition_config_selectorILNS1_17partition_subalgoE9EllbEEZZNS1_14partition_implILS5_9ELb0ES3_jPlS8_PNS0_10empty_typeENS0_5tupleIJS8_S9_EEENSB_IJS8_SA_EEENS0_18inequality_wrapperIZN2at6native12_GLOBAL__N_124unique_dim_cuda_templateIbEESt5tupleIJNSF_6TensorESK_SK_EERKSK_lbbbEUlllE0_EEPmJS9_EEE10hipError_tPvRmT3_T4_T5_T6_T7_T9_mT8_P12ihipStream_tbDpT10_ENKUlT_T0_E_clISt17integral_constantIbLb1EES19_IbLb0EEEEDaS15_S16_EUlS15_E_NS1_11comp_targetILNS1_3genE10ELNS1_11target_archE1200ELNS1_3gpuE4ELNS1_3repE0EEENS1_30default_config_static_selectorELNS0_4arch9wavefront6targetE1EEEvT1_
                                        ; -- End function
	.section	.AMDGPU.csdata,"",@progbits
; Kernel info:
; codeLenInByte = 0
; NumSgprs: 6
; NumVgprs: 0
; NumAgprs: 0
; TotalNumVgprs: 0
; ScratchSize: 0
; MemoryBound: 0
; FloatMode: 240
; IeeeMode: 1
; LDSByteSize: 0 bytes/workgroup (compile time only)
; SGPRBlocks: 0
; VGPRBlocks: 0
; NumSGPRsForWavesPerEU: 6
; NumVGPRsForWavesPerEU: 1
; AccumOffset: 4
; Occupancy: 8
; WaveLimiterHint : 0
; COMPUTE_PGM_RSRC2:SCRATCH_EN: 0
; COMPUTE_PGM_RSRC2:USER_SGPR: 2
; COMPUTE_PGM_RSRC2:TRAP_HANDLER: 0
; COMPUTE_PGM_RSRC2:TGID_X_EN: 1
; COMPUTE_PGM_RSRC2:TGID_Y_EN: 0
; COMPUTE_PGM_RSRC2:TGID_Z_EN: 0
; COMPUTE_PGM_RSRC2:TIDIG_COMP_CNT: 0
; COMPUTE_PGM_RSRC3_GFX90A:ACCUM_OFFSET: 0
; COMPUTE_PGM_RSRC3_GFX90A:TG_SPLIT: 0
	.section	.text._ZN7rocprim17ROCPRIM_400000_NS6detail17trampoline_kernelINS0_14default_configENS1_25partition_config_selectorILNS1_17partition_subalgoE9EllbEEZZNS1_14partition_implILS5_9ELb0ES3_jPlS8_PNS0_10empty_typeENS0_5tupleIJS8_S9_EEENSB_IJS8_SA_EEENS0_18inequality_wrapperIZN2at6native12_GLOBAL__N_124unique_dim_cuda_templateIbEESt5tupleIJNSF_6TensorESK_SK_EERKSK_lbbbEUlllE0_EEPmJS9_EEE10hipError_tPvRmT3_T4_T5_T6_T7_T9_mT8_P12ihipStream_tbDpT10_ENKUlT_T0_E_clISt17integral_constantIbLb1EES19_IbLb0EEEEDaS15_S16_EUlS15_E_NS1_11comp_targetILNS1_3genE9ELNS1_11target_archE1100ELNS1_3gpuE3ELNS1_3repE0EEENS1_30default_config_static_selectorELNS0_4arch9wavefront6targetE1EEEvT1_,"axG",@progbits,_ZN7rocprim17ROCPRIM_400000_NS6detail17trampoline_kernelINS0_14default_configENS1_25partition_config_selectorILNS1_17partition_subalgoE9EllbEEZZNS1_14partition_implILS5_9ELb0ES3_jPlS8_PNS0_10empty_typeENS0_5tupleIJS8_S9_EEENSB_IJS8_SA_EEENS0_18inequality_wrapperIZN2at6native12_GLOBAL__N_124unique_dim_cuda_templateIbEESt5tupleIJNSF_6TensorESK_SK_EERKSK_lbbbEUlllE0_EEPmJS9_EEE10hipError_tPvRmT3_T4_T5_T6_T7_T9_mT8_P12ihipStream_tbDpT10_ENKUlT_T0_E_clISt17integral_constantIbLb1EES19_IbLb0EEEEDaS15_S16_EUlS15_E_NS1_11comp_targetILNS1_3genE9ELNS1_11target_archE1100ELNS1_3gpuE3ELNS1_3repE0EEENS1_30default_config_static_selectorELNS0_4arch9wavefront6targetE1EEEvT1_,comdat
	.globl	_ZN7rocprim17ROCPRIM_400000_NS6detail17trampoline_kernelINS0_14default_configENS1_25partition_config_selectorILNS1_17partition_subalgoE9EllbEEZZNS1_14partition_implILS5_9ELb0ES3_jPlS8_PNS0_10empty_typeENS0_5tupleIJS8_S9_EEENSB_IJS8_SA_EEENS0_18inequality_wrapperIZN2at6native12_GLOBAL__N_124unique_dim_cuda_templateIbEESt5tupleIJNSF_6TensorESK_SK_EERKSK_lbbbEUlllE0_EEPmJS9_EEE10hipError_tPvRmT3_T4_T5_T6_T7_T9_mT8_P12ihipStream_tbDpT10_ENKUlT_T0_E_clISt17integral_constantIbLb1EES19_IbLb0EEEEDaS15_S16_EUlS15_E_NS1_11comp_targetILNS1_3genE9ELNS1_11target_archE1100ELNS1_3gpuE3ELNS1_3repE0EEENS1_30default_config_static_selectorELNS0_4arch9wavefront6targetE1EEEvT1_ ; -- Begin function _ZN7rocprim17ROCPRIM_400000_NS6detail17trampoline_kernelINS0_14default_configENS1_25partition_config_selectorILNS1_17partition_subalgoE9EllbEEZZNS1_14partition_implILS5_9ELb0ES3_jPlS8_PNS0_10empty_typeENS0_5tupleIJS8_S9_EEENSB_IJS8_SA_EEENS0_18inequality_wrapperIZN2at6native12_GLOBAL__N_124unique_dim_cuda_templateIbEESt5tupleIJNSF_6TensorESK_SK_EERKSK_lbbbEUlllE0_EEPmJS9_EEE10hipError_tPvRmT3_T4_T5_T6_T7_T9_mT8_P12ihipStream_tbDpT10_ENKUlT_T0_E_clISt17integral_constantIbLb1EES19_IbLb0EEEEDaS15_S16_EUlS15_E_NS1_11comp_targetILNS1_3genE9ELNS1_11target_archE1100ELNS1_3gpuE3ELNS1_3repE0EEENS1_30default_config_static_selectorELNS0_4arch9wavefront6targetE1EEEvT1_
	.p2align	8
	.type	_ZN7rocprim17ROCPRIM_400000_NS6detail17trampoline_kernelINS0_14default_configENS1_25partition_config_selectorILNS1_17partition_subalgoE9EllbEEZZNS1_14partition_implILS5_9ELb0ES3_jPlS8_PNS0_10empty_typeENS0_5tupleIJS8_S9_EEENSB_IJS8_SA_EEENS0_18inequality_wrapperIZN2at6native12_GLOBAL__N_124unique_dim_cuda_templateIbEESt5tupleIJNSF_6TensorESK_SK_EERKSK_lbbbEUlllE0_EEPmJS9_EEE10hipError_tPvRmT3_T4_T5_T6_T7_T9_mT8_P12ihipStream_tbDpT10_ENKUlT_T0_E_clISt17integral_constantIbLb1EES19_IbLb0EEEEDaS15_S16_EUlS15_E_NS1_11comp_targetILNS1_3genE9ELNS1_11target_archE1100ELNS1_3gpuE3ELNS1_3repE0EEENS1_30default_config_static_selectorELNS0_4arch9wavefront6targetE1EEEvT1_,@function
_ZN7rocprim17ROCPRIM_400000_NS6detail17trampoline_kernelINS0_14default_configENS1_25partition_config_selectorILNS1_17partition_subalgoE9EllbEEZZNS1_14partition_implILS5_9ELb0ES3_jPlS8_PNS0_10empty_typeENS0_5tupleIJS8_S9_EEENSB_IJS8_SA_EEENS0_18inequality_wrapperIZN2at6native12_GLOBAL__N_124unique_dim_cuda_templateIbEESt5tupleIJNSF_6TensorESK_SK_EERKSK_lbbbEUlllE0_EEPmJS9_EEE10hipError_tPvRmT3_T4_T5_T6_T7_T9_mT8_P12ihipStream_tbDpT10_ENKUlT_T0_E_clISt17integral_constantIbLb1EES19_IbLb0EEEEDaS15_S16_EUlS15_E_NS1_11comp_targetILNS1_3genE9ELNS1_11target_archE1100ELNS1_3gpuE3ELNS1_3repE0EEENS1_30default_config_static_selectorELNS0_4arch9wavefront6targetE1EEEvT1_: ; @_ZN7rocprim17ROCPRIM_400000_NS6detail17trampoline_kernelINS0_14default_configENS1_25partition_config_selectorILNS1_17partition_subalgoE9EllbEEZZNS1_14partition_implILS5_9ELb0ES3_jPlS8_PNS0_10empty_typeENS0_5tupleIJS8_S9_EEENSB_IJS8_SA_EEENS0_18inequality_wrapperIZN2at6native12_GLOBAL__N_124unique_dim_cuda_templateIbEESt5tupleIJNSF_6TensorESK_SK_EERKSK_lbbbEUlllE0_EEPmJS9_EEE10hipError_tPvRmT3_T4_T5_T6_T7_T9_mT8_P12ihipStream_tbDpT10_ENKUlT_T0_E_clISt17integral_constantIbLb1EES19_IbLb0EEEEDaS15_S16_EUlS15_E_NS1_11comp_targetILNS1_3genE9ELNS1_11target_archE1100ELNS1_3gpuE3ELNS1_3repE0EEENS1_30default_config_static_selectorELNS0_4arch9wavefront6targetE1EEEvT1_
; %bb.0:
	.section	.rodata,"a",@progbits
	.p2align	6, 0x0
	.amdhsa_kernel _ZN7rocprim17ROCPRIM_400000_NS6detail17trampoline_kernelINS0_14default_configENS1_25partition_config_selectorILNS1_17partition_subalgoE9EllbEEZZNS1_14partition_implILS5_9ELb0ES3_jPlS8_PNS0_10empty_typeENS0_5tupleIJS8_S9_EEENSB_IJS8_SA_EEENS0_18inequality_wrapperIZN2at6native12_GLOBAL__N_124unique_dim_cuda_templateIbEESt5tupleIJNSF_6TensorESK_SK_EERKSK_lbbbEUlllE0_EEPmJS9_EEE10hipError_tPvRmT3_T4_T5_T6_T7_T9_mT8_P12ihipStream_tbDpT10_ENKUlT_T0_E_clISt17integral_constantIbLb1EES19_IbLb0EEEEDaS15_S16_EUlS15_E_NS1_11comp_targetILNS1_3genE9ELNS1_11target_archE1100ELNS1_3gpuE3ELNS1_3repE0EEENS1_30default_config_static_selectorELNS0_4arch9wavefront6targetE1EEEvT1_
		.amdhsa_group_segment_fixed_size 0
		.amdhsa_private_segment_fixed_size 0
		.amdhsa_kernarg_size 120
		.amdhsa_user_sgpr_count 2
		.amdhsa_user_sgpr_dispatch_ptr 0
		.amdhsa_user_sgpr_queue_ptr 0
		.amdhsa_user_sgpr_kernarg_segment_ptr 1
		.amdhsa_user_sgpr_dispatch_id 0
		.amdhsa_user_sgpr_kernarg_preload_length 0
		.amdhsa_user_sgpr_kernarg_preload_offset 0
		.amdhsa_user_sgpr_private_segment_size 0
		.amdhsa_uses_dynamic_stack 0
		.amdhsa_enable_private_segment 0
		.amdhsa_system_sgpr_workgroup_id_x 1
		.amdhsa_system_sgpr_workgroup_id_y 0
		.amdhsa_system_sgpr_workgroup_id_z 0
		.amdhsa_system_sgpr_workgroup_info 0
		.amdhsa_system_vgpr_workitem_id 0
		.amdhsa_next_free_vgpr 1
		.amdhsa_next_free_sgpr 0
		.amdhsa_accum_offset 4
		.amdhsa_reserve_vcc 0
		.amdhsa_float_round_mode_32 0
		.amdhsa_float_round_mode_16_64 0
		.amdhsa_float_denorm_mode_32 3
		.amdhsa_float_denorm_mode_16_64 3
		.amdhsa_dx10_clamp 1
		.amdhsa_ieee_mode 1
		.amdhsa_fp16_overflow 0
		.amdhsa_tg_split 0
		.amdhsa_exception_fp_ieee_invalid_op 0
		.amdhsa_exception_fp_denorm_src 0
		.amdhsa_exception_fp_ieee_div_zero 0
		.amdhsa_exception_fp_ieee_overflow 0
		.amdhsa_exception_fp_ieee_underflow 0
		.amdhsa_exception_fp_ieee_inexact 0
		.amdhsa_exception_int_div_zero 0
	.end_amdhsa_kernel
	.section	.text._ZN7rocprim17ROCPRIM_400000_NS6detail17trampoline_kernelINS0_14default_configENS1_25partition_config_selectorILNS1_17partition_subalgoE9EllbEEZZNS1_14partition_implILS5_9ELb0ES3_jPlS8_PNS0_10empty_typeENS0_5tupleIJS8_S9_EEENSB_IJS8_SA_EEENS0_18inequality_wrapperIZN2at6native12_GLOBAL__N_124unique_dim_cuda_templateIbEESt5tupleIJNSF_6TensorESK_SK_EERKSK_lbbbEUlllE0_EEPmJS9_EEE10hipError_tPvRmT3_T4_T5_T6_T7_T9_mT8_P12ihipStream_tbDpT10_ENKUlT_T0_E_clISt17integral_constantIbLb1EES19_IbLb0EEEEDaS15_S16_EUlS15_E_NS1_11comp_targetILNS1_3genE9ELNS1_11target_archE1100ELNS1_3gpuE3ELNS1_3repE0EEENS1_30default_config_static_selectorELNS0_4arch9wavefront6targetE1EEEvT1_,"axG",@progbits,_ZN7rocprim17ROCPRIM_400000_NS6detail17trampoline_kernelINS0_14default_configENS1_25partition_config_selectorILNS1_17partition_subalgoE9EllbEEZZNS1_14partition_implILS5_9ELb0ES3_jPlS8_PNS0_10empty_typeENS0_5tupleIJS8_S9_EEENSB_IJS8_SA_EEENS0_18inequality_wrapperIZN2at6native12_GLOBAL__N_124unique_dim_cuda_templateIbEESt5tupleIJNSF_6TensorESK_SK_EERKSK_lbbbEUlllE0_EEPmJS9_EEE10hipError_tPvRmT3_T4_T5_T6_T7_T9_mT8_P12ihipStream_tbDpT10_ENKUlT_T0_E_clISt17integral_constantIbLb1EES19_IbLb0EEEEDaS15_S16_EUlS15_E_NS1_11comp_targetILNS1_3genE9ELNS1_11target_archE1100ELNS1_3gpuE3ELNS1_3repE0EEENS1_30default_config_static_selectorELNS0_4arch9wavefront6targetE1EEEvT1_,comdat
.Lfunc_end1113:
	.size	_ZN7rocprim17ROCPRIM_400000_NS6detail17trampoline_kernelINS0_14default_configENS1_25partition_config_selectorILNS1_17partition_subalgoE9EllbEEZZNS1_14partition_implILS5_9ELb0ES3_jPlS8_PNS0_10empty_typeENS0_5tupleIJS8_S9_EEENSB_IJS8_SA_EEENS0_18inequality_wrapperIZN2at6native12_GLOBAL__N_124unique_dim_cuda_templateIbEESt5tupleIJNSF_6TensorESK_SK_EERKSK_lbbbEUlllE0_EEPmJS9_EEE10hipError_tPvRmT3_T4_T5_T6_T7_T9_mT8_P12ihipStream_tbDpT10_ENKUlT_T0_E_clISt17integral_constantIbLb1EES19_IbLb0EEEEDaS15_S16_EUlS15_E_NS1_11comp_targetILNS1_3genE9ELNS1_11target_archE1100ELNS1_3gpuE3ELNS1_3repE0EEENS1_30default_config_static_selectorELNS0_4arch9wavefront6targetE1EEEvT1_, .Lfunc_end1113-_ZN7rocprim17ROCPRIM_400000_NS6detail17trampoline_kernelINS0_14default_configENS1_25partition_config_selectorILNS1_17partition_subalgoE9EllbEEZZNS1_14partition_implILS5_9ELb0ES3_jPlS8_PNS0_10empty_typeENS0_5tupleIJS8_S9_EEENSB_IJS8_SA_EEENS0_18inequality_wrapperIZN2at6native12_GLOBAL__N_124unique_dim_cuda_templateIbEESt5tupleIJNSF_6TensorESK_SK_EERKSK_lbbbEUlllE0_EEPmJS9_EEE10hipError_tPvRmT3_T4_T5_T6_T7_T9_mT8_P12ihipStream_tbDpT10_ENKUlT_T0_E_clISt17integral_constantIbLb1EES19_IbLb0EEEEDaS15_S16_EUlS15_E_NS1_11comp_targetILNS1_3genE9ELNS1_11target_archE1100ELNS1_3gpuE3ELNS1_3repE0EEENS1_30default_config_static_selectorELNS0_4arch9wavefront6targetE1EEEvT1_
                                        ; -- End function
	.section	.AMDGPU.csdata,"",@progbits
; Kernel info:
; codeLenInByte = 0
; NumSgprs: 6
; NumVgprs: 0
; NumAgprs: 0
; TotalNumVgprs: 0
; ScratchSize: 0
; MemoryBound: 0
; FloatMode: 240
; IeeeMode: 1
; LDSByteSize: 0 bytes/workgroup (compile time only)
; SGPRBlocks: 0
; VGPRBlocks: 0
; NumSGPRsForWavesPerEU: 6
; NumVGPRsForWavesPerEU: 1
; AccumOffset: 4
; Occupancy: 8
; WaveLimiterHint : 0
; COMPUTE_PGM_RSRC2:SCRATCH_EN: 0
; COMPUTE_PGM_RSRC2:USER_SGPR: 2
; COMPUTE_PGM_RSRC2:TRAP_HANDLER: 0
; COMPUTE_PGM_RSRC2:TGID_X_EN: 1
; COMPUTE_PGM_RSRC2:TGID_Y_EN: 0
; COMPUTE_PGM_RSRC2:TGID_Z_EN: 0
; COMPUTE_PGM_RSRC2:TIDIG_COMP_CNT: 0
; COMPUTE_PGM_RSRC3_GFX90A:ACCUM_OFFSET: 0
; COMPUTE_PGM_RSRC3_GFX90A:TG_SPLIT: 0
	.section	.text._ZN7rocprim17ROCPRIM_400000_NS6detail17trampoline_kernelINS0_14default_configENS1_25partition_config_selectorILNS1_17partition_subalgoE9EllbEEZZNS1_14partition_implILS5_9ELb0ES3_jPlS8_PNS0_10empty_typeENS0_5tupleIJS8_S9_EEENSB_IJS8_SA_EEENS0_18inequality_wrapperIZN2at6native12_GLOBAL__N_124unique_dim_cuda_templateIbEESt5tupleIJNSF_6TensorESK_SK_EERKSK_lbbbEUlllE0_EEPmJS9_EEE10hipError_tPvRmT3_T4_T5_T6_T7_T9_mT8_P12ihipStream_tbDpT10_ENKUlT_T0_E_clISt17integral_constantIbLb1EES19_IbLb0EEEEDaS15_S16_EUlS15_E_NS1_11comp_targetILNS1_3genE8ELNS1_11target_archE1030ELNS1_3gpuE2ELNS1_3repE0EEENS1_30default_config_static_selectorELNS0_4arch9wavefront6targetE1EEEvT1_,"axG",@progbits,_ZN7rocprim17ROCPRIM_400000_NS6detail17trampoline_kernelINS0_14default_configENS1_25partition_config_selectorILNS1_17partition_subalgoE9EllbEEZZNS1_14partition_implILS5_9ELb0ES3_jPlS8_PNS0_10empty_typeENS0_5tupleIJS8_S9_EEENSB_IJS8_SA_EEENS0_18inequality_wrapperIZN2at6native12_GLOBAL__N_124unique_dim_cuda_templateIbEESt5tupleIJNSF_6TensorESK_SK_EERKSK_lbbbEUlllE0_EEPmJS9_EEE10hipError_tPvRmT3_T4_T5_T6_T7_T9_mT8_P12ihipStream_tbDpT10_ENKUlT_T0_E_clISt17integral_constantIbLb1EES19_IbLb0EEEEDaS15_S16_EUlS15_E_NS1_11comp_targetILNS1_3genE8ELNS1_11target_archE1030ELNS1_3gpuE2ELNS1_3repE0EEENS1_30default_config_static_selectorELNS0_4arch9wavefront6targetE1EEEvT1_,comdat
	.globl	_ZN7rocprim17ROCPRIM_400000_NS6detail17trampoline_kernelINS0_14default_configENS1_25partition_config_selectorILNS1_17partition_subalgoE9EllbEEZZNS1_14partition_implILS5_9ELb0ES3_jPlS8_PNS0_10empty_typeENS0_5tupleIJS8_S9_EEENSB_IJS8_SA_EEENS0_18inequality_wrapperIZN2at6native12_GLOBAL__N_124unique_dim_cuda_templateIbEESt5tupleIJNSF_6TensorESK_SK_EERKSK_lbbbEUlllE0_EEPmJS9_EEE10hipError_tPvRmT3_T4_T5_T6_T7_T9_mT8_P12ihipStream_tbDpT10_ENKUlT_T0_E_clISt17integral_constantIbLb1EES19_IbLb0EEEEDaS15_S16_EUlS15_E_NS1_11comp_targetILNS1_3genE8ELNS1_11target_archE1030ELNS1_3gpuE2ELNS1_3repE0EEENS1_30default_config_static_selectorELNS0_4arch9wavefront6targetE1EEEvT1_ ; -- Begin function _ZN7rocprim17ROCPRIM_400000_NS6detail17trampoline_kernelINS0_14default_configENS1_25partition_config_selectorILNS1_17partition_subalgoE9EllbEEZZNS1_14partition_implILS5_9ELb0ES3_jPlS8_PNS0_10empty_typeENS0_5tupleIJS8_S9_EEENSB_IJS8_SA_EEENS0_18inequality_wrapperIZN2at6native12_GLOBAL__N_124unique_dim_cuda_templateIbEESt5tupleIJNSF_6TensorESK_SK_EERKSK_lbbbEUlllE0_EEPmJS9_EEE10hipError_tPvRmT3_T4_T5_T6_T7_T9_mT8_P12ihipStream_tbDpT10_ENKUlT_T0_E_clISt17integral_constantIbLb1EES19_IbLb0EEEEDaS15_S16_EUlS15_E_NS1_11comp_targetILNS1_3genE8ELNS1_11target_archE1030ELNS1_3gpuE2ELNS1_3repE0EEENS1_30default_config_static_selectorELNS0_4arch9wavefront6targetE1EEEvT1_
	.p2align	8
	.type	_ZN7rocprim17ROCPRIM_400000_NS6detail17trampoline_kernelINS0_14default_configENS1_25partition_config_selectorILNS1_17partition_subalgoE9EllbEEZZNS1_14partition_implILS5_9ELb0ES3_jPlS8_PNS0_10empty_typeENS0_5tupleIJS8_S9_EEENSB_IJS8_SA_EEENS0_18inequality_wrapperIZN2at6native12_GLOBAL__N_124unique_dim_cuda_templateIbEESt5tupleIJNSF_6TensorESK_SK_EERKSK_lbbbEUlllE0_EEPmJS9_EEE10hipError_tPvRmT3_T4_T5_T6_T7_T9_mT8_P12ihipStream_tbDpT10_ENKUlT_T0_E_clISt17integral_constantIbLb1EES19_IbLb0EEEEDaS15_S16_EUlS15_E_NS1_11comp_targetILNS1_3genE8ELNS1_11target_archE1030ELNS1_3gpuE2ELNS1_3repE0EEENS1_30default_config_static_selectorELNS0_4arch9wavefront6targetE1EEEvT1_,@function
_ZN7rocprim17ROCPRIM_400000_NS6detail17trampoline_kernelINS0_14default_configENS1_25partition_config_selectorILNS1_17partition_subalgoE9EllbEEZZNS1_14partition_implILS5_9ELb0ES3_jPlS8_PNS0_10empty_typeENS0_5tupleIJS8_S9_EEENSB_IJS8_SA_EEENS0_18inequality_wrapperIZN2at6native12_GLOBAL__N_124unique_dim_cuda_templateIbEESt5tupleIJNSF_6TensorESK_SK_EERKSK_lbbbEUlllE0_EEPmJS9_EEE10hipError_tPvRmT3_T4_T5_T6_T7_T9_mT8_P12ihipStream_tbDpT10_ENKUlT_T0_E_clISt17integral_constantIbLb1EES19_IbLb0EEEEDaS15_S16_EUlS15_E_NS1_11comp_targetILNS1_3genE8ELNS1_11target_archE1030ELNS1_3gpuE2ELNS1_3repE0EEENS1_30default_config_static_selectorELNS0_4arch9wavefront6targetE1EEEvT1_: ; @_ZN7rocprim17ROCPRIM_400000_NS6detail17trampoline_kernelINS0_14default_configENS1_25partition_config_selectorILNS1_17partition_subalgoE9EllbEEZZNS1_14partition_implILS5_9ELb0ES3_jPlS8_PNS0_10empty_typeENS0_5tupleIJS8_S9_EEENSB_IJS8_SA_EEENS0_18inequality_wrapperIZN2at6native12_GLOBAL__N_124unique_dim_cuda_templateIbEESt5tupleIJNSF_6TensorESK_SK_EERKSK_lbbbEUlllE0_EEPmJS9_EEE10hipError_tPvRmT3_T4_T5_T6_T7_T9_mT8_P12ihipStream_tbDpT10_ENKUlT_T0_E_clISt17integral_constantIbLb1EES19_IbLb0EEEEDaS15_S16_EUlS15_E_NS1_11comp_targetILNS1_3genE8ELNS1_11target_archE1030ELNS1_3gpuE2ELNS1_3repE0EEENS1_30default_config_static_selectorELNS0_4arch9wavefront6targetE1EEEvT1_
; %bb.0:
	.section	.rodata,"a",@progbits
	.p2align	6, 0x0
	.amdhsa_kernel _ZN7rocprim17ROCPRIM_400000_NS6detail17trampoline_kernelINS0_14default_configENS1_25partition_config_selectorILNS1_17partition_subalgoE9EllbEEZZNS1_14partition_implILS5_9ELb0ES3_jPlS8_PNS0_10empty_typeENS0_5tupleIJS8_S9_EEENSB_IJS8_SA_EEENS0_18inequality_wrapperIZN2at6native12_GLOBAL__N_124unique_dim_cuda_templateIbEESt5tupleIJNSF_6TensorESK_SK_EERKSK_lbbbEUlllE0_EEPmJS9_EEE10hipError_tPvRmT3_T4_T5_T6_T7_T9_mT8_P12ihipStream_tbDpT10_ENKUlT_T0_E_clISt17integral_constantIbLb1EES19_IbLb0EEEEDaS15_S16_EUlS15_E_NS1_11comp_targetILNS1_3genE8ELNS1_11target_archE1030ELNS1_3gpuE2ELNS1_3repE0EEENS1_30default_config_static_selectorELNS0_4arch9wavefront6targetE1EEEvT1_
		.amdhsa_group_segment_fixed_size 0
		.amdhsa_private_segment_fixed_size 0
		.amdhsa_kernarg_size 120
		.amdhsa_user_sgpr_count 2
		.amdhsa_user_sgpr_dispatch_ptr 0
		.amdhsa_user_sgpr_queue_ptr 0
		.amdhsa_user_sgpr_kernarg_segment_ptr 1
		.amdhsa_user_sgpr_dispatch_id 0
		.amdhsa_user_sgpr_kernarg_preload_length 0
		.amdhsa_user_sgpr_kernarg_preload_offset 0
		.amdhsa_user_sgpr_private_segment_size 0
		.amdhsa_uses_dynamic_stack 0
		.amdhsa_enable_private_segment 0
		.amdhsa_system_sgpr_workgroup_id_x 1
		.amdhsa_system_sgpr_workgroup_id_y 0
		.amdhsa_system_sgpr_workgroup_id_z 0
		.amdhsa_system_sgpr_workgroup_info 0
		.amdhsa_system_vgpr_workitem_id 0
		.amdhsa_next_free_vgpr 1
		.amdhsa_next_free_sgpr 0
		.amdhsa_accum_offset 4
		.amdhsa_reserve_vcc 0
		.amdhsa_float_round_mode_32 0
		.amdhsa_float_round_mode_16_64 0
		.amdhsa_float_denorm_mode_32 3
		.amdhsa_float_denorm_mode_16_64 3
		.amdhsa_dx10_clamp 1
		.amdhsa_ieee_mode 1
		.amdhsa_fp16_overflow 0
		.amdhsa_tg_split 0
		.amdhsa_exception_fp_ieee_invalid_op 0
		.amdhsa_exception_fp_denorm_src 0
		.amdhsa_exception_fp_ieee_div_zero 0
		.amdhsa_exception_fp_ieee_overflow 0
		.amdhsa_exception_fp_ieee_underflow 0
		.amdhsa_exception_fp_ieee_inexact 0
		.amdhsa_exception_int_div_zero 0
	.end_amdhsa_kernel
	.section	.text._ZN7rocprim17ROCPRIM_400000_NS6detail17trampoline_kernelINS0_14default_configENS1_25partition_config_selectorILNS1_17partition_subalgoE9EllbEEZZNS1_14partition_implILS5_9ELb0ES3_jPlS8_PNS0_10empty_typeENS0_5tupleIJS8_S9_EEENSB_IJS8_SA_EEENS0_18inequality_wrapperIZN2at6native12_GLOBAL__N_124unique_dim_cuda_templateIbEESt5tupleIJNSF_6TensorESK_SK_EERKSK_lbbbEUlllE0_EEPmJS9_EEE10hipError_tPvRmT3_T4_T5_T6_T7_T9_mT8_P12ihipStream_tbDpT10_ENKUlT_T0_E_clISt17integral_constantIbLb1EES19_IbLb0EEEEDaS15_S16_EUlS15_E_NS1_11comp_targetILNS1_3genE8ELNS1_11target_archE1030ELNS1_3gpuE2ELNS1_3repE0EEENS1_30default_config_static_selectorELNS0_4arch9wavefront6targetE1EEEvT1_,"axG",@progbits,_ZN7rocprim17ROCPRIM_400000_NS6detail17trampoline_kernelINS0_14default_configENS1_25partition_config_selectorILNS1_17partition_subalgoE9EllbEEZZNS1_14partition_implILS5_9ELb0ES3_jPlS8_PNS0_10empty_typeENS0_5tupleIJS8_S9_EEENSB_IJS8_SA_EEENS0_18inequality_wrapperIZN2at6native12_GLOBAL__N_124unique_dim_cuda_templateIbEESt5tupleIJNSF_6TensorESK_SK_EERKSK_lbbbEUlllE0_EEPmJS9_EEE10hipError_tPvRmT3_T4_T5_T6_T7_T9_mT8_P12ihipStream_tbDpT10_ENKUlT_T0_E_clISt17integral_constantIbLb1EES19_IbLb0EEEEDaS15_S16_EUlS15_E_NS1_11comp_targetILNS1_3genE8ELNS1_11target_archE1030ELNS1_3gpuE2ELNS1_3repE0EEENS1_30default_config_static_selectorELNS0_4arch9wavefront6targetE1EEEvT1_,comdat
.Lfunc_end1114:
	.size	_ZN7rocprim17ROCPRIM_400000_NS6detail17trampoline_kernelINS0_14default_configENS1_25partition_config_selectorILNS1_17partition_subalgoE9EllbEEZZNS1_14partition_implILS5_9ELb0ES3_jPlS8_PNS0_10empty_typeENS0_5tupleIJS8_S9_EEENSB_IJS8_SA_EEENS0_18inequality_wrapperIZN2at6native12_GLOBAL__N_124unique_dim_cuda_templateIbEESt5tupleIJNSF_6TensorESK_SK_EERKSK_lbbbEUlllE0_EEPmJS9_EEE10hipError_tPvRmT3_T4_T5_T6_T7_T9_mT8_P12ihipStream_tbDpT10_ENKUlT_T0_E_clISt17integral_constantIbLb1EES19_IbLb0EEEEDaS15_S16_EUlS15_E_NS1_11comp_targetILNS1_3genE8ELNS1_11target_archE1030ELNS1_3gpuE2ELNS1_3repE0EEENS1_30default_config_static_selectorELNS0_4arch9wavefront6targetE1EEEvT1_, .Lfunc_end1114-_ZN7rocprim17ROCPRIM_400000_NS6detail17trampoline_kernelINS0_14default_configENS1_25partition_config_selectorILNS1_17partition_subalgoE9EllbEEZZNS1_14partition_implILS5_9ELb0ES3_jPlS8_PNS0_10empty_typeENS0_5tupleIJS8_S9_EEENSB_IJS8_SA_EEENS0_18inequality_wrapperIZN2at6native12_GLOBAL__N_124unique_dim_cuda_templateIbEESt5tupleIJNSF_6TensorESK_SK_EERKSK_lbbbEUlllE0_EEPmJS9_EEE10hipError_tPvRmT3_T4_T5_T6_T7_T9_mT8_P12ihipStream_tbDpT10_ENKUlT_T0_E_clISt17integral_constantIbLb1EES19_IbLb0EEEEDaS15_S16_EUlS15_E_NS1_11comp_targetILNS1_3genE8ELNS1_11target_archE1030ELNS1_3gpuE2ELNS1_3repE0EEENS1_30default_config_static_selectorELNS0_4arch9wavefront6targetE1EEEvT1_
                                        ; -- End function
	.section	.AMDGPU.csdata,"",@progbits
; Kernel info:
; codeLenInByte = 0
; NumSgprs: 6
; NumVgprs: 0
; NumAgprs: 0
; TotalNumVgprs: 0
; ScratchSize: 0
; MemoryBound: 0
; FloatMode: 240
; IeeeMode: 1
; LDSByteSize: 0 bytes/workgroup (compile time only)
; SGPRBlocks: 0
; VGPRBlocks: 0
; NumSGPRsForWavesPerEU: 6
; NumVGPRsForWavesPerEU: 1
; AccumOffset: 4
; Occupancy: 8
; WaveLimiterHint : 0
; COMPUTE_PGM_RSRC2:SCRATCH_EN: 0
; COMPUTE_PGM_RSRC2:USER_SGPR: 2
; COMPUTE_PGM_RSRC2:TRAP_HANDLER: 0
; COMPUTE_PGM_RSRC2:TGID_X_EN: 1
; COMPUTE_PGM_RSRC2:TGID_Y_EN: 0
; COMPUTE_PGM_RSRC2:TGID_Z_EN: 0
; COMPUTE_PGM_RSRC2:TIDIG_COMP_CNT: 0
; COMPUTE_PGM_RSRC3_GFX90A:ACCUM_OFFSET: 0
; COMPUTE_PGM_RSRC3_GFX90A:TG_SPLIT: 0
	.section	.text._ZN7rocprim17ROCPRIM_400000_NS6detail17trampoline_kernelINS0_14default_configENS1_25partition_config_selectorILNS1_17partition_subalgoE9EllbEEZZNS1_14partition_implILS5_9ELb0ES3_jPlS8_PNS0_10empty_typeENS0_5tupleIJS8_S9_EEENSB_IJS8_SA_EEENS0_18inequality_wrapperIZN2at6native12_GLOBAL__N_124unique_dim_cuda_templateIbEESt5tupleIJNSF_6TensorESK_SK_EERKSK_lbbbEUlllE0_EEPmJS9_EEE10hipError_tPvRmT3_T4_T5_T6_T7_T9_mT8_P12ihipStream_tbDpT10_ENKUlT_T0_E_clISt17integral_constantIbLb0EES19_IbLb1EEEEDaS15_S16_EUlS15_E_NS1_11comp_targetILNS1_3genE0ELNS1_11target_archE4294967295ELNS1_3gpuE0ELNS1_3repE0EEENS1_30default_config_static_selectorELNS0_4arch9wavefront6targetE1EEEvT1_,"axG",@progbits,_ZN7rocprim17ROCPRIM_400000_NS6detail17trampoline_kernelINS0_14default_configENS1_25partition_config_selectorILNS1_17partition_subalgoE9EllbEEZZNS1_14partition_implILS5_9ELb0ES3_jPlS8_PNS0_10empty_typeENS0_5tupleIJS8_S9_EEENSB_IJS8_SA_EEENS0_18inequality_wrapperIZN2at6native12_GLOBAL__N_124unique_dim_cuda_templateIbEESt5tupleIJNSF_6TensorESK_SK_EERKSK_lbbbEUlllE0_EEPmJS9_EEE10hipError_tPvRmT3_T4_T5_T6_T7_T9_mT8_P12ihipStream_tbDpT10_ENKUlT_T0_E_clISt17integral_constantIbLb0EES19_IbLb1EEEEDaS15_S16_EUlS15_E_NS1_11comp_targetILNS1_3genE0ELNS1_11target_archE4294967295ELNS1_3gpuE0ELNS1_3repE0EEENS1_30default_config_static_selectorELNS0_4arch9wavefront6targetE1EEEvT1_,comdat
	.globl	_ZN7rocprim17ROCPRIM_400000_NS6detail17trampoline_kernelINS0_14default_configENS1_25partition_config_selectorILNS1_17partition_subalgoE9EllbEEZZNS1_14partition_implILS5_9ELb0ES3_jPlS8_PNS0_10empty_typeENS0_5tupleIJS8_S9_EEENSB_IJS8_SA_EEENS0_18inequality_wrapperIZN2at6native12_GLOBAL__N_124unique_dim_cuda_templateIbEESt5tupleIJNSF_6TensorESK_SK_EERKSK_lbbbEUlllE0_EEPmJS9_EEE10hipError_tPvRmT3_T4_T5_T6_T7_T9_mT8_P12ihipStream_tbDpT10_ENKUlT_T0_E_clISt17integral_constantIbLb0EES19_IbLb1EEEEDaS15_S16_EUlS15_E_NS1_11comp_targetILNS1_3genE0ELNS1_11target_archE4294967295ELNS1_3gpuE0ELNS1_3repE0EEENS1_30default_config_static_selectorELNS0_4arch9wavefront6targetE1EEEvT1_ ; -- Begin function _ZN7rocprim17ROCPRIM_400000_NS6detail17trampoline_kernelINS0_14default_configENS1_25partition_config_selectorILNS1_17partition_subalgoE9EllbEEZZNS1_14partition_implILS5_9ELb0ES3_jPlS8_PNS0_10empty_typeENS0_5tupleIJS8_S9_EEENSB_IJS8_SA_EEENS0_18inequality_wrapperIZN2at6native12_GLOBAL__N_124unique_dim_cuda_templateIbEESt5tupleIJNSF_6TensorESK_SK_EERKSK_lbbbEUlllE0_EEPmJS9_EEE10hipError_tPvRmT3_T4_T5_T6_T7_T9_mT8_P12ihipStream_tbDpT10_ENKUlT_T0_E_clISt17integral_constantIbLb0EES19_IbLb1EEEEDaS15_S16_EUlS15_E_NS1_11comp_targetILNS1_3genE0ELNS1_11target_archE4294967295ELNS1_3gpuE0ELNS1_3repE0EEENS1_30default_config_static_selectorELNS0_4arch9wavefront6targetE1EEEvT1_
	.p2align	8
	.type	_ZN7rocprim17ROCPRIM_400000_NS6detail17trampoline_kernelINS0_14default_configENS1_25partition_config_selectorILNS1_17partition_subalgoE9EllbEEZZNS1_14partition_implILS5_9ELb0ES3_jPlS8_PNS0_10empty_typeENS0_5tupleIJS8_S9_EEENSB_IJS8_SA_EEENS0_18inequality_wrapperIZN2at6native12_GLOBAL__N_124unique_dim_cuda_templateIbEESt5tupleIJNSF_6TensorESK_SK_EERKSK_lbbbEUlllE0_EEPmJS9_EEE10hipError_tPvRmT3_T4_T5_T6_T7_T9_mT8_P12ihipStream_tbDpT10_ENKUlT_T0_E_clISt17integral_constantIbLb0EES19_IbLb1EEEEDaS15_S16_EUlS15_E_NS1_11comp_targetILNS1_3genE0ELNS1_11target_archE4294967295ELNS1_3gpuE0ELNS1_3repE0EEENS1_30default_config_static_selectorELNS0_4arch9wavefront6targetE1EEEvT1_,@function
_ZN7rocprim17ROCPRIM_400000_NS6detail17trampoline_kernelINS0_14default_configENS1_25partition_config_selectorILNS1_17partition_subalgoE9EllbEEZZNS1_14partition_implILS5_9ELb0ES3_jPlS8_PNS0_10empty_typeENS0_5tupleIJS8_S9_EEENSB_IJS8_SA_EEENS0_18inequality_wrapperIZN2at6native12_GLOBAL__N_124unique_dim_cuda_templateIbEESt5tupleIJNSF_6TensorESK_SK_EERKSK_lbbbEUlllE0_EEPmJS9_EEE10hipError_tPvRmT3_T4_T5_T6_T7_T9_mT8_P12ihipStream_tbDpT10_ENKUlT_T0_E_clISt17integral_constantIbLb0EES19_IbLb1EEEEDaS15_S16_EUlS15_E_NS1_11comp_targetILNS1_3genE0ELNS1_11target_archE4294967295ELNS1_3gpuE0ELNS1_3repE0EEENS1_30default_config_static_selectorELNS0_4arch9wavefront6targetE1EEEvT1_: ; @_ZN7rocprim17ROCPRIM_400000_NS6detail17trampoline_kernelINS0_14default_configENS1_25partition_config_selectorILNS1_17partition_subalgoE9EllbEEZZNS1_14partition_implILS5_9ELb0ES3_jPlS8_PNS0_10empty_typeENS0_5tupleIJS8_S9_EEENSB_IJS8_SA_EEENS0_18inequality_wrapperIZN2at6native12_GLOBAL__N_124unique_dim_cuda_templateIbEESt5tupleIJNSF_6TensorESK_SK_EERKSK_lbbbEUlllE0_EEPmJS9_EEE10hipError_tPvRmT3_T4_T5_T6_T7_T9_mT8_P12ihipStream_tbDpT10_ENKUlT_T0_E_clISt17integral_constantIbLb0EES19_IbLb1EEEEDaS15_S16_EUlS15_E_NS1_11comp_targetILNS1_3genE0ELNS1_11target_archE4294967295ELNS1_3gpuE0ELNS1_3repE0EEENS1_30default_config_static_selectorELNS0_4arch9wavefront6targetE1EEEvT1_
; %bb.0:
	.section	.rodata,"a",@progbits
	.p2align	6, 0x0
	.amdhsa_kernel _ZN7rocprim17ROCPRIM_400000_NS6detail17trampoline_kernelINS0_14default_configENS1_25partition_config_selectorILNS1_17partition_subalgoE9EllbEEZZNS1_14partition_implILS5_9ELb0ES3_jPlS8_PNS0_10empty_typeENS0_5tupleIJS8_S9_EEENSB_IJS8_SA_EEENS0_18inequality_wrapperIZN2at6native12_GLOBAL__N_124unique_dim_cuda_templateIbEESt5tupleIJNSF_6TensorESK_SK_EERKSK_lbbbEUlllE0_EEPmJS9_EEE10hipError_tPvRmT3_T4_T5_T6_T7_T9_mT8_P12ihipStream_tbDpT10_ENKUlT_T0_E_clISt17integral_constantIbLb0EES19_IbLb1EEEEDaS15_S16_EUlS15_E_NS1_11comp_targetILNS1_3genE0ELNS1_11target_archE4294967295ELNS1_3gpuE0ELNS1_3repE0EEENS1_30default_config_static_selectorELNS0_4arch9wavefront6targetE1EEEvT1_
		.amdhsa_group_segment_fixed_size 0
		.amdhsa_private_segment_fixed_size 0
		.amdhsa_kernarg_size 136
		.amdhsa_user_sgpr_count 2
		.amdhsa_user_sgpr_dispatch_ptr 0
		.amdhsa_user_sgpr_queue_ptr 0
		.amdhsa_user_sgpr_kernarg_segment_ptr 1
		.amdhsa_user_sgpr_dispatch_id 0
		.amdhsa_user_sgpr_kernarg_preload_length 0
		.amdhsa_user_sgpr_kernarg_preload_offset 0
		.amdhsa_user_sgpr_private_segment_size 0
		.amdhsa_uses_dynamic_stack 0
		.amdhsa_enable_private_segment 0
		.amdhsa_system_sgpr_workgroup_id_x 1
		.amdhsa_system_sgpr_workgroup_id_y 0
		.amdhsa_system_sgpr_workgroup_id_z 0
		.amdhsa_system_sgpr_workgroup_info 0
		.amdhsa_system_vgpr_workitem_id 0
		.amdhsa_next_free_vgpr 1
		.amdhsa_next_free_sgpr 0
		.amdhsa_accum_offset 4
		.amdhsa_reserve_vcc 0
		.amdhsa_float_round_mode_32 0
		.amdhsa_float_round_mode_16_64 0
		.amdhsa_float_denorm_mode_32 3
		.amdhsa_float_denorm_mode_16_64 3
		.amdhsa_dx10_clamp 1
		.amdhsa_ieee_mode 1
		.amdhsa_fp16_overflow 0
		.amdhsa_tg_split 0
		.amdhsa_exception_fp_ieee_invalid_op 0
		.amdhsa_exception_fp_denorm_src 0
		.amdhsa_exception_fp_ieee_div_zero 0
		.amdhsa_exception_fp_ieee_overflow 0
		.amdhsa_exception_fp_ieee_underflow 0
		.amdhsa_exception_fp_ieee_inexact 0
		.amdhsa_exception_int_div_zero 0
	.end_amdhsa_kernel
	.section	.text._ZN7rocprim17ROCPRIM_400000_NS6detail17trampoline_kernelINS0_14default_configENS1_25partition_config_selectorILNS1_17partition_subalgoE9EllbEEZZNS1_14partition_implILS5_9ELb0ES3_jPlS8_PNS0_10empty_typeENS0_5tupleIJS8_S9_EEENSB_IJS8_SA_EEENS0_18inequality_wrapperIZN2at6native12_GLOBAL__N_124unique_dim_cuda_templateIbEESt5tupleIJNSF_6TensorESK_SK_EERKSK_lbbbEUlllE0_EEPmJS9_EEE10hipError_tPvRmT3_T4_T5_T6_T7_T9_mT8_P12ihipStream_tbDpT10_ENKUlT_T0_E_clISt17integral_constantIbLb0EES19_IbLb1EEEEDaS15_S16_EUlS15_E_NS1_11comp_targetILNS1_3genE0ELNS1_11target_archE4294967295ELNS1_3gpuE0ELNS1_3repE0EEENS1_30default_config_static_selectorELNS0_4arch9wavefront6targetE1EEEvT1_,"axG",@progbits,_ZN7rocprim17ROCPRIM_400000_NS6detail17trampoline_kernelINS0_14default_configENS1_25partition_config_selectorILNS1_17partition_subalgoE9EllbEEZZNS1_14partition_implILS5_9ELb0ES3_jPlS8_PNS0_10empty_typeENS0_5tupleIJS8_S9_EEENSB_IJS8_SA_EEENS0_18inequality_wrapperIZN2at6native12_GLOBAL__N_124unique_dim_cuda_templateIbEESt5tupleIJNSF_6TensorESK_SK_EERKSK_lbbbEUlllE0_EEPmJS9_EEE10hipError_tPvRmT3_T4_T5_T6_T7_T9_mT8_P12ihipStream_tbDpT10_ENKUlT_T0_E_clISt17integral_constantIbLb0EES19_IbLb1EEEEDaS15_S16_EUlS15_E_NS1_11comp_targetILNS1_3genE0ELNS1_11target_archE4294967295ELNS1_3gpuE0ELNS1_3repE0EEENS1_30default_config_static_selectorELNS0_4arch9wavefront6targetE1EEEvT1_,comdat
.Lfunc_end1115:
	.size	_ZN7rocprim17ROCPRIM_400000_NS6detail17trampoline_kernelINS0_14default_configENS1_25partition_config_selectorILNS1_17partition_subalgoE9EllbEEZZNS1_14partition_implILS5_9ELb0ES3_jPlS8_PNS0_10empty_typeENS0_5tupleIJS8_S9_EEENSB_IJS8_SA_EEENS0_18inequality_wrapperIZN2at6native12_GLOBAL__N_124unique_dim_cuda_templateIbEESt5tupleIJNSF_6TensorESK_SK_EERKSK_lbbbEUlllE0_EEPmJS9_EEE10hipError_tPvRmT3_T4_T5_T6_T7_T9_mT8_P12ihipStream_tbDpT10_ENKUlT_T0_E_clISt17integral_constantIbLb0EES19_IbLb1EEEEDaS15_S16_EUlS15_E_NS1_11comp_targetILNS1_3genE0ELNS1_11target_archE4294967295ELNS1_3gpuE0ELNS1_3repE0EEENS1_30default_config_static_selectorELNS0_4arch9wavefront6targetE1EEEvT1_, .Lfunc_end1115-_ZN7rocprim17ROCPRIM_400000_NS6detail17trampoline_kernelINS0_14default_configENS1_25partition_config_selectorILNS1_17partition_subalgoE9EllbEEZZNS1_14partition_implILS5_9ELb0ES3_jPlS8_PNS0_10empty_typeENS0_5tupleIJS8_S9_EEENSB_IJS8_SA_EEENS0_18inequality_wrapperIZN2at6native12_GLOBAL__N_124unique_dim_cuda_templateIbEESt5tupleIJNSF_6TensorESK_SK_EERKSK_lbbbEUlllE0_EEPmJS9_EEE10hipError_tPvRmT3_T4_T5_T6_T7_T9_mT8_P12ihipStream_tbDpT10_ENKUlT_T0_E_clISt17integral_constantIbLb0EES19_IbLb1EEEEDaS15_S16_EUlS15_E_NS1_11comp_targetILNS1_3genE0ELNS1_11target_archE4294967295ELNS1_3gpuE0ELNS1_3repE0EEENS1_30default_config_static_selectorELNS0_4arch9wavefront6targetE1EEEvT1_
                                        ; -- End function
	.section	.AMDGPU.csdata,"",@progbits
; Kernel info:
; codeLenInByte = 0
; NumSgprs: 6
; NumVgprs: 0
; NumAgprs: 0
; TotalNumVgprs: 0
; ScratchSize: 0
; MemoryBound: 0
; FloatMode: 240
; IeeeMode: 1
; LDSByteSize: 0 bytes/workgroup (compile time only)
; SGPRBlocks: 0
; VGPRBlocks: 0
; NumSGPRsForWavesPerEU: 6
; NumVGPRsForWavesPerEU: 1
; AccumOffset: 4
; Occupancy: 8
; WaveLimiterHint : 0
; COMPUTE_PGM_RSRC2:SCRATCH_EN: 0
; COMPUTE_PGM_RSRC2:USER_SGPR: 2
; COMPUTE_PGM_RSRC2:TRAP_HANDLER: 0
; COMPUTE_PGM_RSRC2:TGID_X_EN: 1
; COMPUTE_PGM_RSRC2:TGID_Y_EN: 0
; COMPUTE_PGM_RSRC2:TGID_Z_EN: 0
; COMPUTE_PGM_RSRC2:TIDIG_COMP_CNT: 0
; COMPUTE_PGM_RSRC3_GFX90A:ACCUM_OFFSET: 0
; COMPUTE_PGM_RSRC3_GFX90A:TG_SPLIT: 0
	.section	.text._ZN7rocprim17ROCPRIM_400000_NS6detail17trampoline_kernelINS0_14default_configENS1_25partition_config_selectorILNS1_17partition_subalgoE9EllbEEZZNS1_14partition_implILS5_9ELb0ES3_jPlS8_PNS0_10empty_typeENS0_5tupleIJS8_S9_EEENSB_IJS8_SA_EEENS0_18inequality_wrapperIZN2at6native12_GLOBAL__N_124unique_dim_cuda_templateIbEESt5tupleIJNSF_6TensorESK_SK_EERKSK_lbbbEUlllE0_EEPmJS9_EEE10hipError_tPvRmT3_T4_T5_T6_T7_T9_mT8_P12ihipStream_tbDpT10_ENKUlT_T0_E_clISt17integral_constantIbLb0EES19_IbLb1EEEEDaS15_S16_EUlS15_E_NS1_11comp_targetILNS1_3genE5ELNS1_11target_archE942ELNS1_3gpuE9ELNS1_3repE0EEENS1_30default_config_static_selectorELNS0_4arch9wavefront6targetE1EEEvT1_,"axG",@progbits,_ZN7rocprim17ROCPRIM_400000_NS6detail17trampoline_kernelINS0_14default_configENS1_25partition_config_selectorILNS1_17partition_subalgoE9EllbEEZZNS1_14partition_implILS5_9ELb0ES3_jPlS8_PNS0_10empty_typeENS0_5tupleIJS8_S9_EEENSB_IJS8_SA_EEENS0_18inequality_wrapperIZN2at6native12_GLOBAL__N_124unique_dim_cuda_templateIbEESt5tupleIJNSF_6TensorESK_SK_EERKSK_lbbbEUlllE0_EEPmJS9_EEE10hipError_tPvRmT3_T4_T5_T6_T7_T9_mT8_P12ihipStream_tbDpT10_ENKUlT_T0_E_clISt17integral_constantIbLb0EES19_IbLb1EEEEDaS15_S16_EUlS15_E_NS1_11comp_targetILNS1_3genE5ELNS1_11target_archE942ELNS1_3gpuE9ELNS1_3repE0EEENS1_30default_config_static_selectorELNS0_4arch9wavefront6targetE1EEEvT1_,comdat
	.globl	_ZN7rocprim17ROCPRIM_400000_NS6detail17trampoline_kernelINS0_14default_configENS1_25partition_config_selectorILNS1_17partition_subalgoE9EllbEEZZNS1_14partition_implILS5_9ELb0ES3_jPlS8_PNS0_10empty_typeENS0_5tupleIJS8_S9_EEENSB_IJS8_SA_EEENS0_18inequality_wrapperIZN2at6native12_GLOBAL__N_124unique_dim_cuda_templateIbEESt5tupleIJNSF_6TensorESK_SK_EERKSK_lbbbEUlllE0_EEPmJS9_EEE10hipError_tPvRmT3_T4_T5_T6_T7_T9_mT8_P12ihipStream_tbDpT10_ENKUlT_T0_E_clISt17integral_constantIbLb0EES19_IbLb1EEEEDaS15_S16_EUlS15_E_NS1_11comp_targetILNS1_3genE5ELNS1_11target_archE942ELNS1_3gpuE9ELNS1_3repE0EEENS1_30default_config_static_selectorELNS0_4arch9wavefront6targetE1EEEvT1_ ; -- Begin function _ZN7rocprim17ROCPRIM_400000_NS6detail17trampoline_kernelINS0_14default_configENS1_25partition_config_selectorILNS1_17partition_subalgoE9EllbEEZZNS1_14partition_implILS5_9ELb0ES3_jPlS8_PNS0_10empty_typeENS0_5tupleIJS8_S9_EEENSB_IJS8_SA_EEENS0_18inequality_wrapperIZN2at6native12_GLOBAL__N_124unique_dim_cuda_templateIbEESt5tupleIJNSF_6TensorESK_SK_EERKSK_lbbbEUlllE0_EEPmJS9_EEE10hipError_tPvRmT3_T4_T5_T6_T7_T9_mT8_P12ihipStream_tbDpT10_ENKUlT_T0_E_clISt17integral_constantIbLb0EES19_IbLb1EEEEDaS15_S16_EUlS15_E_NS1_11comp_targetILNS1_3genE5ELNS1_11target_archE942ELNS1_3gpuE9ELNS1_3repE0EEENS1_30default_config_static_selectorELNS0_4arch9wavefront6targetE1EEEvT1_
	.p2align	8
	.type	_ZN7rocprim17ROCPRIM_400000_NS6detail17trampoline_kernelINS0_14default_configENS1_25partition_config_selectorILNS1_17partition_subalgoE9EllbEEZZNS1_14partition_implILS5_9ELb0ES3_jPlS8_PNS0_10empty_typeENS0_5tupleIJS8_S9_EEENSB_IJS8_SA_EEENS0_18inequality_wrapperIZN2at6native12_GLOBAL__N_124unique_dim_cuda_templateIbEESt5tupleIJNSF_6TensorESK_SK_EERKSK_lbbbEUlllE0_EEPmJS9_EEE10hipError_tPvRmT3_T4_T5_T6_T7_T9_mT8_P12ihipStream_tbDpT10_ENKUlT_T0_E_clISt17integral_constantIbLb0EES19_IbLb1EEEEDaS15_S16_EUlS15_E_NS1_11comp_targetILNS1_3genE5ELNS1_11target_archE942ELNS1_3gpuE9ELNS1_3repE0EEENS1_30default_config_static_selectorELNS0_4arch9wavefront6targetE1EEEvT1_,@function
_ZN7rocprim17ROCPRIM_400000_NS6detail17trampoline_kernelINS0_14default_configENS1_25partition_config_selectorILNS1_17partition_subalgoE9EllbEEZZNS1_14partition_implILS5_9ELb0ES3_jPlS8_PNS0_10empty_typeENS0_5tupleIJS8_S9_EEENSB_IJS8_SA_EEENS0_18inequality_wrapperIZN2at6native12_GLOBAL__N_124unique_dim_cuda_templateIbEESt5tupleIJNSF_6TensorESK_SK_EERKSK_lbbbEUlllE0_EEPmJS9_EEE10hipError_tPvRmT3_T4_T5_T6_T7_T9_mT8_P12ihipStream_tbDpT10_ENKUlT_T0_E_clISt17integral_constantIbLb0EES19_IbLb1EEEEDaS15_S16_EUlS15_E_NS1_11comp_targetILNS1_3genE5ELNS1_11target_archE942ELNS1_3gpuE9ELNS1_3repE0EEENS1_30default_config_static_selectorELNS0_4arch9wavefront6targetE1EEEvT1_: ; @_ZN7rocprim17ROCPRIM_400000_NS6detail17trampoline_kernelINS0_14default_configENS1_25partition_config_selectorILNS1_17partition_subalgoE9EllbEEZZNS1_14partition_implILS5_9ELb0ES3_jPlS8_PNS0_10empty_typeENS0_5tupleIJS8_S9_EEENSB_IJS8_SA_EEENS0_18inequality_wrapperIZN2at6native12_GLOBAL__N_124unique_dim_cuda_templateIbEESt5tupleIJNSF_6TensorESK_SK_EERKSK_lbbbEUlllE0_EEPmJS9_EEE10hipError_tPvRmT3_T4_T5_T6_T7_T9_mT8_P12ihipStream_tbDpT10_ENKUlT_T0_E_clISt17integral_constantIbLb0EES19_IbLb1EEEEDaS15_S16_EUlS15_E_NS1_11comp_targetILNS1_3genE5ELNS1_11target_archE942ELNS1_3gpuE9ELNS1_3repE0EEENS1_30default_config_static_selectorELNS0_4arch9wavefront6targetE1EEEvT1_
; %bb.0:
	s_load_dwordx4 s[4:7], s[0:1], 0x8
	s_load_dwordx2 s[10:11], s[0:1], 0x18
	s_load_dwordx8 s[20:27], s[0:1], 0x40
	s_load_dwordx4 s[36:39], s[0:1], 0x60
	v_cmp_ne_u32_e64 s[2:3], 0, v0
	v_cmp_eq_u32_e64 s[18:19], 0, v0
	s_and_saveexec_b64 s[8:9], s[18:19]
	s_cbranch_execz .LBB1116_4
; %bb.1:
	s_mov_b64 s[14:15], exec
	v_mbcnt_lo_u32_b32 v1, s14, 0
	v_mbcnt_hi_u32_b32 v1, s15, v1
	v_cmp_eq_u32_e32 vcc, 0, v1
                                        ; implicit-def: $vgpr2
	s_and_saveexec_b64 s[12:13], vcc
	s_cbranch_execz .LBB1116_3
; %bb.2:
	s_load_dwordx2 s[16:17], s[0:1], 0x78
	s_bcnt1_i32_b64 s14, s[14:15]
	v_mov_b32_e32 v2, 0
	v_mov_b32_e32 v3, s14
	s_waitcnt lgkmcnt(0)
	global_atomic_add v2, v2, v3, s[16:17] sc0
.LBB1116_3:
	s_or_b64 exec, exec, s[12:13]
	s_waitcnt vmcnt(0)
	v_readfirstlane_b32 s12, v2
	v_mov_b32_e32 v2, 0
	s_nop 0
	v_add_u32_e32 v1, s12, v1
	ds_write_b32 v2, v1
.LBB1116_4:
	s_or_b64 exec, exec, s[8:9]
	v_mov_b32_e32 v3, 0
	s_load_dwordx4 s[28:31], s[0:1], 0x28
	s_load_dword s8, s[0:1], 0x70
	s_waitcnt lgkmcnt(0)
	s_barrier
	ds_read_b32 v1, v3
	s_waitcnt lgkmcnt(0)
	s_barrier
	global_load_dwordx2 v[4:5], v3, s[22:23]
	s_lshl_b64 s[12:13], s[6:7], 3
	s_mul_i32 s14, s8, 0xe00
	s_add_u32 s16, s4, s12
	s_addc_u32 s17, s5, s13
	s_add_i32 s4, s14, s6
	s_sub_i32 s54, s24, s4
	s_add_i32 s15, s8, -1
	s_addk_i32 s54, 0xe00
	s_add_u32 s4, s6, s14
	v_readfirstlane_b32 s33, v1
	s_addc_u32 s5, s7, 0
	v_mov_b32_e32 v6, s24
	v_mov_b32_e32 v7, s25
	s_cmp_eq_u32 s33, s15
	s_mov_b32 s9, 0
	s_mul_i32 s8, s33, 0xe00
	v_cmp_ge_u64_e32 vcc, s[4:5], v[6:7]
	s_cselect_b64 s[24:25], -1, 0
	s_lshl_b64 s[14:15], s[8:9], 3
	s_and_b64 s[8:9], vcc, s[24:25]
	s_xor_b64 s[34:35], s[8:9], -1
	s_add_u32 s4, s16, s14
	s_mov_b64 s[0:1], -1
	s_addc_u32 s5, s17, s15
	s_and_b64 vcc, exec, s[34:35]
	s_waitcnt vmcnt(0)
	v_readfirstlane_b32 s22, v4
	v_readfirstlane_b32 s23, v5
	s_cbranch_vccz .LBB1116_6
; %bb.5:
	v_lshlrev_b32_e32 v2, 3, v0
	v_lshl_add_u64 v[4:5], s[4:5], 0, v[2:3]
	v_add_co_u32_e32 v8, vcc, 0x1000, v4
	global_load_dwordx2 v[6:7], v2, s[4:5]
	s_nop 0
	v_addc_co_u32_e32 v9, vcc, 0, v5, vcc
	v_add_co_u32_e32 v10, vcc, 0x2000, v4
	s_mov_b64 s[0:1], 0
	s_nop 0
	v_addc_co_u32_e32 v11, vcc, 0, v5, vcc
	v_add_co_u32_e32 v12, vcc, 0x3000, v4
	s_nop 1
	v_addc_co_u32_e32 v13, vcc, 0, v5, vcc
	v_add_co_u32_e32 v14, vcc, 0x4000, v4
	s_nop 1
	v_addc_co_u32_e32 v15, vcc, 0, v5, vcc
	global_load_dwordx2 v[16:17], v[8:9], off
	global_load_dwordx2 v[18:19], v[10:11], off
	;; [unrolled: 1-line block ×4, first 2 shown]
	v_add_co_u32_e32 v8, vcc, 0x5000, v4
	s_nop 1
	v_addc_co_u32_e32 v9, vcc, 0, v5, vcc
	v_add_co_u32_e32 v4, vcc, 0x6000, v4
	global_load_dwordx2 v[8:9], v[8:9], off
	s_nop 0
	v_addc_co_u32_e32 v5, vcc, 0, v5, vcc
	global_load_dwordx2 v[4:5], v[4:5], off
	s_waitcnt vmcnt(5)
	ds_write2st64_b64 v2, v[6:7], v[16:17] offset1:8
	s_waitcnt vmcnt(3)
	ds_write2st64_b64 v2, v[18:19], v[20:21] offset0:16 offset1:24
	s_waitcnt vmcnt(1)
	ds_write2st64_b64 v2, v[22:23], v[8:9] offset0:32 offset1:40
	s_waitcnt vmcnt(0)
	ds_write_b64 v2, v[4:5] offset:24576
	s_waitcnt lgkmcnt(0)
	s_barrier
.LBB1116_6:
	s_andn2_b64 vcc, exec, s[0:1]
	v_cmp_gt_u32_e64 s[0:1], s54, v0
	s_cbranch_vccnz .LBB1116_22
; %bb.7:
                                        ; implicit-def: $vgpr2_vgpr3_vgpr4_vgpr5_vgpr6_vgpr7_vgpr8_vgpr9_vgpr10_vgpr11_vgpr12_vgpr13_vgpr14_vgpr15_vgpr16_vgpr17
	s_and_saveexec_b64 s[16:17], s[0:1]
	s_cbranch_execz .LBB1116_9
; %bb.8:
	v_lshlrev_b32_e32 v1, 3, v0
	global_load_dwordx2 v[2:3], v1, s[4:5]
.LBB1116_9:
	s_or_b64 exec, exec, s[16:17]
	v_or_b32_e32 v1, 0x200, v0
	v_cmp_gt_u32_e32 vcc, s54, v1
	s_and_saveexec_b64 s[0:1], vcc
	s_cbranch_execz .LBB1116_11
; %bb.10:
	v_lshlrev_b32_e32 v1, 3, v1
	global_load_dwordx2 v[4:5], v1, s[4:5]
.LBB1116_11:
	s_or_b64 exec, exec, s[0:1]
	v_or_b32_e32 v1, 0x400, v0
	v_cmp_gt_u32_e32 vcc, s54, v1
	s_and_saveexec_b64 s[0:1], vcc
	;; [unrolled: 9-line block ×6, first 2 shown]
	s_cbranch_execz .LBB1116_21
; %bb.20:
	v_lshlrev_b32_e32 v1, 3, v1
	global_load_dwordx2 v[14:15], v1, s[4:5]
.LBB1116_21:
	s_or_b64 exec, exec, s[0:1]
	v_lshlrev_b32_e32 v1, 3, v0
	s_waitcnt vmcnt(0)
	ds_write2st64_b64 v1, v[2:3], v[4:5] offset1:8
	ds_write2st64_b64 v1, v[6:7], v[8:9] offset0:16 offset1:24
	ds_write2st64_b64 v1, v[10:11], v[12:13] offset0:32 offset1:40
	ds_write_b64 v1, v[14:15] offset:24576
	s_waitcnt lgkmcnt(0)
	s_barrier
.LBB1116_22:
	v_mul_u32_u24_e32 v1, 7, v0
	v_lshlrev_b32_e32 v46, 3, v1
	ds_read2_b64 v[22:25], v46 offset1:1
	ds_read2_b64 v[18:21], v46 offset0:2 offset1:3
	ds_read2_b64 v[14:17], v46 offset0:4 offset1:5
	ds_read_b64 v[28:29], v46 offset:48
	s_add_u32 s0, s10, s12
	s_addc_u32 s1, s11, s13
	s_add_u32 s0, s0, s14
	s_addc_u32 s1, s1, s15
	s_mov_b64 s[10:11], -1
	s_and_b64 vcc, exec, s[34:35]
	s_waitcnt lgkmcnt(0)
	s_barrier
	s_cbranch_vccz .LBB1116_24
; %bb.23:
	v_lshlrev_b32_e32 v2, 3, v0
	v_mov_b32_e32 v3, 0
	v_lshl_add_u64 v[4:5], s[0:1], 0, v[2:3]
	v_add_co_u32_e32 v8, vcc, 0x1000, v4
	global_load_dwordx2 v[6:7], v2, s[0:1]
	s_nop 0
	v_addc_co_u32_e32 v9, vcc, 0, v5, vcc
	v_add_co_u32_e32 v10, vcc, 0x2000, v4
	s_mov_b64 s[10:11], 0
	s_nop 0
	v_addc_co_u32_e32 v11, vcc, 0, v5, vcc
	v_add_co_u32_e32 v12, vcc, 0x3000, v4
	s_nop 1
	v_addc_co_u32_e32 v13, vcc, 0, v5, vcc
	v_add_co_u32_e32 v26, vcc, 0x4000, v4
	s_nop 1
	v_addc_co_u32_e32 v27, vcc, 0, v5, vcc
	global_load_dwordx2 v[30:31], v[8:9], off
	global_load_dwordx2 v[32:33], v[10:11], off
	;; [unrolled: 1-line block ×4, first 2 shown]
	v_add_co_u32_e32 v8, vcc, 0x5000, v4
	s_nop 1
	v_addc_co_u32_e32 v9, vcc, 0, v5, vcc
	v_add_co_u32_e32 v4, vcc, 0x6000, v4
	global_load_dwordx2 v[8:9], v[8:9], off
	s_nop 0
	v_addc_co_u32_e32 v5, vcc, 0, v5, vcc
	global_load_dwordx2 v[4:5], v[4:5], off
	s_waitcnt vmcnt(5)
	ds_write2st64_b64 v2, v[6:7], v[30:31] offset1:8
	s_waitcnt vmcnt(3)
	ds_write2st64_b64 v2, v[32:33], v[34:35] offset0:16 offset1:24
	s_waitcnt vmcnt(1)
	ds_write2st64_b64 v2, v[36:37], v[8:9] offset0:32 offset1:40
	s_waitcnt vmcnt(0)
	ds_write_b64 v2, v[4:5] offset:24576
	s_waitcnt lgkmcnt(0)
	s_barrier
.LBB1116_24:
	s_andn2_b64 vcc, exec, s[10:11]
	s_cbranch_vccnz .LBB1116_40
; %bb.25:
	v_cmp_gt_u32_e32 vcc, s54, v0
                                        ; implicit-def: $vgpr2_vgpr3
	s_and_saveexec_b64 s[10:11], vcc
	s_cbranch_execz .LBB1116_27
; %bb.26:
	v_lshlrev_b32_e32 v2, 3, v0
	global_load_dwordx2 v[2:3], v2, s[0:1]
.LBB1116_27:
	s_or_b64 exec, exec, s[10:11]
	v_or_b32_e32 v6, 0x200, v0
	v_cmp_gt_u32_e32 vcc, s54, v6
                                        ; implicit-def: $vgpr4_vgpr5
	s_and_saveexec_b64 s[10:11], vcc
	s_cbranch_execz .LBB1116_29
; %bb.28:
	v_lshlrev_b32_e32 v4, 3, v6
	global_load_dwordx2 v[4:5], v4, s[0:1]
.LBB1116_29:
	s_or_b64 exec, exec, s[10:11]
	v_or_b32_e32 v8, 0x400, v0
	v_cmp_gt_u32_e32 vcc, s54, v8
                                        ; implicit-def: $vgpr6_vgpr7
	s_and_saveexec_b64 s[10:11], vcc
	s_cbranch_execz .LBB1116_31
; %bb.30:
	v_lshlrev_b32_e32 v6, 3, v8
	global_load_dwordx2 v[6:7], v6, s[0:1]
.LBB1116_31:
	s_or_b64 exec, exec, s[10:11]
	v_or_b32_e32 v10, 0x600, v0
	v_cmp_gt_u32_e32 vcc, s54, v10
                                        ; implicit-def: $vgpr8_vgpr9
	s_and_saveexec_b64 s[10:11], vcc
	s_cbranch_execz .LBB1116_33
; %bb.32:
	v_lshlrev_b32_e32 v8, 3, v10
	global_load_dwordx2 v[8:9], v8, s[0:1]
.LBB1116_33:
	s_or_b64 exec, exec, s[10:11]
	v_or_b32_e32 v12, 0x800, v0
	v_cmp_gt_u32_e32 vcc, s54, v12
                                        ; implicit-def: $vgpr10_vgpr11
	s_and_saveexec_b64 s[10:11], vcc
	s_cbranch_execz .LBB1116_35
; %bb.34:
	v_lshlrev_b32_e32 v10, 3, v12
	global_load_dwordx2 v[10:11], v10, s[0:1]
.LBB1116_35:
	s_or_b64 exec, exec, s[10:11]
	v_or_b32_e32 v26, 0xa00, v0
	v_cmp_gt_u32_e32 vcc, s54, v26
                                        ; implicit-def: $vgpr12_vgpr13
	s_and_saveexec_b64 s[10:11], vcc
	s_cbranch_execz .LBB1116_37
; %bb.36:
	v_lshlrev_b32_e32 v12, 3, v26
	global_load_dwordx2 v[12:13], v12, s[0:1]
.LBB1116_37:
	s_or_b64 exec, exec, s[10:11]
	v_or_b32_e32 v30, 0xc00, v0
	v_cmp_gt_u32_e32 vcc, s54, v30
                                        ; implicit-def: $vgpr26_vgpr27
	s_and_saveexec_b64 s[10:11], vcc
	s_cbranch_execz .LBB1116_39
; %bb.38:
	v_lshlrev_b32_e32 v26, 3, v30
	global_load_dwordx2 v[26:27], v26, s[0:1]
.LBB1116_39:
	s_or_b64 exec, exec, s[10:11]
	s_movk_i32 s0, 0xffd0
	v_mad_i32_i24 v30, v0, s0, v46
	s_waitcnt vmcnt(0)
	ds_write2st64_b64 v30, v[2:3], v[4:5] offset1:8
	ds_write2st64_b64 v30, v[6:7], v[8:9] offset0:16 offset1:24
	ds_write2st64_b64 v30, v[10:11], v[12:13] offset0:32 offset1:40
	ds_write_b64 v30, v[26:27] offset:24576
	s_waitcnt lgkmcnt(0)
	s_barrier
.LBB1116_40:
	ds_read2_b64 v[10:13], v46 offset1:1
	ds_read2_b64 v[6:9], v46 offset0:2 offset1:3
	ds_read2_b64 v[2:5], v46 offset0:4 offset1:5
	ds_read_b64 v[26:27], v46 offset:48
	s_cmp_lg_u32 s33, 0
	s_cselect_b64 s[16:17], -1, 0
	s_cmp_lg_u64 s[6:7], 0
	s_cselect_b64 s[0:1], -1, 0
	s_or_b64 s[0:1], s[0:1], s[16:17]
	v_add_u32_e32 v43, 1, v1
	v_add_u32_e32 v40, 2, v1
	;; [unrolled: 1-line block ×6, first 2 shown]
	s_mov_b64 s[10:11], 0
	s_and_b64 vcc, exec, s[0:1]
	v_cmp_lt_i64_e64 s[12:13], s[26:27], 1
	v_cmp_gt_i64_e64 s[6:7], s[26:27], 0
	s_waitcnt lgkmcnt(0)
	s_barrier
	s_cbranch_vccz .LBB1116_49
; %bb.41:
	v_mov_b32_e32 v32, 0
	global_load_dwordx2 v[30:31], v32, s[4:5] offset:-8
	v_lshlrev_b32_e32 v47, 3, v0
	s_mov_b64 s[0:1], 0
	s_and_b64 vcc, exec, s[34:35]
	ds_write_b64 v47, v[28:29]
	s_cbranch_vccz .LBB1116_51
; %bb.42:
	v_cndmask_b32_e64 v33, 0, 1, s[6:7]
	v_cmp_ne_u32_e64 s[4:5], 1, v33
	s_andn2_b64 vcc, exec, s[6:7]
	s_cbranch_vccnz .LBB1116_61
; %bb.43:
	v_mov_b64_e32 v[34:35], s[36:37]
	v_mad_u64_u32 v[32:33], s[0:1], v16, s26, v[34:35]
	v_mul_lo_u32 v36, v16, s27
	v_mul_lo_u32 v37, v17, s26
	v_add3_u32 v33, v37, v33, v36
	v_mad_u64_u32 v[34:35], s[0:1], v28, s26, v[34:35]
	v_mul_lo_u32 v36, v28, s27
	v_mul_lo_u32 v37, v29, s26
	v_add3_u32 v35, v37, v35, v36
	global_load_ubyte v36, v[32:33], off
	global_load_ubyte v37, v[34:35], off
	s_mov_b64 s[6:7], -1
	s_waitcnt vmcnt(1)
	v_cmp_ne_u16_e32 vcc, 0, v36
	s_waitcnt vmcnt(0)
	v_cmp_ne_u16_e64 s[0:1], 0, v37
	s_xor_b64 s[0:1], vcc, s[0:1]
	s_xor_b64 s[0:1], s[0:1], -1
	s_and_saveexec_b64 s[10:11], s[0:1]
	s_cbranch_execz .LBB1116_53
; %bb.44:
	s_mov_b64 s[42:43], 1
	s_mov_b64 s[14:15], 0
                                        ; implicit-def: $sgpr40_sgpr41
	s_branch .LBB1116_47
.LBB1116_45:                            ;   in Loop: Header=BB1116_47 Depth=1
	v_lshl_add_u64 v[36:37], v[32:33], 0, s[42:43]
	v_lshl_add_u64 v[38:39], v[34:35], 0, s[42:43]
	global_load_ubyte v48, v[36:37], off
	global_load_ubyte v49, v[38:39], off
	s_waitcnt vmcnt(1)
	v_cmp_ne_u16_e64 s[0:1], 0, v48
	s_waitcnt vmcnt(0)
	v_cmp_ne_u16_e64 s[6:7], 0, v49
	s_xor_b64 s[6:7], s[0:1], s[6:7]
	s_add_u32 s0, s42, 1
	s_addc_u32 s1, s43, 0
	s_andn2_b64 s[40:41], s[40:41], exec
	s_and_b64 s[6:7], s[6:7], exec
	s_or_b64 s[40:41], s[40:41], s[6:7]
.LBB1116_46:                            ;   in Loop: Header=BB1116_47 Depth=1
	s_and_b64 s[6:7], exec, s[40:41]
	s_or_b64 s[14:15], s[6:7], s[14:15]
	v_mov_b64_e32 v[36:37], s[42:43]
	s_mov_b64 s[42:43], s[0:1]
	s_andn2_b64 exec, exec, s[14:15]
	s_cbranch_execz .LBB1116_52
.LBB1116_47:                            ; =>This Inner Loop Header: Depth=1
	s_or_b64 s[40:41], s[40:41], exec
	s_cmp_eq_u64 s[26:27], s[42:43]
	s_cbranch_scc0 .LBB1116_45
; %bb.48:                               ;   in Loop: Header=BB1116_47 Depth=1
                                        ; implicit-def: $sgpr0_sgpr1
	s_mov_b64 s[42:43], s[26:27]
	s_branch .LBB1116_46
.LBB1116_49:
                                        ; implicit-def: $sgpr0_sgpr1
                                        ; implicit-def: $vgpr48
                                        ; implicit-def: $vgpr32
                                        ; implicit-def: $vgpr33
                                        ; implicit-def: $vgpr34
	s_branch .LBB1116_176
.LBB1116_50:
                                        ; implicit-def: $vgpr30_vgpr31
	s_branch .LBB1116_309
.LBB1116_51:
                                        ; implicit-def: $sgpr0_sgpr1
                                        ; implicit-def: $vgpr48
                                        ; implicit-def: $vgpr32
                                        ; implicit-def: $vgpr33
                                        ; implicit-def: $vgpr34
	s_cbranch_execnz .LBB1116_109
	s_branch .LBB1116_175
.LBB1116_52:
	s_or_b64 exec, exec, s[14:15]
	v_cmp_gt_i64_e64 s[0:1], s[26:27], v[36:37]
	s_orn2_b64 s[6:7], s[0:1], exec
.LBB1116_53:
	s_or_b64 exec, exec, s[10:11]
	v_mov_b64_e32 v[34:35], s[36:37]
	v_mad_u64_u32 v[34:35], s[0:1], v14, s26, v[34:35]
	v_mul_lo_u32 v36, v14, s27
	v_mul_lo_u32 v37, v15, s26
	v_add3_u32 v35, v37, v35, v36
	global_load_ubyte v36, v[34:35], off
	s_waitcnt vmcnt(0)
	v_cmp_ne_u16_e64 s[0:1], 0, v36
	s_xor_b64 s[10:11], vcc, s[0:1]
	s_mov_b64 s[0:1], -1
	s_xor_b64 s[14:15], s[10:11], -1
	s_and_saveexec_b64 s[10:11], s[14:15]
	s_cbranch_execz .LBB1116_60
; %bb.54:
	s_mov_b64 s[42:43], 1
	s_mov_b64 s[14:15], 0
                                        ; implicit-def: $sgpr40_sgpr41
	s_branch .LBB1116_57
.LBB1116_55:                            ;   in Loop: Header=BB1116_57 Depth=1
	v_lshl_add_u64 v[36:37], v[34:35], 0, s[42:43]
	v_lshl_add_u64 v[38:39], v[32:33], 0, s[42:43]
	global_load_ubyte v48, v[36:37], off
	global_load_ubyte v49, v[38:39], off
	s_waitcnt vmcnt(1)
	v_cmp_ne_u16_e32 vcc, 0, v48
	s_waitcnt vmcnt(0)
	v_cmp_ne_u16_e64 s[0:1], 0, v49
	s_xor_b64 s[44:45], vcc, s[0:1]
	s_add_u32 s0, s42, 1
	s_addc_u32 s1, s43, 0
	s_andn2_b64 s[40:41], s[40:41], exec
	s_and_b64 s[44:45], s[44:45], exec
	s_or_b64 s[40:41], s[40:41], s[44:45]
.LBB1116_56:                            ;   in Loop: Header=BB1116_57 Depth=1
	s_and_b64 s[44:45], exec, s[40:41]
	s_or_b64 s[14:15], s[44:45], s[14:15]
	v_mov_b64_e32 v[36:37], s[42:43]
	s_mov_b64 s[42:43], s[0:1]
	s_andn2_b64 exec, exec, s[14:15]
	s_cbranch_execz .LBB1116_59
.LBB1116_57:                            ; =>This Inner Loop Header: Depth=1
	s_or_b64 s[40:41], s[40:41], exec
	s_cmp_eq_u64 s[26:27], s[42:43]
	s_cbranch_scc0 .LBB1116_55
; %bb.58:                               ;   in Loop: Header=BB1116_57 Depth=1
                                        ; implicit-def: $sgpr0_sgpr1
	s_mov_b64 s[42:43], s[26:27]
	s_branch .LBB1116_56
.LBB1116_59:
	s_or_b64 exec, exec, s[14:15]
	v_cmp_gt_i64_e32 vcc, s[26:27], v[36:37]
	s_orn2_b64 s[0:1], vcc, exec
.LBB1116_60:
	s_or_b64 exec, exec, s[10:11]
	v_cndmask_b32_e64 v32, 0, 1, s[6:7]
.LBB1116_61:
	v_lshlrev_b16_e32 v33, 8, v0
	v_lshlrev_b16_e32 v34, 8, v0
	v_mov_b32_e32 v36, 8
	v_lshrrev_b32_sdwa v34, v36, v34 dst_sel:BYTE_1 dst_unused:UNUSED_PAD src0_sel:DWORD src1_sel:DWORD
	v_lshrrev_b32_sdwa v33, v36, v33 dst_sel:BYTE_1 dst_unused:UNUSED_PAD src0_sel:DWORD src1_sel:DWORD
	v_cndmask_b32_e64 v35, 0, 1, s[0:1]
	v_or_b32_sdwa v34, v0, v34 dst_sel:DWORD dst_unused:UNUSED_PAD src0_sel:BYTE_0 src1_sel:DWORD
	v_or_b32_sdwa v33, v0, v33 dst_sel:WORD_1 dst_unused:UNUSED_PAD src0_sel:BYTE_0 src1_sel:DWORD
	v_lshlrev_b32_e32 v32, 16, v32
	v_or_b32_sdwa v48, v34, v33 dst_sel:DWORD dst_unused:UNUSED_PAD src0_sel:WORD_0 src1_sel:DWORD
	v_lshlrev_b16_e32 v33, 8, v35
	s_and_b64 vcc, exec, s[4:5]
	v_or_b32_e32 v49, v33, v32
	s_cbranch_vccnz .LBB1116_68
; %bb.62:
	v_mov_b64_e32 v[34:35], s[36:37]
	v_mad_u64_u32 v[32:33], s[0:1], v20, s26, v[34:35]
	v_mul_lo_u32 v36, v20, s27
	v_mul_lo_u32 v37, v21, s26
	v_add3_u32 v33, v37, v33, v36
	v_mad_u64_u32 v[34:35], s[0:1], v14, s26, v[34:35]
	v_mul_lo_u32 v36, v14, s27
	v_mul_lo_u32 v37, v15, s26
	v_add3_u32 v35, v37, v35, v36
	global_load_ubyte v36, v[32:33], off
	global_load_ubyte v37, v[34:35], off
	s_waitcnt vmcnt(1)
	v_cmp_ne_u16_e32 vcc, 0, v36
	s_waitcnt vmcnt(0)
	v_cmp_ne_u16_e64 s[0:1], 0, v37
	s_xor_b64 s[6:7], vcc, s[0:1]
	s_mov_b64 s[0:1], -1
	s_xor_b64 s[6:7], s[6:7], -1
	s_and_saveexec_b64 s[10:11], s[6:7]
	s_cbranch_execz .LBB1116_70
; %bb.63:
	s_mov_b64 s[42:43], 1
	s_mov_b64 s[14:15], 0
                                        ; implicit-def: $sgpr40_sgpr41
	s_branch .LBB1116_66
.LBB1116_64:                            ;   in Loop: Header=BB1116_66 Depth=1
	v_lshl_add_u64 v[36:37], v[32:33], 0, s[42:43]
	v_lshl_add_u64 v[38:39], v[34:35], 0, s[42:43]
	global_load_ubyte v50, v[36:37], off
	global_load_ubyte v51, v[38:39], off
	s_waitcnt vmcnt(1)
	v_cmp_ne_u16_e64 s[0:1], 0, v50
	s_waitcnt vmcnt(0)
	v_cmp_ne_u16_e64 s[6:7], 0, v51
	s_xor_b64 s[6:7], s[0:1], s[6:7]
	s_add_u32 s0, s42, 1
	s_addc_u32 s1, s43, 0
	s_andn2_b64 s[40:41], s[40:41], exec
	s_and_b64 s[6:7], s[6:7], exec
	s_or_b64 s[40:41], s[40:41], s[6:7]
.LBB1116_65:                            ;   in Loop: Header=BB1116_66 Depth=1
	s_and_b64 s[6:7], exec, s[40:41]
	s_or_b64 s[14:15], s[6:7], s[14:15]
	v_mov_b64_e32 v[36:37], s[42:43]
	s_mov_b64 s[42:43], s[0:1]
	s_andn2_b64 exec, exec, s[14:15]
	s_cbranch_execz .LBB1116_69
.LBB1116_66:                            ; =>This Inner Loop Header: Depth=1
	s_or_b64 s[40:41], s[40:41], exec
	s_cmp_eq_u64 s[26:27], s[42:43]
	s_cbranch_scc0 .LBB1116_64
; %bb.67:                               ;   in Loop: Header=BB1116_66 Depth=1
                                        ; implicit-def: $sgpr0_sgpr1
	s_mov_b64 s[42:43], s[26:27]
	s_branch .LBB1116_65
.LBB1116_68:
                                        ; implicit-def: $sgpr0_sgpr1
                                        ; implicit-def: $vgpr34_vgpr35
	s_cbranch_execnz .LBB1116_78
	s_branch .LBB1116_79
.LBB1116_69:
	s_or_b64 exec, exec, s[14:15]
	v_cmp_gt_i64_e64 s[0:1], s[26:27], v[36:37]
	s_orn2_b64 s[0:1], s[0:1], exec
.LBB1116_70:
	s_or_b64 exec, exec, s[10:11]
	v_mov_b64_e32 v[34:35], s[36:37]
	v_mad_u64_u32 v[36:37], s[6:7], v18, s26, v[34:35]
	v_mul_lo_u32 v34, v18, s27
	v_mul_lo_u32 v35, v19, s26
	v_add3_u32 v37, v35, v37, v34
	global_load_ubyte v38, v[36:37], off
	v_mov_b32_e32 v34, 8
	v_cndmask_b32_e64 v35, 0, 1, s[0:1]
	s_mov_b32 s0, 0x3020104
	v_lshrrev_b32_sdwa v50, v34, v49 dst_sel:BYTE_1 dst_unused:UNUSED_PAD src0_sel:DWORD src1_sel:DWORD
	v_perm_b32 v34, v48, v48, s0
	v_or_b32_e32 v35, v35, v50
	v_bfe_u32 v39, v49, 16, 8
	v_and_b32_e32 v35, 0xffff, v35
	v_lshl_or_b32 v35, v39, 16, v35
	s_waitcnt vmcnt(0)
	v_cmp_ne_u16_e64 s[0:1], 0, v38
	s_xor_b64 s[6:7], vcc, s[0:1]
	s_mov_b64 s[0:1], -1
	s_xor_b64 s[10:11], s[6:7], -1
	s_and_saveexec_b64 s[6:7], s[10:11]
	s_cbranch_execz .LBB1116_77
; %bb.71:
	s_mov_b64 s[40:41], 1
	s_mov_b64 s[10:11], 0
                                        ; implicit-def: $sgpr14_sgpr15
	s_branch .LBB1116_74
.LBB1116_72:                            ;   in Loop: Header=BB1116_74 Depth=1
	v_lshl_add_u64 v[38:39], v[36:37], 0, s[40:41]
	v_lshl_add_u64 v[50:51], v[32:33], 0, s[40:41]
	global_load_ubyte v52, v[38:39], off
	global_load_ubyte v53, v[50:51], off
	s_waitcnt vmcnt(1)
	v_cmp_ne_u16_e32 vcc, 0, v52
	s_waitcnt vmcnt(0)
	v_cmp_ne_u16_e64 s[0:1], 0, v53
	s_xor_b64 s[42:43], vcc, s[0:1]
	s_add_u32 s0, s40, 1
	s_addc_u32 s1, s41, 0
	s_andn2_b64 s[14:15], s[14:15], exec
	s_and_b64 s[42:43], s[42:43], exec
	s_or_b64 s[14:15], s[14:15], s[42:43]
.LBB1116_73:                            ;   in Loop: Header=BB1116_74 Depth=1
	s_and_b64 s[42:43], exec, s[14:15]
	s_or_b64 s[10:11], s[42:43], s[10:11]
	v_mov_b64_e32 v[38:39], s[40:41]
	s_mov_b64 s[40:41], s[0:1]
	s_andn2_b64 exec, exec, s[10:11]
	s_cbranch_execz .LBB1116_76
.LBB1116_74:                            ; =>This Inner Loop Header: Depth=1
	s_or_b64 s[14:15], s[14:15], exec
	s_cmp_eq_u64 s[26:27], s[40:41]
	s_cbranch_scc0 .LBB1116_72
; %bb.75:                               ;   in Loop: Header=BB1116_74 Depth=1
                                        ; implicit-def: $sgpr0_sgpr1
	s_mov_b64 s[40:41], s[26:27]
	s_branch .LBB1116_73
.LBB1116_76:
	s_or_b64 exec, exec, s[10:11]
	v_cmp_gt_i64_e32 vcc, s[26:27], v[38:39]
	s_orn2_b64 s[0:1], vcc, exec
.LBB1116_77:
	s_or_b64 exec, exec, s[6:7]
	s_branch .LBB1116_79
.LBB1116_78:
	v_mov_b32_e32 v32, 8
	v_lshrrev_b32_sdwa v32, v32, v49 dst_sel:BYTE_1 dst_unused:UNUSED_PAD src0_sel:DWORD src1_sel:DWORD
	v_bfe_u32 v33, v49, 16, 8
	s_mov_b32 s6, 0x3020104
	v_lshl_or_b32 v35, v33, 16, v32
	v_perm_b32 v34, v48, v48, s6
	s_andn2_b64 s[0:1], s[0:1], exec
.LBB1116_79:
	v_mov_b32_e32 v33, 8
	v_cndmask_b32_e64 v32, 0, 1, s[0:1]
	s_movk_i32 s0, 0xff
	v_lshrrev_b32_sdwa v36, v33, v34 dst_sel:BYTE_1 dst_unused:UNUSED_PAD src0_sel:DWORD src1_sel:DWORD
	v_lshlrev_b16_e32 v32, 8, v32
	v_or_b32_sdwa v36, v34, v36 dst_sel:DWORD dst_unused:UNUSED_PAD src0_sel:BYTE_0 src1_sel:DWORD
	v_and_b32_sdwa v34, v34, s0 dst_sel:DWORD dst_unused:UNUSED_PAD src0_sel:WORD_1 src1_sel:DWORD
	v_or_b32_sdwa v32, v34, v32 dst_sel:WORD_1 dst_unused:UNUSED_PAD src0_sel:DWORD src1_sel:DWORD
	s_and_b64 vcc, exec, s[4:5]
	v_or_b32_sdwa v48, v36, v32 dst_sel:DWORD dst_unused:UNUSED_PAD src0_sel:WORD_0 src1_sel:DWORD
	v_lshrrev_b32_sdwa v32, v33, v35 dst_sel:BYTE_1 dst_unused:UNUSED_PAD src0_sel:DWORD src1_sel:DWORD
	v_bfe_u32 v33, v35, 16, 8
	v_or_b32_sdwa v32, v35, v32 dst_sel:DWORD dst_unused:UNUSED_PAD src0_sel:BYTE_0 src1_sel:DWORD
	v_and_b32_e32 v32, 0xffff, v32
	v_lshl_or_b32 v49, v33, 16, v32
	s_cbranch_vccnz .LBB1116_86
; %bb.80:
	v_mov_b64_e32 v[32:33], s[36:37]
	v_mad_u64_u32 v[34:35], s[0:1], v24, s26, v[32:33]
	v_mul_lo_u32 v36, v24, s27
	v_mul_lo_u32 v37, v25, s26
	v_add3_u32 v35, v37, v35, v36
	v_mad_u64_u32 v[32:33], s[0:1], v18, s26, v[32:33]
	v_mul_lo_u32 v36, v18, s27
	v_mul_lo_u32 v37, v19, s26
	v_add3_u32 v33, v37, v33, v36
	global_load_ubyte v36, v[34:35], off
	global_load_ubyte v37, v[32:33], off
	s_waitcnt vmcnt(1)
	v_cmp_ne_u16_e32 vcc, 0, v36
	s_waitcnt vmcnt(0)
	v_cmp_ne_u16_e64 s[0:1], 0, v37
	s_xor_b64 s[6:7], vcc, s[0:1]
	s_mov_b64 s[0:1], -1
	s_xor_b64 s[6:7], s[6:7], -1
	s_and_saveexec_b64 s[10:11], s[6:7]
	s_cbranch_execz .LBB1116_88
; %bb.81:
	s_mov_b64 s[42:43], 1
	s_mov_b64 s[14:15], 0
                                        ; implicit-def: $sgpr40_sgpr41
	s_branch .LBB1116_84
.LBB1116_82:                            ;   in Loop: Header=BB1116_84 Depth=1
	v_lshl_add_u64 v[36:37], v[34:35], 0, s[42:43]
	v_lshl_add_u64 v[38:39], v[32:33], 0, s[42:43]
	global_load_ubyte v50, v[36:37], off
	global_load_ubyte v51, v[38:39], off
	s_waitcnt vmcnt(1)
	v_cmp_ne_u16_e64 s[0:1], 0, v50
	s_waitcnt vmcnt(0)
	v_cmp_ne_u16_e64 s[6:7], 0, v51
	s_xor_b64 s[6:7], s[0:1], s[6:7]
	s_add_u32 s0, s42, 1
	s_addc_u32 s1, s43, 0
	s_andn2_b64 s[40:41], s[40:41], exec
	s_and_b64 s[6:7], s[6:7], exec
	s_or_b64 s[40:41], s[40:41], s[6:7]
.LBB1116_83:                            ;   in Loop: Header=BB1116_84 Depth=1
	s_and_b64 s[6:7], exec, s[40:41]
	s_or_b64 s[14:15], s[6:7], s[14:15]
	v_mov_b64_e32 v[36:37], s[42:43]
	s_mov_b64 s[42:43], s[0:1]
	s_andn2_b64 exec, exec, s[14:15]
	s_cbranch_execz .LBB1116_87
.LBB1116_84:                            ; =>This Inner Loop Header: Depth=1
	s_or_b64 s[40:41], s[40:41], exec
	s_cmp_eq_u64 s[26:27], s[42:43]
	s_cbranch_scc0 .LBB1116_82
; %bb.85:                               ;   in Loop: Header=BB1116_84 Depth=1
                                        ; implicit-def: $sgpr0_sgpr1
	s_mov_b64 s[42:43], s[26:27]
	s_branch .LBB1116_83
.LBB1116_86:
                                        ; implicit-def: $sgpr0_sgpr1
                                        ; implicit-def: $vgpr32_vgpr33
	s_cbranch_execnz .LBB1116_96
	s_branch .LBB1116_97
.LBB1116_87:
	s_or_b64 exec, exec, s[14:15]
	v_cmp_gt_i64_e64 s[0:1], s[26:27], v[36:37]
	s_orn2_b64 s[0:1], s[0:1], exec
.LBB1116_88:
	s_or_b64 exec, exec, s[10:11]
	v_mov_b64_e32 v[32:33], s[36:37]
	v_mad_u64_u32 v[36:37], s[6:7], v22, s26, v[32:33]
	v_mul_lo_u32 v32, v22, s27
	v_mul_lo_u32 v33, v23, s26
	v_add3_u32 v37, v33, v37, v32
	global_load_ubyte v38, v[36:37], off
	v_mov_b32_e32 v33, 8
	v_lshrrev_b32_e32 v50, 24, v48
	v_lshrrev_b32_sdwa v51, v33, v49 dst_sel:BYTE_1 dst_unused:UNUSED_PAD src0_sel:DWORD src1_sel:DWORD
	v_cndmask_b32_e64 v32, 0, 1, s[0:1]
	v_lshrrev_b32_sdwa v33, v33, v48 dst_sel:BYTE_1 dst_unused:UNUSED_PAD src0_sel:DWORD src1_sel:DWORD
	v_lshlrev_b16_e32 v50, 8, v50
	v_or_b32_sdwa v51, v49, v51 dst_sel:DWORD dst_unused:UNUSED_PAD src0_sel:BYTE_0 src1_sel:DWORD
	v_bfe_u32 v39, v49, 16, 8
	v_or_b32_sdwa v33, v48, v33 dst_sel:DWORD dst_unused:UNUSED_PAD src0_sel:BYTE_0 src1_sel:DWORD
	v_or_b32_sdwa v32, v32, v50 dst_sel:WORD_1 dst_unused:UNUSED_PAD src0_sel:DWORD src1_sel:DWORD
	v_and_b32_e32 v50, 0xffff, v51
	v_or_b32_sdwa v32, v33, v32 dst_sel:DWORD dst_unused:UNUSED_PAD src0_sel:WORD_0 src1_sel:DWORD
	v_lshl_or_b32 v33, v39, 16, v50
	s_waitcnt vmcnt(0)
	v_cmp_ne_u16_e64 s[0:1], 0, v38
	s_xor_b64 s[6:7], vcc, s[0:1]
	s_mov_b64 s[0:1], -1
	s_xor_b64 s[10:11], s[6:7], -1
	s_and_saveexec_b64 s[6:7], s[10:11]
	s_cbranch_execz .LBB1116_95
; %bb.89:
	s_mov_b64 s[40:41], 1
	s_mov_b64 s[10:11], 0
                                        ; implicit-def: $sgpr14_sgpr15
	s_branch .LBB1116_92
.LBB1116_90:                            ;   in Loop: Header=BB1116_92 Depth=1
	v_lshl_add_u64 v[38:39], v[36:37], 0, s[40:41]
	v_lshl_add_u64 v[50:51], v[34:35], 0, s[40:41]
	global_load_ubyte v52, v[38:39], off
	global_load_ubyte v53, v[50:51], off
	s_waitcnt vmcnt(1)
	v_cmp_ne_u16_e32 vcc, 0, v52
	s_waitcnt vmcnt(0)
	v_cmp_ne_u16_e64 s[0:1], 0, v53
	s_xor_b64 s[42:43], vcc, s[0:1]
	s_add_u32 s0, s40, 1
	s_addc_u32 s1, s41, 0
	s_andn2_b64 s[14:15], s[14:15], exec
	s_and_b64 s[42:43], s[42:43], exec
	s_or_b64 s[14:15], s[14:15], s[42:43]
.LBB1116_91:                            ;   in Loop: Header=BB1116_92 Depth=1
	s_and_b64 s[42:43], exec, s[14:15]
	s_or_b64 s[10:11], s[42:43], s[10:11]
	v_mov_b64_e32 v[38:39], s[40:41]
	s_mov_b64 s[40:41], s[0:1]
	s_andn2_b64 exec, exec, s[10:11]
	s_cbranch_execz .LBB1116_94
.LBB1116_92:                            ; =>This Inner Loop Header: Depth=1
	s_or_b64 s[14:15], s[14:15], exec
	s_cmp_eq_u64 s[26:27], s[40:41]
	s_cbranch_scc0 .LBB1116_90
; %bb.93:                               ;   in Loop: Header=BB1116_92 Depth=1
                                        ; implicit-def: $sgpr0_sgpr1
	s_mov_b64 s[40:41], s[26:27]
	s_branch .LBB1116_91
.LBB1116_94:
	s_or_b64 exec, exec, s[10:11]
	v_cmp_gt_i64_e32 vcc, s[26:27], v[38:39]
	s_orn2_b64 s[0:1], vcc, exec
.LBB1116_95:
	s_or_b64 exec, exec, s[6:7]
	s_branch .LBB1116_97
.LBB1116_96:
	v_mov_b32_e32 v32, 8
	v_lshrrev_b32_sdwa v33, v32, v49 dst_sel:BYTE_1 dst_unused:UNUSED_PAD src0_sel:DWORD src1_sel:DWORD
	v_lshrrev_b32_sdwa v32, v32, v48 dst_sel:BYTE_1 dst_unused:UNUSED_PAD src0_sel:DWORD src1_sel:DWORD
	v_or_b32_sdwa v33, v49, v33 dst_sel:DWORD dst_unused:UNUSED_PAD src0_sel:BYTE_0 src1_sel:DWORD
	v_or_b32_sdwa v32, v48, v32 dst_sel:DWORD dst_unused:UNUSED_PAD src0_sel:BYTE_0 src1_sel:DWORD
	v_and_b32_e32 v33, 0xffff, v33
	v_bfe_u32 v34, v49, 16, 8
	v_and_b32_e32 v32, 0xffff, v32
	s_mov_b32 s6, 0xff000000
	v_lshl_or_b32 v33, v34, 16, v33
	v_and_or_b32 v32, v48, s6, v32
	s_andn2_b64 s[0:1], s[0:1], exec
.LBB1116_97:
	s_waitcnt vmcnt(0)
	v_mov_b64_e32 v[36:37], v[30:31]
	s_waitcnt lgkmcnt(0)
	s_barrier
	s_and_saveexec_b64 s[6:7], s[2:3]
	s_cbranch_execz .LBB1116_99
; %bb.98:
	v_add_u32_e32 v34, -8, v47
	ds_read_b64 v[36:37], v34
.LBB1116_99:
	s_or_b64 exec, exec, s[6:7]
	v_cndmask_b32_e64 v34, 0, 1, s[0:1]
	v_lshlrev_b16_e32 v34, 8, v34
	s_movk_i32 s0, 0xff
	v_or_b32_sdwa v48, v32, v34 dst_sel:DWORD dst_unused:UNUSED_PAD src0_sel:BYTE_0 src1_sel:DWORD
	v_lshrrev_b32_e32 v34, 24, v32
	v_lshlrev_b16_e32 v34, 8, v34
	v_and_b32_sdwa v32, v32, s0 dst_sel:DWORD dst_unused:UNUSED_PAD src0_sel:WORD_1 src1_sel:DWORD
	v_or_b32_sdwa v32, v32, v34 dst_sel:WORD_1 dst_unused:UNUSED_PAD src0_sel:DWORD src1_sel:DWORD
	s_mov_b64 s[6:7], 0
	s_and_b64 vcc, exec, s[4:5]
	s_mov_b64 s[0:1], 0
	s_cbranch_vccnz .LBB1116_108
; %bb.100:
	v_mov_b64_e32 v[38:39], s[36:37]
	s_waitcnt lgkmcnt(0)
	v_mad_u64_u32 v[34:35], s[0:1], v36, s26, v[38:39]
	v_mul_lo_u32 v36, v36, s27
	v_mul_lo_u32 v37, v37, s26
	v_add3_u32 v35, v37, v35, v36
	v_mad_u64_u32 v[36:37], s[0:1], v22, s26, v[38:39]
	v_mul_lo_u32 v38, v22, s27
	v_mul_lo_u32 v39, v23, s26
	v_add3_u32 v37, v39, v37, v38
	global_load_ubyte v38, v[34:35], off
	global_load_ubyte v39, v[36:37], off
	s_waitcnt vmcnt(1)
	v_cmp_ne_u16_e32 vcc, 0, v38
	s_waitcnt vmcnt(0)
	v_cmp_ne_u16_e64 s[0:1], 0, v39
	s_xor_b64 s[4:5], vcc, s[0:1]
	s_mov_b64 s[0:1], -1
	s_xor_b64 s[10:11], s[4:5], -1
	s_and_saveexec_b64 s[4:5], s[10:11]
	s_cbranch_execz .LBB1116_107
; %bb.101:
	s_mov_b64 s[40:41], 1
	s_mov_b64 s[10:11], 0
                                        ; implicit-def: $sgpr14_sgpr15
	s_branch .LBB1116_104
.LBB1116_102:                           ;   in Loop: Header=BB1116_104 Depth=1
	v_lshl_add_u64 v[38:39], v[34:35], 0, s[40:41]
	v_lshl_add_u64 v[50:51], v[36:37], 0, s[40:41]
	global_load_ubyte v49, v[38:39], off
	global_load_ubyte v52, v[50:51], off
	s_waitcnt vmcnt(1)
	v_cmp_ne_u16_e32 vcc, 0, v49
	s_waitcnt vmcnt(0)
	v_cmp_ne_u16_e64 s[0:1], 0, v52
	s_xor_b64 s[42:43], vcc, s[0:1]
	s_add_u32 s0, s40, 1
	s_addc_u32 s1, s41, 0
	s_andn2_b64 s[14:15], s[14:15], exec
	s_and_b64 s[42:43], s[42:43], exec
	s_or_b64 s[14:15], s[14:15], s[42:43]
.LBB1116_103:                           ;   in Loop: Header=BB1116_104 Depth=1
	s_and_b64 s[42:43], exec, s[14:15]
	s_or_b64 s[10:11], s[42:43], s[10:11]
	v_mov_b64_e32 v[38:39], s[40:41]
	s_mov_b64 s[40:41], s[0:1]
	s_andn2_b64 exec, exec, s[10:11]
	s_cbranch_execz .LBB1116_106
.LBB1116_104:                           ; =>This Inner Loop Header: Depth=1
	s_or_b64 s[14:15], s[14:15], exec
	s_cmp_eq_u64 s[26:27], s[40:41]
	s_cbranch_scc0 .LBB1116_102
; %bb.105:                              ;   in Loop: Header=BB1116_104 Depth=1
                                        ; implicit-def: $sgpr0_sgpr1
	s_mov_b64 s[40:41], s[26:27]
	s_branch .LBB1116_103
.LBB1116_106:
	s_or_b64 exec, exec, s[10:11]
	v_cmp_gt_i64_e32 vcc, s[26:27], v[38:39]
	s_orn2_b64 s[0:1], vcc, exec
.LBB1116_107:
	s_or_b64 exec, exec, s[4:5]
.LBB1116_108:
	v_or_b32_sdwa v34, v48, v32 dst_sel:DWORD dst_unused:UNUSED_PAD src0_sel:WORD_0 src1_sel:DWORD
	v_lshrrev_b32_e32 v32, 8, v33
	v_lshrrev_b32_e32 v48, 16, v33
	s_and_b64 vcc, exec, s[6:7]
	s_cbranch_vccz .LBB1116_175
.LBB1116_109:
	v_cmp_gt_u32_e32 vcc, s54, v42
	s_xor_b64 s[10:11], s[12:13], -1
	s_mov_b64 s[14:15], -1
	s_and_b64 s[0:1], vcc, s[10:11]
	s_mov_b64 s[6:7], 0
	s_mov_b64 s[4:5], 0
	s_and_saveexec_b64 s[12:13], s[0:1]
	s_cbranch_execz .LBB1116_118
; %bb.110:
	v_mov_b64_e32 v[34:35], s[36:37]
	v_mad_u64_u32 v[32:33], s[0:1], v16, s26, v[34:35]
	s_waitcnt lgkmcnt(0)
	v_mul_lo_u32 v36, v16, s27
	v_mul_lo_u32 v37, v17, s26
	v_add3_u32 v33, v37, v33, v36
	v_mad_u64_u32 v[34:35], s[0:1], v28, s26, v[34:35]
	v_mul_lo_u32 v36, v28, s27
	v_mul_lo_u32 v37, v29, s26
	v_add3_u32 v35, v37, v35, v36
	global_load_ubyte v36, v[32:33], off
	global_load_ubyte v37, v[34:35], off
	s_waitcnt vmcnt(1)
	v_cmp_ne_u16_e32 vcc, 0, v36
	s_waitcnt vmcnt(0)
	v_cmp_ne_u16_e64 s[0:1], 0, v37
	s_xor_b64 s[0:1], vcc, s[0:1]
	s_xor_b64 s[0:1], s[0:1], -1
	s_and_saveexec_b64 s[4:5], s[0:1]
	s_cbranch_execz .LBB1116_117
; %bb.111:
	s_mov_b64 s[42:43], 1
	s_mov_b64 s[14:15], 0
                                        ; implicit-def: $sgpr40_sgpr41
	s_branch .LBB1116_114
.LBB1116_112:                           ;   in Loop: Header=BB1116_114 Depth=1
	v_lshl_add_u64 v[36:37], v[32:33], 0, s[42:43]
	v_lshl_add_u64 v[38:39], v[34:35], 0, s[42:43]
	global_load_ubyte v48, v[36:37], off
	global_load_ubyte v49, v[38:39], off
	s_waitcnt vmcnt(1)
	v_cmp_ne_u16_e32 vcc, 0, v48
	s_waitcnt vmcnt(0)
	v_cmp_ne_u16_e64 s[0:1], 0, v49
	s_xor_b64 s[44:45], vcc, s[0:1]
	s_add_u32 s0, s42, 1
	s_addc_u32 s1, s43, 0
	s_andn2_b64 s[40:41], s[40:41], exec
	s_and_b64 s[44:45], s[44:45], exec
	s_or_b64 s[40:41], s[40:41], s[44:45]
.LBB1116_113:                           ;   in Loop: Header=BB1116_114 Depth=1
	s_and_b64 s[44:45], exec, s[40:41]
	s_or_b64 s[14:15], s[44:45], s[14:15]
	v_mov_b64_e32 v[36:37], s[42:43]
	s_mov_b64 s[42:43], s[0:1]
	s_andn2_b64 exec, exec, s[14:15]
	s_cbranch_execz .LBB1116_116
.LBB1116_114:                           ; =>This Inner Loop Header: Depth=1
	s_or_b64 s[40:41], s[40:41], exec
	s_cmp_eq_u64 s[26:27], s[42:43]
	s_cbranch_scc0 .LBB1116_112
; %bb.115:                              ;   in Loop: Header=BB1116_114 Depth=1
                                        ; implicit-def: $sgpr0_sgpr1
	s_mov_b64 s[42:43], s[26:27]
	s_branch .LBB1116_113
.LBB1116_116:
	s_or_b64 exec, exec, s[14:15]
	v_cmp_gt_i64_e32 vcc, s[26:27], v[36:37]
	s_orn2_b64 s[14:15], vcc, exec
.LBB1116_117:
	s_or_b64 exec, exec, s[4:5]
	s_and_b64 s[4:5], s[14:15], exec
.LBB1116_118:
	s_or_b64 exec, exec, s[12:13]
	v_cmp_gt_u32_e32 vcc, s54, v45
	s_and_b64 s[0:1], vcc, s[10:11]
	s_and_saveexec_b64 s[12:13], s[0:1]
	s_cbranch_execz .LBB1116_127
; %bb.119:
	v_mov_b64_e32 v[34:35], s[36:37]
	v_mad_u64_u32 v[32:33], s[0:1], v14, s26, v[34:35]
	s_waitcnt lgkmcnt(0)
	v_mul_lo_u32 v36, v14, s27
	v_mul_lo_u32 v37, v15, s26
	v_add3_u32 v33, v37, v33, v36
	v_mad_u64_u32 v[34:35], s[0:1], v16, s26, v[34:35]
	v_mul_lo_u32 v36, v16, s27
	v_mul_lo_u32 v37, v17, s26
	v_add3_u32 v35, v37, v35, v36
	global_load_ubyte v36, v[32:33], off
	global_load_ubyte v37, v[34:35], off
	s_waitcnt vmcnt(1)
	v_cmp_ne_u16_e32 vcc, 0, v36
	s_waitcnt vmcnt(0)
	v_cmp_ne_u16_e64 s[0:1], 0, v37
	s_xor_b64 s[6:7], vcc, s[0:1]
	s_mov_b64 s[0:1], -1
	s_xor_b64 s[14:15], s[6:7], -1
	s_and_saveexec_b64 s[6:7], s[14:15]
	s_cbranch_execz .LBB1116_126
; %bb.120:
	s_mov_b64 s[42:43], 1
	s_mov_b64 s[14:15], 0
                                        ; implicit-def: $sgpr40_sgpr41
	s_branch .LBB1116_123
.LBB1116_121:                           ;   in Loop: Header=BB1116_123 Depth=1
	v_lshl_add_u64 v[36:37], v[32:33], 0, s[42:43]
	v_lshl_add_u64 v[38:39], v[34:35], 0, s[42:43]
	global_load_ubyte v48, v[36:37], off
	global_load_ubyte v49, v[38:39], off
	s_waitcnt vmcnt(1)
	v_cmp_ne_u16_e32 vcc, 0, v48
	s_waitcnt vmcnt(0)
	v_cmp_ne_u16_e64 s[0:1], 0, v49
	s_xor_b64 s[44:45], vcc, s[0:1]
	s_add_u32 s0, s42, 1
	s_addc_u32 s1, s43, 0
	s_andn2_b64 s[40:41], s[40:41], exec
	s_and_b64 s[44:45], s[44:45], exec
	s_or_b64 s[40:41], s[40:41], s[44:45]
.LBB1116_122:                           ;   in Loop: Header=BB1116_123 Depth=1
	s_and_b64 s[44:45], exec, s[40:41]
	s_or_b64 s[14:15], s[44:45], s[14:15]
	v_mov_b64_e32 v[36:37], s[42:43]
	s_mov_b64 s[42:43], s[0:1]
	s_andn2_b64 exec, exec, s[14:15]
	s_cbranch_execz .LBB1116_125
.LBB1116_123:                           ; =>This Inner Loop Header: Depth=1
	s_or_b64 s[40:41], s[40:41], exec
	s_cmp_eq_u64 s[26:27], s[42:43]
	s_cbranch_scc0 .LBB1116_121
; %bb.124:                              ;   in Loop: Header=BB1116_123 Depth=1
                                        ; implicit-def: $sgpr0_sgpr1
	s_mov_b64 s[42:43], s[26:27]
	s_branch .LBB1116_122
.LBB1116_125:
	s_or_b64 exec, exec, s[14:15]
	v_cmp_gt_i64_e32 vcc, s[26:27], v[36:37]
	s_orn2_b64 s[0:1], vcc, exec
.LBB1116_126:
	s_or_b64 exec, exec, s[6:7]
	s_and_b64 s[6:7], s[0:1], exec
.LBB1116_127:
	s_or_b64 exec, exec, s[12:13]
	v_cmp_gt_u32_e32 vcc, s54, v41
	s_mov_b64 s[42:43], -1
	s_and_b64 s[0:1], vcc, s[10:11]
	s_mov_b64 s[14:15], 0
	s_mov_b64 s[12:13], 0
	s_and_saveexec_b64 s[40:41], s[0:1]
	s_cbranch_execz .LBB1116_136
; %bb.128:
	v_mov_b64_e32 v[34:35], s[36:37]
	v_mad_u64_u32 v[32:33], s[0:1], v20, s26, v[34:35]
	s_waitcnt lgkmcnt(0)
	v_mul_lo_u32 v36, v20, s27
	v_mul_lo_u32 v37, v21, s26
	v_add3_u32 v33, v37, v33, v36
	v_mad_u64_u32 v[34:35], s[0:1], v14, s26, v[34:35]
	v_mul_lo_u32 v36, v14, s27
	v_mul_lo_u32 v37, v15, s26
	v_add3_u32 v35, v37, v35, v36
	global_load_ubyte v36, v[32:33], off
	global_load_ubyte v37, v[34:35], off
	s_waitcnt vmcnt(1)
	v_cmp_ne_u16_e32 vcc, 0, v36
	s_waitcnt vmcnt(0)
	v_cmp_ne_u16_e64 s[0:1], 0, v37
	s_xor_b64 s[0:1], vcc, s[0:1]
	s_xor_b64 s[0:1], s[0:1], -1
	s_and_saveexec_b64 s[12:13], s[0:1]
	s_cbranch_execz .LBB1116_135
; %bb.129:
	s_mov_b64 s[46:47], 1
	s_mov_b64 s[42:43], 0
                                        ; implicit-def: $sgpr44_sgpr45
	s_branch .LBB1116_132
.LBB1116_130:                           ;   in Loop: Header=BB1116_132 Depth=1
	v_lshl_add_u64 v[36:37], v[32:33], 0, s[46:47]
	v_lshl_add_u64 v[38:39], v[34:35], 0, s[46:47]
	global_load_ubyte v48, v[36:37], off
	global_load_ubyte v49, v[38:39], off
	s_waitcnt vmcnt(1)
	v_cmp_ne_u16_e32 vcc, 0, v48
	s_waitcnt vmcnt(0)
	v_cmp_ne_u16_e64 s[0:1], 0, v49
	s_xor_b64 s[48:49], vcc, s[0:1]
	s_add_u32 s0, s46, 1
	s_addc_u32 s1, s47, 0
	s_andn2_b64 s[44:45], s[44:45], exec
	s_and_b64 s[48:49], s[48:49], exec
	s_or_b64 s[44:45], s[44:45], s[48:49]
.LBB1116_131:                           ;   in Loop: Header=BB1116_132 Depth=1
	s_and_b64 s[48:49], exec, s[44:45]
	s_or_b64 s[42:43], s[48:49], s[42:43]
	v_mov_b64_e32 v[36:37], s[46:47]
	s_mov_b64 s[46:47], s[0:1]
	s_andn2_b64 exec, exec, s[42:43]
	s_cbranch_execz .LBB1116_134
.LBB1116_132:                           ; =>This Inner Loop Header: Depth=1
	s_or_b64 s[44:45], s[44:45], exec
	s_cmp_eq_u64 s[26:27], s[46:47]
	s_cbranch_scc0 .LBB1116_130
; %bb.133:                              ;   in Loop: Header=BB1116_132 Depth=1
                                        ; implicit-def: $sgpr0_sgpr1
	s_mov_b64 s[46:47], s[26:27]
	s_branch .LBB1116_131
.LBB1116_134:
	s_or_b64 exec, exec, s[42:43]
	v_cmp_gt_i64_e32 vcc, s[26:27], v[36:37]
	s_orn2_b64 s[42:43], vcc, exec
.LBB1116_135:
	s_or_b64 exec, exec, s[12:13]
	s_and_b64 s[12:13], s[42:43], exec
.LBB1116_136:
	s_or_b64 exec, exec, s[40:41]
	v_cmp_gt_u32_e32 vcc, s54, v44
	s_and_b64 s[0:1], vcc, s[10:11]
	s_and_saveexec_b64 s[40:41], s[0:1]
	s_cbranch_execz .LBB1116_145
; %bb.137:
	v_mov_b64_e32 v[34:35], s[36:37]
	v_mad_u64_u32 v[32:33], s[0:1], v18, s26, v[34:35]
	s_waitcnt lgkmcnt(0)
	v_mul_lo_u32 v36, v18, s27
	v_mul_lo_u32 v37, v19, s26
	v_add3_u32 v33, v37, v33, v36
	v_mad_u64_u32 v[34:35], s[0:1], v20, s26, v[34:35]
	v_mul_lo_u32 v36, v20, s27
	v_mul_lo_u32 v37, v21, s26
	v_add3_u32 v35, v37, v35, v36
	global_load_ubyte v36, v[32:33], off
	global_load_ubyte v37, v[34:35], off
	s_waitcnt vmcnt(1)
	v_cmp_ne_u16_e32 vcc, 0, v36
	s_waitcnt vmcnt(0)
	v_cmp_ne_u16_e64 s[0:1], 0, v37
	s_xor_b64 s[14:15], vcc, s[0:1]
	s_mov_b64 s[0:1], -1
	s_xor_b64 s[42:43], s[14:15], -1
	s_and_saveexec_b64 s[14:15], s[42:43]
	s_cbranch_execz .LBB1116_144
; %bb.138:
	s_mov_b64 s[46:47], 1
	s_mov_b64 s[42:43], 0
                                        ; implicit-def: $sgpr44_sgpr45
	s_branch .LBB1116_141
.LBB1116_139:                           ;   in Loop: Header=BB1116_141 Depth=1
	v_lshl_add_u64 v[36:37], v[32:33], 0, s[46:47]
	v_lshl_add_u64 v[38:39], v[34:35], 0, s[46:47]
	global_load_ubyte v48, v[36:37], off
	global_load_ubyte v49, v[38:39], off
	s_waitcnt vmcnt(1)
	v_cmp_ne_u16_e32 vcc, 0, v48
	s_waitcnt vmcnt(0)
	v_cmp_ne_u16_e64 s[0:1], 0, v49
	s_xor_b64 s[48:49], vcc, s[0:1]
	s_add_u32 s0, s46, 1
	s_addc_u32 s1, s47, 0
	s_andn2_b64 s[44:45], s[44:45], exec
	s_and_b64 s[48:49], s[48:49], exec
	s_or_b64 s[44:45], s[44:45], s[48:49]
.LBB1116_140:                           ;   in Loop: Header=BB1116_141 Depth=1
	s_and_b64 s[48:49], exec, s[44:45]
	s_or_b64 s[42:43], s[48:49], s[42:43]
	v_mov_b64_e32 v[36:37], s[46:47]
	s_mov_b64 s[46:47], s[0:1]
	s_andn2_b64 exec, exec, s[42:43]
	s_cbranch_execz .LBB1116_143
.LBB1116_141:                           ; =>This Inner Loop Header: Depth=1
	s_or_b64 s[44:45], s[44:45], exec
	s_cmp_eq_u64 s[26:27], s[46:47]
	s_cbranch_scc0 .LBB1116_139
; %bb.142:                              ;   in Loop: Header=BB1116_141 Depth=1
                                        ; implicit-def: $sgpr0_sgpr1
	s_mov_b64 s[46:47], s[26:27]
	s_branch .LBB1116_140
.LBB1116_143:
	s_or_b64 exec, exec, s[42:43]
	v_cmp_gt_i64_e32 vcc, s[26:27], v[36:37]
	s_orn2_b64 s[0:1], vcc, exec
.LBB1116_144:
	s_or_b64 exec, exec, s[14:15]
	s_and_b64 s[14:15], s[0:1], exec
.LBB1116_145:
	s_or_b64 exec, exec, s[40:41]
	v_cmp_gt_u32_e32 vcc, s54, v40
	s_mov_b64 s[46:47], -1
	s_and_b64 s[0:1], vcc, s[10:11]
	s_mov_b64 s[40:41], 0
	s_mov_b64 s[42:43], 0
	s_and_saveexec_b64 s[44:45], s[0:1]
	s_cbranch_execz .LBB1116_154
; %bb.146:
	v_mov_b64_e32 v[34:35], s[36:37]
	v_mad_u64_u32 v[32:33], s[0:1], v24, s26, v[34:35]
	s_waitcnt lgkmcnt(0)
	v_mul_lo_u32 v36, v24, s27
	v_mul_lo_u32 v37, v25, s26
	v_add3_u32 v33, v37, v33, v36
	v_mad_u64_u32 v[34:35], s[0:1], v18, s26, v[34:35]
	v_mul_lo_u32 v36, v18, s27
	v_mul_lo_u32 v37, v19, s26
	v_add3_u32 v35, v37, v35, v36
	global_load_ubyte v36, v[32:33], off
	global_load_ubyte v37, v[34:35], off
	s_waitcnt vmcnt(1)
	v_cmp_ne_u16_e32 vcc, 0, v36
	s_waitcnt vmcnt(0)
	v_cmp_ne_u16_e64 s[0:1], 0, v37
	s_xor_b64 s[0:1], vcc, s[0:1]
	s_xor_b64 s[0:1], s[0:1], -1
	s_and_saveexec_b64 s[42:43], s[0:1]
	s_cbranch_execz .LBB1116_153
; %bb.147:
	s_mov_b64 s[50:51], 1
	s_mov_b64 s[46:47], 0
                                        ; implicit-def: $sgpr48_sgpr49
	s_branch .LBB1116_150
.LBB1116_148:                           ;   in Loop: Header=BB1116_150 Depth=1
	v_lshl_add_u64 v[36:37], v[32:33], 0, s[50:51]
	v_lshl_add_u64 v[38:39], v[34:35], 0, s[50:51]
	global_load_ubyte v36, v[36:37], off
	s_nop 0
	global_load_ubyte v37, v[38:39], off
	s_waitcnt vmcnt(1)
	v_cmp_ne_u16_e32 vcc, 0, v36
	s_waitcnt vmcnt(0)
	v_cmp_ne_u16_e64 s[0:1], 0, v37
	s_xor_b64 s[52:53], vcc, s[0:1]
	s_add_u32 s0, s50, 1
	s_addc_u32 s1, s51, 0
	s_andn2_b64 s[48:49], s[48:49], exec
	s_and_b64 s[52:53], s[52:53], exec
	s_or_b64 s[48:49], s[48:49], s[52:53]
.LBB1116_149:                           ;   in Loop: Header=BB1116_150 Depth=1
	s_and_b64 s[52:53], exec, s[48:49]
	s_or_b64 s[46:47], s[52:53], s[46:47]
	v_mov_b64_e32 v[36:37], s[50:51]
	s_mov_b64 s[50:51], s[0:1]
	s_andn2_b64 exec, exec, s[46:47]
	s_cbranch_execz .LBB1116_152
.LBB1116_150:                           ; =>This Inner Loop Header: Depth=1
	s_or_b64 s[48:49], s[48:49], exec
	s_cmp_eq_u64 s[26:27], s[50:51]
	s_cbranch_scc0 .LBB1116_148
; %bb.151:                              ;   in Loop: Header=BB1116_150 Depth=1
                                        ; implicit-def: $sgpr0_sgpr1
	s_mov_b64 s[50:51], s[26:27]
	s_branch .LBB1116_149
.LBB1116_152:
	s_or_b64 exec, exec, s[46:47]
	v_cmp_gt_i64_e32 vcc, s[26:27], v[36:37]
	s_orn2_b64 s[46:47], vcc, exec
.LBB1116_153:
	s_or_b64 exec, exec, s[42:43]
	s_and_b64 s[42:43], s[46:47], exec
.LBB1116_154:
	s_or_b64 exec, exec, s[44:45]
	v_cmp_gt_u32_e32 vcc, s54, v43
	s_and_b64 s[0:1], vcc, s[10:11]
	s_and_saveexec_b64 s[44:45], s[0:1]
	s_cbranch_execz .LBB1116_163
; %bb.155:
	v_mov_b64_e32 v[34:35], s[36:37]
	v_mad_u64_u32 v[32:33], s[0:1], v22, s26, v[34:35]
	s_waitcnt lgkmcnt(0)
	v_mul_lo_u32 v36, v22, s27
	v_mul_lo_u32 v37, v23, s26
	v_add3_u32 v33, v37, v33, v36
	v_mad_u64_u32 v[34:35], s[0:1], v24, s26, v[34:35]
	v_mul_lo_u32 v36, v24, s27
	v_mul_lo_u32 v37, v25, s26
	v_add3_u32 v35, v37, v35, v36
	global_load_ubyte v36, v[32:33], off
	global_load_ubyte v37, v[34:35], off
	s_waitcnt vmcnt(1)
	v_cmp_ne_u16_e32 vcc, 0, v36
	s_waitcnt vmcnt(0)
	v_cmp_ne_u16_e64 s[0:1], 0, v37
	s_xor_b64 s[40:41], vcc, s[0:1]
	s_mov_b64 s[0:1], -1
	s_xor_b64 s[46:47], s[40:41], -1
	s_and_saveexec_b64 s[40:41], s[46:47]
	s_cbranch_execz .LBB1116_162
; %bb.156:
	s_mov_b64 s[50:51], 1
	s_mov_b64 s[46:47], 0
                                        ; implicit-def: $sgpr48_sgpr49
	s_branch .LBB1116_159
.LBB1116_157:                           ;   in Loop: Header=BB1116_159 Depth=1
	v_lshl_add_u64 v[36:37], v[32:33], 0, s[50:51]
	v_lshl_add_u64 v[38:39], v[34:35], 0, s[50:51]
	global_load_ubyte v36, v[36:37], off
	s_nop 0
	global_load_ubyte v37, v[38:39], off
	s_waitcnt vmcnt(1)
	v_cmp_ne_u16_e32 vcc, 0, v36
	s_waitcnt vmcnt(0)
	v_cmp_ne_u16_e64 s[0:1], 0, v37
	s_xor_b64 s[52:53], vcc, s[0:1]
	s_add_u32 s0, s50, 1
	s_addc_u32 s1, s51, 0
	s_andn2_b64 s[48:49], s[48:49], exec
	s_and_b64 s[52:53], s[52:53], exec
	s_or_b64 s[48:49], s[48:49], s[52:53]
.LBB1116_158:                           ;   in Loop: Header=BB1116_159 Depth=1
	s_and_b64 s[52:53], exec, s[48:49]
	s_or_b64 s[46:47], s[52:53], s[46:47]
	v_mov_b64_e32 v[36:37], s[50:51]
	s_mov_b64 s[50:51], s[0:1]
	s_andn2_b64 exec, exec, s[46:47]
	s_cbranch_execz .LBB1116_161
.LBB1116_159:                           ; =>This Inner Loop Header: Depth=1
	s_or_b64 s[48:49], s[48:49], exec
	s_cmp_eq_u64 s[26:27], s[50:51]
	s_cbranch_scc0 .LBB1116_157
; %bb.160:                              ;   in Loop: Header=BB1116_159 Depth=1
                                        ; implicit-def: $sgpr0_sgpr1
	s_mov_b64 s[50:51], s[26:27]
	s_branch .LBB1116_158
.LBB1116_161:
	s_or_b64 exec, exec, s[46:47]
	v_cmp_gt_i64_e32 vcc, s[26:27], v[36:37]
	s_orn2_b64 s[0:1], vcc, exec
.LBB1116_162:
	s_or_b64 exec, exec, s[40:41]
	s_and_b64 s[40:41], s[0:1], exec
.LBB1116_163:
	s_or_b64 exec, exec, s[44:45]
	s_waitcnt lgkmcnt(0)
	s_barrier
	s_and_saveexec_b64 s[0:1], s[2:3]
	s_cbranch_execz .LBB1116_165
; %bb.164:
	s_waitcnt vmcnt(0)
	v_add_u32_e32 v30, -8, v47
	ds_read_b64 v[30:31], v30
.LBB1116_165:
	s_or_b64 exec, exec, s[0:1]
	v_cndmask_b32_e64 v33, 0, 1, s[14:15]
	v_cndmask_b32_e64 v32, 0, 1, s[42:43]
	;; [unrolled: 1-line block ×3, first 2 shown]
	v_cmp_gt_u32_e32 vcc, s54, v1
	v_lshlrev_b16_e32 v33, 8, v33
	s_mov_b64 s[40:41], -1
	s_and_b64 s[14:15], vcc, s[10:11]
	v_lshlrev_b16_e32 v36, 8, v34
	v_or_b32_sdwa v37, v32, v33 dst_sel:WORD_1 dst_unused:UNUSED_PAD src0_sel:DWORD src1_sel:DWORD
	s_mov_b64 s[0:1], 0
	s_and_saveexec_b64 s[10:11], s[14:15]
	s_cbranch_execz .LBB1116_174
; %bb.166:
	v_mov_b64_e32 v[34:35], s[36:37]
	s_waitcnt vmcnt(0) lgkmcnt(0)
	v_mad_u64_u32 v[32:33], s[0:1], v30, s26, v[34:35]
	v_mul_lo_u32 v30, v30, s27
	v_mul_lo_u32 v31, v31, s26
	v_add3_u32 v33, v31, v33, v30
	v_mad_u64_u32 v[30:31], s[0:1], v22, s26, v[34:35]
	v_mul_lo_u32 v34, v22, s27
	v_mul_lo_u32 v35, v23, s26
	v_add3_u32 v31, v35, v31, v34
	global_load_ubyte v34, v[32:33], off
	global_load_ubyte v35, v[30:31], off
	s_waitcnt vmcnt(1)
	v_cmp_ne_u16_e32 vcc, 0, v34
	s_waitcnt vmcnt(0)
	v_cmp_ne_u16_e64 s[0:1], 0, v35
	s_xor_b64 s[0:1], vcc, s[0:1]
	s_xor_b64 s[0:1], s[0:1], -1
	s_and_saveexec_b64 s[14:15], s[0:1]
	s_cbranch_execz .LBB1116_173
; %bb.167:
	s_mov_b64 s[44:45], 1
	s_mov_b64 s[40:41], 0
                                        ; implicit-def: $sgpr42_sgpr43
	s_branch .LBB1116_170
.LBB1116_168:                           ;   in Loop: Header=BB1116_170 Depth=1
	v_lshl_add_u64 v[34:35], v[32:33], 0, s[44:45]
	v_lshl_add_u64 v[38:39], v[30:31], 0, s[44:45]
	global_load_ubyte v47, v[34:35], off
	global_load_ubyte v48, v[38:39], off
	s_waitcnt vmcnt(1)
	v_cmp_ne_u16_e32 vcc, 0, v47
	s_waitcnt vmcnt(0)
	v_cmp_ne_u16_e64 s[0:1], 0, v48
	s_xor_b64 s[46:47], vcc, s[0:1]
	s_add_u32 s0, s44, 1
	s_addc_u32 s1, s45, 0
	s_andn2_b64 s[42:43], s[42:43], exec
	s_and_b64 s[46:47], s[46:47], exec
	s_or_b64 s[42:43], s[42:43], s[46:47]
.LBB1116_169:                           ;   in Loop: Header=BB1116_170 Depth=1
	s_and_b64 s[46:47], exec, s[42:43]
	s_or_b64 s[40:41], s[46:47], s[40:41]
	v_mov_b64_e32 v[34:35], s[44:45]
	s_mov_b64 s[44:45], s[0:1]
	s_andn2_b64 exec, exec, s[40:41]
	s_cbranch_execz .LBB1116_172
.LBB1116_170:                           ; =>This Inner Loop Header: Depth=1
	s_or_b64 s[42:43], s[42:43], exec
	s_cmp_eq_u64 s[26:27], s[44:45]
	s_cbranch_scc0 .LBB1116_168
; %bb.171:                              ;   in Loop: Header=BB1116_170 Depth=1
                                        ; implicit-def: $sgpr0_sgpr1
	s_mov_b64 s[44:45], s[26:27]
	s_branch .LBB1116_169
.LBB1116_172:
	s_or_b64 exec, exec, s[40:41]
	v_cmp_gt_i64_e32 vcc, s[26:27], v[34:35]
	s_orn2_b64 s[40:41], vcc, exec
.LBB1116_173:
	s_or_b64 exec, exec, s[14:15]
	s_and_b64 s[0:1], s[40:41], exec
.LBB1116_174:
	s_or_b64 exec, exec, s[10:11]
	v_cndmask_b32_e64 v33, 0, 1, s[12:13]
	v_cndmask_b32_e64 v32, 0, 1, s[6:7]
	;; [unrolled: 1-line block ×3, first 2 shown]
	v_or_b32_e32 v34, v36, v37
.LBB1116_175:
	s_mov_b64 s[10:11], -1
	s_cbranch_execnz .LBB1116_50
.LBB1116_176:
	s_movk_i32 s0, 0xffd0
	v_mad_i32_i24 v38, v0, s0, v46
	v_cmp_lt_i64_e64 s[12:13], s[26:27], 1
	s_mov_b64 s[0:1], 0
	v_cmp_gt_i64_e64 s[6:7], s[26:27], 0
	s_and_b64 vcc, exec, s[34:35]
	ds_write_b64 v38, v[28:29]
	s_cbranch_vccz .LBB1116_184
; %bb.177:
	s_waitcnt vmcnt(0) lgkmcnt(1)
	v_cndmask_b32_e64 v30, 0, 1, s[6:7]
	v_cmp_ne_u32_e64 s[4:5], 1, v30
	s_andn2_b64 vcc, exec, s[6:7]
	s_cbranch_vccnz .LBB1116_185
; %bb.178:
	v_mov_b64_e32 v[32:33], s[36:37]
	v_mad_u64_u32 v[30:31], s[0:1], v16, s26, v[32:33]
	v_mul_lo_u32 v34, v16, s27
	v_mul_lo_u32 v35, v17, s26
	v_add3_u32 v31, v35, v31, v34
	v_mad_u64_u32 v[32:33], s[0:1], v28, s26, v[32:33]
	v_mul_lo_u32 v34, v28, s27
	v_mul_lo_u32 v35, v29, s26
	v_add3_u32 v33, v35, v33, v34
	global_load_ubyte v34, v[30:31], off
	global_load_ubyte v35, v[32:33], off
	s_mov_b64 s[6:7], -1
	s_waitcnt vmcnt(1)
	v_cmp_ne_u16_e32 vcc, 0, v34
	s_waitcnt vmcnt(0)
	v_cmp_ne_u16_e64 s[0:1], 0, v35
	s_xor_b64 s[0:1], vcc, s[0:1]
	s_xor_b64 s[0:1], s[0:1], -1
	s_and_saveexec_b64 s[14:15], s[0:1]
	s_cbranch_execz .LBB1116_187
; %bb.179:
	s_mov_b64 s[44:45], 1
	s_mov_b64 s[40:41], 0
                                        ; implicit-def: $sgpr42_sgpr43
	s_branch .LBB1116_182
.LBB1116_180:                           ;   in Loop: Header=BB1116_182 Depth=1
	v_lshl_add_u64 v[34:35], v[30:31], 0, s[44:45]
	v_lshl_add_u64 v[36:37], v[32:33], 0, s[44:45]
	global_load_ubyte v39, v[34:35], off
	global_load_ubyte v46, v[36:37], off
	s_waitcnt vmcnt(1)
	v_cmp_ne_u16_e64 s[0:1], 0, v39
	s_waitcnt vmcnt(0)
	v_cmp_ne_u16_e64 s[6:7], 0, v46
	s_xor_b64 s[6:7], s[0:1], s[6:7]
	s_add_u32 s0, s44, 1
	s_addc_u32 s1, s45, 0
	s_andn2_b64 s[42:43], s[42:43], exec
	s_and_b64 s[6:7], s[6:7], exec
	s_or_b64 s[42:43], s[42:43], s[6:7]
.LBB1116_181:                           ;   in Loop: Header=BB1116_182 Depth=1
	s_and_b64 s[6:7], exec, s[42:43]
	s_or_b64 s[40:41], s[6:7], s[40:41]
	v_mov_b64_e32 v[34:35], s[44:45]
	s_mov_b64 s[44:45], s[0:1]
	s_andn2_b64 exec, exec, s[40:41]
	s_cbranch_execz .LBB1116_186
.LBB1116_182:                           ; =>This Inner Loop Header: Depth=1
	s_or_b64 s[42:43], s[42:43], exec
	s_cmp_eq_u64 s[26:27], s[44:45]
	s_cbranch_scc0 .LBB1116_180
; %bb.183:                              ;   in Loop: Header=BB1116_182 Depth=1
                                        ; implicit-def: $sgpr0_sgpr1
	s_mov_b64 s[44:45], s[26:27]
	s_branch .LBB1116_181
.LBB1116_184:
                                        ; implicit-def: $sgpr0_sgpr1
                                        ; implicit-def: $vgpr48
                                        ; implicit-def: $vgpr32
                                        ; implicit-def: $vgpr33
                                        ; implicit-def: $vgpr34
                                        ; implicit-def: $vgpr30_vgpr31
	s_cbranch_execnz .LBB1116_243
	s_branch .LBB1116_309
.LBB1116_185:
	v_mov_b32_e32 v30, 0
	s_branch .LBB1116_195
.LBB1116_186:
	s_or_b64 exec, exec, s[40:41]
	v_cmp_gt_i64_e64 s[0:1], s[26:27], v[34:35]
	s_orn2_b64 s[6:7], s[0:1], exec
.LBB1116_187:
	s_or_b64 exec, exec, s[14:15]
	v_mov_b64_e32 v[32:33], s[36:37]
	v_mad_u64_u32 v[32:33], s[0:1], v14, s26, v[32:33]
	v_mul_lo_u32 v34, v14, s27
	v_mul_lo_u32 v35, v15, s26
	v_add3_u32 v33, v35, v33, v34
	global_load_ubyte v34, v[32:33], off
	s_waitcnt vmcnt(0)
	v_cmp_ne_u16_e64 s[0:1], 0, v34
	s_xor_b64 s[14:15], vcc, s[0:1]
	s_mov_b64 s[0:1], -1
	s_xor_b64 s[40:41], s[14:15], -1
	s_and_saveexec_b64 s[14:15], s[40:41]
	s_cbranch_execz .LBB1116_194
; %bb.188:
	s_mov_b64 s[44:45], 1
	s_mov_b64 s[40:41], 0
                                        ; implicit-def: $sgpr42_sgpr43
	s_branch .LBB1116_191
.LBB1116_189:                           ;   in Loop: Header=BB1116_191 Depth=1
	v_lshl_add_u64 v[34:35], v[32:33], 0, s[44:45]
	v_lshl_add_u64 v[36:37], v[30:31], 0, s[44:45]
	global_load_ubyte v39, v[34:35], off
	global_load_ubyte v46, v[36:37], off
	s_waitcnt vmcnt(1)
	v_cmp_ne_u16_e32 vcc, 0, v39
	s_waitcnt vmcnt(0)
	v_cmp_ne_u16_e64 s[0:1], 0, v46
	s_xor_b64 s[46:47], vcc, s[0:1]
	s_add_u32 s0, s44, 1
	s_addc_u32 s1, s45, 0
	s_andn2_b64 s[42:43], s[42:43], exec
	s_and_b64 s[46:47], s[46:47], exec
	s_or_b64 s[42:43], s[42:43], s[46:47]
.LBB1116_190:                           ;   in Loop: Header=BB1116_191 Depth=1
	s_and_b64 s[46:47], exec, s[42:43]
	s_or_b64 s[40:41], s[46:47], s[40:41]
	v_mov_b64_e32 v[34:35], s[44:45]
	s_mov_b64 s[44:45], s[0:1]
	s_andn2_b64 exec, exec, s[40:41]
	s_cbranch_execz .LBB1116_193
.LBB1116_191:                           ; =>This Inner Loop Header: Depth=1
	s_or_b64 s[42:43], s[42:43], exec
	s_cmp_eq_u64 s[26:27], s[44:45]
	s_cbranch_scc0 .LBB1116_189
; %bb.192:                              ;   in Loop: Header=BB1116_191 Depth=1
                                        ; implicit-def: $sgpr0_sgpr1
	s_mov_b64 s[44:45], s[26:27]
	s_branch .LBB1116_190
.LBB1116_193:
	s_or_b64 exec, exec, s[40:41]
	v_cmp_gt_i64_e32 vcc, s[26:27], v[34:35]
	s_orn2_b64 s[0:1], vcc, exec
.LBB1116_194:
	s_or_b64 exec, exec, s[14:15]
	v_cndmask_b32_e64 v30, 0, 1, s[6:7]
.LBB1116_195:
	v_lshlrev_b16_e32 v31, 8, v0
	v_lshlrev_b16_e32 v32, 8, v0
	v_mov_b32_e32 v34, 8
	v_lshrrev_b32_sdwa v32, v34, v32 dst_sel:BYTE_1 dst_unused:UNUSED_PAD src0_sel:DWORD src1_sel:DWORD
	v_lshrrev_b32_sdwa v31, v34, v31 dst_sel:BYTE_1 dst_unused:UNUSED_PAD src0_sel:DWORD src1_sel:DWORD
	v_cndmask_b32_e64 v33, 0, 1, s[0:1]
	v_or_b32_sdwa v32, v0, v32 dst_sel:DWORD dst_unused:UNUSED_PAD src0_sel:BYTE_0 src1_sel:DWORD
	v_or_b32_sdwa v31, v0, v31 dst_sel:WORD_1 dst_unused:UNUSED_PAD src0_sel:BYTE_0 src1_sel:DWORD
	v_lshlrev_b32_e32 v30, 16, v30
	v_or_b32_sdwa v39, v32, v31 dst_sel:DWORD dst_unused:UNUSED_PAD src0_sel:WORD_0 src1_sel:DWORD
	v_lshlrev_b16_e32 v31, 8, v33
	s_and_b64 vcc, exec, s[4:5]
	v_or_b32_e32 v46, v31, v30
	s_cbranch_vccnz .LBB1116_202
; %bb.196:
	v_mov_b64_e32 v[32:33], s[36:37]
	v_mad_u64_u32 v[30:31], s[0:1], v20, s26, v[32:33]
	v_mul_lo_u32 v34, v20, s27
	v_mul_lo_u32 v35, v21, s26
	v_add3_u32 v31, v35, v31, v34
	v_mad_u64_u32 v[32:33], s[0:1], v14, s26, v[32:33]
	v_mul_lo_u32 v34, v14, s27
	v_mul_lo_u32 v35, v15, s26
	v_add3_u32 v33, v35, v33, v34
	global_load_ubyte v34, v[30:31], off
	global_load_ubyte v35, v[32:33], off
	s_waitcnt vmcnt(1)
	v_cmp_ne_u16_e32 vcc, 0, v34
	s_waitcnt vmcnt(0)
	v_cmp_ne_u16_e64 s[0:1], 0, v35
	s_xor_b64 s[6:7], vcc, s[0:1]
	s_mov_b64 s[0:1], -1
	s_xor_b64 s[6:7], s[6:7], -1
	s_and_saveexec_b64 s[14:15], s[6:7]
	s_cbranch_execz .LBB1116_204
; %bb.197:
	s_mov_b64 s[44:45], 1
	s_mov_b64 s[40:41], 0
                                        ; implicit-def: $sgpr42_sgpr43
	s_branch .LBB1116_200
.LBB1116_198:                           ;   in Loop: Header=BB1116_200 Depth=1
	v_lshl_add_u64 v[34:35], v[30:31], 0, s[44:45]
	v_lshl_add_u64 v[36:37], v[32:33], 0, s[44:45]
	global_load_ubyte v47, v[34:35], off
	global_load_ubyte v48, v[36:37], off
	s_waitcnt vmcnt(1)
	v_cmp_ne_u16_e64 s[0:1], 0, v47
	s_waitcnt vmcnt(0)
	v_cmp_ne_u16_e64 s[6:7], 0, v48
	s_xor_b64 s[6:7], s[0:1], s[6:7]
	s_add_u32 s0, s44, 1
	s_addc_u32 s1, s45, 0
	s_andn2_b64 s[42:43], s[42:43], exec
	s_and_b64 s[6:7], s[6:7], exec
	s_or_b64 s[42:43], s[42:43], s[6:7]
.LBB1116_199:                           ;   in Loop: Header=BB1116_200 Depth=1
	s_and_b64 s[6:7], exec, s[42:43]
	s_or_b64 s[40:41], s[6:7], s[40:41]
	v_mov_b64_e32 v[34:35], s[44:45]
	s_mov_b64 s[44:45], s[0:1]
	s_andn2_b64 exec, exec, s[40:41]
	s_cbranch_execz .LBB1116_203
.LBB1116_200:                           ; =>This Inner Loop Header: Depth=1
	s_or_b64 s[42:43], s[42:43], exec
	s_cmp_eq_u64 s[26:27], s[44:45]
	s_cbranch_scc0 .LBB1116_198
; %bb.201:                              ;   in Loop: Header=BB1116_200 Depth=1
                                        ; implicit-def: $sgpr0_sgpr1
	s_mov_b64 s[44:45], s[26:27]
	s_branch .LBB1116_199
.LBB1116_202:
                                        ; implicit-def: $sgpr0_sgpr1
                                        ; implicit-def: $vgpr32_vgpr33
	s_cbranch_execnz .LBB1116_212
	s_branch .LBB1116_213
.LBB1116_203:
	s_or_b64 exec, exec, s[40:41]
	v_cmp_gt_i64_e64 s[0:1], s[26:27], v[34:35]
	s_orn2_b64 s[0:1], s[0:1], exec
.LBB1116_204:
	s_or_b64 exec, exec, s[14:15]
	v_mov_b64_e32 v[32:33], s[36:37]
	v_mad_u64_u32 v[34:35], s[6:7], v18, s26, v[32:33]
	v_mul_lo_u32 v32, v18, s27
	v_mul_lo_u32 v33, v19, s26
	v_add3_u32 v35, v33, v35, v32
	global_load_ubyte v36, v[34:35], off
	v_mov_b32_e32 v32, 8
	v_cndmask_b32_e64 v33, 0, 1, s[0:1]
	s_mov_b32 s0, 0x3020104
	v_lshrrev_b32_sdwa v47, v32, v46 dst_sel:BYTE_1 dst_unused:UNUSED_PAD src0_sel:DWORD src1_sel:DWORD
	v_perm_b32 v32, v39, v39, s0
	v_or_b32_e32 v33, v33, v47
	v_bfe_u32 v37, v46, 16, 8
	v_and_b32_e32 v33, 0xffff, v33
	v_lshl_or_b32 v33, v37, 16, v33
	s_waitcnt vmcnt(0)
	v_cmp_ne_u16_e64 s[0:1], 0, v36
	s_xor_b64 s[6:7], vcc, s[0:1]
	s_mov_b64 s[0:1], -1
	s_xor_b64 s[14:15], s[6:7], -1
	s_and_saveexec_b64 s[6:7], s[14:15]
	s_cbranch_execz .LBB1116_211
; %bb.205:
	s_mov_b64 s[42:43], 1
	s_mov_b64 s[14:15], 0
                                        ; implicit-def: $sgpr40_sgpr41
	s_branch .LBB1116_208
.LBB1116_206:                           ;   in Loop: Header=BB1116_208 Depth=1
	v_lshl_add_u64 v[36:37], v[34:35], 0, s[42:43]
	v_lshl_add_u64 v[48:49], v[30:31], 0, s[42:43]
	global_load_ubyte v47, v[36:37], off
	global_load_ubyte v50, v[48:49], off
	s_waitcnt vmcnt(1)
	v_cmp_ne_u16_e32 vcc, 0, v47
	s_waitcnt vmcnt(0)
	v_cmp_ne_u16_e64 s[0:1], 0, v50
	s_xor_b64 s[44:45], vcc, s[0:1]
	s_add_u32 s0, s42, 1
	s_addc_u32 s1, s43, 0
	s_andn2_b64 s[40:41], s[40:41], exec
	s_and_b64 s[44:45], s[44:45], exec
	s_or_b64 s[40:41], s[40:41], s[44:45]
.LBB1116_207:                           ;   in Loop: Header=BB1116_208 Depth=1
	s_and_b64 s[44:45], exec, s[40:41]
	s_or_b64 s[14:15], s[44:45], s[14:15]
	v_mov_b64_e32 v[36:37], s[42:43]
	s_mov_b64 s[42:43], s[0:1]
	s_andn2_b64 exec, exec, s[14:15]
	s_cbranch_execz .LBB1116_210
.LBB1116_208:                           ; =>This Inner Loop Header: Depth=1
	s_or_b64 s[40:41], s[40:41], exec
	s_cmp_eq_u64 s[26:27], s[42:43]
	s_cbranch_scc0 .LBB1116_206
; %bb.209:                              ;   in Loop: Header=BB1116_208 Depth=1
                                        ; implicit-def: $sgpr0_sgpr1
	s_mov_b64 s[42:43], s[26:27]
	s_branch .LBB1116_207
.LBB1116_210:
	s_or_b64 exec, exec, s[14:15]
	v_cmp_gt_i64_e32 vcc, s[26:27], v[36:37]
	s_orn2_b64 s[0:1], vcc, exec
.LBB1116_211:
	s_or_b64 exec, exec, s[6:7]
	s_branch .LBB1116_213
.LBB1116_212:
	v_mov_b32_e32 v30, 8
	v_lshrrev_b32_sdwa v30, v30, v46 dst_sel:BYTE_1 dst_unused:UNUSED_PAD src0_sel:DWORD src1_sel:DWORD
	v_bfe_u32 v31, v46, 16, 8
	s_mov_b32 s6, 0x3020104
	v_lshl_or_b32 v33, v31, 16, v30
	v_perm_b32 v32, v39, v39, s6
	s_andn2_b64 s[0:1], s[0:1], exec
.LBB1116_213:
	v_mov_b32_e32 v31, 8
	v_cndmask_b32_e64 v30, 0, 1, s[0:1]
	s_movk_i32 s0, 0xff
	v_lshrrev_b32_sdwa v34, v31, v32 dst_sel:BYTE_1 dst_unused:UNUSED_PAD src0_sel:DWORD src1_sel:DWORD
	v_lshlrev_b16_e32 v30, 8, v30
	v_or_b32_sdwa v34, v32, v34 dst_sel:DWORD dst_unused:UNUSED_PAD src0_sel:BYTE_0 src1_sel:DWORD
	v_and_b32_sdwa v32, v32, s0 dst_sel:DWORD dst_unused:UNUSED_PAD src0_sel:WORD_1 src1_sel:DWORD
	v_or_b32_sdwa v30, v32, v30 dst_sel:WORD_1 dst_unused:UNUSED_PAD src0_sel:DWORD src1_sel:DWORD
	s_and_b64 vcc, exec, s[4:5]
	v_or_b32_sdwa v39, v34, v30 dst_sel:DWORD dst_unused:UNUSED_PAD src0_sel:WORD_0 src1_sel:DWORD
	v_lshrrev_b32_sdwa v30, v31, v33 dst_sel:BYTE_1 dst_unused:UNUSED_PAD src0_sel:DWORD src1_sel:DWORD
	v_bfe_u32 v31, v33, 16, 8
	v_or_b32_sdwa v30, v33, v30 dst_sel:DWORD dst_unused:UNUSED_PAD src0_sel:BYTE_0 src1_sel:DWORD
	v_and_b32_e32 v30, 0xffff, v30
	v_lshl_or_b32 v46, v31, 16, v30
	s_cbranch_vccnz .LBB1116_220
; %bb.214:
	v_mov_b64_e32 v[32:33], s[36:37]
	v_mad_u64_u32 v[30:31], s[0:1], v24, s26, v[32:33]
	v_mul_lo_u32 v34, v24, s27
	v_mul_lo_u32 v35, v25, s26
	v_add3_u32 v31, v35, v31, v34
	v_mad_u64_u32 v[32:33], s[0:1], v18, s26, v[32:33]
	v_mul_lo_u32 v34, v18, s27
	v_mul_lo_u32 v35, v19, s26
	v_add3_u32 v33, v35, v33, v34
	global_load_ubyte v34, v[30:31], off
	global_load_ubyte v35, v[32:33], off
	s_waitcnt vmcnt(1)
	v_cmp_ne_u16_e32 vcc, 0, v34
	s_waitcnt vmcnt(0)
	v_cmp_ne_u16_e64 s[0:1], 0, v35
	s_xor_b64 s[6:7], vcc, s[0:1]
	s_mov_b64 s[0:1], -1
	s_xor_b64 s[6:7], s[6:7], -1
	s_and_saveexec_b64 s[14:15], s[6:7]
	s_cbranch_execz .LBB1116_222
; %bb.215:
	s_mov_b64 s[44:45], 1
	s_mov_b64 s[40:41], 0
                                        ; implicit-def: $sgpr42_sgpr43
	s_branch .LBB1116_218
.LBB1116_216:                           ;   in Loop: Header=BB1116_218 Depth=1
	v_lshl_add_u64 v[34:35], v[30:31], 0, s[44:45]
	v_lshl_add_u64 v[36:37], v[32:33], 0, s[44:45]
	global_load_ubyte v47, v[34:35], off
	global_load_ubyte v48, v[36:37], off
	s_waitcnt vmcnt(1)
	v_cmp_ne_u16_e64 s[0:1], 0, v47
	s_waitcnt vmcnt(0)
	v_cmp_ne_u16_e64 s[6:7], 0, v48
	s_xor_b64 s[6:7], s[0:1], s[6:7]
	s_add_u32 s0, s44, 1
	s_addc_u32 s1, s45, 0
	s_andn2_b64 s[42:43], s[42:43], exec
	s_and_b64 s[6:7], s[6:7], exec
	s_or_b64 s[42:43], s[42:43], s[6:7]
.LBB1116_217:                           ;   in Loop: Header=BB1116_218 Depth=1
	s_and_b64 s[6:7], exec, s[42:43]
	s_or_b64 s[40:41], s[6:7], s[40:41]
	v_mov_b64_e32 v[34:35], s[44:45]
	s_mov_b64 s[44:45], s[0:1]
	s_andn2_b64 exec, exec, s[40:41]
	s_cbranch_execz .LBB1116_221
.LBB1116_218:                           ; =>This Inner Loop Header: Depth=1
	s_or_b64 s[42:43], s[42:43], exec
	s_cmp_eq_u64 s[26:27], s[44:45]
	s_cbranch_scc0 .LBB1116_216
; %bb.219:                              ;   in Loop: Header=BB1116_218 Depth=1
                                        ; implicit-def: $sgpr0_sgpr1
	s_mov_b64 s[44:45], s[26:27]
	s_branch .LBB1116_217
.LBB1116_220:
                                        ; implicit-def: $sgpr0_sgpr1
                                        ; implicit-def: $vgpr32_vgpr33
	s_cbranch_execnz .LBB1116_230
	s_branch .LBB1116_231
.LBB1116_221:
	s_or_b64 exec, exec, s[40:41]
	v_cmp_gt_i64_e64 s[0:1], s[26:27], v[34:35]
	s_orn2_b64 s[0:1], s[0:1], exec
.LBB1116_222:
	s_or_b64 exec, exec, s[14:15]
	v_mov_b64_e32 v[32:33], s[36:37]
	v_mad_u64_u32 v[34:35], s[6:7], v22, s26, v[32:33]
	v_mul_lo_u32 v32, v22, s27
	v_mul_lo_u32 v33, v23, s26
	v_add3_u32 v35, v33, v35, v32
	global_load_ubyte v36, v[34:35], off
	v_mov_b32_e32 v33, 8
	v_lshrrev_b32_e32 v47, 24, v39
	v_lshrrev_b32_sdwa v48, v33, v46 dst_sel:BYTE_1 dst_unused:UNUSED_PAD src0_sel:DWORD src1_sel:DWORD
	v_cndmask_b32_e64 v32, 0, 1, s[0:1]
	v_lshrrev_b32_sdwa v33, v33, v39 dst_sel:BYTE_1 dst_unused:UNUSED_PAD src0_sel:DWORD src1_sel:DWORD
	v_lshlrev_b16_e32 v47, 8, v47
	v_or_b32_sdwa v48, v46, v48 dst_sel:DWORD dst_unused:UNUSED_PAD src0_sel:BYTE_0 src1_sel:DWORD
	v_bfe_u32 v37, v46, 16, 8
	v_or_b32_sdwa v33, v39, v33 dst_sel:DWORD dst_unused:UNUSED_PAD src0_sel:BYTE_0 src1_sel:DWORD
	v_or_b32_sdwa v32, v32, v47 dst_sel:WORD_1 dst_unused:UNUSED_PAD src0_sel:DWORD src1_sel:DWORD
	v_and_b32_e32 v47, 0xffff, v48
	v_or_b32_sdwa v32, v33, v32 dst_sel:DWORD dst_unused:UNUSED_PAD src0_sel:WORD_0 src1_sel:DWORD
	v_lshl_or_b32 v33, v37, 16, v47
	s_waitcnt vmcnt(0)
	v_cmp_ne_u16_e64 s[0:1], 0, v36
	s_xor_b64 s[6:7], vcc, s[0:1]
	s_mov_b64 s[0:1], -1
	s_xor_b64 s[14:15], s[6:7], -1
	s_and_saveexec_b64 s[6:7], s[14:15]
	s_cbranch_execz .LBB1116_229
; %bb.223:
	s_mov_b64 s[42:43], 1
	s_mov_b64 s[14:15], 0
                                        ; implicit-def: $sgpr40_sgpr41
	s_branch .LBB1116_226
.LBB1116_224:                           ;   in Loop: Header=BB1116_226 Depth=1
	v_lshl_add_u64 v[36:37], v[34:35], 0, s[42:43]
	v_lshl_add_u64 v[48:49], v[30:31], 0, s[42:43]
	global_load_ubyte v47, v[36:37], off
	global_load_ubyte v50, v[48:49], off
	s_waitcnt vmcnt(1)
	v_cmp_ne_u16_e32 vcc, 0, v47
	s_waitcnt vmcnt(0)
	v_cmp_ne_u16_e64 s[0:1], 0, v50
	s_xor_b64 s[44:45], vcc, s[0:1]
	s_add_u32 s0, s42, 1
	s_addc_u32 s1, s43, 0
	s_andn2_b64 s[40:41], s[40:41], exec
	s_and_b64 s[44:45], s[44:45], exec
	s_or_b64 s[40:41], s[40:41], s[44:45]
.LBB1116_225:                           ;   in Loop: Header=BB1116_226 Depth=1
	s_and_b64 s[44:45], exec, s[40:41]
	s_or_b64 s[14:15], s[44:45], s[14:15]
	v_mov_b64_e32 v[36:37], s[42:43]
	s_mov_b64 s[42:43], s[0:1]
	s_andn2_b64 exec, exec, s[14:15]
	s_cbranch_execz .LBB1116_228
.LBB1116_226:                           ; =>This Inner Loop Header: Depth=1
	s_or_b64 s[40:41], s[40:41], exec
	s_cmp_eq_u64 s[26:27], s[42:43]
	s_cbranch_scc0 .LBB1116_224
; %bb.227:                              ;   in Loop: Header=BB1116_226 Depth=1
                                        ; implicit-def: $sgpr0_sgpr1
	s_mov_b64 s[42:43], s[26:27]
	s_branch .LBB1116_225
.LBB1116_228:
	s_or_b64 exec, exec, s[14:15]
	v_cmp_gt_i64_e32 vcc, s[26:27], v[36:37]
	s_orn2_b64 s[0:1], vcc, exec
.LBB1116_229:
	s_or_b64 exec, exec, s[6:7]
	s_branch .LBB1116_231
.LBB1116_230:
	v_mov_b32_e32 v30, 8
	v_lshrrev_b32_sdwa v31, v30, v46 dst_sel:BYTE_1 dst_unused:UNUSED_PAD src0_sel:DWORD src1_sel:DWORD
	v_lshrrev_b32_sdwa v30, v30, v39 dst_sel:BYTE_1 dst_unused:UNUSED_PAD src0_sel:DWORD src1_sel:DWORD
	v_or_b32_sdwa v31, v46, v31 dst_sel:DWORD dst_unused:UNUSED_PAD src0_sel:BYTE_0 src1_sel:DWORD
	v_or_b32_sdwa v30, v39, v30 dst_sel:DWORD dst_unused:UNUSED_PAD src0_sel:BYTE_0 src1_sel:DWORD
	v_and_b32_e32 v31, 0xffff, v31
	v_bfe_u32 v32, v46, 16, 8
	v_and_b32_e32 v30, 0xffff, v30
	s_mov_b32 s6, 0xff000000
	v_lshl_or_b32 v33, v32, 16, v31
	v_and_or_b32 v32, v39, s6, v30
	s_andn2_b64 s[0:1], s[0:1], exec
.LBB1116_231:
	v_mov_b32_e32 v31, 8
	v_lshrrev_b32_sdwa v31, v31, v33 dst_sel:BYTE_1 dst_unused:UNUSED_PAD src0_sel:DWORD src1_sel:DWORD
	v_cndmask_b32_e64 v30, 0, 1, s[0:1]
	v_or_b32_sdwa v31, v33, v31 dst_sel:DWORD dst_unused:UNUSED_PAD src0_sel:BYTE_0 src1_sel:DWORD
	v_and_b32_e32 v31, 0xffff, v31
	v_bfe_u32 v33, v33, 16, 8
	s_movk_i32 s0, 0xff
	v_lshl_or_b32 v31, v33, 16, v31
	v_lshrrev_b32_e32 v33, 24, v32
	v_lshlrev_b16_e32 v33, 8, v33
	v_and_b32_sdwa v32, v32, s0 dst_sel:DWORD dst_unused:UNUSED_PAD src0_sel:WORD_1 src1_sel:DWORD
	v_lshlrev_b16_e32 v30, 8, v30
	v_or_b32_sdwa v32, v32, v33 dst_sel:WORD_1 dst_unused:UNUSED_PAD src0_sel:DWORD src1_sel:DWORD
	v_or_b32_e32 v30, 1, v30
	v_or_b32_sdwa v30, v30, v32 dst_sel:DWORD dst_unused:UNUSED_PAD src0_sel:WORD_0 src1_sel:DWORD
	s_waitcnt lgkmcnt(0)
	s_barrier
	s_waitcnt lgkmcnt(0)
                                        ; implicit-def: $sgpr0_sgpr1
                                        ; implicit-def: $vgpr48
                                        ; implicit-def: $vgpr32
                                        ; implicit-def: $vgpr33
                                        ; implicit-def: $vgpr34
	s_and_saveexec_b64 s[6:7], s[2:3]
	s_xor_b64 s[6:7], exec, s[6:7]
	s_cbranch_execz .LBB1116_242
; %bb.232:
	s_mov_b32 s44, 0x3020104
	s_and_b64 vcc, exec, s[4:5]
	s_mov_b64 s[0:1], 0
	s_cbranch_vccnz .LBB1116_241
; %bb.233:
	v_add_u32_e32 v32, -8, v38
	ds_read_b64 v[32:33], v32
	v_mov_b64_e32 v[34:35], s[36:37]
	s_waitcnt lgkmcnt(0)
	v_mul_lo_u32 v36, v32, s27
	v_mul_lo_u32 v37, v33, s26
	v_mad_u64_u32 v[32:33], s[0:1], v32, s26, v[34:35]
	v_add3_u32 v33, v37, v33, v36
	v_mad_u64_u32 v[34:35], s[0:1], v22, s26, v[34:35]
	v_mul_lo_u32 v36, v22, s27
	v_mul_lo_u32 v37, v23, s26
	v_add3_u32 v35, v37, v35, v36
	global_load_ubyte v36, v[32:33], off
	global_load_ubyte v37, v[34:35], off
	s_waitcnt vmcnt(1)
	v_cmp_ne_u16_e32 vcc, 0, v36
	s_waitcnt vmcnt(0)
	v_cmp_ne_u16_e64 s[0:1], 0, v37
	s_xor_b64 s[4:5], vcc, s[0:1]
	s_mov_b64 s[0:1], -1
	s_xor_b64 s[14:15], s[4:5], -1
	s_and_saveexec_b64 s[4:5], s[14:15]
	s_cbranch_execz .LBB1116_240
; %bb.234:
	s_mov_b64 s[42:43], 1
	s_mov_b64 s[14:15], 0
                                        ; implicit-def: $sgpr40_sgpr41
	s_branch .LBB1116_237
.LBB1116_235:                           ;   in Loop: Header=BB1116_237 Depth=1
	v_lshl_add_u64 v[36:37], v[32:33], 0, s[42:43]
	v_lshl_add_u64 v[46:47], v[34:35], 0, s[42:43]
	global_load_ubyte v39, v[36:37], off
	global_load_ubyte v48, v[46:47], off
	s_waitcnt vmcnt(1)
	v_cmp_ne_u16_e32 vcc, 0, v39
	s_waitcnt vmcnt(0)
	v_cmp_ne_u16_e64 s[0:1], 0, v48
	s_xor_b64 s[46:47], vcc, s[0:1]
	s_add_u32 s0, s42, 1
	s_addc_u32 s1, s43, 0
	s_andn2_b64 s[40:41], s[40:41], exec
	s_and_b64 s[46:47], s[46:47], exec
	s_or_b64 s[40:41], s[40:41], s[46:47]
.LBB1116_236:                           ;   in Loop: Header=BB1116_237 Depth=1
	s_and_b64 s[46:47], exec, s[40:41]
	s_or_b64 s[14:15], s[46:47], s[14:15]
	v_mov_b64_e32 v[36:37], s[42:43]
	s_mov_b64 s[42:43], s[0:1]
	s_andn2_b64 exec, exec, s[14:15]
	s_cbranch_execz .LBB1116_239
.LBB1116_237:                           ; =>This Inner Loop Header: Depth=1
	s_or_b64 s[40:41], s[40:41], exec
	s_cmp_eq_u64 s[26:27], s[42:43]
	s_cbranch_scc0 .LBB1116_235
; %bb.238:                              ;   in Loop: Header=BB1116_237 Depth=1
                                        ; implicit-def: $sgpr0_sgpr1
	s_mov_b64 s[42:43], s[26:27]
	s_branch .LBB1116_236
.LBB1116_239:
	s_or_b64 exec, exec, s[14:15]
	v_cmp_gt_i64_e32 vcc, s[26:27], v[36:37]
	s_orn2_b64 s[0:1], vcc, exec
.LBB1116_240:
	s_or_b64 exec, exec, s[4:5]
.LBB1116_241:
	v_perm_b32 v34, v30, v30, s44
	v_lshrrev_b32_e32 v32, 8, v31
	v_lshrrev_b32_e32 v48, 16, v31
	s_and_b64 s[0:1], s[0:1], exec
	s_or_b64 s[10:11], s[10:11], exec
	v_mov_b32_e32 v33, v31
                                        ; implicit-def: $vgpr30_vgpr31
.LBB1116_242:
	s_or_b64 exec, exec, s[6:7]
	s_branch .LBB1116_309
.LBB1116_243:
	v_cmp_gt_u32_e32 vcc, s54, v42
	s_xor_b64 s[4:5], s[12:13], -1
	s_mov_b64 s[40:41], -1
	s_and_b64 s[0:1], vcc, s[4:5]
	s_mov_b64 s[12:13], 0
	v_mul_lo_u32 v39, v16, s27
	v_mul_lo_u32 v46, v17, s26
	s_mov_b64 s[6:7], 0
	s_and_saveexec_b64 s[14:15], s[0:1]
	s_cbranch_execz .LBB1116_252
; %bb.244:
	v_mov_b64_e32 v[32:33], s[36:37]
	s_waitcnt vmcnt(0) lgkmcnt(1)
	v_mad_u64_u32 v[30:31], s[0:1], v16, s26, v[32:33]
	v_add3_u32 v31, v46, v31, v39
	v_mad_u64_u32 v[32:33], s[0:1], v28, s26, v[32:33]
	v_mul_lo_u32 v34, v28, s27
	v_mul_lo_u32 v35, v29, s26
	v_add3_u32 v33, v35, v33, v34
	global_load_ubyte v34, v[30:31], off
	global_load_ubyte v35, v[32:33], off
	s_waitcnt vmcnt(1)
	v_cmp_ne_u16_e32 vcc, 0, v34
	s_waitcnt vmcnt(0)
	v_cmp_ne_u16_e64 s[0:1], 0, v35
	s_xor_b64 s[0:1], vcc, s[0:1]
	s_xor_b64 s[0:1], s[0:1], -1
	s_and_saveexec_b64 s[6:7], s[0:1]
	s_cbranch_execz .LBB1116_251
; %bb.245:
	s_mov_b64 s[44:45], 1
	s_mov_b64 s[40:41], 0
                                        ; implicit-def: $sgpr42_sgpr43
	s_branch .LBB1116_248
.LBB1116_246:                           ;   in Loop: Header=BB1116_248 Depth=1
	v_lshl_add_u64 v[34:35], v[30:31], 0, s[44:45]
	v_lshl_add_u64 v[36:37], v[32:33], 0, s[44:45]
	global_load_ubyte v47, v[34:35], off
	global_load_ubyte v48, v[36:37], off
	s_waitcnt vmcnt(1)
	v_cmp_ne_u16_e32 vcc, 0, v47
	s_waitcnt vmcnt(0)
	v_cmp_ne_u16_e64 s[0:1], 0, v48
	s_xor_b64 s[46:47], vcc, s[0:1]
	s_add_u32 s0, s44, 1
	s_addc_u32 s1, s45, 0
	s_andn2_b64 s[42:43], s[42:43], exec
	s_and_b64 s[46:47], s[46:47], exec
	s_or_b64 s[42:43], s[42:43], s[46:47]
.LBB1116_247:                           ;   in Loop: Header=BB1116_248 Depth=1
	s_and_b64 s[46:47], exec, s[42:43]
	s_or_b64 s[40:41], s[46:47], s[40:41]
	v_mov_b64_e32 v[34:35], s[44:45]
	s_mov_b64 s[44:45], s[0:1]
	s_andn2_b64 exec, exec, s[40:41]
	s_cbranch_execz .LBB1116_250
.LBB1116_248:                           ; =>This Inner Loop Header: Depth=1
	s_or_b64 s[42:43], s[42:43], exec
	s_cmp_eq_u64 s[26:27], s[44:45]
	s_cbranch_scc0 .LBB1116_246
; %bb.249:                              ;   in Loop: Header=BB1116_248 Depth=1
                                        ; implicit-def: $sgpr0_sgpr1
	s_mov_b64 s[44:45], s[26:27]
	s_branch .LBB1116_247
.LBB1116_250:
	s_or_b64 exec, exec, s[40:41]
	v_cmp_gt_i64_e32 vcc, s[26:27], v[34:35]
	s_orn2_b64 s[40:41], vcc, exec
.LBB1116_251:
	s_or_b64 exec, exec, s[6:7]
	s_and_b64 s[6:7], s[40:41], exec
.LBB1116_252:
	s_or_b64 exec, exec, s[14:15]
	v_cmp_gt_u32_e32 vcc, s54, v45
	s_and_b64 s[0:1], vcc, s[4:5]
	s_waitcnt lgkmcnt(1)
	v_mul_lo_u32 v36, v14, s27
	v_mul_lo_u32 v37, v15, s26
	s_and_saveexec_b64 s[14:15], s[0:1]
	s_cbranch_execz .LBB1116_261
; %bb.253:
	v_mov_b64_e32 v[32:33], s[36:37]
	s_waitcnt vmcnt(0)
	v_mad_u64_u32 v[30:31], s[0:1], v14, s26, v[32:33]
	v_add3_u32 v31, v37, v31, v36
	v_mad_u64_u32 v[32:33], s[0:1], v16, s26, v[32:33]
	v_add3_u32 v33, v46, v33, v39
	global_load_ubyte v34, v[30:31], off
	global_load_ubyte v35, v[32:33], off
	s_waitcnt vmcnt(1)
	v_cmp_ne_u16_e32 vcc, 0, v34
	s_waitcnt vmcnt(0)
	v_cmp_ne_u16_e64 s[0:1], 0, v35
	s_xor_b64 s[12:13], vcc, s[0:1]
	s_mov_b64 s[0:1], -1
	s_xor_b64 s[40:41], s[12:13], -1
	s_and_saveexec_b64 s[12:13], s[40:41]
	s_cbranch_execz .LBB1116_260
; %bb.254:
	s_mov_b64 s[44:45], 1
	s_mov_b64 s[40:41], 0
                                        ; implicit-def: $sgpr42_sgpr43
	s_branch .LBB1116_257
.LBB1116_255:                           ;   in Loop: Header=BB1116_257 Depth=1
	v_lshl_add_u64 v[34:35], v[30:31], 0, s[44:45]
	v_lshl_add_u64 v[46:47], v[32:33], 0, s[44:45]
	global_load_ubyte v39, v[34:35], off
	global_load_ubyte v48, v[46:47], off
	s_waitcnt vmcnt(1)
	v_cmp_ne_u16_e32 vcc, 0, v39
	s_waitcnt vmcnt(0)
	v_cmp_ne_u16_e64 s[0:1], 0, v48
	s_xor_b64 s[46:47], vcc, s[0:1]
	s_add_u32 s0, s44, 1
	s_addc_u32 s1, s45, 0
	s_andn2_b64 s[42:43], s[42:43], exec
	s_and_b64 s[46:47], s[46:47], exec
	s_or_b64 s[42:43], s[42:43], s[46:47]
.LBB1116_256:                           ;   in Loop: Header=BB1116_257 Depth=1
	s_and_b64 s[46:47], exec, s[42:43]
	s_or_b64 s[40:41], s[46:47], s[40:41]
	v_mov_b64_e32 v[34:35], s[44:45]
	s_mov_b64 s[44:45], s[0:1]
	s_andn2_b64 exec, exec, s[40:41]
	s_cbranch_execz .LBB1116_259
.LBB1116_257:                           ; =>This Inner Loop Header: Depth=1
	s_or_b64 s[42:43], s[42:43], exec
	s_cmp_eq_u64 s[26:27], s[44:45]
	s_cbranch_scc0 .LBB1116_255
; %bb.258:                              ;   in Loop: Header=BB1116_257 Depth=1
                                        ; implicit-def: $sgpr0_sgpr1
	s_mov_b64 s[44:45], s[26:27]
	s_branch .LBB1116_256
.LBB1116_259:
	s_or_b64 exec, exec, s[40:41]
	v_cmp_gt_i64_e32 vcc, s[26:27], v[34:35]
	s_orn2_b64 s[0:1], vcc, exec
.LBB1116_260:
	s_or_b64 exec, exec, s[12:13]
	s_and_b64 s[12:13], s[0:1], exec
.LBB1116_261:
	s_or_b64 exec, exec, s[14:15]
	v_cmp_gt_u32_e32 vcc, s54, v41
	s_mov_b64 s[44:45], -1
	s_and_b64 s[0:1], vcc, s[4:5]
	s_mov_b64 s[14:15], 0
	v_mul_lo_u32 v39, v20, s27
	v_mul_lo_u32 v46, v21, s26
	s_mov_b64 s[40:41], 0
	s_and_saveexec_b64 s[42:43], s[0:1]
	s_cbranch_execz .LBB1116_270
; %bb.262:
	v_mov_b64_e32 v[32:33], s[36:37]
	s_waitcnt vmcnt(0)
	v_mad_u64_u32 v[30:31], s[0:1], v20, s26, v[32:33]
	v_add3_u32 v31, v46, v31, v39
	v_mad_u64_u32 v[32:33], s[0:1], v14, s26, v[32:33]
	v_add3_u32 v33, v37, v33, v36
	global_load_ubyte v34, v[30:31], off
	global_load_ubyte v35, v[32:33], off
	s_waitcnt vmcnt(1)
	v_cmp_ne_u16_e32 vcc, 0, v34
	s_waitcnt vmcnt(0)
	v_cmp_ne_u16_e64 s[0:1], 0, v35
	s_xor_b64 s[0:1], vcc, s[0:1]
	s_xor_b64 s[0:1], s[0:1], -1
	s_and_saveexec_b64 s[40:41], s[0:1]
	s_cbranch_execz .LBB1116_269
; %bb.263:
	s_mov_b64 s[48:49], 1
	s_mov_b64 s[44:45], 0
                                        ; implicit-def: $sgpr46_sgpr47
	s_branch .LBB1116_266
.LBB1116_264:                           ;   in Loop: Header=BB1116_266 Depth=1
	v_lshl_add_u64 v[34:35], v[30:31], 0, s[48:49]
	v_lshl_add_u64 v[36:37], v[32:33], 0, s[48:49]
	global_load_ubyte v47, v[34:35], off
	global_load_ubyte v48, v[36:37], off
	s_waitcnt vmcnt(1)
	v_cmp_ne_u16_e32 vcc, 0, v47
	s_waitcnt vmcnt(0)
	v_cmp_ne_u16_e64 s[0:1], 0, v48
	s_xor_b64 s[50:51], vcc, s[0:1]
	s_add_u32 s0, s48, 1
	s_addc_u32 s1, s49, 0
	s_andn2_b64 s[46:47], s[46:47], exec
	s_and_b64 s[50:51], s[50:51], exec
	s_or_b64 s[46:47], s[46:47], s[50:51]
.LBB1116_265:                           ;   in Loop: Header=BB1116_266 Depth=1
	s_and_b64 s[50:51], exec, s[46:47]
	s_or_b64 s[44:45], s[50:51], s[44:45]
	v_mov_b64_e32 v[34:35], s[48:49]
	s_mov_b64 s[48:49], s[0:1]
	s_andn2_b64 exec, exec, s[44:45]
	s_cbranch_execz .LBB1116_268
.LBB1116_266:                           ; =>This Inner Loop Header: Depth=1
	s_or_b64 s[46:47], s[46:47], exec
	s_cmp_eq_u64 s[26:27], s[48:49]
	s_cbranch_scc0 .LBB1116_264
; %bb.267:                              ;   in Loop: Header=BB1116_266 Depth=1
                                        ; implicit-def: $sgpr0_sgpr1
	s_mov_b64 s[48:49], s[26:27]
	s_branch .LBB1116_265
.LBB1116_268:
	s_or_b64 exec, exec, s[44:45]
	v_cmp_gt_i64_e32 vcc, s[26:27], v[34:35]
	s_orn2_b64 s[44:45], vcc, exec
.LBB1116_269:
	s_or_b64 exec, exec, s[40:41]
	s_and_b64 s[40:41], s[44:45], exec
.LBB1116_270:
	s_or_b64 exec, exec, s[42:43]
	v_cmp_gt_u32_e32 vcc, s54, v44
	s_and_b64 s[0:1], vcc, s[4:5]
	v_mul_lo_u32 v36, v18, s27
	v_mul_lo_u32 v37, v19, s26
	s_and_saveexec_b64 s[42:43], s[0:1]
	s_cbranch_execz .LBB1116_279
; %bb.271:
	v_mov_b64_e32 v[32:33], s[36:37]
	s_waitcnt vmcnt(0)
	v_mad_u64_u32 v[30:31], s[0:1], v18, s26, v[32:33]
	v_add3_u32 v31, v37, v31, v36
	v_mad_u64_u32 v[32:33], s[0:1], v20, s26, v[32:33]
	v_add3_u32 v33, v46, v33, v39
	global_load_ubyte v34, v[30:31], off
	global_load_ubyte v35, v[32:33], off
	s_waitcnt vmcnt(1)
	v_cmp_ne_u16_e32 vcc, 0, v34
	s_waitcnt vmcnt(0)
	v_cmp_ne_u16_e64 s[0:1], 0, v35
	s_xor_b64 s[14:15], vcc, s[0:1]
	s_mov_b64 s[0:1], -1
	s_xor_b64 s[44:45], s[14:15], -1
	s_and_saveexec_b64 s[14:15], s[44:45]
	s_cbranch_execz .LBB1116_278
; %bb.272:
	s_mov_b64 s[48:49], 1
	s_mov_b64 s[44:45], 0
                                        ; implicit-def: $sgpr46_sgpr47
	s_branch .LBB1116_275
.LBB1116_273:                           ;   in Loop: Header=BB1116_275 Depth=1
	v_lshl_add_u64 v[34:35], v[30:31], 0, s[48:49]
	v_lshl_add_u64 v[46:47], v[32:33], 0, s[48:49]
	global_load_ubyte v39, v[34:35], off
	global_load_ubyte v48, v[46:47], off
	s_waitcnt vmcnt(1)
	v_cmp_ne_u16_e32 vcc, 0, v39
	s_waitcnt vmcnt(0)
	v_cmp_ne_u16_e64 s[0:1], 0, v48
	s_xor_b64 s[50:51], vcc, s[0:1]
	s_add_u32 s0, s48, 1
	s_addc_u32 s1, s49, 0
	s_andn2_b64 s[46:47], s[46:47], exec
	s_and_b64 s[50:51], s[50:51], exec
	s_or_b64 s[46:47], s[46:47], s[50:51]
.LBB1116_274:                           ;   in Loop: Header=BB1116_275 Depth=1
	s_and_b64 s[50:51], exec, s[46:47]
	s_or_b64 s[44:45], s[50:51], s[44:45]
	v_mov_b64_e32 v[34:35], s[48:49]
	s_mov_b64 s[48:49], s[0:1]
	s_andn2_b64 exec, exec, s[44:45]
	s_cbranch_execz .LBB1116_277
.LBB1116_275:                           ; =>This Inner Loop Header: Depth=1
	s_or_b64 s[46:47], s[46:47], exec
	s_cmp_eq_u64 s[26:27], s[48:49]
	s_cbranch_scc0 .LBB1116_273
; %bb.276:                              ;   in Loop: Header=BB1116_275 Depth=1
                                        ; implicit-def: $sgpr0_sgpr1
	s_mov_b64 s[48:49], s[26:27]
	s_branch .LBB1116_274
.LBB1116_277:
	s_or_b64 exec, exec, s[44:45]
	v_cmp_gt_i64_e32 vcc, s[26:27], v[34:35]
	s_orn2_b64 s[0:1], vcc, exec
.LBB1116_278:
	s_or_b64 exec, exec, s[14:15]
	s_and_b64 s[14:15], s[0:1], exec
.LBB1116_279:
	s_or_b64 exec, exec, s[42:43]
	v_cmp_gt_u32_e32 vcc, s54, v40
	s_mov_b64 s[48:49], -1
	s_and_b64 s[0:1], vcc, s[4:5]
	s_mov_b64 s[42:43], 0
	v_mul_lo_u32 v39, v24, s27
	v_mul_lo_u32 v46, v25, s26
	s_mov_b64 s[44:45], 0
	s_and_saveexec_b64 s[46:47], s[0:1]
	s_cbranch_execz .LBB1116_288
; %bb.280:
	v_mov_b64_e32 v[32:33], s[36:37]
	s_waitcnt vmcnt(0)
	v_mad_u64_u32 v[30:31], s[0:1], v24, s26, v[32:33]
	v_add3_u32 v31, v46, v31, v39
	v_mad_u64_u32 v[32:33], s[0:1], v18, s26, v[32:33]
	v_add3_u32 v33, v37, v33, v36
	global_load_ubyte v34, v[30:31], off
	global_load_ubyte v35, v[32:33], off
	s_waitcnt vmcnt(1)
	v_cmp_ne_u16_e32 vcc, 0, v34
	s_waitcnt vmcnt(0)
	v_cmp_ne_u16_e64 s[0:1], 0, v35
	s_xor_b64 s[0:1], vcc, s[0:1]
	s_xor_b64 s[0:1], s[0:1], -1
	s_and_saveexec_b64 s[44:45], s[0:1]
	s_cbranch_execz .LBB1116_287
; %bb.281:
	s_mov_b64 s[52:53], 1
	s_mov_b64 s[48:49], 0
                                        ; implicit-def: $sgpr50_sgpr51
	s_branch .LBB1116_284
.LBB1116_282:                           ;   in Loop: Header=BB1116_284 Depth=1
	v_lshl_add_u64 v[34:35], v[30:31], 0, s[52:53]
	v_lshl_add_u64 v[36:37], v[32:33], 0, s[52:53]
	global_load_ubyte v34, v[34:35], off
	s_nop 0
	global_load_ubyte v35, v[36:37], off
	s_waitcnt vmcnt(1)
	v_cmp_ne_u16_e32 vcc, 0, v34
	s_waitcnt vmcnt(0)
	v_cmp_ne_u16_e64 s[0:1], 0, v35
	s_xor_b64 s[56:57], vcc, s[0:1]
	s_add_u32 s0, s52, 1
	s_addc_u32 s1, s53, 0
	s_andn2_b64 s[50:51], s[50:51], exec
	s_and_b64 s[56:57], s[56:57], exec
	s_or_b64 s[50:51], s[50:51], s[56:57]
.LBB1116_283:                           ;   in Loop: Header=BB1116_284 Depth=1
	s_and_b64 s[56:57], exec, s[50:51]
	s_or_b64 s[48:49], s[56:57], s[48:49]
	v_mov_b64_e32 v[34:35], s[52:53]
	s_mov_b64 s[52:53], s[0:1]
	s_andn2_b64 exec, exec, s[48:49]
	s_cbranch_execz .LBB1116_286
.LBB1116_284:                           ; =>This Inner Loop Header: Depth=1
	s_or_b64 s[50:51], s[50:51], exec
	s_cmp_eq_u64 s[26:27], s[52:53]
	s_cbranch_scc0 .LBB1116_282
; %bb.285:                              ;   in Loop: Header=BB1116_284 Depth=1
                                        ; implicit-def: $sgpr0_sgpr1
	s_mov_b64 s[52:53], s[26:27]
	s_branch .LBB1116_283
.LBB1116_286:
	s_or_b64 exec, exec, s[48:49]
	v_cmp_gt_i64_e32 vcc, s[26:27], v[34:35]
	s_orn2_b64 s[48:49], vcc, exec
.LBB1116_287:
	s_or_b64 exec, exec, s[44:45]
	s_and_b64 s[44:45], s[48:49], exec
.LBB1116_288:
	s_or_b64 exec, exec, s[46:47]
	v_cmp_gt_u32_e32 vcc, s54, v43
	s_and_b64 s[0:1], vcc, s[4:5]
	s_and_saveexec_b64 s[46:47], s[0:1]
	s_cbranch_execz .LBB1116_297
; %bb.289:
	v_mov_b64_e32 v[32:33], s[36:37]
	s_waitcnt vmcnt(0)
	v_mad_u64_u32 v[30:31], s[0:1], v22, s26, v[32:33]
	v_mul_lo_u32 v34, v22, s27
	v_mul_lo_u32 v35, v23, s26
	v_add3_u32 v31, v35, v31, v34
	v_mad_u64_u32 v[32:33], s[0:1], v24, s26, v[32:33]
	v_add3_u32 v33, v46, v33, v39
	global_load_ubyte v34, v[30:31], off
	global_load_ubyte v35, v[32:33], off
	s_waitcnt vmcnt(1)
	v_cmp_ne_u16_e32 vcc, 0, v34
	s_waitcnt vmcnt(0)
	v_cmp_ne_u16_e64 s[0:1], 0, v35
	s_xor_b64 s[42:43], vcc, s[0:1]
	s_mov_b64 s[0:1], -1
	s_xor_b64 s[48:49], s[42:43], -1
	s_and_saveexec_b64 s[42:43], s[48:49]
	s_cbranch_execz .LBB1116_296
; %bb.290:
	s_mov_b64 s[52:53], 1
	s_mov_b64 s[48:49], 0
                                        ; implicit-def: $sgpr50_sgpr51
	s_branch .LBB1116_293
.LBB1116_291:                           ;   in Loop: Header=BB1116_293 Depth=1
	v_lshl_add_u64 v[34:35], v[30:31], 0, s[52:53]
	v_lshl_add_u64 v[36:37], v[32:33], 0, s[52:53]
	global_load_ubyte v34, v[34:35], off
	s_nop 0
	global_load_ubyte v35, v[36:37], off
	s_waitcnt vmcnt(1)
	v_cmp_ne_u16_e32 vcc, 0, v34
	s_waitcnt vmcnt(0)
	v_cmp_ne_u16_e64 s[0:1], 0, v35
	s_xor_b64 s[56:57], vcc, s[0:1]
	s_add_u32 s0, s52, 1
	s_addc_u32 s1, s53, 0
	s_andn2_b64 s[50:51], s[50:51], exec
	s_and_b64 s[56:57], s[56:57], exec
	s_or_b64 s[50:51], s[50:51], s[56:57]
.LBB1116_292:                           ;   in Loop: Header=BB1116_293 Depth=1
	s_and_b64 s[56:57], exec, s[50:51]
	s_or_b64 s[48:49], s[56:57], s[48:49]
	v_mov_b64_e32 v[34:35], s[52:53]
	s_mov_b64 s[52:53], s[0:1]
	s_andn2_b64 exec, exec, s[48:49]
	s_cbranch_execz .LBB1116_295
.LBB1116_293:                           ; =>This Inner Loop Header: Depth=1
	s_or_b64 s[50:51], s[50:51], exec
	s_cmp_eq_u64 s[26:27], s[52:53]
	s_cbranch_scc0 .LBB1116_291
; %bb.294:                              ;   in Loop: Header=BB1116_293 Depth=1
                                        ; implicit-def: $sgpr0_sgpr1
	s_mov_b64 s[52:53], s[26:27]
	s_branch .LBB1116_292
.LBB1116_295:
	s_or_b64 exec, exec, s[48:49]
	v_cmp_gt_i64_e32 vcc, s[26:27], v[34:35]
	s_orn2_b64 s[0:1], vcc, exec
.LBB1116_296:
	s_or_b64 exec, exec, s[42:43]
	s_and_b64 s[42:43], s[0:1], exec
.LBB1116_297:
	s_or_b64 exec, exec, s[46:47]
	s_waitcnt vmcnt(0)
	v_cndmask_b32_e64 v31, 0, 1, s[14:15]
	v_cndmask_b32_e64 v30, 0, 1, s[44:45]
	;; [unrolled: 1-line block ×3, first 2 shown]
	v_lshlrev_b16_e32 v31, 8, v31
	v_cndmask_b32_e64 v33, 0, 1, s[40:41]
	v_cndmask_b32_e64 v34, 0, 1, s[42:43]
	v_or_b32_sdwa v30, v30, v31 dst_sel:WORD_1 dst_unused:UNUSED_PAD src0_sel:DWORD src1_sel:DWORD
	v_lshlrev_b16_e32 v31, 8, v32
	v_lshlrev_b16_e32 v34, 8, v34
	v_or_b32_e32 v31, v33, v31
	v_or_b32_e32 v34, 1, v34
	v_and_b32_e32 v31, 0xffff, v31
	v_cndmask_b32_e64 v48, 0, 1, s[6:7]
	v_or_b32_sdwa v30, v34, v30 dst_sel:DWORD dst_unused:UNUSED_PAD src0_sel:WORD_0 src1_sel:DWORD
	v_lshl_or_b32 v31, v48, 16, v31
	s_waitcnt lgkmcnt(0)
	s_barrier
	s_waitcnt lgkmcnt(0)
                                        ; implicit-def: $sgpr0_sgpr1
                                        ; implicit-def: $vgpr34
	s_and_saveexec_b64 s[6:7], s[2:3]
	s_cbranch_execz .LBB1116_308
; %bb.298:
	v_cmp_gt_u32_e32 vcc, s54, v1
	s_mov_b64 s[12:13], -1
	s_and_b64 s[4:5], vcc, s[4:5]
	s_mov_b32 s40, 0x3020104
	s_mov_b64 s[0:1], 0
	s_and_saveexec_b64 s[2:3], s[4:5]
	s_cbranch_execz .LBB1116_307
; %bb.299:
	v_add_u32_e32 v31, -8, v38
	ds_read_b64 v[34:35], v31
	v_mov_b64_e32 v[36:37], s[36:37]
	s_waitcnt lgkmcnt(0)
	v_mul_lo_u32 v31, v34, s27
	v_mul_lo_u32 v38, v35, s26
	v_mad_u64_u32 v[34:35], s[0:1], v34, s26, v[36:37]
	v_add3_u32 v35, v38, v35, v31
	v_mad_u64_u32 v[36:37], s[0:1], v22, s26, v[36:37]
	v_mul_lo_u32 v31, v22, s27
	v_mul_lo_u32 v38, v23, s26
	v_add3_u32 v37, v38, v37, v31
	global_load_ubyte v31, v[34:35], off
	global_load_ubyte v38, v[36:37], off
	s_waitcnt vmcnt(1)
	v_cmp_ne_u16_e32 vcc, 0, v31
	s_waitcnt vmcnt(0)
	v_cmp_ne_u16_e64 s[0:1], 0, v38
	s_xor_b64 s[0:1], vcc, s[0:1]
	s_xor_b64 s[0:1], s[0:1], -1
	s_and_saveexec_b64 s[4:5], s[0:1]
	s_cbranch_execz .LBB1116_306
; %bb.300:
	s_mov_b64 s[36:37], 1
	s_mov_b64 s[12:13], 0
                                        ; implicit-def: $sgpr14_sgpr15
	s_branch .LBB1116_303
.LBB1116_301:                           ;   in Loop: Header=BB1116_303 Depth=1
	v_lshl_add_u64 v[38:39], v[34:35], 0, s[36:37]
	v_lshl_add_u64 v[46:47], v[36:37], 0, s[36:37]
	global_load_ubyte v31, v[38:39], off
	global_load_ubyte v49, v[46:47], off
	s_waitcnt vmcnt(1)
	v_cmp_ne_u16_e32 vcc, 0, v31
	s_waitcnt vmcnt(0)
	v_cmp_ne_u16_e64 s[0:1], 0, v49
	s_xor_b64 s[42:43], vcc, s[0:1]
	s_add_u32 s0, s36, 1
	s_addc_u32 s1, s37, 0
	s_andn2_b64 s[14:15], s[14:15], exec
	s_and_b64 s[42:43], s[42:43], exec
	s_or_b64 s[14:15], s[14:15], s[42:43]
.LBB1116_302:                           ;   in Loop: Header=BB1116_303 Depth=1
	s_and_b64 s[42:43], exec, s[14:15]
	s_or_b64 s[12:13], s[42:43], s[12:13]
	v_mov_b64_e32 v[38:39], s[36:37]
	s_mov_b64 s[36:37], s[0:1]
	s_andn2_b64 exec, exec, s[12:13]
	s_cbranch_execz .LBB1116_305
.LBB1116_303:                           ; =>This Inner Loop Header: Depth=1
	s_or_b64 s[14:15], s[14:15], exec
	s_cmp_eq_u64 s[26:27], s[36:37]
	s_cbranch_scc0 .LBB1116_301
; %bb.304:                              ;   in Loop: Header=BB1116_303 Depth=1
                                        ; implicit-def: $sgpr0_sgpr1
	s_mov_b64 s[36:37], s[26:27]
	s_branch .LBB1116_302
.LBB1116_305:
	s_or_b64 exec, exec, s[12:13]
	v_cmp_gt_i64_e32 vcc, s[26:27], v[38:39]
	s_orn2_b64 s[12:13], vcc, exec
.LBB1116_306:
	s_or_b64 exec, exec, s[4:5]
	s_and_b64 s[0:1], s[12:13], exec
.LBB1116_307:
	s_or_b64 exec, exec, s[2:3]
	v_perm_b32 v34, v30, v30, s40
	s_and_b64 s[0:1], s[0:1], exec
	s_or_b64 s[10:11], s[10:11], exec
                                        ; implicit-def: $vgpr30_vgpr31
.LBB1116_308:
	s_or_b64 exec, exec, s[6:7]
.LBB1116_309:
	s_and_saveexec_b64 s[2:3], s[10:11]
	s_cbranch_execz .LBB1116_311
; %bb.310:
	s_waitcnt vmcnt(0) lgkmcnt(0)
	v_lshlrev_b16_e32 v31, 8, v32
	v_and_b32_e32 v32, 0xff, v48
	v_or_b32_sdwa v31, v33, v31 dst_sel:DWORD dst_unused:UNUSED_PAD src0_sel:BYTE_0 src1_sel:DWORD
	v_lshlrev_b32_e32 v32, 16, v32
	v_cndmask_b32_e64 v30, 0, 1, s[0:1]
	s_movk_i32 s0, 0xff
	v_or_b32_sdwa v31, v31, v32 dst_sel:DWORD dst_unused:UNUSED_PAD src0_sel:WORD_0 src1_sel:DWORD
	v_lshrrev_b32_e32 v32, 24, v34
	v_lshlrev_b16_e32 v32, 8, v32
	v_and_b32_sdwa v33, v34, s0 dst_sel:DWORD dst_unused:UNUSED_PAD src0_sel:WORD_1 src1_sel:DWORD
	v_or_b32_sdwa v32, v33, v32 dst_sel:WORD_1 dst_unused:UNUSED_PAD src0_sel:DWORD src1_sel:DWORD
	v_mov_b32_e32 v33, 8
	v_lshrrev_b32_sdwa v33, v33, v34 dst_sel:BYTE_1 dst_unused:UNUSED_PAD src0_sel:DWORD src1_sel:DWORD
	s_nop 0
	v_or_b32_e32 v30, v30, v33
	v_or_b32_sdwa v30, v30, v32 dst_sel:DWORD dst_unused:UNUSED_PAD src0_sel:WORD_0 src1_sel:DWORD
.LBB1116_311:
	s_or_b64 exec, exec, s[2:3]
	s_andn2_b64 vcc, exec, s[8:9]
	s_cbranch_vccnz .LBB1116_313
; %bb.312:
	s_waitcnt vmcnt(0) lgkmcnt(0)
	v_and_b32_e32 v32, 0xffff0000, v30
	v_cmp_gt_u32_e32 vcc, s54, v1
	s_mov_b32 s0, 0x40c0100
	s_nop 0
	v_cndmask_b32_e32 v1, v32, v30, vcc
	v_and_b32_e32 v1, 0xffff00ff, v1
	v_cmp_gt_u32_e32 vcc, s54, v43
	s_nop 1
	v_cndmask_b32_e32 v1, v1, v30, vcc
	v_lshrrev_b32_e32 v32, 24, v1
	v_perm_b32 v1, v32, v1, s0
	v_cmp_gt_u32_e32 vcc, s54, v40
	v_and_b32_e32 v32, 0xffffff00, v31
	s_nop 0
	v_cndmask_b32_e32 v1, v1, v30, vcc
	v_and_b32_e32 v1, 0xffffff, v1
	v_cmp_gt_u32_e32 vcc, s54, v44
	s_nop 1
	v_cndmask_b32_e32 v1, v1, v30, vcc
	v_cmp_gt_u32_e32 vcc, s54, v41
	s_nop 1
	v_cndmask_b32_e32 v32, v32, v31, vcc
	v_and_b32_e32 v32, 0xffff00ff, v32
	v_cndmask_b32_e32 v1, v1, v30, vcc
	v_cmp_gt_u32_e32 vcc, s54, v45
	s_nop 1
	v_cndmask_b32_e32 v32, v32, v31, vcc
	v_lshrrev_b32_e32 v33, 24, v32
	v_cndmask_b32_e32 v1, v1, v30, vcc
	v_perm_b32 v32, v33, v32, s0
	v_cmp_gt_u32_e32 vcc, s54, v42
	s_mov_b32 s0, 0x3020104
	s_nop 0
	v_cndmask_b32_e32 v1, v1, v30, vcc
	v_cndmask_b32_e32 v30, v32, v31, vcc
	v_mov_b32_e32 v31, 8
	v_lshrrev_b32_sdwa v31, v31, v30 dst_sel:BYTE_1 dst_unused:UNUSED_PAD src0_sel:DWORD src1_sel:DWORD
	s_nop 0
	v_or_b32_sdwa v31, v30, v31 dst_sel:DWORD dst_unused:UNUSED_PAD src0_sel:BYTE_0 src1_sel:DWORD
	v_and_b32_e32 v31, 0xffff, v31
	v_bfe_u32 v30, v30, 16, 8
	v_lshl_or_b32 v31, v30, 16, v31
	v_perm_b32 v30, v1, v1, s0
.LBB1116_313:
	s_waitcnt vmcnt(0) lgkmcnt(0)
	v_and_b32_e32 v1, 0xff, v30
	v_bfe_u32 v43, v30, 8, 8
	v_bfe_u32 v45, v30, 16, 8
	v_alignbit_b32 v32, v31, v30, 24
	v_and_b32_e32 v47, 0xff, v32
	v_and_b32_e32 v48, 0xff, v31
	v_add3_u32 v33, v43, v1, v45
	v_bfe_u32 v49, v31, 8, 8
	v_bfe_u32 v32, v31, 16, 8
	v_add3_u32 v33, v33, v47, v48
	v_add3_u32 v52, v33, v49, v32
	v_mbcnt_lo_u32_b32 v32, -1, 0
	v_mbcnt_hi_u32_b32 v50, -1, v32
	v_and_b32_e32 v32, 15, v50
	v_cmp_eq_u32_e64 s[14:15], 0, v32
	v_cmp_lt_u32_e64 s[12:13], 1, v32
	v_cmp_lt_u32_e64 s[10:11], 3, v32
	;; [unrolled: 1-line block ×3, first 2 shown]
	v_and_b32_e32 v32, 16, v50
	v_cmp_eq_u32_e64 s[6:7], 0, v32
	v_or_b32_e32 v32, 63, v0
	v_cmp_lt_u32_e64 s[2:3], 31, v50
	v_lshrrev_b32_e32 v51, 6, v0
	v_cmp_eq_u32_e64 s[4:5], v32, v0
	s_and_b64 vcc, exec, s[16:17]
	s_barrier
	s_cbranch_vccz .LBB1116_340
; %bb.314:
	v_mov_b32_dpp v32, v52 row_shr:1 row_mask:0xf bank_mask:0xf
	v_cndmask_b32_e64 v32, v32, 0, s[14:15]
	v_add_u32_e32 v32, v32, v52
	s_nop 1
	v_mov_b32_dpp v33, v32 row_shr:2 row_mask:0xf bank_mask:0xf
	v_cndmask_b32_e64 v33, 0, v33, s[12:13]
	v_add_u32_e32 v32, v32, v33
	s_nop 1
	;; [unrolled: 4-line block ×4, first 2 shown]
	v_mov_b32_dpp v33, v32 row_bcast:15 row_mask:0xf bank_mask:0xf
	v_cndmask_b32_e64 v33, v33, 0, s[6:7]
	v_add_u32_e32 v32, v32, v33
	s_nop 1
	v_mov_b32_dpp v33, v32 row_bcast:31 row_mask:0xf bank_mask:0xf
	v_cndmask_b32_e64 v33, 0, v33, s[2:3]
	v_add_u32_e32 v32, v32, v33
	s_and_saveexec_b64 s[0:1], s[4:5]
	s_cbranch_execz .LBB1116_316
; %bb.315:
	v_lshlrev_b32_e32 v33, 2, v51
	ds_write_b32 v33, v32
.LBB1116_316:
	s_or_b64 exec, exec, s[0:1]
	v_cmp_gt_u32_e32 vcc, 8, v0
	s_waitcnt lgkmcnt(0)
	s_barrier
	s_and_saveexec_b64 s[0:1], vcc
	s_cbranch_execz .LBB1116_318
; %bb.317:
	v_lshlrev_b32_e32 v33, 2, v0
	ds_read_b32 v34, v33
	v_and_b32_e32 v35, 7, v50
	v_cmp_ne_u32_e32 vcc, 0, v35
	s_waitcnt lgkmcnt(0)
	v_mov_b32_dpp v36, v34 row_shr:1 row_mask:0xf bank_mask:0xf
	v_cndmask_b32_e32 v36, 0, v36, vcc
	v_add_u32_e32 v34, v36, v34
	v_cmp_lt_u32_e32 vcc, 1, v35
	s_nop 0
	v_mov_b32_dpp v36, v34 row_shr:2 row_mask:0xf bank_mask:0xf
	v_cndmask_b32_e32 v36, 0, v36, vcc
	v_add_u32_e32 v34, v34, v36
	v_cmp_lt_u32_e32 vcc, 3, v35
	s_nop 0
	v_mov_b32_dpp v36, v34 row_shr:4 row_mask:0xf bank_mask:0xf
	v_cndmask_b32_e32 v35, 0, v36, vcc
	v_add_u32_e32 v34, v34, v35
	ds_write_b32 v33, v34
.LBB1116_318:
	s_or_b64 exec, exec, s[0:1]
	v_cmp_gt_u32_e32 vcc, 64, v0
	v_cmp_lt_u32_e64 s[0:1], 63, v0
	s_waitcnt lgkmcnt(0)
	s_barrier
	s_waitcnt lgkmcnt(0)
                                        ; implicit-def: $vgpr42
	s_and_saveexec_b64 s[16:17], s[0:1]
	s_cbranch_execz .LBB1116_320
; %bb.319:
	v_lshl_add_u32 v33, v51, 2, -4
	ds_read_b32 v42, v33
	s_waitcnt lgkmcnt(0)
	v_add_u32_e32 v32, v42, v32
.LBB1116_320:
	s_or_b64 exec, exec, s[16:17]
	v_add_u32_e32 v33, -1, v50
	v_and_b32_e32 v34, 64, v50
	v_cmp_lt_i32_e64 s[0:1], v33, v34
	v_cmp_eq_u32_e64 s[16:17], 0, v50
	s_nop 0
	v_cndmask_b32_e64 v33, v33, v50, s[0:1]
	v_lshlrev_b32_e32 v33, 2, v33
	ds_bpermute_b32 v44, v33, v32
	s_and_saveexec_b64 s[0:1], vcc
	s_cbranch_execz .LBB1116_339
; %bb.321:
	v_mov_b32_e32 v39, 0
	ds_read_b32 v32, v39 offset:28
	s_and_saveexec_b64 s[26:27], s[16:17]
	s_cbranch_execz .LBB1116_323
; %bb.322:
	s_add_i32 s36, s33, 64
	s_mov_b32 s37, 0
	s_lshl_b64 s[36:37], s[36:37], 3
	s_add_u32 s36, s38, s36
	v_mov_b32_e32 v33, 1
	s_addc_u32 s37, s39, s37
	s_waitcnt lgkmcnt(0)
	global_store_dwordx2 v39, v[32:33], s[36:37] sc1
.LBB1116_323:
	s_or_b64 exec, exec, s[26:27]
	v_xad_u32 v34, v50, -1, s33
	v_add_u32_e32 v38, 64, v34
	v_lshl_add_u64 v[40:41], v[38:39], 3, s[38:39]
	global_load_dwordx2 v[36:37], v[40:41], off sc1
	s_waitcnt vmcnt(0)
	v_cmp_eq_u16_sdwa s[36:37], v37, v39 src0_sel:BYTE_0 src1_sel:DWORD
	s_and_saveexec_b64 s[26:27], s[36:37]
	s_cbranch_execz .LBB1116_327
; %bb.324:
	s_mov_b64 s[36:37], 0
	v_mov_b32_e32 v33, 0
.LBB1116_325:                           ; =>This Inner Loop Header: Depth=1
	global_load_dwordx2 v[36:37], v[40:41], off sc1
	s_waitcnt vmcnt(0)
	v_cmp_ne_u16_sdwa s[40:41], v37, v33 src0_sel:BYTE_0 src1_sel:DWORD
	s_or_b64 s[36:37], s[40:41], s[36:37]
	s_andn2_b64 exec, exec, s[36:37]
	s_cbranch_execnz .LBB1116_325
; %bb.326:
	s_or_b64 exec, exec, s[36:37]
.LBB1116_327:
	s_or_b64 exec, exec, s[26:27]
	v_and_b32_e32 v46, 63, v50
	v_mov_b32_e32 v33, 2
	v_cmp_ne_u32_e32 vcc, 63, v46
	v_cmp_eq_u16_sdwa s[26:27], v37, v33 src0_sel:BYTE_0 src1_sel:DWORD
	v_lshlrev_b64 v[38:39], v50, -1
	v_addc_co_u32_e32 v41, vcc, 0, v50, vcc
	v_and_b32_e32 v35, s27, v39
	v_lshlrev_b32_e32 v53, 2, v41
	v_or_b32_e32 v35, 0x80000000, v35
	ds_bpermute_b32 v41, v53, v36
	v_and_b32_e32 v40, s26, v38
	v_ffbl_b32_e32 v35, v35
	v_add_u32_e32 v35, 32, v35
	v_ffbl_b32_e32 v40, v40
	v_min_u32_e32 v35, v40, v35
	v_cmp_lt_u32_e32 vcc, v46, v35
	v_add_u32_e32 v55, 2, v46
	v_add_u32_e32 v57, 4, v46
	s_waitcnt lgkmcnt(0)
	v_cndmask_b32_e32 v40, 0, v41, vcc
	v_cmp_gt_u32_e32 vcc, 62, v46
	v_add_u32_e32 v36, v40, v36
	v_add_u32_e32 v59, 8, v46
	v_cndmask_b32_e64 v40, 0, 1, vcc
	v_lshlrev_b32_e32 v40, 1, v40
	v_add_lshl_u32 v54, v40, v50, 2
	ds_bpermute_b32 v40, v54, v36
	v_cmp_le_u32_e32 vcc, v55, v35
	v_add_u32_e32 v62, 16, v46
	v_add_u32_e32 v64, 32, v46
	s_waitcnt lgkmcnt(0)
	v_cndmask_b32_e32 v40, 0, v40, vcc
	v_cmp_gt_u32_e32 vcc, 60, v46
	v_add_u32_e32 v36, v36, v40
	s_nop 0
	v_cndmask_b32_e64 v40, 0, 1, vcc
	v_lshlrev_b32_e32 v40, 2, v40
	v_add_lshl_u32 v56, v40, v50, 2
	ds_bpermute_b32 v40, v56, v36
	v_cmp_le_u32_e32 vcc, v57, v35
	s_waitcnt lgkmcnt(0)
	s_nop 0
	v_cndmask_b32_e32 v40, 0, v40, vcc
	v_cmp_gt_u32_e32 vcc, 56, v46
	v_add_u32_e32 v36, v36, v40
	s_nop 0
	v_cndmask_b32_e64 v40, 0, 1, vcc
	v_lshlrev_b32_e32 v40, 3, v40
	v_add_lshl_u32 v58, v40, v50, 2
	ds_bpermute_b32 v40, v58, v36
	v_cmp_le_u32_e32 vcc, v59, v35
	s_waitcnt lgkmcnt(0)
	s_nop 0
	;; [unrolled: 11-line block ×4, first 2 shown]
	v_cndmask_b32_e32 v35, 0, v40, vcc
	v_add_u32_e32 v36, v36, v35
	v_mov_b32_e32 v35, 0
	s_branch .LBB1116_329
.LBB1116_328:                           ;   in Loop: Header=BB1116_329 Depth=1
	s_or_b64 exec, exec, s[26:27]
	v_cmp_eq_u16_sdwa s[26:27], v37, v33 src0_sel:BYTE_0 src1_sel:DWORD
	ds_bpermute_b32 v65, v53, v36
	v_subrev_u32_e32 v34, 64, v34
	v_and_b32_e32 v40, s27, v39
	v_or_b32_e32 v40, 0x80000000, v40
	v_and_b32_e32 v41, s26, v38
	v_ffbl_b32_e32 v40, v40
	v_add_u32_e32 v40, 32, v40
	v_ffbl_b32_e32 v41, v41
	v_min_u32_e32 v40, v41, v40
	v_cmp_lt_u32_e32 vcc, v46, v40
	s_waitcnt lgkmcnt(0)
	s_nop 0
	v_cndmask_b32_e32 v41, 0, v65, vcc
	v_add_u32_e32 v36, v41, v36
	ds_bpermute_b32 v41, v54, v36
	v_cmp_le_u32_e32 vcc, v55, v40
	s_waitcnt lgkmcnt(0)
	s_nop 0
	v_cndmask_b32_e32 v41, 0, v41, vcc
	v_add_u32_e32 v36, v36, v41
	ds_bpermute_b32 v41, v56, v36
	v_cmp_le_u32_e32 vcc, v57, v40
	;; [unrolled: 6-line block ×5, first 2 shown]
	s_waitcnt lgkmcnt(0)
	s_nop 0
	v_cndmask_b32_e32 v40, 0, v41, vcc
	v_add3_u32 v36, v40, v60, v36
.LBB1116_329:                           ; =>This Loop Header: Depth=1
                                        ;     Child Loop BB1116_332 Depth 2
	v_cmp_ne_u16_sdwa s[26:27], v37, v33 src0_sel:BYTE_0 src1_sel:DWORD
	v_mov_b32_e32 v60, v36
	s_nop 0
	v_cndmask_b32_e64 v37, 0, 1, s[26:27]
	;;#ASMSTART
	;;#ASMEND
	s_nop 0
	v_cmp_ne_u32_e32 vcc, 0, v37
	s_cmp_lg_u64 vcc, exec
	s_cbranch_scc1 .LBB1116_334
; %bb.330:                              ;   in Loop: Header=BB1116_329 Depth=1
	v_lshl_add_u64 v[40:41], v[34:35], 3, s[38:39]
	global_load_dwordx2 v[36:37], v[40:41], off sc1
	s_waitcnt vmcnt(0)
	v_cmp_eq_u16_sdwa s[36:37], v37, v35 src0_sel:BYTE_0 src1_sel:DWORD
	s_and_saveexec_b64 s[26:27], s[36:37]
	s_cbranch_execz .LBB1116_328
; %bb.331:                              ;   in Loop: Header=BB1116_329 Depth=1
	s_mov_b64 s[36:37], 0
.LBB1116_332:                           ;   Parent Loop BB1116_329 Depth=1
                                        ; =>  This Inner Loop Header: Depth=2
	global_load_dwordx2 v[36:37], v[40:41], off sc1
	s_waitcnt vmcnt(0)
	v_cmp_ne_u16_sdwa s[40:41], v37, v35 src0_sel:BYTE_0 src1_sel:DWORD
	s_or_b64 s[36:37], s[40:41], s[36:37]
	s_andn2_b64 exec, exec, s[36:37]
	s_cbranch_execnz .LBB1116_332
; %bb.333:                              ;   in Loop: Header=BB1116_329 Depth=1
	s_or_b64 exec, exec, s[36:37]
	s_branch .LBB1116_328
.LBB1116_334:                           ;   in Loop: Header=BB1116_329 Depth=1
                                        ; implicit-def: $vgpr36
                                        ; implicit-def: $vgpr37
	s_cbranch_execz .LBB1116_329
; %bb.335:
	s_and_saveexec_b64 s[26:27], s[16:17]
	s_cbranch_execz .LBB1116_337
; %bb.336:
	s_add_i32 s36, s33, 64
	s_mov_b32 s37, 0
	s_lshl_b64 s[36:37], s[36:37], 3
	s_add_u32 s36, s38, s36
	v_add_u32_e32 v34, v60, v32
	v_mov_b32_e32 v35, 2
	s_addc_u32 s37, s39, s37
	v_mov_b32_e32 v33, 0
	s_movk_i32 s33, 0x7000
	global_store_dwordx2 v33, v[34:35], s[36:37] sc1
	v_add_u32_e64 v33, s33, 0
	ds_write2_b32 v33, v32, v60 offset1:2
.LBB1116_337:
	s_or_b64 exec, exec, s[26:27]
	s_and_b64 exec, exec, s[18:19]
	s_cbranch_execz .LBB1116_339
; %bb.338:
	v_mov_b32_e32 v32, 0
	ds_write_b32 v32, v60 offset:28
.LBB1116_339:
	s_or_b64 exec, exec, s[0:1]
	v_mov_b32_e32 v32, 0
	s_waitcnt lgkmcnt(0)
	s_barrier
	ds_read_b32 v32, v32 offset:28
	v_cndmask_b32_e64 v33, v44, v42, s[16:17]
	v_cndmask_b32_e64 v33, v33, 0, s[18:19]
	s_movk_i32 s0, 0x7000
	s_waitcnt lgkmcnt(0)
	v_add_u32_e32 v46, v32, v33
	v_add_u32_e64 v32, s0, 0
	v_add_u32_e32 v44, v46, v1
	s_barrier
	ds_read2_b32 v[32:33], v32 offset1:2
	v_add_u32_e32 v42, v44, v43
	v_add_u32_e32 v40, v42, v45
	;; [unrolled: 1-line block ×5, first 2 shown]
	s_waitcnt lgkmcnt(0)
	v_readfirstlane_b32 s26, v32
	v_readfirstlane_b32 s16, v33
	v_lshrrev_b64 v[32:33], 24, v[30:31]
	s_branch .LBB1116_350
.LBB1116_340:
                                        ; implicit-def: $vgpr34
                                        ; implicit-def: $vgpr36
                                        ; implicit-def: $vgpr38
                                        ; implicit-def: $vgpr40
                                        ; implicit-def: $vgpr42
                                        ; implicit-def: $vgpr44
                                        ; implicit-def: $vgpr46
                                        ; implicit-def: $sgpr16
                                        ; implicit-def: $sgpr26
	v_lshrrev_b64 v[32:33], 24, v[30:31]
	s_cbranch_execz .LBB1116_350
; %bb.341:
	s_nop 0
	v_mov_b32_dpp v33, v52 row_shr:1 row_mask:0xf bank_mask:0xf
	v_cndmask_b32_e64 v33, v33, 0, s[14:15]
	v_add_u32_e32 v33, v33, v52
	s_nop 1
	v_mov_b32_dpp v34, v33 row_shr:2 row_mask:0xf bank_mask:0xf
	v_cndmask_b32_e64 v34, 0, v34, s[12:13]
	v_add_u32_e32 v33, v33, v34
	;; [unrolled: 4-line block ×4, first 2 shown]
	s_nop 1
	v_mov_b32_dpp v34, v33 row_bcast:15 row_mask:0xf bank_mask:0xf
	v_cndmask_b32_e64 v34, v34, 0, s[6:7]
	v_add_u32_e32 v33, v33, v34
	s_nop 1
	v_mov_b32_dpp v34, v33 row_bcast:31 row_mask:0xf bank_mask:0xf
	v_cndmask_b32_e64 v34, 0, v34, s[2:3]
	v_add_u32_e32 v33, v33, v34
	s_and_saveexec_b64 s[0:1], s[4:5]
	s_cbranch_execz .LBB1116_343
; %bb.342:
	v_lshlrev_b32_e32 v34, 2, v51
	ds_write_b32 v34, v33
.LBB1116_343:
	s_or_b64 exec, exec, s[0:1]
	v_cmp_gt_u32_e32 vcc, 8, v0
	s_waitcnt lgkmcnt(0)
	s_barrier
	s_and_saveexec_b64 s[0:1], vcc
	s_cbranch_execz .LBB1116_345
; %bb.344:
	v_lshlrev_b32_e32 v34, 2, v0
	ds_read_b32 v35, v34
	v_and_b32_e32 v36, 7, v50
	v_cmp_ne_u32_e32 vcc, 0, v36
	s_waitcnt lgkmcnt(0)
	v_mov_b32_dpp v37, v35 row_shr:1 row_mask:0xf bank_mask:0xf
	v_cndmask_b32_e32 v37, 0, v37, vcc
	v_add_u32_e32 v35, v37, v35
	v_cmp_lt_u32_e32 vcc, 1, v36
	s_nop 0
	v_mov_b32_dpp v37, v35 row_shr:2 row_mask:0xf bank_mask:0xf
	v_cndmask_b32_e32 v37, 0, v37, vcc
	v_add_u32_e32 v35, v35, v37
	v_cmp_lt_u32_e32 vcc, 3, v36
	s_nop 0
	v_mov_b32_dpp v37, v35 row_shr:4 row_mask:0xf bank_mask:0xf
	v_cndmask_b32_e32 v36, 0, v37, vcc
	v_add_u32_e32 v35, v35, v36
	ds_write_b32 v34, v35
.LBB1116_345:
	s_or_b64 exec, exec, s[0:1]
	v_cmp_lt_u32_e32 vcc, 63, v0
	v_mov_b32_e32 v35, 0
	v_mov_b32_e32 v34, 0
	s_waitcnt lgkmcnt(0)
	s_barrier
	s_and_saveexec_b64 s[0:1], vcc
	s_cbranch_execz .LBB1116_347
; %bb.346:
	v_lshl_add_u32 v34, v51, 2, -4
	ds_read_b32 v34, v34
.LBB1116_347:
	s_or_b64 exec, exec, s[0:1]
	v_add_u32_e32 v36, -1, v50
	v_and_b32_e32 v37, 64, v50
	v_cmp_lt_i32_e32 vcc, v36, v37
	s_waitcnt lgkmcnt(0)
	v_add_u32_e32 v33, v34, v33
	ds_read_b32 v35, v35 offset:28
	v_cndmask_b32_e32 v36, v36, v50, vcc
	v_lshlrev_b32_e32 v36, 2, v36
	ds_bpermute_b32 v33, v36, v33
	s_waitcnt lgkmcnt(1)
	v_readfirstlane_b32 s26, v35
	s_and_saveexec_b64 s[0:1], s[18:19]
	s_cbranch_execz .LBB1116_349
; %bb.348:
	v_mov_b32_e32 v35, 0
	v_mov_b32_e32 v36, s26
	;; [unrolled: 1-line block ×3, first 2 shown]
	global_store_dwordx2 v35, v[36:37], s[38:39] offset:512 sc1
.LBB1116_349:
	s_or_b64 exec, exec, s[0:1]
	v_cmp_eq_u32_e32 vcc, 0, v50
	s_mov_b32 s16, 0
	s_waitcnt lgkmcnt(0)
	v_cndmask_b32_e32 v33, v33, v34, vcc
	v_cndmask_b32_e64 v46, v33, 0, s[18:19]
	v_add_u32_e32 v44, v46, v1
	v_add_u32_e32 v42, v44, v43
	;; [unrolled: 1-line block ×6, first 2 shown]
	s_barrier
.LBB1116_350:
	s_cmpk_lt_u32 s26, 0x201
	s_cselect_b64 s[2:3], -1, 0
	v_lshrrev_b32_e32 v33, 8, v30
	v_lshrrev_b32_e32 v1, 8, v31
	s_mov_b64 s[0:1], -1
	s_and_b64 vcc, exec, s[2:3]
	s_cbranch_vccz .LBB1116_373
; %bb.351:
	s_add_i32 s4, s16, s26
	v_cmp_gt_u32_e32 vcc, s4, v46
	s_or_b64 s[6:7], s[34:35], vcc
	s_and_saveexec_b64 s[0:1], s[6:7]
	s_cbranch_execz .LBB1116_354
; %bb.352:
	v_and_b32_e32 v35, 1, v30
	v_cmp_eq_u32_e32 vcc, 1, v35
	s_and_b64 exec, exec, vcc
	s_cbranch_execz .LBB1116_354
; %bb.353:
	s_lshl_b64 s[6:7], s[22:23], 3
	s_add_u32 s6, s28, s6
	s_addc_u32 s7, s29, s7
	v_mov_b32_e32 v47, 0
	v_lshl_add_u64 v[48:49], v[46:47], 3, s[6:7]
	global_store_dwordx2 v[48:49], v[22:23], off
.LBB1116_354:
	s_or_b64 exec, exec, s[0:1]
	v_cmp_gt_u32_e32 vcc, s4, v44
	s_or_b64 s[6:7], s[34:35], vcc
	s_and_saveexec_b64 s[0:1], s[6:7]
	s_cbranch_execz .LBB1116_357
; %bb.355:
	v_and_b32_e32 v35, 1, v33
	v_cmp_eq_u32_e32 vcc, 1, v35
	s_and_b64 exec, exec, vcc
	s_cbranch_execz .LBB1116_357
; %bb.356:
	s_lshl_b64 s[6:7], s[22:23], 3
	s_add_u32 s6, s28, s6
	s_addc_u32 s7, s29, s7
	v_mov_b32_e32 v45, 0
	v_lshl_add_u64 v[48:49], v[44:45], 3, s[6:7]
	global_store_dwordx2 v[48:49], v[24:25], off
.LBB1116_357:
	s_or_b64 exec, exec, s[0:1]
	v_cmp_gt_u32_e32 vcc, s4, v42
	s_or_b64 s[6:7], s[34:35], vcc
	s_and_saveexec_b64 s[0:1], s[6:7]
	s_cbranch_execz .LBB1116_360
; %bb.358:
	v_mov_b32_e32 v35, 1
	v_and_b32_sdwa v35, v35, v30 dst_sel:DWORD dst_unused:UNUSED_PAD src0_sel:DWORD src1_sel:WORD_1
	v_cmp_eq_u32_e32 vcc, 1, v35
	s_and_b64 exec, exec, vcc
	s_cbranch_execz .LBB1116_360
; %bb.359:
	s_lshl_b64 s[6:7], s[22:23], 3
	s_add_u32 s6, s28, s6
	s_addc_u32 s7, s29, s7
	v_mov_b32_e32 v43, 0
	v_lshl_add_u64 v[48:49], v[42:43], 3, s[6:7]
	global_store_dwordx2 v[48:49], v[18:19], off
.LBB1116_360:
	s_or_b64 exec, exec, s[0:1]
	v_cmp_gt_u32_e32 vcc, s4, v40
	s_or_b64 s[6:7], s[34:35], vcc
	s_and_saveexec_b64 s[0:1], s[6:7]
	s_cbranch_execz .LBB1116_363
; %bb.361:
	v_and_b32_e32 v35, 1, v32
	v_cmp_eq_u32_e32 vcc, 1, v35
	s_and_b64 exec, exec, vcc
	s_cbranch_execz .LBB1116_363
; %bb.362:
	s_lshl_b64 s[6:7], s[22:23], 3
	s_add_u32 s6, s28, s6
	s_addc_u32 s7, s29, s7
	v_mov_b32_e32 v41, 0
	v_lshl_add_u64 v[48:49], v[40:41], 3, s[6:7]
	global_store_dwordx2 v[48:49], v[20:21], off
.LBB1116_363:
	s_or_b64 exec, exec, s[0:1]
	v_cmp_gt_u32_e32 vcc, s4, v38
	s_or_b64 s[6:7], s[34:35], vcc
	s_and_saveexec_b64 s[0:1], s[6:7]
	s_cbranch_execz .LBB1116_366
; %bb.364:
	v_and_b32_e32 v35, 1, v31
	v_cmp_eq_u32_e32 vcc, 1, v35
	s_and_b64 exec, exec, vcc
	s_cbranch_execz .LBB1116_366
; %bb.365:
	s_lshl_b64 s[6:7], s[22:23], 3
	s_add_u32 s6, s28, s6
	s_addc_u32 s7, s29, s7
	v_mov_b32_e32 v39, 0
	v_lshl_add_u64 v[48:49], v[38:39], 3, s[6:7]
	global_store_dwordx2 v[48:49], v[14:15], off
.LBB1116_366:
	;; [unrolled: 18-line block ×3, first 2 shown]
	s_or_b64 exec, exec, s[0:1]
	v_cmp_gt_u32_e32 vcc, s4, v34
	s_or_b64 s[4:5], s[34:35], vcc
	s_and_saveexec_b64 s[0:1], s[4:5]
	s_cbranch_execz .LBB1116_372
; %bb.370:
	v_mov_b32_e32 v35, 1
	v_and_b32_sdwa v35, v35, v31 dst_sel:DWORD dst_unused:UNUSED_PAD src0_sel:DWORD src1_sel:WORD_1
	v_cmp_eq_u32_e32 vcc, 1, v35
	s_and_b64 exec, exec, vcc
	s_cbranch_execz .LBB1116_372
; %bb.371:
	s_lshl_b64 s[4:5], s[22:23], 3
	s_add_u32 s4, s28, s4
	s_addc_u32 s5, s29, s5
	v_mov_b32_e32 v35, 0
	v_lshl_add_u64 v[48:49], v[34:35], 3, s[4:5]
	global_store_dwordx2 v[48:49], v[28:29], off
.LBB1116_372:
	s_or_b64 exec, exec, s[0:1]
	s_mov_b64 s[0:1], 0
.LBB1116_373:
	v_and_b32_e32 v48, 1, v30
	s_and_b64 vcc, exec, s[0:1]
	v_cmp_eq_u32_e64 s[0:1], 1, v48
	s_cbranch_vccz .LBB1116_392
; %bb.374:
	s_and_saveexec_b64 s[4:5], s[0:1]
	s_cbranch_execz .LBB1116_376
; %bb.375:
	v_subrev_u32_e32 v35, s16, v46
	v_lshlrev_b32_e32 v35, 3, v35
	ds_write_b64 v35, v[22:23]
.LBB1116_376:
	s_or_b64 exec, exec, s[4:5]
	v_and_b32_e32 v22, 1, v33
	v_cmp_eq_u32_e32 vcc, 1, v22
	s_and_saveexec_b64 s[0:1], vcc
	s_cbranch_execz .LBB1116_378
; %bb.377:
	v_subrev_u32_e32 v22, s16, v44
	v_lshlrev_b32_e32 v22, 3, v22
	ds_write_b64 v22, v[24:25]
.LBB1116_378:
	s_or_b64 exec, exec, s[0:1]
	v_mov_b32_e32 v22, 1
	v_and_b32_sdwa v22, v22, v30 dst_sel:DWORD dst_unused:UNUSED_PAD src0_sel:DWORD src1_sel:WORD_1
	v_cmp_eq_u32_e32 vcc, 1, v22
	s_and_saveexec_b64 s[0:1], vcc
	s_cbranch_execz .LBB1116_380
; %bb.379:
	v_subrev_u32_e32 v22, s16, v42
	v_lshlrev_b32_e32 v22, 3, v22
	ds_write_b64 v22, v[18:19]
.LBB1116_380:
	s_or_b64 exec, exec, s[0:1]
	v_and_b32_e32 v18, 1, v32
	v_cmp_eq_u32_e32 vcc, 1, v18
	s_and_saveexec_b64 s[0:1], vcc
	s_cbranch_execz .LBB1116_382
; %bb.381:
	v_subrev_u32_e32 v18, s16, v40
	v_lshlrev_b32_e32 v18, 3, v18
	ds_write_b64 v18, v[20:21]
.LBB1116_382:
	s_or_b64 exec, exec, s[0:1]
	v_and_b32_e32 v18, 1, v31
	;; [unrolled: 10-line block ×3, first 2 shown]
	v_cmp_eq_u32_e32 vcc, 1, v14
	s_and_saveexec_b64 s[0:1], vcc
	s_cbranch_execz .LBB1116_386
; %bb.385:
	v_subrev_u32_e32 v14, s16, v36
	v_lshlrev_b32_e32 v14, 3, v14
	ds_write_b64 v14, v[16:17]
.LBB1116_386:
	s_or_b64 exec, exec, s[0:1]
	v_mov_b32_e32 v14, 1
	v_and_b32_sdwa v14, v14, v31 dst_sel:DWORD dst_unused:UNUSED_PAD src0_sel:DWORD src1_sel:WORD_1
	v_cmp_eq_u32_e32 vcc, 1, v14
	s_and_saveexec_b64 s[0:1], vcc
	s_cbranch_execz .LBB1116_388
; %bb.387:
	v_subrev_u32_e32 v14, s16, v34
	v_lshlrev_b32_e32 v14, 3, v14
	ds_write_b64 v14, v[28:29]
.LBB1116_388:
	s_or_b64 exec, exec, s[0:1]
	v_cmp_gt_u32_e32 vcc, s26, v0
	s_waitcnt lgkmcnt(0)
	s_barrier
	s_and_saveexec_b64 s[0:1], vcc
	s_cbranch_execz .LBB1116_391
; %bb.389:
	s_mov_b32 s17, 0
	s_lshl_b64 s[4:5], s[22:23], 3
	s_lshl_b64 s[6:7], s[16:17], 3
	s_add_u32 s4, s4, s6
	s_addc_u32 s5, s5, s7
	s_add_u32 s4, s28, s4
	v_lshlrev_b32_e32 v14, 3, v0
	v_mov_b32_e32 v15, 0
	s_addc_u32 s5, s29, s5
	v_lshl_add_u64 v[16:17], s[4:5], 0, v[14:15]
	s_mov_b64 s[4:5], 0
	s_mov_b64 s[6:7], 0x1000
	v_mov_b32_e32 v15, v0
.LBB1116_390:                           ; =>This Inner Loop Header: Depth=1
	ds_read_b64 v[18:19], v14
	v_add_u32_e32 v15, 0x200, v15
	v_cmp_le_u32_e32 vcc, s26, v15
	v_add_u32_e32 v14, 0x1000, v14
	s_or_b64 s[4:5], vcc, s[4:5]
	s_waitcnt lgkmcnt(0)
	global_store_dwordx2 v[16:17], v[18:19], off
	v_lshl_add_u64 v[16:17], v[16:17], 0, s[6:7]
	s_andn2_b64 exec, exec, s[4:5]
	s_cbranch_execnz .LBB1116_390
.LBB1116_391:
	s_or_b64 exec, exec, s[0:1]
.LBB1116_392:
	s_mov_b64 s[0:1], -1
	s_and_b64 vcc, exec, s[2:3]
	s_barrier
	s_cbranch_vccnz .LBB1116_396
; %bb.393:
	s_and_b64 vcc, exec, s[0:1]
	s_cbranch_vccnz .LBB1116_418
.LBB1116_394:
	s_and_b64 s[0:1], s[18:19], s[24:25]
	s_and_saveexec_b64 s[2:3], s[0:1]
	s_cbranch_execnz .LBB1116_436
.LBB1116_395:
	s_endpgm
.LBB1116_396:
	s_add_i32 s2, s16, s26
	v_cmp_gt_u32_e32 vcc, s2, v46
	s_or_b64 s[4:5], s[34:35], vcc
	s_and_saveexec_b64 s[0:1], s[4:5]
	s_cbranch_execz .LBB1116_399
; %bb.397:
	v_cmp_eq_u32_e32 vcc, 1, v48
	s_and_b64 exec, exec, vcc
	s_cbranch_execz .LBB1116_399
; %bb.398:
	s_lshl_b64 s[4:5], s[22:23], 3
	s_add_u32 s4, s30, s4
	s_addc_u32 s5, s31, s5
	v_mov_b32_e32 v47, 0
	v_lshl_add_u64 v[14:15], v[46:47], 3, s[4:5]
	global_store_dwordx2 v[14:15], v[10:11], off
.LBB1116_399:
	s_or_b64 exec, exec, s[0:1]
	v_cmp_gt_u32_e32 vcc, s2, v44
	s_or_b64 s[4:5], s[34:35], vcc
	s_and_saveexec_b64 s[0:1], s[4:5]
	s_cbranch_execz .LBB1116_402
; %bb.400:
	v_and_b32_e32 v14, 1, v33
	v_cmp_eq_u32_e32 vcc, 1, v14
	s_and_b64 exec, exec, vcc
	s_cbranch_execz .LBB1116_402
; %bb.401:
	s_lshl_b64 s[4:5], s[22:23], 3
	s_add_u32 s4, s30, s4
	s_addc_u32 s5, s31, s5
	v_mov_b32_e32 v45, 0
	v_lshl_add_u64 v[14:15], v[44:45], 3, s[4:5]
	global_store_dwordx2 v[14:15], v[12:13], off
.LBB1116_402:
	s_or_b64 exec, exec, s[0:1]
	v_cmp_gt_u32_e32 vcc, s2, v42
	s_or_b64 s[4:5], s[34:35], vcc
	s_and_saveexec_b64 s[0:1], s[4:5]
	s_cbranch_execz .LBB1116_405
; %bb.403:
	v_mov_b32_e32 v14, 1
	v_and_b32_sdwa v14, v14, v30 dst_sel:DWORD dst_unused:UNUSED_PAD src0_sel:DWORD src1_sel:WORD_1
	v_cmp_eq_u32_e32 vcc, 1, v14
	s_and_b64 exec, exec, vcc
	s_cbranch_execz .LBB1116_405
; %bb.404:
	s_lshl_b64 s[4:5], s[22:23], 3
	s_add_u32 s4, s30, s4
	s_addc_u32 s5, s31, s5
	v_mov_b32_e32 v43, 0
	v_lshl_add_u64 v[14:15], v[42:43], 3, s[4:5]
	global_store_dwordx2 v[14:15], v[6:7], off
.LBB1116_405:
	s_or_b64 exec, exec, s[0:1]
	v_cmp_gt_u32_e32 vcc, s2, v40
	s_or_b64 s[4:5], s[34:35], vcc
	s_and_saveexec_b64 s[0:1], s[4:5]
	s_cbranch_execz .LBB1116_408
; %bb.406:
	v_and_b32_e32 v14, 1, v32
	v_cmp_eq_u32_e32 vcc, 1, v14
	s_and_b64 exec, exec, vcc
	s_cbranch_execz .LBB1116_408
; %bb.407:
	s_lshl_b64 s[4:5], s[22:23], 3
	s_add_u32 s4, s30, s4
	s_addc_u32 s5, s31, s5
	v_mov_b32_e32 v41, 0
	v_lshl_add_u64 v[14:15], v[40:41], 3, s[4:5]
	global_store_dwordx2 v[14:15], v[8:9], off
.LBB1116_408:
	s_or_b64 exec, exec, s[0:1]
	v_cmp_gt_u32_e32 vcc, s2, v38
	s_or_b64 s[4:5], s[34:35], vcc
	s_and_saveexec_b64 s[0:1], s[4:5]
	s_cbranch_execz .LBB1116_411
; %bb.409:
	v_and_b32_e32 v14, 1, v31
	v_cmp_eq_u32_e32 vcc, 1, v14
	s_and_b64 exec, exec, vcc
	s_cbranch_execz .LBB1116_411
; %bb.410:
	s_lshl_b64 s[4:5], s[22:23], 3
	s_add_u32 s4, s30, s4
	s_addc_u32 s5, s31, s5
	v_mov_b32_e32 v39, 0
	v_lshl_add_u64 v[14:15], v[38:39], 3, s[4:5]
	global_store_dwordx2 v[14:15], v[2:3], off
.LBB1116_411:
	s_or_b64 exec, exec, s[0:1]
	v_cmp_gt_u32_e32 vcc, s2, v36
	s_or_b64 s[4:5], s[34:35], vcc
	s_and_saveexec_b64 s[0:1], s[4:5]
	s_cbranch_execz .LBB1116_414
; %bb.412:
	v_and_b32_e32 v14, 1, v1
	v_cmp_eq_u32_e32 vcc, 1, v14
	s_and_b64 exec, exec, vcc
	s_cbranch_execz .LBB1116_414
; %bb.413:
	s_lshl_b64 s[4:5], s[22:23], 3
	s_add_u32 s4, s30, s4
	s_addc_u32 s5, s31, s5
	v_mov_b32_e32 v37, 0
	v_lshl_add_u64 v[14:15], v[36:37], 3, s[4:5]
	global_store_dwordx2 v[14:15], v[4:5], off
.LBB1116_414:
	s_or_b64 exec, exec, s[0:1]
	v_cmp_gt_u32_e32 vcc, s2, v34
	s_or_b64 s[2:3], s[34:35], vcc
	s_and_saveexec_b64 s[0:1], s[2:3]
	s_cbranch_execz .LBB1116_417
; %bb.415:
	v_mov_b32_e32 v14, 1
	v_and_b32_sdwa v14, v14, v31 dst_sel:DWORD dst_unused:UNUSED_PAD src0_sel:DWORD src1_sel:WORD_1
	v_cmp_eq_u32_e32 vcc, 1, v14
	s_and_b64 exec, exec, vcc
	s_cbranch_execz .LBB1116_417
; %bb.416:
	s_lshl_b64 s[2:3], s[22:23], 3
	s_add_u32 s2, s30, s2
	s_addc_u32 s3, s31, s3
	v_mov_b32_e32 v35, 0
	v_lshl_add_u64 v[14:15], v[34:35], 3, s[2:3]
	global_store_dwordx2 v[14:15], v[26:27], off
.LBB1116_417:
	s_or_b64 exec, exec, s[0:1]
	s_branch .LBB1116_394
.LBB1116_418:
	v_cmp_eq_u32_e32 vcc, 1, v48
	s_and_saveexec_b64 s[0:1], vcc
	s_cbranch_execz .LBB1116_420
; %bb.419:
	v_subrev_u32_e32 v14, s16, v46
	v_lshlrev_b32_e32 v14, 3, v14
	ds_write_b64 v14, v[10:11]
.LBB1116_420:
	s_or_b64 exec, exec, s[0:1]
	v_and_b32_e32 v10, 1, v33
	v_cmp_eq_u32_e32 vcc, 1, v10
	s_and_saveexec_b64 s[0:1], vcc
	s_cbranch_execz .LBB1116_422
; %bb.421:
	v_subrev_u32_e32 v10, s16, v44
	v_lshlrev_b32_e32 v10, 3, v10
	ds_write_b64 v10, v[12:13]
.LBB1116_422:
	s_or_b64 exec, exec, s[0:1]
	v_mov_b32_e32 v10, 1
	v_and_b32_sdwa v10, v10, v30 dst_sel:DWORD dst_unused:UNUSED_PAD src0_sel:DWORD src1_sel:WORD_1
	v_cmp_eq_u32_e32 vcc, 1, v10
	s_and_saveexec_b64 s[0:1], vcc
	s_cbranch_execz .LBB1116_424
; %bb.423:
	v_subrev_u32_e32 v10, s16, v42
	v_lshlrev_b32_e32 v10, 3, v10
	ds_write_b64 v10, v[6:7]
.LBB1116_424:
	s_or_b64 exec, exec, s[0:1]
	v_and_b32_e32 v6, 1, v32
	v_cmp_eq_u32_e32 vcc, 1, v6
	s_and_saveexec_b64 s[0:1], vcc
	s_cbranch_execz .LBB1116_426
; %bb.425:
	v_subrev_u32_e32 v6, s16, v40
	v_lshlrev_b32_e32 v6, 3, v6
	ds_write_b64 v6, v[8:9]
.LBB1116_426:
	s_or_b64 exec, exec, s[0:1]
	v_and_b32_e32 v6, 1, v31
	v_cmp_eq_u32_e32 vcc, 1, v6
	s_and_saveexec_b64 s[0:1], vcc
	s_cbranch_execz .LBB1116_428
; %bb.427:
	v_subrev_u32_e32 v6, s16, v38
	v_lshlrev_b32_e32 v6, 3, v6
	ds_write_b64 v6, v[2:3]
.LBB1116_428:
	s_or_b64 exec, exec, s[0:1]
	v_and_b32_e32 v1, 1, v1
	v_cmp_eq_u32_e32 vcc, 1, v1
	s_and_saveexec_b64 s[0:1], vcc
	s_cbranch_execz .LBB1116_430
; %bb.429:
	v_subrev_u32_e32 v1, s16, v36
	v_lshlrev_b32_e32 v1, 3, v1
	ds_write_b64 v1, v[4:5]
.LBB1116_430:
	s_or_b64 exec, exec, s[0:1]
	v_mov_b32_e32 v1, 1
	v_and_b32_sdwa v1, v1, v31 dst_sel:DWORD dst_unused:UNUSED_PAD src0_sel:DWORD src1_sel:WORD_1
	v_cmp_eq_u32_e32 vcc, 1, v1
	s_and_saveexec_b64 s[0:1], vcc
	s_cbranch_execz .LBB1116_432
; %bb.431:
	v_subrev_u32_e32 v1, s16, v34
	v_lshlrev_b32_e32 v1, 3, v1
	ds_write_b64 v1, v[26:27]
.LBB1116_432:
	s_or_b64 exec, exec, s[0:1]
	v_cmp_gt_u32_e32 vcc, s26, v0
	s_waitcnt lgkmcnt(0)
	s_barrier
	s_and_saveexec_b64 s[0:1], vcc
	s_cbranch_execz .LBB1116_435
; %bb.433:
	s_mov_b32 s17, 0
	s_lshl_b64 s[2:3], s[22:23], 3
	s_lshl_b64 s[4:5], s[16:17], 3
	s_add_u32 s2, s2, s4
	s_addc_u32 s3, s3, s5
	s_add_u32 s2, s30, s2
	v_lshlrev_b32_e32 v2, 3, v0
	v_mov_b32_e32 v3, 0
	s_addc_u32 s3, s31, s3
	v_lshl_add_u64 v[4:5], s[2:3], 0, v[2:3]
	s_mov_b64 s[2:3], 0
	s_mov_b64 s[4:5], 0x1000
.LBB1116_434:                           ; =>This Inner Loop Header: Depth=1
	ds_read_b64 v[6:7], v2
	v_add_u32_e32 v0, 0x200, v0
	v_cmp_le_u32_e32 vcc, s26, v0
	v_add_u32_e32 v2, 0x1000, v2
	s_or_b64 s[2:3], vcc, s[2:3]
	s_waitcnt lgkmcnt(0)
	global_store_dwordx2 v[4:5], v[6:7], off
	v_lshl_add_u64 v[4:5], v[4:5], 0, s[4:5]
	s_andn2_b64 exec, exec, s[2:3]
	s_cbranch_execnz .LBB1116_434
.LBB1116_435:
	s_or_b64 exec, exec, s[0:1]
	s_and_b64 s[0:1], s[18:19], s[24:25]
	s_and_saveexec_b64 s[2:3], s[0:1]
	s_cbranch_execz .LBB1116_395
.LBB1116_436:
	s_add_u32 s0, s22, s26
	s_addc_u32 s1, s23, 0
	s_add_u32 s0, s0, s16
	s_addc_u32 s1, s1, 0
	v_mov_b32_e32 v2, 0
	v_mov_b64_e32 v[0:1], s[0:1]
	global_store_dwordx2 v2, v[0:1], s[20:21]
	s_endpgm
	.section	.rodata,"a",@progbits
	.p2align	6, 0x0
	.amdhsa_kernel _ZN7rocprim17ROCPRIM_400000_NS6detail17trampoline_kernelINS0_14default_configENS1_25partition_config_selectorILNS1_17partition_subalgoE9EllbEEZZNS1_14partition_implILS5_9ELb0ES3_jPlS8_PNS0_10empty_typeENS0_5tupleIJS8_S9_EEENSB_IJS8_SA_EEENS0_18inequality_wrapperIZN2at6native12_GLOBAL__N_124unique_dim_cuda_templateIbEESt5tupleIJNSF_6TensorESK_SK_EERKSK_lbbbEUlllE0_EEPmJS9_EEE10hipError_tPvRmT3_T4_T5_T6_T7_T9_mT8_P12ihipStream_tbDpT10_ENKUlT_T0_E_clISt17integral_constantIbLb0EES19_IbLb1EEEEDaS15_S16_EUlS15_E_NS1_11comp_targetILNS1_3genE5ELNS1_11target_archE942ELNS1_3gpuE9ELNS1_3repE0EEENS1_30default_config_static_selectorELNS0_4arch9wavefront6targetE1EEEvT1_
		.amdhsa_group_segment_fixed_size 28684
		.amdhsa_private_segment_fixed_size 0
		.amdhsa_kernarg_size 136
		.amdhsa_user_sgpr_count 2
		.amdhsa_user_sgpr_dispatch_ptr 0
		.amdhsa_user_sgpr_queue_ptr 0
		.amdhsa_user_sgpr_kernarg_segment_ptr 1
		.amdhsa_user_sgpr_dispatch_id 0
		.amdhsa_user_sgpr_kernarg_preload_length 0
		.amdhsa_user_sgpr_kernarg_preload_offset 0
		.amdhsa_user_sgpr_private_segment_size 0
		.amdhsa_uses_dynamic_stack 0
		.amdhsa_enable_private_segment 0
		.amdhsa_system_sgpr_workgroup_id_x 1
		.amdhsa_system_sgpr_workgroup_id_y 0
		.amdhsa_system_sgpr_workgroup_id_z 0
		.amdhsa_system_sgpr_workgroup_info 0
		.amdhsa_system_vgpr_workitem_id 0
		.amdhsa_next_free_vgpr 66
		.amdhsa_next_free_sgpr 58
		.amdhsa_accum_offset 68
		.amdhsa_reserve_vcc 1
		.amdhsa_float_round_mode_32 0
		.amdhsa_float_round_mode_16_64 0
		.amdhsa_float_denorm_mode_32 3
		.amdhsa_float_denorm_mode_16_64 3
		.amdhsa_dx10_clamp 1
		.amdhsa_ieee_mode 1
		.amdhsa_fp16_overflow 0
		.amdhsa_tg_split 0
		.amdhsa_exception_fp_ieee_invalid_op 0
		.amdhsa_exception_fp_denorm_src 0
		.amdhsa_exception_fp_ieee_div_zero 0
		.amdhsa_exception_fp_ieee_overflow 0
		.amdhsa_exception_fp_ieee_underflow 0
		.amdhsa_exception_fp_ieee_inexact 0
		.amdhsa_exception_int_div_zero 0
	.end_amdhsa_kernel
	.section	.text._ZN7rocprim17ROCPRIM_400000_NS6detail17trampoline_kernelINS0_14default_configENS1_25partition_config_selectorILNS1_17partition_subalgoE9EllbEEZZNS1_14partition_implILS5_9ELb0ES3_jPlS8_PNS0_10empty_typeENS0_5tupleIJS8_S9_EEENSB_IJS8_SA_EEENS0_18inequality_wrapperIZN2at6native12_GLOBAL__N_124unique_dim_cuda_templateIbEESt5tupleIJNSF_6TensorESK_SK_EERKSK_lbbbEUlllE0_EEPmJS9_EEE10hipError_tPvRmT3_T4_T5_T6_T7_T9_mT8_P12ihipStream_tbDpT10_ENKUlT_T0_E_clISt17integral_constantIbLb0EES19_IbLb1EEEEDaS15_S16_EUlS15_E_NS1_11comp_targetILNS1_3genE5ELNS1_11target_archE942ELNS1_3gpuE9ELNS1_3repE0EEENS1_30default_config_static_selectorELNS0_4arch9wavefront6targetE1EEEvT1_,"axG",@progbits,_ZN7rocprim17ROCPRIM_400000_NS6detail17trampoline_kernelINS0_14default_configENS1_25partition_config_selectorILNS1_17partition_subalgoE9EllbEEZZNS1_14partition_implILS5_9ELb0ES3_jPlS8_PNS0_10empty_typeENS0_5tupleIJS8_S9_EEENSB_IJS8_SA_EEENS0_18inequality_wrapperIZN2at6native12_GLOBAL__N_124unique_dim_cuda_templateIbEESt5tupleIJNSF_6TensorESK_SK_EERKSK_lbbbEUlllE0_EEPmJS9_EEE10hipError_tPvRmT3_T4_T5_T6_T7_T9_mT8_P12ihipStream_tbDpT10_ENKUlT_T0_E_clISt17integral_constantIbLb0EES19_IbLb1EEEEDaS15_S16_EUlS15_E_NS1_11comp_targetILNS1_3genE5ELNS1_11target_archE942ELNS1_3gpuE9ELNS1_3repE0EEENS1_30default_config_static_selectorELNS0_4arch9wavefront6targetE1EEEvT1_,comdat
.Lfunc_end1116:
	.size	_ZN7rocprim17ROCPRIM_400000_NS6detail17trampoline_kernelINS0_14default_configENS1_25partition_config_selectorILNS1_17partition_subalgoE9EllbEEZZNS1_14partition_implILS5_9ELb0ES3_jPlS8_PNS0_10empty_typeENS0_5tupleIJS8_S9_EEENSB_IJS8_SA_EEENS0_18inequality_wrapperIZN2at6native12_GLOBAL__N_124unique_dim_cuda_templateIbEESt5tupleIJNSF_6TensorESK_SK_EERKSK_lbbbEUlllE0_EEPmJS9_EEE10hipError_tPvRmT3_T4_T5_T6_T7_T9_mT8_P12ihipStream_tbDpT10_ENKUlT_T0_E_clISt17integral_constantIbLb0EES19_IbLb1EEEEDaS15_S16_EUlS15_E_NS1_11comp_targetILNS1_3genE5ELNS1_11target_archE942ELNS1_3gpuE9ELNS1_3repE0EEENS1_30default_config_static_selectorELNS0_4arch9wavefront6targetE1EEEvT1_, .Lfunc_end1116-_ZN7rocprim17ROCPRIM_400000_NS6detail17trampoline_kernelINS0_14default_configENS1_25partition_config_selectorILNS1_17partition_subalgoE9EllbEEZZNS1_14partition_implILS5_9ELb0ES3_jPlS8_PNS0_10empty_typeENS0_5tupleIJS8_S9_EEENSB_IJS8_SA_EEENS0_18inequality_wrapperIZN2at6native12_GLOBAL__N_124unique_dim_cuda_templateIbEESt5tupleIJNSF_6TensorESK_SK_EERKSK_lbbbEUlllE0_EEPmJS9_EEE10hipError_tPvRmT3_T4_T5_T6_T7_T9_mT8_P12ihipStream_tbDpT10_ENKUlT_T0_E_clISt17integral_constantIbLb0EES19_IbLb1EEEEDaS15_S16_EUlS15_E_NS1_11comp_targetILNS1_3genE5ELNS1_11target_archE942ELNS1_3gpuE9ELNS1_3repE0EEENS1_30default_config_static_selectorELNS0_4arch9wavefront6targetE1EEEvT1_
                                        ; -- End function
	.section	.AMDGPU.csdata,"",@progbits
; Kernel info:
; codeLenInByte = 15624
; NumSgprs: 64
; NumVgprs: 66
; NumAgprs: 0
; TotalNumVgprs: 66
; ScratchSize: 0
; MemoryBound: 0
; FloatMode: 240
; IeeeMode: 1
; LDSByteSize: 28684 bytes/workgroup (compile time only)
; SGPRBlocks: 7
; VGPRBlocks: 8
; NumSGPRsForWavesPerEU: 64
; NumVGPRsForWavesPerEU: 66
; AccumOffset: 68
; Occupancy: 4
; WaveLimiterHint : 1
; COMPUTE_PGM_RSRC2:SCRATCH_EN: 0
; COMPUTE_PGM_RSRC2:USER_SGPR: 2
; COMPUTE_PGM_RSRC2:TRAP_HANDLER: 0
; COMPUTE_PGM_RSRC2:TGID_X_EN: 1
; COMPUTE_PGM_RSRC2:TGID_Y_EN: 0
; COMPUTE_PGM_RSRC2:TGID_Z_EN: 0
; COMPUTE_PGM_RSRC2:TIDIG_COMP_CNT: 0
; COMPUTE_PGM_RSRC3_GFX90A:ACCUM_OFFSET: 16
; COMPUTE_PGM_RSRC3_GFX90A:TG_SPLIT: 0
	.section	.text._ZN7rocprim17ROCPRIM_400000_NS6detail17trampoline_kernelINS0_14default_configENS1_25partition_config_selectorILNS1_17partition_subalgoE9EllbEEZZNS1_14partition_implILS5_9ELb0ES3_jPlS8_PNS0_10empty_typeENS0_5tupleIJS8_S9_EEENSB_IJS8_SA_EEENS0_18inequality_wrapperIZN2at6native12_GLOBAL__N_124unique_dim_cuda_templateIbEESt5tupleIJNSF_6TensorESK_SK_EERKSK_lbbbEUlllE0_EEPmJS9_EEE10hipError_tPvRmT3_T4_T5_T6_T7_T9_mT8_P12ihipStream_tbDpT10_ENKUlT_T0_E_clISt17integral_constantIbLb0EES19_IbLb1EEEEDaS15_S16_EUlS15_E_NS1_11comp_targetILNS1_3genE4ELNS1_11target_archE910ELNS1_3gpuE8ELNS1_3repE0EEENS1_30default_config_static_selectorELNS0_4arch9wavefront6targetE1EEEvT1_,"axG",@progbits,_ZN7rocprim17ROCPRIM_400000_NS6detail17trampoline_kernelINS0_14default_configENS1_25partition_config_selectorILNS1_17partition_subalgoE9EllbEEZZNS1_14partition_implILS5_9ELb0ES3_jPlS8_PNS0_10empty_typeENS0_5tupleIJS8_S9_EEENSB_IJS8_SA_EEENS0_18inequality_wrapperIZN2at6native12_GLOBAL__N_124unique_dim_cuda_templateIbEESt5tupleIJNSF_6TensorESK_SK_EERKSK_lbbbEUlllE0_EEPmJS9_EEE10hipError_tPvRmT3_T4_T5_T6_T7_T9_mT8_P12ihipStream_tbDpT10_ENKUlT_T0_E_clISt17integral_constantIbLb0EES19_IbLb1EEEEDaS15_S16_EUlS15_E_NS1_11comp_targetILNS1_3genE4ELNS1_11target_archE910ELNS1_3gpuE8ELNS1_3repE0EEENS1_30default_config_static_selectorELNS0_4arch9wavefront6targetE1EEEvT1_,comdat
	.globl	_ZN7rocprim17ROCPRIM_400000_NS6detail17trampoline_kernelINS0_14default_configENS1_25partition_config_selectorILNS1_17partition_subalgoE9EllbEEZZNS1_14partition_implILS5_9ELb0ES3_jPlS8_PNS0_10empty_typeENS0_5tupleIJS8_S9_EEENSB_IJS8_SA_EEENS0_18inequality_wrapperIZN2at6native12_GLOBAL__N_124unique_dim_cuda_templateIbEESt5tupleIJNSF_6TensorESK_SK_EERKSK_lbbbEUlllE0_EEPmJS9_EEE10hipError_tPvRmT3_T4_T5_T6_T7_T9_mT8_P12ihipStream_tbDpT10_ENKUlT_T0_E_clISt17integral_constantIbLb0EES19_IbLb1EEEEDaS15_S16_EUlS15_E_NS1_11comp_targetILNS1_3genE4ELNS1_11target_archE910ELNS1_3gpuE8ELNS1_3repE0EEENS1_30default_config_static_selectorELNS0_4arch9wavefront6targetE1EEEvT1_ ; -- Begin function _ZN7rocprim17ROCPRIM_400000_NS6detail17trampoline_kernelINS0_14default_configENS1_25partition_config_selectorILNS1_17partition_subalgoE9EllbEEZZNS1_14partition_implILS5_9ELb0ES3_jPlS8_PNS0_10empty_typeENS0_5tupleIJS8_S9_EEENSB_IJS8_SA_EEENS0_18inequality_wrapperIZN2at6native12_GLOBAL__N_124unique_dim_cuda_templateIbEESt5tupleIJNSF_6TensorESK_SK_EERKSK_lbbbEUlllE0_EEPmJS9_EEE10hipError_tPvRmT3_T4_T5_T6_T7_T9_mT8_P12ihipStream_tbDpT10_ENKUlT_T0_E_clISt17integral_constantIbLb0EES19_IbLb1EEEEDaS15_S16_EUlS15_E_NS1_11comp_targetILNS1_3genE4ELNS1_11target_archE910ELNS1_3gpuE8ELNS1_3repE0EEENS1_30default_config_static_selectorELNS0_4arch9wavefront6targetE1EEEvT1_
	.p2align	8
	.type	_ZN7rocprim17ROCPRIM_400000_NS6detail17trampoline_kernelINS0_14default_configENS1_25partition_config_selectorILNS1_17partition_subalgoE9EllbEEZZNS1_14partition_implILS5_9ELb0ES3_jPlS8_PNS0_10empty_typeENS0_5tupleIJS8_S9_EEENSB_IJS8_SA_EEENS0_18inequality_wrapperIZN2at6native12_GLOBAL__N_124unique_dim_cuda_templateIbEESt5tupleIJNSF_6TensorESK_SK_EERKSK_lbbbEUlllE0_EEPmJS9_EEE10hipError_tPvRmT3_T4_T5_T6_T7_T9_mT8_P12ihipStream_tbDpT10_ENKUlT_T0_E_clISt17integral_constantIbLb0EES19_IbLb1EEEEDaS15_S16_EUlS15_E_NS1_11comp_targetILNS1_3genE4ELNS1_11target_archE910ELNS1_3gpuE8ELNS1_3repE0EEENS1_30default_config_static_selectorELNS0_4arch9wavefront6targetE1EEEvT1_,@function
_ZN7rocprim17ROCPRIM_400000_NS6detail17trampoline_kernelINS0_14default_configENS1_25partition_config_selectorILNS1_17partition_subalgoE9EllbEEZZNS1_14partition_implILS5_9ELb0ES3_jPlS8_PNS0_10empty_typeENS0_5tupleIJS8_S9_EEENSB_IJS8_SA_EEENS0_18inequality_wrapperIZN2at6native12_GLOBAL__N_124unique_dim_cuda_templateIbEESt5tupleIJNSF_6TensorESK_SK_EERKSK_lbbbEUlllE0_EEPmJS9_EEE10hipError_tPvRmT3_T4_T5_T6_T7_T9_mT8_P12ihipStream_tbDpT10_ENKUlT_T0_E_clISt17integral_constantIbLb0EES19_IbLb1EEEEDaS15_S16_EUlS15_E_NS1_11comp_targetILNS1_3genE4ELNS1_11target_archE910ELNS1_3gpuE8ELNS1_3repE0EEENS1_30default_config_static_selectorELNS0_4arch9wavefront6targetE1EEEvT1_: ; @_ZN7rocprim17ROCPRIM_400000_NS6detail17trampoline_kernelINS0_14default_configENS1_25partition_config_selectorILNS1_17partition_subalgoE9EllbEEZZNS1_14partition_implILS5_9ELb0ES3_jPlS8_PNS0_10empty_typeENS0_5tupleIJS8_S9_EEENSB_IJS8_SA_EEENS0_18inequality_wrapperIZN2at6native12_GLOBAL__N_124unique_dim_cuda_templateIbEESt5tupleIJNSF_6TensorESK_SK_EERKSK_lbbbEUlllE0_EEPmJS9_EEE10hipError_tPvRmT3_T4_T5_T6_T7_T9_mT8_P12ihipStream_tbDpT10_ENKUlT_T0_E_clISt17integral_constantIbLb0EES19_IbLb1EEEEDaS15_S16_EUlS15_E_NS1_11comp_targetILNS1_3genE4ELNS1_11target_archE910ELNS1_3gpuE8ELNS1_3repE0EEENS1_30default_config_static_selectorELNS0_4arch9wavefront6targetE1EEEvT1_
; %bb.0:
	.section	.rodata,"a",@progbits
	.p2align	6, 0x0
	.amdhsa_kernel _ZN7rocprim17ROCPRIM_400000_NS6detail17trampoline_kernelINS0_14default_configENS1_25partition_config_selectorILNS1_17partition_subalgoE9EllbEEZZNS1_14partition_implILS5_9ELb0ES3_jPlS8_PNS0_10empty_typeENS0_5tupleIJS8_S9_EEENSB_IJS8_SA_EEENS0_18inequality_wrapperIZN2at6native12_GLOBAL__N_124unique_dim_cuda_templateIbEESt5tupleIJNSF_6TensorESK_SK_EERKSK_lbbbEUlllE0_EEPmJS9_EEE10hipError_tPvRmT3_T4_T5_T6_T7_T9_mT8_P12ihipStream_tbDpT10_ENKUlT_T0_E_clISt17integral_constantIbLb0EES19_IbLb1EEEEDaS15_S16_EUlS15_E_NS1_11comp_targetILNS1_3genE4ELNS1_11target_archE910ELNS1_3gpuE8ELNS1_3repE0EEENS1_30default_config_static_selectorELNS0_4arch9wavefront6targetE1EEEvT1_
		.amdhsa_group_segment_fixed_size 0
		.amdhsa_private_segment_fixed_size 0
		.amdhsa_kernarg_size 136
		.amdhsa_user_sgpr_count 2
		.amdhsa_user_sgpr_dispatch_ptr 0
		.amdhsa_user_sgpr_queue_ptr 0
		.amdhsa_user_sgpr_kernarg_segment_ptr 1
		.amdhsa_user_sgpr_dispatch_id 0
		.amdhsa_user_sgpr_kernarg_preload_length 0
		.amdhsa_user_sgpr_kernarg_preload_offset 0
		.amdhsa_user_sgpr_private_segment_size 0
		.amdhsa_uses_dynamic_stack 0
		.amdhsa_enable_private_segment 0
		.amdhsa_system_sgpr_workgroup_id_x 1
		.amdhsa_system_sgpr_workgroup_id_y 0
		.amdhsa_system_sgpr_workgroup_id_z 0
		.amdhsa_system_sgpr_workgroup_info 0
		.amdhsa_system_vgpr_workitem_id 0
		.amdhsa_next_free_vgpr 1
		.amdhsa_next_free_sgpr 0
		.amdhsa_accum_offset 4
		.amdhsa_reserve_vcc 0
		.amdhsa_float_round_mode_32 0
		.amdhsa_float_round_mode_16_64 0
		.amdhsa_float_denorm_mode_32 3
		.amdhsa_float_denorm_mode_16_64 3
		.amdhsa_dx10_clamp 1
		.amdhsa_ieee_mode 1
		.amdhsa_fp16_overflow 0
		.amdhsa_tg_split 0
		.amdhsa_exception_fp_ieee_invalid_op 0
		.amdhsa_exception_fp_denorm_src 0
		.amdhsa_exception_fp_ieee_div_zero 0
		.amdhsa_exception_fp_ieee_overflow 0
		.amdhsa_exception_fp_ieee_underflow 0
		.amdhsa_exception_fp_ieee_inexact 0
		.amdhsa_exception_int_div_zero 0
	.end_amdhsa_kernel
	.section	.text._ZN7rocprim17ROCPRIM_400000_NS6detail17trampoline_kernelINS0_14default_configENS1_25partition_config_selectorILNS1_17partition_subalgoE9EllbEEZZNS1_14partition_implILS5_9ELb0ES3_jPlS8_PNS0_10empty_typeENS0_5tupleIJS8_S9_EEENSB_IJS8_SA_EEENS0_18inequality_wrapperIZN2at6native12_GLOBAL__N_124unique_dim_cuda_templateIbEESt5tupleIJNSF_6TensorESK_SK_EERKSK_lbbbEUlllE0_EEPmJS9_EEE10hipError_tPvRmT3_T4_T5_T6_T7_T9_mT8_P12ihipStream_tbDpT10_ENKUlT_T0_E_clISt17integral_constantIbLb0EES19_IbLb1EEEEDaS15_S16_EUlS15_E_NS1_11comp_targetILNS1_3genE4ELNS1_11target_archE910ELNS1_3gpuE8ELNS1_3repE0EEENS1_30default_config_static_selectorELNS0_4arch9wavefront6targetE1EEEvT1_,"axG",@progbits,_ZN7rocprim17ROCPRIM_400000_NS6detail17trampoline_kernelINS0_14default_configENS1_25partition_config_selectorILNS1_17partition_subalgoE9EllbEEZZNS1_14partition_implILS5_9ELb0ES3_jPlS8_PNS0_10empty_typeENS0_5tupleIJS8_S9_EEENSB_IJS8_SA_EEENS0_18inequality_wrapperIZN2at6native12_GLOBAL__N_124unique_dim_cuda_templateIbEESt5tupleIJNSF_6TensorESK_SK_EERKSK_lbbbEUlllE0_EEPmJS9_EEE10hipError_tPvRmT3_T4_T5_T6_T7_T9_mT8_P12ihipStream_tbDpT10_ENKUlT_T0_E_clISt17integral_constantIbLb0EES19_IbLb1EEEEDaS15_S16_EUlS15_E_NS1_11comp_targetILNS1_3genE4ELNS1_11target_archE910ELNS1_3gpuE8ELNS1_3repE0EEENS1_30default_config_static_selectorELNS0_4arch9wavefront6targetE1EEEvT1_,comdat
.Lfunc_end1117:
	.size	_ZN7rocprim17ROCPRIM_400000_NS6detail17trampoline_kernelINS0_14default_configENS1_25partition_config_selectorILNS1_17partition_subalgoE9EllbEEZZNS1_14partition_implILS5_9ELb0ES3_jPlS8_PNS0_10empty_typeENS0_5tupleIJS8_S9_EEENSB_IJS8_SA_EEENS0_18inequality_wrapperIZN2at6native12_GLOBAL__N_124unique_dim_cuda_templateIbEESt5tupleIJNSF_6TensorESK_SK_EERKSK_lbbbEUlllE0_EEPmJS9_EEE10hipError_tPvRmT3_T4_T5_T6_T7_T9_mT8_P12ihipStream_tbDpT10_ENKUlT_T0_E_clISt17integral_constantIbLb0EES19_IbLb1EEEEDaS15_S16_EUlS15_E_NS1_11comp_targetILNS1_3genE4ELNS1_11target_archE910ELNS1_3gpuE8ELNS1_3repE0EEENS1_30default_config_static_selectorELNS0_4arch9wavefront6targetE1EEEvT1_, .Lfunc_end1117-_ZN7rocprim17ROCPRIM_400000_NS6detail17trampoline_kernelINS0_14default_configENS1_25partition_config_selectorILNS1_17partition_subalgoE9EllbEEZZNS1_14partition_implILS5_9ELb0ES3_jPlS8_PNS0_10empty_typeENS0_5tupleIJS8_S9_EEENSB_IJS8_SA_EEENS0_18inequality_wrapperIZN2at6native12_GLOBAL__N_124unique_dim_cuda_templateIbEESt5tupleIJNSF_6TensorESK_SK_EERKSK_lbbbEUlllE0_EEPmJS9_EEE10hipError_tPvRmT3_T4_T5_T6_T7_T9_mT8_P12ihipStream_tbDpT10_ENKUlT_T0_E_clISt17integral_constantIbLb0EES19_IbLb1EEEEDaS15_S16_EUlS15_E_NS1_11comp_targetILNS1_3genE4ELNS1_11target_archE910ELNS1_3gpuE8ELNS1_3repE0EEENS1_30default_config_static_selectorELNS0_4arch9wavefront6targetE1EEEvT1_
                                        ; -- End function
	.section	.AMDGPU.csdata,"",@progbits
; Kernel info:
; codeLenInByte = 0
; NumSgprs: 6
; NumVgprs: 0
; NumAgprs: 0
; TotalNumVgprs: 0
; ScratchSize: 0
; MemoryBound: 0
; FloatMode: 240
; IeeeMode: 1
; LDSByteSize: 0 bytes/workgroup (compile time only)
; SGPRBlocks: 0
; VGPRBlocks: 0
; NumSGPRsForWavesPerEU: 6
; NumVGPRsForWavesPerEU: 1
; AccumOffset: 4
; Occupancy: 8
; WaveLimiterHint : 0
; COMPUTE_PGM_RSRC2:SCRATCH_EN: 0
; COMPUTE_PGM_RSRC2:USER_SGPR: 2
; COMPUTE_PGM_RSRC2:TRAP_HANDLER: 0
; COMPUTE_PGM_RSRC2:TGID_X_EN: 1
; COMPUTE_PGM_RSRC2:TGID_Y_EN: 0
; COMPUTE_PGM_RSRC2:TGID_Z_EN: 0
; COMPUTE_PGM_RSRC2:TIDIG_COMP_CNT: 0
; COMPUTE_PGM_RSRC3_GFX90A:ACCUM_OFFSET: 0
; COMPUTE_PGM_RSRC3_GFX90A:TG_SPLIT: 0
	.section	.text._ZN7rocprim17ROCPRIM_400000_NS6detail17trampoline_kernelINS0_14default_configENS1_25partition_config_selectorILNS1_17partition_subalgoE9EllbEEZZNS1_14partition_implILS5_9ELb0ES3_jPlS8_PNS0_10empty_typeENS0_5tupleIJS8_S9_EEENSB_IJS8_SA_EEENS0_18inequality_wrapperIZN2at6native12_GLOBAL__N_124unique_dim_cuda_templateIbEESt5tupleIJNSF_6TensorESK_SK_EERKSK_lbbbEUlllE0_EEPmJS9_EEE10hipError_tPvRmT3_T4_T5_T6_T7_T9_mT8_P12ihipStream_tbDpT10_ENKUlT_T0_E_clISt17integral_constantIbLb0EES19_IbLb1EEEEDaS15_S16_EUlS15_E_NS1_11comp_targetILNS1_3genE3ELNS1_11target_archE908ELNS1_3gpuE7ELNS1_3repE0EEENS1_30default_config_static_selectorELNS0_4arch9wavefront6targetE1EEEvT1_,"axG",@progbits,_ZN7rocprim17ROCPRIM_400000_NS6detail17trampoline_kernelINS0_14default_configENS1_25partition_config_selectorILNS1_17partition_subalgoE9EllbEEZZNS1_14partition_implILS5_9ELb0ES3_jPlS8_PNS0_10empty_typeENS0_5tupleIJS8_S9_EEENSB_IJS8_SA_EEENS0_18inequality_wrapperIZN2at6native12_GLOBAL__N_124unique_dim_cuda_templateIbEESt5tupleIJNSF_6TensorESK_SK_EERKSK_lbbbEUlllE0_EEPmJS9_EEE10hipError_tPvRmT3_T4_T5_T6_T7_T9_mT8_P12ihipStream_tbDpT10_ENKUlT_T0_E_clISt17integral_constantIbLb0EES19_IbLb1EEEEDaS15_S16_EUlS15_E_NS1_11comp_targetILNS1_3genE3ELNS1_11target_archE908ELNS1_3gpuE7ELNS1_3repE0EEENS1_30default_config_static_selectorELNS0_4arch9wavefront6targetE1EEEvT1_,comdat
	.globl	_ZN7rocprim17ROCPRIM_400000_NS6detail17trampoline_kernelINS0_14default_configENS1_25partition_config_selectorILNS1_17partition_subalgoE9EllbEEZZNS1_14partition_implILS5_9ELb0ES3_jPlS8_PNS0_10empty_typeENS0_5tupleIJS8_S9_EEENSB_IJS8_SA_EEENS0_18inequality_wrapperIZN2at6native12_GLOBAL__N_124unique_dim_cuda_templateIbEESt5tupleIJNSF_6TensorESK_SK_EERKSK_lbbbEUlllE0_EEPmJS9_EEE10hipError_tPvRmT3_T4_T5_T6_T7_T9_mT8_P12ihipStream_tbDpT10_ENKUlT_T0_E_clISt17integral_constantIbLb0EES19_IbLb1EEEEDaS15_S16_EUlS15_E_NS1_11comp_targetILNS1_3genE3ELNS1_11target_archE908ELNS1_3gpuE7ELNS1_3repE0EEENS1_30default_config_static_selectorELNS0_4arch9wavefront6targetE1EEEvT1_ ; -- Begin function _ZN7rocprim17ROCPRIM_400000_NS6detail17trampoline_kernelINS0_14default_configENS1_25partition_config_selectorILNS1_17partition_subalgoE9EllbEEZZNS1_14partition_implILS5_9ELb0ES3_jPlS8_PNS0_10empty_typeENS0_5tupleIJS8_S9_EEENSB_IJS8_SA_EEENS0_18inequality_wrapperIZN2at6native12_GLOBAL__N_124unique_dim_cuda_templateIbEESt5tupleIJNSF_6TensorESK_SK_EERKSK_lbbbEUlllE0_EEPmJS9_EEE10hipError_tPvRmT3_T4_T5_T6_T7_T9_mT8_P12ihipStream_tbDpT10_ENKUlT_T0_E_clISt17integral_constantIbLb0EES19_IbLb1EEEEDaS15_S16_EUlS15_E_NS1_11comp_targetILNS1_3genE3ELNS1_11target_archE908ELNS1_3gpuE7ELNS1_3repE0EEENS1_30default_config_static_selectorELNS0_4arch9wavefront6targetE1EEEvT1_
	.p2align	8
	.type	_ZN7rocprim17ROCPRIM_400000_NS6detail17trampoline_kernelINS0_14default_configENS1_25partition_config_selectorILNS1_17partition_subalgoE9EllbEEZZNS1_14partition_implILS5_9ELb0ES3_jPlS8_PNS0_10empty_typeENS0_5tupleIJS8_S9_EEENSB_IJS8_SA_EEENS0_18inequality_wrapperIZN2at6native12_GLOBAL__N_124unique_dim_cuda_templateIbEESt5tupleIJNSF_6TensorESK_SK_EERKSK_lbbbEUlllE0_EEPmJS9_EEE10hipError_tPvRmT3_T4_T5_T6_T7_T9_mT8_P12ihipStream_tbDpT10_ENKUlT_T0_E_clISt17integral_constantIbLb0EES19_IbLb1EEEEDaS15_S16_EUlS15_E_NS1_11comp_targetILNS1_3genE3ELNS1_11target_archE908ELNS1_3gpuE7ELNS1_3repE0EEENS1_30default_config_static_selectorELNS0_4arch9wavefront6targetE1EEEvT1_,@function
_ZN7rocprim17ROCPRIM_400000_NS6detail17trampoline_kernelINS0_14default_configENS1_25partition_config_selectorILNS1_17partition_subalgoE9EllbEEZZNS1_14partition_implILS5_9ELb0ES3_jPlS8_PNS0_10empty_typeENS0_5tupleIJS8_S9_EEENSB_IJS8_SA_EEENS0_18inequality_wrapperIZN2at6native12_GLOBAL__N_124unique_dim_cuda_templateIbEESt5tupleIJNSF_6TensorESK_SK_EERKSK_lbbbEUlllE0_EEPmJS9_EEE10hipError_tPvRmT3_T4_T5_T6_T7_T9_mT8_P12ihipStream_tbDpT10_ENKUlT_T0_E_clISt17integral_constantIbLb0EES19_IbLb1EEEEDaS15_S16_EUlS15_E_NS1_11comp_targetILNS1_3genE3ELNS1_11target_archE908ELNS1_3gpuE7ELNS1_3repE0EEENS1_30default_config_static_selectorELNS0_4arch9wavefront6targetE1EEEvT1_: ; @_ZN7rocprim17ROCPRIM_400000_NS6detail17trampoline_kernelINS0_14default_configENS1_25partition_config_selectorILNS1_17partition_subalgoE9EllbEEZZNS1_14partition_implILS5_9ELb0ES3_jPlS8_PNS0_10empty_typeENS0_5tupleIJS8_S9_EEENSB_IJS8_SA_EEENS0_18inequality_wrapperIZN2at6native12_GLOBAL__N_124unique_dim_cuda_templateIbEESt5tupleIJNSF_6TensorESK_SK_EERKSK_lbbbEUlllE0_EEPmJS9_EEE10hipError_tPvRmT3_T4_T5_T6_T7_T9_mT8_P12ihipStream_tbDpT10_ENKUlT_T0_E_clISt17integral_constantIbLb0EES19_IbLb1EEEEDaS15_S16_EUlS15_E_NS1_11comp_targetILNS1_3genE3ELNS1_11target_archE908ELNS1_3gpuE7ELNS1_3repE0EEENS1_30default_config_static_selectorELNS0_4arch9wavefront6targetE1EEEvT1_
; %bb.0:
	.section	.rodata,"a",@progbits
	.p2align	6, 0x0
	.amdhsa_kernel _ZN7rocprim17ROCPRIM_400000_NS6detail17trampoline_kernelINS0_14default_configENS1_25partition_config_selectorILNS1_17partition_subalgoE9EllbEEZZNS1_14partition_implILS5_9ELb0ES3_jPlS8_PNS0_10empty_typeENS0_5tupleIJS8_S9_EEENSB_IJS8_SA_EEENS0_18inequality_wrapperIZN2at6native12_GLOBAL__N_124unique_dim_cuda_templateIbEESt5tupleIJNSF_6TensorESK_SK_EERKSK_lbbbEUlllE0_EEPmJS9_EEE10hipError_tPvRmT3_T4_T5_T6_T7_T9_mT8_P12ihipStream_tbDpT10_ENKUlT_T0_E_clISt17integral_constantIbLb0EES19_IbLb1EEEEDaS15_S16_EUlS15_E_NS1_11comp_targetILNS1_3genE3ELNS1_11target_archE908ELNS1_3gpuE7ELNS1_3repE0EEENS1_30default_config_static_selectorELNS0_4arch9wavefront6targetE1EEEvT1_
		.amdhsa_group_segment_fixed_size 0
		.amdhsa_private_segment_fixed_size 0
		.amdhsa_kernarg_size 136
		.amdhsa_user_sgpr_count 2
		.amdhsa_user_sgpr_dispatch_ptr 0
		.amdhsa_user_sgpr_queue_ptr 0
		.amdhsa_user_sgpr_kernarg_segment_ptr 1
		.amdhsa_user_sgpr_dispatch_id 0
		.amdhsa_user_sgpr_kernarg_preload_length 0
		.amdhsa_user_sgpr_kernarg_preload_offset 0
		.amdhsa_user_sgpr_private_segment_size 0
		.amdhsa_uses_dynamic_stack 0
		.amdhsa_enable_private_segment 0
		.amdhsa_system_sgpr_workgroup_id_x 1
		.amdhsa_system_sgpr_workgroup_id_y 0
		.amdhsa_system_sgpr_workgroup_id_z 0
		.amdhsa_system_sgpr_workgroup_info 0
		.amdhsa_system_vgpr_workitem_id 0
		.amdhsa_next_free_vgpr 1
		.amdhsa_next_free_sgpr 0
		.amdhsa_accum_offset 4
		.amdhsa_reserve_vcc 0
		.amdhsa_float_round_mode_32 0
		.amdhsa_float_round_mode_16_64 0
		.amdhsa_float_denorm_mode_32 3
		.amdhsa_float_denorm_mode_16_64 3
		.amdhsa_dx10_clamp 1
		.amdhsa_ieee_mode 1
		.amdhsa_fp16_overflow 0
		.amdhsa_tg_split 0
		.amdhsa_exception_fp_ieee_invalid_op 0
		.amdhsa_exception_fp_denorm_src 0
		.amdhsa_exception_fp_ieee_div_zero 0
		.amdhsa_exception_fp_ieee_overflow 0
		.amdhsa_exception_fp_ieee_underflow 0
		.amdhsa_exception_fp_ieee_inexact 0
		.amdhsa_exception_int_div_zero 0
	.end_amdhsa_kernel
	.section	.text._ZN7rocprim17ROCPRIM_400000_NS6detail17trampoline_kernelINS0_14default_configENS1_25partition_config_selectorILNS1_17partition_subalgoE9EllbEEZZNS1_14partition_implILS5_9ELb0ES3_jPlS8_PNS0_10empty_typeENS0_5tupleIJS8_S9_EEENSB_IJS8_SA_EEENS0_18inequality_wrapperIZN2at6native12_GLOBAL__N_124unique_dim_cuda_templateIbEESt5tupleIJNSF_6TensorESK_SK_EERKSK_lbbbEUlllE0_EEPmJS9_EEE10hipError_tPvRmT3_T4_T5_T6_T7_T9_mT8_P12ihipStream_tbDpT10_ENKUlT_T0_E_clISt17integral_constantIbLb0EES19_IbLb1EEEEDaS15_S16_EUlS15_E_NS1_11comp_targetILNS1_3genE3ELNS1_11target_archE908ELNS1_3gpuE7ELNS1_3repE0EEENS1_30default_config_static_selectorELNS0_4arch9wavefront6targetE1EEEvT1_,"axG",@progbits,_ZN7rocprim17ROCPRIM_400000_NS6detail17trampoline_kernelINS0_14default_configENS1_25partition_config_selectorILNS1_17partition_subalgoE9EllbEEZZNS1_14partition_implILS5_9ELb0ES3_jPlS8_PNS0_10empty_typeENS0_5tupleIJS8_S9_EEENSB_IJS8_SA_EEENS0_18inequality_wrapperIZN2at6native12_GLOBAL__N_124unique_dim_cuda_templateIbEESt5tupleIJNSF_6TensorESK_SK_EERKSK_lbbbEUlllE0_EEPmJS9_EEE10hipError_tPvRmT3_T4_T5_T6_T7_T9_mT8_P12ihipStream_tbDpT10_ENKUlT_T0_E_clISt17integral_constantIbLb0EES19_IbLb1EEEEDaS15_S16_EUlS15_E_NS1_11comp_targetILNS1_3genE3ELNS1_11target_archE908ELNS1_3gpuE7ELNS1_3repE0EEENS1_30default_config_static_selectorELNS0_4arch9wavefront6targetE1EEEvT1_,comdat
.Lfunc_end1118:
	.size	_ZN7rocprim17ROCPRIM_400000_NS6detail17trampoline_kernelINS0_14default_configENS1_25partition_config_selectorILNS1_17partition_subalgoE9EllbEEZZNS1_14partition_implILS5_9ELb0ES3_jPlS8_PNS0_10empty_typeENS0_5tupleIJS8_S9_EEENSB_IJS8_SA_EEENS0_18inequality_wrapperIZN2at6native12_GLOBAL__N_124unique_dim_cuda_templateIbEESt5tupleIJNSF_6TensorESK_SK_EERKSK_lbbbEUlllE0_EEPmJS9_EEE10hipError_tPvRmT3_T4_T5_T6_T7_T9_mT8_P12ihipStream_tbDpT10_ENKUlT_T0_E_clISt17integral_constantIbLb0EES19_IbLb1EEEEDaS15_S16_EUlS15_E_NS1_11comp_targetILNS1_3genE3ELNS1_11target_archE908ELNS1_3gpuE7ELNS1_3repE0EEENS1_30default_config_static_selectorELNS0_4arch9wavefront6targetE1EEEvT1_, .Lfunc_end1118-_ZN7rocprim17ROCPRIM_400000_NS6detail17trampoline_kernelINS0_14default_configENS1_25partition_config_selectorILNS1_17partition_subalgoE9EllbEEZZNS1_14partition_implILS5_9ELb0ES3_jPlS8_PNS0_10empty_typeENS0_5tupleIJS8_S9_EEENSB_IJS8_SA_EEENS0_18inequality_wrapperIZN2at6native12_GLOBAL__N_124unique_dim_cuda_templateIbEESt5tupleIJNSF_6TensorESK_SK_EERKSK_lbbbEUlllE0_EEPmJS9_EEE10hipError_tPvRmT3_T4_T5_T6_T7_T9_mT8_P12ihipStream_tbDpT10_ENKUlT_T0_E_clISt17integral_constantIbLb0EES19_IbLb1EEEEDaS15_S16_EUlS15_E_NS1_11comp_targetILNS1_3genE3ELNS1_11target_archE908ELNS1_3gpuE7ELNS1_3repE0EEENS1_30default_config_static_selectorELNS0_4arch9wavefront6targetE1EEEvT1_
                                        ; -- End function
	.section	.AMDGPU.csdata,"",@progbits
; Kernel info:
; codeLenInByte = 0
; NumSgprs: 6
; NumVgprs: 0
; NumAgprs: 0
; TotalNumVgprs: 0
; ScratchSize: 0
; MemoryBound: 0
; FloatMode: 240
; IeeeMode: 1
; LDSByteSize: 0 bytes/workgroup (compile time only)
; SGPRBlocks: 0
; VGPRBlocks: 0
; NumSGPRsForWavesPerEU: 6
; NumVGPRsForWavesPerEU: 1
; AccumOffset: 4
; Occupancy: 8
; WaveLimiterHint : 0
; COMPUTE_PGM_RSRC2:SCRATCH_EN: 0
; COMPUTE_PGM_RSRC2:USER_SGPR: 2
; COMPUTE_PGM_RSRC2:TRAP_HANDLER: 0
; COMPUTE_PGM_RSRC2:TGID_X_EN: 1
; COMPUTE_PGM_RSRC2:TGID_Y_EN: 0
; COMPUTE_PGM_RSRC2:TGID_Z_EN: 0
; COMPUTE_PGM_RSRC2:TIDIG_COMP_CNT: 0
; COMPUTE_PGM_RSRC3_GFX90A:ACCUM_OFFSET: 0
; COMPUTE_PGM_RSRC3_GFX90A:TG_SPLIT: 0
	.section	.text._ZN7rocprim17ROCPRIM_400000_NS6detail17trampoline_kernelINS0_14default_configENS1_25partition_config_selectorILNS1_17partition_subalgoE9EllbEEZZNS1_14partition_implILS5_9ELb0ES3_jPlS8_PNS0_10empty_typeENS0_5tupleIJS8_S9_EEENSB_IJS8_SA_EEENS0_18inequality_wrapperIZN2at6native12_GLOBAL__N_124unique_dim_cuda_templateIbEESt5tupleIJNSF_6TensorESK_SK_EERKSK_lbbbEUlllE0_EEPmJS9_EEE10hipError_tPvRmT3_T4_T5_T6_T7_T9_mT8_P12ihipStream_tbDpT10_ENKUlT_T0_E_clISt17integral_constantIbLb0EES19_IbLb1EEEEDaS15_S16_EUlS15_E_NS1_11comp_targetILNS1_3genE2ELNS1_11target_archE906ELNS1_3gpuE6ELNS1_3repE0EEENS1_30default_config_static_selectorELNS0_4arch9wavefront6targetE1EEEvT1_,"axG",@progbits,_ZN7rocprim17ROCPRIM_400000_NS6detail17trampoline_kernelINS0_14default_configENS1_25partition_config_selectorILNS1_17partition_subalgoE9EllbEEZZNS1_14partition_implILS5_9ELb0ES3_jPlS8_PNS0_10empty_typeENS0_5tupleIJS8_S9_EEENSB_IJS8_SA_EEENS0_18inequality_wrapperIZN2at6native12_GLOBAL__N_124unique_dim_cuda_templateIbEESt5tupleIJNSF_6TensorESK_SK_EERKSK_lbbbEUlllE0_EEPmJS9_EEE10hipError_tPvRmT3_T4_T5_T6_T7_T9_mT8_P12ihipStream_tbDpT10_ENKUlT_T0_E_clISt17integral_constantIbLb0EES19_IbLb1EEEEDaS15_S16_EUlS15_E_NS1_11comp_targetILNS1_3genE2ELNS1_11target_archE906ELNS1_3gpuE6ELNS1_3repE0EEENS1_30default_config_static_selectorELNS0_4arch9wavefront6targetE1EEEvT1_,comdat
	.globl	_ZN7rocprim17ROCPRIM_400000_NS6detail17trampoline_kernelINS0_14default_configENS1_25partition_config_selectorILNS1_17partition_subalgoE9EllbEEZZNS1_14partition_implILS5_9ELb0ES3_jPlS8_PNS0_10empty_typeENS0_5tupleIJS8_S9_EEENSB_IJS8_SA_EEENS0_18inequality_wrapperIZN2at6native12_GLOBAL__N_124unique_dim_cuda_templateIbEESt5tupleIJNSF_6TensorESK_SK_EERKSK_lbbbEUlllE0_EEPmJS9_EEE10hipError_tPvRmT3_T4_T5_T6_T7_T9_mT8_P12ihipStream_tbDpT10_ENKUlT_T0_E_clISt17integral_constantIbLb0EES19_IbLb1EEEEDaS15_S16_EUlS15_E_NS1_11comp_targetILNS1_3genE2ELNS1_11target_archE906ELNS1_3gpuE6ELNS1_3repE0EEENS1_30default_config_static_selectorELNS0_4arch9wavefront6targetE1EEEvT1_ ; -- Begin function _ZN7rocprim17ROCPRIM_400000_NS6detail17trampoline_kernelINS0_14default_configENS1_25partition_config_selectorILNS1_17partition_subalgoE9EllbEEZZNS1_14partition_implILS5_9ELb0ES3_jPlS8_PNS0_10empty_typeENS0_5tupleIJS8_S9_EEENSB_IJS8_SA_EEENS0_18inequality_wrapperIZN2at6native12_GLOBAL__N_124unique_dim_cuda_templateIbEESt5tupleIJNSF_6TensorESK_SK_EERKSK_lbbbEUlllE0_EEPmJS9_EEE10hipError_tPvRmT3_T4_T5_T6_T7_T9_mT8_P12ihipStream_tbDpT10_ENKUlT_T0_E_clISt17integral_constantIbLb0EES19_IbLb1EEEEDaS15_S16_EUlS15_E_NS1_11comp_targetILNS1_3genE2ELNS1_11target_archE906ELNS1_3gpuE6ELNS1_3repE0EEENS1_30default_config_static_selectorELNS0_4arch9wavefront6targetE1EEEvT1_
	.p2align	8
	.type	_ZN7rocprim17ROCPRIM_400000_NS6detail17trampoline_kernelINS0_14default_configENS1_25partition_config_selectorILNS1_17partition_subalgoE9EllbEEZZNS1_14partition_implILS5_9ELb0ES3_jPlS8_PNS0_10empty_typeENS0_5tupleIJS8_S9_EEENSB_IJS8_SA_EEENS0_18inequality_wrapperIZN2at6native12_GLOBAL__N_124unique_dim_cuda_templateIbEESt5tupleIJNSF_6TensorESK_SK_EERKSK_lbbbEUlllE0_EEPmJS9_EEE10hipError_tPvRmT3_T4_T5_T6_T7_T9_mT8_P12ihipStream_tbDpT10_ENKUlT_T0_E_clISt17integral_constantIbLb0EES19_IbLb1EEEEDaS15_S16_EUlS15_E_NS1_11comp_targetILNS1_3genE2ELNS1_11target_archE906ELNS1_3gpuE6ELNS1_3repE0EEENS1_30default_config_static_selectorELNS0_4arch9wavefront6targetE1EEEvT1_,@function
_ZN7rocprim17ROCPRIM_400000_NS6detail17trampoline_kernelINS0_14default_configENS1_25partition_config_selectorILNS1_17partition_subalgoE9EllbEEZZNS1_14partition_implILS5_9ELb0ES3_jPlS8_PNS0_10empty_typeENS0_5tupleIJS8_S9_EEENSB_IJS8_SA_EEENS0_18inequality_wrapperIZN2at6native12_GLOBAL__N_124unique_dim_cuda_templateIbEESt5tupleIJNSF_6TensorESK_SK_EERKSK_lbbbEUlllE0_EEPmJS9_EEE10hipError_tPvRmT3_T4_T5_T6_T7_T9_mT8_P12ihipStream_tbDpT10_ENKUlT_T0_E_clISt17integral_constantIbLb0EES19_IbLb1EEEEDaS15_S16_EUlS15_E_NS1_11comp_targetILNS1_3genE2ELNS1_11target_archE906ELNS1_3gpuE6ELNS1_3repE0EEENS1_30default_config_static_selectorELNS0_4arch9wavefront6targetE1EEEvT1_: ; @_ZN7rocprim17ROCPRIM_400000_NS6detail17trampoline_kernelINS0_14default_configENS1_25partition_config_selectorILNS1_17partition_subalgoE9EllbEEZZNS1_14partition_implILS5_9ELb0ES3_jPlS8_PNS0_10empty_typeENS0_5tupleIJS8_S9_EEENSB_IJS8_SA_EEENS0_18inequality_wrapperIZN2at6native12_GLOBAL__N_124unique_dim_cuda_templateIbEESt5tupleIJNSF_6TensorESK_SK_EERKSK_lbbbEUlllE0_EEPmJS9_EEE10hipError_tPvRmT3_T4_T5_T6_T7_T9_mT8_P12ihipStream_tbDpT10_ENKUlT_T0_E_clISt17integral_constantIbLb0EES19_IbLb1EEEEDaS15_S16_EUlS15_E_NS1_11comp_targetILNS1_3genE2ELNS1_11target_archE906ELNS1_3gpuE6ELNS1_3repE0EEENS1_30default_config_static_selectorELNS0_4arch9wavefront6targetE1EEEvT1_
; %bb.0:
	.section	.rodata,"a",@progbits
	.p2align	6, 0x0
	.amdhsa_kernel _ZN7rocprim17ROCPRIM_400000_NS6detail17trampoline_kernelINS0_14default_configENS1_25partition_config_selectorILNS1_17partition_subalgoE9EllbEEZZNS1_14partition_implILS5_9ELb0ES3_jPlS8_PNS0_10empty_typeENS0_5tupleIJS8_S9_EEENSB_IJS8_SA_EEENS0_18inequality_wrapperIZN2at6native12_GLOBAL__N_124unique_dim_cuda_templateIbEESt5tupleIJNSF_6TensorESK_SK_EERKSK_lbbbEUlllE0_EEPmJS9_EEE10hipError_tPvRmT3_T4_T5_T6_T7_T9_mT8_P12ihipStream_tbDpT10_ENKUlT_T0_E_clISt17integral_constantIbLb0EES19_IbLb1EEEEDaS15_S16_EUlS15_E_NS1_11comp_targetILNS1_3genE2ELNS1_11target_archE906ELNS1_3gpuE6ELNS1_3repE0EEENS1_30default_config_static_selectorELNS0_4arch9wavefront6targetE1EEEvT1_
		.amdhsa_group_segment_fixed_size 0
		.amdhsa_private_segment_fixed_size 0
		.amdhsa_kernarg_size 136
		.amdhsa_user_sgpr_count 2
		.amdhsa_user_sgpr_dispatch_ptr 0
		.amdhsa_user_sgpr_queue_ptr 0
		.amdhsa_user_sgpr_kernarg_segment_ptr 1
		.amdhsa_user_sgpr_dispatch_id 0
		.amdhsa_user_sgpr_kernarg_preload_length 0
		.amdhsa_user_sgpr_kernarg_preload_offset 0
		.amdhsa_user_sgpr_private_segment_size 0
		.amdhsa_uses_dynamic_stack 0
		.amdhsa_enable_private_segment 0
		.amdhsa_system_sgpr_workgroup_id_x 1
		.amdhsa_system_sgpr_workgroup_id_y 0
		.amdhsa_system_sgpr_workgroup_id_z 0
		.amdhsa_system_sgpr_workgroup_info 0
		.amdhsa_system_vgpr_workitem_id 0
		.amdhsa_next_free_vgpr 1
		.amdhsa_next_free_sgpr 0
		.amdhsa_accum_offset 4
		.amdhsa_reserve_vcc 0
		.amdhsa_float_round_mode_32 0
		.amdhsa_float_round_mode_16_64 0
		.amdhsa_float_denorm_mode_32 3
		.amdhsa_float_denorm_mode_16_64 3
		.amdhsa_dx10_clamp 1
		.amdhsa_ieee_mode 1
		.amdhsa_fp16_overflow 0
		.amdhsa_tg_split 0
		.amdhsa_exception_fp_ieee_invalid_op 0
		.amdhsa_exception_fp_denorm_src 0
		.amdhsa_exception_fp_ieee_div_zero 0
		.amdhsa_exception_fp_ieee_overflow 0
		.amdhsa_exception_fp_ieee_underflow 0
		.amdhsa_exception_fp_ieee_inexact 0
		.amdhsa_exception_int_div_zero 0
	.end_amdhsa_kernel
	.section	.text._ZN7rocprim17ROCPRIM_400000_NS6detail17trampoline_kernelINS0_14default_configENS1_25partition_config_selectorILNS1_17partition_subalgoE9EllbEEZZNS1_14partition_implILS5_9ELb0ES3_jPlS8_PNS0_10empty_typeENS0_5tupleIJS8_S9_EEENSB_IJS8_SA_EEENS0_18inequality_wrapperIZN2at6native12_GLOBAL__N_124unique_dim_cuda_templateIbEESt5tupleIJNSF_6TensorESK_SK_EERKSK_lbbbEUlllE0_EEPmJS9_EEE10hipError_tPvRmT3_T4_T5_T6_T7_T9_mT8_P12ihipStream_tbDpT10_ENKUlT_T0_E_clISt17integral_constantIbLb0EES19_IbLb1EEEEDaS15_S16_EUlS15_E_NS1_11comp_targetILNS1_3genE2ELNS1_11target_archE906ELNS1_3gpuE6ELNS1_3repE0EEENS1_30default_config_static_selectorELNS0_4arch9wavefront6targetE1EEEvT1_,"axG",@progbits,_ZN7rocprim17ROCPRIM_400000_NS6detail17trampoline_kernelINS0_14default_configENS1_25partition_config_selectorILNS1_17partition_subalgoE9EllbEEZZNS1_14partition_implILS5_9ELb0ES3_jPlS8_PNS0_10empty_typeENS0_5tupleIJS8_S9_EEENSB_IJS8_SA_EEENS0_18inequality_wrapperIZN2at6native12_GLOBAL__N_124unique_dim_cuda_templateIbEESt5tupleIJNSF_6TensorESK_SK_EERKSK_lbbbEUlllE0_EEPmJS9_EEE10hipError_tPvRmT3_T4_T5_T6_T7_T9_mT8_P12ihipStream_tbDpT10_ENKUlT_T0_E_clISt17integral_constantIbLb0EES19_IbLb1EEEEDaS15_S16_EUlS15_E_NS1_11comp_targetILNS1_3genE2ELNS1_11target_archE906ELNS1_3gpuE6ELNS1_3repE0EEENS1_30default_config_static_selectorELNS0_4arch9wavefront6targetE1EEEvT1_,comdat
.Lfunc_end1119:
	.size	_ZN7rocprim17ROCPRIM_400000_NS6detail17trampoline_kernelINS0_14default_configENS1_25partition_config_selectorILNS1_17partition_subalgoE9EllbEEZZNS1_14partition_implILS5_9ELb0ES3_jPlS8_PNS0_10empty_typeENS0_5tupleIJS8_S9_EEENSB_IJS8_SA_EEENS0_18inequality_wrapperIZN2at6native12_GLOBAL__N_124unique_dim_cuda_templateIbEESt5tupleIJNSF_6TensorESK_SK_EERKSK_lbbbEUlllE0_EEPmJS9_EEE10hipError_tPvRmT3_T4_T5_T6_T7_T9_mT8_P12ihipStream_tbDpT10_ENKUlT_T0_E_clISt17integral_constantIbLb0EES19_IbLb1EEEEDaS15_S16_EUlS15_E_NS1_11comp_targetILNS1_3genE2ELNS1_11target_archE906ELNS1_3gpuE6ELNS1_3repE0EEENS1_30default_config_static_selectorELNS0_4arch9wavefront6targetE1EEEvT1_, .Lfunc_end1119-_ZN7rocprim17ROCPRIM_400000_NS6detail17trampoline_kernelINS0_14default_configENS1_25partition_config_selectorILNS1_17partition_subalgoE9EllbEEZZNS1_14partition_implILS5_9ELb0ES3_jPlS8_PNS0_10empty_typeENS0_5tupleIJS8_S9_EEENSB_IJS8_SA_EEENS0_18inequality_wrapperIZN2at6native12_GLOBAL__N_124unique_dim_cuda_templateIbEESt5tupleIJNSF_6TensorESK_SK_EERKSK_lbbbEUlllE0_EEPmJS9_EEE10hipError_tPvRmT3_T4_T5_T6_T7_T9_mT8_P12ihipStream_tbDpT10_ENKUlT_T0_E_clISt17integral_constantIbLb0EES19_IbLb1EEEEDaS15_S16_EUlS15_E_NS1_11comp_targetILNS1_3genE2ELNS1_11target_archE906ELNS1_3gpuE6ELNS1_3repE0EEENS1_30default_config_static_selectorELNS0_4arch9wavefront6targetE1EEEvT1_
                                        ; -- End function
	.section	.AMDGPU.csdata,"",@progbits
; Kernel info:
; codeLenInByte = 0
; NumSgprs: 6
; NumVgprs: 0
; NumAgprs: 0
; TotalNumVgprs: 0
; ScratchSize: 0
; MemoryBound: 0
; FloatMode: 240
; IeeeMode: 1
; LDSByteSize: 0 bytes/workgroup (compile time only)
; SGPRBlocks: 0
; VGPRBlocks: 0
; NumSGPRsForWavesPerEU: 6
; NumVGPRsForWavesPerEU: 1
; AccumOffset: 4
; Occupancy: 8
; WaveLimiterHint : 0
; COMPUTE_PGM_RSRC2:SCRATCH_EN: 0
; COMPUTE_PGM_RSRC2:USER_SGPR: 2
; COMPUTE_PGM_RSRC2:TRAP_HANDLER: 0
; COMPUTE_PGM_RSRC2:TGID_X_EN: 1
; COMPUTE_PGM_RSRC2:TGID_Y_EN: 0
; COMPUTE_PGM_RSRC2:TGID_Z_EN: 0
; COMPUTE_PGM_RSRC2:TIDIG_COMP_CNT: 0
; COMPUTE_PGM_RSRC3_GFX90A:ACCUM_OFFSET: 0
; COMPUTE_PGM_RSRC3_GFX90A:TG_SPLIT: 0
	.section	.text._ZN7rocprim17ROCPRIM_400000_NS6detail17trampoline_kernelINS0_14default_configENS1_25partition_config_selectorILNS1_17partition_subalgoE9EllbEEZZNS1_14partition_implILS5_9ELb0ES3_jPlS8_PNS0_10empty_typeENS0_5tupleIJS8_S9_EEENSB_IJS8_SA_EEENS0_18inequality_wrapperIZN2at6native12_GLOBAL__N_124unique_dim_cuda_templateIbEESt5tupleIJNSF_6TensorESK_SK_EERKSK_lbbbEUlllE0_EEPmJS9_EEE10hipError_tPvRmT3_T4_T5_T6_T7_T9_mT8_P12ihipStream_tbDpT10_ENKUlT_T0_E_clISt17integral_constantIbLb0EES19_IbLb1EEEEDaS15_S16_EUlS15_E_NS1_11comp_targetILNS1_3genE10ELNS1_11target_archE1200ELNS1_3gpuE4ELNS1_3repE0EEENS1_30default_config_static_selectorELNS0_4arch9wavefront6targetE1EEEvT1_,"axG",@progbits,_ZN7rocprim17ROCPRIM_400000_NS6detail17trampoline_kernelINS0_14default_configENS1_25partition_config_selectorILNS1_17partition_subalgoE9EllbEEZZNS1_14partition_implILS5_9ELb0ES3_jPlS8_PNS0_10empty_typeENS0_5tupleIJS8_S9_EEENSB_IJS8_SA_EEENS0_18inequality_wrapperIZN2at6native12_GLOBAL__N_124unique_dim_cuda_templateIbEESt5tupleIJNSF_6TensorESK_SK_EERKSK_lbbbEUlllE0_EEPmJS9_EEE10hipError_tPvRmT3_T4_T5_T6_T7_T9_mT8_P12ihipStream_tbDpT10_ENKUlT_T0_E_clISt17integral_constantIbLb0EES19_IbLb1EEEEDaS15_S16_EUlS15_E_NS1_11comp_targetILNS1_3genE10ELNS1_11target_archE1200ELNS1_3gpuE4ELNS1_3repE0EEENS1_30default_config_static_selectorELNS0_4arch9wavefront6targetE1EEEvT1_,comdat
	.globl	_ZN7rocprim17ROCPRIM_400000_NS6detail17trampoline_kernelINS0_14default_configENS1_25partition_config_selectorILNS1_17partition_subalgoE9EllbEEZZNS1_14partition_implILS5_9ELb0ES3_jPlS8_PNS0_10empty_typeENS0_5tupleIJS8_S9_EEENSB_IJS8_SA_EEENS0_18inequality_wrapperIZN2at6native12_GLOBAL__N_124unique_dim_cuda_templateIbEESt5tupleIJNSF_6TensorESK_SK_EERKSK_lbbbEUlllE0_EEPmJS9_EEE10hipError_tPvRmT3_T4_T5_T6_T7_T9_mT8_P12ihipStream_tbDpT10_ENKUlT_T0_E_clISt17integral_constantIbLb0EES19_IbLb1EEEEDaS15_S16_EUlS15_E_NS1_11comp_targetILNS1_3genE10ELNS1_11target_archE1200ELNS1_3gpuE4ELNS1_3repE0EEENS1_30default_config_static_selectorELNS0_4arch9wavefront6targetE1EEEvT1_ ; -- Begin function _ZN7rocprim17ROCPRIM_400000_NS6detail17trampoline_kernelINS0_14default_configENS1_25partition_config_selectorILNS1_17partition_subalgoE9EllbEEZZNS1_14partition_implILS5_9ELb0ES3_jPlS8_PNS0_10empty_typeENS0_5tupleIJS8_S9_EEENSB_IJS8_SA_EEENS0_18inequality_wrapperIZN2at6native12_GLOBAL__N_124unique_dim_cuda_templateIbEESt5tupleIJNSF_6TensorESK_SK_EERKSK_lbbbEUlllE0_EEPmJS9_EEE10hipError_tPvRmT3_T4_T5_T6_T7_T9_mT8_P12ihipStream_tbDpT10_ENKUlT_T0_E_clISt17integral_constantIbLb0EES19_IbLb1EEEEDaS15_S16_EUlS15_E_NS1_11comp_targetILNS1_3genE10ELNS1_11target_archE1200ELNS1_3gpuE4ELNS1_3repE0EEENS1_30default_config_static_selectorELNS0_4arch9wavefront6targetE1EEEvT1_
	.p2align	8
	.type	_ZN7rocprim17ROCPRIM_400000_NS6detail17trampoline_kernelINS0_14default_configENS1_25partition_config_selectorILNS1_17partition_subalgoE9EllbEEZZNS1_14partition_implILS5_9ELb0ES3_jPlS8_PNS0_10empty_typeENS0_5tupleIJS8_S9_EEENSB_IJS8_SA_EEENS0_18inequality_wrapperIZN2at6native12_GLOBAL__N_124unique_dim_cuda_templateIbEESt5tupleIJNSF_6TensorESK_SK_EERKSK_lbbbEUlllE0_EEPmJS9_EEE10hipError_tPvRmT3_T4_T5_T6_T7_T9_mT8_P12ihipStream_tbDpT10_ENKUlT_T0_E_clISt17integral_constantIbLb0EES19_IbLb1EEEEDaS15_S16_EUlS15_E_NS1_11comp_targetILNS1_3genE10ELNS1_11target_archE1200ELNS1_3gpuE4ELNS1_3repE0EEENS1_30default_config_static_selectorELNS0_4arch9wavefront6targetE1EEEvT1_,@function
_ZN7rocprim17ROCPRIM_400000_NS6detail17trampoline_kernelINS0_14default_configENS1_25partition_config_selectorILNS1_17partition_subalgoE9EllbEEZZNS1_14partition_implILS5_9ELb0ES3_jPlS8_PNS0_10empty_typeENS0_5tupleIJS8_S9_EEENSB_IJS8_SA_EEENS0_18inequality_wrapperIZN2at6native12_GLOBAL__N_124unique_dim_cuda_templateIbEESt5tupleIJNSF_6TensorESK_SK_EERKSK_lbbbEUlllE0_EEPmJS9_EEE10hipError_tPvRmT3_T4_T5_T6_T7_T9_mT8_P12ihipStream_tbDpT10_ENKUlT_T0_E_clISt17integral_constantIbLb0EES19_IbLb1EEEEDaS15_S16_EUlS15_E_NS1_11comp_targetILNS1_3genE10ELNS1_11target_archE1200ELNS1_3gpuE4ELNS1_3repE0EEENS1_30default_config_static_selectorELNS0_4arch9wavefront6targetE1EEEvT1_: ; @_ZN7rocprim17ROCPRIM_400000_NS6detail17trampoline_kernelINS0_14default_configENS1_25partition_config_selectorILNS1_17partition_subalgoE9EllbEEZZNS1_14partition_implILS5_9ELb0ES3_jPlS8_PNS0_10empty_typeENS0_5tupleIJS8_S9_EEENSB_IJS8_SA_EEENS0_18inequality_wrapperIZN2at6native12_GLOBAL__N_124unique_dim_cuda_templateIbEESt5tupleIJNSF_6TensorESK_SK_EERKSK_lbbbEUlllE0_EEPmJS9_EEE10hipError_tPvRmT3_T4_T5_T6_T7_T9_mT8_P12ihipStream_tbDpT10_ENKUlT_T0_E_clISt17integral_constantIbLb0EES19_IbLb1EEEEDaS15_S16_EUlS15_E_NS1_11comp_targetILNS1_3genE10ELNS1_11target_archE1200ELNS1_3gpuE4ELNS1_3repE0EEENS1_30default_config_static_selectorELNS0_4arch9wavefront6targetE1EEEvT1_
; %bb.0:
	.section	.rodata,"a",@progbits
	.p2align	6, 0x0
	.amdhsa_kernel _ZN7rocprim17ROCPRIM_400000_NS6detail17trampoline_kernelINS0_14default_configENS1_25partition_config_selectorILNS1_17partition_subalgoE9EllbEEZZNS1_14partition_implILS5_9ELb0ES3_jPlS8_PNS0_10empty_typeENS0_5tupleIJS8_S9_EEENSB_IJS8_SA_EEENS0_18inequality_wrapperIZN2at6native12_GLOBAL__N_124unique_dim_cuda_templateIbEESt5tupleIJNSF_6TensorESK_SK_EERKSK_lbbbEUlllE0_EEPmJS9_EEE10hipError_tPvRmT3_T4_T5_T6_T7_T9_mT8_P12ihipStream_tbDpT10_ENKUlT_T0_E_clISt17integral_constantIbLb0EES19_IbLb1EEEEDaS15_S16_EUlS15_E_NS1_11comp_targetILNS1_3genE10ELNS1_11target_archE1200ELNS1_3gpuE4ELNS1_3repE0EEENS1_30default_config_static_selectorELNS0_4arch9wavefront6targetE1EEEvT1_
		.amdhsa_group_segment_fixed_size 0
		.amdhsa_private_segment_fixed_size 0
		.amdhsa_kernarg_size 136
		.amdhsa_user_sgpr_count 2
		.amdhsa_user_sgpr_dispatch_ptr 0
		.amdhsa_user_sgpr_queue_ptr 0
		.amdhsa_user_sgpr_kernarg_segment_ptr 1
		.amdhsa_user_sgpr_dispatch_id 0
		.amdhsa_user_sgpr_kernarg_preload_length 0
		.amdhsa_user_sgpr_kernarg_preload_offset 0
		.amdhsa_user_sgpr_private_segment_size 0
		.amdhsa_uses_dynamic_stack 0
		.amdhsa_enable_private_segment 0
		.amdhsa_system_sgpr_workgroup_id_x 1
		.amdhsa_system_sgpr_workgroup_id_y 0
		.amdhsa_system_sgpr_workgroup_id_z 0
		.amdhsa_system_sgpr_workgroup_info 0
		.amdhsa_system_vgpr_workitem_id 0
		.amdhsa_next_free_vgpr 1
		.amdhsa_next_free_sgpr 0
		.amdhsa_accum_offset 4
		.amdhsa_reserve_vcc 0
		.amdhsa_float_round_mode_32 0
		.amdhsa_float_round_mode_16_64 0
		.amdhsa_float_denorm_mode_32 3
		.amdhsa_float_denorm_mode_16_64 3
		.amdhsa_dx10_clamp 1
		.amdhsa_ieee_mode 1
		.amdhsa_fp16_overflow 0
		.amdhsa_tg_split 0
		.amdhsa_exception_fp_ieee_invalid_op 0
		.amdhsa_exception_fp_denorm_src 0
		.amdhsa_exception_fp_ieee_div_zero 0
		.amdhsa_exception_fp_ieee_overflow 0
		.amdhsa_exception_fp_ieee_underflow 0
		.amdhsa_exception_fp_ieee_inexact 0
		.amdhsa_exception_int_div_zero 0
	.end_amdhsa_kernel
	.section	.text._ZN7rocprim17ROCPRIM_400000_NS6detail17trampoline_kernelINS0_14default_configENS1_25partition_config_selectorILNS1_17partition_subalgoE9EllbEEZZNS1_14partition_implILS5_9ELb0ES3_jPlS8_PNS0_10empty_typeENS0_5tupleIJS8_S9_EEENSB_IJS8_SA_EEENS0_18inequality_wrapperIZN2at6native12_GLOBAL__N_124unique_dim_cuda_templateIbEESt5tupleIJNSF_6TensorESK_SK_EERKSK_lbbbEUlllE0_EEPmJS9_EEE10hipError_tPvRmT3_T4_T5_T6_T7_T9_mT8_P12ihipStream_tbDpT10_ENKUlT_T0_E_clISt17integral_constantIbLb0EES19_IbLb1EEEEDaS15_S16_EUlS15_E_NS1_11comp_targetILNS1_3genE10ELNS1_11target_archE1200ELNS1_3gpuE4ELNS1_3repE0EEENS1_30default_config_static_selectorELNS0_4arch9wavefront6targetE1EEEvT1_,"axG",@progbits,_ZN7rocprim17ROCPRIM_400000_NS6detail17trampoline_kernelINS0_14default_configENS1_25partition_config_selectorILNS1_17partition_subalgoE9EllbEEZZNS1_14partition_implILS5_9ELb0ES3_jPlS8_PNS0_10empty_typeENS0_5tupleIJS8_S9_EEENSB_IJS8_SA_EEENS0_18inequality_wrapperIZN2at6native12_GLOBAL__N_124unique_dim_cuda_templateIbEESt5tupleIJNSF_6TensorESK_SK_EERKSK_lbbbEUlllE0_EEPmJS9_EEE10hipError_tPvRmT3_T4_T5_T6_T7_T9_mT8_P12ihipStream_tbDpT10_ENKUlT_T0_E_clISt17integral_constantIbLb0EES19_IbLb1EEEEDaS15_S16_EUlS15_E_NS1_11comp_targetILNS1_3genE10ELNS1_11target_archE1200ELNS1_3gpuE4ELNS1_3repE0EEENS1_30default_config_static_selectorELNS0_4arch9wavefront6targetE1EEEvT1_,comdat
.Lfunc_end1120:
	.size	_ZN7rocprim17ROCPRIM_400000_NS6detail17trampoline_kernelINS0_14default_configENS1_25partition_config_selectorILNS1_17partition_subalgoE9EllbEEZZNS1_14partition_implILS5_9ELb0ES3_jPlS8_PNS0_10empty_typeENS0_5tupleIJS8_S9_EEENSB_IJS8_SA_EEENS0_18inequality_wrapperIZN2at6native12_GLOBAL__N_124unique_dim_cuda_templateIbEESt5tupleIJNSF_6TensorESK_SK_EERKSK_lbbbEUlllE0_EEPmJS9_EEE10hipError_tPvRmT3_T4_T5_T6_T7_T9_mT8_P12ihipStream_tbDpT10_ENKUlT_T0_E_clISt17integral_constantIbLb0EES19_IbLb1EEEEDaS15_S16_EUlS15_E_NS1_11comp_targetILNS1_3genE10ELNS1_11target_archE1200ELNS1_3gpuE4ELNS1_3repE0EEENS1_30default_config_static_selectorELNS0_4arch9wavefront6targetE1EEEvT1_, .Lfunc_end1120-_ZN7rocprim17ROCPRIM_400000_NS6detail17trampoline_kernelINS0_14default_configENS1_25partition_config_selectorILNS1_17partition_subalgoE9EllbEEZZNS1_14partition_implILS5_9ELb0ES3_jPlS8_PNS0_10empty_typeENS0_5tupleIJS8_S9_EEENSB_IJS8_SA_EEENS0_18inequality_wrapperIZN2at6native12_GLOBAL__N_124unique_dim_cuda_templateIbEESt5tupleIJNSF_6TensorESK_SK_EERKSK_lbbbEUlllE0_EEPmJS9_EEE10hipError_tPvRmT3_T4_T5_T6_T7_T9_mT8_P12ihipStream_tbDpT10_ENKUlT_T0_E_clISt17integral_constantIbLb0EES19_IbLb1EEEEDaS15_S16_EUlS15_E_NS1_11comp_targetILNS1_3genE10ELNS1_11target_archE1200ELNS1_3gpuE4ELNS1_3repE0EEENS1_30default_config_static_selectorELNS0_4arch9wavefront6targetE1EEEvT1_
                                        ; -- End function
	.section	.AMDGPU.csdata,"",@progbits
; Kernel info:
; codeLenInByte = 0
; NumSgprs: 6
; NumVgprs: 0
; NumAgprs: 0
; TotalNumVgprs: 0
; ScratchSize: 0
; MemoryBound: 0
; FloatMode: 240
; IeeeMode: 1
; LDSByteSize: 0 bytes/workgroup (compile time only)
; SGPRBlocks: 0
; VGPRBlocks: 0
; NumSGPRsForWavesPerEU: 6
; NumVGPRsForWavesPerEU: 1
; AccumOffset: 4
; Occupancy: 8
; WaveLimiterHint : 0
; COMPUTE_PGM_RSRC2:SCRATCH_EN: 0
; COMPUTE_PGM_RSRC2:USER_SGPR: 2
; COMPUTE_PGM_RSRC2:TRAP_HANDLER: 0
; COMPUTE_PGM_RSRC2:TGID_X_EN: 1
; COMPUTE_PGM_RSRC2:TGID_Y_EN: 0
; COMPUTE_PGM_RSRC2:TGID_Z_EN: 0
; COMPUTE_PGM_RSRC2:TIDIG_COMP_CNT: 0
; COMPUTE_PGM_RSRC3_GFX90A:ACCUM_OFFSET: 0
; COMPUTE_PGM_RSRC3_GFX90A:TG_SPLIT: 0
	.section	.text._ZN7rocprim17ROCPRIM_400000_NS6detail17trampoline_kernelINS0_14default_configENS1_25partition_config_selectorILNS1_17partition_subalgoE9EllbEEZZNS1_14partition_implILS5_9ELb0ES3_jPlS8_PNS0_10empty_typeENS0_5tupleIJS8_S9_EEENSB_IJS8_SA_EEENS0_18inequality_wrapperIZN2at6native12_GLOBAL__N_124unique_dim_cuda_templateIbEESt5tupleIJNSF_6TensorESK_SK_EERKSK_lbbbEUlllE0_EEPmJS9_EEE10hipError_tPvRmT3_T4_T5_T6_T7_T9_mT8_P12ihipStream_tbDpT10_ENKUlT_T0_E_clISt17integral_constantIbLb0EES19_IbLb1EEEEDaS15_S16_EUlS15_E_NS1_11comp_targetILNS1_3genE9ELNS1_11target_archE1100ELNS1_3gpuE3ELNS1_3repE0EEENS1_30default_config_static_selectorELNS0_4arch9wavefront6targetE1EEEvT1_,"axG",@progbits,_ZN7rocprim17ROCPRIM_400000_NS6detail17trampoline_kernelINS0_14default_configENS1_25partition_config_selectorILNS1_17partition_subalgoE9EllbEEZZNS1_14partition_implILS5_9ELb0ES3_jPlS8_PNS0_10empty_typeENS0_5tupleIJS8_S9_EEENSB_IJS8_SA_EEENS0_18inequality_wrapperIZN2at6native12_GLOBAL__N_124unique_dim_cuda_templateIbEESt5tupleIJNSF_6TensorESK_SK_EERKSK_lbbbEUlllE0_EEPmJS9_EEE10hipError_tPvRmT3_T4_T5_T6_T7_T9_mT8_P12ihipStream_tbDpT10_ENKUlT_T0_E_clISt17integral_constantIbLb0EES19_IbLb1EEEEDaS15_S16_EUlS15_E_NS1_11comp_targetILNS1_3genE9ELNS1_11target_archE1100ELNS1_3gpuE3ELNS1_3repE0EEENS1_30default_config_static_selectorELNS0_4arch9wavefront6targetE1EEEvT1_,comdat
	.globl	_ZN7rocprim17ROCPRIM_400000_NS6detail17trampoline_kernelINS0_14default_configENS1_25partition_config_selectorILNS1_17partition_subalgoE9EllbEEZZNS1_14partition_implILS5_9ELb0ES3_jPlS8_PNS0_10empty_typeENS0_5tupleIJS8_S9_EEENSB_IJS8_SA_EEENS0_18inequality_wrapperIZN2at6native12_GLOBAL__N_124unique_dim_cuda_templateIbEESt5tupleIJNSF_6TensorESK_SK_EERKSK_lbbbEUlllE0_EEPmJS9_EEE10hipError_tPvRmT3_T4_T5_T6_T7_T9_mT8_P12ihipStream_tbDpT10_ENKUlT_T0_E_clISt17integral_constantIbLb0EES19_IbLb1EEEEDaS15_S16_EUlS15_E_NS1_11comp_targetILNS1_3genE9ELNS1_11target_archE1100ELNS1_3gpuE3ELNS1_3repE0EEENS1_30default_config_static_selectorELNS0_4arch9wavefront6targetE1EEEvT1_ ; -- Begin function _ZN7rocprim17ROCPRIM_400000_NS6detail17trampoline_kernelINS0_14default_configENS1_25partition_config_selectorILNS1_17partition_subalgoE9EllbEEZZNS1_14partition_implILS5_9ELb0ES3_jPlS8_PNS0_10empty_typeENS0_5tupleIJS8_S9_EEENSB_IJS8_SA_EEENS0_18inequality_wrapperIZN2at6native12_GLOBAL__N_124unique_dim_cuda_templateIbEESt5tupleIJNSF_6TensorESK_SK_EERKSK_lbbbEUlllE0_EEPmJS9_EEE10hipError_tPvRmT3_T4_T5_T6_T7_T9_mT8_P12ihipStream_tbDpT10_ENKUlT_T0_E_clISt17integral_constantIbLb0EES19_IbLb1EEEEDaS15_S16_EUlS15_E_NS1_11comp_targetILNS1_3genE9ELNS1_11target_archE1100ELNS1_3gpuE3ELNS1_3repE0EEENS1_30default_config_static_selectorELNS0_4arch9wavefront6targetE1EEEvT1_
	.p2align	8
	.type	_ZN7rocprim17ROCPRIM_400000_NS6detail17trampoline_kernelINS0_14default_configENS1_25partition_config_selectorILNS1_17partition_subalgoE9EllbEEZZNS1_14partition_implILS5_9ELb0ES3_jPlS8_PNS0_10empty_typeENS0_5tupleIJS8_S9_EEENSB_IJS8_SA_EEENS0_18inequality_wrapperIZN2at6native12_GLOBAL__N_124unique_dim_cuda_templateIbEESt5tupleIJNSF_6TensorESK_SK_EERKSK_lbbbEUlllE0_EEPmJS9_EEE10hipError_tPvRmT3_T4_T5_T6_T7_T9_mT8_P12ihipStream_tbDpT10_ENKUlT_T0_E_clISt17integral_constantIbLb0EES19_IbLb1EEEEDaS15_S16_EUlS15_E_NS1_11comp_targetILNS1_3genE9ELNS1_11target_archE1100ELNS1_3gpuE3ELNS1_3repE0EEENS1_30default_config_static_selectorELNS0_4arch9wavefront6targetE1EEEvT1_,@function
_ZN7rocprim17ROCPRIM_400000_NS6detail17trampoline_kernelINS0_14default_configENS1_25partition_config_selectorILNS1_17partition_subalgoE9EllbEEZZNS1_14partition_implILS5_9ELb0ES3_jPlS8_PNS0_10empty_typeENS0_5tupleIJS8_S9_EEENSB_IJS8_SA_EEENS0_18inequality_wrapperIZN2at6native12_GLOBAL__N_124unique_dim_cuda_templateIbEESt5tupleIJNSF_6TensorESK_SK_EERKSK_lbbbEUlllE0_EEPmJS9_EEE10hipError_tPvRmT3_T4_T5_T6_T7_T9_mT8_P12ihipStream_tbDpT10_ENKUlT_T0_E_clISt17integral_constantIbLb0EES19_IbLb1EEEEDaS15_S16_EUlS15_E_NS1_11comp_targetILNS1_3genE9ELNS1_11target_archE1100ELNS1_3gpuE3ELNS1_3repE0EEENS1_30default_config_static_selectorELNS0_4arch9wavefront6targetE1EEEvT1_: ; @_ZN7rocprim17ROCPRIM_400000_NS6detail17trampoline_kernelINS0_14default_configENS1_25partition_config_selectorILNS1_17partition_subalgoE9EllbEEZZNS1_14partition_implILS5_9ELb0ES3_jPlS8_PNS0_10empty_typeENS0_5tupleIJS8_S9_EEENSB_IJS8_SA_EEENS0_18inequality_wrapperIZN2at6native12_GLOBAL__N_124unique_dim_cuda_templateIbEESt5tupleIJNSF_6TensorESK_SK_EERKSK_lbbbEUlllE0_EEPmJS9_EEE10hipError_tPvRmT3_T4_T5_T6_T7_T9_mT8_P12ihipStream_tbDpT10_ENKUlT_T0_E_clISt17integral_constantIbLb0EES19_IbLb1EEEEDaS15_S16_EUlS15_E_NS1_11comp_targetILNS1_3genE9ELNS1_11target_archE1100ELNS1_3gpuE3ELNS1_3repE0EEENS1_30default_config_static_selectorELNS0_4arch9wavefront6targetE1EEEvT1_
; %bb.0:
	.section	.rodata,"a",@progbits
	.p2align	6, 0x0
	.amdhsa_kernel _ZN7rocprim17ROCPRIM_400000_NS6detail17trampoline_kernelINS0_14default_configENS1_25partition_config_selectorILNS1_17partition_subalgoE9EllbEEZZNS1_14partition_implILS5_9ELb0ES3_jPlS8_PNS0_10empty_typeENS0_5tupleIJS8_S9_EEENSB_IJS8_SA_EEENS0_18inequality_wrapperIZN2at6native12_GLOBAL__N_124unique_dim_cuda_templateIbEESt5tupleIJNSF_6TensorESK_SK_EERKSK_lbbbEUlllE0_EEPmJS9_EEE10hipError_tPvRmT3_T4_T5_T6_T7_T9_mT8_P12ihipStream_tbDpT10_ENKUlT_T0_E_clISt17integral_constantIbLb0EES19_IbLb1EEEEDaS15_S16_EUlS15_E_NS1_11comp_targetILNS1_3genE9ELNS1_11target_archE1100ELNS1_3gpuE3ELNS1_3repE0EEENS1_30default_config_static_selectorELNS0_4arch9wavefront6targetE1EEEvT1_
		.amdhsa_group_segment_fixed_size 0
		.amdhsa_private_segment_fixed_size 0
		.amdhsa_kernarg_size 136
		.amdhsa_user_sgpr_count 2
		.amdhsa_user_sgpr_dispatch_ptr 0
		.amdhsa_user_sgpr_queue_ptr 0
		.amdhsa_user_sgpr_kernarg_segment_ptr 1
		.amdhsa_user_sgpr_dispatch_id 0
		.amdhsa_user_sgpr_kernarg_preload_length 0
		.amdhsa_user_sgpr_kernarg_preload_offset 0
		.amdhsa_user_sgpr_private_segment_size 0
		.amdhsa_uses_dynamic_stack 0
		.amdhsa_enable_private_segment 0
		.amdhsa_system_sgpr_workgroup_id_x 1
		.amdhsa_system_sgpr_workgroup_id_y 0
		.amdhsa_system_sgpr_workgroup_id_z 0
		.amdhsa_system_sgpr_workgroup_info 0
		.amdhsa_system_vgpr_workitem_id 0
		.amdhsa_next_free_vgpr 1
		.amdhsa_next_free_sgpr 0
		.amdhsa_accum_offset 4
		.amdhsa_reserve_vcc 0
		.amdhsa_float_round_mode_32 0
		.amdhsa_float_round_mode_16_64 0
		.amdhsa_float_denorm_mode_32 3
		.amdhsa_float_denorm_mode_16_64 3
		.amdhsa_dx10_clamp 1
		.amdhsa_ieee_mode 1
		.amdhsa_fp16_overflow 0
		.amdhsa_tg_split 0
		.amdhsa_exception_fp_ieee_invalid_op 0
		.amdhsa_exception_fp_denorm_src 0
		.amdhsa_exception_fp_ieee_div_zero 0
		.amdhsa_exception_fp_ieee_overflow 0
		.amdhsa_exception_fp_ieee_underflow 0
		.amdhsa_exception_fp_ieee_inexact 0
		.amdhsa_exception_int_div_zero 0
	.end_amdhsa_kernel
	.section	.text._ZN7rocprim17ROCPRIM_400000_NS6detail17trampoline_kernelINS0_14default_configENS1_25partition_config_selectorILNS1_17partition_subalgoE9EllbEEZZNS1_14partition_implILS5_9ELb0ES3_jPlS8_PNS0_10empty_typeENS0_5tupleIJS8_S9_EEENSB_IJS8_SA_EEENS0_18inequality_wrapperIZN2at6native12_GLOBAL__N_124unique_dim_cuda_templateIbEESt5tupleIJNSF_6TensorESK_SK_EERKSK_lbbbEUlllE0_EEPmJS9_EEE10hipError_tPvRmT3_T4_T5_T6_T7_T9_mT8_P12ihipStream_tbDpT10_ENKUlT_T0_E_clISt17integral_constantIbLb0EES19_IbLb1EEEEDaS15_S16_EUlS15_E_NS1_11comp_targetILNS1_3genE9ELNS1_11target_archE1100ELNS1_3gpuE3ELNS1_3repE0EEENS1_30default_config_static_selectorELNS0_4arch9wavefront6targetE1EEEvT1_,"axG",@progbits,_ZN7rocprim17ROCPRIM_400000_NS6detail17trampoline_kernelINS0_14default_configENS1_25partition_config_selectorILNS1_17partition_subalgoE9EllbEEZZNS1_14partition_implILS5_9ELb0ES3_jPlS8_PNS0_10empty_typeENS0_5tupleIJS8_S9_EEENSB_IJS8_SA_EEENS0_18inequality_wrapperIZN2at6native12_GLOBAL__N_124unique_dim_cuda_templateIbEESt5tupleIJNSF_6TensorESK_SK_EERKSK_lbbbEUlllE0_EEPmJS9_EEE10hipError_tPvRmT3_T4_T5_T6_T7_T9_mT8_P12ihipStream_tbDpT10_ENKUlT_T0_E_clISt17integral_constantIbLb0EES19_IbLb1EEEEDaS15_S16_EUlS15_E_NS1_11comp_targetILNS1_3genE9ELNS1_11target_archE1100ELNS1_3gpuE3ELNS1_3repE0EEENS1_30default_config_static_selectorELNS0_4arch9wavefront6targetE1EEEvT1_,comdat
.Lfunc_end1121:
	.size	_ZN7rocprim17ROCPRIM_400000_NS6detail17trampoline_kernelINS0_14default_configENS1_25partition_config_selectorILNS1_17partition_subalgoE9EllbEEZZNS1_14partition_implILS5_9ELb0ES3_jPlS8_PNS0_10empty_typeENS0_5tupleIJS8_S9_EEENSB_IJS8_SA_EEENS0_18inequality_wrapperIZN2at6native12_GLOBAL__N_124unique_dim_cuda_templateIbEESt5tupleIJNSF_6TensorESK_SK_EERKSK_lbbbEUlllE0_EEPmJS9_EEE10hipError_tPvRmT3_T4_T5_T6_T7_T9_mT8_P12ihipStream_tbDpT10_ENKUlT_T0_E_clISt17integral_constantIbLb0EES19_IbLb1EEEEDaS15_S16_EUlS15_E_NS1_11comp_targetILNS1_3genE9ELNS1_11target_archE1100ELNS1_3gpuE3ELNS1_3repE0EEENS1_30default_config_static_selectorELNS0_4arch9wavefront6targetE1EEEvT1_, .Lfunc_end1121-_ZN7rocprim17ROCPRIM_400000_NS6detail17trampoline_kernelINS0_14default_configENS1_25partition_config_selectorILNS1_17partition_subalgoE9EllbEEZZNS1_14partition_implILS5_9ELb0ES3_jPlS8_PNS0_10empty_typeENS0_5tupleIJS8_S9_EEENSB_IJS8_SA_EEENS0_18inequality_wrapperIZN2at6native12_GLOBAL__N_124unique_dim_cuda_templateIbEESt5tupleIJNSF_6TensorESK_SK_EERKSK_lbbbEUlllE0_EEPmJS9_EEE10hipError_tPvRmT3_T4_T5_T6_T7_T9_mT8_P12ihipStream_tbDpT10_ENKUlT_T0_E_clISt17integral_constantIbLb0EES19_IbLb1EEEEDaS15_S16_EUlS15_E_NS1_11comp_targetILNS1_3genE9ELNS1_11target_archE1100ELNS1_3gpuE3ELNS1_3repE0EEENS1_30default_config_static_selectorELNS0_4arch9wavefront6targetE1EEEvT1_
                                        ; -- End function
	.section	.AMDGPU.csdata,"",@progbits
; Kernel info:
; codeLenInByte = 0
; NumSgprs: 6
; NumVgprs: 0
; NumAgprs: 0
; TotalNumVgprs: 0
; ScratchSize: 0
; MemoryBound: 0
; FloatMode: 240
; IeeeMode: 1
; LDSByteSize: 0 bytes/workgroup (compile time only)
; SGPRBlocks: 0
; VGPRBlocks: 0
; NumSGPRsForWavesPerEU: 6
; NumVGPRsForWavesPerEU: 1
; AccumOffset: 4
; Occupancy: 8
; WaveLimiterHint : 0
; COMPUTE_PGM_RSRC2:SCRATCH_EN: 0
; COMPUTE_PGM_RSRC2:USER_SGPR: 2
; COMPUTE_PGM_RSRC2:TRAP_HANDLER: 0
; COMPUTE_PGM_RSRC2:TGID_X_EN: 1
; COMPUTE_PGM_RSRC2:TGID_Y_EN: 0
; COMPUTE_PGM_RSRC2:TGID_Z_EN: 0
; COMPUTE_PGM_RSRC2:TIDIG_COMP_CNT: 0
; COMPUTE_PGM_RSRC3_GFX90A:ACCUM_OFFSET: 0
; COMPUTE_PGM_RSRC3_GFX90A:TG_SPLIT: 0
	.section	.text._ZN7rocprim17ROCPRIM_400000_NS6detail17trampoline_kernelINS0_14default_configENS1_25partition_config_selectorILNS1_17partition_subalgoE9EllbEEZZNS1_14partition_implILS5_9ELb0ES3_jPlS8_PNS0_10empty_typeENS0_5tupleIJS8_S9_EEENSB_IJS8_SA_EEENS0_18inequality_wrapperIZN2at6native12_GLOBAL__N_124unique_dim_cuda_templateIbEESt5tupleIJNSF_6TensorESK_SK_EERKSK_lbbbEUlllE0_EEPmJS9_EEE10hipError_tPvRmT3_T4_T5_T6_T7_T9_mT8_P12ihipStream_tbDpT10_ENKUlT_T0_E_clISt17integral_constantIbLb0EES19_IbLb1EEEEDaS15_S16_EUlS15_E_NS1_11comp_targetILNS1_3genE8ELNS1_11target_archE1030ELNS1_3gpuE2ELNS1_3repE0EEENS1_30default_config_static_selectorELNS0_4arch9wavefront6targetE1EEEvT1_,"axG",@progbits,_ZN7rocprim17ROCPRIM_400000_NS6detail17trampoline_kernelINS0_14default_configENS1_25partition_config_selectorILNS1_17partition_subalgoE9EllbEEZZNS1_14partition_implILS5_9ELb0ES3_jPlS8_PNS0_10empty_typeENS0_5tupleIJS8_S9_EEENSB_IJS8_SA_EEENS0_18inequality_wrapperIZN2at6native12_GLOBAL__N_124unique_dim_cuda_templateIbEESt5tupleIJNSF_6TensorESK_SK_EERKSK_lbbbEUlllE0_EEPmJS9_EEE10hipError_tPvRmT3_T4_T5_T6_T7_T9_mT8_P12ihipStream_tbDpT10_ENKUlT_T0_E_clISt17integral_constantIbLb0EES19_IbLb1EEEEDaS15_S16_EUlS15_E_NS1_11comp_targetILNS1_3genE8ELNS1_11target_archE1030ELNS1_3gpuE2ELNS1_3repE0EEENS1_30default_config_static_selectorELNS0_4arch9wavefront6targetE1EEEvT1_,comdat
	.globl	_ZN7rocprim17ROCPRIM_400000_NS6detail17trampoline_kernelINS0_14default_configENS1_25partition_config_selectorILNS1_17partition_subalgoE9EllbEEZZNS1_14partition_implILS5_9ELb0ES3_jPlS8_PNS0_10empty_typeENS0_5tupleIJS8_S9_EEENSB_IJS8_SA_EEENS0_18inequality_wrapperIZN2at6native12_GLOBAL__N_124unique_dim_cuda_templateIbEESt5tupleIJNSF_6TensorESK_SK_EERKSK_lbbbEUlllE0_EEPmJS9_EEE10hipError_tPvRmT3_T4_T5_T6_T7_T9_mT8_P12ihipStream_tbDpT10_ENKUlT_T0_E_clISt17integral_constantIbLb0EES19_IbLb1EEEEDaS15_S16_EUlS15_E_NS1_11comp_targetILNS1_3genE8ELNS1_11target_archE1030ELNS1_3gpuE2ELNS1_3repE0EEENS1_30default_config_static_selectorELNS0_4arch9wavefront6targetE1EEEvT1_ ; -- Begin function _ZN7rocprim17ROCPRIM_400000_NS6detail17trampoline_kernelINS0_14default_configENS1_25partition_config_selectorILNS1_17partition_subalgoE9EllbEEZZNS1_14partition_implILS5_9ELb0ES3_jPlS8_PNS0_10empty_typeENS0_5tupleIJS8_S9_EEENSB_IJS8_SA_EEENS0_18inequality_wrapperIZN2at6native12_GLOBAL__N_124unique_dim_cuda_templateIbEESt5tupleIJNSF_6TensorESK_SK_EERKSK_lbbbEUlllE0_EEPmJS9_EEE10hipError_tPvRmT3_T4_T5_T6_T7_T9_mT8_P12ihipStream_tbDpT10_ENKUlT_T0_E_clISt17integral_constantIbLb0EES19_IbLb1EEEEDaS15_S16_EUlS15_E_NS1_11comp_targetILNS1_3genE8ELNS1_11target_archE1030ELNS1_3gpuE2ELNS1_3repE0EEENS1_30default_config_static_selectorELNS0_4arch9wavefront6targetE1EEEvT1_
	.p2align	8
	.type	_ZN7rocprim17ROCPRIM_400000_NS6detail17trampoline_kernelINS0_14default_configENS1_25partition_config_selectorILNS1_17partition_subalgoE9EllbEEZZNS1_14partition_implILS5_9ELb0ES3_jPlS8_PNS0_10empty_typeENS0_5tupleIJS8_S9_EEENSB_IJS8_SA_EEENS0_18inequality_wrapperIZN2at6native12_GLOBAL__N_124unique_dim_cuda_templateIbEESt5tupleIJNSF_6TensorESK_SK_EERKSK_lbbbEUlllE0_EEPmJS9_EEE10hipError_tPvRmT3_T4_T5_T6_T7_T9_mT8_P12ihipStream_tbDpT10_ENKUlT_T0_E_clISt17integral_constantIbLb0EES19_IbLb1EEEEDaS15_S16_EUlS15_E_NS1_11comp_targetILNS1_3genE8ELNS1_11target_archE1030ELNS1_3gpuE2ELNS1_3repE0EEENS1_30default_config_static_selectorELNS0_4arch9wavefront6targetE1EEEvT1_,@function
_ZN7rocprim17ROCPRIM_400000_NS6detail17trampoline_kernelINS0_14default_configENS1_25partition_config_selectorILNS1_17partition_subalgoE9EllbEEZZNS1_14partition_implILS5_9ELb0ES3_jPlS8_PNS0_10empty_typeENS0_5tupleIJS8_S9_EEENSB_IJS8_SA_EEENS0_18inequality_wrapperIZN2at6native12_GLOBAL__N_124unique_dim_cuda_templateIbEESt5tupleIJNSF_6TensorESK_SK_EERKSK_lbbbEUlllE0_EEPmJS9_EEE10hipError_tPvRmT3_T4_T5_T6_T7_T9_mT8_P12ihipStream_tbDpT10_ENKUlT_T0_E_clISt17integral_constantIbLb0EES19_IbLb1EEEEDaS15_S16_EUlS15_E_NS1_11comp_targetILNS1_3genE8ELNS1_11target_archE1030ELNS1_3gpuE2ELNS1_3repE0EEENS1_30default_config_static_selectorELNS0_4arch9wavefront6targetE1EEEvT1_: ; @_ZN7rocprim17ROCPRIM_400000_NS6detail17trampoline_kernelINS0_14default_configENS1_25partition_config_selectorILNS1_17partition_subalgoE9EllbEEZZNS1_14partition_implILS5_9ELb0ES3_jPlS8_PNS0_10empty_typeENS0_5tupleIJS8_S9_EEENSB_IJS8_SA_EEENS0_18inequality_wrapperIZN2at6native12_GLOBAL__N_124unique_dim_cuda_templateIbEESt5tupleIJNSF_6TensorESK_SK_EERKSK_lbbbEUlllE0_EEPmJS9_EEE10hipError_tPvRmT3_T4_T5_T6_T7_T9_mT8_P12ihipStream_tbDpT10_ENKUlT_T0_E_clISt17integral_constantIbLb0EES19_IbLb1EEEEDaS15_S16_EUlS15_E_NS1_11comp_targetILNS1_3genE8ELNS1_11target_archE1030ELNS1_3gpuE2ELNS1_3repE0EEENS1_30default_config_static_selectorELNS0_4arch9wavefront6targetE1EEEvT1_
; %bb.0:
	.section	.rodata,"a",@progbits
	.p2align	6, 0x0
	.amdhsa_kernel _ZN7rocprim17ROCPRIM_400000_NS6detail17trampoline_kernelINS0_14default_configENS1_25partition_config_selectorILNS1_17partition_subalgoE9EllbEEZZNS1_14partition_implILS5_9ELb0ES3_jPlS8_PNS0_10empty_typeENS0_5tupleIJS8_S9_EEENSB_IJS8_SA_EEENS0_18inequality_wrapperIZN2at6native12_GLOBAL__N_124unique_dim_cuda_templateIbEESt5tupleIJNSF_6TensorESK_SK_EERKSK_lbbbEUlllE0_EEPmJS9_EEE10hipError_tPvRmT3_T4_T5_T6_T7_T9_mT8_P12ihipStream_tbDpT10_ENKUlT_T0_E_clISt17integral_constantIbLb0EES19_IbLb1EEEEDaS15_S16_EUlS15_E_NS1_11comp_targetILNS1_3genE8ELNS1_11target_archE1030ELNS1_3gpuE2ELNS1_3repE0EEENS1_30default_config_static_selectorELNS0_4arch9wavefront6targetE1EEEvT1_
		.amdhsa_group_segment_fixed_size 0
		.amdhsa_private_segment_fixed_size 0
		.amdhsa_kernarg_size 136
		.amdhsa_user_sgpr_count 2
		.amdhsa_user_sgpr_dispatch_ptr 0
		.amdhsa_user_sgpr_queue_ptr 0
		.amdhsa_user_sgpr_kernarg_segment_ptr 1
		.amdhsa_user_sgpr_dispatch_id 0
		.amdhsa_user_sgpr_kernarg_preload_length 0
		.amdhsa_user_sgpr_kernarg_preload_offset 0
		.amdhsa_user_sgpr_private_segment_size 0
		.amdhsa_uses_dynamic_stack 0
		.amdhsa_enable_private_segment 0
		.amdhsa_system_sgpr_workgroup_id_x 1
		.amdhsa_system_sgpr_workgroup_id_y 0
		.amdhsa_system_sgpr_workgroup_id_z 0
		.amdhsa_system_sgpr_workgroup_info 0
		.amdhsa_system_vgpr_workitem_id 0
		.amdhsa_next_free_vgpr 1
		.amdhsa_next_free_sgpr 0
		.amdhsa_accum_offset 4
		.amdhsa_reserve_vcc 0
		.amdhsa_float_round_mode_32 0
		.amdhsa_float_round_mode_16_64 0
		.amdhsa_float_denorm_mode_32 3
		.amdhsa_float_denorm_mode_16_64 3
		.amdhsa_dx10_clamp 1
		.amdhsa_ieee_mode 1
		.amdhsa_fp16_overflow 0
		.amdhsa_tg_split 0
		.amdhsa_exception_fp_ieee_invalid_op 0
		.amdhsa_exception_fp_denorm_src 0
		.amdhsa_exception_fp_ieee_div_zero 0
		.amdhsa_exception_fp_ieee_overflow 0
		.amdhsa_exception_fp_ieee_underflow 0
		.amdhsa_exception_fp_ieee_inexact 0
		.amdhsa_exception_int_div_zero 0
	.end_amdhsa_kernel
	.section	.text._ZN7rocprim17ROCPRIM_400000_NS6detail17trampoline_kernelINS0_14default_configENS1_25partition_config_selectorILNS1_17partition_subalgoE9EllbEEZZNS1_14partition_implILS5_9ELb0ES3_jPlS8_PNS0_10empty_typeENS0_5tupleIJS8_S9_EEENSB_IJS8_SA_EEENS0_18inequality_wrapperIZN2at6native12_GLOBAL__N_124unique_dim_cuda_templateIbEESt5tupleIJNSF_6TensorESK_SK_EERKSK_lbbbEUlllE0_EEPmJS9_EEE10hipError_tPvRmT3_T4_T5_T6_T7_T9_mT8_P12ihipStream_tbDpT10_ENKUlT_T0_E_clISt17integral_constantIbLb0EES19_IbLb1EEEEDaS15_S16_EUlS15_E_NS1_11comp_targetILNS1_3genE8ELNS1_11target_archE1030ELNS1_3gpuE2ELNS1_3repE0EEENS1_30default_config_static_selectorELNS0_4arch9wavefront6targetE1EEEvT1_,"axG",@progbits,_ZN7rocprim17ROCPRIM_400000_NS6detail17trampoline_kernelINS0_14default_configENS1_25partition_config_selectorILNS1_17partition_subalgoE9EllbEEZZNS1_14partition_implILS5_9ELb0ES3_jPlS8_PNS0_10empty_typeENS0_5tupleIJS8_S9_EEENSB_IJS8_SA_EEENS0_18inequality_wrapperIZN2at6native12_GLOBAL__N_124unique_dim_cuda_templateIbEESt5tupleIJNSF_6TensorESK_SK_EERKSK_lbbbEUlllE0_EEPmJS9_EEE10hipError_tPvRmT3_T4_T5_T6_T7_T9_mT8_P12ihipStream_tbDpT10_ENKUlT_T0_E_clISt17integral_constantIbLb0EES19_IbLb1EEEEDaS15_S16_EUlS15_E_NS1_11comp_targetILNS1_3genE8ELNS1_11target_archE1030ELNS1_3gpuE2ELNS1_3repE0EEENS1_30default_config_static_selectorELNS0_4arch9wavefront6targetE1EEEvT1_,comdat
.Lfunc_end1122:
	.size	_ZN7rocprim17ROCPRIM_400000_NS6detail17trampoline_kernelINS0_14default_configENS1_25partition_config_selectorILNS1_17partition_subalgoE9EllbEEZZNS1_14partition_implILS5_9ELb0ES3_jPlS8_PNS0_10empty_typeENS0_5tupleIJS8_S9_EEENSB_IJS8_SA_EEENS0_18inequality_wrapperIZN2at6native12_GLOBAL__N_124unique_dim_cuda_templateIbEESt5tupleIJNSF_6TensorESK_SK_EERKSK_lbbbEUlllE0_EEPmJS9_EEE10hipError_tPvRmT3_T4_T5_T6_T7_T9_mT8_P12ihipStream_tbDpT10_ENKUlT_T0_E_clISt17integral_constantIbLb0EES19_IbLb1EEEEDaS15_S16_EUlS15_E_NS1_11comp_targetILNS1_3genE8ELNS1_11target_archE1030ELNS1_3gpuE2ELNS1_3repE0EEENS1_30default_config_static_selectorELNS0_4arch9wavefront6targetE1EEEvT1_, .Lfunc_end1122-_ZN7rocprim17ROCPRIM_400000_NS6detail17trampoline_kernelINS0_14default_configENS1_25partition_config_selectorILNS1_17partition_subalgoE9EllbEEZZNS1_14partition_implILS5_9ELb0ES3_jPlS8_PNS0_10empty_typeENS0_5tupleIJS8_S9_EEENSB_IJS8_SA_EEENS0_18inequality_wrapperIZN2at6native12_GLOBAL__N_124unique_dim_cuda_templateIbEESt5tupleIJNSF_6TensorESK_SK_EERKSK_lbbbEUlllE0_EEPmJS9_EEE10hipError_tPvRmT3_T4_T5_T6_T7_T9_mT8_P12ihipStream_tbDpT10_ENKUlT_T0_E_clISt17integral_constantIbLb0EES19_IbLb1EEEEDaS15_S16_EUlS15_E_NS1_11comp_targetILNS1_3genE8ELNS1_11target_archE1030ELNS1_3gpuE2ELNS1_3repE0EEENS1_30default_config_static_selectorELNS0_4arch9wavefront6targetE1EEEvT1_
                                        ; -- End function
	.section	.AMDGPU.csdata,"",@progbits
; Kernel info:
; codeLenInByte = 0
; NumSgprs: 6
; NumVgprs: 0
; NumAgprs: 0
; TotalNumVgprs: 0
; ScratchSize: 0
; MemoryBound: 0
; FloatMode: 240
; IeeeMode: 1
; LDSByteSize: 0 bytes/workgroup (compile time only)
; SGPRBlocks: 0
; VGPRBlocks: 0
; NumSGPRsForWavesPerEU: 6
; NumVGPRsForWavesPerEU: 1
; AccumOffset: 4
; Occupancy: 8
; WaveLimiterHint : 0
; COMPUTE_PGM_RSRC2:SCRATCH_EN: 0
; COMPUTE_PGM_RSRC2:USER_SGPR: 2
; COMPUTE_PGM_RSRC2:TRAP_HANDLER: 0
; COMPUTE_PGM_RSRC2:TGID_X_EN: 1
; COMPUTE_PGM_RSRC2:TGID_Y_EN: 0
; COMPUTE_PGM_RSRC2:TGID_Z_EN: 0
; COMPUTE_PGM_RSRC2:TIDIG_COMP_CNT: 0
; COMPUTE_PGM_RSRC3_GFX90A:ACCUM_OFFSET: 0
; COMPUTE_PGM_RSRC3_GFX90A:TG_SPLIT: 0
	.section	.text._ZN7rocprim17ROCPRIM_400000_NS6detail17trampoline_kernelINS0_14default_configENS1_37merge_sort_block_sort_config_selectorIlNS0_10empty_typeEEEZNS1_21merge_sort_block_sortIS3_PlS8_PS5_S9_ZN2at6native12_GLOBAL__N_124unique_dim_cuda_templateIN3c108BFloat16EEESt5tupleIJNSA_6TensorESH_SH_EERKSH_lbbbEUlllE_EE10hipError_tT0_T1_T2_T3_mRjT4_P12ihipStream_tbNS1_7vsmem_tEEUlT_E_NS1_11comp_targetILNS1_3genE0ELNS1_11target_archE4294967295ELNS1_3gpuE0ELNS1_3repE0EEENS1_30default_config_static_selectorELNS0_4arch9wavefront6targetE1EEEvSO_,"axG",@progbits,_ZN7rocprim17ROCPRIM_400000_NS6detail17trampoline_kernelINS0_14default_configENS1_37merge_sort_block_sort_config_selectorIlNS0_10empty_typeEEEZNS1_21merge_sort_block_sortIS3_PlS8_PS5_S9_ZN2at6native12_GLOBAL__N_124unique_dim_cuda_templateIN3c108BFloat16EEESt5tupleIJNSA_6TensorESH_SH_EERKSH_lbbbEUlllE_EE10hipError_tT0_T1_T2_T3_mRjT4_P12ihipStream_tbNS1_7vsmem_tEEUlT_E_NS1_11comp_targetILNS1_3genE0ELNS1_11target_archE4294967295ELNS1_3gpuE0ELNS1_3repE0EEENS1_30default_config_static_selectorELNS0_4arch9wavefront6targetE1EEEvSO_,comdat
	.globl	_ZN7rocprim17ROCPRIM_400000_NS6detail17trampoline_kernelINS0_14default_configENS1_37merge_sort_block_sort_config_selectorIlNS0_10empty_typeEEEZNS1_21merge_sort_block_sortIS3_PlS8_PS5_S9_ZN2at6native12_GLOBAL__N_124unique_dim_cuda_templateIN3c108BFloat16EEESt5tupleIJNSA_6TensorESH_SH_EERKSH_lbbbEUlllE_EE10hipError_tT0_T1_T2_T3_mRjT4_P12ihipStream_tbNS1_7vsmem_tEEUlT_E_NS1_11comp_targetILNS1_3genE0ELNS1_11target_archE4294967295ELNS1_3gpuE0ELNS1_3repE0EEENS1_30default_config_static_selectorELNS0_4arch9wavefront6targetE1EEEvSO_ ; -- Begin function _ZN7rocprim17ROCPRIM_400000_NS6detail17trampoline_kernelINS0_14default_configENS1_37merge_sort_block_sort_config_selectorIlNS0_10empty_typeEEEZNS1_21merge_sort_block_sortIS3_PlS8_PS5_S9_ZN2at6native12_GLOBAL__N_124unique_dim_cuda_templateIN3c108BFloat16EEESt5tupleIJNSA_6TensorESH_SH_EERKSH_lbbbEUlllE_EE10hipError_tT0_T1_T2_T3_mRjT4_P12ihipStream_tbNS1_7vsmem_tEEUlT_E_NS1_11comp_targetILNS1_3genE0ELNS1_11target_archE4294967295ELNS1_3gpuE0ELNS1_3repE0EEENS1_30default_config_static_selectorELNS0_4arch9wavefront6targetE1EEEvSO_
	.p2align	8
	.type	_ZN7rocprim17ROCPRIM_400000_NS6detail17trampoline_kernelINS0_14default_configENS1_37merge_sort_block_sort_config_selectorIlNS0_10empty_typeEEEZNS1_21merge_sort_block_sortIS3_PlS8_PS5_S9_ZN2at6native12_GLOBAL__N_124unique_dim_cuda_templateIN3c108BFloat16EEESt5tupleIJNSA_6TensorESH_SH_EERKSH_lbbbEUlllE_EE10hipError_tT0_T1_T2_T3_mRjT4_P12ihipStream_tbNS1_7vsmem_tEEUlT_E_NS1_11comp_targetILNS1_3genE0ELNS1_11target_archE4294967295ELNS1_3gpuE0ELNS1_3repE0EEENS1_30default_config_static_selectorELNS0_4arch9wavefront6targetE1EEEvSO_,@function
_ZN7rocprim17ROCPRIM_400000_NS6detail17trampoline_kernelINS0_14default_configENS1_37merge_sort_block_sort_config_selectorIlNS0_10empty_typeEEEZNS1_21merge_sort_block_sortIS3_PlS8_PS5_S9_ZN2at6native12_GLOBAL__N_124unique_dim_cuda_templateIN3c108BFloat16EEESt5tupleIJNSA_6TensorESH_SH_EERKSH_lbbbEUlllE_EE10hipError_tT0_T1_T2_T3_mRjT4_P12ihipStream_tbNS1_7vsmem_tEEUlT_E_NS1_11comp_targetILNS1_3genE0ELNS1_11target_archE4294967295ELNS1_3gpuE0ELNS1_3repE0EEENS1_30default_config_static_selectorELNS0_4arch9wavefront6targetE1EEEvSO_: ; @_ZN7rocprim17ROCPRIM_400000_NS6detail17trampoline_kernelINS0_14default_configENS1_37merge_sort_block_sort_config_selectorIlNS0_10empty_typeEEEZNS1_21merge_sort_block_sortIS3_PlS8_PS5_S9_ZN2at6native12_GLOBAL__N_124unique_dim_cuda_templateIN3c108BFloat16EEESt5tupleIJNSA_6TensorESH_SH_EERKSH_lbbbEUlllE_EE10hipError_tT0_T1_T2_T3_mRjT4_P12ihipStream_tbNS1_7vsmem_tEEUlT_E_NS1_11comp_targetILNS1_3genE0ELNS1_11target_archE4294967295ELNS1_3gpuE0ELNS1_3repE0EEENS1_30default_config_static_selectorELNS0_4arch9wavefront6targetE1EEEvSO_
; %bb.0:
	.section	.rodata,"a",@progbits
	.p2align	6, 0x0
	.amdhsa_kernel _ZN7rocprim17ROCPRIM_400000_NS6detail17trampoline_kernelINS0_14default_configENS1_37merge_sort_block_sort_config_selectorIlNS0_10empty_typeEEEZNS1_21merge_sort_block_sortIS3_PlS8_PS5_S9_ZN2at6native12_GLOBAL__N_124unique_dim_cuda_templateIN3c108BFloat16EEESt5tupleIJNSA_6TensorESH_SH_EERKSH_lbbbEUlllE_EE10hipError_tT0_T1_T2_T3_mRjT4_P12ihipStream_tbNS1_7vsmem_tEEUlT_E_NS1_11comp_targetILNS1_3genE0ELNS1_11target_archE4294967295ELNS1_3gpuE0ELNS1_3repE0EEENS1_30default_config_static_selectorELNS0_4arch9wavefront6targetE1EEEvSO_
		.amdhsa_group_segment_fixed_size 0
		.amdhsa_private_segment_fixed_size 0
		.amdhsa_kernarg_size 72
		.amdhsa_user_sgpr_count 2
		.amdhsa_user_sgpr_dispatch_ptr 0
		.amdhsa_user_sgpr_queue_ptr 0
		.amdhsa_user_sgpr_kernarg_segment_ptr 1
		.amdhsa_user_sgpr_dispatch_id 0
		.amdhsa_user_sgpr_kernarg_preload_length 0
		.amdhsa_user_sgpr_kernarg_preload_offset 0
		.amdhsa_user_sgpr_private_segment_size 0
		.amdhsa_uses_dynamic_stack 0
		.amdhsa_enable_private_segment 0
		.amdhsa_system_sgpr_workgroup_id_x 1
		.amdhsa_system_sgpr_workgroup_id_y 0
		.amdhsa_system_sgpr_workgroup_id_z 0
		.amdhsa_system_sgpr_workgroup_info 0
		.amdhsa_system_vgpr_workitem_id 0
		.amdhsa_next_free_vgpr 1
		.amdhsa_next_free_sgpr 0
		.amdhsa_accum_offset 4
		.amdhsa_reserve_vcc 0
		.amdhsa_float_round_mode_32 0
		.amdhsa_float_round_mode_16_64 0
		.amdhsa_float_denorm_mode_32 3
		.amdhsa_float_denorm_mode_16_64 3
		.amdhsa_dx10_clamp 1
		.amdhsa_ieee_mode 1
		.amdhsa_fp16_overflow 0
		.amdhsa_tg_split 0
		.amdhsa_exception_fp_ieee_invalid_op 0
		.amdhsa_exception_fp_denorm_src 0
		.amdhsa_exception_fp_ieee_div_zero 0
		.amdhsa_exception_fp_ieee_overflow 0
		.amdhsa_exception_fp_ieee_underflow 0
		.amdhsa_exception_fp_ieee_inexact 0
		.amdhsa_exception_int_div_zero 0
	.end_amdhsa_kernel
	.section	.text._ZN7rocprim17ROCPRIM_400000_NS6detail17trampoline_kernelINS0_14default_configENS1_37merge_sort_block_sort_config_selectorIlNS0_10empty_typeEEEZNS1_21merge_sort_block_sortIS3_PlS8_PS5_S9_ZN2at6native12_GLOBAL__N_124unique_dim_cuda_templateIN3c108BFloat16EEESt5tupleIJNSA_6TensorESH_SH_EERKSH_lbbbEUlllE_EE10hipError_tT0_T1_T2_T3_mRjT4_P12ihipStream_tbNS1_7vsmem_tEEUlT_E_NS1_11comp_targetILNS1_3genE0ELNS1_11target_archE4294967295ELNS1_3gpuE0ELNS1_3repE0EEENS1_30default_config_static_selectorELNS0_4arch9wavefront6targetE1EEEvSO_,"axG",@progbits,_ZN7rocprim17ROCPRIM_400000_NS6detail17trampoline_kernelINS0_14default_configENS1_37merge_sort_block_sort_config_selectorIlNS0_10empty_typeEEEZNS1_21merge_sort_block_sortIS3_PlS8_PS5_S9_ZN2at6native12_GLOBAL__N_124unique_dim_cuda_templateIN3c108BFloat16EEESt5tupleIJNSA_6TensorESH_SH_EERKSH_lbbbEUlllE_EE10hipError_tT0_T1_T2_T3_mRjT4_P12ihipStream_tbNS1_7vsmem_tEEUlT_E_NS1_11comp_targetILNS1_3genE0ELNS1_11target_archE4294967295ELNS1_3gpuE0ELNS1_3repE0EEENS1_30default_config_static_selectorELNS0_4arch9wavefront6targetE1EEEvSO_,comdat
.Lfunc_end1123:
	.size	_ZN7rocprim17ROCPRIM_400000_NS6detail17trampoline_kernelINS0_14default_configENS1_37merge_sort_block_sort_config_selectorIlNS0_10empty_typeEEEZNS1_21merge_sort_block_sortIS3_PlS8_PS5_S9_ZN2at6native12_GLOBAL__N_124unique_dim_cuda_templateIN3c108BFloat16EEESt5tupleIJNSA_6TensorESH_SH_EERKSH_lbbbEUlllE_EE10hipError_tT0_T1_T2_T3_mRjT4_P12ihipStream_tbNS1_7vsmem_tEEUlT_E_NS1_11comp_targetILNS1_3genE0ELNS1_11target_archE4294967295ELNS1_3gpuE0ELNS1_3repE0EEENS1_30default_config_static_selectorELNS0_4arch9wavefront6targetE1EEEvSO_, .Lfunc_end1123-_ZN7rocprim17ROCPRIM_400000_NS6detail17trampoline_kernelINS0_14default_configENS1_37merge_sort_block_sort_config_selectorIlNS0_10empty_typeEEEZNS1_21merge_sort_block_sortIS3_PlS8_PS5_S9_ZN2at6native12_GLOBAL__N_124unique_dim_cuda_templateIN3c108BFloat16EEESt5tupleIJNSA_6TensorESH_SH_EERKSH_lbbbEUlllE_EE10hipError_tT0_T1_T2_T3_mRjT4_P12ihipStream_tbNS1_7vsmem_tEEUlT_E_NS1_11comp_targetILNS1_3genE0ELNS1_11target_archE4294967295ELNS1_3gpuE0ELNS1_3repE0EEENS1_30default_config_static_selectorELNS0_4arch9wavefront6targetE1EEEvSO_
                                        ; -- End function
	.section	.AMDGPU.csdata,"",@progbits
; Kernel info:
; codeLenInByte = 0
; NumSgprs: 6
; NumVgprs: 0
; NumAgprs: 0
; TotalNumVgprs: 0
; ScratchSize: 0
; MemoryBound: 0
; FloatMode: 240
; IeeeMode: 1
; LDSByteSize: 0 bytes/workgroup (compile time only)
; SGPRBlocks: 0
; VGPRBlocks: 0
; NumSGPRsForWavesPerEU: 6
; NumVGPRsForWavesPerEU: 1
; AccumOffset: 4
; Occupancy: 8
; WaveLimiterHint : 0
; COMPUTE_PGM_RSRC2:SCRATCH_EN: 0
; COMPUTE_PGM_RSRC2:USER_SGPR: 2
; COMPUTE_PGM_RSRC2:TRAP_HANDLER: 0
; COMPUTE_PGM_RSRC2:TGID_X_EN: 1
; COMPUTE_PGM_RSRC2:TGID_Y_EN: 0
; COMPUTE_PGM_RSRC2:TGID_Z_EN: 0
; COMPUTE_PGM_RSRC2:TIDIG_COMP_CNT: 0
; COMPUTE_PGM_RSRC3_GFX90A:ACCUM_OFFSET: 0
; COMPUTE_PGM_RSRC3_GFX90A:TG_SPLIT: 0
	.text
	.p2align	2                               ; -- Begin function _ZN7rocprim17ROCPRIM_400000_NS6detail15block_sort_implIlNS0_10empty_typeELj256ELj8ELNS0_4arch9wavefront6targetE1EvE4sortIPlS9_PS3_SA_ZN2at6native12_GLOBAL__N_124unique_dim_cuda_templateIN3c108BFloat16EEESt5tupleIJNSB_6TensorESI_SI_EERKSI_lbbbEUlllE_EEvjbT_T0_T1_T2_T3_RNS7_12storage_typeE
	.type	_ZN7rocprim17ROCPRIM_400000_NS6detail15block_sort_implIlNS0_10empty_typeELj256ELj8ELNS0_4arch9wavefront6targetE1EvE4sortIPlS9_PS3_SA_ZN2at6native12_GLOBAL__N_124unique_dim_cuda_templateIN3c108BFloat16EEESt5tupleIJNSB_6TensorESI_SI_EERKSI_lbbbEUlllE_EEvjbT_T0_T1_T2_T3_RNS7_12storage_typeE,@function
_ZN7rocprim17ROCPRIM_400000_NS6detail15block_sort_implIlNS0_10empty_typeELj256ELj8ELNS0_4arch9wavefront6targetE1EvE4sortIPlS9_PS3_SA_ZN2at6native12_GLOBAL__N_124unique_dim_cuda_templateIN3c108BFloat16EEESt5tupleIJNSB_6TensorESI_SI_EERKSI_lbbbEUlllE_EEvjbT_T0_T1_T2_T3_RNS7_12storage_typeE: ; @_ZN7rocprim17ROCPRIM_400000_NS6detail15block_sort_implIlNS0_10empty_typeELj256ELj8ELNS0_4arch9wavefront6targetE1EvE4sortIPlS9_PS3_SA_ZN2at6native12_GLOBAL__N_124unique_dim_cuda_templateIN3c108BFloat16EEESt5tupleIJNSB_6TensorESI_SI_EERKSI_lbbbEUlllE_EEvjbT_T0_T1_T2_T3_RNS7_12storage_typeE
; %bb.0:
	s_waitcnt vmcnt(0) expcnt(0) lgkmcnt(0)
	s_or_saveexec_b64 s[0:1], -1
	scratch_store_dword off, v40, s32       ; 4-byte Folded Spill
	s_mov_b64 exec, s[0:1]
	v_writelane_b32 v40, s34, 0
	v_writelane_b32 v40, s35, 1
	;; [unrolled: 1-line block ×36, first 2 shown]
	s_nop 1
	v_writelane_b32 v40, s31, 36
	v_and_b32_e32 v1, 1, v1
	v_cmp_eq_u32_e32 vcc, 1, v1
	v_and_b32_e32 v28, 0x3ff, v31
	s_xor_b64 s[0:1], vcc, -1
	s_mov_b64 s[22:23], 0
	v_bfe_u32 v64, v31, 10, 10
	v_bfe_u32 v65, v31, 20, 10
	v_lshlrev_b32_e32 v30, 3, v28
	v_lshrrev_b32_e32 v32, 5, v28
	v_lshrrev_b32_e32 v1, 2, v28
                                        ; implicit-def: $vgpr12_vgpr13
	s_and_saveexec_b64 s[2:3], s[0:1]
	s_xor_b64 s[10:11], exec, s[2:3]
	s_cbranch_execnz .LBB1124_5
; %bb.1:
	s_andn2_saveexec_b64 s[24:25], s[10:11]
	s_cbranch_execnz .LBB1124_785
.LBB1124_2:
	s_or_b64 exec, exec, s[24:25]
	s_and_saveexec_b64 s[0:1], s[22:23]
	s_cbranch_execz .LBB1124_4
.LBB1124_3:
	s_waitcnt vmcnt(0) lgkmcnt(0)
	v_lshl_add_u64 v[0:1], v[28:29], 3, v[4:5]
	v_add_co_u32_e32 v0, vcc, 0x3000, v0
	s_nop 1
	v_addc_co_u32_e32 v1, vcc, 0, v1, vcc
	flat_store_dwordx2 v[0:1], v[12:13] offset:2048
.LBB1124_4:
	s_or_b64 exec, exec, s[0:1]
	v_readlane_b32 s30, v40, 35
	v_readlane_b32 s31, v40, 36
	;; [unrolled: 1-line block ×37, first 2 shown]
	s_or_saveexec_b64 s[0:1], -1
	scratch_load_dword v40, off, s32        ; 4-byte Folded Reload
	s_mov_b64 exec, s[0:1]
	s_waitcnt vmcnt(0) lgkmcnt(0)
	s_setpc_b64 s[30:31]
.LBB1124_5:
	v_mov_b32_e32 v29, 0
	v_mov_b32_e32 v31, v29
	v_lshl_add_u64 v[2:3], v[2:3], 0, v[30:31]
	v_add_co_u32_e32 v12, vcc, 0x1000, v2
	v_add_lshl_u32 v0, v32, v28, 3
	s_nop 0
	v_addc_co_u32_e32 v13, vcc, 0, v3, vcc
	flat_load_dwordx2 v[14:15], v[2:3]
	flat_load_dwordx2 v[16:17], v[2:3] offset:2048
	flat_load_dwordx2 v[18:19], v[12:13]
	flat_load_dwordx2 v[20:21], v[12:13] offset:2048
	v_add_co_u32_e32 v12, vcc, 0x2000, v2
	v_add_u32_e32 v26, 0x200, v28
	s_nop 0
	v_addc_co_u32_e32 v13, vcc, 0, v3, vcc
	v_add_co_u32_e32 v2, vcc, 0x3000, v2
	v_add_u32_e32 v31, 0x300, v28
	s_nop 0
	v_addc_co_u32_e32 v3, vcc, 0, v3, vcc
	flat_load_dwordx2 v[22:23], v[12:13]
	flat_load_dwordx2 v[54:55], v[12:13] offset:2048
	flat_load_dwordx2 v[66:67], v[2:3]
	flat_load_dwordx2 v[68:69], v[2:3] offset:2048
	v_add_u32_e32 v3, 0x100, v28
	v_or_b32_e32 v32, 0x400, v28
	v_add_u32_e32 v33, 0x500, v28
	v_add_u32_e32 v36, 0x600, v28
	;; [unrolled: 1-line block ×3, first 2 shown]
	v_add_lshl_u32 v2, v1, v30, 3
	v_mov_b32_e32 v1, v29
	v_lshrrev_b32_e32 v12, 5, v3
	v_lshrrev_b32_e32 v34, 5, v26
	;; [unrolled: 1-line block ×7, first 2 shown]
	v_mov_b32_e32 v3, v29
	v_mov_b32_e32 v13, v29
	;; [unrolled: 1-line block ×8, first 2 shown]
	v_lshl_add_u64 v[24:25], v[10:11], 0, v[0:1]
	v_add_lshl_u32 v12, v12, v28, 3
	v_add_lshl_u32 v26, v34, v26, 3
	;; [unrolled: 1-line block ×7, first 2 shown]
	v_lshl_add_u64 v[52:53], v[10:11], 0, v[2:3]
	v_lshl_add_u64 v[36:37], v[10:11], 0, v[12:13]
	;; [unrolled: 1-line block ×8, first 2 shown]
	v_cmp_lt_i64_e32 vcc, 0, v[6:7]
	s_waitcnt vmcnt(0) lgkmcnt(0)
	flat_store_dwordx2 v[24:25], v[14:15]
	flat_store_dwordx2 v[36:37], v[16:17] offset:2048
	flat_store_dwordx2 v[32:33], v[18:19]
	flat_store_dwordx2 v[26:27], v[20:21]
	;; [unrolled: 1-line block ×6, first 2 shown]
	s_waitcnt lgkmcnt(0)
	s_barrier
	flat_load_dwordx4 v[20:23], v[52:53]
	flat_load_dwordx4 v[16:19], v[52:53] offset:16
	flat_load_dwordx4 v[12:15], v[52:53] offset:32
	;; [unrolled: 1-line block ×3, first 2 shown]
	s_waitcnt lgkmcnt(0)
	s_barrier
	s_load_dwordx2 s[0:1], s[8:9], 0x0
	s_waitcnt lgkmcnt(0)
	s_cmp_lt_u32 s12, s0
	s_cselect_b32 s2, 12, 18
	s_cmp_lt_u32 s13, s1
	s_cselect_b32 s0, 14, 20
	s_add_u32 s0, s8, s0
	s_addc_u32 s1, s9, 0
	s_add_u32 s2, s8, s2
	s_addc_u32 s3, s9, 0
	global_load_ushort v31, v29, s[0:1]
	global_load_ushort v54, v29, s[2:3]
	s_movk_i32 s0, 0x800
	s_waitcnt vmcnt(0)
	v_mad_u32_u24 v31, v65, v31, v64
	v_mul_lo_u32 v31, v31, v54
	v_add_lshl_u32 v31, v31, v28, 3
	v_cmp_gt_u32_e64 s[0:1], s0, v31
	s_and_saveexec_b64 s[2:3], s[0:1]
	s_cbranch_execz .LBB1124_281
; %bb.6:
	s_and_saveexec_b64 s[4:5], vcc
	s_cbranch_execnz .LBB1124_31
; %bb.7:
	s_or_b64 exec, exec, s[4:5]
	s_and_saveexec_b64 s[4:5], vcc
	s_cbranch_execnz .LBB1124_40
.LBB1124_8:
	s_or_b64 exec, exec, s[4:5]
	s_and_saveexec_b64 s[4:5], vcc
	s_cbranch_execnz .LBB1124_49
.LBB1124_9:
	s_or_b64 exec, exec, s[4:5]
	s_and_saveexec_b64 s[4:5], vcc
	s_cbranch_execnz .LBB1124_58
.LBB1124_10:
	s_or_b64 exec, exec, s[4:5]
	s_and_saveexec_b64 s[0:1], vcc
	s_xor_b64 s[4:5], exec, s[0:1]
	s_cbranch_execnz .LBB1124_67
.LBB1124_11:
	s_or_b64 exec, exec, s[4:5]
	s_and_saveexec_b64 s[4:5], vcc
	s_cbranch_execnz .LBB1124_76
.LBB1124_12:
	s_or_b64 exec, exec, s[4:5]
	s_and_saveexec_b64 s[4:5], vcc
	s_cbranch_execnz .LBB1124_85
.LBB1124_13:
	s_or_b64 exec, exec, s[4:5]
	s_and_saveexec_b64 s[4:5], vcc
	s_cbranch_execnz .LBB1124_94
.LBB1124_14:
	s_or_b64 exec, exec, s[4:5]
	s_and_saveexec_b64 s[4:5], vcc
	s_cbranch_execnz .LBB1124_103
.LBB1124_15:
	s_or_b64 exec, exec, s[4:5]
	s_and_saveexec_b64 s[4:5], vcc
	s_cbranch_execnz .LBB1124_112
.LBB1124_16:
	s_or_b64 exec, exec, s[4:5]
	s_and_saveexec_b64 s[4:5], vcc
	s_cbranch_execnz .LBB1124_121
.LBB1124_17:
	s_or_b64 exec, exec, s[4:5]
	s_and_saveexec_b64 s[4:5], vcc
	s_cbranch_execnz .LBB1124_130
.LBB1124_18:
	s_or_b64 exec, exec, s[4:5]
	s_and_saveexec_b64 s[4:5], vcc
	s_cbranch_execnz .LBB1124_139
.LBB1124_19:
	s_or_b64 exec, exec, s[4:5]
	s_and_saveexec_b64 s[4:5], vcc
	s_cbranch_execnz .LBB1124_148
.LBB1124_20:
	s_or_b64 exec, exec, s[4:5]
	s_and_saveexec_b64 s[4:5], vcc
	s_cbranch_execnz .LBB1124_157
.LBB1124_21:
	s_or_b64 exec, exec, s[4:5]
	s_and_saveexec_b64 s[4:5], vcc
	s_cbranch_execnz .LBB1124_166
.LBB1124_22:
	s_or_b64 exec, exec, s[4:5]
	s_and_saveexec_b64 s[4:5], vcc
	s_cbranch_execnz .LBB1124_175
.LBB1124_23:
	s_or_b64 exec, exec, s[4:5]
	s_and_saveexec_b64 s[4:5], vcc
	s_cbranch_execnz .LBB1124_184
.LBB1124_24:
	s_or_b64 exec, exec, s[4:5]
	s_and_saveexec_b64 s[4:5], vcc
	s_cbranch_execnz .LBB1124_193
.LBB1124_25:
	s_or_b64 exec, exec, s[4:5]
	s_and_saveexec_b64 s[4:5], vcc
	s_cbranch_execnz .LBB1124_202
.LBB1124_26:
	s_or_b64 exec, exec, s[4:5]
	s_and_saveexec_b64 s[4:5], vcc
	s_cbranch_execnz .LBB1124_211
.LBB1124_27:
	s_or_b64 exec, exec, s[4:5]
	s_and_saveexec_b64 s[4:5], vcc
	s_cbranch_execnz .LBB1124_220
.LBB1124_28:
	s_or_b64 exec, exec, s[4:5]
	s_and_saveexec_b64 s[4:5], vcc
	s_cbranch_execnz .LBB1124_253
.LBB1124_29:
	s_or_b64 exec, exec, s[4:5]
	s_and_saveexec_b64 s[4:5], vcc
	s_cbranch_execnz .LBB1124_262
.LBB1124_30:
	s_or_b64 exec, exec, s[4:5]
	s_and_saveexec_b64 s[4:5], vcc
	s_cbranch_execnz .LBB1124_271
	s_branch .LBB1124_280
.LBB1124_31:
	v_mul_lo_u32 v64, v21, v6
	v_mul_lo_u32 v65, v20, v7
	v_mad_u64_u32 v[54:55], s[0:1], v20, v6, 0
	v_add3_u32 v55, v55, v65, v64
	v_mul_lo_u32 v66, v23, v6
	v_mul_lo_u32 v67, v22, v7
	v_mad_u64_u32 v[64:65], s[0:1], v22, v6, 0
	v_add3_u32 v65, v65, v67, v66
	v_lshl_add_u64 v[54:55], v[54:55], 1, v[8:9]
	v_lshl_add_u64 v[64:65], v[64:65], 1, v[8:9]
	s_mov_b64 s[14:15], 0
	v_mov_b64_e32 v[66:67], v[6:7]
                                        ; implicit-def: $sgpr6_sgpr7
                                        ; implicit-def: $sgpr16_sgpr17
                                        ; implicit-def: $sgpr18_sgpr19
                                        ; implicit-def: $sgpr20_sgpr21
                                        ; implicit-def: $sgpr22_sgpr23
	s_branch .LBB1124_33
.LBB1124_32:                            ;   in Loop: Header=BB1124_33 Depth=1
	s_or_b64 exec, exec, s[26:27]
	s_and_b64 s[0:1], exec, s[0:1]
	s_or_b64 s[14:15], s[0:1], s[14:15]
	s_andn2_b64 s[0:1], s[16:17], exec
	s_and_b64 s[16:17], s[18:19], exec
	s_or_b64 s[16:17], s[0:1], s[16:17]
	s_andn2_b64 s[0:1], s[6:7], exec
	s_and_b64 s[6:7], s[20:21], exec
	s_or_b64 s[6:7], s[0:1], s[6:7]
	s_andn2_b64 exec, exec, s[14:15]
	s_cbranch_execz .LBB1124_37
.LBB1124_33:                            ; =>This Inner Loop Header: Depth=1
	flat_load_ushort v68, v[64:65]
	flat_load_ushort v69, v[54:55]
	s_or_b64 s[20:21], s[20:21], exec
	s_mov_b64 s[24:25], 0
	s_waitcnt vmcnt(0) lgkmcnt(0)
	v_lshlrev_b32_e32 v68, 16, v68
	v_lshlrev_b32_e32 v69, 16, v69
	v_cmp_nlt_f32_e64 s[0:1], v68, v69
	s_and_saveexec_b64 s[26:27], s[0:1]
; %bb.34:                               ;   in Loop: Header=BB1124_33 Depth=1
	v_cmp_ngt_f32_e64 s[0:1], v68, v69
	s_and_b64 s[22:23], s[0:1], s[22:23]
	s_andn2_b64 s[20:21], s[20:21], exec
	s_and_b64 s[22:23], s[22:23], exec
	s_or_b64 s[20:21], s[20:21], s[22:23]
	s_and_b64 s[24:25], s[0:1], exec
; %bb.35:                               ;   in Loop: Header=BB1124_33 Depth=1
	s_or_b64 exec, exec, s[26:27]
	s_mov_b64 s[0:1], -1
	s_or_b64 s[18:19], s[18:19], exec
                                        ; implicit-def: $sgpr22_sgpr23
	s_and_saveexec_b64 s[26:27], s[24:25]
	s_cbranch_execz .LBB1124_32
; %bb.36:                               ;   in Loop: Header=BB1124_33 Depth=1
	v_lshl_add_u64 v[66:67], v[66:67], 0, -1
	v_cmp_eq_u64_e64 s[0:1], 0, v[66:67]
	v_lshl_add_u64 v[54:55], v[54:55], 0, 2
	v_lshl_add_u64 v[64:65], v[64:65], 0, 2
	s_and_b64 s[22:23], s[20:21], exec
	s_andn2_b64 s[18:19], s[18:19], exec
	s_orn2_b64 s[0:1], s[0:1], exec
	s_branch .LBB1124_32
.LBB1124_37:
	s_or_b64 exec, exec, s[14:15]
	s_and_saveexec_b64 s[0:1], s[16:17]
	s_xor_b64 s[0:1], exec, s[0:1]
; %bb.38:
	v_cndmask_b32_e64 v55, v23, v21, s[6:7]
	v_cndmask_b32_e64 v54, v22, v20, s[6:7]
	;; [unrolled: 1-line block ×4, first 2 shown]
	v_mov_b64_e32 v[22:23], v[54:55]
; %bb.39:
	s_or_b64 exec, exec, s[0:1]
	s_or_b64 exec, exec, s[4:5]
	s_and_saveexec_b64 s[4:5], vcc
	s_cbranch_execz .LBB1124_8
.LBB1124_40:
	v_mul_lo_u32 v64, v17, v6
	v_mul_lo_u32 v65, v16, v7
	v_mad_u64_u32 v[54:55], s[0:1], v16, v6, 0
	v_add3_u32 v55, v55, v65, v64
	v_mul_lo_u32 v66, v19, v6
	v_mul_lo_u32 v67, v18, v7
	v_mad_u64_u32 v[64:65], s[0:1], v18, v6, 0
	v_add3_u32 v65, v65, v67, v66
	v_lshl_add_u64 v[54:55], v[54:55], 1, v[8:9]
	v_lshl_add_u64 v[64:65], v[64:65], 1, v[8:9]
	s_mov_b64 s[14:15], 0
	v_mov_b64_e32 v[66:67], v[6:7]
                                        ; implicit-def: $sgpr6_sgpr7
                                        ; implicit-def: $sgpr16_sgpr17
                                        ; implicit-def: $sgpr18_sgpr19
                                        ; implicit-def: $sgpr20_sgpr21
                                        ; implicit-def: $sgpr22_sgpr23
	s_branch .LBB1124_42
.LBB1124_41:                            ;   in Loop: Header=BB1124_42 Depth=1
	s_or_b64 exec, exec, s[26:27]
	s_and_b64 s[0:1], exec, s[0:1]
	s_or_b64 s[14:15], s[0:1], s[14:15]
	s_andn2_b64 s[0:1], s[16:17], exec
	s_and_b64 s[16:17], s[18:19], exec
	s_or_b64 s[16:17], s[0:1], s[16:17]
	s_andn2_b64 s[0:1], s[6:7], exec
	s_and_b64 s[6:7], s[20:21], exec
	s_or_b64 s[6:7], s[0:1], s[6:7]
	s_andn2_b64 exec, exec, s[14:15]
	s_cbranch_execz .LBB1124_46
.LBB1124_42:                            ; =>This Inner Loop Header: Depth=1
	flat_load_ushort v68, v[64:65]
	flat_load_ushort v69, v[54:55]
	s_or_b64 s[20:21], s[20:21], exec
	s_mov_b64 s[24:25], 0
	s_waitcnt vmcnt(0) lgkmcnt(0)
	v_lshlrev_b32_e32 v68, 16, v68
	v_lshlrev_b32_e32 v69, 16, v69
	v_cmp_nlt_f32_e64 s[0:1], v68, v69
	s_and_saveexec_b64 s[26:27], s[0:1]
; %bb.43:                               ;   in Loop: Header=BB1124_42 Depth=1
	v_cmp_ngt_f32_e64 s[0:1], v68, v69
	s_and_b64 s[22:23], s[0:1], s[22:23]
	s_andn2_b64 s[20:21], s[20:21], exec
	s_and_b64 s[22:23], s[22:23], exec
	s_or_b64 s[20:21], s[20:21], s[22:23]
	s_and_b64 s[24:25], s[0:1], exec
; %bb.44:                               ;   in Loop: Header=BB1124_42 Depth=1
	s_or_b64 exec, exec, s[26:27]
	s_mov_b64 s[0:1], -1
	s_or_b64 s[18:19], s[18:19], exec
                                        ; implicit-def: $sgpr22_sgpr23
	s_and_saveexec_b64 s[26:27], s[24:25]
	s_cbranch_execz .LBB1124_41
; %bb.45:                               ;   in Loop: Header=BB1124_42 Depth=1
	v_lshl_add_u64 v[66:67], v[66:67], 0, -1
	v_cmp_eq_u64_e64 s[0:1], 0, v[66:67]
	v_lshl_add_u64 v[54:55], v[54:55], 0, 2
	v_lshl_add_u64 v[64:65], v[64:65], 0, 2
	s_and_b64 s[22:23], s[20:21], exec
	s_andn2_b64 s[18:19], s[18:19], exec
	s_orn2_b64 s[0:1], s[0:1], exec
	s_branch .LBB1124_41
.LBB1124_46:
	s_or_b64 exec, exec, s[14:15]
	s_and_saveexec_b64 s[0:1], s[16:17]
	s_xor_b64 s[0:1], exec, s[0:1]
; %bb.47:
	v_cndmask_b32_e64 v55, v17, v19, s[6:7]
	v_cndmask_b32_e64 v54, v16, v18, s[6:7]
	;; [unrolled: 1-line block ×4, first 2 shown]
	v_mov_b64_e32 v[16:17], v[54:55]
; %bb.48:
	s_or_b64 exec, exec, s[0:1]
	s_or_b64 exec, exec, s[4:5]
	s_and_saveexec_b64 s[4:5], vcc
	s_cbranch_execz .LBB1124_9
.LBB1124_49:
	v_mul_lo_u32 v64, v13, v6
	v_mul_lo_u32 v65, v12, v7
	v_mad_u64_u32 v[54:55], s[0:1], v12, v6, 0
	v_add3_u32 v55, v55, v65, v64
	v_mul_lo_u32 v66, v15, v6
	v_mul_lo_u32 v67, v14, v7
	v_mad_u64_u32 v[64:65], s[0:1], v14, v6, 0
	v_add3_u32 v65, v65, v67, v66
	v_lshl_add_u64 v[54:55], v[54:55], 1, v[8:9]
	v_lshl_add_u64 v[64:65], v[64:65], 1, v[8:9]
	s_mov_b64 s[14:15], 0
	v_mov_b64_e32 v[66:67], v[6:7]
                                        ; implicit-def: $sgpr6_sgpr7
                                        ; implicit-def: $sgpr16_sgpr17
                                        ; implicit-def: $sgpr18_sgpr19
                                        ; implicit-def: $sgpr20_sgpr21
                                        ; implicit-def: $sgpr22_sgpr23
	s_branch .LBB1124_51
.LBB1124_50:                            ;   in Loop: Header=BB1124_51 Depth=1
	s_or_b64 exec, exec, s[26:27]
	s_and_b64 s[0:1], exec, s[0:1]
	s_or_b64 s[14:15], s[0:1], s[14:15]
	s_andn2_b64 s[0:1], s[16:17], exec
	s_and_b64 s[16:17], s[18:19], exec
	s_or_b64 s[16:17], s[0:1], s[16:17]
	s_andn2_b64 s[0:1], s[6:7], exec
	s_and_b64 s[6:7], s[20:21], exec
	s_or_b64 s[6:7], s[0:1], s[6:7]
	s_andn2_b64 exec, exec, s[14:15]
	s_cbranch_execz .LBB1124_55
.LBB1124_51:                            ; =>This Inner Loop Header: Depth=1
	flat_load_ushort v68, v[64:65]
	flat_load_ushort v69, v[54:55]
	s_or_b64 s[20:21], s[20:21], exec
	s_mov_b64 s[24:25], 0
	s_waitcnt vmcnt(0) lgkmcnt(0)
	v_lshlrev_b32_e32 v68, 16, v68
	v_lshlrev_b32_e32 v69, 16, v69
	v_cmp_nlt_f32_e64 s[0:1], v68, v69
	s_and_saveexec_b64 s[26:27], s[0:1]
; %bb.52:                               ;   in Loop: Header=BB1124_51 Depth=1
	v_cmp_ngt_f32_e64 s[0:1], v68, v69
	s_and_b64 s[22:23], s[0:1], s[22:23]
	s_andn2_b64 s[20:21], s[20:21], exec
	s_and_b64 s[22:23], s[22:23], exec
	s_or_b64 s[20:21], s[20:21], s[22:23]
	s_and_b64 s[24:25], s[0:1], exec
; %bb.53:                               ;   in Loop: Header=BB1124_51 Depth=1
	s_or_b64 exec, exec, s[26:27]
	s_mov_b64 s[0:1], -1
	s_or_b64 s[18:19], s[18:19], exec
                                        ; implicit-def: $sgpr22_sgpr23
	s_and_saveexec_b64 s[26:27], s[24:25]
	s_cbranch_execz .LBB1124_50
; %bb.54:                               ;   in Loop: Header=BB1124_51 Depth=1
	v_lshl_add_u64 v[66:67], v[66:67], 0, -1
	v_cmp_eq_u64_e64 s[0:1], 0, v[66:67]
	v_lshl_add_u64 v[54:55], v[54:55], 0, 2
	v_lshl_add_u64 v[64:65], v[64:65], 0, 2
	s_and_b64 s[22:23], s[20:21], exec
	s_andn2_b64 s[18:19], s[18:19], exec
	s_orn2_b64 s[0:1], s[0:1], exec
	s_branch .LBB1124_50
.LBB1124_55:
	s_or_b64 exec, exec, s[14:15]
	s_and_saveexec_b64 s[0:1], s[16:17]
	s_xor_b64 s[0:1], exec, s[0:1]
; %bb.56:
	v_cndmask_b32_e64 v55, v13, v15, s[6:7]
	v_cndmask_b32_e64 v54, v12, v14, s[6:7]
	;; [unrolled: 1-line block ×4, first 2 shown]
	v_mov_b64_e32 v[12:13], v[54:55]
; %bb.57:
	s_or_b64 exec, exec, s[0:1]
	s_or_b64 exec, exec, s[4:5]
	s_and_saveexec_b64 s[4:5], vcc
	s_cbranch_execz .LBB1124_10
.LBB1124_58:
	v_mul_lo_u32 v64, v1, v6
	v_mul_lo_u32 v65, v0, v7
	v_mad_u64_u32 v[54:55], s[0:1], v0, v6, 0
	v_add3_u32 v55, v55, v65, v64
	v_mul_lo_u32 v66, v3, v6
	v_mul_lo_u32 v67, v2, v7
	v_mad_u64_u32 v[64:65], s[0:1], v2, v6, 0
	v_add3_u32 v65, v65, v67, v66
	v_lshl_add_u64 v[54:55], v[54:55], 1, v[8:9]
	v_lshl_add_u64 v[64:65], v[64:65], 1, v[8:9]
	s_mov_b64 s[14:15], 0
	v_mov_b64_e32 v[66:67], v[6:7]
                                        ; implicit-def: $sgpr6_sgpr7
                                        ; implicit-def: $sgpr16_sgpr17
                                        ; implicit-def: $sgpr18_sgpr19
                                        ; implicit-def: $sgpr20_sgpr21
                                        ; implicit-def: $sgpr22_sgpr23
	s_branch .LBB1124_60
.LBB1124_59:                            ;   in Loop: Header=BB1124_60 Depth=1
	s_or_b64 exec, exec, s[26:27]
	s_and_b64 s[0:1], exec, s[0:1]
	s_or_b64 s[14:15], s[0:1], s[14:15]
	s_andn2_b64 s[0:1], s[16:17], exec
	s_and_b64 s[16:17], s[18:19], exec
	s_or_b64 s[16:17], s[0:1], s[16:17]
	s_andn2_b64 s[0:1], s[6:7], exec
	s_and_b64 s[6:7], s[20:21], exec
	s_or_b64 s[6:7], s[0:1], s[6:7]
	s_andn2_b64 exec, exec, s[14:15]
	s_cbranch_execz .LBB1124_64
.LBB1124_60:                            ; =>This Inner Loop Header: Depth=1
	flat_load_ushort v68, v[64:65]
	flat_load_ushort v69, v[54:55]
	s_or_b64 s[20:21], s[20:21], exec
	s_mov_b64 s[24:25], 0
	s_waitcnt vmcnt(0) lgkmcnt(0)
	v_lshlrev_b32_e32 v68, 16, v68
	v_lshlrev_b32_e32 v69, 16, v69
	v_cmp_nlt_f32_e64 s[0:1], v68, v69
	s_and_saveexec_b64 s[26:27], s[0:1]
; %bb.61:                               ;   in Loop: Header=BB1124_60 Depth=1
	v_cmp_ngt_f32_e64 s[0:1], v68, v69
	s_and_b64 s[22:23], s[0:1], s[22:23]
	s_andn2_b64 s[20:21], s[20:21], exec
	s_and_b64 s[22:23], s[22:23], exec
	s_or_b64 s[20:21], s[20:21], s[22:23]
	s_and_b64 s[24:25], s[0:1], exec
; %bb.62:                               ;   in Loop: Header=BB1124_60 Depth=1
	s_or_b64 exec, exec, s[26:27]
	s_mov_b64 s[0:1], -1
	s_or_b64 s[18:19], s[18:19], exec
                                        ; implicit-def: $sgpr22_sgpr23
	s_and_saveexec_b64 s[26:27], s[24:25]
	s_cbranch_execz .LBB1124_59
; %bb.63:                               ;   in Loop: Header=BB1124_60 Depth=1
	v_lshl_add_u64 v[66:67], v[66:67], 0, -1
	v_cmp_eq_u64_e64 s[0:1], 0, v[66:67]
	v_lshl_add_u64 v[54:55], v[54:55], 0, 2
	v_lshl_add_u64 v[64:65], v[64:65], 0, 2
	s_and_b64 s[22:23], s[20:21], exec
	s_andn2_b64 s[18:19], s[18:19], exec
	s_orn2_b64 s[0:1], s[0:1], exec
	s_branch .LBB1124_59
.LBB1124_64:
	s_or_b64 exec, exec, s[14:15]
	s_and_saveexec_b64 s[0:1], s[16:17]
	s_xor_b64 s[0:1], exec, s[0:1]
; %bb.65:
	v_cndmask_b32_e64 v55, v1, v3, s[6:7]
	v_cndmask_b32_e64 v54, v0, v2, s[6:7]
	;; [unrolled: 1-line block ×4, first 2 shown]
	v_mov_b64_e32 v[0:1], v[54:55]
; %bb.66:
	s_or_b64 exec, exec, s[0:1]
	s_or_b64 exec, exec, s[4:5]
	s_and_saveexec_b64 s[0:1], vcc
	s_xor_b64 s[4:5], exec, s[0:1]
	s_cbranch_execz .LBB1124_11
.LBB1124_67:
	v_mul_lo_u32 v64, v23, v6
	v_mul_lo_u32 v65, v22, v7
	v_mad_u64_u32 v[54:55], s[0:1], v22, v6, 0
	v_add3_u32 v55, v55, v65, v64
	v_mul_lo_u32 v66, v17, v6
	v_mul_lo_u32 v67, v16, v7
	v_mad_u64_u32 v[64:65], s[0:1], v16, v6, 0
	v_add3_u32 v65, v65, v67, v66
	v_lshl_add_u64 v[54:55], v[54:55], 1, v[8:9]
	v_lshl_add_u64 v[64:65], v[64:65], 1, v[8:9]
	s_mov_b64 s[14:15], 0
	v_mov_b64_e32 v[66:67], v[6:7]
                                        ; implicit-def: $sgpr6_sgpr7
                                        ; implicit-def: $sgpr16_sgpr17
                                        ; implicit-def: $sgpr18_sgpr19
                                        ; implicit-def: $sgpr20_sgpr21
                                        ; implicit-def: $sgpr22_sgpr23
	s_branch .LBB1124_69
.LBB1124_68:                            ;   in Loop: Header=BB1124_69 Depth=1
	s_or_b64 exec, exec, s[26:27]
	s_and_b64 s[0:1], exec, s[0:1]
	s_or_b64 s[14:15], s[0:1], s[14:15]
	s_andn2_b64 s[0:1], s[16:17], exec
	s_and_b64 s[16:17], s[18:19], exec
	s_or_b64 s[16:17], s[0:1], s[16:17]
	s_andn2_b64 s[0:1], s[6:7], exec
	s_and_b64 s[6:7], s[20:21], exec
	s_or_b64 s[6:7], s[0:1], s[6:7]
	s_andn2_b64 exec, exec, s[14:15]
	s_cbranch_execz .LBB1124_73
.LBB1124_69:                            ; =>This Inner Loop Header: Depth=1
	flat_load_ushort v68, v[64:65]
	flat_load_ushort v69, v[54:55]
	s_or_b64 s[20:21], s[20:21], exec
	s_mov_b64 s[24:25], 0
	s_waitcnt vmcnt(0) lgkmcnt(0)
	v_lshlrev_b32_e32 v68, 16, v68
	v_lshlrev_b32_e32 v69, 16, v69
	v_cmp_nlt_f32_e64 s[0:1], v68, v69
	s_and_saveexec_b64 s[26:27], s[0:1]
; %bb.70:                               ;   in Loop: Header=BB1124_69 Depth=1
	v_cmp_ngt_f32_e64 s[0:1], v68, v69
	s_and_b64 s[22:23], s[0:1], s[22:23]
	s_andn2_b64 s[20:21], s[20:21], exec
	s_and_b64 s[22:23], s[22:23], exec
	s_or_b64 s[20:21], s[20:21], s[22:23]
	s_and_b64 s[24:25], s[0:1], exec
; %bb.71:                               ;   in Loop: Header=BB1124_69 Depth=1
	s_or_b64 exec, exec, s[26:27]
	s_mov_b64 s[0:1], -1
	s_or_b64 s[18:19], s[18:19], exec
                                        ; implicit-def: $sgpr22_sgpr23
	s_and_saveexec_b64 s[26:27], s[24:25]
	s_cbranch_execz .LBB1124_68
; %bb.72:                               ;   in Loop: Header=BB1124_69 Depth=1
	v_lshl_add_u64 v[66:67], v[66:67], 0, -1
	v_cmp_eq_u64_e64 s[0:1], 0, v[66:67]
	v_lshl_add_u64 v[54:55], v[54:55], 0, 2
	v_lshl_add_u64 v[64:65], v[64:65], 0, 2
	s_and_b64 s[22:23], s[20:21], exec
	s_andn2_b64 s[18:19], s[18:19], exec
	s_orn2_b64 s[0:1], s[0:1], exec
	s_branch .LBB1124_68
.LBB1124_73:
	s_or_b64 exec, exec, s[14:15]
	s_and_saveexec_b64 s[0:1], s[16:17]
	s_xor_b64 s[0:1], exec, s[0:1]
; %bb.74:
	v_cndmask_b32_e64 v55, v23, v17, s[6:7]
	v_cndmask_b32_e64 v54, v22, v16, s[6:7]
	;; [unrolled: 1-line block ×4, first 2 shown]
	v_mov_b64_e32 v[22:23], v[54:55]
; %bb.75:
	s_or_b64 exec, exec, s[0:1]
	s_or_b64 exec, exec, s[4:5]
	s_and_saveexec_b64 s[4:5], vcc
	s_cbranch_execz .LBB1124_12
.LBB1124_76:
	v_mul_lo_u32 v64, v19, v6
	v_mul_lo_u32 v65, v18, v7
	v_mad_u64_u32 v[54:55], s[0:1], v18, v6, 0
	v_add3_u32 v55, v55, v65, v64
	v_mul_lo_u32 v66, v13, v6
	v_mul_lo_u32 v67, v12, v7
	v_mad_u64_u32 v[64:65], s[0:1], v12, v6, 0
	v_add3_u32 v65, v65, v67, v66
	v_lshl_add_u64 v[54:55], v[54:55], 1, v[8:9]
	v_lshl_add_u64 v[64:65], v[64:65], 1, v[8:9]
	s_mov_b64 s[14:15], 0
	v_mov_b64_e32 v[66:67], v[6:7]
                                        ; implicit-def: $sgpr6_sgpr7
                                        ; implicit-def: $sgpr16_sgpr17
                                        ; implicit-def: $sgpr18_sgpr19
                                        ; implicit-def: $sgpr20_sgpr21
                                        ; implicit-def: $sgpr22_sgpr23
	s_branch .LBB1124_78
.LBB1124_77:                            ;   in Loop: Header=BB1124_78 Depth=1
	s_or_b64 exec, exec, s[26:27]
	s_and_b64 s[0:1], exec, s[0:1]
	s_or_b64 s[14:15], s[0:1], s[14:15]
	s_andn2_b64 s[0:1], s[16:17], exec
	s_and_b64 s[16:17], s[18:19], exec
	s_or_b64 s[16:17], s[0:1], s[16:17]
	s_andn2_b64 s[0:1], s[6:7], exec
	s_and_b64 s[6:7], s[20:21], exec
	s_or_b64 s[6:7], s[0:1], s[6:7]
	s_andn2_b64 exec, exec, s[14:15]
	s_cbranch_execz .LBB1124_82
.LBB1124_78:                            ; =>This Inner Loop Header: Depth=1
	flat_load_ushort v68, v[64:65]
	flat_load_ushort v69, v[54:55]
	s_or_b64 s[20:21], s[20:21], exec
	s_mov_b64 s[24:25], 0
	s_waitcnt vmcnt(0) lgkmcnt(0)
	v_lshlrev_b32_e32 v68, 16, v68
	v_lshlrev_b32_e32 v69, 16, v69
	v_cmp_nlt_f32_e64 s[0:1], v68, v69
	s_and_saveexec_b64 s[26:27], s[0:1]
; %bb.79:                               ;   in Loop: Header=BB1124_78 Depth=1
	v_cmp_ngt_f32_e64 s[0:1], v68, v69
	s_and_b64 s[22:23], s[0:1], s[22:23]
	s_andn2_b64 s[20:21], s[20:21], exec
	s_and_b64 s[22:23], s[22:23], exec
	s_or_b64 s[20:21], s[20:21], s[22:23]
	s_and_b64 s[24:25], s[0:1], exec
; %bb.80:                               ;   in Loop: Header=BB1124_78 Depth=1
	s_or_b64 exec, exec, s[26:27]
	s_mov_b64 s[0:1], -1
	s_or_b64 s[18:19], s[18:19], exec
                                        ; implicit-def: $sgpr22_sgpr23
	s_and_saveexec_b64 s[26:27], s[24:25]
	s_cbranch_execz .LBB1124_77
; %bb.81:                               ;   in Loop: Header=BB1124_78 Depth=1
	v_lshl_add_u64 v[66:67], v[66:67], 0, -1
	v_cmp_eq_u64_e64 s[0:1], 0, v[66:67]
	v_lshl_add_u64 v[54:55], v[54:55], 0, 2
	v_lshl_add_u64 v[64:65], v[64:65], 0, 2
	s_and_b64 s[22:23], s[20:21], exec
	s_andn2_b64 s[18:19], s[18:19], exec
	s_orn2_b64 s[0:1], s[0:1], exec
	s_branch .LBB1124_77
.LBB1124_82:
	s_or_b64 exec, exec, s[14:15]
	s_and_saveexec_b64 s[0:1], s[16:17]
	s_xor_b64 s[0:1], exec, s[0:1]
; %bb.83:
	v_cndmask_b32_e64 v55, v19, v13, s[6:7]
	v_cndmask_b32_e64 v54, v18, v12, s[6:7]
	;; [unrolled: 1-line block ×4, first 2 shown]
	v_mov_b64_e32 v[18:19], v[54:55]
; %bb.84:
	s_or_b64 exec, exec, s[0:1]
	s_or_b64 exec, exec, s[4:5]
	s_and_saveexec_b64 s[4:5], vcc
	s_cbranch_execz .LBB1124_13
.LBB1124_85:
	v_mul_lo_u32 v64, v15, v6
	v_mul_lo_u32 v65, v14, v7
	v_mad_u64_u32 v[54:55], s[0:1], v14, v6, 0
	v_add3_u32 v55, v55, v65, v64
	v_mul_lo_u32 v66, v1, v6
	v_mul_lo_u32 v67, v0, v7
	v_mad_u64_u32 v[64:65], s[0:1], v0, v6, 0
	v_add3_u32 v65, v65, v67, v66
	v_lshl_add_u64 v[54:55], v[54:55], 1, v[8:9]
	v_lshl_add_u64 v[64:65], v[64:65], 1, v[8:9]
	s_mov_b64 s[14:15], 0
	v_mov_b64_e32 v[66:67], v[6:7]
                                        ; implicit-def: $sgpr6_sgpr7
                                        ; implicit-def: $sgpr16_sgpr17
                                        ; implicit-def: $sgpr18_sgpr19
                                        ; implicit-def: $sgpr20_sgpr21
                                        ; implicit-def: $sgpr22_sgpr23
	s_branch .LBB1124_87
.LBB1124_86:                            ;   in Loop: Header=BB1124_87 Depth=1
	s_or_b64 exec, exec, s[26:27]
	s_and_b64 s[0:1], exec, s[0:1]
	s_or_b64 s[14:15], s[0:1], s[14:15]
	s_andn2_b64 s[0:1], s[16:17], exec
	s_and_b64 s[16:17], s[18:19], exec
	s_or_b64 s[16:17], s[0:1], s[16:17]
	s_andn2_b64 s[0:1], s[6:7], exec
	s_and_b64 s[6:7], s[20:21], exec
	s_or_b64 s[6:7], s[0:1], s[6:7]
	s_andn2_b64 exec, exec, s[14:15]
	s_cbranch_execz .LBB1124_91
.LBB1124_87:                            ; =>This Inner Loop Header: Depth=1
	flat_load_ushort v68, v[64:65]
	flat_load_ushort v69, v[54:55]
	s_or_b64 s[20:21], s[20:21], exec
	s_mov_b64 s[24:25], 0
	s_waitcnt vmcnt(0) lgkmcnt(0)
	v_lshlrev_b32_e32 v68, 16, v68
	v_lshlrev_b32_e32 v69, 16, v69
	v_cmp_nlt_f32_e64 s[0:1], v68, v69
	s_and_saveexec_b64 s[26:27], s[0:1]
; %bb.88:                               ;   in Loop: Header=BB1124_87 Depth=1
	v_cmp_ngt_f32_e64 s[0:1], v68, v69
	s_and_b64 s[22:23], s[0:1], s[22:23]
	s_andn2_b64 s[20:21], s[20:21], exec
	s_and_b64 s[22:23], s[22:23], exec
	s_or_b64 s[20:21], s[20:21], s[22:23]
	s_and_b64 s[24:25], s[0:1], exec
; %bb.89:                               ;   in Loop: Header=BB1124_87 Depth=1
	s_or_b64 exec, exec, s[26:27]
	s_mov_b64 s[0:1], -1
	s_or_b64 s[18:19], s[18:19], exec
                                        ; implicit-def: $sgpr22_sgpr23
	s_and_saveexec_b64 s[26:27], s[24:25]
	s_cbranch_execz .LBB1124_86
; %bb.90:                               ;   in Loop: Header=BB1124_87 Depth=1
	v_lshl_add_u64 v[66:67], v[66:67], 0, -1
	v_cmp_eq_u64_e64 s[0:1], 0, v[66:67]
	v_lshl_add_u64 v[54:55], v[54:55], 0, 2
	v_lshl_add_u64 v[64:65], v[64:65], 0, 2
	s_and_b64 s[22:23], s[20:21], exec
	s_andn2_b64 s[18:19], s[18:19], exec
	s_orn2_b64 s[0:1], s[0:1], exec
	s_branch .LBB1124_86
.LBB1124_91:
	s_or_b64 exec, exec, s[14:15]
	s_and_saveexec_b64 s[0:1], s[16:17]
	s_xor_b64 s[0:1], exec, s[0:1]
; %bb.92:
	v_cndmask_b32_e64 v55, v15, v1, s[6:7]
	v_cndmask_b32_e64 v54, v14, v0, s[6:7]
	v_cndmask_b32_e64 v1, v1, v15, s[6:7]
	v_cndmask_b32_e64 v0, v0, v14, s[6:7]
	v_mov_b64_e32 v[14:15], v[54:55]
; %bb.93:
	s_or_b64 exec, exec, s[0:1]
	s_or_b64 exec, exec, s[4:5]
	s_and_saveexec_b64 s[4:5], vcc
	s_cbranch_execz .LBB1124_14
.LBB1124_94:
	v_mul_lo_u32 v64, v21, v6
	v_mul_lo_u32 v65, v20, v7
	v_mad_u64_u32 v[54:55], s[0:1], v20, v6, 0
	v_add3_u32 v55, v55, v65, v64
	v_mul_lo_u32 v66, v23, v6
	v_mul_lo_u32 v67, v22, v7
	v_mad_u64_u32 v[64:65], s[0:1], v22, v6, 0
	v_add3_u32 v65, v65, v67, v66
	v_lshl_add_u64 v[54:55], v[54:55], 1, v[8:9]
	v_lshl_add_u64 v[64:65], v[64:65], 1, v[8:9]
	s_mov_b64 s[14:15], 0
	v_mov_b64_e32 v[66:67], v[6:7]
                                        ; implicit-def: $sgpr6_sgpr7
                                        ; implicit-def: $sgpr16_sgpr17
                                        ; implicit-def: $sgpr18_sgpr19
                                        ; implicit-def: $sgpr20_sgpr21
                                        ; implicit-def: $sgpr22_sgpr23
	s_branch .LBB1124_96
.LBB1124_95:                            ;   in Loop: Header=BB1124_96 Depth=1
	s_or_b64 exec, exec, s[26:27]
	s_and_b64 s[0:1], exec, s[0:1]
	s_or_b64 s[14:15], s[0:1], s[14:15]
	s_andn2_b64 s[0:1], s[16:17], exec
	s_and_b64 s[16:17], s[18:19], exec
	s_or_b64 s[16:17], s[0:1], s[16:17]
	s_andn2_b64 s[0:1], s[6:7], exec
	s_and_b64 s[6:7], s[20:21], exec
	s_or_b64 s[6:7], s[0:1], s[6:7]
	s_andn2_b64 exec, exec, s[14:15]
	s_cbranch_execz .LBB1124_100
.LBB1124_96:                            ; =>This Inner Loop Header: Depth=1
	flat_load_ushort v68, v[64:65]
	flat_load_ushort v69, v[54:55]
	s_or_b64 s[20:21], s[20:21], exec
	s_mov_b64 s[24:25], 0
	s_waitcnt vmcnt(0) lgkmcnt(0)
	v_lshlrev_b32_e32 v68, 16, v68
	v_lshlrev_b32_e32 v69, 16, v69
	v_cmp_nlt_f32_e64 s[0:1], v68, v69
	s_and_saveexec_b64 s[26:27], s[0:1]
; %bb.97:                               ;   in Loop: Header=BB1124_96 Depth=1
	v_cmp_ngt_f32_e64 s[0:1], v68, v69
	s_and_b64 s[22:23], s[0:1], s[22:23]
	s_andn2_b64 s[20:21], s[20:21], exec
	s_and_b64 s[22:23], s[22:23], exec
	s_or_b64 s[20:21], s[20:21], s[22:23]
	s_and_b64 s[24:25], s[0:1], exec
; %bb.98:                               ;   in Loop: Header=BB1124_96 Depth=1
	s_or_b64 exec, exec, s[26:27]
	s_mov_b64 s[0:1], -1
	s_or_b64 s[18:19], s[18:19], exec
                                        ; implicit-def: $sgpr22_sgpr23
	s_and_saveexec_b64 s[26:27], s[24:25]
	s_cbranch_execz .LBB1124_95
; %bb.99:                               ;   in Loop: Header=BB1124_96 Depth=1
	v_lshl_add_u64 v[66:67], v[66:67], 0, -1
	v_cmp_eq_u64_e64 s[0:1], 0, v[66:67]
	v_lshl_add_u64 v[54:55], v[54:55], 0, 2
	v_lshl_add_u64 v[64:65], v[64:65], 0, 2
	s_and_b64 s[22:23], s[20:21], exec
	s_andn2_b64 s[18:19], s[18:19], exec
	s_orn2_b64 s[0:1], s[0:1], exec
	s_branch .LBB1124_95
.LBB1124_100:
	s_or_b64 exec, exec, s[14:15]
	s_and_saveexec_b64 s[0:1], s[16:17]
	s_xor_b64 s[0:1], exec, s[0:1]
; %bb.101:
	v_cndmask_b32_e64 v55, v23, v21, s[6:7]
	v_cndmask_b32_e64 v54, v22, v20, s[6:7]
	;; [unrolled: 1-line block ×4, first 2 shown]
	v_mov_b64_e32 v[22:23], v[54:55]
; %bb.102:
	s_or_b64 exec, exec, s[0:1]
	s_or_b64 exec, exec, s[4:5]
	s_and_saveexec_b64 s[4:5], vcc
	s_cbranch_execz .LBB1124_15
.LBB1124_103:
	v_mul_lo_u32 v64, v17, v6
	v_mul_lo_u32 v65, v16, v7
	v_mad_u64_u32 v[54:55], s[0:1], v16, v6, 0
	v_add3_u32 v55, v55, v65, v64
	v_mul_lo_u32 v66, v19, v6
	v_mul_lo_u32 v67, v18, v7
	v_mad_u64_u32 v[64:65], s[0:1], v18, v6, 0
	v_add3_u32 v65, v65, v67, v66
	v_lshl_add_u64 v[54:55], v[54:55], 1, v[8:9]
	v_lshl_add_u64 v[64:65], v[64:65], 1, v[8:9]
	s_mov_b64 s[14:15], 0
	v_mov_b64_e32 v[66:67], v[6:7]
                                        ; implicit-def: $sgpr6_sgpr7
                                        ; implicit-def: $sgpr16_sgpr17
                                        ; implicit-def: $sgpr18_sgpr19
                                        ; implicit-def: $sgpr20_sgpr21
                                        ; implicit-def: $sgpr22_sgpr23
	s_branch .LBB1124_105
.LBB1124_104:                           ;   in Loop: Header=BB1124_105 Depth=1
	s_or_b64 exec, exec, s[26:27]
	s_and_b64 s[0:1], exec, s[0:1]
	s_or_b64 s[14:15], s[0:1], s[14:15]
	s_andn2_b64 s[0:1], s[16:17], exec
	s_and_b64 s[16:17], s[18:19], exec
	s_or_b64 s[16:17], s[0:1], s[16:17]
	s_andn2_b64 s[0:1], s[6:7], exec
	s_and_b64 s[6:7], s[20:21], exec
	s_or_b64 s[6:7], s[0:1], s[6:7]
	s_andn2_b64 exec, exec, s[14:15]
	s_cbranch_execz .LBB1124_109
.LBB1124_105:                           ; =>This Inner Loop Header: Depth=1
	flat_load_ushort v68, v[64:65]
	flat_load_ushort v69, v[54:55]
	s_or_b64 s[20:21], s[20:21], exec
	s_mov_b64 s[24:25], 0
	s_waitcnt vmcnt(0) lgkmcnt(0)
	v_lshlrev_b32_e32 v68, 16, v68
	v_lshlrev_b32_e32 v69, 16, v69
	v_cmp_nlt_f32_e64 s[0:1], v68, v69
	s_and_saveexec_b64 s[26:27], s[0:1]
; %bb.106:                              ;   in Loop: Header=BB1124_105 Depth=1
	v_cmp_ngt_f32_e64 s[0:1], v68, v69
	s_and_b64 s[22:23], s[0:1], s[22:23]
	s_andn2_b64 s[20:21], s[20:21], exec
	s_and_b64 s[22:23], s[22:23], exec
	s_or_b64 s[20:21], s[20:21], s[22:23]
	s_and_b64 s[24:25], s[0:1], exec
; %bb.107:                              ;   in Loop: Header=BB1124_105 Depth=1
	s_or_b64 exec, exec, s[26:27]
	s_mov_b64 s[0:1], -1
	s_or_b64 s[18:19], s[18:19], exec
                                        ; implicit-def: $sgpr22_sgpr23
	s_and_saveexec_b64 s[26:27], s[24:25]
	s_cbranch_execz .LBB1124_104
; %bb.108:                              ;   in Loop: Header=BB1124_105 Depth=1
	v_lshl_add_u64 v[66:67], v[66:67], 0, -1
	v_cmp_eq_u64_e64 s[0:1], 0, v[66:67]
	v_lshl_add_u64 v[54:55], v[54:55], 0, 2
	v_lshl_add_u64 v[64:65], v[64:65], 0, 2
	s_and_b64 s[22:23], s[20:21], exec
	s_andn2_b64 s[18:19], s[18:19], exec
	s_orn2_b64 s[0:1], s[0:1], exec
	s_branch .LBB1124_104
.LBB1124_109:
	s_or_b64 exec, exec, s[14:15]
	s_and_saveexec_b64 s[0:1], s[16:17]
	s_xor_b64 s[0:1], exec, s[0:1]
; %bb.110:
	v_cndmask_b32_e64 v55, v17, v19, s[6:7]
	v_cndmask_b32_e64 v54, v16, v18, s[6:7]
	;; [unrolled: 1-line block ×4, first 2 shown]
	v_mov_b64_e32 v[16:17], v[54:55]
; %bb.111:
	s_or_b64 exec, exec, s[0:1]
	s_or_b64 exec, exec, s[4:5]
	s_and_saveexec_b64 s[4:5], vcc
	s_cbranch_execz .LBB1124_16
.LBB1124_112:
	v_mul_lo_u32 v64, v13, v6
	v_mul_lo_u32 v65, v12, v7
	v_mad_u64_u32 v[54:55], s[0:1], v12, v6, 0
	v_add3_u32 v55, v55, v65, v64
	v_mul_lo_u32 v66, v15, v6
	v_mul_lo_u32 v67, v14, v7
	v_mad_u64_u32 v[64:65], s[0:1], v14, v6, 0
	v_add3_u32 v65, v65, v67, v66
	v_lshl_add_u64 v[54:55], v[54:55], 1, v[8:9]
	v_lshl_add_u64 v[64:65], v[64:65], 1, v[8:9]
	s_mov_b64 s[14:15], 0
	v_mov_b64_e32 v[66:67], v[6:7]
                                        ; implicit-def: $sgpr6_sgpr7
                                        ; implicit-def: $sgpr16_sgpr17
                                        ; implicit-def: $sgpr18_sgpr19
                                        ; implicit-def: $sgpr20_sgpr21
                                        ; implicit-def: $sgpr22_sgpr23
	s_branch .LBB1124_114
.LBB1124_113:                           ;   in Loop: Header=BB1124_114 Depth=1
	s_or_b64 exec, exec, s[26:27]
	s_and_b64 s[0:1], exec, s[0:1]
	s_or_b64 s[14:15], s[0:1], s[14:15]
	s_andn2_b64 s[0:1], s[16:17], exec
	s_and_b64 s[16:17], s[18:19], exec
	s_or_b64 s[16:17], s[0:1], s[16:17]
	s_andn2_b64 s[0:1], s[6:7], exec
	s_and_b64 s[6:7], s[20:21], exec
	s_or_b64 s[6:7], s[0:1], s[6:7]
	s_andn2_b64 exec, exec, s[14:15]
	s_cbranch_execz .LBB1124_118
.LBB1124_114:                           ; =>This Inner Loop Header: Depth=1
	flat_load_ushort v68, v[64:65]
	flat_load_ushort v69, v[54:55]
	s_or_b64 s[20:21], s[20:21], exec
	s_mov_b64 s[24:25], 0
	s_waitcnt vmcnt(0) lgkmcnt(0)
	v_lshlrev_b32_e32 v68, 16, v68
	v_lshlrev_b32_e32 v69, 16, v69
	v_cmp_nlt_f32_e64 s[0:1], v68, v69
	s_and_saveexec_b64 s[26:27], s[0:1]
; %bb.115:                              ;   in Loop: Header=BB1124_114 Depth=1
	v_cmp_ngt_f32_e64 s[0:1], v68, v69
	s_and_b64 s[22:23], s[0:1], s[22:23]
	s_andn2_b64 s[20:21], s[20:21], exec
	s_and_b64 s[22:23], s[22:23], exec
	s_or_b64 s[20:21], s[20:21], s[22:23]
	s_and_b64 s[24:25], s[0:1], exec
; %bb.116:                              ;   in Loop: Header=BB1124_114 Depth=1
	s_or_b64 exec, exec, s[26:27]
	s_mov_b64 s[0:1], -1
	s_or_b64 s[18:19], s[18:19], exec
                                        ; implicit-def: $sgpr22_sgpr23
	s_and_saveexec_b64 s[26:27], s[24:25]
	s_cbranch_execz .LBB1124_113
; %bb.117:                              ;   in Loop: Header=BB1124_114 Depth=1
	v_lshl_add_u64 v[66:67], v[66:67], 0, -1
	v_cmp_eq_u64_e64 s[0:1], 0, v[66:67]
	v_lshl_add_u64 v[54:55], v[54:55], 0, 2
	v_lshl_add_u64 v[64:65], v[64:65], 0, 2
	s_and_b64 s[22:23], s[20:21], exec
	s_andn2_b64 s[18:19], s[18:19], exec
	s_orn2_b64 s[0:1], s[0:1], exec
	s_branch .LBB1124_113
.LBB1124_118:
	s_or_b64 exec, exec, s[14:15]
	s_and_saveexec_b64 s[0:1], s[16:17]
	s_xor_b64 s[0:1], exec, s[0:1]
; %bb.119:
	v_cndmask_b32_e64 v55, v13, v15, s[6:7]
	v_cndmask_b32_e64 v54, v12, v14, s[6:7]
	;; [unrolled: 1-line block ×4, first 2 shown]
	v_mov_b64_e32 v[12:13], v[54:55]
; %bb.120:
	s_or_b64 exec, exec, s[0:1]
	s_or_b64 exec, exec, s[4:5]
	s_and_saveexec_b64 s[4:5], vcc
	s_cbranch_execz .LBB1124_17
.LBB1124_121:
	v_mul_lo_u32 v64, v1, v6
	v_mul_lo_u32 v65, v0, v7
	v_mad_u64_u32 v[54:55], s[0:1], v0, v6, 0
	v_add3_u32 v55, v55, v65, v64
	v_mul_lo_u32 v66, v3, v6
	v_mul_lo_u32 v67, v2, v7
	v_mad_u64_u32 v[64:65], s[0:1], v2, v6, 0
	v_add3_u32 v65, v65, v67, v66
	v_lshl_add_u64 v[54:55], v[54:55], 1, v[8:9]
	v_lshl_add_u64 v[64:65], v[64:65], 1, v[8:9]
	s_mov_b64 s[14:15], 0
	v_mov_b64_e32 v[66:67], v[6:7]
                                        ; implicit-def: $sgpr6_sgpr7
                                        ; implicit-def: $sgpr16_sgpr17
                                        ; implicit-def: $sgpr18_sgpr19
                                        ; implicit-def: $sgpr20_sgpr21
                                        ; implicit-def: $sgpr22_sgpr23
	s_branch .LBB1124_123
.LBB1124_122:                           ;   in Loop: Header=BB1124_123 Depth=1
	s_or_b64 exec, exec, s[26:27]
	s_and_b64 s[0:1], exec, s[0:1]
	s_or_b64 s[14:15], s[0:1], s[14:15]
	s_andn2_b64 s[0:1], s[16:17], exec
	s_and_b64 s[16:17], s[18:19], exec
	s_or_b64 s[16:17], s[0:1], s[16:17]
	s_andn2_b64 s[0:1], s[6:7], exec
	s_and_b64 s[6:7], s[20:21], exec
	s_or_b64 s[6:7], s[0:1], s[6:7]
	s_andn2_b64 exec, exec, s[14:15]
	s_cbranch_execz .LBB1124_127
.LBB1124_123:                           ; =>This Inner Loop Header: Depth=1
	flat_load_ushort v68, v[64:65]
	flat_load_ushort v69, v[54:55]
	s_or_b64 s[20:21], s[20:21], exec
	s_mov_b64 s[24:25], 0
	s_waitcnt vmcnt(0) lgkmcnt(0)
	v_lshlrev_b32_e32 v68, 16, v68
	v_lshlrev_b32_e32 v69, 16, v69
	v_cmp_nlt_f32_e64 s[0:1], v68, v69
	s_and_saveexec_b64 s[26:27], s[0:1]
; %bb.124:                              ;   in Loop: Header=BB1124_123 Depth=1
	v_cmp_ngt_f32_e64 s[0:1], v68, v69
	s_and_b64 s[22:23], s[0:1], s[22:23]
	s_andn2_b64 s[20:21], s[20:21], exec
	s_and_b64 s[22:23], s[22:23], exec
	s_or_b64 s[20:21], s[20:21], s[22:23]
	s_and_b64 s[24:25], s[0:1], exec
; %bb.125:                              ;   in Loop: Header=BB1124_123 Depth=1
	s_or_b64 exec, exec, s[26:27]
	s_mov_b64 s[0:1], -1
	s_or_b64 s[18:19], s[18:19], exec
                                        ; implicit-def: $sgpr22_sgpr23
	s_and_saveexec_b64 s[26:27], s[24:25]
	s_cbranch_execz .LBB1124_122
; %bb.126:                              ;   in Loop: Header=BB1124_123 Depth=1
	v_lshl_add_u64 v[66:67], v[66:67], 0, -1
	v_cmp_eq_u64_e64 s[0:1], 0, v[66:67]
	v_lshl_add_u64 v[54:55], v[54:55], 0, 2
	v_lshl_add_u64 v[64:65], v[64:65], 0, 2
	s_and_b64 s[22:23], s[20:21], exec
	s_andn2_b64 s[18:19], s[18:19], exec
	s_orn2_b64 s[0:1], s[0:1], exec
	s_branch .LBB1124_122
.LBB1124_127:
	s_or_b64 exec, exec, s[14:15]
	s_and_saveexec_b64 s[0:1], s[16:17]
	s_xor_b64 s[0:1], exec, s[0:1]
; %bb.128:
	v_cndmask_b32_e64 v55, v1, v3, s[6:7]
	v_cndmask_b32_e64 v54, v0, v2, s[6:7]
	;; [unrolled: 1-line block ×4, first 2 shown]
	v_mov_b64_e32 v[0:1], v[54:55]
; %bb.129:
	s_or_b64 exec, exec, s[0:1]
	s_or_b64 exec, exec, s[4:5]
	s_and_saveexec_b64 s[4:5], vcc
	s_cbranch_execz .LBB1124_18
.LBB1124_130:
	v_mul_lo_u32 v64, v23, v6
	v_mul_lo_u32 v65, v22, v7
	v_mad_u64_u32 v[54:55], s[0:1], v22, v6, 0
	v_add3_u32 v55, v55, v65, v64
	v_mul_lo_u32 v66, v17, v6
	v_mul_lo_u32 v67, v16, v7
	v_mad_u64_u32 v[64:65], s[0:1], v16, v6, 0
	v_add3_u32 v65, v65, v67, v66
	v_lshl_add_u64 v[54:55], v[54:55], 1, v[8:9]
	v_lshl_add_u64 v[64:65], v[64:65], 1, v[8:9]
	s_mov_b64 s[14:15], 0
	v_mov_b64_e32 v[66:67], v[6:7]
                                        ; implicit-def: $sgpr6_sgpr7
                                        ; implicit-def: $sgpr16_sgpr17
                                        ; implicit-def: $sgpr18_sgpr19
                                        ; implicit-def: $sgpr20_sgpr21
                                        ; implicit-def: $sgpr22_sgpr23
	s_branch .LBB1124_132
.LBB1124_131:                           ;   in Loop: Header=BB1124_132 Depth=1
	s_or_b64 exec, exec, s[26:27]
	s_and_b64 s[0:1], exec, s[0:1]
	s_or_b64 s[14:15], s[0:1], s[14:15]
	s_andn2_b64 s[0:1], s[16:17], exec
	s_and_b64 s[16:17], s[18:19], exec
	s_or_b64 s[16:17], s[0:1], s[16:17]
	s_andn2_b64 s[0:1], s[6:7], exec
	s_and_b64 s[6:7], s[20:21], exec
	s_or_b64 s[6:7], s[0:1], s[6:7]
	s_andn2_b64 exec, exec, s[14:15]
	s_cbranch_execz .LBB1124_136
.LBB1124_132:                           ; =>This Inner Loop Header: Depth=1
	flat_load_ushort v68, v[64:65]
	flat_load_ushort v69, v[54:55]
	s_or_b64 s[20:21], s[20:21], exec
	s_mov_b64 s[24:25], 0
	s_waitcnt vmcnt(0) lgkmcnt(0)
	v_lshlrev_b32_e32 v68, 16, v68
	v_lshlrev_b32_e32 v69, 16, v69
	v_cmp_nlt_f32_e64 s[0:1], v68, v69
	s_and_saveexec_b64 s[26:27], s[0:1]
; %bb.133:                              ;   in Loop: Header=BB1124_132 Depth=1
	v_cmp_ngt_f32_e64 s[0:1], v68, v69
	s_and_b64 s[22:23], s[0:1], s[22:23]
	s_andn2_b64 s[20:21], s[20:21], exec
	s_and_b64 s[22:23], s[22:23], exec
	s_or_b64 s[20:21], s[20:21], s[22:23]
	s_and_b64 s[24:25], s[0:1], exec
; %bb.134:                              ;   in Loop: Header=BB1124_132 Depth=1
	s_or_b64 exec, exec, s[26:27]
	s_mov_b64 s[0:1], -1
	s_or_b64 s[18:19], s[18:19], exec
                                        ; implicit-def: $sgpr22_sgpr23
	s_and_saveexec_b64 s[26:27], s[24:25]
	s_cbranch_execz .LBB1124_131
; %bb.135:                              ;   in Loop: Header=BB1124_132 Depth=1
	v_lshl_add_u64 v[66:67], v[66:67], 0, -1
	v_cmp_eq_u64_e64 s[0:1], 0, v[66:67]
	v_lshl_add_u64 v[54:55], v[54:55], 0, 2
	v_lshl_add_u64 v[64:65], v[64:65], 0, 2
	s_and_b64 s[22:23], s[20:21], exec
	s_andn2_b64 s[18:19], s[18:19], exec
	s_orn2_b64 s[0:1], s[0:1], exec
	s_branch .LBB1124_131
.LBB1124_136:
	s_or_b64 exec, exec, s[14:15]
	s_and_saveexec_b64 s[0:1], s[16:17]
	s_xor_b64 s[0:1], exec, s[0:1]
; %bb.137:
	v_cndmask_b32_e64 v55, v23, v17, s[6:7]
	v_cndmask_b32_e64 v54, v22, v16, s[6:7]
	;; [unrolled: 1-line block ×4, first 2 shown]
	v_mov_b64_e32 v[22:23], v[54:55]
; %bb.138:
	s_or_b64 exec, exec, s[0:1]
	s_or_b64 exec, exec, s[4:5]
	s_and_saveexec_b64 s[4:5], vcc
	s_cbranch_execz .LBB1124_19
.LBB1124_139:
	v_mul_lo_u32 v64, v19, v6
	v_mul_lo_u32 v65, v18, v7
	v_mad_u64_u32 v[54:55], s[0:1], v18, v6, 0
	v_add3_u32 v55, v55, v65, v64
	v_mul_lo_u32 v66, v13, v6
	v_mul_lo_u32 v67, v12, v7
	v_mad_u64_u32 v[64:65], s[0:1], v12, v6, 0
	v_add3_u32 v65, v65, v67, v66
	v_lshl_add_u64 v[54:55], v[54:55], 1, v[8:9]
	v_lshl_add_u64 v[64:65], v[64:65], 1, v[8:9]
	s_mov_b64 s[14:15], 0
	v_mov_b64_e32 v[66:67], v[6:7]
                                        ; implicit-def: $sgpr6_sgpr7
                                        ; implicit-def: $sgpr16_sgpr17
                                        ; implicit-def: $sgpr18_sgpr19
                                        ; implicit-def: $sgpr20_sgpr21
                                        ; implicit-def: $sgpr22_sgpr23
	s_branch .LBB1124_141
.LBB1124_140:                           ;   in Loop: Header=BB1124_141 Depth=1
	s_or_b64 exec, exec, s[26:27]
	s_and_b64 s[0:1], exec, s[0:1]
	s_or_b64 s[14:15], s[0:1], s[14:15]
	s_andn2_b64 s[0:1], s[16:17], exec
	s_and_b64 s[16:17], s[18:19], exec
	s_or_b64 s[16:17], s[0:1], s[16:17]
	s_andn2_b64 s[0:1], s[6:7], exec
	s_and_b64 s[6:7], s[20:21], exec
	s_or_b64 s[6:7], s[0:1], s[6:7]
	s_andn2_b64 exec, exec, s[14:15]
	s_cbranch_execz .LBB1124_145
.LBB1124_141:                           ; =>This Inner Loop Header: Depth=1
	flat_load_ushort v68, v[64:65]
	flat_load_ushort v69, v[54:55]
	s_or_b64 s[20:21], s[20:21], exec
	s_mov_b64 s[24:25], 0
	s_waitcnt vmcnt(0) lgkmcnt(0)
	v_lshlrev_b32_e32 v68, 16, v68
	v_lshlrev_b32_e32 v69, 16, v69
	v_cmp_nlt_f32_e64 s[0:1], v68, v69
	s_and_saveexec_b64 s[26:27], s[0:1]
; %bb.142:                              ;   in Loop: Header=BB1124_141 Depth=1
	v_cmp_ngt_f32_e64 s[0:1], v68, v69
	s_and_b64 s[22:23], s[0:1], s[22:23]
	s_andn2_b64 s[20:21], s[20:21], exec
	s_and_b64 s[22:23], s[22:23], exec
	s_or_b64 s[20:21], s[20:21], s[22:23]
	s_and_b64 s[24:25], s[0:1], exec
; %bb.143:                              ;   in Loop: Header=BB1124_141 Depth=1
	s_or_b64 exec, exec, s[26:27]
	s_mov_b64 s[0:1], -1
	s_or_b64 s[18:19], s[18:19], exec
                                        ; implicit-def: $sgpr22_sgpr23
	s_and_saveexec_b64 s[26:27], s[24:25]
	s_cbranch_execz .LBB1124_140
; %bb.144:                              ;   in Loop: Header=BB1124_141 Depth=1
	v_lshl_add_u64 v[66:67], v[66:67], 0, -1
	v_cmp_eq_u64_e64 s[0:1], 0, v[66:67]
	v_lshl_add_u64 v[54:55], v[54:55], 0, 2
	v_lshl_add_u64 v[64:65], v[64:65], 0, 2
	s_and_b64 s[22:23], s[20:21], exec
	s_andn2_b64 s[18:19], s[18:19], exec
	s_orn2_b64 s[0:1], s[0:1], exec
	s_branch .LBB1124_140
.LBB1124_145:
	s_or_b64 exec, exec, s[14:15]
	s_and_saveexec_b64 s[0:1], s[16:17]
	s_xor_b64 s[0:1], exec, s[0:1]
; %bb.146:
	v_cndmask_b32_e64 v55, v19, v13, s[6:7]
	v_cndmask_b32_e64 v54, v18, v12, s[6:7]
	;; [unrolled: 1-line block ×4, first 2 shown]
	v_mov_b64_e32 v[18:19], v[54:55]
; %bb.147:
	s_or_b64 exec, exec, s[0:1]
	s_or_b64 exec, exec, s[4:5]
	s_and_saveexec_b64 s[4:5], vcc
	s_cbranch_execz .LBB1124_20
.LBB1124_148:
	v_mul_lo_u32 v64, v15, v6
	v_mul_lo_u32 v65, v14, v7
	v_mad_u64_u32 v[54:55], s[0:1], v14, v6, 0
	v_add3_u32 v55, v55, v65, v64
	v_mul_lo_u32 v66, v1, v6
	v_mul_lo_u32 v67, v0, v7
	v_mad_u64_u32 v[64:65], s[0:1], v0, v6, 0
	v_add3_u32 v65, v65, v67, v66
	v_lshl_add_u64 v[54:55], v[54:55], 1, v[8:9]
	v_lshl_add_u64 v[64:65], v[64:65], 1, v[8:9]
	s_mov_b64 s[14:15], 0
	v_mov_b64_e32 v[66:67], v[6:7]
                                        ; implicit-def: $sgpr6_sgpr7
                                        ; implicit-def: $sgpr16_sgpr17
                                        ; implicit-def: $sgpr18_sgpr19
                                        ; implicit-def: $sgpr20_sgpr21
                                        ; implicit-def: $sgpr22_sgpr23
	s_branch .LBB1124_150
.LBB1124_149:                           ;   in Loop: Header=BB1124_150 Depth=1
	s_or_b64 exec, exec, s[26:27]
	s_and_b64 s[0:1], exec, s[0:1]
	s_or_b64 s[14:15], s[0:1], s[14:15]
	s_andn2_b64 s[0:1], s[16:17], exec
	s_and_b64 s[16:17], s[18:19], exec
	s_or_b64 s[16:17], s[0:1], s[16:17]
	s_andn2_b64 s[0:1], s[6:7], exec
	s_and_b64 s[6:7], s[20:21], exec
	s_or_b64 s[6:7], s[0:1], s[6:7]
	s_andn2_b64 exec, exec, s[14:15]
	s_cbranch_execz .LBB1124_154
.LBB1124_150:                           ; =>This Inner Loop Header: Depth=1
	flat_load_ushort v68, v[64:65]
	flat_load_ushort v69, v[54:55]
	s_or_b64 s[20:21], s[20:21], exec
	s_mov_b64 s[24:25], 0
	s_waitcnt vmcnt(0) lgkmcnt(0)
	v_lshlrev_b32_e32 v68, 16, v68
	v_lshlrev_b32_e32 v69, 16, v69
	v_cmp_nlt_f32_e64 s[0:1], v68, v69
	s_and_saveexec_b64 s[26:27], s[0:1]
; %bb.151:                              ;   in Loop: Header=BB1124_150 Depth=1
	v_cmp_ngt_f32_e64 s[0:1], v68, v69
	s_and_b64 s[22:23], s[0:1], s[22:23]
	s_andn2_b64 s[20:21], s[20:21], exec
	s_and_b64 s[22:23], s[22:23], exec
	s_or_b64 s[20:21], s[20:21], s[22:23]
	s_and_b64 s[24:25], s[0:1], exec
; %bb.152:                              ;   in Loop: Header=BB1124_150 Depth=1
	s_or_b64 exec, exec, s[26:27]
	s_mov_b64 s[0:1], -1
	s_or_b64 s[18:19], s[18:19], exec
                                        ; implicit-def: $sgpr22_sgpr23
	s_and_saveexec_b64 s[26:27], s[24:25]
	s_cbranch_execz .LBB1124_149
; %bb.153:                              ;   in Loop: Header=BB1124_150 Depth=1
	v_lshl_add_u64 v[66:67], v[66:67], 0, -1
	v_cmp_eq_u64_e64 s[0:1], 0, v[66:67]
	v_lshl_add_u64 v[54:55], v[54:55], 0, 2
	v_lshl_add_u64 v[64:65], v[64:65], 0, 2
	s_and_b64 s[22:23], s[20:21], exec
	s_andn2_b64 s[18:19], s[18:19], exec
	s_orn2_b64 s[0:1], s[0:1], exec
	s_branch .LBB1124_149
.LBB1124_154:
	s_or_b64 exec, exec, s[14:15]
	s_and_saveexec_b64 s[0:1], s[16:17]
	s_xor_b64 s[0:1], exec, s[0:1]
; %bb.155:
	v_cndmask_b32_e64 v55, v15, v1, s[6:7]
	v_cndmask_b32_e64 v54, v14, v0, s[6:7]
	;; [unrolled: 1-line block ×4, first 2 shown]
	v_mov_b64_e32 v[14:15], v[54:55]
; %bb.156:
	s_or_b64 exec, exec, s[0:1]
	s_or_b64 exec, exec, s[4:5]
	s_and_saveexec_b64 s[4:5], vcc
	s_cbranch_execz .LBB1124_21
.LBB1124_157:
	v_mul_lo_u32 v64, v21, v6
	v_mul_lo_u32 v65, v20, v7
	v_mad_u64_u32 v[54:55], s[0:1], v20, v6, 0
	v_add3_u32 v55, v55, v65, v64
	v_mul_lo_u32 v66, v23, v6
	v_mul_lo_u32 v67, v22, v7
	v_mad_u64_u32 v[64:65], s[0:1], v22, v6, 0
	v_add3_u32 v65, v65, v67, v66
	v_lshl_add_u64 v[54:55], v[54:55], 1, v[8:9]
	v_lshl_add_u64 v[64:65], v[64:65], 1, v[8:9]
	s_mov_b64 s[14:15], 0
	v_mov_b64_e32 v[66:67], v[6:7]
                                        ; implicit-def: $sgpr6_sgpr7
                                        ; implicit-def: $sgpr16_sgpr17
                                        ; implicit-def: $sgpr18_sgpr19
                                        ; implicit-def: $sgpr20_sgpr21
                                        ; implicit-def: $sgpr22_sgpr23
	s_branch .LBB1124_159
.LBB1124_158:                           ;   in Loop: Header=BB1124_159 Depth=1
	s_or_b64 exec, exec, s[26:27]
	s_and_b64 s[0:1], exec, s[0:1]
	s_or_b64 s[14:15], s[0:1], s[14:15]
	s_andn2_b64 s[0:1], s[16:17], exec
	s_and_b64 s[16:17], s[18:19], exec
	s_or_b64 s[16:17], s[0:1], s[16:17]
	s_andn2_b64 s[0:1], s[6:7], exec
	s_and_b64 s[6:7], s[20:21], exec
	s_or_b64 s[6:7], s[0:1], s[6:7]
	s_andn2_b64 exec, exec, s[14:15]
	s_cbranch_execz .LBB1124_163
.LBB1124_159:                           ; =>This Inner Loop Header: Depth=1
	flat_load_ushort v68, v[64:65]
	flat_load_ushort v69, v[54:55]
	s_or_b64 s[20:21], s[20:21], exec
	s_mov_b64 s[24:25], 0
	s_waitcnt vmcnt(0) lgkmcnt(0)
	v_lshlrev_b32_e32 v68, 16, v68
	v_lshlrev_b32_e32 v69, 16, v69
	v_cmp_nlt_f32_e64 s[0:1], v68, v69
	s_and_saveexec_b64 s[26:27], s[0:1]
; %bb.160:                              ;   in Loop: Header=BB1124_159 Depth=1
	v_cmp_ngt_f32_e64 s[0:1], v68, v69
	s_and_b64 s[22:23], s[0:1], s[22:23]
	s_andn2_b64 s[20:21], s[20:21], exec
	s_and_b64 s[22:23], s[22:23], exec
	s_or_b64 s[20:21], s[20:21], s[22:23]
	s_and_b64 s[24:25], s[0:1], exec
; %bb.161:                              ;   in Loop: Header=BB1124_159 Depth=1
	s_or_b64 exec, exec, s[26:27]
	s_mov_b64 s[0:1], -1
	s_or_b64 s[18:19], s[18:19], exec
                                        ; implicit-def: $sgpr22_sgpr23
	s_and_saveexec_b64 s[26:27], s[24:25]
	s_cbranch_execz .LBB1124_158
; %bb.162:                              ;   in Loop: Header=BB1124_159 Depth=1
	v_lshl_add_u64 v[66:67], v[66:67], 0, -1
	v_cmp_eq_u64_e64 s[0:1], 0, v[66:67]
	v_lshl_add_u64 v[54:55], v[54:55], 0, 2
	v_lshl_add_u64 v[64:65], v[64:65], 0, 2
	s_and_b64 s[22:23], s[20:21], exec
	s_andn2_b64 s[18:19], s[18:19], exec
	s_orn2_b64 s[0:1], s[0:1], exec
	s_branch .LBB1124_158
.LBB1124_163:
	s_or_b64 exec, exec, s[14:15]
	s_and_saveexec_b64 s[0:1], s[16:17]
	s_xor_b64 s[0:1], exec, s[0:1]
; %bb.164:
	v_cndmask_b32_e64 v55, v23, v21, s[6:7]
	v_cndmask_b32_e64 v54, v22, v20, s[6:7]
	;; [unrolled: 1-line block ×4, first 2 shown]
	v_mov_b64_e32 v[22:23], v[54:55]
; %bb.165:
	s_or_b64 exec, exec, s[0:1]
	s_or_b64 exec, exec, s[4:5]
	s_and_saveexec_b64 s[4:5], vcc
	s_cbranch_execz .LBB1124_22
.LBB1124_166:
	v_mul_lo_u32 v64, v17, v6
	v_mul_lo_u32 v65, v16, v7
	v_mad_u64_u32 v[54:55], s[0:1], v16, v6, 0
	v_add3_u32 v55, v55, v65, v64
	v_mul_lo_u32 v66, v19, v6
	v_mul_lo_u32 v67, v18, v7
	v_mad_u64_u32 v[64:65], s[0:1], v18, v6, 0
	v_add3_u32 v65, v65, v67, v66
	v_lshl_add_u64 v[54:55], v[54:55], 1, v[8:9]
	v_lshl_add_u64 v[64:65], v[64:65], 1, v[8:9]
	s_mov_b64 s[14:15], 0
	v_mov_b64_e32 v[66:67], v[6:7]
                                        ; implicit-def: $sgpr6_sgpr7
                                        ; implicit-def: $sgpr16_sgpr17
                                        ; implicit-def: $sgpr18_sgpr19
                                        ; implicit-def: $sgpr20_sgpr21
                                        ; implicit-def: $sgpr22_sgpr23
	s_branch .LBB1124_168
.LBB1124_167:                           ;   in Loop: Header=BB1124_168 Depth=1
	s_or_b64 exec, exec, s[26:27]
	s_and_b64 s[0:1], exec, s[0:1]
	s_or_b64 s[14:15], s[0:1], s[14:15]
	s_andn2_b64 s[0:1], s[16:17], exec
	s_and_b64 s[16:17], s[18:19], exec
	s_or_b64 s[16:17], s[0:1], s[16:17]
	s_andn2_b64 s[0:1], s[6:7], exec
	s_and_b64 s[6:7], s[20:21], exec
	s_or_b64 s[6:7], s[0:1], s[6:7]
	s_andn2_b64 exec, exec, s[14:15]
	s_cbranch_execz .LBB1124_172
.LBB1124_168:                           ; =>This Inner Loop Header: Depth=1
	flat_load_ushort v68, v[64:65]
	flat_load_ushort v69, v[54:55]
	s_or_b64 s[20:21], s[20:21], exec
	s_mov_b64 s[24:25], 0
	s_waitcnt vmcnt(0) lgkmcnt(0)
	v_lshlrev_b32_e32 v68, 16, v68
	v_lshlrev_b32_e32 v69, 16, v69
	v_cmp_nlt_f32_e64 s[0:1], v68, v69
	s_and_saveexec_b64 s[26:27], s[0:1]
; %bb.169:                              ;   in Loop: Header=BB1124_168 Depth=1
	v_cmp_ngt_f32_e64 s[0:1], v68, v69
	s_and_b64 s[22:23], s[0:1], s[22:23]
	s_andn2_b64 s[20:21], s[20:21], exec
	s_and_b64 s[22:23], s[22:23], exec
	s_or_b64 s[20:21], s[20:21], s[22:23]
	s_and_b64 s[24:25], s[0:1], exec
; %bb.170:                              ;   in Loop: Header=BB1124_168 Depth=1
	s_or_b64 exec, exec, s[26:27]
	s_mov_b64 s[0:1], -1
	s_or_b64 s[18:19], s[18:19], exec
                                        ; implicit-def: $sgpr22_sgpr23
	s_and_saveexec_b64 s[26:27], s[24:25]
	s_cbranch_execz .LBB1124_167
; %bb.171:                              ;   in Loop: Header=BB1124_168 Depth=1
	v_lshl_add_u64 v[66:67], v[66:67], 0, -1
	v_cmp_eq_u64_e64 s[0:1], 0, v[66:67]
	v_lshl_add_u64 v[54:55], v[54:55], 0, 2
	v_lshl_add_u64 v[64:65], v[64:65], 0, 2
	s_and_b64 s[22:23], s[20:21], exec
	s_andn2_b64 s[18:19], s[18:19], exec
	s_orn2_b64 s[0:1], s[0:1], exec
	s_branch .LBB1124_167
.LBB1124_172:
	s_or_b64 exec, exec, s[14:15]
	s_and_saveexec_b64 s[0:1], s[16:17]
	s_xor_b64 s[0:1], exec, s[0:1]
; %bb.173:
	v_cndmask_b32_e64 v55, v17, v19, s[6:7]
	v_cndmask_b32_e64 v54, v16, v18, s[6:7]
	;; [unrolled: 1-line block ×4, first 2 shown]
	v_mov_b64_e32 v[16:17], v[54:55]
; %bb.174:
	s_or_b64 exec, exec, s[0:1]
	s_or_b64 exec, exec, s[4:5]
	s_and_saveexec_b64 s[4:5], vcc
	s_cbranch_execz .LBB1124_23
.LBB1124_175:
	v_mul_lo_u32 v64, v13, v6
	v_mul_lo_u32 v65, v12, v7
	v_mad_u64_u32 v[54:55], s[0:1], v12, v6, 0
	v_add3_u32 v55, v55, v65, v64
	v_mul_lo_u32 v66, v15, v6
	v_mul_lo_u32 v67, v14, v7
	v_mad_u64_u32 v[64:65], s[0:1], v14, v6, 0
	v_add3_u32 v65, v65, v67, v66
	v_lshl_add_u64 v[54:55], v[54:55], 1, v[8:9]
	v_lshl_add_u64 v[64:65], v[64:65], 1, v[8:9]
	s_mov_b64 s[14:15], 0
	v_mov_b64_e32 v[66:67], v[6:7]
                                        ; implicit-def: $sgpr6_sgpr7
                                        ; implicit-def: $sgpr16_sgpr17
                                        ; implicit-def: $sgpr18_sgpr19
                                        ; implicit-def: $sgpr20_sgpr21
                                        ; implicit-def: $sgpr22_sgpr23
	s_branch .LBB1124_177
.LBB1124_176:                           ;   in Loop: Header=BB1124_177 Depth=1
	s_or_b64 exec, exec, s[26:27]
	s_and_b64 s[0:1], exec, s[0:1]
	s_or_b64 s[14:15], s[0:1], s[14:15]
	s_andn2_b64 s[0:1], s[16:17], exec
	s_and_b64 s[16:17], s[18:19], exec
	s_or_b64 s[16:17], s[0:1], s[16:17]
	s_andn2_b64 s[0:1], s[6:7], exec
	s_and_b64 s[6:7], s[20:21], exec
	s_or_b64 s[6:7], s[0:1], s[6:7]
	s_andn2_b64 exec, exec, s[14:15]
	s_cbranch_execz .LBB1124_181
.LBB1124_177:                           ; =>This Inner Loop Header: Depth=1
	flat_load_ushort v68, v[64:65]
	flat_load_ushort v69, v[54:55]
	s_or_b64 s[20:21], s[20:21], exec
	s_mov_b64 s[24:25], 0
	s_waitcnt vmcnt(0) lgkmcnt(0)
	v_lshlrev_b32_e32 v68, 16, v68
	v_lshlrev_b32_e32 v69, 16, v69
	v_cmp_nlt_f32_e64 s[0:1], v68, v69
	s_and_saveexec_b64 s[26:27], s[0:1]
; %bb.178:                              ;   in Loop: Header=BB1124_177 Depth=1
	v_cmp_ngt_f32_e64 s[0:1], v68, v69
	s_and_b64 s[22:23], s[0:1], s[22:23]
	s_andn2_b64 s[20:21], s[20:21], exec
	s_and_b64 s[22:23], s[22:23], exec
	s_or_b64 s[20:21], s[20:21], s[22:23]
	s_and_b64 s[24:25], s[0:1], exec
; %bb.179:                              ;   in Loop: Header=BB1124_177 Depth=1
	s_or_b64 exec, exec, s[26:27]
	s_mov_b64 s[0:1], -1
	s_or_b64 s[18:19], s[18:19], exec
                                        ; implicit-def: $sgpr22_sgpr23
	s_and_saveexec_b64 s[26:27], s[24:25]
	s_cbranch_execz .LBB1124_176
; %bb.180:                              ;   in Loop: Header=BB1124_177 Depth=1
	v_lshl_add_u64 v[66:67], v[66:67], 0, -1
	v_cmp_eq_u64_e64 s[0:1], 0, v[66:67]
	v_lshl_add_u64 v[54:55], v[54:55], 0, 2
	v_lshl_add_u64 v[64:65], v[64:65], 0, 2
	s_and_b64 s[22:23], s[20:21], exec
	s_andn2_b64 s[18:19], s[18:19], exec
	s_orn2_b64 s[0:1], s[0:1], exec
	s_branch .LBB1124_176
.LBB1124_181:
	s_or_b64 exec, exec, s[14:15]
	s_and_saveexec_b64 s[0:1], s[16:17]
	s_xor_b64 s[0:1], exec, s[0:1]
; %bb.182:
	v_cndmask_b32_e64 v55, v13, v15, s[6:7]
	v_cndmask_b32_e64 v54, v12, v14, s[6:7]
	;; [unrolled: 1-line block ×4, first 2 shown]
	v_mov_b64_e32 v[12:13], v[54:55]
; %bb.183:
	s_or_b64 exec, exec, s[0:1]
	s_or_b64 exec, exec, s[4:5]
	s_and_saveexec_b64 s[4:5], vcc
	s_cbranch_execz .LBB1124_24
.LBB1124_184:
	v_mul_lo_u32 v64, v1, v6
	v_mul_lo_u32 v65, v0, v7
	v_mad_u64_u32 v[54:55], s[0:1], v0, v6, 0
	v_add3_u32 v55, v55, v65, v64
	v_mul_lo_u32 v66, v3, v6
	v_mul_lo_u32 v67, v2, v7
	v_mad_u64_u32 v[64:65], s[0:1], v2, v6, 0
	v_add3_u32 v65, v65, v67, v66
	v_lshl_add_u64 v[54:55], v[54:55], 1, v[8:9]
	v_lshl_add_u64 v[64:65], v[64:65], 1, v[8:9]
	s_mov_b64 s[14:15], 0
	v_mov_b64_e32 v[66:67], v[6:7]
                                        ; implicit-def: $sgpr6_sgpr7
                                        ; implicit-def: $sgpr16_sgpr17
                                        ; implicit-def: $sgpr18_sgpr19
                                        ; implicit-def: $sgpr20_sgpr21
                                        ; implicit-def: $sgpr22_sgpr23
	s_branch .LBB1124_186
.LBB1124_185:                           ;   in Loop: Header=BB1124_186 Depth=1
	s_or_b64 exec, exec, s[26:27]
	s_and_b64 s[0:1], exec, s[0:1]
	s_or_b64 s[14:15], s[0:1], s[14:15]
	s_andn2_b64 s[0:1], s[16:17], exec
	s_and_b64 s[16:17], s[18:19], exec
	s_or_b64 s[16:17], s[0:1], s[16:17]
	s_andn2_b64 s[0:1], s[6:7], exec
	s_and_b64 s[6:7], s[20:21], exec
	s_or_b64 s[6:7], s[0:1], s[6:7]
	s_andn2_b64 exec, exec, s[14:15]
	s_cbranch_execz .LBB1124_190
.LBB1124_186:                           ; =>This Inner Loop Header: Depth=1
	flat_load_ushort v68, v[64:65]
	flat_load_ushort v69, v[54:55]
	s_or_b64 s[20:21], s[20:21], exec
	s_mov_b64 s[24:25], 0
	s_waitcnt vmcnt(0) lgkmcnt(0)
	v_lshlrev_b32_e32 v68, 16, v68
	v_lshlrev_b32_e32 v69, 16, v69
	v_cmp_nlt_f32_e64 s[0:1], v68, v69
	s_and_saveexec_b64 s[26:27], s[0:1]
; %bb.187:                              ;   in Loop: Header=BB1124_186 Depth=1
	v_cmp_ngt_f32_e64 s[0:1], v68, v69
	s_and_b64 s[22:23], s[0:1], s[22:23]
	s_andn2_b64 s[20:21], s[20:21], exec
	s_and_b64 s[22:23], s[22:23], exec
	s_or_b64 s[20:21], s[20:21], s[22:23]
	s_and_b64 s[24:25], s[0:1], exec
; %bb.188:                              ;   in Loop: Header=BB1124_186 Depth=1
	s_or_b64 exec, exec, s[26:27]
	s_mov_b64 s[0:1], -1
	s_or_b64 s[18:19], s[18:19], exec
                                        ; implicit-def: $sgpr22_sgpr23
	s_and_saveexec_b64 s[26:27], s[24:25]
	s_cbranch_execz .LBB1124_185
; %bb.189:                              ;   in Loop: Header=BB1124_186 Depth=1
	v_lshl_add_u64 v[66:67], v[66:67], 0, -1
	v_cmp_eq_u64_e64 s[0:1], 0, v[66:67]
	v_lshl_add_u64 v[54:55], v[54:55], 0, 2
	v_lshl_add_u64 v[64:65], v[64:65], 0, 2
	s_and_b64 s[22:23], s[20:21], exec
	s_andn2_b64 s[18:19], s[18:19], exec
	s_orn2_b64 s[0:1], s[0:1], exec
	s_branch .LBB1124_185
.LBB1124_190:
	s_or_b64 exec, exec, s[14:15]
	s_and_saveexec_b64 s[0:1], s[16:17]
	s_xor_b64 s[0:1], exec, s[0:1]
; %bb.191:
	v_cndmask_b32_e64 v55, v1, v3, s[6:7]
	v_cndmask_b32_e64 v54, v0, v2, s[6:7]
	v_cndmask_b32_e64 v3, v3, v1, s[6:7]
	v_cndmask_b32_e64 v2, v2, v0, s[6:7]
	v_mov_b64_e32 v[0:1], v[54:55]
; %bb.192:
	s_or_b64 exec, exec, s[0:1]
	s_or_b64 exec, exec, s[4:5]
	s_and_saveexec_b64 s[4:5], vcc
	s_cbranch_execz .LBB1124_25
.LBB1124_193:
	v_mul_lo_u32 v64, v23, v6
	v_mul_lo_u32 v65, v22, v7
	v_mad_u64_u32 v[54:55], s[0:1], v22, v6, 0
	v_add3_u32 v55, v55, v65, v64
	v_mul_lo_u32 v66, v17, v6
	v_mul_lo_u32 v67, v16, v7
	v_mad_u64_u32 v[64:65], s[0:1], v16, v6, 0
	v_add3_u32 v65, v65, v67, v66
	v_lshl_add_u64 v[54:55], v[54:55], 1, v[8:9]
	v_lshl_add_u64 v[64:65], v[64:65], 1, v[8:9]
	s_mov_b64 s[14:15], 0
	v_mov_b64_e32 v[66:67], v[6:7]
                                        ; implicit-def: $sgpr6_sgpr7
                                        ; implicit-def: $sgpr16_sgpr17
                                        ; implicit-def: $sgpr18_sgpr19
                                        ; implicit-def: $sgpr20_sgpr21
                                        ; implicit-def: $sgpr22_sgpr23
	s_branch .LBB1124_195
.LBB1124_194:                           ;   in Loop: Header=BB1124_195 Depth=1
	s_or_b64 exec, exec, s[26:27]
	s_and_b64 s[0:1], exec, s[0:1]
	s_or_b64 s[14:15], s[0:1], s[14:15]
	s_andn2_b64 s[0:1], s[16:17], exec
	s_and_b64 s[16:17], s[18:19], exec
	s_or_b64 s[16:17], s[0:1], s[16:17]
	s_andn2_b64 s[0:1], s[6:7], exec
	s_and_b64 s[6:7], s[20:21], exec
	s_or_b64 s[6:7], s[0:1], s[6:7]
	s_andn2_b64 exec, exec, s[14:15]
	s_cbranch_execz .LBB1124_199
.LBB1124_195:                           ; =>This Inner Loop Header: Depth=1
	flat_load_ushort v68, v[64:65]
	flat_load_ushort v69, v[54:55]
	s_or_b64 s[20:21], s[20:21], exec
	s_mov_b64 s[24:25], 0
	s_waitcnt vmcnt(0) lgkmcnt(0)
	v_lshlrev_b32_e32 v68, 16, v68
	v_lshlrev_b32_e32 v69, 16, v69
	v_cmp_nlt_f32_e64 s[0:1], v68, v69
	s_and_saveexec_b64 s[26:27], s[0:1]
; %bb.196:                              ;   in Loop: Header=BB1124_195 Depth=1
	v_cmp_ngt_f32_e64 s[0:1], v68, v69
	s_and_b64 s[22:23], s[0:1], s[22:23]
	s_andn2_b64 s[20:21], s[20:21], exec
	s_and_b64 s[22:23], s[22:23], exec
	s_or_b64 s[20:21], s[20:21], s[22:23]
	s_and_b64 s[24:25], s[0:1], exec
; %bb.197:                              ;   in Loop: Header=BB1124_195 Depth=1
	s_or_b64 exec, exec, s[26:27]
	s_mov_b64 s[0:1], -1
	s_or_b64 s[18:19], s[18:19], exec
                                        ; implicit-def: $sgpr22_sgpr23
	s_and_saveexec_b64 s[26:27], s[24:25]
	s_cbranch_execz .LBB1124_194
; %bb.198:                              ;   in Loop: Header=BB1124_195 Depth=1
	v_lshl_add_u64 v[66:67], v[66:67], 0, -1
	v_cmp_eq_u64_e64 s[0:1], 0, v[66:67]
	v_lshl_add_u64 v[54:55], v[54:55], 0, 2
	v_lshl_add_u64 v[64:65], v[64:65], 0, 2
	s_and_b64 s[22:23], s[20:21], exec
	s_andn2_b64 s[18:19], s[18:19], exec
	s_orn2_b64 s[0:1], s[0:1], exec
	s_branch .LBB1124_194
.LBB1124_199:
	s_or_b64 exec, exec, s[14:15]
	s_and_saveexec_b64 s[0:1], s[16:17]
	s_xor_b64 s[0:1], exec, s[0:1]
; %bb.200:
	v_cndmask_b32_e64 v55, v23, v17, s[6:7]
	v_cndmask_b32_e64 v54, v22, v16, s[6:7]
	;; [unrolled: 1-line block ×4, first 2 shown]
	v_mov_b64_e32 v[22:23], v[54:55]
; %bb.201:
	s_or_b64 exec, exec, s[0:1]
	s_or_b64 exec, exec, s[4:5]
	s_and_saveexec_b64 s[4:5], vcc
	s_cbranch_execz .LBB1124_26
.LBB1124_202:
	v_mul_lo_u32 v64, v19, v6
	v_mul_lo_u32 v65, v18, v7
	v_mad_u64_u32 v[54:55], s[0:1], v18, v6, 0
	v_add3_u32 v55, v55, v65, v64
	v_mul_lo_u32 v66, v13, v6
	v_mul_lo_u32 v67, v12, v7
	v_mad_u64_u32 v[64:65], s[0:1], v12, v6, 0
	v_add3_u32 v65, v65, v67, v66
	v_lshl_add_u64 v[54:55], v[54:55], 1, v[8:9]
	v_lshl_add_u64 v[64:65], v[64:65], 1, v[8:9]
	s_mov_b64 s[14:15], 0
	v_mov_b64_e32 v[66:67], v[6:7]
                                        ; implicit-def: $sgpr6_sgpr7
                                        ; implicit-def: $sgpr16_sgpr17
                                        ; implicit-def: $sgpr18_sgpr19
                                        ; implicit-def: $sgpr20_sgpr21
                                        ; implicit-def: $sgpr22_sgpr23
	s_branch .LBB1124_204
.LBB1124_203:                           ;   in Loop: Header=BB1124_204 Depth=1
	s_or_b64 exec, exec, s[26:27]
	s_and_b64 s[0:1], exec, s[0:1]
	s_or_b64 s[14:15], s[0:1], s[14:15]
	s_andn2_b64 s[0:1], s[16:17], exec
	s_and_b64 s[16:17], s[18:19], exec
	s_or_b64 s[16:17], s[0:1], s[16:17]
	s_andn2_b64 s[0:1], s[6:7], exec
	s_and_b64 s[6:7], s[20:21], exec
	s_or_b64 s[6:7], s[0:1], s[6:7]
	s_andn2_b64 exec, exec, s[14:15]
	s_cbranch_execz .LBB1124_208
.LBB1124_204:                           ; =>This Inner Loop Header: Depth=1
	flat_load_ushort v68, v[64:65]
	flat_load_ushort v69, v[54:55]
	s_or_b64 s[20:21], s[20:21], exec
	s_mov_b64 s[24:25], 0
	s_waitcnt vmcnt(0) lgkmcnt(0)
	v_lshlrev_b32_e32 v68, 16, v68
	v_lshlrev_b32_e32 v69, 16, v69
	v_cmp_nlt_f32_e64 s[0:1], v68, v69
	s_and_saveexec_b64 s[26:27], s[0:1]
; %bb.205:                              ;   in Loop: Header=BB1124_204 Depth=1
	v_cmp_ngt_f32_e64 s[0:1], v68, v69
	s_and_b64 s[22:23], s[0:1], s[22:23]
	s_andn2_b64 s[20:21], s[20:21], exec
	s_and_b64 s[22:23], s[22:23], exec
	s_or_b64 s[20:21], s[20:21], s[22:23]
	s_and_b64 s[24:25], s[0:1], exec
; %bb.206:                              ;   in Loop: Header=BB1124_204 Depth=1
	s_or_b64 exec, exec, s[26:27]
	s_mov_b64 s[0:1], -1
	s_or_b64 s[18:19], s[18:19], exec
                                        ; implicit-def: $sgpr22_sgpr23
	s_and_saveexec_b64 s[26:27], s[24:25]
	s_cbranch_execz .LBB1124_203
; %bb.207:                              ;   in Loop: Header=BB1124_204 Depth=1
	v_lshl_add_u64 v[66:67], v[66:67], 0, -1
	v_cmp_eq_u64_e64 s[0:1], 0, v[66:67]
	v_lshl_add_u64 v[54:55], v[54:55], 0, 2
	v_lshl_add_u64 v[64:65], v[64:65], 0, 2
	s_and_b64 s[22:23], s[20:21], exec
	s_andn2_b64 s[18:19], s[18:19], exec
	s_orn2_b64 s[0:1], s[0:1], exec
	s_branch .LBB1124_203
.LBB1124_208:
	s_or_b64 exec, exec, s[14:15]
	s_and_saveexec_b64 s[0:1], s[16:17]
	s_xor_b64 s[0:1], exec, s[0:1]
; %bb.209:
	v_cndmask_b32_e64 v55, v19, v13, s[6:7]
	v_cndmask_b32_e64 v54, v18, v12, s[6:7]
	;; [unrolled: 1-line block ×4, first 2 shown]
	v_mov_b64_e32 v[18:19], v[54:55]
; %bb.210:
	s_or_b64 exec, exec, s[0:1]
	s_or_b64 exec, exec, s[4:5]
	s_and_saveexec_b64 s[4:5], vcc
	s_cbranch_execz .LBB1124_27
.LBB1124_211:
	v_mul_lo_u32 v64, v15, v6
	v_mul_lo_u32 v65, v14, v7
	v_mad_u64_u32 v[54:55], s[0:1], v14, v6, 0
	v_add3_u32 v55, v55, v65, v64
	v_mul_lo_u32 v66, v1, v6
	v_mul_lo_u32 v67, v0, v7
	v_mad_u64_u32 v[64:65], s[0:1], v0, v6, 0
	v_add3_u32 v65, v65, v67, v66
	v_lshl_add_u64 v[54:55], v[54:55], 1, v[8:9]
	v_lshl_add_u64 v[64:65], v[64:65], 1, v[8:9]
	s_mov_b64 s[14:15], 0
	v_mov_b64_e32 v[66:67], v[6:7]
                                        ; implicit-def: $sgpr6_sgpr7
                                        ; implicit-def: $sgpr16_sgpr17
                                        ; implicit-def: $sgpr18_sgpr19
                                        ; implicit-def: $sgpr20_sgpr21
                                        ; implicit-def: $sgpr22_sgpr23
	s_branch .LBB1124_213
.LBB1124_212:                           ;   in Loop: Header=BB1124_213 Depth=1
	s_or_b64 exec, exec, s[26:27]
	s_and_b64 s[0:1], exec, s[0:1]
	s_or_b64 s[14:15], s[0:1], s[14:15]
	s_andn2_b64 s[0:1], s[16:17], exec
	s_and_b64 s[16:17], s[18:19], exec
	s_or_b64 s[16:17], s[0:1], s[16:17]
	s_andn2_b64 s[0:1], s[6:7], exec
	s_and_b64 s[6:7], s[20:21], exec
	s_or_b64 s[6:7], s[0:1], s[6:7]
	s_andn2_b64 exec, exec, s[14:15]
	s_cbranch_execz .LBB1124_217
.LBB1124_213:                           ; =>This Inner Loop Header: Depth=1
	flat_load_ushort v68, v[64:65]
	flat_load_ushort v69, v[54:55]
	s_or_b64 s[20:21], s[20:21], exec
	s_mov_b64 s[24:25], 0
	s_waitcnt vmcnt(0) lgkmcnt(0)
	v_lshlrev_b32_e32 v68, 16, v68
	v_lshlrev_b32_e32 v69, 16, v69
	v_cmp_nlt_f32_e64 s[0:1], v68, v69
	s_and_saveexec_b64 s[26:27], s[0:1]
; %bb.214:                              ;   in Loop: Header=BB1124_213 Depth=1
	v_cmp_ngt_f32_e64 s[0:1], v68, v69
	s_and_b64 s[22:23], s[0:1], s[22:23]
	s_andn2_b64 s[20:21], s[20:21], exec
	s_and_b64 s[22:23], s[22:23], exec
	s_or_b64 s[20:21], s[20:21], s[22:23]
	s_and_b64 s[24:25], s[0:1], exec
; %bb.215:                              ;   in Loop: Header=BB1124_213 Depth=1
	s_or_b64 exec, exec, s[26:27]
	s_mov_b64 s[0:1], -1
	s_or_b64 s[18:19], s[18:19], exec
                                        ; implicit-def: $sgpr22_sgpr23
	s_and_saveexec_b64 s[26:27], s[24:25]
	s_cbranch_execz .LBB1124_212
; %bb.216:                              ;   in Loop: Header=BB1124_213 Depth=1
	v_lshl_add_u64 v[66:67], v[66:67], 0, -1
	v_cmp_eq_u64_e64 s[0:1], 0, v[66:67]
	v_lshl_add_u64 v[54:55], v[54:55], 0, 2
	v_lshl_add_u64 v[64:65], v[64:65], 0, 2
	s_and_b64 s[22:23], s[20:21], exec
	s_andn2_b64 s[18:19], s[18:19], exec
	s_orn2_b64 s[0:1], s[0:1], exec
	s_branch .LBB1124_212
.LBB1124_217:
	s_or_b64 exec, exec, s[14:15]
	s_and_saveexec_b64 s[0:1], s[16:17]
	s_xor_b64 s[0:1], exec, s[0:1]
; %bb.218:
	v_cndmask_b32_e64 v55, v15, v1, s[6:7]
	v_cndmask_b32_e64 v54, v14, v0, s[6:7]
	;; [unrolled: 1-line block ×4, first 2 shown]
	v_mov_b64_e32 v[14:15], v[54:55]
; %bb.219:
	s_or_b64 exec, exec, s[0:1]
	s_or_b64 exec, exec, s[4:5]
	s_and_saveexec_b64 s[4:5], vcc
	s_cbranch_execz .LBB1124_28
.LBB1124_220:
	v_mul_lo_u32 v64, v21, v6
	v_mul_lo_u32 v65, v20, v7
	v_mad_u64_u32 v[54:55], s[0:1], v20, v6, 0
	v_add3_u32 v55, v55, v65, v64
	v_mul_lo_u32 v66, v23, v6
	v_mul_lo_u32 v67, v22, v7
	v_mad_u64_u32 v[64:65], s[0:1], v22, v6, 0
	v_add3_u32 v65, v65, v67, v66
	v_lshl_add_u64 v[54:55], v[54:55], 1, v[8:9]
	v_lshl_add_u64 v[64:65], v[64:65], 1, v[8:9]
	s_mov_b64 s[14:15], 0
	v_mov_b64_e32 v[66:67], v[6:7]
                                        ; implicit-def: $sgpr6_sgpr7
                                        ; implicit-def: $sgpr16_sgpr17
                                        ; implicit-def: $sgpr18_sgpr19
                                        ; implicit-def: $sgpr20_sgpr21
                                        ; implicit-def: $sgpr22_sgpr23
	s_branch .LBB1124_222
.LBB1124_221:                           ;   in Loop: Header=BB1124_222 Depth=1
	s_or_b64 exec, exec, s[26:27]
	s_and_b64 s[0:1], exec, s[0:1]
	s_or_b64 s[14:15], s[0:1], s[14:15]
	s_andn2_b64 s[0:1], s[16:17], exec
	s_and_b64 s[16:17], s[18:19], exec
	s_or_b64 s[16:17], s[0:1], s[16:17]
	s_andn2_b64 s[0:1], s[6:7], exec
	s_and_b64 s[6:7], s[20:21], exec
	s_or_b64 s[6:7], s[0:1], s[6:7]
	s_andn2_b64 exec, exec, s[14:15]
	s_cbranch_execz .LBB1124_226
.LBB1124_222:                           ; =>This Inner Loop Header: Depth=1
	flat_load_ushort v68, v[64:65]
	flat_load_ushort v69, v[54:55]
	s_or_b64 s[20:21], s[20:21], exec
	s_mov_b64 s[24:25], 0
	s_waitcnt vmcnt(0) lgkmcnt(0)
	v_lshlrev_b32_e32 v68, 16, v68
	v_lshlrev_b32_e32 v69, 16, v69
	v_cmp_nlt_f32_e64 s[0:1], v68, v69
	s_and_saveexec_b64 s[26:27], s[0:1]
; %bb.223:                              ;   in Loop: Header=BB1124_222 Depth=1
	v_cmp_ngt_f32_e64 s[0:1], v68, v69
	s_and_b64 s[22:23], s[0:1], s[22:23]
	s_andn2_b64 s[20:21], s[20:21], exec
	s_and_b64 s[22:23], s[22:23], exec
	s_or_b64 s[20:21], s[20:21], s[22:23]
	s_and_b64 s[24:25], s[0:1], exec
; %bb.224:                              ;   in Loop: Header=BB1124_222 Depth=1
	s_or_b64 exec, exec, s[26:27]
	s_mov_b64 s[0:1], -1
	s_or_b64 s[18:19], s[18:19], exec
                                        ; implicit-def: $sgpr22_sgpr23
	s_and_saveexec_b64 s[26:27], s[24:25]
	s_cbranch_execz .LBB1124_221
; %bb.225:                              ;   in Loop: Header=BB1124_222 Depth=1
	v_lshl_add_u64 v[66:67], v[66:67], 0, -1
	v_cmp_eq_u64_e64 s[0:1], 0, v[66:67]
	v_lshl_add_u64 v[54:55], v[54:55], 0, 2
	v_lshl_add_u64 v[64:65], v[64:65], 0, 2
	s_and_b64 s[22:23], s[20:21], exec
	s_andn2_b64 s[18:19], s[18:19], exec
	s_orn2_b64 s[0:1], s[0:1], exec
	s_branch .LBB1124_221
.LBB1124_226:
	s_or_b64 exec, exec, s[14:15]
	s_and_saveexec_b64 s[0:1], s[16:17]
	s_xor_b64 s[0:1], exec, s[0:1]
; %bb.227:
	v_cndmask_b32_e64 v55, v23, v21, s[6:7]
	v_cndmask_b32_e64 v54, v22, v20, s[6:7]
	;; [unrolled: 1-line block ×4, first 2 shown]
	v_mov_b64_e32 v[22:23], v[54:55]
; %bb.228:
	s_or_b64 exec, exec, s[0:1]
	v_mul_lo_u32 v64, v17, v6
	v_mul_lo_u32 v65, v16, v7
	v_mad_u64_u32 v[54:55], s[0:1], v16, v6, 0
	v_add3_u32 v55, v55, v65, v64
	v_mul_lo_u32 v66, v19, v6
	v_mul_lo_u32 v67, v18, v7
	v_mad_u64_u32 v[64:65], s[0:1], v18, v6, 0
	v_add3_u32 v65, v65, v67, v66
	v_lshl_add_u64 v[54:55], v[54:55], 1, v[8:9]
	v_lshl_add_u64 v[64:65], v[64:65], 1, v[8:9]
	s_mov_b64 s[14:15], 0
	v_mov_b64_e32 v[66:67], v[6:7]
                                        ; implicit-def: $sgpr6_sgpr7
                                        ; implicit-def: $sgpr16_sgpr17
                                        ; implicit-def: $sgpr18_sgpr19
                                        ; implicit-def: $sgpr20_sgpr21
                                        ; implicit-def: $sgpr22_sgpr23
	s_branch .LBB1124_230
.LBB1124_229:                           ;   in Loop: Header=BB1124_230 Depth=1
	s_or_b64 exec, exec, s[26:27]
	s_and_b64 s[0:1], exec, s[0:1]
	s_or_b64 s[14:15], s[0:1], s[14:15]
	s_andn2_b64 s[0:1], s[16:17], exec
	s_and_b64 s[16:17], s[18:19], exec
	s_or_b64 s[16:17], s[0:1], s[16:17]
	s_andn2_b64 s[0:1], s[6:7], exec
	s_and_b64 s[6:7], s[20:21], exec
	s_or_b64 s[6:7], s[0:1], s[6:7]
	s_andn2_b64 exec, exec, s[14:15]
	s_cbranch_execz .LBB1124_234
.LBB1124_230:                           ; =>This Inner Loop Header: Depth=1
	flat_load_ushort v68, v[64:65]
	flat_load_ushort v69, v[54:55]
	s_or_b64 s[20:21], s[20:21], exec
	s_mov_b64 s[24:25], 0
	s_waitcnt vmcnt(0) lgkmcnt(0)
	v_lshlrev_b32_e32 v68, 16, v68
	v_lshlrev_b32_e32 v69, 16, v69
	v_cmp_nlt_f32_e64 s[0:1], v68, v69
	s_and_saveexec_b64 s[26:27], s[0:1]
; %bb.231:                              ;   in Loop: Header=BB1124_230 Depth=1
	v_cmp_ngt_f32_e64 s[0:1], v68, v69
	s_and_b64 s[22:23], s[0:1], s[22:23]
	s_andn2_b64 s[20:21], s[20:21], exec
	s_and_b64 s[22:23], s[22:23], exec
	s_or_b64 s[20:21], s[20:21], s[22:23]
	s_and_b64 s[24:25], s[0:1], exec
; %bb.232:                              ;   in Loop: Header=BB1124_230 Depth=1
	s_or_b64 exec, exec, s[26:27]
	s_mov_b64 s[0:1], -1
	s_or_b64 s[18:19], s[18:19], exec
                                        ; implicit-def: $sgpr22_sgpr23
	s_and_saveexec_b64 s[26:27], s[24:25]
	s_cbranch_execz .LBB1124_229
; %bb.233:                              ;   in Loop: Header=BB1124_230 Depth=1
	v_lshl_add_u64 v[66:67], v[66:67], 0, -1
	v_cmp_eq_u64_e64 s[0:1], 0, v[66:67]
	v_lshl_add_u64 v[54:55], v[54:55], 0, 2
	v_lshl_add_u64 v[64:65], v[64:65], 0, 2
	s_and_b64 s[22:23], s[20:21], exec
	s_andn2_b64 s[18:19], s[18:19], exec
	s_orn2_b64 s[0:1], s[0:1], exec
	s_branch .LBB1124_229
.LBB1124_234:
	s_or_b64 exec, exec, s[14:15]
	s_and_saveexec_b64 s[0:1], s[16:17]
	s_xor_b64 s[0:1], exec, s[0:1]
; %bb.235:
	v_cndmask_b32_e64 v55, v17, v19, s[6:7]
	v_cndmask_b32_e64 v54, v16, v18, s[6:7]
	;; [unrolled: 1-line block ×4, first 2 shown]
	v_mov_b64_e32 v[16:17], v[54:55]
; %bb.236:
	s_or_b64 exec, exec, s[0:1]
	v_mul_lo_u32 v64, v13, v6
	v_mul_lo_u32 v65, v12, v7
	v_mad_u64_u32 v[54:55], s[0:1], v12, v6, 0
	v_add3_u32 v55, v55, v65, v64
	v_mul_lo_u32 v66, v15, v6
	v_mul_lo_u32 v67, v14, v7
	v_mad_u64_u32 v[64:65], s[0:1], v14, v6, 0
	v_add3_u32 v65, v65, v67, v66
	v_lshl_add_u64 v[54:55], v[54:55], 1, v[8:9]
	v_lshl_add_u64 v[64:65], v[64:65], 1, v[8:9]
	s_mov_b64 s[14:15], 0
	v_mov_b64_e32 v[66:67], v[6:7]
                                        ; implicit-def: $sgpr6_sgpr7
                                        ; implicit-def: $sgpr16_sgpr17
                                        ; implicit-def: $sgpr18_sgpr19
                                        ; implicit-def: $sgpr20_sgpr21
                                        ; implicit-def: $sgpr22_sgpr23
	s_branch .LBB1124_238
.LBB1124_237:                           ;   in Loop: Header=BB1124_238 Depth=1
	s_or_b64 exec, exec, s[26:27]
	s_and_b64 s[0:1], exec, s[0:1]
	s_or_b64 s[14:15], s[0:1], s[14:15]
	s_andn2_b64 s[0:1], s[16:17], exec
	s_and_b64 s[16:17], s[18:19], exec
	s_or_b64 s[16:17], s[0:1], s[16:17]
	s_andn2_b64 s[0:1], s[6:7], exec
	s_and_b64 s[6:7], s[20:21], exec
	s_or_b64 s[6:7], s[0:1], s[6:7]
	s_andn2_b64 exec, exec, s[14:15]
	s_cbranch_execz .LBB1124_242
.LBB1124_238:                           ; =>This Inner Loop Header: Depth=1
	flat_load_ushort v68, v[64:65]
	flat_load_ushort v69, v[54:55]
	s_or_b64 s[20:21], s[20:21], exec
	s_mov_b64 s[24:25], 0
	s_waitcnt vmcnt(0) lgkmcnt(0)
	v_lshlrev_b32_e32 v68, 16, v68
	v_lshlrev_b32_e32 v69, 16, v69
	v_cmp_nlt_f32_e64 s[0:1], v68, v69
	s_and_saveexec_b64 s[26:27], s[0:1]
; %bb.239:                              ;   in Loop: Header=BB1124_238 Depth=1
	v_cmp_ngt_f32_e64 s[0:1], v68, v69
	s_and_b64 s[22:23], s[0:1], s[22:23]
	s_andn2_b64 s[20:21], s[20:21], exec
	s_and_b64 s[22:23], s[22:23], exec
	s_or_b64 s[20:21], s[20:21], s[22:23]
	s_and_b64 s[24:25], s[0:1], exec
; %bb.240:                              ;   in Loop: Header=BB1124_238 Depth=1
	s_or_b64 exec, exec, s[26:27]
	s_mov_b64 s[0:1], -1
	s_or_b64 s[18:19], s[18:19], exec
                                        ; implicit-def: $sgpr22_sgpr23
	s_and_saveexec_b64 s[26:27], s[24:25]
	s_cbranch_execz .LBB1124_237
; %bb.241:                              ;   in Loop: Header=BB1124_238 Depth=1
	v_lshl_add_u64 v[66:67], v[66:67], 0, -1
	v_cmp_eq_u64_e64 s[0:1], 0, v[66:67]
	v_lshl_add_u64 v[54:55], v[54:55], 0, 2
	v_lshl_add_u64 v[64:65], v[64:65], 0, 2
	s_and_b64 s[22:23], s[20:21], exec
	s_andn2_b64 s[18:19], s[18:19], exec
	s_orn2_b64 s[0:1], s[0:1], exec
	s_branch .LBB1124_237
.LBB1124_242:
	s_or_b64 exec, exec, s[14:15]
	s_and_saveexec_b64 s[0:1], s[16:17]
	s_xor_b64 s[0:1], exec, s[0:1]
; %bb.243:
	v_cndmask_b32_e64 v55, v13, v15, s[6:7]
	v_cndmask_b32_e64 v54, v12, v14, s[6:7]
	;; [unrolled: 1-line block ×4, first 2 shown]
	v_mov_b64_e32 v[12:13], v[54:55]
; %bb.244:
	s_or_b64 exec, exec, s[0:1]
	v_mul_lo_u32 v64, v1, v6
	v_mul_lo_u32 v65, v0, v7
	v_mad_u64_u32 v[54:55], s[0:1], v0, v6, 0
	v_add3_u32 v55, v55, v65, v64
	v_mul_lo_u32 v66, v3, v6
	v_mul_lo_u32 v67, v2, v7
	v_mad_u64_u32 v[64:65], s[0:1], v2, v6, 0
	v_add3_u32 v65, v65, v67, v66
	v_lshl_add_u64 v[54:55], v[54:55], 1, v[8:9]
	v_lshl_add_u64 v[64:65], v[64:65], 1, v[8:9]
	s_mov_b64 s[16:17], 0
	v_mov_b64_e32 v[66:67], v[6:7]
                                        ; implicit-def: $sgpr6_sgpr7
                                        ; implicit-def: $sgpr14_sgpr15
                                        ; implicit-def: $sgpr18_sgpr19
                                        ; implicit-def: $sgpr20_sgpr21
                                        ; implicit-def: $sgpr22_sgpr23
	s_branch .LBB1124_246
.LBB1124_245:                           ;   in Loop: Header=BB1124_246 Depth=1
	s_or_b64 exec, exec, s[26:27]
	s_and_b64 s[0:1], exec, s[0:1]
	s_or_b64 s[16:17], s[0:1], s[16:17]
	s_andn2_b64 s[0:1], s[14:15], exec
	s_and_b64 s[14:15], s[18:19], exec
	s_or_b64 s[14:15], s[0:1], s[14:15]
	s_andn2_b64 s[0:1], s[6:7], exec
	s_and_b64 s[6:7], s[20:21], exec
	s_or_b64 s[6:7], s[0:1], s[6:7]
	s_andn2_b64 exec, exec, s[16:17]
	s_cbranch_execz .LBB1124_250
.LBB1124_246:                           ; =>This Inner Loop Header: Depth=1
	flat_load_ushort v68, v[64:65]
	flat_load_ushort v69, v[54:55]
	s_or_b64 s[20:21], s[20:21], exec
	s_mov_b64 s[24:25], 0
	s_waitcnt vmcnt(0) lgkmcnt(0)
	v_lshlrev_b32_e32 v68, 16, v68
	v_lshlrev_b32_e32 v69, 16, v69
	v_cmp_nlt_f32_e64 s[0:1], v68, v69
	s_and_saveexec_b64 s[26:27], s[0:1]
; %bb.247:                              ;   in Loop: Header=BB1124_246 Depth=1
	v_cmp_ngt_f32_e64 s[0:1], v68, v69
	s_and_b64 s[22:23], s[0:1], s[22:23]
	s_andn2_b64 s[20:21], s[20:21], exec
	s_and_b64 s[22:23], s[22:23], exec
	s_or_b64 s[20:21], s[20:21], s[22:23]
	s_and_b64 s[24:25], s[0:1], exec
; %bb.248:                              ;   in Loop: Header=BB1124_246 Depth=1
	s_or_b64 exec, exec, s[26:27]
	s_mov_b64 s[0:1], -1
	s_or_b64 s[18:19], s[18:19], exec
                                        ; implicit-def: $sgpr22_sgpr23
	s_and_saveexec_b64 s[26:27], s[24:25]
	s_cbranch_execz .LBB1124_245
; %bb.249:                              ;   in Loop: Header=BB1124_246 Depth=1
	v_lshl_add_u64 v[66:67], v[66:67], 0, -1
	v_cmp_eq_u64_e64 s[0:1], 0, v[66:67]
	v_lshl_add_u64 v[54:55], v[54:55], 0, 2
	v_lshl_add_u64 v[64:65], v[64:65], 0, 2
	s_and_b64 s[22:23], s[20:21], exec
	s_andn2_b64 s[18:19], s[18:19], exec
	s_orn2_b64 s[0:1], s[0:1], exec
	s_branch .LBB1124_245
.LBB1124_250:
	s_or_b64 exec, exec, s[16:17]
	s_and_saveexec_b64 s[0:1], s[14:15]
	s_xor_b64 s[0:1], exec, s[0:1]
; %bb.251:
	v_cndmask_b32_e64 v55, v1, v3, s[6:7]
	v_cndmask_b32_e64 v54, v0, v2, s[6:7]
	;; [unrolled: 1-line block ×4, first 2 shown]
	v_mov_b64_e32 v[0:1], v[54:55]
; %bb.252:
	s_or_b64 exec, exec, s[0:1]
	s_or_b64 exec, exec, s[4:5]
	s_and_saveexec_b64 s[4:5], vcc
	s_cbranch_execz .LBB1124_29
.LBB1124_253:
	v_mul_lo_u32 v64, v23, v6
	v_mul_lo_u32 v65, v22, v7
	v_mad_u64_u32 v[54:55], s[0:1], v22, v6, 0
	v_add3_u32 v55, v55, v65, v64
	v_mul_lo_u32 v66, v17, v6
	v_mul_lo_u32 v67, v16, v7
	v_mad_u64_u32 v[64:65], s[0:1], v16, v6, 0
	v_add3_u32 v65, v65, v67, v66
	v_lshl_add_u64 v[54:55], v[54:55], 1, v[8:9]
	v_lshl_add_u64 v[64:65], v[64:65], 1, v[8:9]
	s_mov_b64 s[14:15], 0
	v_mov_b64_e32 v[66:67], v[6:7]
                                        ; implicit-def: $sgpr6_sgpr7
                                        ; implicit-def: $sgpr16_sgpr17
                                        ; implicit-def: $sgpr18_sgpr19
                                        ; implicit-def: $sgpr20_sgpr21
                                        ; implicit-def: $sgpr22_sgpr23
	s_branch .LBB1124_255
.LBB1124_254:                           ;   in Loop: Header=BB1124_255 Depth=1
	s_or_b64 exec, exec, s[26:27]
	s_and_b64 s[0:1], exec, s[0:1]
	s_or_b64 s[14:15], s[0:1], s[14:15]
	s_andn2_b64 s[0:1], s[16:17], exec
	s_and_b64 s[16:17], s[18:19], exec
	s_or_b64 s[16:17], s[0:1], s[16:17]
	s_andn2_b64 s[0:1], s[6:7], exec
	s_and_b64 s[6:7], s[20:21], exec
	s_or_b64 s[6:7], s[0:1], s[6:7]
	s_andn2_b64 exec, exec, s[14:15]
	s_cbranch_execz .LBB1124_259
.LBB1124_255:                           ; =>This Inner Loop Header: Depth=1
	flat_load_ushort v68, v[64:65]
	flat_load_ushort v69, v[54:55]
	s_or_b64 s[20:21], s[20:21], exec
	s_mov_b64 s[24:25], 0
	s_waitcnt vmcnt(0) lgkmcnt(0)
	v_lshlrev_b32_e32 v68, 16, v68
	v_lshlrev_b32_e32 v69, 16, v69
	v_cmp_nlt_f32_e64 s[0:1], v68, v69
	s_and_saveexec_b64 s[26:27], s[0:1]
; %bb.256:                              ;   in Loop: Header=BB1124_255 Depth=1
	v_cmp_ngt_f32_e64 s[0:1], v68, v69
	s_and_b64 s[22:23], s[0:1], s[22:23]
	s_andn2_b64 s[20:21], s[20:21], exec
	s_and_b64 s[22:23], s[22:23], exec
	s_or_b64 s[20:21], s[20:21], s[22:23]
	s_and_b64 s[24:25], s[0:1], exec
; %bb.257:                              ;   in Loop: Header=BB1124_255 Depth=1
	s_or_b64 exec, exec, s[26:27]
	s_mov_b64 s[0:1], -1
	s_or_b64 s[18:19], s[18:19], exec
                                        ; implicit-def: $sgpr22_sgpr23
	s_and_saveexec_b64 s[26:27], s[24:25]
	s_cbranch_execz .LBB1124_254
; %bb.258:                              ;   in Loop: Header=BB1124_255 Depth=1
	v_lshl_add_u64 v[66:67], v[66:67], 0, -1
	v_cmp_eq_u64_e64 s[0:1], 0, v[66:67]
	v_lshl_add_u64 v[54:55], v[54:55], 0, 2
	v_lshl_add_u64 v[64:65], v[64:65], 0, 2
	s_and_b64 s[22:23], s[20:21], exec
	s_andn2_b64 s[18:19], s[18:19], exec
	s_orn2_b64 s[0:1], s[0:1], exec
	s_branch .LBB1124_254
.LBB1124_259:
	s_or_b64 exec, exec, s[14:15]
	s_and_saveexec_b64 s[0:1], s[16:17]
	s_xor_b64 s[0:1], exec, s[0:1]
; %bb.260:
	v_cndmask_b32_e64 v55, v23, v17, s[6:7]
	v_cndmask_b32_e64 v54, v22, v16, s[6:7]
	;; [unrolled: 1-line block ×4, first 2 shown]
	v_mov_b64_e32 v[22:23], v[54:55]
; %bb.261:
	s_or_b64 exec, exec, s[0:1]
	s_or_b64 exec, exec, s[4:5]
	s_and_saveexec_b64 s[4:5], vcc
	s_cbranch_execz .LBB1124_30
.LBB1124_262:
	v_mul_lo_u32 v64, v19, v6
	v_mul_lo_u32 v65, v18, v7
	v_mad_u64_u32 v[54:55], s[0:1], v18, v6, 0
	v_add3_u32 v55, v55, v65, v64
	v_mul_lo_u32 v66, v13, v6
	v_mul_lo_u32 v67, v12, v7
	v_mad_u64_u32 v[64:65], s[0:1], v12, v6, 0
	v_add3_u32 v65, v65, v67, v66
	v_lshl_add_u64 v[54:55], v[54:55], 1, v[8:9]
	v_lshl_add_u64 v[64:65], v[64:65], 1, v[8:9]
	s_mov_b64 s[14:15], 0
	v_mov_b64_e32 v[66:67], v[6:7]
                                        ; implicit-def: $sgpr6_sgpr7
                                        ; implicit-def: $sgpr16_sgpr17
                                        ; implicit-def: $sgpr18_sgpr19
                                        ; implicit-def: $sgpr20_sgpr21
                                        ; implicit-def: $sgpr22_sgpr23
	s_branch .LBB1124_264
.LBB1124_263:                           ;   in Loop: Header=BB1124_264 Depth=1
	s_or_b64 exec, exec, s[26:27]
	s_and_b64 s[0:1], exec, s[0:1]
	s_or_b64 s[14:15], s[0:1], s[14:15]
	s_andn2_b64 s[0:1], s[16:17], exec
	s_and_b64 s[16:17], s[18:19], exec
	s_or_b64 s[16:17], s[0:1], s[16:17]
	s_andn2_b64 s[0:1], s[6:7], exec
	s_and_b64 s[6:7], s[20:21], exec
	s_or_b64 s[6:7], s[0:1], s[6:7]
	s_andn2_b64 exec, exec, s[14:15]
	s_cbranch_execz .LBB1124_268
.LBB1124_264:                           ; =>This Inner Loop Header: Depth=1
	flat_load_ushort v68, v[64:65]
	flat_load_ushort v69, v[54:55]
	s_or_b64 s[20:21], s[20:21], exec
	s_mov_b64 s[24:25], 0
	s_waitcnt vmcnt(0) lgkmcnt(0)
	v_lshlrev_b32_e32 v68, 16, v68
	v_lshlrev_b32_e32 v69, 16, v69
	v_cmp_nlt_f32_e64 s[0:1], v68, v69
	s_and_saveexec_b64 s[26:27], s[0:1]
; %bb.265:                              ;   in Loop: Header=BB1124_264 Depth=1
	v_cmp_ngt_f32_e64 s[0:1], v68, v69
	s_and_b64 s[22:23], s[0:1], s[22:23]
	s_andn2_b64 s[20:21], s[20:21], exec
	s_and_b64 s[22:23], s[22:23], exec
	s_or_b64 s[20:21], s[20:21], s[22:23]
	s_and_b64 s[24:25], s[0:1], exec
; %bb.266:                              ;   in Loop: Header=BB1124_264 Depth=1
	s_or_b64 exec, exec, s[26:27]
	s_mov_b64 s[0:1], -1
	s_or_b64 s[18:19], s[18:19], exec
                                        ; implicit-def: $sgpr22_sgpr23
	s_and_saveexec_b64 s[26:27], s[24:25]
	s_cbranch_execz .LBB1124_263
; %bb.267:                              ;   in Loop: Header=BB1124_264 Depth=1
	v_lshl_add_u64 v[66:67], v[66:67], 0, -1
	v_cmp_eq_u64_e64 s[0:1], 0, v[66:67]
	v_lshl_add_u64 v[54:55], v[54:55], 0, 2
	v_lshl_add_u64 v[64:65], v[64:65], 0, 2
	s_and_b64 s[22:23], s[20:21], exec
	s_andn2_b64 s[18:19], s[18:19], exec
	s_orn2_b64 s[0:1], s[0:1], exec
	s_branch .LBB1124_263
.LBB1124_268:
	s_or_b64 exec, exec, s[14:15]
	s_and_saveexec_b64 s[0:1], s[16:17]
	s_xor_b64 s[0:1], exec, s[0:1]
; %bb.269:
	v_cndmask_b32_e64 v55, v19, v13, s[6:7]
	v_cndmask_b32_e64 v54, v18, v12, s[6:7]
	;; [unrolled: 1-line block ×4, first 2 shown]
	v_mov_b64_e32 v[18:19], v[54:55]
; %bb.270:
	s_or_b64 exec, exec, s[0:1]
	s_or_b64 exec, exec, s[4:5]
	s_and_saveexec_b64 s[4:5], vcc
	s_cbranch_execz .LBB1124_280
.LBB1124_271:
	v_mul_lo_u32 v64, v15, v6
	v_mul_lo_u32 v65, v14, v7
	v_mad_u64_u32 v[54:55], s[0:1], v14, v6, 0
	v_add3_u32 v55, v55, v65, v64
	v_mul_lo_u32 v66, v1, v6
	v_mul_lo_u32 v67, v0, v7
	v_mad_u64_u32 v[64:65], s[0:1], v0, v6, 0
	v_add3_u32 v65, v65, v67, v66
	v_lshl_add_u64 v[54:55], v[54:55], 1, v[8:9]
	v_lshl_add_u64 v[64:65], v[64:65], 1, v[8:9]
	s_mov_b64 s[16:17], 0
	v_mov_b64_e32 v[66:67], v[6:7]
                                        ; implicit-def: $sgpr6_sgpr7
                                        ; implicit-def: $sgpr14_sgpr15
                                        ; implicit-def: $sgpr18_sgpr19
                                        ; implicit-def: $sgpr20_sgpr21
                                        ; implicit-def: $sgpr22_sgpr23
	s_branch .LBB1124_273
.LBB1124_272:                           ;   in Loop: Header=BB1124_273 Depth=1
	s_or_b64 exec, exec, s[26:27]
	s_and_b64 s[0:1], exec, s[0:1]
	s_or_b64 s[16:17], s[0:1], s[16:17]
	s_andn2_b64 s[0:1], s[14:15], exec
	s_and_b64 s[14:15], s[18:19], exec
	s_or_b64 s[14:15], s[0:1], s[14:15]
	s_andn2_b64 s[0:1], s[6:7], exec
	s_and_b64 s[6:7], s[20:21], exec
	s_or_b64 s[6:7], s[0:1], s[6:7]
	s_andn2_b64 exec, exec, s[16:17]
	s_cbranch_execz .LBB1124_277
.LBB1124_273:                           ; =>This Inner Loop Header: Depth=1
	flat_load_ushort v68, v[64:65]
	flat_load_ushort v69, v[54:55]
	s_or_b64 s[20:21], s[20:21], exec
	s_mov_b64 s[24:25], 0
	s_waitcnt vmcnt(0) lgkmcnt(0)
	v_lshlrev_b32_e32 v68, 16, v68
	v_lshlrev_b32_e32 v69, 16, v69
	v_cmp_nlt_f32_e64 s[0:1], v68, v69
	s_and_saveexec_b64 s[26:27], s[0:1]
; %bb.274:                              ;   in Loop: Header=BB1124_273 Depth=1
	v_cmp_ngt_f32_e64 s[0:1], v68, v69
	s_and_b64 s[22:23], s[0:1], s[22:23]
	s_andn2_b64 s[20:21], s[20:21], exec
	s_and_b64 s[22:23], s[22:23], exec
	s_or_b64 s[20:21], s[20:21], s[22:23]
	s_and_b64 s[24:25], s[0:1], exec
; %bb.275:                              ;   in Loop: Header=BB1124_273 Depth=1
	s_or_b64 exec, exec, s[26:27]
	s_mov_b64 s[0:1], -1
	s_or_b64 s[18:19], s[18:19], exec
                                        ; implicit-def: $sgpr22_sgpr23
	s_and_saveexec_b64 s[26:27], s[24:25]
	s_cbranch_execz .LBB1124_272
; %bb.276:                              ;   in Loop: Header=BB1124_273 Depth=1
	v_lshl_add_u64 v[66:67], v[66:67], 0, -1
	v_cmp_eq_u64_e64 s[0:1], 0, v[66:67]
	v_lshl_add_u64 v[54:55], v[54:55], 0, 2
	v_lshl_add_u64 v[64:65], v[64:65], 0, 2
	s_and_b64 s[22:23], s[20:21], exec
	s_andn2_b64 s[18:19], s[18:19], exec
	s_orn2_b64 s[0:1], s[0:1], exec
	s_branch .LBB1124_272
.LBB1124_277:
	s_or_b64 exec, exec, s[16:17]
	s_and_saveexec_b64 s[0:1], s[14:15]
	s_xor_b64 s[0:1], exec, s[0:1]
; %bb.278:
	v_cndmask_b32_e64 v55, v15, v1, s[6:7]
	v_cndmask_b32_e64 v54, v14, v0, s[6:7]
	;; [unrolled: 1-line block ×4, first 2 shown]
	v_mov_b64_e32 v[14:15], v[54:55]
; %bb.279:
	s_or_b64 exec, exec, s[0:1]
.LBB1124_280:
	s_or_b64 exec, exec, s[4:5]
.LBB1124_281:
	s_or_b64 exec, exec, s[2:3]
	v_mbcnt_lo_u32_b32 v54, -1, 0
	v_mbcnt_hi_u32_b32 v64, -1, v54
	v_and_b32_e32 v66, 0xfffffe00, v31
	s_movk_i32 s0, 0x800
	v_mov_b32_e32 v67, 0
	v_sub_u32_e64 v31, s0, v66 clamp
	v_lshl_add_u64 v[54:55], v[66:67], 3, v[10:11]
	v_lshlrev_b32_e32 v98, 3, v64
	v_lshlrev_b32_e32 v66, 6, v64
	v_lshl_add_u64 v[64:65], v[54:55], 0, v[66:67]
	v_or_b32_e32 v66, 8, v98
	v_min_u32_e32 v99, v31, v66
	v_add_u32_e32 v66, 8, v99
	v_and_b32_e32 v101, 0x3f0, v98
	v_min_u32_e32 v100, v31, v66
	v_and_b32_e32 v66, 8, v98
	v_min_u32_e32 v102, v31, v66
	v_sub_u32_e32 v66, v99, v101
	v_sub_u32_e32 v68, v100, v99
	v_sub_u32_e64 v103, v102, v68 clamp
	v_min_u32_e32 v112, v102, v66
	v_cmp_lt_u32_e64 s[0:1], v103, v112
	flat_store_dwordx4 v[64:65], v[20:23]
	flat_store_dwordx4 v[64:65], v[16:19] offset:16
	flat_store_dwordx4 v[64:65], v[12:15] offset:32
	;; [unrolled: 1-line block ×3, first 2 shown]
	; wave barrier
	s_and_saveexec_b64 s[2:3], s[0:1]
	s_cbranch_execz .LBB1124_293
; %bb.282:
	v_lshlrev_b32_e32 v66, 3, v101
	v_lshl_add_u64 v[68:69], v[54:55], 0, v[66:67]
	v_lshlrev_b32_e32 v66, 3, v99
	v_lshl_add_u64 v[70:71], v[54:55], 0, v[66:67]
	v_lshlrev_b64 v[80:81], 1, v[6:7]
	s_mov_b64 s[4:5], 0
	s_branch .LBB1124_285
.LBB1124_283:                           ;   in Loop: Header=BB1124_285 Depth=1
	s_or_b64 exec, exec, s[14:15]
	s_and_b64 s[0:1], s[16:17], exec
.LBB1124_284:                           ;   in Loop: Header=BB1124_285 Depth=1
	s_or_b64 exec, exec, s[6:7]
	v_add_u32_e32 v66, 1, v82
	v_cndmask_b32_e64 v112, v112, v82, s[0:1]
	v_cndmask_b32_e64 v103, v66, v103, s[0:1]
	v_cmp_ge_u32_e64 s[0:1], v103, v112
	s_or_b64 s[4:5], s[0:1], s[4:5]
	s_andn2_b64 exec, exec, s[4:5]
	s_cbranch_execz .LBB1124_292
.LBB1124_285:                           ; =>This Loop Header: Depth=1
                                        ;     Child Loop BB1124_288 Depth 2
	v_add_u32_e32 v66, v112, v103
	v_lshrrev_b32_e32 v82, 1, v66
	s_mov_b64 s[0:1], 0
	s_and_saveexec_b64 s[6:7], vcc
	s_cbranch_execz .LBB1124_284
; %bb.286:                              ;   in Loop: Header=BB1124_285 Depth=1
	v_mov_b32_e32 v83, v67
	v_xad_u32 v66, v82, -1, v102
	v_lshl_add_u64 v[84:85], v[82:83], 3, v[68:69]
	v_lshl_add_u64 v[86:87], v[66:67], 3, v[70:71]
	flat_load_dwordx2 v[84:85], v[84:85]
	s_mov_b64 s[14:15], 0
	flat_load_dwordx2 v[86:87], v[86:87]
                                        ; implicit-def: $sgpr16_sgpr17
                                        ; implicit-def: $sgpr18_sgpr19
                                        ; implicit-def: $sgpr20_sgpr21
	s_waitcnt vmcnt(0) lgkmcnt(0)
	v_mul_lo_u32 v66, v80, v85
	v_mul_lo_u32 v83, v81, v84
	v_mad_u64_u32 v[84:85], s[0:1], v80, v84, v[8:9]
	v_mul_lo_u32 v96, v80, v87
	v_mul_lo_u32 v97, v81, v86
	v_mad_u64_u32 v[86:87], s[0:1], v80, v86, v[8:9]
	v_add3_u32 v85, v83, v85, v66
	v_add3_u32 v87, v97, v87, v96
	v_mov_b64_e32 v[96:97], v[6:7]
	s_branch .LBB1124_288
.LBB1124_287:                           ;   in Loop: Header=BB1124_288 Depth=2
	s_or_b64 exec, exec, s[28:29]
	s_and_b64 s[0:1], exec, s[22:23]
	s_or_b64 s[14:15], s[0:1], s[14:15]
	s_andn2_b64 s[0:1], s[16:17], exec
	s_and_b64 s[16:17], s[18:19], exec
	s_or_b64 s[16:17], s[0:1], s[16:17]
	s_andn2_b64 exec, exec, s[14:15]
	s_cbranch_execz .LBB1124_283
.LBB1124_288:                           ;   Parent Loop BB1124_285 Depth=1
                                        ; =>  This Inner Loop Header: Depth=2
	flat_load_ushort v66, v[86:87]
	flat_load_ushort v83, v[84:85]
	s_mov_b64 s[22:23], -1
	s_mov_b64 s[26:27], 0
	s_mov_b64 s[24:25], -1
	s_waitcnt vmcnt(0) lgkmcnt(0)
	v_lshlrev_b32_e32 v66, 16, v66
	v_lshlrev_b32_e32 v83, 16, v83
	v_cmp_nlt_f32_e64 s[0:1], v66, v83
	s_and_saveexec_b64 s[28:29], s[0:1]
; %bb.289:                              ;   in Loop: Header=BB1124_288 Depth=2
	v_cmp_ngt_f32_e64 s[0:1], v66, v83
	s_and_b64 s[20:21], s[0:1], s[20:21]
	s_orn2_b64 s[24:25], s[20:21], exec
	s_and_b64 s[26:27], s[0:1], exec
; %bb.290:                              ;   in Loop: Header=BB1124_288 Depth=2
	s_or_b64 exec, exec, s[28:29]
	s_andn2_b64 s[0:1], s[18:19], exec
	s_and_b64 s[18:19], s[24:25], exec
	s_or_b64 s[18:19], s[0:1], s[18:19]
                                        ; implicit-def: $sgpr20_sgpr21
	s_and_saveexec_b64 s[28:29], s[26:27]
	s_cbranch_execz .LBB1124_287
; %bb.291:                              ;   in Loop: Header=BB1124_288 Depth=2
	v_lshl_add_u64 v[96:97], v[96:97], 0, -1
	v_cmp_eq_u64_e64 s[0:1], 0, v[96:97]
	v_lshl_add_u64 v[84:85], v[84:85], 0, 2
	v_lshl_add_u64 v[86:87], v[86:87], 0, 2
	s_andn2_b64 s[18:19], s[18:19], exec
	s_and_b64 s[20:21], s[24:25], exec
	s_orn2_b64 s[22:23], s[0:1], exec
	s_branch .LBB1124_287
.LBB1124_292:
	s_or_b64 exec, exec, s[4:5]
.LBB1124_293:
	s_or_b64 exec, exec, s[2:3]
	v_add_u32_e32 v67, v99, v102
	v_add_u32_e32 v66, v103, v101
	v_sub_u32_e32 v68, v67, v103
	v_cmp_le_u32_e64 s[4:5], v66, v99
	v_cmp_le_u32_e64 s[6:7], v68, v100
	v_cmp_gt_i64_e64 s[0:1], 1, v[6:7]
	v_cmp_lt_i64_e64 s[2:3], 0, v[6:7]
	s_or_b64 s[4:5], s[4:5], s[6:7]
	s_and_saveexec_b64 s[14:15], s[4:5]
	s_cbranch_execz .LBB1124_381
; %bb.294:
	v_cmp_ge_u32_e64 s[4:5], v66, v99
	v_cmp_lt_u32_e64 s[6:7], v66, v99
                                        ; implicit-def: $vgpr0_vgpr1
	s_and_saveexec_b64 s[16:17], s[6:7]
	s_cbranch_execz .LBB1124_296
; %bb.295:
	v_mov_b32_e32 v67, 0
	v_lshl_add_u64 v[0:1], v[66:67], 3, v[54:55]
	flat_load_dwordx2 v[0:1], v[0:1]
.LBB1124_296:
	s_or_b64 exec, exec, s[16:17]
	v_cmp_ge_u32_e64 s[16:17], v68, v100
	v_cmp_lt_u32_e64 s[6:7], v68, v100
                                        ; implicit-def: $vgpr2_vgpr3
	s_and_saveexec_b64 s[18:19], s[6:7]
	s_cbranch_execz .LBB1124_298
; %bb.297:
	v_mov_b32_e32 v69, 0
	v_lshl_add_u64 v[2:3], v[68:69], 3, v[54:55]
	flat_load_dwordx2 v[2:3], v[2:3]
.LBB1124_298:
	s_or_b64 exec, exec, s[18:19]
	s_or_b64 s[4:5], s[4:5], s[16:17]
	s_xor_b64 s[4:5], s[4:5], -1
	s_and_saveexec_b64 s[6:7], s[4:5]
	s_cbranch_execz .LBB1124_308
; %bb.299:
	s_mov_b64 s[4:5], 0
	s_and_saveexec_b64 s[18:19], s[2:3]
	s_cbranch_execz .LBB1124_307
; %bb.300:
	s_waitcnt vmcnt(0) lgkmcnt(0)
	v_mul_lo_u32 v14, v1, v6
	v_mul_lo_u32 v15, v0, v7
	v_mad_u64_u32 v[12:13], s[4:5], v0, v6, 0
	v_add3_u32 v13, v13, v15, v14
	v_mul_lo_u32 v16, v3, v6
	v_mul_lo_u32 v17, v2, v7
	v_mad_u64_u32 v[14:15], s[4:5], v2, v6, 0
	v_add3_u32 v15, v15, v17, v16
	v_lshl_add_u64 v[12:13], v[12:13], 1, v[8:9]
	v_lshl_add_u64 v[14:15], v[14:15], 1, v[8:9]
	s_mov_b64 s[20:21], 0
	v_mov_b64_e32 v[16:17], v[6:7]
                                        ; implicit-def: $sgpr22_sgpr23
                                        ; implicit-def: $sgpr24_sgpr25
                                        ; implicit-def: $sgpr26_sgpr27
	s_branch .LBB1124_302
.LBB1124_301:                           ;   in Loop: Header=BB1124_302 Depth=1
	s_or_b64 exec, exec, s[34:35]
	s_and_b64 s[4:5], exec, s[4:5]
	s_or_b64 s[20:21], s[4:5], s[20:21]
	s_andn2_b64 s[4:5], s[22:23], exec
	s_and_b64 s[22:23], s[24:25], exec
	s_or_b64 s[22:23], s[4:5], s[22:23]
	s_andn2_b64 exec, exec, s[20:21]
	s_cbranch_execz .LBB1124_306
.LBB1124_302:                           ; =>This Inner Loop Header: Depth=1
	flat_load_ushort v18, v[14:15]
	flat_load_ushort v19, v[12:13]
	s_mov_b64 s[30:31], 0
	s_mov_b64 s[28:29], -1
	s_waitcnt vmcnt(0) lgkmcnt(0)
	v_lshlrev_b32_e32 v18, 16, v18
	v_lshlrev_b32_e32 v19, 16, v19
	v_cmp_nlt_f32_e64 s[4:5], v18, v19
	s_and_saveexec_b64 s[34:35], s[4:5]
; %bb.303:                              ;   in Loop: Header=BB1124_302 Depth=1
	v_cmp_ngt_f32_e64 s[4:5], v18, v19
	s_and_b64 s[26:27], s[4:5], s[26:27]
	s_orn2_b64 s[28:29], s[26:27], exec
	s_and_b64 s[30:31], s[4:5], exec
; %bb.304:                              ;   in Loop: Header=BB1124_302 Depth=1
	s_or_b64 exec, exec, s[34:35]
	s_andn2_b64 s[24:25], s[24:25], exec
	s_and_b64 s[26:27], s[28:29], exec
	s_mov_b64 s[4:5], -1
	s_or_b64 s[24:25], s[24:25], s[26:27]
                                        ; implicit-def: $sgpr26_sgpr27
	s_and_saveexec_b64 s[34:35], s[30:31]
	s_cbranch_execz .LBB1124_301
; %bb.305:                              ;   in Loop: Header=BB1124_302 Depth=1
	v_lshl_add_u64 v[16:17], v[16:17], 0, -1
	v_cmp_eq_u64_e64 s[4:5], 0, v[16:17]
	v_lshl_add_u64 v[12:13], v[12:13], 0, 2
	v_lshl_add_u64 v[14:15], v[14:15], 0, 2
	s_andn2_b64 s[24:25], s[24:25], exec
	s_and_b64 s[26:27], s[28:29], exec
	s_orn2_b64 s[4:5], s[4:5], exec
	s_branch .LBB1124_301
.LBB1124_306:
	s_or_b64 exec, exec, s[20:21]
	s_and_b64 s[4:5], s[22:23], exec
.LBB1124_307:
	s_or_b64 exec, exec, s[18:19]
	s_xor_b64 s[4:5], s[4:5], -1
	s_andn2_b64 s[16:17], s[16:17], exec
	s_and_b64 s[4:5], s[4:5], exec
	s_or_b64 s[16:17], s[16:17], s[4:5]
.LBB1124_308:
	s_or_b64 exec, exec, s[6:7]
	v_cndmask_b32_e64 v12, v68, v66, s[16:17]
	v_cndmask_b32_e64 v13, v100, v99, s[16:17]
	v_add_u32_e32 v16, 1, v12
	v_add_u32_e32 v12, -1, v13
	v_min_u32_e32 v12, v16, v12
	v_mov_b32_e32 v13, 0
	v_lshl_add_u64 v[14:15], v[12:13], 3, v[54:55]
	flat_load_dwordx2 v[14:15], v[14:15]
	v_cndmask_b32_e64 v23, v16, v68, s[16:17]
	s_mov_b64 s[6:7], -1
	v_cndmask_b32_e64 v66, v66, v16, s[16:17]
	v_cmp_lt_u32_e64 s[4:5], v23, v100
	s_mov_b64 s[18:19], -1
	s_waitcnt vmcnt(0) lgkmcnt(0)
	v_cndmask_b32_e64 v20, v15, v3, s[16:17]
	v_cndmask_b32_e64 v21, v14, v2, s[16:17]
	;; [unrolled: 1-line block ×4, first 2 shown]
	s_and_saveexec_b64 s[20:21], s[4:5]
	s_cbranch_execz .LBB1124_320
; %bb.309:
	v_cmp_lt_u32_e64 s[4:5], v66, v99
	s_mov_b64 s[22:23], 0
	s_and_saveexec_b64 s[18:19], s[4:5]
	s_cbranch_execz .LBB1124_319
; %bb.310:
	s_mov_b64 s[4:5], 0
	s_and_saveexec_b64 s[22:23], s[2:3]
	s_cbranch_execz .LBB1124_318
; %bb.311:
	v_mul_lo_u32 v12, v22, v6
	v_mul_lo_u32 v16, v68, v7
	v_mad_u64_u32 v[14:15], s[4:5], v68, v6, 0
	v_add3_u32 v15, v15, v16, v12
	v_mul_lo_u32 v12, v20, v6
	v_mul_lo_u32 v18, v21, v7
	v_mad_u64_u32 v[16:17], s[4:5], v21, v6, 0
	v_add3_u32 v17, v17, v18, v12
	v_lshl_add_u64 v[14:15], v[14:15], 1, v[8:9]
	v_lshl_add_u64 v[16:17], v[16:17], 1, v[8:9]
	s_mov_b64 s[24:25], 0
	v_mov_b64_e32 v[18:19], v[6:7]
                                        ; implicit-def: $sgpr26_sgpr27
                                        ; implicit-def: $sgpr28_sgpr29
                                        ; implicit-def: $sgpr30_sgpr31
	s_branch .LBB1124_313
.LBB1124_312:                           ;   in Loop: Header=BB1124_313 Depth=1
	s_or_b64 exec, exec, s[38:39]
	s_and_b64 s[4:5], exec, s[4:5]
	s_or_b64 s[24:25], s[4:5], s[24:25]
	s_andn2_b64 s[4:5], s[26:27], exec
	s_and_b64 s[26:27], s[28:29], exec
	s_or_b64 s[26:27], s[4:5], s[26:27]
	s_andn2_b64 exec, exec, s[24:25]
	s_cbranch_execz .LBB1124_317
.LBB1124_313:                           ; =>This Inner Loop Header: Depth=1
	flat_load_ushort v12, v[16:17]
	flat_load_ushort v67, v[14:15]
	s_mov_b64 s[36:37], 0
	s_mov_b64 s[34:35], -1
	s_waitcnt vmcnt(0) lgkmcnt(0)
	v_lshlrev_b32_e32 v12, 16, v12
	v_lshlrev_b32_e32 v67, 16, v67
	v_cmp_nlt_f32_e64 s[4:5], v12, v67
	s_and_saveexec_b64 s[38:39], s[4:5]
; %bb.314:                              ;   in Loop: Header=BB1124_313 Depth=1
	v_cmp_ngt_f32_e64 s[4:5], v12, v67
	s_and_b64 s[30:31], s[4:5], s[30:31]
	s_orn2_b64 s[34:35], s[30:31], exec
	s_and_b64 s[36:37], s[4:5], exec
; %bb.315:                              ;   in Loop: Header=BB1124_313 Depth=1
	s_or_b64 exec, exec, s[38:39]
	s_andn2_b64 s[28:29], s[28:29], exec
	s_and_b64 s[30:31], s[34:35], exec
	s_mov_b64 s[4:5], -1
	s_or_b64 s[28:29], s[28:29], s[30:31]
                                        ; implicit-def: $sgpr30_sgpr31
	s_and_saveexec_b64 s[38:39], s[36:37]
	s_cbranch_execz .LBB1124_312
; %bb.316:                              ;   in Loop: Header=BB1124_313 Depth=1
	v_lshl_add_u64 v[18:19], v[18:19], 0, -1
	v_cmp_eq_u64_e64 s[4:5], 0, v[18:19]
	v_lshl_add_u64 v[14:15], v[14:15], 0, 2
	v_lshl_add_u64 v[16:17], v[16:17], 0, 2
	s_andn2_b64 s[28:29], s[28:29], exec
	s_and_b64 s[30:31], s[34:35], exec
	s_orn2_b64 s[4:5], s[4:5], exec
	s_branch .LBB1124_312
.LBB1124_317:
	s_or_b64 exec, exec, s[24:25]
	s_and_b64 s[4:5], s[26:27], exec
.LBB1124_318:
	s_or_b64 exec, exec, s[22:23]
	s_xor_b64 s[4:5], s[4:5], -1
	s_and_b64 s[22:23], s[4:5], exec
.LBB1124_319:
	s_or_b64 exec, exec, s[18:19]
	s_orn2_b64 s[18:19], s[22:23], exec
.LBB1124_320:
	s_or_b64 exec, exec, s[20:21]
	v_cndmask_b32_e64 v12, v23, v66, s[18:19]
	v_cndmask_b32_e64 v14, v100, v99, s[18:19]
	v_add_u32_e32 v15, 1, v12
	v_add_u32_e32 v12, -1, v14
	v_min_u32_e32 v12, v15, v12
	v_lshl_add_u64 v[12:13], v[12:13], 3, v[54:55]
	flat_load_dwordx2 v[12:13], v[12:13]
	v_cndmask_b32_e64 v18, v15, v23, s[18:19]
	v_cndmask_b32_e64 v19, v66, v15, s[18:19]
	v_cmp_lt_u32_e64 s[4:5], v18, v100
	s_waitcnt vmcnt(0) lgkmcnt(0)
	v_cndmask_b32_e64 v23, v13, v20, s[18:19]
	v_cndmask_b32_e64 v69, v12, v21, s[18:19]
	;; [unrolled: 1-line block ×4, first 2 shown]
	s_and_saveexec_b64 s[20:21], s[4:5]
	s_cbranch_execz .LBB1124_330
; %bb.321:
	v_cmp_lt_u32_e64 s[6:7], v19, v99
	s_xor_b64 s[4:5], s[0:1], -1
	s_and_b64 s[4:5], s[6:7], s[4:5]
	s_and_saveexec_b64 s[22:23], s[4:5]
	s_cbranch_execz .LBB1124_329
; %bb.322:
	v_mul_lo_u32 v14, v70, v6
	v_mul_lo_u32 v15, v71, v7
	v_mad_u64_u32 v[12:13], s[4:5], v71, v6, 0
	v_add3_u32 v13, v13, v15, v14
	v_mul_lo_u32 v16, v23, v6
	v_mul_lo_u32 v17, v69, v7
	v_mad_u64_u32 v[14:15], s[4:5], v69, v6, 0
	v_add3_u32 v15, v15, v17, v16
	v_lshl_add_u64 v[12:13], v[12:13], 1, v[8:9]
	v_lshl_add_u64 v[14:15], v[14:15], 1, v[8:9]
	s_mov_b64 s[24:25], 0
	v_mov_b64_e32 v[16:17], v[6:7]
                                        ; implicit-def: $sgpr26_sgpr27
                                        ; implicit-def: $sgpr28_sgpr29
                                        ; implicit-def: $sgpr30_sgpr31
	s_branch .LBB1124_324
.LBB1124_323:                           ;   in Loop: Header=BB1124_324 Depth=1
	s_or_b64 exec, exec, s[40:41]
	s_and_b64 s[4:5], exec, s[34:35]
	s_or_b64 s[24:25], s[4:5], s[24:25]
	s_andn2_b64 s[4:5], s[26:27], exec
	s_and_b64 s[26:27], s[28:29], exec
	s_or_b64 s[26:27], s[4:5], s[26:27]
	s_andn2_b64 exec, exec, s[24:25]
	s_cbranch_execz .LBB1124_328
.LBB1124_324:                           ; =>This Inner Loop Header: Depth=1
	flat_load_ushort v66, v[14:15]
	flat_load_ushort v67, v[12:13]
	s_mov_b64 s[34:35], -1
	s_mov_b64 s[38:39], 0
	s_mov_b64 s[36:37], -1
	s_waitcnt vmcnt(0) lgkmcnt(0)
	v_lshlrev_b32_e32 v66, 16, v66
	v_lshlrev_b32_e32 v67, 16, v67
	v_cmp_nlt_f32_e64 s[4:5], v66, v67
	s_and_saveexec_b64 s[40:41], s[4:5]
; %bb.325:                              ;   in Loop: Header=BB1124_324 Depth=1
	v_cmp_ngt_f32_e64 s[4:5], v66, v67
	s_and_b64 s[30:31], s[4:5], s[30:31]
	s_orn2_b64 s[36:37], s[30:31], exec
	s_and_b64 s[38:39], s[4:5], exec
; %bb.326:                              ;   in Loop: Header=BB1124_324 Depth=1
	s_or_b64 exec, exec, s[40:41]
	s_andn2_b64 s[4:5], s[28:29], exec
	s_and_b64 s[28:29], s[36:37], exec
	s_or_b64 s[28:29], s[4:5], s[28:29]
                                        ; implicit-def: $sgpr30_sgpr31
	s_and_saveexec_b64 s[40:41], s[38:39]
	s_cbranch_execz .LBB1124_323
; %bb.327:                              ;   in Loop: Header=BB1124_324 Depth=1
	v_lshl_add_u64 v[16:17], v[16:17], 0, -1
	v_cmp_eq_u64_e64 s[4:5], 0, v[16:17]
	v_lshl_add_u64 v[12:13], v[12:13], 0, 2
	v_lshl_add_u64 v[14:15], v[14:15], 0, 2
	s_and_b64 s[30:31], s[36:37], exec
	s_andn2_b64 s[28:29], s[28:29], exec
	s_orn2_b64 s[34:35], s[4:5], exec
	s_branch .LBB1124_323
.LBB1124_328:
	s_or_b64 exec, exec, s[24:25]
	s_xor_b64 s[4:5], s[26:27], -1
	s_andn2_b64 s[6:7], s[6:7], exec
	s_and_b64 s[4:5], s[4:5], exec
	s_or_b64 s[6:7], s[6:7], s[4:5]
.LBB1124_329:
	s_or_b64 exec, exec, s[22:23]
	s_orn2_b64 s[6:7], s[6:7], exec
.LBB1124_330:
	s_or_b64 exec, exec, s[20:21]
	v_cndmask_b32_e64 v12, v18, v19, s[6:7]
	v_cndmask_b32_e64 v13, v100, v99, s[6:7]
	v_add_u32_e32 v16, 1, v12
	v_add_u32_e32 v12, -1, v13
	v_min_u32_e32 v12, v16, v12
	v_mov_b32_e32 v13, 0
	v_lshl_add_u64 v[14:15], v[12:13], 3, v[54:55]
	flat_load_dwordx2 v[14:15], v[14:15]
	v_cndmask_b32_e64 v66, v16, v18, s[6:7]
	s_mov_b64 s[20:21], -1
	v_cndmask_b32_e64 v67, v19, v16, s[6:7]
	v_cmp_lt_u32_e64 s[4:5], v66, v100
	s_mov_b64 s[22:23], -1
	s_waitcnt vmcnt(0) lgkmcnt(0)
	v_cndmask_b32_e64 v80, v15, v23, s[6:7]
	v_cndmask_b32_e64 v81, v14, v69, s[6:7]
	;; [unrolled: 1-line block ×4, first 2 shown]
	s_and_saveexec_b64 s[24:25], s[4:5]
	s_cbranch_execz .LBB1124_340
; %bb.331:
	v_cmp_lt_u32_e64 s[22:23], v67, v99
	s_xor_b64 s[4:5], s[0:1], -1
	s_and_b64 s[4:5], s[22:23], s[4:5]
	s_and_saveexec_b64 s[26:27], s[4:5]
	s_cbranch_execz .LBB1124_339
; %bb.332:
	v_mul_lo_u32 v12, v82, v6
	v_mul_lo_u32 v16, v83, v7
	v_mad_u64_u32 v[14:15], s[4:5], v83, v6, 0
	v_add3_u32 v15, v15, v16, v12
	v_mul_lo_u32 v12, v80, v6
	v_mul_lo_u32 v18, v81, v7
	v_mad_u64_u32 v[16:17], s[4:5], v81, v6, 0
	v_add3_u32 v17, v17, v18, v12
	v_lshl_add_u64 v[14:15], v[14:15], 1, v[8:9]
	v_lshl_add_u64 v[16:17], v[16:17], 1, v[8:9]
	s_mov_b64 s[28:29], 0
	v_mov_b64_e32 v[18:19], v[6:7]
                                        ; implicit-def: $sgpr30_sgpr31
                                        ; implicit-def: $sgpr34_sgpr35
                                        ; implicit-def: $sgpr36_sgpr37
	s_branch .LBB1124_334
.LBB1124_333:                           ;   in Loop: Header=BB1124_334 Depth=1
	s_or_b64 exec, exec, s[44:45]
	s_and_b64 s[4:5], exec, s[38:39]
	s_or_b64 s[28:29], s[4:5], s[28:29]
	s_andn2_b64 s[4:5], s[30:31], exec
	s_and_b64 s[30:31], s[34:35], exec
	s_or_b64 s[30:31], s[4:5], s[30:31]
	s_andn2_b64 exec, exec, s[28:29]
	s_cbranch_execz .LBB1124_338
.LBB1124_334:                           ; =>This Inner Loop Header: Depth=1
	flat_load_ushort v12, v[16:17]
	flat_load_ushort v84, v[14:15]
	s_mov_b64 s[38:39], -1
	s_mov_b64 s[42:43], 0
	s_mov_b64 s[40:41], -1
	s_waitcnt vmcnt(0) lgkmcnt(0)
	v_lshlrev_b32_e32 v12, 16, v12
	v_lshlrev_b32_e32 v84, 16, v84
	v_cmp_nlt_f32_e64 s[4:5], v12, v84
	s_and_saveexec_b64 s[44:45], s[4:5]
; %bb.335:                              ;   in Loop: Header=BB1124_334 Depth=1
	v_cmp_ngt_f32_e64 s[4:5], v12, v84
	s_and_b64 s[36:37], s[4:5], s[36:37]
	s_orn2_b64 s[40:41], s[36:37], exec
	s_and_b64 s[42:43], s[4:5], exec
; %bb.336:                              ;   in Loop: Header=BB1124_334 Depth=1
	s_or_b64 exec, exec, s[44:45]
	s_andn2_b64 s[4:5], s[34:35], exec
	s_and_b64 s[34:35], s[40:41], exec
	s_or_b64 s[34:35], s[4:5], s[34:35]
                                        ; implicit-def: $sgpr36_sgpr37
	s_and_saveexec_b64 s[44:45], s[42:43]
	s_cbranch_execz .LBB1124_333
; %bb.337:                              ;   in Loop: Header=BB1124_334 Depth=1
	v_lshl_add_u64 v[18:19], v[18:19], 0, -1
	v_cmp_eq_u64_e64 s[4:5], 0, v[18:19]
	v_lshl_add_u64 v[14:15], v[14:15], 0, 2
	v_lshl_add_u64 v[16:17], v[16:17], 0, 2
	s_and_b64 s[36:37], s[40:41], exec
	s_andn2_b64 s[34:35], s[34:35], exec
	s_orn2_b64 s[38:39], s[4:5], exec
	s_branch .LBB1124_333
.LBB1124_338:
	s_or_b64 exec, exec, s[28:29]
	s_xor_b64 s[4:5], s[30:31], -1
	s_andn2_b64 s[22:23], s[22:23], exec
	s_and_b64 s[4:5], s[4:5], exec
	s_or_b64 s[22:23], s[22:23], s[4:5]
.LBB1124_339:
	s_or_b64 exec, exec, s[26:27]
	s_orn2_b64 s[22:23], s[22:23], exec
.LBB1124_340:
	s_or_b64 exec, exec, s[24:25]
	v_cndmask_b32_e64 v12, v66, v67, s[22:23]
	v_cndmask_b32_e64 v14, v100, v99, s[22:23]
	v_add_u32_e32 v15, 1, v12
	v_add_u32_e32 v12, -1, v14
	v_min_u32_e32 v12, v15, v12
	v_lshl_add_u64 v[12:13], v[12:13], 3, v[54:55]
	flat_load_dwordx2 v[12:13], v[12:13]
	v_cndmask_b32_e64 v18, v15, v66, s[22:23]
	v_cndmask_b32_e64 v19, v67, v15, s[22:23]
	v_cmp_lt_u32_e64 s[4:5], v18, v100
	s_waitcnt vmcnt(0) lgkmcnt(0)
	v_cndmask_b32_e64 v84, v13, v80, s[22:23]
	v_cndmask_b32_e64 v85, v12, v81, s[22:23]
	;; [unrolled: 1-line block ×4, first 2 shown]
	s_and_saveexec_b64 s[24:25], s[4:5]
	s_cbranch_execz .LBB1124_350
; %bb.341:
	v_cmp_lt_u32_e64 s[20:21], v19, v99
	s_xor_b64 s[4:5], s[0:1], -1
	s_and_b64 s[4:5], s[20:21], s[4:5]
	s_and_saveexec_b64 s[26:27], s[4:5]
	s_cbranch_execz .LBB1124_349
; %bb.342:
	v_mul_lo_u32 v14, v86, v6
	v_mul_lo_u32 v15, v87, v7
	v_mad_u64_u32 v[12:13], s[4:5], v87, v6, 0
	v_add3_u32 v13, v13, v15, v14
	v_mul_lo_u32 v16, v84, v6
	v_mul_lo_u32 v17, v85, v7
	v_mad_u64_u32 v[14:15], s[4:5], v85, v6, 0
	v_add3_u32 v15, v15, v17, v16
	v_lshl_add_u64 v[12:13], v[12:13], 1, v[8:9]
	v_lshl_add_u64 v[14:15], v[14:15], 1, v[8:9]
	s_mov_b64 s[28:29], 0
	v_mov_b64_e32 v[16:17], v[6:7]
                                        ; implicit-def: $sgpr30_sgpr31
                                        ; implicit-def: $sgpr34_sgpr35
                                        ; implicit-def: $sgpr36_sgpr37
	s_branch .LBB1124_344
.LBB1124_343:                           ;   in Loop: Header=BB1124_344 Depth=1
	s_or_b64 exec, exec, s[44:45]
	s_and_b64 s[4:5], exec, s[38:39]
	s_or_b64 s[28:29], s[4:5], s[28:29]
	s_andn2_b64 s[4:5], s[30:31], exec
	s_and_b64 s[30:31], s[34:35], exec
	s_or_b64 s[30:31], s[4:5], s[30:31]
	s_andn2_b64 exec, exec, s[28:29]
	s_cbranch_execz .LBB1124_348
.LBB1124_344:                           ; =>This Inner Loop Header: Depth=1
	flat_load_ushort v66, v[14:15]
	flat_load_ushort v67, v[12:13]
	s_mov_b64 s[38:39], -1
	s_mov_b64 s[42:43], 0
	s_mov_b64 s[40:41], -1
	s_waitcnt vmcnt(0) lgkmcnt(0)
	v_lshlrev_b32_e32 v66, 16, v66
	v_lshlrev_b32_e32 v67, 16, v67
	v_cmp_nlt_f32_e64 s[4:5], v66, v67
	s_and_saveexec_b64 s[44:45], s[4:5]
; %bb.345:                              ;   in Loop: Header=BB1124_344 Depth=1
	v_cmp_ngt_f32_e64 s[4:5], v66, v67
	s_and_b64 s[36:37], s[4:5], s[36:37]
	s_orn2_b64 s[40:41], s[36:37], exec
	s_and_b64 s[42:43], s[4:5], exec
; %bb.346:                              ;   in Loop: Header=BB1124_344 Depth=1
	s_or_b64 exec, exec, s[44:45]
	s_andn2_b64 s[4:5], s[34:35], exec
	s_and_b64 s[34:35], s[40:41], exec
	s_or_b64 s[34:35], s[4:5], s[34:35]
                                        ; implicit-def: $sgpr36_sgpr37
	s_and_saveexec_b64 s[44:45], s[42:43]
	s_cbranch_execz .LBB1124_343
; %bb.347:                              ;   in Loop: Header=BB1124_344 Depth=1
	v_lshl_add_u64 v[16:17], v[16:17], 0, -1
	v_cmp_eq_u64_e64 s[4:5], 0, v[16:17]
	v_lshl_add_u64 v[12:13], v[12:13], 0, 2
	v_lshl_add_u64 v[14:15], v[14:15], 0, 2
	s_and_b64 s[36:37], s[40:41], exec
	s_andn2_b64 s[34:35], s[34:35], exec
	s_orn2_b64 s[38:39], s[4:5], exec
	s_branch .LBB1124_343
.LBB1124_348:
	s_or_b64 exec, exec, s[28:29]
	s_xor_b64 s[4:5], s[30:31], -1
	s_andn2_b64 s[20:21], s[20:21], exec
	s_and_b64 s[4:5], s[4:5], exec
	s_or_b64 s[20:21], s[20:21], s[4:5]
.LBB1124_349:
	s_or_b64 exec, exec, s[26:27]
	s_orn2_b64 s[20:21], s[20:21], exec
.LBB1124_350:
	s_or_b64 exec, exec, s[24:25]
	v_cndmask_b32_e64 v12, v18, v19, s[20:21]
	v_cndmask_b32_e64 v13, v100, v99, s[20:21]
	v_add_u32_e32 v16, 1, v12
	v_add_u32_e32 v12, -1, v13
	v_min_u32_e32 v12, v16, v12
	v_mov_b32_e32 v13, 0
	v_lshl_add_u64 v[14:15], v[12:13], 3, v[54:55]
	flat_load_dwordx2 v[14:15], v[14:15]
	v_cndmask_b32_e64 v66, v16, v18, s[20:21]
	s_mov_b64 s[24:25], -1
	v_cndmask_b32_e64 v67, v19, v16, s[20:21]
	v_cmp_lt_u32_e64 s[4:5], v66, v100
	s_mov_b64 s[26:27], -1
	s_waitcnt vmcnt(0) lgkmcnt(0)
	v_cndmask_b32_e64 v96, v15, v84, s[20:21]
	v_cndmask_b32_e64 v97, v14, v85, s[20:21]
	;; [unrolled: 1-line block ×4, first 2 shown]
	s_and_saveexec_b64 s[28:29], s[4:5]
	s_cbranch_execz .LBB1124_360
; %bb.351:
	v_cmp_lt_u32_e64 s[26:27], v67, v99
	s_xor_b64 s[4:5], s[0:1], -1
	s_and_b64 s[4:5], s[26:27], s[4:5]
	s_and_saveexec_b64 s[30:31], s[4:5]
	s_cbranch_execz .LBB1124_359
; %bb.352:
	v_mul_lo_u32 v12, v101, v6
	v_mul_lo_u32 v16, v102, v7
	v_mad_u64_u32 v[14:15], s[4:5], v102, v6, 0
	v_add3_u32 v15, v15, v16, v12
	v_mul_lo_u32 v12, v96, v6
	v_mul_lo_u32 v18, v97, v7
	v_mad_u64_u32 v[16:17], s[4:5], v97, v6, 0
	v_add3_u32 v17, v17, v18, v12
	v_lshl_add_u64 v[14:15], v[14:15], 1, v[8:9]
	v_lshl_add_u64 v[16:17], v[16:17], 1, v[8:9]
	s_mov_b64 s[34:35], 0
	v_mov_b64_e32 v[18:19], v[6:7]
                                        ; implicit-def: $sgpr36_sgpr37
                                        ; implicit-def: $sgpr38_sgpr39
                                        ; implicit-def: $sgpr40_sgpr41
	s_branch .LBB1124_354
.LBB1124_353:                           ;   in Loop: Header=BB1124_354 Depth=1
	s_or_b64 exec, exec, s[48:49]
	s_and_b64 s[4:5], exec, s[42:43]
	s_or_b64 s[34:35], s[4:5], s[34:35]
	s_andn2_b64 s[4:5], s[36:37], exec
	s_and_b64 s[36:37], s[38:39], exec
	s_or_b64 s[36:37], s[4:5], s[36:37]
	s_andn2_b64 exec, exec, s[34:35]
	s_cbranch_execz .LBB1124_358
.LBB1124_354:                           ; =>This Inner Loop Header: Depth=1
	flat_load_ushort v12, v[16:17]
	flat_load_ushort v103, v[14:15]
	s_mov_b64 s[42:43], -1
	s_mov_b64 s[46:47], 0
	s_mov_b64 s[44:45], -1
	s_waitcnt vmcnt(0) lgkmcnt(0)
	v_lshlrev_b32_e32 v12, 16, v12
	v_lshlrev_b32_e32 v103, 16, v103
	v_cmp_nlt_f32_e64 s[4:5], v12, v103
	s_and_saveexec_b64 s[48:49], s[4:5]
; %bb.355:                              ;   in Loop: Header=BB1124_354 Depth=1
	v_cmp_ngt_f32_e64 s[4:5], v12, v103
	s_and_b64 s[40:41], s[4:5], s[40:41]
	s_orn2_b64 s[44:45], s[40:41], exec
	s_and_b64 s[46:47], s[4:5], exec
; %bb.356:                              ;   in Loop: Header=BB1124_354 Depth=1
	s_or_b64 exec, exec, s[48:49]
	s_andn2_b64 s[4:5], s[38:39], exec
	s_and_b64 s[38:39], s[44:45], exec
	s_or_b64 s[38:39], s[4:5], s[38:39]
                                        ; implicit-def: $sgpr40_sgpr41
	s_and_saveexec_b64 s[48:49], s[46:47]
	s_cbranch_execz .LBB1124_353
; %bb.357:                              ;   in Loop: Header=BB1124_354 Depth=1
	v_lshl_add_u64 v[18:19], v[18:19], 0, -1
	v_cmp_eq_u64_e64 s[4:5], 0, v[18:19]
	v_lshl_add_u64 v[14:15], v[14:15], 0, 2
	v_lshl_add_u64 v[16:17], v[16:17], 0, 2
	s_and_b64 s[40:41], s[44:45], exec
	s_andn2_b64 s[38:39], s[38:39], exec
	s_orn2_b64 s[42:43], s[4:5], exec
	s_branch .LBB1124_353
.LBB1124_358:
	s_or_b64 exec, exec, s[34:35]
	s_xor_b64 s[4:5], s[36:37], -1
	s_andn2_b64 s[26:27], s[26:27], exec
	s_and_b64 s[4:5], s[4:5], exec
	s_or_b64 s[26:27], s[26:27], s[4:5]
.LBB1124_359:
	s_or_b64 exec, exec, s[30:31]
	s_orn2_b64 s[26:27], s[26:27], exec
.LBB1124_360:
	s_or_b64 exec, exec, s[28:29]
	v_cndmask_b32_e64 v12, v66, v67, s[26:27]
	v_cndmask_b32_e64 v14, v100, v99, s[26:27]
	v_add_u32_e32 v15, 1, v12
	v_add_u32_e32 v12, -1, v14
	v_min_u32_e32 v12, v15, v12
	v_lshl_add_u64 v[12:13], v[12:13], 3, v[54:55]
	flat_load_dwordx2 v[12:13], v[12:13]
	v_cndmask_b32_e64 v114, v15, v66, s[26:27]
	v_cndmask_b32_e64 v103, v67, v15, s[26:27]
	v_cmp_lt_u32_e64 s[4:5], v114, v100
	s_waitcnt vmcnt(0) lgkmcnt(0)
	v_cndmask_b32_e64 v112, v13, v96, s[26:27]
	v_cndmask_b32_e64 v113, v12, v97, s[26:27]
	;; [unrolled: 1-line block ×4, first 2 shown]
	s_and_saveexec_b64 s[28:29], s[4:5]
	s_cbranch_execz .LBB1124_370
; %bb.361:
	v_cmp_lt_u32_e64 s[24:25], v103, v99
	s_xor_b64 s[4:5], s[0:1], -1
	s_and_b64 s[4:5], s[24:25], s[4:5]
	s_and_saveexec_b64 s[30:31], s[4:5]
	s_cbranch_execz .LBB1124_369
; %bb.362:
	v_mul_lo_u32 v14, v115, v6
	v_mul_lo_u32 v15, v116, v7
	v_mad_u64_u32 v[12:13], s[4:5], v116, v6, 0
	v_add3_u32 v13, v13, v15, v14
	v_mul_lo_u32 v16, v112, v6
	v_mul_lo_u32 v17, v113, v7
	v_mad_u64_u32 v[14:15], s[4:5], v113, v6, 0
	v_add3_u32 v15, v15, v17, v16
	v_lshl_add_u64 v[12:13], v[12:13], 1, v[8:9]
	v_lshl_add_u64 v[14:15], v[14:15], 1, v[8:9]
	s_mov_b64 s[34:35], 0
	v_mov_b64_e32 v[16:17], v[6:7]
                                        ; implicit-def: $sgpr36_sgpr37
                                        ; implicit-def: $sgpr38_sgpr39
                                        ; implicit-def: $sgpr40_sgpr41
	s_branch .LBB1124_364
.LBB1124_363:                           ;   in Loop: Header=BB1124_364 Depth=1
	s_or_b64 exec, exec, s[48:49]
	s_and_b64 s[4:5], exec, s[42:43]
	s_or_b64 s[34:35], s[4:5], s[34:35]
	s_andn2_b64 s[4:5], s[36:37], exec
	s_and_b64 s[36:37], s[38:39], exec
	s_or_b64 s[36:37], s[4:5], s[36:37]
	s_andn2_b64 exec, exec, s[34:35]
	s_cbranch_execz .LBB1124_368
.LBB1124_364:                           ; =>This Inner Loop Header: Depth=1
	flat_load_ushort v18, v[14:15]
	flat_load_ushort v19, v[12:13]
	s_mov_b64 s[42:43], -1
	s_mov_b64 s[46:47], 0
	s_mov_b64 s[44:45], -1
	s_waitcnt vmcnt(0) lgkmcnt(0)
	v_lshlrev_b32_e32 v18, 16, v18
	v_lshlrev_b32_e32 v19, 16, v19
	v_cmp_nlt_f32_e64 s[4:5], v18, v19
	s_and_saveexec_b64 s[48:49], s[4:5]
; %bb.365:                              ;   in Loop: Header=BB1124_364 Depth=1
	v_cmp_ngt_f32_e64 s[4:5], v18, v19
	s_and_b64 s[40:41], s[4:5], s[40:41]
	s_orn2_b64 s[44:45], s[40:41], exec
	s_and_b64 s[46:47], s[4:5], exec
; %bb.366:                              ;   in Loop: Header=BB1124_364 Depth=1
	s_or_b64 exec, exec, s[48:49]
	s_andn2_b64 s[4:5], s[38:39], exec
	s_and_b64 s[38:39], s[44:45], exec
	s_or_b64 s[38:39], s[4:5], s[38:39]
                                        ; implicit-def: $sgpr40_sgpr41
	s_and_saveexec_b64 s[48:49], s[46:47]
	s_cbranch_execz .LBB1124_363
; %bb.367:                              ;   in Loop: Header=BB1124_364 Depth=1
	v_lshl_add_u64 v[16:17], v[16:17], 0, -1
	v_cmp_eq_u64_e64 s[4:5], 0, v[16:17]
	v_lshl_add_u64 v[12:13], v[12:13], 0, 2
	v_lshl_add_u64 v[14:15], v[14:15], 0, 2
	s_and_b64 s[40:41], s[44:45], exec
	s_andn2_b64 s[38:39], s[38:39], exec
	s_orn2_b64 s[42:43], s[4:5], exec
	s_branch .LBB1124_363
.LBB1124_368:
	s_or_b64 exec, exec, s[34:35]
	s_xor_b64 s[4:5], s[36:37], -1
	s_andn2_b64 s[24:25], s[24:25], exec
	s_and_b64 s[4:5], s[4:5], exec
	s_or_b64 s[24:25], s[24:25], s[4:5]
.LBB1124_369:
	s_or_b64 exec, exec, s[30:31]
	s_orn2_b64 s[24:25], s[24:25], exec
.LBB1124_370:
	s_or_b64 exec, exec, s[28:29]
	v_cndmask_b32_e64 v12, v114, v103, s[24:25]
	v_cndmask_b32_e64 v13, v100, v99, s[24:25]
	v_add_u32_e32 v117, 1, v12
	v_add_u32_e32 v12, -1, v13
	v_min_u32_e32 v12, v117, v12
	v_mov_b32_e32 v13, 0
	v_lshl_add_u64 v[12:13], v[12:13], 3, v[54:55]
	flat_load_dwordx2 v[66:67], v[12:13]
	v_cndmask_b32_e64 v17, v23, v70, s[6:7]
	v_cndmask_b32_e64 v23, v20, v22, s[18:19]
	;; [unrolled: 1-line block ×15, first 2 shown]
	v_cmp_lt_u32_e64 s[4:5], v68, v100
	s_waitcnt vmcnt(0) lgkmcnt(0)
	v_cndmask_b32_e64 v3, v115, v67, s[24:25]
	v_cndmask_b32_e64 v2, v116, v66, s[24:25]
	s_and_saveexec_b64 s[6:7], s[4:5]
	s_cbranch_execz .LBB1124_380
; %bb.371:
	v_cndmask_b32_e64 v81, v66, v113, s[24:25]
	v_cndmask_b32_e64 v66, v103, v117, s[24:25]
	v_cmp_ge_u32_e64 s[4:5], v66, v99
	v_cndmask_b32_e64 v80, v67, v112, s[24:25]
	s_or_b64 s[16:17], s[4:5], s[0:1]
	v_cndmask_b32_e64 v67, v3, v80, s[4:5]
	s_xor_b64 s[18:19], s[16:17], -1
	v_cndmask_b32_e64 v66, v2, v81, s[4:5]
	s_and_saveexec_b64 s[16:17], s[18:19]
	s_cbranch_execz .LBB1124_379
; %bb.372:
	v_mul_lo_u32 v68, v3, v6
	v_mul_lo_u32 v69, v2, v7
	v_mad_u64_u32 v[66:67], s[4:5], v2, v6, 0
	v_add3_u32 v67, v67, v69, v68
	v_mul_lo_u32 v70, v80, v6
	v_mul_lo_u32 v71, v81, v7
	v_mad_u64_u32 v[68:69], s[4:5], v81, v6, 0
	v_add3_u32 v69, v69, v71, v70
	v_lshl_add_u64 v[66:67], v[66:67], 1, v[8:9]
	v_lshl_add_u64 v[68:69], v[68:69], 1, v[8:9]
	s_mov_b64 s[18:19], 0
	v_mov_b64_e32 v[70:71], v[6:7]
                                        ; implicit-def: $sgpr20_sgpr21
                                        ; implicit-def: $sgpr22_sgpr23
                                        ; implicit-def: $sgpr24_sgpr25
	s_branch .LBB1124_374
.LBB1124_373:                           ;   in Loop: Header=BB1124_374 Depth=1
	s_or_b64 exec, exec, s[34:35]
	s_and_b64 s[4:5], exec, s[26:27]
	s_or_b64 s[18:19], s[4:5], s[18:19]
	s_andn2_b64 s[4:5], s[20:21], exec
	s_and_b64 s[20:21], s[22:23], exec
	s_or_b64 s[20:21], s[4:5], s[20:21]
	s_andn2_b64 exec, exec, s[18:19]
	s_cbranch_execz .LBB1124_378
.LBB1124_374:                           ; =>This Inner Loop Header: Depth=1
	flat_load_ushort v82, v[68:69]
	flat_load_ushort v83, v[66:67]
	s_mov_b64 s[26:27], -1
	s_mov_b64 s[30:31], 0
	s_mov_b64 s[28:29], -1
	s_waitcnt vmcnt(0) lgkmcnt(0)
	v_lshlrev_b32_e32 v82, 16, v82
	v_lshlrev_b32_e32 v83, 16, v83
	v_cmp_nlt_f32_e64 s[4:5], v82, v83
	s_and_saveexec_b64 s[34:35], s[4:5]
; %bb.375:                              ;   in Loop: Header=BB1124_374 Depth=1
	v_cmp_ngt_f32_e64 s[4:5], v82, v83
	s_and_b64 s[24:25], s[4:5], s[24:25]
	s_orn2_b64 s[28:29], s[24:25], exec
	s_and_b64 s[30:31], s[4:5], exec
; %bb.376:                              ;   in Loop: Header=BB1124_374 Depth=1
	s_or_b64 exec, exec, s[34:35]
	s_andn2_b64 s[4:5], s[22:23], exec
	s_and_b64 s[22:23], s[28:29], exec
	s_or_b64 s[22:23], s[4:5], s[22:23]
                                        ; implicit-def: $sgpr24_sgpr25
	s_and_saveexec_b64 s[34:35], s[30:31]
	s_cbranch_execz .LBB1124_373
; %bb.377:                              ;   in Loop: Header=BB1124_374 Depth=1
	v_lshl_add_u64 v[70:71], v[70:71], 0, -1
	v_cmp_eq_u64_e64 s[4:5], 0, v[70:71]
	v_lshl_add_u64 v[66:67], v[66:67], 0, 2
	v_lshl_add_u64 v[68:69], v[68:69], 0, 2
	s_and_b64 s[24:25], s[28:29], exec
	s_andn2_b64 s[22:23], s[22:23], exec
	s_orn2_b64 s[26:27], s[4:5], exec
	s_branch .LBB1124_373
.LBB1124_378:
	s_or_b64 exec, exec, s[18:19]
	v_cndmask_b32_e64 v67, v3, v80, s[20:21]
	v_cndmask_b32_e64 v66, v2, v81, s[20:21]
.LBB1124_379:
	s_or_b64 exec, exec, s[16:17]
	v_mov_b64_e32 v[2:3], v[66:67]
.LBB1124_380:
	s_or_b64 exec, exec, s[6:7]
.LBB1124_381:
	s_or_b64 exec, exec, s[14:15]
	v_and_b32_e32 v101, 0x3e0, v98
	v_or_b32_e32 v66, 16, v101
	v_min_u32_e32 v99, v31, v66
	v_add_u32_e32 v66, 16, v99
	v_min_u32_e32 v100, v31, v66
	v_and_b32_e32 v66, 24, v98
	v_min_u32_e32 v102, v31, v66
	v_sub_u32_e32 v66, v99, v101
	v_sub_u32_e32 v67, v100, v99
	v_sub_u32_e64 v103, v102, v67 clamp
	v_min_u32_e32 v112, v102, v66
	v_cmp_lt_u32_e64 s[4:5], v103, v112
	; wave barrier
	flat_store_dwordx4 v[64:65], v[20:23]
	flat_store_dwordx4 v[64:65], v[16:19] offset:16
	flat_store_dwordx4 v[64:65], v[12:15] offset:32
	;; [unrolled: 1-line block ×3, first 2 shown]
	; wave barrier
	s_and_saveexec_b64 s[6:7], s[4:5]
	s_cbranch_execz .LBB1124_393
; %bb.382:
	v_lshlrev_b32_e32 v66, 3, v101
	v_mov_b32_e32 v67, 0
	v_lshl_add_u64 v[68:69], v[54:55], 0, v[66:67]
	v_lshlrev_b32_e32 v66, 3, v99
	v_lshl_add_u64 v[70:71], v[54:55], 0, v[66:67]
	v_lshlrev_b64 v[80:81], 1, v[6:7]
	s_mov_b64 s[14:15], 0
	s_branch .LBB1124_385
.LBB1124_383:                           ;   in Loop: Header=BB1124_385 Depth=1
	s_or_b64 exec, exec, s[18:19]
	s_and_b64 s[4:5], s[20:21], exec
.LBB1124_384:                           ;   in Loop: Header=BB1124_385 Depth=1
	s_or_b64 exec, exec, s[16:17]
	v_add_u32_e32 v66, 1, v82
	v_cndmask_b32_e64 v112, v112, v82, s[4:5]
	v_cndmask_b32_e64 v103, v66, v103, s[4:5]
	v_cmp_ge_u32_e64 s[4:5], v103, v112
	s_or_b64 s[14:15], s[4:5], s[14:15]
	s_andn2_b64 exec, exec, s[14:15]
	s_cbranch_execz .LBB1124_392
.LBB1124_385:                           ; =>This Loop Header: Depth=1
                                        ;     Child Loop BB1124_388 Depth 2
	v_add_u32_e32 v66, v112, v103
	v_lshrrev_b32_e32 v82, 1, v66
	s_mov_b64 s[4:5], 0
	s_and_saveexec_b64 s[16:17], vcc
	s_cbranch_execz .LBB1124_384
; %bb.386:                              ;   in Loop: Header=BB1124_385 Depth=1
	v_mov_b32_e32 v83, v67
	v_xad_u32 v66, v82, -1, v102
	v_lshl_add_u64 v[84:85], v[82:83], 3, v[68:69]
	v_lshl_add_u64 v[86:87], v[66:67], 3, v[70:71]
	flat_load_dwordx2 v[84:85], v[84:85]
	s_mov_b64 s[18:19], 0
	flat_load_dwordx2 v[86:87], v[86:87]
                                        ; implicit-def: $sgpr20_sgpr21
                                        ; implicit-def: $sgpr22_sgpr23
                                        ; implicit-def: $sgpr24_sgpr25
	s_waitcnt vmcnt(0) lgkmcnt(0)
	v_mul_lo_u32 v66, v80, v85
	v_mul_lo_u32 v83, v81, v84
	v_mad_u64_u32 v[84:85], s[4:5], v80, v84, v[8:9]
	v_mul_lo_u32 v96, v80, v87
	v_mul_lo_u32 v97, v81, v86
	v_mad_u64_u32 v[86:87], s[4:5], v80, v86, v[8:9]
	v_add3_u32 v85, v83, v85, v66
	v_add3_u32 v87, v97, v87, v96
	v_mov_b64_e32 v[96:97], v[6:7]
	s_branch .LBB1124_388
.LBB1124_387:                           ;   in Loop: Header=BB1124_388 Depth=2
	s_or_b64 exec, exec, s[34:35]
	s_and_b64 s[4:5], exec, s[26:27]
	s_or_b64 s[18:19], s[4:5], s[18:19]
	s_andn2_b64 s[4:5], s[20:21], exec
	s_and_b64 s[20:21], s[22:23], exec
	s_or_b64 s[20:21], s[4:5], s[20:21]
	s_andn2_b64 exec, exec, s[18:19]
	s_cbranch_execz .LBB1124_383
.LBB1124_388:                           ;   Parent Loop BB1124_385 Depth=1
                                        ; =>  This Inner Loop Header: Depth=2
	flat_load_ushort v66, v[86:87]
	flat_load_ushort v83, v[84:85]
	s_mov_b64 s[26:27], -1
	s_mov_b64 s[30:31], 0
	s_mov_b64 s[28:29], -1
	s_waitcnt vmcnt(0) lgkmcnt(0)
	v_lshlrev_b32_e32 v66, 16, v66
	v_lshlrev_b32_e32 v83, 16, v83
	v_cmp_nlt_f32_e64 s[4:5], v66, v83
	s_and_saveexec_b64 s[34:35], s[4:5]
; %bb.389:                              ;   in Loop: Header=BB1124_388 Depth=2
	v_cmp_ngt_f32_e64 s[4:5], v66, v83
	s_and_b64 s[24:25], s[4:5], s[24:25]
	s_orn2_b64 s[28:29], s[24:25], exec
	s_and_b64 s[30:31], s[4:5], exec
; %bb.390:                              ;   in Loop: Header=BB1124_388 Depth=2
	s_or_b64 exec, exec, s[34:35]
	s_andn2_b64 s[4:5], s[22:23], exec
	s_and_b64 s[22:23], s[28:29], exec
	s_or_b64 s[22:23], s[4:5], s[22:23]
                                        ; implicit-def: $sgpr24_sgpr25
	s_and_saveexec_b64 s[34:35], s[30:31]
	s_cbranch_execz .LBB1124_387
; %bb.391:                              ;   in Loop: Header=BB1124_388 Depth=2
	v_lshl_add_u64 v[96:97], v[96:97], 0, -1
	v_cmp_eq_u64_e64 s[4:5], 0, v[96:97]
	v_lshl_add_u64 v[84:85], v[84:85], 0, 2
	v_lshl_add_u64 v[86:87], v[86:87], 0, 2
	s_andn2_b64 s[22:23], s[22:23], exec
	s_and_b64 s[24:25], s[28:29], exec
	s_orn2_b64 s[26:27], s[4:5], exec
	s_branch .LBB1124_387
.LBB1124_392:
	s_or_b64 exec, exec, s[14:15]
.LBB1124_393:
	s_or_b64 exec, exec, s[6:7]
	v_add_u32_e32 v67, v99, v102
	v_add_u32_e32 v66, v103, v101
	v_sub_u32_e32 v68, v67, v103
	v_cmp_le_u32_e64 s[4:5], v66, v99
	v_cmp_le_u32_e64 s[6:7], v68, v100
	s_or_b64 s[4:5], s[4:5], s[6:7]
	s_and_saveexec_b64 s[14:15], s[4:5]
	s_cbranch_execz .LBB1124_481
; %bb.394:
	v_cmp_ge_u32_e64 s[4:5], v66, v99
	v_cmp_lt_u32_e64 s[6:7], v66, v99
                                        ; implicit-def: $vgpr0_vgpr1
	s_and_saveexec_b64 s[16:17], s[6:7]
	s_cbranch_execz .LBB1124_396
; %bb.395:
	v_mov_b32_e32 v67, 0
	v_lshl_add_u64 v[0:1], v[66:67], 3, v[54:55]
	flat_load_dwordx2 v[0:1], v[0:1]
.LBB1124_396:
	s_or_b64 exec, exec, s[16:17]
	v_cmp_ge_u32_e64 s[16:17], v68, v100
	v_cmp_lt_u32_e64 s[6:7], v68, v100
                                        ; implicit-def: $vgpr2_vgpr3
	s_and_saveexec_b64 s[18:19], s[6:7]
	s_cbranch_execz .LBB1124_398
; %bb.397:
	v_mov_b32_e32 v69, 0
	v_lshl_add_u64 v[2:3], v[68:69], 3, v[54:55]
	flat_load_dwordx2 v[2:3], v[2:3]
.LBB1124_398:
	s_or_b64 exec, exec, s[18:19]
	s_or_b64 s[4:5], s[4:5], s[16:17]
	s_xor_b64 s[4:5], s[4:5], -1
	s_and_saveexec_b64 s[6:7], s[4:5]
	s_cbranch_execz .LBB1124_408
; %bb.399:
	s_mov_b64 s[4:5], 0
	s_and_saveexec_b64 s[18:19], s[2:3]
	s_cbranch_execz .LBB1124_407
; %bb.400:
	s_waitcnt vmcnt(0) lgkmcnt(0)
	v_mul_lo_u32 v14, v1, v6
	v_mul_lo_u32 v15, v0, v7
	v_mad_u64_u32 v[12:13], s[4:5], v0, v6, 0
	v_add3_u32 v13, v13, v15, v14
	v_mul_lo_u32 v16, v3, v6
	v_mul_lo_u32 v17, v2, v7
	v_mad_u64_u32 v[14:15], s[4:5], v2, v6, 0
	v_add3_u32 v15, v15, v17, v16
	v_lshl_add_u64 v[12:13], v[12:13], 1, v[8:9]
	v_lshl_add_u64 v[14:15], v[14:15], 1, v[8:9]
	s_mov_b64 s[20:21], 0
	v_mov_b64_e32 v[16:17], v[6:7]
                                        ; implicit-def: $sgpr22_sgpr23
                                        ; implicit-def: $sgpr24_sgpr25
                                        ; implicit-def: $sgpr26_sgpr27
	s_branch .LBB1124_402
.LBB1124_401:                           ;   in Loop: Header=BB1124_402 Depth=1
	s_or_b64 exec, exec, s[34:35]
	s_and_b64 s[4:5], exec, s[4:5]
	s_or_b64 s[20:21], s[4:5], s[20:21]
	s_andn2_b64 s[4:5], s[22:23], exec
	s_and_b64 s[22:23], s[24:25], exec
	s_or_b64 s[22:23], s[4:5], s[22:23]
	s_andn2_b64 exec, exec, s[20:21]
	s_cbranch_execz .LBB1124_406
.LBB1124_402:                           ; =>This Inner Loop Header: Depth=1
	flat_load_ushort v18, v[14:15]
	flat_load_ushort v19, v[12:13]
	s_mov_b64 s[30:31], 0
	s_mov_b64 s[28:29], -1
	s_waitcnt vmcnt(0) lgkmcnt(0)
	v_lshlrev_b32_e32 v18, 16, v18
	v_lshlrev_b32_e32 v19, 16, v19
	v_cmp_nlt_f32_e64 s[4:5], v18, v19
	s_and_saveexec_b64 s[34:35], s[4:5]
; %bb.403:                              ;   in Loop: Header=BB1124_402 Depth=1
	v_cmp_ngt_f32_e64 s[4:5], v18, v19
	s_and_b64 s[26:27], s[4:5], s[26:27]
	s_orn2_b64 s[28:29], s[26:27], exec
	s_and_b64 s[30:31], s[4:5], exec
; %bb.404:                              ;   in Loop: Header=BB1124_402 Depth=1
	s_or_b64 exec, exec, s[34:35]
	s_andn2_b64 s[24:25], s[24:25], exec
	s_and_b64 s[26:27], s[28:29], exec
	s_mov_b64 s[4:5], -1
	s_or_b64 s[24:25], s[24:25], s[26:27]
                                        ; implicit-def: $sgpr26_sgpr27
	s_and_saveexec_b64 s[34:35], s[30:31]
	s_cbranch_execz .LBB1124_401
; %bb.405:                              ;   in Loop: Header=BB1124_402 Depth=1
	v_lshl_add_u64 v[16:17], v[16:17], 0, -1
	v_cmp_eq_u64_e64 s[4:5], 0, v[16:17]
	v_lshl_add_u64 v[12:13], v[12:13], 0, 2
	v_lshl_add_u64 v[14:15], v[14:15], 0, 2
	s_andn2_b64 s[24:25], s[24:25], exec
	s_and_b64 s[26:27], s[28:29], exec
	s_orn2_b64 s[4:5], s[4:5], exec
	s_branch .LBB1124_401
.LBB1124_406:
	s_or_b64 exec, exec, s[20:21]
	s_and_b64 s[4:5], s[22:23], exec
.LBB1124_407:
	s_or_b64 exec, exec, s[18:19]
	s_xor_b64 s[4:5], s[4:5], -1
	s_andn2_b64 s[16:17], s[16:17], exec
	s_and_b64 s[4:5], s[4:5], exec
	s_or_b64 s[16:17], s[16:17], s[4:5]
.LBB1124_408:
	s_or_b64 exec, exec, s[6:7]
	v_cndmask_b32_e64 v12, v68, v66, s[16:17]
	v_cndmask_b32_e64 v13, v100, v99, s[16:17]
	v_add_u32_e32 v16, 1, v12
	v_add_u32_e32 v12, -1, v13
	v_min_u32_e32 v12, v16, v12
	v_mov_b32_e32 v13, 0
	v_lshl_add_u64 v[14:15], v[12:13], 3, v[54:55]
	flat_load_dwordx2 v[14:15], v[14:15]
	v_cndmask_b32_e64 v23, v16, v68, s[16:17]
	s_mov_b64 s[6:7], -1
	v_cndmask_b32_e64 v66, v66, v16, s[16:17]
	v_cmp_lt_u32_e64 s[4:5], v23, v100
	s_mov_b64 s[18:19], -1
	s_waitcnt vmcnt(0) lgkmcnt(0)
	v_cndmask_b32_e64 v20, v15, v3, s[16:17]
	v_cndmask_b32_e64 v21, v14, v2, s[16:17]
	;; [unrolled: 1-line block ×4, first 2 shown]
	s_and_saveexec_b64 s[20:21], s[4:5]
	s_cbranch_execz .LBB1124_420
; %bb.409:
	v_cmp_lt_u32_e64 s[4:5], v66, v99
	s_mov_b64 s[22:23], 0
	s_and_saveexec_b64 s[18:19], s[4:5]
	s_cbranch_execz .LBB1124_419
; %bb.410:
	s_mov_b64 s[4:5], 0
	s_and_saveexec_b64 s[22:23], s[2:3]
	s_cbranch_execz .LBB1124_418
; %bb.411:
	v_mul_lo_u32 v12, v22, v6
	v_mul_lo_u32 v16, v68, v7
	v_mad_u64_u32 v[14:15], s[4:5], v68, v6, 0
	v_add3_u32 v15, v15, v16, v12
	v_mul_lo_u32 v12, v20, v6
	v_mul_lo_u32 v18, v21, v7
	v_mad_u64_u32 v[16:17], s[4:5], v21, v6, 0
	v_add3_u32 v17, v17, v18, v12
	v_lshl_add_u64 v[14:15], v[14:15], 1, v[8:9]
	v_lshl_add_u64 v[16:17], v[16:17], 1, v[8:9]
	s_mov_b64 s[24:25], 0
	v_mov_b64_e32 v[18:19], v[6:7]
                                        ; implicit-def: $sgpr26_sgpr27
                                        ; implicit-def: $sgpr28_sgpr29
                                        ; implicit-def: $sgpr30_sgpr31
	s_branch .LBB1124_413
.LBB1124_412:                           ;   in Loop: Header=BB1124_413 Depth=1
	s_or_b64 exec, exec, s[38:39]
	s_and_b64 s[4:5], exec, s[4:5]
	s_or_b64 s[24:25], s[4:5], s[24:25]
	s_andn2_b64 s[4:5], s[26:27], exec
	s_and_b64 s[26:27], s[28:29], exec
	s_or_b64 s[26:27], s[4:5], s[26:27]
	s_andn2_b64 exec, exec, s[24:25]
	s_cbranch_execz .LBB1124_417
.LBB1124_413:                           ; =>This Inner Loop Header: Depth=1
	flat_load_ushort v12, v[16:17]
	flat_load_ushort v67, v[14:15]
	s_mov_b64 s[36:37], 0
	s_mov_b64 s[34:35], -1
	s_waitcnt vmcnt(0) lgkmcnt(0)
	v_lshlrev_b32_e32 v12, 16, v12
	v_lshlrev_b32_e32 v67, 16, v67
	v_cmp_nlt_f32_e64 s[4:5], v12, v67
	s_and_saveexec_b64 s[38:39], s[4:5]
; %bb.414:                              ;   in Loop: Header=BB1124_413 Depth=1
	v_cmp_ngt_f32_e64 s[4:5], v12, v67
	s_and_b64 s[30:31], s[4:5], s[30:31]
	s_orn2_b64 s[34:35], s[30:31], exec
	s_and_b64 s[36:37], s[4:5], exec
; %bb.415:                              ;   in Loop: Header=BB1124_413 Depth=1
	s_or_b64 exec, exec, s[38:39]
	s_andn2_b64 s[28:29], s[28:29], exec
	s_and_b64 s[30:31], s[34:35], exec
	s_mov_b64 s[4:5], -1
	s_or_b64 s[28:29], s[28:29], s[30:31]
                                        ; implicit-def: $sgpr30_sgpr31
	s_and_saveexec_b64 s[38:39], s[36:37]
	s_cbranch_execz .LBB1124_412
; %bb.416:                              ;   in Loop: Header=BB1124_413 Depth=1
	v_lshl_add_u64 v[18:19], v[18:19], 0, -1
	v_cmp_eq_u64_e64 s[4:5], 0, v[18:19]
	v_lshl_add_u64 v[14:15], v[14:15], 0, 2
	v_lshl_add_u64 v[16:17], v[16:17], 0, 2
	s_andn2_b64 s[28:29], s[28:29], exec
	s_and_b64 s[30:31], s[34:35], exec
	s_orn2_b64 s[4:5], s[4:5], exec
	s_branch .LBB1124_412
.LBB1124_417:
	s_or_b64 exec, exec, s[24:25]
	s_and_b64 s[4:5], s[26:27], exec
.LBB1124_418:
	s_or_b64 exec, exec, s[22:23]
	s_xor_b64 s[4:5], s[4:5], -1
	s_and_b64 s[22:23], s[4:5], exec
.LBB1124_419:
	s_or_b64 exec, exec, s[18:19]
	s_orn2_b64 s[18:19], s[22:23], exec
.LBB1124_420:
	s_or_b64 exec, exec, s[20:21]
	v_cndmask_b32_e64 v12, v23, v66, s[18:19]
	v_cndmask_b32_e64 v14, v100, v99, s[18:19]
	v_add_u32_e32 v15, 1, v12
	v_add_u32_e32 v12, -1, v14
	v_min_u32_e32 v12, v15, v12
	v_lshl_add_u64 v[12:13], v[12:13], 3, v[54:55]
	flat_load_dwordx2 v[12:13], v[12:13]
	v_cndmask_b32_e64 v18, v15, v23, s[18:19]
	v_cndmask_b32_e64 v19, v66, v15, s[18:19]
	v_cmp_lt_u32_e64 s[4:5], v18, v100
	s_waitcnt vmcnt(0) lgkmcnt(0)
	v_cndmask_b32_e64 v23, v13, v20, s[18:19]
	v_cndmask_b32_e64 v69, v12, v21, s[18:19]
	;; [unrolled: 1-line block ×4, first 2 shown]
	s_and_saveexec_b64 s[20:21], s[4:5]
	s_cbranch_execz .LBB1124_430
; %bb.421:
	v_cmp_lt_u32_e64 s[6:7], v19, v99
	s_xor_b64 s[4:5], s[0:1], -1
	s_and_b64 s[4:5], s[6:7], s[4:5]
	s_and_saveexec_b64 s[22:23], s[4:5]
	s_cbranch_execz .LBB1124_429
; %bb.422:
	v_mul_lo_u32 v14, v70, v6
	v_mul_lo_u32 v15, v71, v7
	v_mad_u64_u32 v[12:13], s[4:5], v71, v6, 0
	v_add3_u32 v13, v13, v15, v14
	v_mul_lo_u32 v16, v23, v6
	v_mul_lo_u32 v17, v69, v7
	v_mad_u64_u32 v[14:15], s[4:5], v69, v6, 0
	v_add3_u32 v15, v15, v17, v16
	v_lshl_add_u64 v[12:13], v[12:13], 1, v[8:9]
	v_lshl_add_u64 v[14:15], v[14:15], 1, v[8:9]
	s_mov_b64 s[24:25], 0
	v_mov_b64_e32 v[16:17], v[6:7]
                                        ; implicit-def: $sgpr26_sgpr27
                                        ; implicit-def: $sgpr28_sgpr29
                                        ; implicit-def: $sgpr30_sgpr31
	s_branch .LBB1124_424
.LBB1124_423:                           ;   in Loop: Header=BB1124_424 Depth=1
	s_or_b64 exec, exec, s[40:41]
	s_and_b64 s[4:5], exec, s[34:35]
	s_or_b64 s[24:25], s[4:5], s[24:25]
	s_andn2_b64 s[4:5], s[26:27], exec
	s_and_b64 s[26:27], s[28:29], exec
	s_or_b64 s[26:27], s[4:5], s[26:27]
	s_andn2_b64 exec, exec, s[24:25]
	s_cbranch_execz .LBB1124_428
.LBB1124_424:                           ; =>This Inner Loop Header: Depth=1
	flat_load_ushort v66, v[14:15]
	flat_load_ushort v67, v[12:13]
	s_mov_b64 s[34:35], -1
	s_mov_b64 s[38:39], 0
	s_mov_b64 s[36:37], -1
	s_waitcnt vmcnt(0) lgkmcnt(0)
	v_lshlrev_b32_e32 v66, 16, v66
	v_lshlrev_b32_e32 v67, 16, v67
	v_cmp_nlt_f32_e64 s[4:5], v66, v67
	s_and_saveexec_b64 s[40:41], s[4:5]
; %bb.425:                              ;   in Loop: Header=BB1124_424 Depth=1
	v_cmp_ngt_f32_e64 s[4:5], v66, v67
	s_and_b64 s[30:31], s[4:5], s[30:31]
	s_orn2_b64 s[36:37], s[30:31], exec
	s_and_b64 s[38:39], s[4:5], exec
; %bb.426:                              ;   in Loop: Header=BB1124_424 Depth=1
	s_or_b64 exec, exec, s[40:41]
	s_andn2_b64 s[4:5], s[28:29], exec
	s_and_b64 s[28:29], s[36:37], exec
	s_or_b64 s[28:29], s[4:5], s[28:29]
                                        ; implicit-def: $sgpr30_sgpr31
	s_and_saveexec_b64 s[40:41], s[38:39]
	s_cbranch_execz .LBB1124_423
; %bb.427:                              ;   in Loop: Header=BB1124_424 Depth=1
	v_lshl_add_u64 v[16:17], v[16:17], 0, -1
	v_cmp_eq_u64_e64 s[4:5], 0, v[16:17]
	v_lshl_add_u64 v[12:13], v[12:13], 0, 2
	v_lshl_add_u64 v[14:15], v[14:15], 0, 2
	s_and_b64 s[30:31], s[36:37], exec
	s_andn2_b64 s[28:29], s[28:29], exec
	s_orn2_b64 s[34:35], s[4:5], exec
	s_branch .LBB1124_423
.LBB1124_428:
	s_or_b64 exec, exec, s[24:25]
	s_xor_b64 s[4:5], s[26:27], -1
	s_andn2_b64 s[6:7], s[6:7], exec
	s_and_b64 s[4:5], s[4:5], exec
	s_or_b64 s[6:7], s[6:7], s[4:5]
.LBB1124_429:
	s_or_b64 exec, exec, s[22:23]
	s_orn2_b64 s[6:7], s[6:7], exec
.LBB1124_430:
	s_or_b64 exec, exec, s[20:21]
	v_cndmask_b32_e64 v12, v18, v19, s[6:7]
	v_cndmask_b32_e64 v13, v100, v99, s[6:7]
	v_add_u32_e32 v16, 1, v12
	v_add_u32_e32 v12, -1, v13
	v_min_u32_e32 v12, v16, v12
	v_mov_b32_e32 v13, 0
	v_lshl_add_u64 v[14:15], v[12:13], 3, v[54:55]
	flat_load_dwordx2 v[14:15], v[14:15]
	v_cndmask_b32_e64 v66, v16, v18, s[6:7]
	s_mov_b64 s[20:21], -1
	v_cndmask_b32_e64 v67, v19, v16, s[6:7]
	v_cmp_lt_u32_e64 s[4:5], v66, v100
	s_mov_b64 s[22:23], -1
	s_waitcnt vmcnt(0) lgkmcnt(0)
	v_cndmask_b32_e64 v80, v15, v23, s[6:7]
	v_cndmask_b32_e64 v81, v14, v69, s[6:7]
	;; [unrolled: 1-line block ×4, first 2 shown]
	s_and_saveexec_b64 s[24:25], s[4:5]
	s_cbranch_execz .LBB1124_440
; %bb.431:
	v_cmp_lt_u32_e64 s[22:23], v67, v99
	s_xor_b64 s[4:5], s[0:1], -1
	s_and_b64 s[4:5], s[22:23], s[4:5]
	s_and_saveexec_b64 s[26:27], s[4:5]
	s_cbranch_execz .LBB1124_439
; %bb.432:
	v_mul_lo_u32 v12, v82, v6
	v_mul_lo_u32 v16, v83, v7
	v_mad_u64_u32 v[14:15], s[4:5], v83, v6, 0
	v_add3_u32 v15, v15, v16, v12
	v_mul_lo_u32 v12, v80, v6
	v_mul_lo_u32 v18, v81, v7
	v_mad_u64_u32 v[16:17], s[4:5], v81, v6, 0
	v_add3_u32 v17, v17, v18, v12
	v_lshl_add_u64 v[14:15], v[14:15], 1, v[8:9]
	v_lshl_add_u64 v[16:17], v[16:17], 1, v[8:9]
	s_mov_b64 s[28:29], 0
	v_mov_b64_e32 v[18:19], v[6:7]
                                        ; implicit-def: $sgpr30_sgpr31
                                        ; implicit-def: $sgpr34_sgpr35
                                        ; implicit-def: $sgpr36_sgpr37
	s_branch .LBB1124_434
.LBB1124_433:                           ;   in Loop: Header=BB1124_434 Depth=1
	s_or_b64 exec, exec, s[44:45]
	s_and_b64 s[4:5], exec, s[38:39]
	s_or_b64 s[28:29], s[4:5], s[28:29]
	s_andn2_b64 s[4:5], s[30:31], exec
	s_and_b64 s[30:31], s[34:35], exec
	s_or_b64 s[30:31], s[4:5], s[30:31]
	s_andn2_b64 exec, exec, s[28:29]
	s_cbranch_execz .LBB1124_438
.LBB1124_434:                           ; =>This Inner Loop Header: Depth=1
	flat_load_ushort v12, v[16:17]
	flat_load_ushort v84, v[14:15]
	s_mov_b64 s[38:39], -1
	s_mov_b64 s[42:43], 0
	s_mov_b64 s[40:41], -1
	s_waitcnt vmcnt(0) lgkmcnt(0)
	v_lshlrev_b32_e32 v12, 16, v12
	v_lshlrev_b32_e32 v84, 16, v84
	v_cmp_nlt_f32_e64 s[4:5], v12, v84
	s_and_saveexec_b64 s[44:45], s[4:5]
; %bb.435:                              ;   in Loop: Header=BB1124_434 Depth=1
	v_cmp_ngt_f32_e64 s[4:5], v12, v84
	s_and_b64 s[36:37], s[4:5], s[36:37]
	s_orn2_b64 s[40:41], s[36:37], exec
	s_and_b64 s[42:43], s[4:5], exec
; %bb.436:                              ;   in Loop: Header=BB1124_434 Depth=1
	s_or_b64 exec, exec, s[44:45]
	s_andn2_b64 s[4:5], s[34:35], exec
	s_and_b64 s[34:35], s[40:41], exec
	s_or_b64 s[34:35], s[4:5], s[34:35]
                                        ; implicit-def: $sgpr36_sgpr37
	s_and_saveexec_b64 s[44:45], s[42:43]
	s_cbranch_execz .LBB1124_433
; %bb.437:                              ;   in Loop: Header=BB1124_434 Depth=1
	v_lshl_add_u64 v[18:19], v[18:19], 0, -1
	v_cmp_eq_u64_e64 s[4:5], 0, v[18:19]
	v_lshl_add_u64 v[14:15], v[14:15], 0, 2
	v_lshl_add_u64 v[16:17], v[16:17], 0, 2
	s_and_b64 s[36:37], s[40:41], exec
	s_andn2_b64 s[34:35], s[34:35], exec
	s_orn2_b64 s[38:39], s[4:5], exec
	s_branch .LBB1124_433
.LBB1124_438:
	s_or_b64 exec, exec, s[28:29]
	s_xor_b64 s[4:5], s[30:31], -1
	s_andn2_b64 s[22:23], s[22:23], exec
	s_and_b64 s[4:5], s[4:5], exec
	s_or_b64 s[22:23], s[22:23], s[4:5]
.LBB1124_439:
	s_or_b64 exec, exec, s[26:27]
	s_orn2_b64 s[22:23], s[22:23], exec
.LBB1124_440:
	s_or_b64 exec, exec, s[24:25]
	v_cndmask_b32_e64 v12, v66, v67, s[22:23]
	v_cndmask_b32_e64 v14, v100, v99, s[22:23]
	v_add_u32_e32 v15, 1, v12
	v_add_u32_e32 v12, -1, v14
	v_min_u32_e32 v12, v15, v12
	v_lshl_add_u64 v[12:13], v[12:13], 3, v[54:55]
	flat_load_dwordx2 v[12:13], v[12:13]
	v_cndmask_b32_e64 v18, v15, v66, s[22:23]
	v_cndmask_b32_e64 v19, v67, v15, s[22:23]
	v_cmp_lt_u32_e64 s[4:5], v18, v100
	s_waitcnt vmcnt(0) lgkmcnt(0)
	v_cndmask_b32_e64 v84, v13, v80, s[22:23]
	v_cndmask_b32_e64 v85, v12, v81, s[22:23]
	;; [unrolled: 1-line block ×4, first 2 shown]
	s_and_saveexec_b64 s[24:25], s[4:5]
	s_cbranch_execz .LBB1124_450
; %bb.441:
	v_cmp_lt_u32_e64 s[20:21], v19, v99
	s_xor_b64 s[4:5], s[0:1], -1
	s_and_b64 s[4:5], s[20:21], s[4:5]
	s_and_saveexec_b64 s[26:27], s[4:5]
	s_cbranch_execz .LBB1124_449
; %bb.442:
	v_mul_lo_u32 v14, v86, v6
	v_mul_lo_u32 v15, v87, v7
	v_mad_u64_u32 v[12:13], s[4:5], v87, v6, 0
	v_add3_u32 v13, v13, v15, v14
	v_mul_lo_u32 v16, v84, v6
	v_mul_lo_u32 v17, v85, v7
	v_mad_u64_u32 v[14:15], s[4:5], v85, v6, 0
	v_add3_u32 v15, v15, v17, v16
	v_lshl_add_u64 v[12:13], v[12:13], 1, v[8:9]
	v_lshl_add_u64 v[14:15], v[14:15], 1, v[8:9]
	s_mov_b64 s[28:29], 0
	v_mov_b64_e32 v[16:17], v[6:7]
                                        ; implicit-def: $sgpr30_sgpr31
                                        ; implicit-def: $sgpr34_sgpr35
                                        ; implicit-def: $sgpr36_sgpr37
	s_branch .LBB1124_444
.LBB1124_443:                           ;   in Loop: Header=BB1124_444 Depth=1
	s_or_b64 exec, exec, s[44:45]
	s_and_b64 s[4:5], exec, s[38:39]
	s_or_b64 s[28:29], s[4:5], s[28:29]
	s_andn2_b64 s[4:5], s[30:31], exec
	s_and_b64 s[30:31], s[34:35], exec
	s_or_b64 s[30:31], s[4:5], s[30:31]
	s_andn2_b64 exec, exec, s[28:29]
	s_cbranch_execz .LBB1124_448
.LBB1124_444:                           ; =>This Inner Loop Header: Depth=1
	flat_load_ushort v66, v[14:15]
	flat_load_ushort v67, v[12:13]
	s_mov_b64 s[38:39], -1
	s_mov_b64 s[42:43], 0
	s_mov_b64 s[40:41], -1
	s_waitcnt vmcnt(0) lgkmcnt(0)
	v_lshlrev_b32_e32 v66, 16, v66
	v_lshlrev_b32_e32 v67, 16, v67
	v_cmp_nlt_f32_e64 s[4:5], v66, v67
	s_and_saveexec_b64 s[44:45], s[4:5]
; %bb.445:                              ;   in Loop: Header=BB1124_444 Depth=1
	v_cmp_ngt_f32_e64 s[4:5], v66, v67
	s_and_b64 s[36:37], s[4:5], s[36:37]
	s_orn2_b64 s[40:41], s[36:37], exec
	s_and_b64 s[42:43], s[4:5], exec
; %bb.446:                              ;   in Loop: Header=BB1124_444 Depth=1
	s_or_b64 exec, exec, s[44:45]
	s_andn2_b64 s[4:5], s[34:35], exec
	s_and_b64 s[34:35], s[40:41], exec
	s_or_b64 s[34:35], s[4:5], s[34:35]
                                        ; implicit-def: $sgpr36_sgpr37
	s_and_saveexec_b64 s[44:45], s[42:43]
	s_cbranch_execz .LBB1124_443
; %bb.447:                              ;   in Loop: Header=BB1124_444 Depth=1
	v_lshl_add_u64 v[16:17], v[16:17], 0, -1
	v_cmp_eq_u64_e64 s[4:5], 0, v[16:17]
	v_lshl_add_u64 v[12:13], v[12:13], 0, 2
	v_lshl_add_u64 v[14:15], v[14:15], 0, 2
	s_and_b64 s[36:37], s[40:41], exec
	s_andn2_b64 s[34:35], s[34:35], exec
	s_orn2_b64 s[38:39], s[4:5], exec
	s_branch .LBB1124_443
.LBB1124_448:
	s_or_b64 exec, exec, s[28:29]
	s_xor_b64 s[4:5], s[30:31], -1
	s_andn2_b64 s[20:21], s[20:21], exec
	s_and_b64 s[4:5], s[4:5], exec
	s_or_b64 s[20:21], s[20:21], s[4:5]
.LBB1124_449:
	s_or_b64 exec, exec, s[26:27]
	s_orn2_b64 s[20:21], s[20:21], exec
.LBB1124_450:
	s_or_b64 exec, exec, s[24:25]
	v_cndmask_b32_e64 v12, v18, v19, s[20:21]
	v_cndmask_b32_e64 v13, v100, v99, s[20:21]
	v_add_u32_e32 v16, 1, v12
	v_add_u32_e32 v12, -1, v13
	v_min_u32_e32 v12, v16, v12
	v_mov_b32_e32 v13, 0
	v_lshl_add_u64 v[14:15], v[12:13], 3, v[54:55]
	flat_load_dwordx2 v[14:15], v[14:15]
	v_cndmask_b32_e64 v66, v16, v18, s[20:21]
	s_mov_b64 s[24:25], -1
	v_cndmask_b32_e64 v67, v19, v16, s[20:21]
	v_cmp_lt_u32_e64 s[4:5], v66, v100
	s_mov_b64 s[26:27], -1
	s_waitcnt vmcnt(0) lgkmcnt(0)
	v_cndmask_b32_e64 v96, v15, v84, s[20:21]
	v_cndmask_b32_e64 v97, v14, v85, s[20:21]
	;; [unrolled: 1-line block ×4, first 2 shown]
	s_and_saveexec_b64 s[28:29], s[4:5]
	s_cbranch_execz .LBB1124_460
; %bb.451:
	v_cmp_lt_u32_e64 s[26:27], v67, v99
	s_xor_b64 s[4:5], s[0:1], -1
	s_and_b64 s[4:5], s[26:27], s[4:5]
	s_and_saveexec_b64 s[30:31], s[4:5]
	s_cbranch_execz .LBB1124_459
; %bb.452:
	v_mul_lo_u32 v12, v101, v6
	v_mul_lo_u32 v16, v102, v7
	v_mad_u64_u32 v[14:15], s[4:5], v102, v6, 0
	v_add3_u32 v15, v15, v16, v12
	v_mul_lo_u32 v12, v96, v6
	v_mul_lo_u32 v18, v97, v7
	v_mad_u64_u32 v[16:17], s[4:5], v97, v6, 0
	v_add3_u32 v17, v17, v18, v12
	v_lshl_add_u64 v[14:15], v[14:15], 1, v[8:9]
	v_lshl_add_u64 v[16:17], v[16:17], 1, v[8:9]
	s_mov_b64 s[34:35], 0
	v_mov_b64_e32 v[18:19], v[6:7]
                                        ; implicit-def: $sgpr36_sgpr37
                                        ; implicit-def: $sgpr38_sgpr39
                                        ; implicit-def: $sgpr40_sgpr41
	s_branch .LBB1124_454
.LBB1124_453:                           ;   in Loop: Header=BB1124_454 Depth=1
	s_or_b64 exec, exec, s[48:49]
	s_and_b64 s[4:5], exec, s[42:43]
	s_or_b64 s[34:35], s[4:5], s[34:35]
	s_andn2_b64 s[4:5], s[36:37], exec
	s_and_b64 s[36:37], s[38:39], exec
	s_or_b64 s[36:37], s[4:5], s[36:37]
	s_andn2_b64 exec, exec, s[34:35]
	s_cbranch_execz .LBB1124_458
.LBB1124_454:                           ; =>This Inner Loop Header: Depth=1
	flat_load_ushort v12, v[16:17]
	flat_load_ushort v103, v[14:15]
	s_mov_b64 s[42:43], -1
	s_mov_b64 s[46:47], 0
	s_mov_b64 s[44:45], -1
	s_waitcnt vmcnt(0) lgkmcnt(0)
	v_lshlrev_b32_e32 v12, 16, v12
	v_lshlrev_b32_e32 v103, 16, v103
	v_cmp_nlt_f32_e64 s[4:5], v12, v103
	s_and_saveexec_b64 s[48:49], s[4:5]
; %bb.455:                              ;   in Loop: Header=BB1124_454 Depth=1
	v_cmp_ngt_f32_e64 s[4:5], v12, v103
	s_and_b64 s[40:41], s[4:5], s[40:41]
	s_orn2_b64 s[44:45], s[40:41], exec
	s_and_b64 s[46:47], s[4:5], exec
; %bb.456:                              ;   in Loop: Header=BB1124_454 Depth=1
	s_or_b64 exec, exec, s[48:49]
	s_andn2_b64 s[4:5], s[38:39], exec
	s_and_b64 s[38:39], s[44:45], exec
	s_or_b64 s[38:39], s[4:5], s[38:39]
                                        ; implicit-def: $sgpr40_sgpr41
	s_and_saveexec_b64 s[48:49], s[46:47]
	s_cbranch_execz .LBB1124_453
; %bb.457:                              ;   in Loop: Header=BB1124_454 Depth=1
	v_lshl_add_u64 v[18:19], v[18:19], 0, -1
	v_cmp_eq_u64_e64 s[4:5], 0, v[18:19]
	v_lshl_add_u64 v[14:15], v[14:15], 0, 2
	v_lshl_add_u64 v[16:17], v[16:17], 0, 2
	s_and_b64 s[40:41], s[44:45], exec
	s_andn2_b64 s[38:39], s[38:39], exec
	s_orn2_b64 s[42:43], s[4:5], exec
	s_branch .LBB1124_453
.LBB1124_458:
	s_or_b64 exec, exec, s[34:35]
	s_xor_b64 s[4:5], s[36:37], -1
	s_andn2_b64 s[26:27], s[26:27], exec
	s_and_b64 s[4:5], s[4:5], exec
	s_or_b64 s[26:27], s[26:27], s[4:5]
.LBB1124_459:
	s_or_b64 exec, exec, s[30:31]
	s_orn2_b64 s[26:27], s[26:27], exec
.LBB1124_460:
	s_or_b64 exec, exec, s[28:29]
	v_cndmask_b32_e64 v12, v66, v67, s[26:27]
	v_cndmask_b32_e64 v14, v100, v99, s[26:27]
	v_add_u32_e32 v15, 1, v12
	v_add_u32_e32 v12, -1, v14
	v_min_u32_e32 v12, v15, v12
	v_lshl_add_u64 v[12:13], v[12:13], 3, v[54:55]
	flat_load_dwordx2 v[12:13], v[12:13]
	v_cndmask_b32_e64 v114, v15, v66, s[26:27]
	v_cndmask_b32_e64 v103, v67, v15, s[26:27]
	v_cmp_lt_u32_e64 s[4:5], v114, v100
	s_waitcnt vmcnt(0) lgkmcnt(0)
	v_cndmask_b32_e64 v112, v13, v96, s[26:27]
	v_cndmask_b32_e64 v113, v12, v97, s[26:27]
	;; [unrolled: 1-line block ×4, first 2 shown]
	s_and_saveexec_b64 s[28:29], s[4:5]
	s_cbranch_execz .LBB1124_470
; %bb.461:
	v_cmp_lt_u32_e64 s[24:25], v103, v99
	s_xor_b64 s[4:5], s[0:1], -1
	s_and_b64 s[4:5], s[24:25], s[4:5]
	s_and_saveexec_b64 s[30:31], s[4:5]
	s_cbranch_execz .LBB1124_469
; %bb.462:
	v_mul_lo_u32 v14, v115, v6
	v_mul_lo_u32 v15, v116, v7
	v_mad_u64_u32 v[12:13], s[4:5], v116, v6, 0
	v_add3_u32 v13, v13, v15, v14
	v_mul_lo_u32 v16, v112, v6
	v_mul_lo_u32 v17, v113, v7
	v_mad_u64_u32 v[14:15], s[4:5], v113, v6, 0
	v_add3_u32 v15, v15, v17, v16
	v_lshl_add_u64 v[12:13], v[12:13], 1, v[8:9]
	v_lshl_add_u64 v[14:15], v[14:15], 1, v[8:9]
	s_mov_b64 s[34:35], 0
	v_mov_b64_e32 v[16:17], v[6:7]
                                        ; implicit-def: $sgpr36_sgpr37
                                        ; implicit-def: $sgpr38_sgpr39
                                        ; implicit-def: $sgpr40_sgpr41
	s_branch .LBB1124_464
.LBB1124_463:                           ;   in Loop: Header=BB1124_464 Depth=1
	s_or_b64 exec, exec, s[48:49]
	s_and_b64 s[4:5], exec, s[42:43]
	s_or_b64 s[34:35], s[4:5], s[34:35]
	s_andn2_b64 s[4:5], s[36:37], exec
	s_and_b64 s[36:37], s[38:39], exec
	s_or_b64 s[36:37], s[4:5], s[36:37]
	s_andn2_b64 exec, exec, s[34:35]
	s_cbranch_execz .LBB1124_468
.LBB1124_464:                           ; =>This Inner Loop Header: Depth=1
	flat_load_ushort v18, v[14:15]
	flat_load_ushort v19, v[12:13]
	s_mov_b64 s[42:43], -1
	s_mov_b64 s[46:47], 0
	s_mov_b64 s[44:45], -1
	s_waitcnt vmcnt(0) lgkmcnt(0)
	v_lshlrev_b32_e32 v18, 16, v18
	v_lshlrev_b32_e32 v19, 16, v19
	v_cmp_nlt_f32_e64 s[4:5], v18, v19
	s_and_saveexec_b64 s[48:49], s[4:5]
; %bb.465:                              ;   in Loop: Header=BB1124_464 Depth=1
	v_cmp_ngt_f32_e64 s[4:5], v18, v19
	s_and_b64 s[40:41], s[4:5], s[40:41]
	s_orn2_b64 s[44:45], s[40:41], exec
	s_and_b64 s[46:47], s[4:5], exec
; %bb.466:                              ;   in Loop: Header=BB1124_464 Depth=1
	s_or_b64 exec, exec, s[48:49]
	s_andn2_b64 s[4:5], s[38:39], exec
	s_and_b64 s[38:39], s[44:45], exec
	s_or_b64 s[38:39], s[4:5], s[38:39]
                                        ; implicit-def: $sgpr40_sgpr41
	s_and_saveexec_b64 s[48:49], s[46:47]
	s_cbranch_execz .LBB1124_463
; %bb.467:                              ;   in Loop: Header=BB1124_464 Depth=1
	v_lshl_add_u64 v[16:17], v[16:17], 0, -1
	v_cmp_eq_u64_e64 s[4:5], 0, v[16:17]
	v_lshl_add_u64 v[12:13], v[12:13], 0, 2
	v_lshl_add_u64 v[14:15], v[14:15], 0, 2
	s_and_b64 s[40:41], s[44:45], exec
	s_andn2_b64 s[38:39], s[38:39], exec
	s_orn2_b64 s[42:43], s[4:5], exec
	s_branch .LBB1124_463
.LBB1124_468:
	s_or_b64 exec, exec, s[34:35]
	s_xor_b64 s[4:5], s[36:37], -1
	s_andn2_b64 s[24:25], s[24:25], exec
	s_and_b64 s[4:5], s[4:5], exec
	s_or_b64 s[24:25], s[24:25], s[4:5]
.LBB1124_469:
	s_or_b64 exec, exec, s[30:31]
	s_orn2_b64 s[24:25], s[24:25], exec
.LBB1124_470:
	s_or_b64 exec, exec, s[28:29]
	v_cndmask_b32_e64 v12, v114, v103, s[24:25]
	v_cndmask_b32_e64 v13, v100, v99, s[24:25]
	v_add_u32_e32 v117, 1, v12
	v_add_u32_e32 v12, -1, v13
	v_min_u32_e32 v12, v117, v12
	v_mov_b32_e32 v13, 0
	v_lshl_add_u64 v[12:13], v[12:13], 3, v[54:55]
	flat_load_dwordx2 v[66:67], v[12:13]
	v_cndmask_b32_e64 v17, v23, v70, s[6:7]
	v_cndmask_b32_e64 v23, v20, v22, s[18:19]
	;; [unrolled: 1-line block ×15, first 2 shown]
	v_cmp_lt_u32_e64 s[4:5], v68, v100
	s_waitcnt vmcnt(0) lgkmcnt(0)
	v_cndmask_b32_e64 v3, v115, v67, s[24:25]
	v_cndmask_b32_e64 v2, v116, v66, s[24:25]
	s_and_saveexec_b64 s[6:7], s[4:5]
	s_cbranch_execz .LBB1124_480
; %bb.471:
	v_cndmask_b32_e64 v81, v66, v113, s[24:25]
	v_cndmask_b32_e64 v66, v103, v117, s[24:25]
	v_cmp_ge_u32_e64 s[4:5], v66, v99
	v_cndmask_b32_e64 v80, v67, v112, s[24:25]
	s_or_b64 s[16:17], s[4:5], s[0:1]
	v_cndmask_b32_e64 v67, v3, v80, s[4:5]
	s_xor_b64 s[18:19], s[16:17], -1
	v_cndmask_b32_e64 v66, v2, v81, s[4:5]
	s_and_saveexec_b64 s[16:17], s[18:19]
	s_cbranch_execz .LBB1124_479
; %bb.472:
	v_mul_lo_u32 v68, v3, v6
	v_mul_lo_u32 v69, v2, v7
	v_mad_u64_u32 v[66:67], s[4:5], v2, v6, 0
	v_add3_u32 v67, v67, v69, v68
	v_mul_lo_u32 v70, v80, v6
	v_mul_lo_u32 v71, v81, v7
	v_mad_u64_u32 v[68:69], s[4:5], v81, v6, 0
	v_add3_u32 v69, v69, v71, v70
	v_lshl_add_u64 v[66:67], v[66:67], 1, v[8:9]
	v_lshl_add_u64 v[68:69], v[68:69], 1, v[8:9]
	s_mov_b64 s[18:19], 0
	v_mov_b64_e32 v[70:71], v[6:7]
                                        ; implicit-def: $sgpr20_sgpr21
                                        ; implicit-def: $sgpr22_sgpr23
                                        ; implicit-def: $sgpr24_sgpr25
	s_branch .LBB1124_474
.LBB1124_473:                           ;   in Loop: Header=BB1124_474 Depth=1
	s_or_b64 exec, exec, s[34:35]
	s_and_b64 s[4:5], exec, s[26:27]
	s_or_b64 s[18:19], s[4:5], s[18:19]
	s_andn2_b64 s[4:5], s[20:21], exec
	s_and_b64 s[20:21], s[22:23], exec
	s_or_b64 s[20:21], s[4:5], s[20:21]
	s_andn2_b64 exec, exec, s[18:19]
	s_cbranch_execz .LBB1124_478
.LBB1124_474:                           ; =>This Inner Loop Header: Depth=1
	flat_load_ushort v82, v[68:69]
	flat_load_ushort v83, v[66:67]
	s_mov_b64 s[26:27], -1
	s_mov_b64 s[30:31], 0
	s_mov_b64 s[28:29], -1
	s_waitcnt vmcnt(0) lgkmcnt(0)
	v_lshlrev_b32_e32 v82, 16, v82
	v_lshlrev_b32_e32 v83, 16, v83
	v_cmp_nlt_f32_e64 s[4:5], v82, v83
	s_and_saveexec_b64 s[34:35], s[4:5]
; %bb.475:                              ;   in Loop: Header=BB1124_474 Depth=1
	v_cmp_ngt_f32_e64 s[4:5], v82, v83
	s_and_b64 s[24:25], s[4:5], s[24:25]
	s_orn2_b64 s[28:29], s[24:25], exec
	s_and_b64 s[30:31], s[4:5], exec
; %bb.476:                              ;   in Loop: Header=BB1124_474 Depth=1
	s_or_b64 exec, exec, s[34:35]
	s_andn2_b64 s[4:5], s[22:23], exec
	s_and_b64 s[22:23], s[28:29], exec
	s_or_b64 s[22:23], s[4:5], s[22:23]
                                        ; implicit-def: $sgpr24_sgpr25
	s_and_saveexec_b64 s[34:35], s[30:31]
	s_cbranch_execz .LBB1124_473
; %bb.477:                              ;   in Loop: Header=BB1124_474 Depth=1
	v_lshl_add_u64 v[70:71], v[70:71], 0, -1
	v_cmp_eq_u64_e64 s[4:5], 0, v[70:71]
	v_lshl_add_u64 v[66:67], v[66:67], 0, 2
	v_lshl_add_u64 v[68:69], v[68:69], 0, 2
	s_and_b64 s[24:25], s[28:29], exec
	s_andn2_b64 s[22:23], s[22:23], exec
	s_orn2_b64 s[26:27], s[4:5], exec
	s_branch .LBB1124_473
.LBB1124_478:
	s_or_b64 exec, exec, s[18:19]
	v_cndmask_b32_e64 v67, v3, v80, s[20:21]
	v_cndmask_b32_e64 v66, v2, v81, s[20:21]
.LBB1124_479:
	s_or_b64 exec, exec, s[16:17]
	v_mov_b64_e32 v[2:3], v[66:67]
.LBB1124_480:
	s_or_b64 exec, exec, s[6:7]
.LBB1124_481:
	s_or_b64 exec, exec, s[14:15]
	v_and_b32_e32 v101, 0x3c0, v98
	v_or_b32_e32 v66, 32, v101
	v_min_u32_e32 v99, v31, v66
	v_add_u32_e32 v66, 32, v99
	v_min_u32_e32 v100, v31, v66
	v_and_b32_e32 v66, 56, v98
	v_min_u32_e32 v102, v31, v66
	v_sub_u32_e32 v66, v99, v101
	v_sub_u32_e32 v67, v100, v99
	v_sub_u32_e64 v103, v102, v67 clamp
	v_min_u32_e32 v112, v102, v66
	v_cmp_lt_u32_e64 s[4:5], v103, v112
	; wave barrier
	flat_store_dwordx4 v[64:65], v[20:23]
	flat_store_dwordx4 v[64:65], v[16:19] offset:16
	flat_store_dwordx4 v[64:65], v[12:15] offset:32
	;; [unrolled: 1-line block ×3, first 2 shown]
	; wave barrier
	s_and_saveexec_b64 s[6:7], s[4:5]
	s_cbranch_execz .LBB1124_493
; %bb.482:
	v_lshlrev_b32_e32 v66, 3, v101
	v_mov_b32_e32 v67, 0
	v_lshl_add_u64 v[68:69], v[54:55], 0, v[66:67]
	v_lshlrev_b32_e32 v66, 3, v99
	v_lshl_add_u64 v[70:71], v[54:55], 0, v[66:67]
	v_lshlrev_b64 v[80:81], 1, v[6:7]
	s_mov_b64 s[14:15], 0
	s_branch .LBB1124_485
.LBB1124_483:                           ;   in Loop: Header=BB1124_485 Depth=1
	s_or_b64 exec, exec, s[18:19]
	s_and_b64 s[4:5], s[20:21], exec
.LBB1124_484:                           ;   in Loop: Header=BB1124_485 Depth=1
	s_or_b64 exec, exec, s[16:17]
	v_add_u32_e32 v66, 1, v82
	v_cndmask_b32_e64 v112, v112, v82, s[4:5]
	v_cndmask_b32_e64 v103, v66, v103, s[4:5]
	v_cmp_ge_u32_e64 s[4:5], v103, v112
	s_or_b64 s[14:15], s[4:5], s[14:15]
	s_andn2_b64 exec, exec, s[14:15]
	s_cbranch_execz .LBB1124_492
.LBB1124_485:                           ; =>This Loop Header: Depth=1
                                        ;     Child Loop BB1124_488 Depth 2
	v_add_u32_e32 v66, v112, v103
	v_lshrrev_b32_e32 v82, 1, v66
	s_mov_b64 s[4:5], 0
	s_and_saveexec_b64 s[16:17], vcc
	s_cbranch_execz .LBB1124_484
; %bb.486:                              ;   in Loop: Header=BB1124_485 Depth=1
	v_mov_b32_e32 v83, v67
	v_xad_u32 v66, v82, -1, v102
	v_lshl_add_u64 v[84:85], v[82:83], 3, v[68:69]
	v_lshl_add_u64 v[86:87], v[66:67], 3, v[70:71]
	flat_load_dwordx2 v[84:85], v[84:85]
	s_mov_b64 s[18:19], 0
	flat_load_dwordx2 v[86:87], v[86:87]
                                        ; implicit-def: $sgpr20_sgpr21
                                        ; implicit-def: $sgpr22_sgpr23
                                        ; implicit-def: $sgpr24_sgpr25
	s_waitcnt vmcnt(0) lgkmcnt(0)
	v_mul_lo_u32 v66, v80, v85
	v_mul_lo_u32 v83, v81, v84
	v_mad_u64_u32 v[84:85], s[4:5], v80, v84, v[8:9]
	v_mul_lo_u32 v96, v80, v87
	v_mul_lo_u32 v97, v81, v86
	v_mad_u64_u32 v[86:87], s[4:5], v80, v86, v[8:9]
	v_add3_u32 v85, v83, v85, v66
	v_add3_u32 v87, v97, v87, v96
	v_mov_b64_e32 v[96:97], v[6:7]
	s_branch .LBB1124_488
.LBB1124_487:                           ;   in Loop: Header=BB1124_488 Depth=2
	s_or_b64 exec, exec, s[34:35]
	s_and_b64 s[4:5], exec, s[26:27]
	s_or_b64 s[18:19], s[4:5], s[18:19]
	s_andn2_b64 s[4:5], s[20:21], exec
	s_and_b64 s[20:21], s[22:23], exec
	s_or_b64 s[20:21], s[4:5], s[20:21]
	s_andn2_b64 exec, exec, s[18:19]
	s_cbranch_execz .LBB1124_483
.LBB1124_488:                           ;   Parent Loop BB1124_485 Depth=1
                                        ; =>  This Inner Loop Header: Depth=2
	flat_load_ushort v66, v[86:87]
	flat_load_ushort v83, v[84:85]
	s_mov_b64 s[26:27], -1
	s_mov_b64 s[30:31], 0
	s_mov_b64 s[28:29], -1
	s_waitcnt vmcnt(0) lgkmcnt(0)
	v_lshlrev_b32_e32 v66, 16, v66
	v_lshlrev_b32_e32 v83, 16, v83
	v_cmp_nlt_f32_e64 s[4:5], v66, v83
	s_and_saveexec_b64 s[34:35], s[4:5]
; %bb.489:                              ;   in Loop: Header=BB1124_488 Depth=2
	v_cmp_ngt_f32_e64 s[4:5], v66, v83
	s_and_b64 s[24:25], s[4:5], s[24:25]
	s_orn2_b64 s[28:29], s[24:25], exec
	s_and_b64 s[30:31], s[4:5], exec
; %bb.490:                              ;   in Loop: Header=BB1124_488 Depth=2
	s_or_b64 exec, exec, s[34:35]
	s_andn2_b64 s[4:5], s[22:23], exec
	s_and_b64 s[22:23], s[28:29], exec
	s_or_b64 s[22:23], s[4:5], s[22:23]
                                        ; implicit-def: $sgpr24_sgpr25
	s_and_saveexec_b64 s[34:35], s[30:31]
	s_cbranch_execz .LBB1124_487
; %bb.491:                              ;   in Loop: Header=BB1124_488 Depth=2
	v_lshl_add_u64 v[96:97], v[96:97], 0, -1
	v_cmp_eq_u64_e64 s[4:5], 0, v[96:97]
	v_lshl_add_u64 v[84:85], v[84:85], 0, 2
	v_lshl_add_u64 v[86:87], v[86:87], 0, 2
	s_andn2_b64 s[22:23], s[22:23], exec
	s_and_b64 s[24:25], s[28:29], exec
	s_orn2_b64 s[26:27], s[4:5], exec
	s_branch .LBB1124_487
.LBB1124_492:
	s_or_b64 exec, exec, s[14:15]
.LBB1124_493:
	s_or_b64 exec, exec, s[6:7]
	v_add_u32_e32 v67, v99, v102
	v_add_u32_e32 v66, v103, v101
	v_sub_u32_e32 v68, v67, v103
	v_cmp_le_u32_e64 s[4:5], v66, v99
	v_cmp_le_u32_e64 s[6:7], v68, v100
	s_or_b64 s[4:5], s[4:5], s[6:7]
	s_and_saveexec_b64 s[14:15], s[4:5]
	s_cbranch_execz .LBB1124_581
; %bb.494:
	v_cmp_ge_u32_e64 s[4:5], v66, v99
	v_cmp_lt_u32_e64 s[6:7], v66, v99
                                        ; implicit-def: $vgpr0_vgpr1
	s_and_saveexec_b64 s[16:17], s[6:7]
	s_cbranch_execz .LBB1124_496
; %bb.495:
	v_mov_b32_e32 v67, 0
	v_lshl_add_u64 v[0:1], v[66:67], 3, v[54:55]
	flat_load_dwordx2 v[0:1], v[0:1]
.LBB1124_496:
	s_or_b64 exec, exec, s[16:17]
	v_cmp_ge_u32_e64 s[16:17], v68, v100
	v_cmp_lt_u32_e64 s[6:7], v68, v100
                                        ; implicit-def: $vgpr2_vgpr3
	s_and_saveexec_b64 s[18:19], s[6:7]
	s_cbranch_execz .LBB1124_498
; %bb.497:
	v_mov_b32_e32 v69, 0
	v_lshl_add_u64 v[2:3], v[68:69], 3, v[54:55]
	flat_load_dwordx2 v[2:3], v[2:3]
.LBB1124_498:
	s_or_b64 exec, exec, s[18:19]
	s_or_b64 s[4:5], s[4:5], s[16:17]
	s_xor_b64 s[4:5], s[4:5], -1
	s_and_saveexec_b64 s[6:7], s[4:5]
	s_cbranch_execz .LBB1124_508
; %bb.499:
	s_mov_b64 s[4:5], 0
	s_and_saveexec_b64 s[18:19], s[2:3]
	s_cbranch_execz .LBB1124_507
; %bb.500:
	s_waitcnt vmcnt(0) lgkmcnt(0)
	v_mul_lo_u32 v14, v1, v6
	v_mul_lo_u32 v15, v0, v7
	v_mad_u64_u32 v[12:13], s[4:5], v0, v6, 0
	v_add3_u32 v13, v13, v15, v14
	v_mul_lo_u32 v16, v3, v6
	v_mul_lo_u32 v17, v2, v7
	v_mad_u64_u32 v[14:15], s[4:5], v2, v6, 0
	v_add3_u32 v15, v15, v17, v16
	v_lshl_add_u64 v[12:13], v[12:13], 1, v[8:9]
	v_lshl_add_u64 v[14:15], v[14:15], 1, v[8:9]
	s_mov_b64 s[20:21], 0
	v_mov_b64_e32 v[16:17], v[6:7]
                                        ; implicit-def: $sgpr22_sgpr23
                                        ; implicit-def: $sgpr24_sgpr25
                                        ; implicit-def: $sgpr26_sgpr27
	s_branch .LBB1124_502
.LBB1124_501:                           ;   in Loop: Header=BB1124_502 Depth=1
	s_or_b64 exec, exec, s[34:35]
	s_and_b64 s[4:5], exec, s[4:5]
	s_or_b64 s[20:21], s[4:5], s[20:21]
	s_andn2_b64 s[4:5], s[22:23], exec
	s_and_b64 s[22:23], s[24:25], exec
	s_or_b64 s[22:23], s[4:5], s[22:23]
	s_andn2_b64 exec, exec, s[20:21]
	s_cbranch_execz .LBB1124_506
.LBB1124_502:                           ; =>This Inner Loop Header: Depth=1
	flat_load_ushort v18, v[14:15]
	flat_load_ushort v19, v[12:13]
	s_mov_b64 s[30:31], 0
	s_mov_b64 s[28:29], -1
	s_waitcnt vmcnt(0) lgkmcnt(0)
	v_lshlrev_b32_e32 v18, 16, v18
	v_lshlrev_b32_e32 v19, 16, v19
	v_cmp_nlt_f32_e64 s[4:5], v18, v19
	s_and_saveexec_b64 s[34:35], s[4:5]
; %bb.503:                              ;   in Loop: Header=BB1124_502 Depth=1
	v_cmp_ngt_f32_e64 s[4:5], v18, v19
	s_and_b64 s[26:27], s[4:5], s[26:27]
	s_orn2_b64 s[28:29], s[26:27], exec
	s_and_b64 s[30:31], s[4:5], exec
; %bb.504:                              ;   in Loop: Header=BB1124_502 Depth=1
	s_or_b64 exec, exec, s[34:35]
	s_andn2_b64 s[24:25], s[24:25], exec
	s_and_b64 s[26:27], s[28:29], exec
	s_mov_b64 s[4:5], -1
	s_or_b64 s[24:25], s[24:25], s[26:27]
                                        ; implicit-def: $sgpr26_sgpr27
	s_and_saveexec_b64 s[34:35], s[30:31]
	s_cbranch_execz .LBB1124_501
; %bb.505:                              ;   in Loop: Header=BB1124_502 Depth=1
	v_lshl_add_u64 v[16:17], v[16:17], 0, -1
	v_cmp_eq_u64_e64 s[4:5], 0, v[16:17]
	v_lshl_add_u64 v[12:13], v[12:13], 0, 2
	v_lshl_add_u64 v[14:15], v[14:15], 0, 2
	s_andn2_b64 s[24:25], s[24:25], exec
	s_and_b64 s[26:27], s[28:29], exec
	s_orn2_b64 s[4:5], s[4:5], exec
	s_branch .LBB1124_501
.LBB1124_506:
	s_or_b64 exec, exec, s[20:21]
	s_and_b64 s[4:5], s[22:23], exec
.LBB1124_507:
	s_or_b64 exec, exec, s[18:19]
	s_xor_b64 s[4:5], s[4:5], -1
	s_andn2_b64 s[16:17], s[16:17], exec
	s_and_b64 s[4:5], s[4:5], exec
	s_or_b64 s[16:17], s[16:17], s[4:5]
.LBB1124_508:
	s_or_b64 exec, exec, s[6:7]
	v_cndmask_b32_e64 v12, v68, v66, s[16:17]
	v_cndmask_b32_e64 v13, v100, v99, s[16:17]
	v_add_u32_e32 v16, 1, v12
	v_add_u32_e32 v12, -1, v13
	v_min_u32_e32 v12, v16, v12
	v_mov_b32_e32 v13, 0
	v_lshl_add_u64 v[14:15], v[12:13], 3, v[54:55]
	flat_load_dwordx2 v[14:15], v[14:15]
	v_cndmask_b32_e64 v23, v16, v68, s[16:17]
	s_mov_b64 s[6:7], -1
	v_cndmask_b32_e64 v66, v66, v16, s[16:17]
	v_cmp_lt_u32_e64 s[4:5], v23, v100
	s_mov_b64 s[18:19], -1
	s_waitcnt vmcnt(0) lgkmcnt(0)
	v_cndmask_b32_e64 v20, v15, v3, s[16:17]
	v_cndmask_b32_e64 v21, v14, v2, s[16:17]
	;; [unrolled: 1-line block ×4, first 2 shown]
	s_and_saveexec_b64 s[20:21], s[4:5]
	s_cbranch_execz .LBB1124_520
; %bb.509:
	v_cmp_lt_u32_e64 s[4:5], v66, v99
	s_mov_b64 s[22:23], 0
	s_and_saveexec_b64 s[18:19], s[4:5]
	s_cbranch_execz .LBB1124_519
; %bb.510:
	s_mov_b64 s[4:5], 0
	s_and_saveexec_b64 s[22:23], s[2:3]
	s_cbranch_execz .LBB1124_518
; %bb.511:
	v_mul_lo_u32 v12, v22, v6
	v_mul_lo_u32 v16, v68, v7
	v_mad_u64_u32 v[14:15], s[4:5], v68, v6, 0
	v_add3_u32 v15, v15, v16, v12
	v_mul_lo_u32 v12, v20, v6
	v_mul_lo_u32 v18, v21, v7
	v_mad_u64_u32 v[16:17], s[4:5], v21, v6, 0
	v_add3_u32 v17, v17, v18, v12
	v_lshl_add_u64 v[14:15], v[14:15], 1, v[8:9]
	v_lshl_add_u64 v[16:17], v[16:17], 1, v[8:9]
	s_mov_b64 s[24:25], 0
	v_mov_b64_e32 v[18:19], v[6:7]
                                        ; implicit-def: $sgpr26_sgpr27
                                        ; implicit-def: $sgpr28_sgpr29
                                        ; implicit-def: $sgpr30_sgpr31
	s_branch .LBB1124_513
.LBB1124_512:                           ;   in Loop: Header=BB1124_513 Depth=1
	s_or_b64 exec, exec, s[38:39]
	s_and_b64 s[4:5], exec, s[4:5]
	s_or_b64 s[24:25], s[4:5], s[24:25]
	s_andn2_b64 s[4:5], s[26:27], exec
	s_and_b64 s[26:27], s[28:29], exec
	s_or_b64 s[26:27], s[4:5], s[26:27]
	s_andn2_b64 exec, exec, s[24:25]
	s_cbranch_execz .LBB1124_517
.LBB1124_513:                           ; =>This Inner Loop Header: Depth=1
	flat_load_ushort v12, v[16:17]
	flat_load_ushort v67, v[14:15]
	s_mov_b64 s[36:37], 0
	s_mov_b64 s[34:35], -1
	s_waitcnt vmcnt(0) lgkmcnt(0)
	v_lshlrev_b32_e32 v12, 16, v12
	v_lshlrev_b32_e32 v67, 16, v67
	v_cmp_nlt_f32_e64 s[4:5], v12, v67
	s_and_saveexec_b64 s[38:39], s[4:5]
; %bb.514:                              ;   in Loop: Header=BB1124_513 Depth=1
	v_cmp_ngt_f32_e64 s[4:5], v12, v67
	s_and_b64 s[30:31], s[4:5], s[30:31]
	s_orn2_b64 s[34:35], s[30:31], exec
	s_and_b64 s[36:37], s[4:5], exec
; %bb.515:                              ;   in Loop: Header=BB1124_513 Depth=1
	s_or_b64 exec, exec, s[38:39]
	s_andn2_b64 s[28:29], s[28:29], exec
	s_and_b64 s[30:31], s[34:35], exec
	s_mov_b64 s[4:5], -1
	s_or_b64 s[28:29], s[28:29], s[30:31]
                                        ; implicit-def: $sgpr30_sgpr31
	s_and_saveexec_b64 s[38:39], s[36:37]
	s_cbranch_execz .LBB1124_512
; %bb.516:                              ;   in Loop: Header=BB1124_513 Depth=1
	v_lshl_add_u64 v[18:19], v[18:19], 0, -1
	v_cmp_eq_u64_e64 s[4:5], 0, v[18:19]
	v_lshl_add_u64 v[14:15], v[14:15], 0, 2
	v_lshl_add_u64 v[16:17], v[16:17], 0, 2
	s_andn2_b64 s[28:29], s[28:29], exec
	s_and_b64 s[30:31], s[34:35], exec
	s_orn2_b64 s[4:5], s[4:5], exec
	s_branch .LBB1124_512
.LBB1124_517:
	s_or_b64 exec, exec, s[24:25]
	s_and_b64 s[4:5], s[26:27], exec
.LBB1124_518:
	s_or_b64 exec, exec, s[22:23]
	s_xor_b64 s[4:5], s[4:5], -1
	s_and_b64 s[22:23], s[4:5], exec
.LBB1124_519:
	s_or_b64 exec, exec, s[18:19]
	s_orn2_b64 s[18:19], s[22:23], exec
.LBB1124_520:
	s_or_b64 exec, exec, s[20:21]
	v_cndmask_b32_e64 v12, v23, v66, s[18:19]
	v_cndmask_b32_e64 v14, v100, v99, s[18:19]
	v_add_u32_e32 v15, 1, v12
	v_add_u32_e32 v12, -1, v14
	v_min_u32_e32 v12, v15, v12
	v_lshl_add_u64 v[12:13], v[12:13], 3, v[54:55]
	flat_load_dwordx2 v[12:13], v[12:13]
	v_cndmask_b32_e64 v18, v15, v23, s[18:19]
	v_cndmask_b32_e64 v19, v66, v15, s[18:19]
	v_cmp_lt_u32_e64 s[4:5], v18, v100
	s_waitcnt vmcnt(0) lgkmcnt(0)
	v_cndmask_b32_e64 v23, v13, v20, s[18:19]
	v_cndmask_b32_e64 v69, v12, v21, s[18:19]
	;; [unrolled: 1-line block ×4, first 2 shown]
	s_and_saveexec_b64 s[20:21], s[4:5]
	s_cbranch_execz .LBB1124_530
; %bb.521:
	v_cmp_lt_u32_e64 s[6:7], v19, v99
	s_xor_b64 s[4:5], s[0:1], -1
	s_and_b64 s[4:5], s[6:7], s[4:5]
	s_and_saveexec_b64 s[22:23], s[4:5]
	s_cbranch_execz .LBB1124_529
; %bb.522:
	v_mul_lo_u32 v14, v70, v6
	v_mul_lo_u32 v15, v71, v7
	v_mad_u64_u32 v[12:13], s[4:5], v71, v6, 0
	v_add3_u32 v13, v13, v15, v14
	v_mul_lo_u32 v16, v23, v6
	v_mul_lo_u32 v17, v69, v7
	v_mad_u64_u32 v[14:15], s[4:5], v69, v6, 0
	v_add3_u32 v15, v15, v17, v16
	v_lshl_add_u64 v[12:13], v[12:13], 1, v[8:9]
	v_lshl_add_u64 v[14:15], v[14:15], 1, v[8:9]
	s_mov_b64 s[24:25], 0
	v_mov_b64_e32 v[16:17], v[6:7]
                                        ; implicit-def: $sgpr26_sgpr27
                                        ; implicit-def: $sgpr28_sgpr29
                                        ; implicit-def: $sgpr30_sgpr31
	s_branch .LBB1124_524
.LBB1124_523:                           ;   in Loop: Header=BB1124_524 Depth=1
	s_or_b64 exec, exec, s[40:41]
	s_and_b64 s[4:5], exec, s[34:35]
	s_or_b64 s[24:25], s[4:5], s[24:25]
	s_andn2_b64 s[4:5], s[26:27], exec
	s_and_b64 s[26:27], s[28:29], exec
	s_or_b64 s[26:27], s[4:5], s[26:27]
	s_andn2_b64 exec, exec, s[24:25]
	s_cbranch_execz .LBB1124_528
.LBB1124_524:                           ; =>This Inner Loop Header: Depth=1
	flat_load_ushort v66, v[14:15]
	flat_load_ushort v67, v[12:13]
	s_mov_b64 s[34:35], -1
	s_mov_b64 s[38:39], 0
	s_mov_b64 s[36:37], -1
	s_waitcnt vmcnt(0) lgkmcnt(0)
	v_lshlrev_b32_e32 v66, 16, v66
	v_lshlrev_b32_e32 v67, 16, v67
	v_cmp_nlt_f32_e64 s[4:5], v66, v67
	s_and_saveexec_b64 s[40:41], s[4:5]
; %bb.525:                              ;   in Loop: Header=BB1124_524 Depth=1
	v_cmp_ngt_f32_e64 s[4:5], v66, v67
	s_and_b64 s[30:31], s[4:5], s[30:31]
	s_orn2_b64 s[36:37], s[30:31], exec
	s_and_b64 s[38:39], s[4:5], exec
; %bb.526:                              ;   in Loop: Header=BB1124_524 Depth=1
	s_or_b64 exec, exec, s[40:41]
	s_andn2_b64 s[4:5], s[28:29], exec
	s_and_b64 s[28:29], s[36:37], exec
	s_or_b64 s[28:29], s[4:5], s[28:29]
                                        ; implicit-def: $sgpr30_sgpr31
	s_and_saveexec_b64 s[40:41], s[38:39]
	s_cbranch_execz .LBB1124_523
; %bb.527:                              ;   in Loop: Header=BB1124_524 Depth=1
	v_lshl_add_u64 v[16:17], v[16:17], 0, -1
	v_cmp_eq_u64_e64 s[4:5], 0, v[16:17]
	v_lshl_add_u64 v[12:13], v[12:13], 0, 2
	v_lshl_add_u64 v[14:15], v[14:15], 0, 2
	s_and_b64 s[30:31], s[36:37], exec
	s_andn2_b64 s[28:29], s[28:29], exec
	s_orn2_b64 s[34:35], s[4:5], exec
	s_branch .LBB1124_523
.LBB1124_528:
	s_or_b64 exec, exec, s[24:25]
	s_xor_b64 s[4:5], s[26:27], -1
	s_andn2_b64 s[6:7], s[6:7], exec
	s_and_b64 s[4:5], s[4:5], exec
	s_or_b64 s[6:7], s[6:7], s[4:5]
.LBB1124_529:
	s_or_b64 exec, exec, s[22:23]
	s_orn2_b64 s[6:7], s[6:7], exec
.LBB1124_530:
	s_or_b64 exec, exec, s[20:21]
	v_cndmask_b32_e64 v12, v18, v19, s[6:7]
	v_cndmask_b32_e64 v13, v100, v99, s[6:7]
	v_add_u32_e32 v16, 1, v12
	v_add_u32_e32 v12, -1, v13
	v_min_u32_e32 v12, v16, v12
	v_mov_b32_e32 v13, 0
	v_lshl_add_u64 v[14:15], v[12:13], 3, v[54:55]
	flat_load_dwordx2 v[14:15], v[14:15]
	v_cndmask_b32_e64 v66, v16, v18, s[6:7]
	s_mov_b64 s[20:21], -1
	v_cndmask_b32_e64 v67, v19, v16, s[6:7]
	v_cmp_lt_u32_e64 s[4:5], v66, v100
	s_mov_b64 s[22:23], -1
	s_waitcnt vmcnt(0) lgkmcnt(0)
	v_cndmask_b32_e64 v80, v15, v23, s[6:7]
	v_cndmask_b32_e64 v81, v14, v69, s[6:7]
	;; [unrolled: 1-line block ×4, first 2 shown]
	s_and_saveexec_b64 s[24:25], s[4:5]
	s_cbranch_execz .LBB1124_540
; %bb.531:
	v_cmp_lt_u32_e64 s[22:23], v67, v99
	s_xor_b64 s[4:5], s[0:1], -1
	s_and_b64 s[4:5], s[22:23], s[4:5]
	s_and_saveexec_b64 s[26:27], s[4:5]
	s_cbranch_execz .LBB1124_539
; %bb.532:
	v_mul_lo_u32 v12, v82, v6
	v_mul_lo_u32 v16, v83, v7
	v_mad_u64_u32 v[14:15], s[4:5], v83, v6, 0
	v_add3_u32 v15, v15, v16, v12
	v_mul_lo_u32 v12, v80, v6
	v_mul_lo_u32 v18, v81, v7
	v_mad_u64_u32 v[16:17], s[4:5], v81, v6, 0
	v_add3_u32 v17, v17, v18, v12
	v_lshl_add_u64 v[14:15], v[14:15], 1, v[8:9]
	v_lshl_add_u64 v[16:17], v[16:17], 1, v[8:9]
	s_mov_b64 s[28:29], 0
	v_mov_b64_e32 v[18:19], v[6:7]
                                        ; implicit-def: $sgpr30_sgpr31
                                        ; implicit-def: $sgpr34_sgpr35
                                        ; implicit-def: $sgpr36_sgpr37
	s_branch .LBB1124_534
.LBB1124_533:                           ;   in Loop: Header=BB1124_534 Depth=1
	s_or_b64 exec, exec, s[44:45]
	s_and_b64 s[4:5], exec, s[38:39]
	s_or_b64 s[28:29], s[4:5], s[28:29]
	s_andn2_b64 s[4:5], s[30:31], exec
	s_and_b64 s[30:31], s[34:35], exec
	s_or_b64 s[30:31], s[4:5], s[30:31]
	s_andn2_b64 exec, exec, s[28:29]
	s_cbranch_execz .LBB1124_538
.LBB1124_534:                           ; =>This Inner Loop Header: Depth=1
	flat_load_ushort v12, v[16:17]
	flat_load_ushort v84, v[14:15]
	s_mov_b64 s[38:39], -1
	s_mov_b64 s[42:43], 0
	s_mov_b64 s[40:41], -1
	s_waitcnt vmcnt(0) lgkmcnt(0)
	v_lshlrev_b32_e32 v12, 16, v12
	v_lshlrev_b32_e32 v84, 16, v84
	v_cmp_nlt_f32_e64 s[4:5], v12, v84
	s_and_saveexec_b64 s[44:45], s[4:5]
; %bb.535:                              ;   in Loop: Header=BB1124_534 Depth=1
	v_cmp_ngt_f32_e64 s[4:5], v12, v84
	s_and_b64 s[36:37], s[4:5], s[36:37]
	s_orn2_b64 s[40:41], s[36:37], exec
	s_and_b64 s[42:43], s[4:5], exec
; %bb.536:                              ;   in Loop: Header=BB1124_534 Depth=1
	s_or_b64 exec, exec, s[44:45]
	s_andn2_b64 s[4:5], s[34:35], exec
	s_and_b64 s[34:35], s[40:41], exec
	s_or_b64 s[34:35], s[4:5], s[34:35]
                                        ; implicit-def: $sgpr36_sgpr37
	s_and_saveexec_b64 s[44:45], s[42:43]
	s_cbranch_execz .LBB1124_533
; %bb.537:                              ;   in Loop: Header=BB1124_534 Depth=1
	v_lshl_add_u64 v[18:19], v[18:19], 0, -1
	v_cmp_eq_u64_e64 s[4:5], 0, v[18:19]
	v_lshl_add_u64 v[14:15], v[14:15], 0, 2
	v_lshl_add_u64 v[16:17], v[16:17], 0, 2
	s_and_b64 s[36:37], s[40:41], exec
	s_andn2_b64 s[34:35], s[34:35], exec
	s_orn2_b64 s[38:39], s[4:5], exec
	s_branch .LBB1124_533
.LBB1124_538:
	s_or_b64 exec, exec, s[28:29]
	s_xor_b64 s[4:5], s[30:31], -1
	s_andn2_b64 s[22:23], s[22:23], exec
	s_and_b64 s[4:5], s[4:5], exec
	s_or_b64 s[22:23], s[22:23], s[4:5]
.LBB1124_539:
	s_or_b64 exec, exec, s[26:27]
	s_orn2_b64 s[22:23], s[22:23], exec
.LBB1124_540:
	s_or_b64 exec, exec, s[24:25]
	v_cndmask_b32_e64 v12, v66, v67, s[22:23]
	v_cndmask_b32_e64 v14, v100, v99, s[22:23]
	v_add_u32_e32 v15, 1, v12
	v_add_u32_e32 v12, -1, v14
	v_min_u32_e32 v12, v15, v12
	v_lshl_add_u64 v[12:13], v[12:13], 3, v[54:55]
	flat_load_dwordx2 v[12:13], v[12:13]
	v_cndmask_b32_e64 v18, v15, v66, s[22:23]
	v_cndmask_b32_e64 v19, v67, v15, s[22:23]
	v_cmp_lt_u32_e64 s[4:5], v18, v100
	s_waitcnt vmcnt(0) lgkmcnt(0)
	v_cndmask_b32_e64 v84, v13, v80, s[22:23]
	v_cndmask_b32_e64 v85, v12, v81, s[22:23]
	;; [unrolled: 1-line block ×4, first 2 shown]
	s_and_saveexec_b64 s[24:25], s[4:5]
	s_cbranch_execz .LBB1124_550
; %bb.541:
	v_cmp_lt_u32_e64 s[20:21], v19, v99
	s_xor_b64 s[4:5], s[0:1], -1
	s_and_b64 s[4:5], s[20:21], s[4:5]
	s_and_saveexec_b64 s[26:27], s[4:5]
	s_cbranch_execz .LBB1124_549
; %bb.542:
	v_mul_lo_u32 v14, v86, v6
	v_mul_lo_u32 v15, v87, v7
	v_mad_u64_u32 v[12:13], s[4:5], v87, v6, 0
	v_add3_u32 v13, v13, v15, v14
	v_mul_lo_u32 v16, v84, v6
	v_mul_lo_u32 v17, v85, v7
	v_mad_u64_u32 v[14:15], s[4:5], v85, v6, 0
	v_add3_u32 v15, v15, v17, v16
	v_lshl_add_u64 v[12:13], v[12:13], 1, v[8:9]
	v_lshl_add_u64 v[14:15], v[14:15], 1, v[8:9]
	s_mov_b64 s[28:29], 0
	v_mov_b64_e32 v[16:17], v[6:7]
                                        ; implicit-def: $sgpr30_sgpr31
                                        ; implicit-def: $sgpr34_sgpr35
                                        ; implicit-def: $sgpr36_sgpr37
	s_branch .LBB1124_544
.LBB1124_543:                           ;   in Loop: Header=BB1124_544 Depth=1
	s_or_b64 exec, exec, s[44:45]
	s_and_b64 s[4:5], exec, s[38:39]
	s_or_b64 s[28:29], s[4:5], s[28:29]
	s_andn2_b64 s[4:5], s[30:31], exec
	s_and_b64 s[30:31], s[34:35], exec
	s_or_b64 s[30:31], s[4:5], s[30:31]
	s_andn2_b64 exec, exec, s[28:29]
	s_cbranch_execz .LBB1124_548
.LBB1124_544:                           ; =>This Inner Loop Header: Depth=1
	flat_load_ushort v66, v[14:15]
	flat_load_ushort v67, v[12:13]
	s_mov_b64 s[38:39], -1
	s_mov_b64 s[42:43], 0
	s_mov_b64 s[40:41], -1
	s_waitcnt vmcnt(0) lgkmcnt(0)
	v_lshlrev_b32_e32 v66, 16, v66
	v_lshlrev_b32_e32 v67, 16, v67
	v_cmp_nlt_f32_e64 s[4:5], v66, v67
	s_and_saveexec_b64 s[44:45], s[4:5]
; %bb.545:                              ;   in Loop: Header=BB1124_544 Depth=1
	v_cmp_ngt_f32_e64 s[4:5], v66, v67
	s_and_b64 s[36:37], s[4:5], s[36:37]
	s_orn2_b64 s[40:41], s[36:37], exec
	s_and_b64 s[42:43], s[4:5], exec
; %bb.546:                              ;   in Loop: Header=BB1124_544 Depth=1
	s_or_b64 exec, exec, s[44:45]
	s_andn2_b64 s[4:5], s[34:35], exec
	s_and_b64 s[34:35], s[40:41], exec
	s_or_b64 s[34:35], s[4:5], s[34:35]
                                        ; implicit-def: $sgpr36_sgpr37
	s_and_saveexec_b64 s[44:45], s[42:43]
	s_cbranch_execz .LBB1124_543
; %bb.547:                              ;   in Loop: Header=BB1124_544 Depth=1
	v_lshl_add_u64 v[16:17], v[16:17], 0, -1
	v_cmp_eq_u64_e64 s[4:5], 0, v[16:17]
	v_lshl_add_u64 v[12:13], v[12:13], 0, 2
	v_lshl_add_u64 v[14:15], v[14:15], 0, 2
	s_and_b64 s[36:37], s[40:41], exec
	s_andn2_b64 s[34:35], s[34:35], exec
	s_orn2_b64 s[38:39], s[4:5], exec
	s_branch .LBB1124_543
.LBB1124_548:
	s_or_b64 exec, exec, s[28:29]
	s_xor_b64 s[4:5], s[30:31], -1
	s_andn2_b64 s[20:21], s[20:21], exec
	s_and_b64 s[4:5], s[4:5], exec
	s_or_b64 s[20:21], s[20:21], s[4:5]
.LBB1124_549:
	s_or_b64 exec, exec, s[26:27]
	s_orn2_b64 s[20:21], s[20:21], exec
.LBB1124_550:
	s_or_b64 exec, exec, s[24:25]
	v_cndmask_b32_e64 v12, v18, v19, s[20:21]
	v_cndmask_b32_e64 v13, v100, v99, s[20:21]
	v_add_u32_e32 v16, 1, v12
	v_add_u32_e32 v12, -1, v13
	v_min_u32_e32 v12, v16, v12
	v_mov_b32_e32 v13, 0
	v_lshl_add_u64 v[14:15], v[12:13], 3, v[54:55]
	flat_load_dwordx2 v[14:15], v[14:15]
	v_cndmask_b32_e64 v66, v16, v18, s[20:21]
	s_mov_b64 s[24:25], -1
	v_cndmask_b32_e64 v67, v19, v16, s[20:21]
	v_cmp_lt_u32_e64 s[4:5], v66, v100
	s_mov_b64 s[26:27], -1
	s_waitcnt vmcnt(0) lgkmcnt(0)
	v_cndmask_b32_e64 v96, v15, v84, s[20:21]
	v_cndmask_b32_e64 v97, v14, v85, s[20:21]
	;; [unrolled: 1-line block ×4, first 2 shown]
	s_and_saveexec_b64 s[28:29], s[4:5]
	s_cbranch_execz .LBB1124_560
; %bb.551:
	v_cmp_lt_u32_e64 s[26:27], v67, v99
	s_xor_b64 s[4:5], s[0:1], -1
	s_and_b64 s[4:5], s[26:27], s[4:5]
	s_and_saveexec_b64 s[30:31], s[4:5]
	s_cbranch_execz .LBB1124_559
; %bb.552:
	v_mul_lo_u32 v12, v101, v6
	v_mul_lo_u32 v16, v102, v7
	v_mad_u64_u32 v[14:15], s[4:5], v102, v6, 0
	v_add3_u32 v15, v15, v16, v12
	v_mul_lo_u32 v12, v96, v6
	v_mul_lo_u32 v18, v97, v7
	v_mad_u64_u32 v[16:17], s[4:5], v97, v6, 0
	v_add3_u32 v17, v17, v18, v12
	v_lshl_add_u64 v[14:15], v[14:15], 1, v[8:9]
	v_lshl_add_u64 v[16:17], v[16:17], 1, v[8:9]
	s_mov_b64 s[34:35], 0
	v_mov_b64_e32 v[18:19], v[6:7]
                                        ; implicit-def: $sgpr36_sgpr37
                                        ; implicit-def: $sgpr38_sgpr39
                                        ; implicit-def: $sgpr40_sgpr41
	s_branch .LBB1124_554
.LBB1124_553:                           ;   in Loop: Header=BB1124_554 Depth=1
	s_or_b64 exec, exec, s[48:49]
	s_and_b64 s[4:5], exec, s[42:43]
	s_or_b64 s[34:35], s[4:5], s[34:35]
	s_andn2_b64 s[4:5], s[36:37], exec
	s_and_b64 s[36:37], s[38:39], exec
	s_or_b64 s[36:37], s[4:5], s[36:37]
	s_andn2_b64 exec, exec, s[34:35]
	s_cbranch_execz .LBB1124_558
.LBB1124_554:                           ; =>This Inner Loop Header: Depth=1
	flat_load_ushort v12, v[16:17]
	flat_load_ushort v103, v[14:15]
	s_mov_b64 s[42:43], -1
	s_mov_b64 s[46:47], 0
	s_mov_b64 s[44:45], -1
	s_waitcnt vmcnt(0) lgkmcnt(0)
	v_lshlrev_b32_e32 v12, 16, v12
	v_lshlrev_b32_e32 v103, 16, v103
	v_cmp_nlt_f32_e64 s[4:5], v12, v103
	s_and_saveexec_b64 s[48:49], s[4:5]
; %bb.555:                              ;   in Loop: Header=BB1124_554 Depth=1
	v_cmp_ngt_f32_e64 s[4:5], v12, v103
	s_and_b64 s[40:41], s[4:5], s[40:41]
	s_orn2_b64 s[44:45], s[40:41], exec
	s_and_b64 s[46:47], s[4:5], exec
; %bb.556:                              ;   in Loop: Header=BB1124_554 Depth=1
	s_or_b64 exec, exec, s[48:49]
	s_andn2_b64 s[4:5], s[38:39], exec
	s_and_b64 s[38:39], s[44:45], exec
	s_or_b64 s[38:39], s[4:5], s[38:39]
                                        ; implicit-def: $sgpr40_sgpr41
	s_and_saveexec_b64 s[48:49], s[46:47]
	s_cbranch_execz .LBB1124_553
; %bb.557:                              ;   in Loop: Header=BB1124_554 Depth=1
	v_lshl_add_u64 v[18:19], v[18:19], 0, -1
	v_cmp_eq_u64_e64 s[4:5], 0, v[18:19]
	v_lshl_add_u64 v[14:15], v[14:15], 0, 2
	v_lshl_add_u64 v[16:17], v[16:17], 0, 2
	s_and_b64 s[40:41], s[44:45], exec
	s_andn2_b64 s[38:39], s[38:39], exec
	s_orn2_b64 s[42:43], s[4:5], exec
	s_branch .LBB1124_553
.LBB1124_558:
	s_or_b64 exec, exec, s[34:35]
	s_xor_b64 s[4:5], s[36:37], -1
	s_andn2_b64 s[26:27], s[26:27], exec
	s_and_b64 s[4:5], s[4:5], exec
	s_or_b64 s[26:27], s[26:27], s[4:5]
.LBB1124_559:
	s_or_b64 exec, exec, s[30:31]
	s_orn2_b64 s[26:27], s[26:27], exec
.LBB1124_560:
	s_or_b64 exec, exec, s[28:29]
	v_cndmask_b32_e64 v12, v66, v67, s[26:27]
	v_cndmask_b32_e64 v14, v100, v99, s[26:27]
	v_add_u32_e32 v15, 1, v12
	v_add_u32_e32 v12, -1, v14
	v_min_u32_e32 v12, v15, v12
	v_lshl_add_u64 v[12:13], v[12:13], 3, v[54:55]
	flat_load_dwordx2 v[12:13], v[12:13]
	v_cndmask_b32_e64 v114, v15, v66, s[26:27]
	v_cndmask_b32_e64 v103, v67, v15, s[26:27]
	v_cmp_lt_u32_e64 s[4:5], v114, v100
	s_waitcnt vmcnt(0) lgkmcnt(0)
	v_cndmask_b32_e64 v112, v13, v96, s[26:27]
	v_cndmask_b32_e64 v113, v12, v97, s[26:27]
	;; [unrolled: 1-line block ×4, first 2 shown]
	s_and_saveexec_b64 s[28:29], s[4:5]
	s_cbranch_execz .LBB1124_570
; %bb.561:
	v_cmp_lt_u32_e64 s[24:25], v103, v99
	s_xor_b64 s[4:5], s[0:1], -1
	s_and_b64 s[4:5], s[24:25], s[4:5]
	s_and_saveexec_b64 s[30:31], s[4:5]
	s_cbranch_execz .LBB1124_569
; %bb.562:
	v_mul_lo_u32 v14, v115, v6
	v_mul_lo_u32 v15, v116, v7
	v_mad_u64_u32 v[12:13], s[4:5], v116, v6, 0
	v_add3_u32 v13, v13, v15, v14
	v_mul_lo_u32 v16, v112, v6
	v_mul_lo_u32 v17, v113, v7
	v_mad_u64_u32 v[14:15], s[4:5], v113, v6, 0
	v_add3_u32 v15, v15, v17, v16
	v_lshl_add_u64 v[12:13], v[12:13], 1, v[8:9]
	v_lshl_add_u64 v[14:15], v[14:15], 1, v[8:9]
	s_mov_b64 s[34:35], 0
	v_mov_b64_e32 v[16:17], v[6:7]
                                        ; implicit-def: $sgpr36_sgpr37
                                        ; implicit-def: $sgpr38_sgpr39
                                        ; implicit-def: $sgpr40_sgpr41
	s_branch .LBB1124_564
.LBB1124_563:                           ;   in Loop: Header=BB1124_564 Depth=1
	s_or_b64 exec, exec, s[48:49]
	s_and_b64 s[4:5], exec, s[42:43]
	s_or_b64 s[34:35], s[4:5], s[34:35]
	s_andn2_b64 s[4:5], s[36:37], exec
	s_and_b64 s[36:37], s[38:39], exec
	s_or_b64 s[36:37], s[4:5], s[36:37]
	s_andn2_b64 exec, exec, s[34:35]
	s_cbranch_execz .LBB1124_568
.LBB1124_564:                           ; =>This Inner Loop Header: Depth=1
	flat_load_ushort v18, v[14:15]
	flat_load_ushort v19, v[12:13]
	s_mov_b64 s[42:43], -1
	s_mov_b64 s[46:47], 0
	s_mov_b64 s[44:45], -1
	s_waitcnt vmcnt(0) lgkmcnt(0)
	v_lshlrev_b32_e32 v18, 16, v18
	v_lshlrev_b32_e32 v19, 16, v19
	v_cmp_nlt_f32_e64 s[4:5], v18, v19
	s_and_saveexec_b64 s[48:49], s[4:5]
; %bb.565:                              ;   in Loop: Header=BB1124_564 Depth=1
	v_cmp_ngt_f32_e64 s[4:5], v18, v19
	s_and_b64 s[40:41], s[4:5], s[40:41]
	s_orn2_b64 s[44:45], s[40:41], exec
	s_and_b64 s[46:47], s[4:5], exec
; %bb.566:                              ;   in Loop: Header=BB1124_564 Depth=1
	s_or_b64 exec, exec, s[48:49]
	s_andn2_b64 s[4:5], s[38:39], exec
	s_and_b64 s[38:39], s[44:45], exec
	s_or_b64 s[38:39], s[4:5], s[38:39]
                                        ; implicit-def: $sgpr40_sgpr41
	s_and_saveexec_b64 s[48:49], s[46:47]
	s_cbranch_execz .LBB1124_563
; %bb.567:                              ;   in Loop: Header=BB1124_564 Depth=1
	v_lshl_add_u64 v[16:17], v[16:17], 0, -1
	v_cmp_eq_u64_e64 s[4:5], 0, v[16:17]
	v_lshl_add_u64 v[12:13], v[12:13], 0, 2
	v_lshl_add_u64 v[14:15], v[14:15], 0, 2
	s_and_b64 s[40:41], s[44:45], exec
	s_andn2_b64 s[38:39], s[38:39], exec
	s_orn2_b64 s[42:43], s[4:5], exec
	s_branch .LBB1124_563
.LBB1124_568:
	s_or_b64 exec, exec, s[34:35]
	s_xor_b64 s[4:5], s[36:37], -1
	s_andn2_b64 s[24:25], s[24:25], exec
	s_and_b64 s[4:5], s[4:5], exec
	s_or_b64 s[24:25], s[24:25], s[4:5]
.LBB1124_569:
	s_or_b64 exec, exec, s[30:31]
	s_orn2_b64 s[24:25], s[24:25], exec
.LBB1124_570:
	s_or_b64 exec, exec, s[28:29]
	v_cndmask_b32_e64 v12, v114, v103, s[24:25]
	v_cndmask_b32_e64 v13, v100, v99, s[24:25]
	v_add_u32_e32 v117, 1, v12
	v_add_u32_e32 v12, -1, v13
	v_min_u32_e32 v12, v117, v12
	v_mov_b32_e32 v13, 0
	v_lshl_add_u64 v[12:13], v[12:13], 3, v[54:55]
	flat_load_dwordx2 v[66:67], v[12:13]
	v_cndmask_b32_e64 v17, v23, v70, s[6:7]
	v_cndmask_b32_e64 v23, v20, v22, s[18:19]
	v_cndmask_b32_e64 v22, v21, v68, s[18:19]
	v_cndmask_b32_e64 v68, v117, v114, s[24:25]
	v_cndmask_b32_e64 v15, v96, v101, s[26:27]
	v_cndmask_b32_e64 v14, v97, v102, s[26:27]
	v_cndmask_b32_e64 v13, v84, v86, s[20:21]
	v_cndmask_b32_e64 v12, v85, v87, s[20:21]
	v_cndmask_b32_e64 v19, v80, v82, s[22:23]
	v_cndmask_b32_e64 v18, v81, v83, s[22:23]
	v_cndmask_b32_e64 v16, v69, v71, s[6:7]
	v_cndmask_b32_e64 v21, v3, v1, s[16:17]
	v_cndmask_b32_e64 v20, v2, v0, s[16:17]
	v_cndmask_b32_e64 v1, v112, v115, s[24:25]
	v_cndmask_b32_e64 v0, v113, v116, s[24:25]
	v_cmp_lt_u32_e64 s[4:5], v68, v100
	s_waitcnt vmcnt(0) lgkmcnt(0)
	v_cndmask_b32_e64 v3, v115, v67, s[24:25]
	v_cndmask_b32_e64 v2, v116, v66, s[24:25]
	s_and_saveexec_b64 s[6:7], s[4:5]
	s_cbranch_execz .LBB1124_580
; %bb.571:
	v_cndmask_b32_e64 v81, v66, v113, s[24:25]
	v_cndmask_b32_e64 v66, v103, v117, s[24:25]
	v_cmp_ge_u32_e64 s[4:5], v66, v99
	v_cndmask_b32_e64 v80, v67, v112, s[24:25]
	s_or_b64 s[16:17], s[4:5], s[0:1]
	v_cndmask_b32_e64 v67, v3, v80, s[4:5]
	s_xor_b64 s[18:19], s[16:17], -1
	v_cndmask_b32_e64 v66, v2, v81, s[4:5]
	s_and_saveexec_b64 s[16:17], s[18:19]
	s_cbranch_execz .LBB1124_579
; %bb.572:
	v_mul_lo_u32 v68, v3, v6
	v_mul_lo_u32 v69, v2, v7
	v_mad_u64_u32 v[66:67], s[4:5], v2, v6, 0
	v_add3_u32 v67, v67, v69, v68
	v_mul_lo_u32 v70, v80, v6
	v_mul_lo_u32 v71, v81, v7
	v_mad_u64_u32 v[68:69], s[4:5], v81, v6, 0
	v_add3_u32 v69, v69, v71, v70
	v_lshl_add_u64 v[66:67], v[66:67], 1, v[8:9]
	v_lshl_add_u64 v[68:69], v[68:69], 1, v[8:9]
	s_mov_b64 s[18:19], 0
	v_mov_b64_e32 v[70:71], v[6:7]
                                        ; implicit-def: $sgpr20_sgpr21
                                        ; implicit-def: $sgpr22_sgpr23
                                        ; implicit-def: $sgpr24_sgpr25
	s_branch .LBB1124_574
.LBB1124_573:                           ;   in Loop: Header=BB1124_574 Depth=1
	s_or_b64 exec, exec, s[34:35]
	s_and_b64 s[4:5], exec, s[26:27]
	s_or_b64 s[18:19], s[4:5], s[18:19]
	s_andn2_b64 s[4:5], s[20:21], exec
	s_and_b64 s[20:21], s[22:23], exec
	s_or_b64 s[20:21], s[4:5], s[20:21]
	s_andn2_b64 exec, exec, s[18:19]
	s_cbranch_execz .LBB1124_578
.LBB1124_574:                           ; =>This Inner Loop Header: Depth=1
	flat_load_ushort v82, v[68:69]
	flat_load_ushort v83, v[66:67]
	s_mov_b64 s[26:27], -1
	s_mov_b64 s[30:31], 0
	s_mov_b64 s[28:29], -1
	s_waitcnt vmcnt(0) lgkmcnt(0)
	v_lshlrev_b32_e32 v82, 16, v82
	v_lshlrev_b32_e32 v83, 16, v83
	v_cmp_nlt_f32_e64 s[4:5], v82, v83
	s_and_saveexec_b64 s[34:35], s[4:5]
; %bb.575:                              ;   in Loop: Header=BB1124_574 Depth=1
	v_cmp_ngt_f32_e64 s[4:5], v82, v83
	s_and_b64 s[24:25], s[4:5], s[24:25]
	s_orn2_b64 s[28:29], s[24:25], exec
	s_and_b64 s[30:31], s[4:5], exec
; %bb.576:                              ;   in Loop: Header=BB1124_574 Depth=1
	s_or_b64 exec, exec, s[34:35]
	s_andn2_b64 s[4:5], s[22:23], exec
	s_and_b64 s[22:23], s[28:29], exec
	s_or_b64 s[22:23], s[4:5], s[22:23]
                                        ; implicit-def: $sgpr24_sgpr25
	s_and_saveexec_b64 s[34:35], s[30:31]
	s_cbranch_execz .LBB1124_573
; %bb.577:                              ;   in Loop: Header=BB1124_574 Depth=1
	v_lshl_add_u64 v[70:71], v[70:71], 0, -1
	v_cmp_eq_u64_e64 s[4:5], 0, v[70:71]
	v_lshl_add_u64 v[66:67], v[66:67], 0, 2
	v_lshl_add_u64 v[68:69], v[68:69], 0, 2
	s_and_b64 s[24:25], s[28:29], exec
	s_andn2_b64 s[22:23], s[22:23], exec
	s_orn2_b64 s[26:27], s[4:5], exec
	s_branch .LBB1124_573
.LBB1124_578:
	s_or_b64 exec, exec, s[18:19]
	v_cndmask_b32_e64 v67, v3, v80, s[20:21]
	v_cndmask_b32_e64 v66, v2, v81, s[20:21]
.LBB1124_579:
	s_or_b64 exec, exec, s[16:17]
	v_mov_b64_e32 v[2:3], v[66:67]
.LBB1124_580:
	s_or_b64 exec, exec, s[6:7]
.LBB1124_581:
	s_or_b64 exec, exec, s[14:15]
	v_and_b32_e32 v99, 0x380, v98
	; wave barrier
	flat_store_dwordx4 v[64:65], v[20:23]
	flat_store_dwordx4 v[64:65], v[16:19] offset:16
	flat_store_dwordx4 v[64:65], v[12:15] offset:32
	;; [unrolled: 1-line block ×3, first 2 shown]
	v_or_b32_e32 v64, 64, v99
	v_min_u32_e32 v96, v31, v64
	v_add_u32_e32 v64, 64, v96
	v_min_u32_e32 v97, v31, v64
	v_and_b32_e32 v64, 0x78, v98
	v_min_u32_e32 v31, v31, v64
	v_sub_u32_e32 v64, v96, v99
	v_sub_u32_e32 v65, v97, v96
	v_sub_u32_e64 v98, v31, v65 clamp
	v_min_u32_e32 v100, v31, v64
	v_cmp_lt_u32_e64 s[4:5], v98, v100
	; wave barrier
	s_and_saveexec_b64 s[6:7], s[4:5]
	s_cbranch_execz .LBB1124_593
; %bb.582:
	v_lshlrev_b32_e32 v64, 3, v99
	v_mov_b32_e32 v65, 0
	v_lshl_add_u64 v[66:67], v[54:55], 0, v[64:65]
	v_lshlrev_b32_e32 v64, 3, v96
	v_lshl_add_u64 v[68:69], v[54:55], 0, v[64:65]
	v_lshlrev_b64 v[70:71], 1, v[6:7]
	s_mov_b64 s[14:15], 0
	s_branch .LBB1124_585
.LBB1124_583:                           ;   in Loop: Header=BB1124_585 Depth=1
	s_or_b64 exec, exec, s[18:19]
	s_and_b64 s[4:5], s[20:21], exec
.LBB1124_584:                           ;   in Loop: Header=BB1124_585 Depth=1
	s_or_b64 exec, exec, s[16:17]
	v_add_u32_e32 v64, 1, v80
	v_cndmask_b32_e64 v100, v100, v80, s[4:5]
	v_cndmask_b32_e64 v98, v64, v98, s[4:5]
	v_cmp_ge_u32_e64 s[4:5], v98, v100
	s_or_b64 s[14:15], s[4:5], s[14:15]
	s_andn2_b64 exec, exec, s[14:15]
	s_cbranch_execz .LBB1124_592
.LBB1124_585:                           ; =>This Loop Header: Depth=1
                                        ;     Child Loop BB1124_588 Depth 2
	v_add_u32_e32 v64, v100, v98
	v_lshrrev_b32_e32 v80, 1, v64
	s_mov_b64 s[4:5], 0
	s_and_saveexec_b64 s[16:17], vcc
	s_cbranch_execz .LBB1124_584
; %bb.586:                              ;   in Loop: Header=BB1124_585 Depth=1
	v_mov_b32_e32 v81, v65
	v_xad_u32 v64, v80, -1, v31
	v_lshl_add_u64 v[82:83], v[80:81], 3, v[66:67]
	v_lshl_add_u64 v[84:85], v[64:65], 3, v[68:69]
	flat_load_dwordx2 v[82:83], v[82:83]
	s_mov_b64 s[18:19], 0
	flat_load_dwordx2 v[84:85], v[84:85]
                                        ; implicit-def: $sgpr20_sgpr21
                                        ; implicit-def: $sgpr22_sgpr23
                                        ; implicit-def: $sgpr24_sgpr25
	s_waitcnt vmcnt(0) lgkmcnt(0)
	v_mul_lo_u32 v64, v70, v83
	v_mul_lo_u32 v81, v71, v82
	v_mad_u64_u32 v[82:83], s[4:5], v70, v82, v[8:9]
	v_mul_lo_u32 v86, v70, v85
	v_mul_lo_u32 v87, v71, v84
	v_mad_u64_u32 v[84:85], s[4:5], v70, v84, v[8:9]
	v_add3_u32 v83, v81, v83, v64
	v_add3_u32 v85, v87, v85, v86
	v_mov_b64_e32 v[86:87], v[6:7]
	s_branch .LBB1124_588
.LBB1124_587:                           ;   in Loop: Header=BB1124_588 Depth=2
	s_or_b64 exec, exec, s[34:35]
	s_and_b64 s[4:5], exec, s[26:27]
	s_or_b64 s[18:19], s[4:5], s[18:19]
	s_andn2_b64 s[4:5], s[20:21], exec
	s_and_b64 s[20:21], s[22:23], exec
	s_or_b64 s[20:21], s[4:5], s[20:21]
	s_andn2_b64 exec, exec, s[18:19]
	s_cbranch_execz .LBB1124_583
.LBB1124_588:                           ;   Parent Loop BB1124_585 Depth=1
                                        ; =>  This Inner Loop Header: Depth=2
	flat_load_ushort v64, v[84:85]
	flat_load_ushort v81, v[82:83]
	s_mov_b64 s[26:27], -1
	s_mov_b64 s[30:31], 0
	s_mov_b64 s[28:29], -1
	s_waitcnt vmcnt(0) lgkmcnt(0)
	v_lshlrev_b32_e32 v64, 16, v64
	v_lshlrev_b32_e32 v81, 16, v81
	v_cmp_nlt_f32_e64 s[4:5], v64, v81
	s_and_saveexec_b64 s[34:35], s[4:5]
; %bb.589:                              ;   in Loop: Header=BB1124_588 Depth=2
	v_cmp_ngt_f32_e64 s[4:5], v64, v81
	s_and_b64 s[24:25], s[4:5], s[24:25]
	s_orn2_b64 s[28:29], s[24:25], exec
	s_and_b64 s[30:31], s[4:5], exec
; %bb.590:                              ;   in Loop: Header=BB1124_588 Depth=2
	s_or_b64 exec, exec, s[34:35]
	s_andn2_b64 s[4:5], s[22:23], exec
	s_and_b64 s[22:23], s[28:29], exec
	s_or_b64 s[22:23], s[4:5], s[22:23]
                                        ; implicit-def: $sgpr24_sgpr25
	s_and_saveexec_b64 s[34:35], s[30:31]
	s_cbranch_execz .LBB1124_587
; %bb.591:                              ;   in Loop: Header=BB1124_588 Depth=2
	v_lshl_add_u64 v[86:87], v[86:87], 0, -1
	v_cmp_eq_u64_e64 s[4:5], 0, v[86:87]
	v_lshl_add_u64 v[82:83], v[82:83], 0, 2
	v_lshl_add_u64 v[84:85], v[84:85], 0, 2
	s_andn2_b64 s[22:23], s[22:23], exec
	s_and_b64 s[24:25], s[28:29], exec
	s_orn2_b64 s[26:27], s[4:5], exec
	s_branch .LBB1124_587
.LBB1124_592:
	s_or_b64 exec, exec, s[14:15]
.LBB1124_593:
	s_or_b64 exec, exec, s[6:7]
	v_add_u32_e32 v31, v96, v31
	v_add_u32_e32 v64, v98, v99
	v_sub_u32_e32 v66, v31, v98
	v_cmp_le_u32_e64 s[4:5], v64, v96
	v_cmp_le_u32_e64 s[6:7], v66, v97
	s_or_b64 s[4:5], s[4:5], s[6:7]
	s_and_saveexec_b64 s[14:15], s[4:5]
	s_cbranch_execz .LBB1124_681
; %bb.594:
	v_cmp_ge_u32_e64 s[4:5], v64, v96
	v_cmp_lt_u32_e64 s[6:7], v64, v96
                                        ; implicit-def: $vgpr0_vgpr1
	s_and_saveexec_b64 s[16:17], s[6:7]
	s_cbranch_execz .LBB1124_596
; %bb.595:
	v_mov_b32_e32 v65, 0
	v_lshl_add_u64 v[0:1], v[64:65], 3, v[54:55]
	flat_load_dwordx2 v[0:1], v[0:1]
.LBB1124_596:
	s_or_b64 exec, exec, s[16:17]
	v_cmp_ge_u32_e64 s[16:17], v66, v97
	v_cmp_lt_u32_e64 s[6:7], v66, v97
                                        ; implicit-def: $vgpr2_vgpr3
	s_and_saveexec_b64 s[18:19], s[6:7]
	s_cbranch_execz .LBB1124_598
; %bb.597:
	v_mov_b32_e32 v67, 0
	v_lshl_add_u64 v[2:3], v[66:67], 3, v[54:55]
	flat_load_dwordx2 v[2:3], v[2:3]
.LBB1124_598:
	s_or_b64 exec, exec, s[18:19]
	s_or_b64 s[4:5], s[4:5], s[16:17]
	s_xor_b64 s[4:5], s[4:5], -1
	s_and_saveexec_b64 s[6:7], s[4:5]
	s_cbranch_execz .LBB1124_608
; %bb.599:
	s_mov_b64 s[4:5], 0
	s_and_saveexec_b64 s[18:19], s[2:3]
	s_cbranch_execz .LBB1124_607
; %bb.600:
	s_waitcnt vmcnt(0) lgkmcnt(0)
	v_mul_lo_u32 v14, v1, v6
	v_mul_lo_u32 v15, v0, v7
	v_mad_u64_u32 v[12:13], s[4:5], v0, v6, 0
	v_add3_u32 v13, v13, v15, v14
	v_mul_lo_u32 v16, v3, v6
	v_mul_lo_u32 v17, v2, v7
	v_mad_u64_u32 v[14:15], s[4:5], v2, v6, 0
	v_add3_u32 v15, v15, v17, v16
	v_lshl_add_u64 v[12:13], v[12:13], 1, v[8:9]
	v_lshl_add_u64 v[14:15], v[14:15], 1, v[8:9]
	s_mov_b64 s[20:21], 0
	v_mov_b64_e32 v[16:17], v[6:7]
                                        ; implicit-def: $sgpr22_sgpr23
                                        ; implicit-def: $sgpr24_sgpr25
                                        ; implicit-def: $sgpr26_sgpr27
	s_branch .LBB1124_602
.LBB1124_601:                           ;   in Loop: Header=BB1124_602 Depth=1
	s_or_b64 exec, exec, s[34:35]
	s_and_b64 s[4:5], exec, s[4:5]
	s_or_b64 s[20:21], s[4:5], s[20:21]
	s_andn2_b64 s[4:5], s[22:23], exec
	s_and_b64 s[22:23], s[24:25], exec
	s_or_b64 s[22:23], s[4:5], s[22:23]
	s_andn2_b64 exec, exec, s[20:21]
	s_cbranch_execz .LBB1124_606
.LBB1124_602:                           ; =>This Inner Loop Header: Depth=1
	flat_load_ushort v18, v[14:15]
	flat_load_ushort v19, v[12:13]
	s_mov_b64 s[30:31], 0
	s_mov_b64 s[28:29], -1
	s_waitcnt vmcnt(0) lgkmcnt(0)
	v_lshlrev_b32_e32 v18, 16, v18
	v_lshlrev_b32_e32 v19, 16, v19
	v_cmp_nlt_f32_e64 s[4:5], v18, v19
	s_and_saveexec_b64 s[34:35], s[4:5]
; %bb.603:                              ;   in Loop: Header=BB1124_602 Depth=1
	v_cmp_ngt_f32_e64 s[4:5], v18, v19
	s_and_b64 s[26:27], s[4:5], s[26:27]
	s_orn2_b64 s[28:29], s[26:27], exec
	s_and_b64 s[30:31], s[4:5], exec
; %bb.604:                              ;   in Loop: Header=BB1124_602 Depth=1
	s_or_b64 exec, exec, s[34:35]
	s_andn2_b64 s[24:25], s[24:25], exec
	s_and_b64 s[26:27], s[28:29], exec
	s_mov_b64 s[4:5], -1
	s_or_b64 s[24:25], s[24:25], s[26:27]
                                        ; implicit-def: $sgpr26_sgpr27
	s_and_saveexec_b64 s[34:35], s[30:31]
	s_cbranch_execz .LBB1124_601
; %bb.605:                              ;   in Loop: Header=BB1124_602 Depth=1
	v_lshl_add_u64 v[16:17], v[16:17], 0, -1
	v_cmp_eq_u64_e64 s[4:5], 0, v[16:17]
	v_lshl_add_u64 v[12:13], v[12:13], 0, 2
	v_lshl_add_u64 v[14:15], v[14:15], 0, 2
	s_andn2_b64 s[24:25], s[24:25], exec
	s_and_b64 s[26:27], s[28:29], exec
	s_orn2_b64 s[4:5], s[4:5], exec
	s_branch .LBB1124_601
.LBB1124_606:
	s_or_b64 exec, exec, s[20:21]
	s_and_b64 s[4:5], s[22:23], exec
.LBB1124_607:
	s_or_b64 exec, exec, s[18:19]
	s_xor_b64 s[4:5], s[4:5], -1
	s_andn2_b64 s[16:17], s[16:17], exec
	s_and_b64 s[4:5], s[4:5], exec
	s_or_b64 s[16:17], s[16:17], s[4:5]
.LBB1124_608:
	s_or_b64 exec, exec, s[6:7]
	v_cndmask_b32_e64 v12, v66, v64, s[16:17]
	v_cndmask_b32_e64 v13, v97, v96, s[16:17]
	v_add_u32_e32 v16, 1, v12
	v_add_u32_e32 v12, -1, v13
	v_min_u32_e32 v12, v16, v12
	v_mov_b32_e32 v13, 0
	v_lshl_add_u64 v[14:15], v[12:13], 3, v[54:55]
	flat_load_dwordx2 v[14:15], v[14:15]
	v_cndmask_b32_e64 v23, v16, v66, s[16:17]
	s_mov_b64 s[6:7], -1
	v_cndmask_b32_e64 v64, v64, v16, s[16:17]
	v_cmp_lt_u32_e64 s[4:5], v23, v97
	s_mov_b64 s[18:19], -1
	s_waitcnt vmcnt(0) lgkmcnt(0)
	v_cndmask_b32_e64 v20, v15, v3, s[16:17]
	v_cndmask_b32_e64 v21, v14, v2, s[16:17]
	;; [unrolled: 1-line block ×4, first 2 shown]
	s_and_saveexec_b64 s[20:21], s[4:5]
	s_cbranch_execz .LBB1124_620
; %bb.609:
	v_cmp_lt_u32_e64 s[4:5], v64, v96
	s_mov_b64 s[22:23], 0
	s_and_saveexec_b64 s[18:19], s[4:5]
	s_cbranch_execz .LBB1124_619
; %bb.610:
	s_mov_b64 s[4:5], 0
	s_and_saveexec_b64 s[22:23], s[2:3]
	s_cbranch_execz .LBB1124_618
; %bb.611:
	v_mul_lo_u32 v12, v22, v6
	v_mul_lo_u32 v16, v31, v7
	v_mad_u64_u32 v[14:15], s[4:5], v31, v6, 0
	v_add3_u32 v15, v15, v16, v12
	v_mul_lo_u32 v12, v20, v6
	v_mul_lo_u32 v18, v21, v7
	v_mad_u64_u32 v[16:17], s[4:5], v21, v6, 0
	v_add3_u32 v17, v17, v18, v12
	v_lshl_add_u64 v[14:15], v[14:15], 1, v[8:9]
	v_lshl_add_u64 v[16:17], v[16:17], 1, v[8:9]
	s_mov_b64 s[24:25], 0
	v_mov_b64_e32 v[18:19], v[6:7]
                                        ; implicit-def: $sgpr26_sgpr27
                                        ; implicit-def: $sgpr28_sgpr29
                                        ; implicit-def: $sgpr30_sgpr31
	s_branch .LBB1124_613
.LBB1124_612:                           ;   in Loop: Header=BB1124_613 Depth=1
	s_or_b64 exec, exec, s[38:39]
	s_and_b64 s[4:5], exec, s[4:5]
	s_or_b64 s[24:25], s[4:5], s[24:25]
	s_andn2_b64 s[4:5], s[26:27], exec
	s_and_b64 s[26:27], s[28:29], exec
	s_or_b64 s[26:27], s[4:5], s[26:27]
	s_andn2_b64 exec, exec, s[24:25]
	s_cbranch_execz .LBB1124_617
.LBB1124_613:                           ; =>This Inner Loop Header: Depth=1
	flat_load_ushort v12, v[16:17]
	flat_load_ushort v65, v[14:15]
	s_mov_b64 s[36:37], 0
	s_mov_b64 s[34:35], -1
	s_waitcnt vmcnt(0) lgkmcnt(0)
	v_lshlrev_b32_e32 v12, 16, v12
	v_lshlrev_b32_e32 v65, 16, v65
	v_cmp_nlt_f32_e64 s[4:5], v12, v65
	s_and_saveexec_b64 s[38:39], s[4:5]
; %bb.614:                              ;   in Loop: Header=BB1124_613 Depth=1
	v_cmp_ngt_f32_e64 s[4:5], v12, v65
	s_and_b64 s[30:31], s[4:5], s[30:31]
	s_orn2_b64 s[34:35], s[30:31], exec
	s_and_b64 s[36:37], s[4:5], exec
; %bb.615:                              ;   in Loop: Header=BB1124_613 Depth=1
	s_or_b64 exec, exec, s[38:39]
	s_andn2_b64 s[28:29], s[28:29], exec
	s_and_b64 s[30:31], s[34:35], exec
	s_mov_b64 s[4:5], -1
	s_or_b64 s[28:29], s[28:29], s[30:31]
                                        ; implicit-def: $sgpr30_sgpr31
	s_and_saveexec_b64 s[38:39], s[36:37]
	s_cbranch_execz .LBB1124_612
; %bb.616:                              ;   in Loop: Header=BB1124_613 Depth=1
	v_lshl_add_u64 v[18:19], v[18:19], 0, -1
	v_cmp_eq_u64_e64 s[4:5], 0, v[18:19]
	v_lshl_add_u64 v[14:15], v[14:15], 0, 2
	v_lshl_add_u64 v[16:17], v[16:17], 0, 2
	s_andn2_b64 s[28:29], s[28:29], exec
	s_and_b64 s[30:31], s[34:35], exec
	s_orn2_b64 s[4:5], s[4:5], exec
	s_branch .LBB1124_612
.LBB1124_617:
	s_or_b64 exec, exec, s[24:25]
	s_and_b64 s[4:5], s[26:27], exec
.LBB1124_618:
	s_or_b64 exec, exec, s[22:23]
	s_xor_b64 s[4:5], s[4:5], -1
	s_and_b64 s[22:23], s[4:5], exec
.LBB1124_619:
	s_or_b64 exec, exec, s[18:19]
	s_orn2_b64 s[18:19], s[22:23], exec
.LBB1124_620:
	s_or_b64 exec, exec, s[20:21]
	v_cndmask_b32_e64 v12, v23, v64, s[18:19]
	v_cndmask_b32_e64 v14, v97, v96, s[18:19]
	v_add_u32_e32 v15, 1, v12
	v_add_u32_e32 v12, -1, v14
	v_min_u32_e32 v12, v15, v12
	v_lshl_add_u64 v[12:13], v[12:13], 3, v[54:55]
	flat_load_dwordx2 v[12:13], v[12:13]
	v_cndmask_b32_e64 v18, v15, v23, s[18:19]
	v_cndmask_b32_e64 v19, v64, v15, s[18:19]
	v_cmp_lt_u32_e64 s[4:5], v18, v97
	s_waitcnt vmcnt(0) lgkmcnt(0)
	v_cndmask_b32_e64 v23, v13, v20, s[18:19]
	v_cndmask_b32_e64 v64, v12, v21, s[18:19]
	;; [unrolled: 1-line block ×4, first 2 shown]
	s_and_saveexec_b64 s[20:21], s[4:5]
	s_cbranch_execz .LBB1124_630
; %bb.621:
	v_cmp_lt_u32_e64 s[6:7], v19, v96
	s_xor_b64 s[4:5], s[0:1], -1
	s_and_b64 s[4:5], s[6:7], s[4:5]
	s_and_saveexec_b64 s[22:23], s[4:5]
	s_cbranch_execz .LBB1124_629
; %bb.622:
	v_mul_lo_u32 v14, v65, v6
	v_mul_lo_u32 v15, v66, v7
	v_mad_u64_u32 v[12:13], s[4:5], v66, v6, 0
	v_add3_u32 v13, v13, v15, v14
	v_mul_lo_u32 v16, v23, v6
	v_mul_lo_u32 v17, v64, v7
	v_mad_u64_u32 v[14:15], s[4:5], v64, v6, 0
	v_add3_u32 v15, v15, v17, v16
	v_lshl_add_u64 v[12:13], v[12:13], 1, v[8:9]
	v_lshl_add_u64 v[14:15], v[14:15], 1, v[8:9]
	s_mov_b64 s[24:25], 0
	v_mov_b64_e32 v[16:17], v[6:7]
                                        ; implicit-def: $sgpr26_sgpr27
                                        ; implicit-def: $sgpr28_sgpr29
                                        ; implicit-def: $sgpr30_sgpr31
	s_branch .LBB1124_624
.LBB1124_623:                           ;   in Loop: Header=BB1124_624 Depth=1
	s_or_b64 exec, exec, s[40:41]
	s_and_b64 s[4:5], exec, s[34:35]
	s_or_b64 s[24:25], s[4:5], s[24:25]
	s_andn2_b64 s[4:5], s[26:27], exec
	s_and_b64 s[26:27], s[28:29], exec
	s_or_b64 s[26:27], s[4:5], s[26:27]
	s_andn2_b64 exec, exec, s[24:25]
	s_cbranch_execz .LBB1124_628
.LBB1124_624:                           ; =>This Inner Loop Header: Depth=1
	flat_load_ushort v67, v[14:15]
	flat_load_ushort v68, v[12:13]
	s_mov_b64 s[34:35], -1
	s_mov_b64 s[38:39], 0
	s_mov_b64 s[36:37], -1
	s_waitcnt vmcnt(0) lgkmcnt(0)
	v_lshlrev_b32_e32 v67, 16, v67
	v_lshlrev_b32_e32 v68, 16, v68
	v_cmp_nlt_f32_e64 s[4:5], v67, v68
	s_and_saveexec_b64 s[40:41], s[4:5]
; %bb.625:                              ;   in Loop: Header=BB1124_624 Depth=1
	v_cmp_ngt_f32_e64 s[4:5], v67, v68
	s_and_b64 s[30:31], s[4:5], s[30:31]
	s_orn2_b64 s[36:37], s[30:31], exec
	s_and_b64 s[38:39], s[4:5], exec
; %bb.626:                              ;   in Loop: Header=BB1124_624 Depth=1
	s_or_b64 exec, exec, s[40:41]
	s_andn2_b64 s[4:5], s[28:29], exec
	s_and_b64 s[28:29], s[36:37], exec
	s_or_b64 s[28:29], s[4:5], s[28:29]
                                        ; implicit-def: $sgpr30_sgpr31
	s_and_saveexec_b64 s[40:41], s[38:39]
	s_cbranch_execz .LBB1124_623
; %bb.627:                              ;   in Loop: Header=BB1124_624 Depth=1
	v_lshl_add_u64 v[16:17], v[16:17], 0, -1
	v_cmp_eq_u64_e64 s[4:5], 0, v[16:17]
	v_lshl_add_u64 v[12:13], v[12:13], 0, 2
	v_lshl_add_u64 v[14:15], v[14:15], 0, 2
	s_and_b64 s[30:31], s[36:37], exec
	s_andn2_b64 s[28:29], s[28:29], exec
	s_orn2_b64 s[34:35], s[4:5], exec
	s_branch .LBB1124_623
.LBB1124_628:
	s_or_b64 exec, exec, s[24:25]
	s_xor_b64 s[4:5], s[26:27], -1
	s_andn2_b64 s[6:7], s[6:7], exec
	s_and_b64 s[4:5], s[4:5], exec
	s_or_b64 s[6:7], s[6:7], s[4:5]
.LBB1124_629:
	s_or_b64 exec, exec, s[22:23]
	s_orn2_b64 s[6:7], s[6:7], exec
.LBB1124_630:
	s_or_b64 exec, exec, s[20:21]
	v_cndmask_b32_e64 v12, v18, v19, s[6:7]
	v_cndmask_b32_e64 v13, v97, v96, s[6:7]
	v_add_u32_e32 v16, 1, v12
	v_add_u32_e32 v12, -1, v13
	v_min_u32_e32 v12, v16, v12
	v_mov_b32_e32 v13, 0
	v_lshl_add_u64 v[14:15], v[12:13], 3, v[54:55]
	flat_load_dwordx2 v[14:15], v[14:15]
	v_cndmask_b32_e64 v71, v16, v18, s[6:7]
	s_mov_b64 s[20:21], -1
	v_cndmask_b32_e64 v80, v19, v16, s[6:7]
	v_cmp_lt_u32_e64 s[4:5], v71, v97
	s_mov_b64 s[22:23], -1
	s_waitcnt vmcnt(0) lgkmcnt(0)
	v_cndmask_b32_e64 v67, v15, v23, s[6:7]
	v_cndmask_b32_e64 v68, v14, v64, s[6:7]
	;; [unrolled: 1-line block ×4, first 2 shown]
	s_and_saveexec_b64 s[24:25], s[4:5]
	s_cbranch_execz .LBB1124_640
; %bb.631:
	v_cmp_lt_u32_e64 s[22:23], v80, v96
	s_xor_b64 s[4:5], s[0:1], -1
	s_and_b64 s[4:5], s[22:23], s[4:5]
	s_and_saveexec_b64 s[26:27], s[4:5]
	s_cbranch_execz .LBB1124_639
; %bb.632:
	v_mul_lo_u32 v12, v69, v6
	v_mul_lo_u32 v16, v70, v7
	v_mad_u64_u32 v[14:15], s[4:5], v70, v6, 0
	v_add3_u32 v15, v15, v16, v12
	v_mul_lo_u32 v12, v67, v6
	v_mul_lo_u32 v18, v68, v7
	v_mad_u64_u32 v[16:17], s[4:5], v68, v6, 0
	v_add3_u32 v17, v17, v18, v12
	v_lshl_add_u64 v[14:15], v[14:15], 1, v[8:9]
	v_lshl_add_u64 v[16:17], v[16:17], 1, v[8:9]
	s_mov_b64 s[28:29], 0
	v_mov_b64_e32 v[18:19], v[6:7]
                                        ; implicit-def: $sgpr30_sgpr31
                                        ; implicit-def: $sgpr34_sgpr35
                                        ; implicit-def: $sgpr36_sgpr37
	s_branch .LBB1124_634
.LBB1124_633:                           ;   in Loop: Header=BB1124_634 Depth=1
	s_or_b64 exec, exec, s[44:45]
	s_and_b64 s[4:5], exec, s[38:39]
	s_or_b64 s[28:29], s[4:5], s[28:29]
	s_andn2_b64 s[4:5], s[30:31], exec
	s_and_b64 s[30:31], s[34:35], exec
	s_or_b64 s[30:31], s[4:5], s[30:31]
	s_andn2_b64 exec, exec, s[28:29]
	s_cbranch_execz .LBB1124_638
.LBB1124_634:                           ; =>This Inner Loop Header: Depth=1
	flat_load_ushort v12, v[16:17]
	flat_load_ushort v81, v[14:15]
	s_mov_b64 s[38:39], -1
	s_mov_b64 s[42:43], 0
	s_mov_b64 s[40:41], -1
	s_waitcnt vmcnt(0) lgkmcnt(0)
	v_lshlrev_b32_e32 v12, 16, v12
	v_lshlrev_b32_e32 v81, 16, v81
	v_cmp_nlt_f32_e64 s[4:5], v12, v81
	s_and_saveexec_b64 s[44:45], s[4:5]
; %bb.635:                              ;   in Loop: Header=BB1124_634 Depth=1
	v_cmp_ngt_f32_e64 s[4:5], v12, v81
	s_and_b64 s[36:37], s[4:5], s[36:37]
	s_orn2_b64 s[40:41], s[36:37], exec
	s_and_b64 s[42:43], s[4:5], exec
; %bb.636:                              ;   in Loop: Header=BB1124_634 Depth=1
	s_or_b64 exec, exec, s[44:45]
	s_andn2_b64 s[4:5], s[34:35], exec
	s_and_b64 s[34:35], s[40:41], exec
	s_or_b64 s[34:35], s[4:5], s[34:35]
                                        ; implicit-def: $sgpr36_sgpr37
	s_and_saveexec_b64 s[44:45], s[42:43]
	s_cbranch_execz .LBB1124_633
; %bb.637:                              ;   in Loop: Header=BB1124_634 Depth=1
	v_lshl_add_u64 v[18:19], v[18:19], 0, -1
	v_cmp_eq_u64_e64 s[4:5], 0, v[18:19]
	v_lshl_add_u64 v[14:15], v[14:15], 0, 2
	v_lshl_add_u64 v[16:17], v[16:17], 0, 2
	s_and_b64 s[36:37], s[40:41], exec
	s_andn2_b64 s[34:35], s[34:35], exec
	s_orn2_b64 s[38:39], s[4:5], exec
	s_branch .LBB1124_633
.LBB1124_638:
	s_or_b64 exec, exec, s[28:29]
	s_xor_b64 s[4:5], s[30:31], -1
	s_andn2_b64 s[22:23], s[22:23], exec
	s_and_b64 s[4:5], s[4:5], exec
	s_or_b64 s[22:23], s[22:23], s[4:5]
.LBB1124_639:
	s_or_b64 exec, exec, s[26:27]
	s_orn2_b64 s[22:23], s[22:23], exec
.LBB1124_640:
	s_or_b64 exec, exec, s[24:25]
	v_cndmask_b32_e64 v12, v71, v80, s[22:23]
	v_cndmask_b32_e64 v14, v97, v96, s[22:23]
	v_add_u32_e32 v15, 1, v12
	v_add_u32_e32 v12, -1, v14
	v_min_u32_e32 v12, v15, v12
	v_lshl_add_u64 v[12:13], v[12:13], 3, v[54:55]
	flat_load_dwordx2 v[12:13], v[12:13]
	v_cndmask_b32_e64 v18, v15, v71, s[22:23]
	v_cndmask_b32_e64 v19, v80, v15, s[22:23]
	v_cmp_lt_u32_e64 s[4:5], v18, v97
	s_waitcnt vmcnt(0) lgkmcnt(0)
	v_cndmask_b32_e64 v71, v13, v67, s[22:23]
	v_cndmask_b32_e64 v80, v12, v68, s[22:23]
	;; [unrolled: 1-line block ×4, first 2 shown]
	s_and_saveexec_b64 s[24:25], s[4:5]
	s_cbranch_execz .LBB1124_650
; %bb.641:
	v_cmp_lt_u32_e64 s[20:21], v19, v96
	s_xor_b64 s[4:5], s[0:1], -1
	s_and_b64 s[4:5], s[20:21], s[4:5]
	s_and_saveexec_b64 s[26:27], s[4:5]
	s_cbranch_execz .LBB1124_649
; %bb.642:
	v_mul_lo_u32 v14, v81, v6
	v_mul_lo_u32 v15, v82, v7
	v_mad_u64_u32 v[12:13], s[4:5], v82, v6, 0
	v_add3_u32 v13, v13, v15, v14
	v_mul_lo_u32 v16, v71, v6
	v_mul_lo_u32 v17, v80, v7
	v_mad_u64_u32 v[14:15], s[4:5], v80, v6, 0
	v_add3_u32 v15, v15, v17, v16
	v_lshl_add_u64 v[12:13], v[12:13], 1, v[8:9]
	v_lshl_add_u64 v[14:15], v[14:15], 1, v[8:9]
	s_mov_b64 s[28:29], 0
	v_mov_b64_e32 v[16:17], v[6:7]
                                        ; implicit-def: $sgpr30_sgpr31
                                        ; implicit-def: $sgpr34_sgpr35
                                        ; implicit-def: $sgpr36_sgpr37
	s_branch .LBB1124_644
.LBB1124_643:                           ;   in Loop: Header=BB1124_644 Depth=1
	s_or_b64 exec, exec, s[44:45]
	s_and_b64 s[4:5], exec, s[38:39]
	s_or_b64 s[28:29], s[4:5], s[28:29]
	s_andn2_b64 s[4:5], s[30:31], exec
	s_and_b64 s[30:31], s[34:35], exec
	s_or_b64 s[30:31], s[4:5], s[30:31]
	s_andn2_b64 exec, exec, s[28:29]
	s_cbranch_execz .LBB1124_648
.LBB1124_644:                           ; =>This Inner Loop Header: Depth=1
	flat_load_ushort v83, v[14:15]
	flat_load_ushort v84, v[12:13]
	s_mov_b64 s[38:39], -1
	s_mov_b64 s[42:43], 0
	s_mov_b64 s[40:41], -1
	s_waitcnt vmcnt(0) lgkmcnt(0)
	v_lshlrev_b32_e32 v83, 16, v83
	v_lshlrev_b32_e32 v84, 16, v84
	v_cmp_nlt_f32_e64 s[4:5], v83, v84
	s_and_saveexec_b64 s[44:45], s[4:5]
; %bb.645:                              ;   in Loop: Header=BB1124_644 Depth=1
	v_cmp_ngt_f32_e64 s[4:5], v83, v84
	s_and_b64 s[36:37], s[4:5], s[36:37]
	s_orn2_b64 s[40:41], s[36:37], exec
	s_and_b64 s[42:43], s[4:5], exec
; %bb.646:                              ;   in Loop: Header=BB1124_644 Depth=1
	s_or_b64 exec, exec, s[44:45]
	s_andn2_b64 s[4:5], s[34:35], exec
	s_and_b64 s[34:35], s[40:41], exec
	s_or_b64 s[34:35], s[4:5], s[34:35]
                                        ; implicit-def: $sgpr36_sgpr37
	s_and_saveexec_b64 s[44:45], s[42:43]
	s_cbranch_execz .LBB1124_643
; %bb.647:                              ;   in Loop: Header=BB1124_644 Depth=1
	v_lshl_add_u64 v[16:17], v[16:17], 0, -1
	v_cmp_eq_u64_e64 s[4:5], 0, v[16:17]
	v_lshl_add_u64 v[12:13], v[12:13], 0, 2
	v_lshl_add_u64 v[14:15], v[14:15], 0, 2
	s_and_b64 s[36:37], s[40:41], exec
	s_andn2_b64 s[34:35], s[34:35], exec
	s_orn2_b64 s[38:39], s[4:5], exec
	s_branch .LBB1124_643
.LBB1124_648:
	s_or_b64 exec, exec, s[28:29]
	s_xor_b64 s[4:5], s[30:31], -1
	s_andn2_b64 s[20:21], s[20:21], exec
	s_and_b64 s[4:5], s[4:5], exec
	s_or_b64 s[20:21], s[20:21], s[4:5]
.LBB1124_649:
	s_or_b64 exec, exec, s[26:27]
	s_orn2_b64 s[20:21], s[20:21], exec
.LBB1124_650:
	s_or_b64 exec, exec, s[24:25]
	v_cndmask_b32_e64 v12, v18, v19, s[20:21]
	v_cndmask_b32_e64 v13, v97, v96, s[20:21]
	v_add_u32_e32 v16, 1, v12
	v_add_u32_e32 v12, -1, v13
	v_min_u32_e32 v12, v16, v12
	v_mov_b32_e32 v13, 0
	v_lshl_add_u64 v[14:15], v[12:13], 3, v[54:55]
	flat_load_dwordx2 v[14:15], v[14:15]
	v_cndmask_b32_e64 v87, v16, v18, s[20:21]
	s_mov_b64 s[24:25], -1
	v_cndmask_b32_e64 v98, v19, v16, s[20:21]
	v_cmp_lt_u32_e64 s[4:5], v87, v97
	s_mov_b64 s[26:27], -1
	s_waitcnt vmcnt(0) lgkmcnt(0)
	v_cndmask_b32_e64 v83, v15, v71, s[20:21]
	v_cndmask_b32_e64 v84, v14, v80, s[20:21]
	;; [unrolled: 1-line block ×4, first 2 shown]
	s_and_saveexec_b64 s[28:29], s[4:5]
	s_cbranch_execz .LBB1124_660
; %bb.651:
	v_cmp_lt_u32_e64 s[26:27], v98, v96
	s_xor_b64 s[4:5], s[0:1], -1
	s_and_b64 s[4:5], s[26:27], s[4:5]
	s_and_saveexec_b64 s[30:31], s[4:5]
	s_cbranch_execz .LBB1124_659
; %bb.652:
	v_mul_lo_u32 v12, v85, v6
	v_mul_lo_u32 v16, v86, v7
	v_mad_u64_u32 v[14:15], s[4:5], v86, v6, 0
	v_add3_u32 v15, v15, v16, v12
	v_mul_lo_u32 v12, v83, v6
	v_mul_lo_u32 v18, v84, v7
	v_mad_u64_u32 v[16:17], s[4:5], v84, v6, 0
	v_add3_u32 v17, v17, v18, v12
	v_lshl_add_u64 v[14:15], v[14:15], 1, v[8:9]
	v_lshl_add_u64 v[16:17], v[16:17], 1, v[8:9]
	s_mov_b64 s[34:35], 0
	v_mov_b64_e32 v[18:19], v[6:7]
                                        ; implicit-def: $sgpr36_sgpr37
                                        ; implicit-def: $sgpr38_sgpr39
                                        ; implicit-def: $sgpr40_sgpr41
	s_branch .LBB1124_654
.LBB1124_653:                           ;   in Loop: Header=BB1124_654 Depth=1
	s_or_b64 exec, exec, s[48:49]
	s_and_b64 s[4:5], exec, s[42:43]
	s_or_b64 s[34:35], s[4:5], s[34:35]
	s_andn2_b64 s[4:5], s[36:37], exec
	s_and_b64 s[36:37], s[38:39], exec
	s_or_b64 s[36:37], s[4:5], s[36:37]
	s_andn2_b64 exec, exec, s[34:35]
	s_cbranch_execz .LBB1124_658
.LBB1124_654:                           ; =>This Inner Loop Header: Depth=1
	flat_load_ushort v12, v[16:17]
	flat_load_ushort v99, v[14:15]
	s_mov_b64 s[42:43], -1
	s_mov_b64 s[46:47], 0
	s_mov_b64 s[44:45], -1
	s_waitcnt vmcnt(0) lgkmcnt(0)
	v_lshlrev_b32_e32 v12, 16, v12
	v_lshlrev_b32_e32 v99, 16, v99
	v_cmp_nlt_f32_e64 s[4:5], v12, v99
	s_and_saveexec_b64 s[48:49], s[4:5]
; %bb.655:                              ;   in Loop: Header=BB1124_654 Depth=1
	v_cmp_ngt_f32_e64 s[4:5], v12, v99
	s_and_b64 s[40:41], s[4:5], s[40:41]
	s_orn2_b64 s[44:45], s[40:41], exec
	s_and_b64 s[46:47], s[4:5], exec
; %bb.656:                              ;   in Loop: Header=BB1124_654 Depth=1
	s_or_b64 exec, exec, s[48:49]
	s_andn2_b64 s[4:5], s[38:39], exec
	s_and_b64 s[38:39], s[44:45], exec
	s_or_b64 s[38:39], s[4:5], s[38:39]
                                        ; implicit-def: $sgpr40_sgpr41
	s_and_saveexec_b64 s[48:49], s[46:47]
	s_cbranch_execz .LBB1124_653
; %bb.657:                              ;   in Loop: Header=BB1124_654 Depth=1
	v_lshl_add_u64 v[18:19], v[18:19], 0, -1
	v_cmp_eq_u64_e64 s[4:5], 0, v[18:19]
	v_lshl_add_u64 v[14:15], v[14:15], 0, 2
	v_lshl_add_u64 v[16:17], v[16:17], 0, 2
	s_and_b64 s[40:41], s[44:45], exec
	s_andn2_b64 s[38:39], s[38:39], exec
	s_orn2_b64 s[42:43], s[4:5], exec
	s_branch .LBB1124_653
.LBB1124_658:
	s_or_b64 exec, exec, s[34:35]
	s_xor_b64 s[4:5], s[36:37], -1
	s_andn2_b64 s[26:27], s[26:27], exec
	s_and_b64 s[4:5], s[4:5], exec
	s_or_b64 s[26:27], s[26:27], s[4:5]
.LBB1124_659:
	s_or_b64 exec, exec, s[30:31]
	s_orn2_b64 s[26:27], s[26:27], exec
.LBB1124_660:
	s_or_b64 exec, exec, s[28:29]
	v_cndmask_b32_e64 v12, v87, v98, s[26:27]
	v_cndmask_b32_e64 v14, v97, v96, s[26:27]
	v_add_u32_e32 v15, 1, v12
	v_add_u32_e32 v12, -1, v14
	v_min_u32_e32 v12, v15, v12
	v_lshl_add_u64 v[12:13], v[12:13], 3, v[54:55]
	flat_load_dwordx2 v[12:13], v[12:13]
	v_cndmask_b32_e64 v100, v15, v87, s[26:27]
	v_cndmask_b32_e64 v87, v98, v15, s[26:27]
	v_cmp_lt_u32_e64 s[4:5], v100, v97
	s_waitcnt vmcnt(0) lgkmcnt(0)
	v_cndmask_b32_e64 v98, v13, v83, s[26:27]
	v_cndmask_b32_e64 v99, v12, v84, s[26:27]
	;; [unrolled: 1-line block ×4, first 2 shown]
	s_and_saveexec_b64 s[28:29], s[4:5]
	s_cbranch_execz .LBB1124_670
; %bb.661:
	v_cmp_lt_u32_e64 s[24:25], v87, v96
	s_xor_b64 s[4:5], s[0:1], -1
	s_and_b64 s[4:5], s[24:25], s[4:5]
	s_and_saveexec_b64 s[30:31], s[4:5]
	s_cbranch_execz .LBB1124_669
; %bb.662:
	v_mul_lo_u32 v14, v101, v6
	v_mul_lo_u32 v15, v102, v7
	v_mad_u64_u32 v[12:13], s[4:5], v102, v6, 0
	v_add3_u32 v13, v13, v15, v14
	v_mul_lo_u32 v16, v98, v6
	v_mul_lo_u32 v17, v99, v7
	v_mad_u64_u32 v[14:15], s[4:5], v99, v6, 0
	v_add3_u32 v15, v15, v17, v16
	v_lshl_add_u64 v[12:13], v[12:13], 1, v[8:9]
	v_lshl_add_u64 v[14:15], v[14:15], 1, v[8:9]
	s_mov_b64 s[34:35], 0
	v_mov_b64_e32 v[16:17], v[6:7]
                                        ; implicit-def: $sgpr36_sgpr37
                                        ; implicit-def: $sgpr38_sgpr39
                                        ; implicit-def: $sgpr40_sgpr41
	s_branch .LBB1124_664
.LBB1124_663:                           ;   in Loop: Header=BB1124_664 Depth=1
	s_or_b64 exec, exec, s[48:49]
	s_and_b64 s[4:5], exec, s[42:43]
	s_or_b64 s[34:35], s[4:5], s[34:35]
	s_andn2_b64 s[4:5], s[36:37], exec
	s_and_b64 s[36:37], s[38:39], exec
	s_or_b64 s[36:37], s[4:5], s[36:37]
	s_andn2_b64 exec, exec, s[34:35]
	s_cbranch_execz .LBB1124_668
.LBB1124_664:                           ; =>This Inner Loop Header: Depth=1
	flat_load_ushort v18, v[14:15]
	flat_load_ushort v19, v[12:13]
	s_mov_b64 s[42:43], -1
	s_mov_b64 s[46:47], 0
	s_mov_b64 s[44:45], -1
	s_waitcnt vmcnt(0) lgkmcnt(0)
	v_lshlrev_b32_e32 v18, 16, v18
	v_lshlrev_b32_e32 v19, 16, v19
	v_cmp_nlt_f32_e64 s[4:5], v18, v19
	s_and_saveexec_b64 s[48:49], s[4:5]
; %bb.665:                              ;   in Loop: Header=BB1124_664 Depth=1
	v_cmp_ngt_f32_e64 s[4:5], v18, v19
	s_and_b64 s[40:41], s[4:5], s[40:41]
	s_orn2_b64 s[44:45], s[40:41], exec
	s_and_b64 s[46:47], s[4:5], exec
; %bb.666:                              ;   in Loop: Header=BB1124_664 Depth=1
	s_or_b64 exec, exec, s[48:49]
	s_andn2_b64 s[4:5], s[38:39], exec
	s_and_b64 s[38:39], s[44:45], exec
	s_or_b64 s[38:39], s[4:5], s[38:39]
                                        ; implicit-def: $sgpr40_sgpr41
	s_and_saveexec_b64 s[48:49], s[46:47]
	s_cbranch_execz .LBB1124_663
; %bb.667:                              ;   in Loop: Header=BB1124_664 Depth=1
	v_lshl_add_u64 v[16:17], v[16:17], 0, -1
	v_cmp_eq_u64_e64 s[4:5], 0, v[16:17]
	v_lshl_add_u64 v[12:13], v[12:13], 0, 2
	v_lshl_add_u64 v[14:15], v[14:15], 0, 2
	s_and_b64 s[40:41], s[44:45], exec
	s_andn2_b64 s[38:39], s[38:39], exec
	s_orn2_b64 s[42:43], s[4:5], exec
	s_branch .LBB1124_663
.LBB1124_668:
	s_or_b64 exec, exec, s[34:35]
	s_xor_b64 s[4:5], s[36:37], -1
	s_andn2_b64 s[24:25], s[24:25], exec
	s_and_b64 s[4:5], s[4:5], exec
	s_or_b64 s[24:25], s[24:25], s[4:5]
.LBB1124_669:
	s_or_b64 exec, exec, s[30:31]
	s_orn2_b64 s[24:25], s[24:25], exec
.LBB1124_670:
	s_or_b64 exec, exec, s[28:29]
	v_cndmask_b32_e64 v12, v100, v87, s[24:25]
	v_cndmask_b32_e64 v13, v97, v96, s[24:25]
	v_add_u32_e32 v103, 1, v12
	v_add_u32_e32 v12, -1, v13
	v_min_u32_e32 v12, v103, v12
	v_mov_b32_e32 v13, 0
	v_lshl_add_u64 v[12:13], v[12:13], 3, v[54:55]
	flat_load_dwordx2 v[54:55], v[12:13]
	v_cndmask_b32_e64 v17, v23, v65, s[6:7]
	v_cndmask_b32_e64 v23, v20, v22, s[18:19]
	v_cndmask_b32_e64 v22, v21, v31, s[18:19]
	v_cndmask_b32_e64 v31, v103, v100, s[24:25]
	v_cndmask_b32_e64 v15, v83, v85, s[26:27]
	v_cndmask_b32_e64 v14, v84, v86, s[26:27]
	v_cndmask_b32_e64 v13, v71, v81, s[20:21]
	v_cndmask_b32_e64 v12, v80, v82, s[20:21]
	v_cndmask_b32_e64 v19, v67, v69, s[22:23]
	v_cndmask_b32_e64 v18, v68, v70, s[22:23]
	v_cndmask_b32_e64 v16, v64, v66, s[6:7]
	v_cndmask_b32_e64 v21, v3, v1, s[16:17]
	v_cndmask_b32_e64 v20, v2, v0, s[16:17]
	v_cndmask_b32_e64 v1, v98, v101, s[24:25]
	v_cndmask_b32_e64 v0, v99, v102, s[24:25]
	v_cmp_lt_u32_e64 s[4:5], v31, v97
	s_waitcnt vmcnt(0) lgkmcnt(0)
	v_cndmask_b32_e64 v3, v101, v55, s[24:25]
	v_cndmask_b32_e64 v2, v102, v54, s[24:25]
	s_and_saveexec_b64 s[6:7], s[4:5]
	s_cbranch_execz .LBB1124_680
; %bb.671:
	v_cndmask_b32_e64 v68, v54, v99, s[24:25]
	v_cndmask_b32_e64 v54, v87, v103, s[24:25]
	v_cmp_ge_u32_e64 s[4:5], v54, v96
	v_cndmask_b32_e64 v31, v55, v98, s[24:25]
	s_or_b64 s[16:17], s[4:5], s[0:1]
	v_cndmask_b32_e64 v55, v3, v31, s[4:5]
	s_xor_b64 s[18:19], s[16:17], -1
	v_cndmask_b32_e64 v54, v2, v68, s[4:5]
	s_and_saveexec_b64 s[16:17], s[18:19]
	s_cbranch_execz .LBB1124_679
; %bb.672:
	v_mul_lo_u32 v64, v3, v6
	v_mul_lo_u32 v65, v2, v7
	v_mad_u64_u32 v[54:55], s[4:5], v2, v6, 0
	v_add3_u32 v55, v55, v65, v64
	v_mul_lo_u32 v66, v31, v6
	v_mul_lo_u32 v67, v68, v7
	v_mad_u64_u32 v[64:65], s[4:5], v68, v6, 0
	v_add3_u32 v65, v65, v67, v66
	v_lshl_add_u64 v[54:55], v[54:55], 1, v[8:9]
	v_lshl_add_u64 v[64:65], v[64:65], 1, v[8:9]
	s_mov_b64 s[18:19], 0
	v_mov_b64_e32 v[66:67], v[6:7]
                                        ; implicit-def: $sgpr20_sgpr21
                                        ; implicit-def: $sgpr22_sgpr23
                                        ; implicit-def: $sgpr24_sgpr25
	s_branch .LBB1124_674
.LBB1124_673:                           ;   in Loop: Header=BB1124_674 Depth=1
	s_or_b64 exec, exec, s[34:35]
	s_and_b64 s[4:5], exec, s[26:27]
	s_or_b64 s[18:19], s[4:5], s[18:19]
	s_andn2_b64 s[4:5], s[20:21], exec
	s_and_b64 s[20:21], s[22:23], exec
	s_or_b64 s[20:21], s[4:5], s[20:21]
	s_andn2_b64 exec, exec, s[18:19]
	s_cbranch_execz .LBB1124_678
.LBB1124_674:                           ; =>This Inner Loop Header: Depth=1
	flat_load_ushort v69, v[64:65]
	flat_load_ushort v70, v[54:55]
	s_mov_b64 s[26:27], -1
	s_mov_b64 s[30:31], 0
	s_mov_b64 s[28:29], -1
	s_waitcnt vmcnt(0) lgkmcnt(0)
	v_lshlrev_b32_e32 v69, 16, v69
	v_lshlrev_b32_e32 v70, 16, v70
	v_cmp_nlt_f32_e64 s[4:5], v69, v70
	s_and_saveexec_b64 s[34:35], s[4:5]
; %bb.675:                              ;   in Loop: Header=BB1124_674 Depth=1
	v_cmp_ngt_f32_e64 s[4:5], v69, v70
	s_and_b64 s[24:25], s[4:5], s[24:25]
	s_orn2_b64 s[28:29], s[24:25], exec
	s_and_b64 s[30:31], s[4:5], exec
; %bb.676:                              ;   in Loop: Header=BB1124_674 Depth=1
	s_or_b64 exec, exec, s[34:35]
	s_andn2_b64 s[4:5], s[22:23], exec
	s_and_b64 s[22:23], s[28:29], exec
	s_or_b64 s[22:23], s[4:5], s[22:23]
                                        ; implicit-def: $sgpr24_sgpr25
	s_and_saveexec_b64 s[34:35], s[30:31]
	s_cbranch_execz .LBB1124_673
; %bb.677:                              ;   in Loop: Header=BB1124_674 Depth=1
	v_lshl_add_u64 v[66:67], v[66:67], 0, -1
	v_cmp_eq_u64_e64 s[4:5], 0, v[66:67]
	v_lshl_add_u64 v[54:55], v[54:55], 0, 2
	v_lshl_add_u64 v[64:65], v[64:65], 0, 2
	s_and_b64 s[24:25], s[28:29], exec
	s_andn2_b64 s[22:23], s[22:23], exec
	s_orn2_b64 s[26:27], s[4:5], exec
	s_branch .LBB1124_673
.LBB1124_678:
	s_or_b64 exec, exec, s[18:19]
	v_cndmask_b32_e64 v55, v3, v31, s[20:21]
	v_cndmask_b32_e64 v54, v2, v68, s[20:21]
.LBB1124_679:
	s_or_b64 exec, exec, s[16:17]
	v_mov_b64_e32 v[2:3], v[54:55]
.LBB1124_680:
	s_or_b64 exec, exec, s[6:7]
.LBB1124_681:
	s_or_b64 exec, exec, s[14:15]
	v_lshlrev_b32_e32 v54, 3, v30
	v_mov_b32_e32 v55, 0
	v_lshl_add_u64 v[64:65], v[10:11], 0, v[54:55]
	v_lshlrev_b64 v[66:67], 1, v[6:7]
	s_movk_i32 s50, 0x80
	; wave barrier
	s_waitcnt lgkmcnt(0)
	s_barrier
.LBB1124_682:                           ; =>This Loop Header: Depth=1
                                        ;     Child Loop BB1124_686 Depth 2
                                        ;       Child Loop BB1124_689 Depth 3
                                        ;     Child Loop BB1124_703 Depth 2
                                        ;     Child Loop BB1124_714 Depth 2
	;; [unrolled: 1-line block ×8, first 2 shown]
	s_lshl_b32 s51, s50, 1
	s_sub_i32 s5, 0, s51
	v_and_b32_e32 v97, s5, v30
	v_add_u32_e32 v31, s50, v97
	v_min_u32_e32 v31, 0x800, v31
	s_add_i32 s4, s51, -1
	v_add_u32_e32 v54, s50, v31
	v_min_u32_e32 v96, 0x800, v54
	v_and_b32_e32 v54, s4, v30
	v_min_u32_e32 v98, 0x800, v54
	v_sub_u32_e32 v54, v31, v97
	v_sub_u32_e32 v68, v96, v31
	v_sub_u32_e64 v99, v98, v68 clamp
	v_min_u32_e32 v100, v98, v54
	v_cmp_lt_u32_e64 s[4:5], v99, v100
	flat_store_dwordx4 v[64:65], v[20:23]
	flat_store_dwordx4 v[64:65], v[16:19] offset:16
	flat_store_dwordx4 v[64:65], v[12:15] offset:32
	;; [unrolled: 1-line block ×3, first 2 shown]
	s_waitcnt lgkmcnt(0)
	s_barrier
	s_and_saveexec_b64 s[6:7], s[4:5]
	s_cbranch_execz .LBB1124_694
; %bb.683:                              ;   in Loop: Header=BB1124_682 Depth=1
	v_lshlrev_b32_e32 v54, 3, v97
	v_lshl_add_u64 v[68:69], v[10:11], 0, v[54:55]
	v_lshlrev_b32_e32 v54, 3, v31
	v_lshl_add_u64 v[70:71], v[10:11], 0, v[54:55]
	s_mov_b64 s[14:15], 0
	s_branch .LBB1124_686
.LBB1124_684:                           ;   in Loop: Header=BB1124_686 Depth=2
	s_or_b64 exec, exec, s[18:19]
	s_and_b64 s[4:5], s[20:21], exec
.LBB1124_685:                           ;   in Loop: Header=BB1124_686 Depth=2
	s_or_b64 exec, exec, s[16:17]
	v_add_u32_e32 v54, 1, v80
	v_cndmask_b32_e64 v100, v100, v80, s[4:5]
	v_cndmask_b32_e64 v99, v54, v99, s[4:5]
	v_cmp_ge_u32_e64 s[4:5], v99, v100
	s_or_b64 s[14:15], s[4:5], s[14:15]
	s_andn2_b64 exec, exec, s[14:15]
	s_cbranch_execz .LBB1124_693
.LBB1124_686:                           ;   Parent Loop BB1124_682 Depth=1
                                        ; =>  This Loop Header: Depth=2
                                        ;       Child Loop BB1124_689 Depth 3
	v_add_u32_e32 v54, v100, v99
	v_lshrrev_b32_e32 v80, 1, v54
	s_mov_b64 s[4:5], 0
	s_and_saveexec_b64 s[16:17], vcc
	s_cbranch_execz .LBB1124_685
; %bb.687:                              ;   in Loop: Header=BB1124_686 Depth=2
	v_mov_b32_e32 v81, v55
	v_xad_u32 v54, v80, -1, v98
	v_lshl_add_u64 v[82:83], v[80:81], 3, v[68:69]
	v_lshl_add_u64 v[84:85], v[54:55], 3, v[70:71]
	flat_load_dwordx2 v[82:83], v[82:83]
	s_mov_b64 s[18:19], 0
	flat_load_dwordx2 v[84:85], v[84:85]
                                        ; implicit-def: $sgpr20_sgpr21
                                        ; implicit-def: $sgpr22_sgpr23
                                        ; implicit-def: $sgpr24_sgpr25
	s_waitcnt vmcnt(0) lgkmcnt(0)
	v_mul_lo_u32 v54, v66, v83
	v_mul_lo_u32 v81, v67, v82
	v_mad_u64_u32 v[82:83], s[4:5], v66, v82, v[8:9]
	v_mul_lo_u32 v86, v66, v85
	v_mul_lo_u32 v87, v67, v84
	v_mad_u64_u32 v[84:85], s[4:5], v66, v84, v[8:9]
	v_add3_u32 v83, v81, v83, v54
	v_add3_u32 v85, v87, v85, v86
	v_mov_b64_e32 v[86:87], v[6:7]
	s_branch .LBB1124_689
.LBB1124_688:                           ;   in Loop: Header=BB1124_689 Depth=3
	s_or_b64 exec, exec, s[34:35]
	s_and_b64 s[4:5], exec, s[26:27]
	s_or_b64 s[18:19], s[4:5], s[18:19]
	s_andn2_b64 s[4:5], s[20:21], exec
	s_and_b64 s[20:21], s[22:23], exec
	s_or_b64 s[20:21], s[4:5], s[20:21]
	s_andn2_b64 exec, exec, s[18:19]
	s_cbranch_execz .LBB1124_684
.LBB1124_689:                           ;   Parent Loop BB1124_682 Depth=1
                                        ;     Parent Loop BB1124_686 Depth=2
                                        ; =>    This Inner Loop Header: Depth=3
	flat_load_ushort v54, v[84:85]
	flat_load_ushort v81, v[82:83]
	s_mov_b64 s[26:27], -1
	s_mov_b64 s[30:31], 0
	s_mov_b64 s[28:29], -1
	s_waitcnt vmcnt(0) lgkmcnt(0)
	v_lshlrev_b32_e32 v54, 16, v54
	v_lshlrev_b32_e32 v81, 16, v81
	v_cmp_nlt_f32_e64 s[4:5], v54, v81
	s_and_saveexec_b64 s[34:35], s[4:5]
; %bb.690:                              ;   in Loop: Header=BB1124_689 Depth=3
	v_cmp_ngt_f32_e64 s[4:5], v54, v81
	s_and_b64 s[24:25], s[4:5], s[24:25]
	s_orn2_b64 s[28:29], s[24:25], exec
	s_and_b64 s[30:31], s[4:5], exec
; %bb.691:                              ;   in Loop: Header=BB1124_689 Depth=3
	s_or_b64 exec, exec, s[34:35]
	s_andn2_b64 s[4:5], s[22:23], exec
	s_and_b64 s[22:23], s[28:29], exec
	s_or_b64 s[22:23], s[4:5], s[22:23]
                                        ; implicit-def: $sgpr24_sgpr25
	s_and_saveexec_b64 s[34:35], s[30:31]
	s_cbranch_execz .LBB1124_688
; %bb.692:                              ;   in Loop: Header=BB1124_689 Depth=3
	v_lshl_add_u64 v[86:87], v[86:87], 0, -1
	v_cmp_eq_u64_e64 s[4:5], 0, v[86:87]
	v_lshl_add_u64 v[82:83], v[82:83], 0, 2
	v_lshl_add_u64 v[84:85], v[84:85], 0, 2
	s_andn2_b64 s[22:23], s[22:23], exec
	s_and_b64 s[24:25], s[28:29], exec
	s_orn2_b64 s[26:27], s[4:5], exec
	s_branch .LBB1124_688
.LBB1124_693:                           ;   in Loop: Header=BB1124_682 Depth=1
	s_or_b64 exec, exec, s[14:15]
.LBB1124_694:                           ;   in Loop: Header=BB1124_682 Depth=1
	s_or_b64 exec, exec, s[6:7]
	v_sub_u32_e32 v54, v98, v99
	v_add_u32_e32 v68, v99, v97
	v_add_u32_e32 v70, v54, v31
	v_cmp_le_u32_e64 s[4:5], v68, v31
	v_cmp_le_u32_e64 s[6:7], v70, v96
	s_or_b64 s[4:5], s[4:5], s[6:7]
	s_and_saveexec_b64 s[14:15], s[4:5]
	s_cbranch_execz .LBB1124_782
; %bb.695:                              ;   in Loop: Header=BB1124_682 Depth=1
	v_cmp_ge_u32_e64 s[4:5], v68, v31
	v_cmp_lt_u32_e64 s[6:7], v68, v31
                                        ; implicit-def: $vgpr0_vgpr1
	s_and_saveexec_b64 s[16:17], s[6:7]
	s_cbranch_execz .LBB1124_697
; %bb.696:                              ;   in Loop: Header=BB1124_682 Depth=1
	v_mov_b32_e32 v69, v55
	v_lshl_add_u64 v[0:1], v[68:69], 3, v[10:11]
	flat_load_dwordx2 v[0:1], v[0:1]
.LBB1124_697:                           ;   in Loop: Header=BB1124_682 Depth=1
	s_or_b64 exec, exec, s[16:17]
	v_cmp_ge_u32_e64 s[16:17], v70, v96
	v_cmp_lt_u32_e64 s[6:7], v70, v96
                                        ; implicit-def: $vgpr20_vgpr21
	s_and_saveexec_b64 s[18:19], s[6:7]
	s_cbranch_execz .LBB1124_699
; %bb.698:                              ;   in Loop: Header=BB1124_682 Depth=1
	v_mov_b32_e32 v71, v55
	v_lshl_add_u64 v[2:3], v[70:71], 3, v[10:11]
	flat_load_dwordx2 v[20:21], v[2:3]
.LBB1124_699:                           ;   in Loop: Header=BB1124_682 Depth=1
	s_or_b64 exec, exec, s[18:19]
	s_or_b64 s[4:5], s[4:5], s[16:17]
	s_xor_b64 s[4:5], s[4:5], -1
	s_and_saveexec_b64 s[6:7], s[4:5]
	s_cbranch_execz .LBB1124_709
; %bb.700:                              ;   in Loop: Header=BB1124_682 Depth=1
	s_mov_b64 s[4:5], 0
	s_and_saveexec_b64 s[18:19], s[2:3]
	s_cbranch_execz .LBB1124_708
; %bb.701:                              ;   in Loop: Header=BB1124_682 Depth=1
	s_waitcnt vmcnt(0) lgkmcnt(0)
	v_mad_u64_u32 v[2:3], s[4:5], v66, v0, v[8:9]
	v_mul_lo_u32 v12, v66, v1
	v_mul_lo_u32 v13, v67, v0
	v_add3_u32 v3, v13, v3, v12
	v_mad_u64_u32 v[12:13], s[4:5], v66, v20, v[8:9]
	v_mul_lo_u32 v14, v66, v21
	v_mul_lo_u32 v15, v67, v20
	v_add3_u32 v13, v15, v13, v14
	s_mov_b64 s[20:21], 0
	v_mov_b64_e32 v[14:15], v[6:7]
                                        ; implicit-def: $sgpr22_sgpr23
                                        ; implicit-def: $sgpr24_sgpr25
                                        ; implicit-def: $sgpr26_sgpr27
	s_branch .LBB1124_703
.LBB1124_702:                           ;   in Loop: Header=BB1124_703 Depth=2
	s_or_b64 exec, exec, s[36:37]
	s_and_b64 s[4:5], exec, s[28:29]
	s_or_b64 s[20:21], s[4:5], s[20:21]
	s_andn2_b64 s[4:5], s[22:23], exec
	s_and_b64 s[22:23], s[24:25], exec
	s_or_b64 s[22:23], s[4:5], s[22:23]
	s_andn2_b64 exec, exec, s[20:21]
	s_cbranch_execz .LBB1124_707
.LBB1124_703:                           ;   Parent Loop BB1124_682 Depth=1
                                        ; =>  This Inner Loop Header: Depth=2
	flat_load_ushort v16, v[12:13]
	flat_load_ushort v17, v[2:3]
	s_mov_b64 s[28:29], -1
	s_mov_b64 s[34:35], 0
	s_mov_b64 s[30:31], -1
	s_waitcnt vmcnt(0) lgkmcnt(0)
	v_lshlrev_b32_e32 v16, 16, v16
	v_lshlrev_b32_e32 v17, 16, v17
	v_cmp_nlt_f32_e64 s[4:5], v16, v17
	s_and_saveexec_b64 s[36:37], s[4:5]
; %bb.704:                              ;   in Loop: Header=BB1124_703 Depth=2
	v_cmp_ngt_f32_e64 s[4:5], v16, v17
	s_and_b64 s[26:27], s[4:5], s[26:27]
	s_orn2_b64 s[30:31], s[26:27], exec
	s_and_b64 s[34:35], s[4:5], exec
; %bb.705:                              ;   in Loop: Header=BB1124_703 Depth=2
	s_or_b64 exec, exec, s[36:37]
	s_andn2_b64 s[4:5], s[24:25], exec
	s_and_b64 s[24:25], s[30:31], exec
	s_or_b64 s[24:25], s[4:5], s[24:25]
                                        ; implicit-def: $sgpr26_sgpr27
	s_and_saveexec_b64 s[36:37], s[34:35]
	s_cbranch_execz .LBB1124_702
; %bb.706:                              ;   in Loop: Header=BB1124_703 Depth=2
	v_lshl_add_u64 v[14:15], v[14:15], 0, -1
	v_cmp_eq_u64_e64 s[4:5], 0, v[14:15]
	v_lshl_add_u64 v[2:3], v[2:3], 0, 2
	v_lshl_add_u64 v[12:13], v[12:13], 0, 2
	s_andn2_b64 s[24:25], s[24:25], exec
	s_and_b64 s[26:27], s[30:31], exec
	s_orn2_b64 s[28:29], s[4:5], exec
	s_branch .LBB1124_702
.LBB1124_707:                           ;   in Loop: Header=BB1124_682 Depth=1
	s_or_b64 exec, exec, s[20:21]
	s_and_b64 s[4:5], s[22:23], exec
.LBB1124_708:                           ;   in Loop: Header=BB1124_682 Depth=1
	s_or_b64 exec, exec, s[18:19]
	s_xor_b64 s[4:5], s[4:5], -1
	s_andn2_b64 s[16:17], s[16:17], exec
	s_and_b64 s[4:5], s[4:5], exec
	s_or_b64 s[16:17], s[16:17], s[4:5]
.LBB1124_709:                           ;   in Loop: Header=BB1124_682 Depth=1
	s_or_b64 exec, exec, s[6:7]
	v_cndmask_b32_e64 v2, v70, v68, s[16:17]
	v_cndmask_b32_e64 v3, v96, v31, s[16:17]
	v_add_u32_e32 v12, 1, v2
	v_add_u32_e32 v2, -1, v3
	v_min_u32_e32 v54, v12, v2
	v_lshl_add_u64 v[2:3], v[54:55], 3, v[10:11]
	flat_load_dwordx2 v[2:3], v[2:3]
	v_cndmask_b32_e64 v16, v12, v70, s[16:17]
	s_mov_b64 s[6:7], -1
	v_cndmask_b32_e64 v17, v68, v12, s[16:17]
	v_cmp_lt_u32_e64 s[4:5], v16, v96
	s_mov_b64 s[18:19], -1
	s_waitcnt vmcnt(0) lgkmcnt(0)
	v_cndmask_b32_e64 v22, v3, v21, s[16:17]
	v_cndmask_b32_e64 v68, v2, v20, s[16:17]
	;; [unrolled: 1-line block ×4, first 2 shown]
	s_and_saveexec_b64 s[20:21], s[4:5]
	s_cbranch_execz .LBB1124_721
; %bb.710:                              ;   in Loop: Header=BB1124_682 Depth=1
	v_cmp_lt_u32_e64 s[4:5], v17, v31
	s_mov_b64 s[22:23], 0
	s_and_saveexec_b64 s[18:19], s[4:5]
	s_cbranch_execz .LBB1124_720
; %bb.711:                              ;   in Loop: Header=BB1124_682 Depth=1
	s_mov_b64 s[4:5], 0
	s_and_saveexec_b64 s[22:23], s[2:3]
	s_cbranch_execz .LBB1124_719
; %bb.712:                              ;   in Loop: Header=BB1124_682 Depth=1
	v_mad_u64_u32 v[2:3], s[4:5], v66, v69, v[8:9]
	v_mul_lo_u32 v12, v66, v23
	v_mul_lo_u32 v13, v67, v69
	v_add3_u32 v3, v13, v3, v12
	v_mad_u64_u32 v[12:13], s[4:5], v66, v68, v[8:9]
	v_mul_lo_u32 v14, v66, v22
	v_mul_lo_u32 v15, v67, v68
	v_add3_u32 v13, v15, v13, v14
	s_mov_b64 s[24:25], 0
	v_mov_b64_e32 v[14:15], v[6:7]
                                        ; implicit-def: $sgpr26_sgpr27
                                        ; implicit-def: $sgpr28_sgpr29
                                        ; implicit-def: $sgpr30_sgpr31
	s_branch .LBB1124_714
.LBB1124_713:                           ;   in Loop: Header=BB1124_714 Depth=2
	s_or_b64 exec, exec, s[40:41]
	s_and_b64 s[4:5], exec, s[34:35]
	s_or_b64 s[24:25], s[4:5], s[24:25]
	s_andn2_b64 s[4:5], s[26:27], exec
	s_and_b64 s[26:27], s[28:29], exec
	s_or_b64 s[26:27], s[4:5], s[26:27]
	s_andn2_b64 exec, exec, s[24:25]
	s_cbranch_execz .LBB1124_718
.LBB1124_714:                           ;   Parent Loop BB1124_682 Depth=1
                                        ; =>  This Inner Loop Header: Depth=2
	flat_load_ushort v18, v[12:13]
	flat_load_ushort v19, v[2:3]
	s_mov_b64 s[34:35], -1
	s_mov_b64 s[38:39], 0
	s_mov_b64 s[36:37], -1
	s_waitcnt vmcnt(0) lgkmcnt(0)
	v_lshlrev_b32_e32 v18, 16, v18
	v_lshlrev_b32_e32 v19, 16, v19
	v_cmp_nlt_f32_e64 s[4:5], v18, v19
	s_and_saveexec_b64 s[40:41], s[4:5]
; %bb.715:                              ;   in Loop: Header=BB1124_714 Depth=2
	v_cmp_ngt_f32_e64 s[4:5], v18, v19
	s_and_b64 s[30:31], s[4:5], s[30:31]
	s_orn2_b64 s[36:37], s[30:31], exec
	s_and_b64 s[38:39], s[4:5], exec
; %bb.716:                              ;   in Loop: Header=BB1124_714 Depth=2
	s_or_b64 exec, exec, s[40:41]
	s_andn2_b64 s[4:5], s[28:29], exec
	s_and_b64 s[28:29], s[36:37], exec
	s_or_b64 s[28:29], s[4:5], s[28:29]
                                        ; implicit-def: $sgpr30_sgpr31
	s_and_saveexec_b64 s[40:41], s[38:39]
	s_cbranch_execz .LBB1124_713
; %bb.717:                              ;   in Loop: Header=BB1124_714 Depth=2
	v_lshl_add_u64 v[14:15], v[14:15], 0, -1
	v_cmp_eq_u64_e64 s[4:5], 0, v[14:15]
	v_lshl_add_u64 v[2:3], v[2:3], 0, 2
	v_lshl_add_u64 v[12:13], v[12:13], 0, 2
	s_andn2_b64 s[28:29], s[28:29], exec
	s_and_b64 s[30:31], s[36:37], exec
	s_orn2_b64 s[34:35], s[4:5], exec
	s_branch .LBB1124_713
.LBB1124_718:                           ;   in Loop: Header=BB1124_682 Depth=1
	s_or_b64 exec, exec, s[24:25]
	s_and_b64 s[4:5], s[26:27], exec
.LBB1124_719:                           ;   in Loop: Header=BB1124_682 Depth=1
	s_or_b64 exec, exec, s[22:23]
	s_xor_b64 s[4:5], s[4:5], -1
	s_and_b64 s[22:23], s[4:5], exec
.LBB1124_720:                           ;   in Loop: Header=BB1124_682 Depth=1
	s_or_b64 exec, exec, s[18:19]
	s_orn2_b64 s[18:19], s[22:23], exec
.LBB1124_721:                           ;   in Loop: Header=BB1124_682 Depth=1
	s_or_b64 exec, exec, s[20:21]
	v_cndmask_b32_e64 v2, v16, v17, s[18:19]
	v_cndmask_b32_e64 v3, v96, v31, s[18:19]
	v_add_u32_e32 v12, 1, v2
	v_add_u32_e32 v2, -1, v3
	v_min_u32_e32 v54, v12, v2
	v_lshl_add_u64 v[2:3], v[54:55], 3, v[10:11]
	flat_load_dwordx2 v[2:3], v[2:3]
	v_cndmask_b32_e64 v16, v12, v16, s[18:19]
	v_cndmask_b32_e64 v17, v17, v12, s[18:19]
	v_cmp_lt_u32_e64 s[4:5], v16, v96
	s_waitcnt vmcnt(0) lgkmcnt(0)
	v_cndmask_b32_e64 v70, v3, v22, s[18:19]
	v_cndmask_b32_e64 v71, v2, v68, s[18:19]
	;; [unrolled: 1-line block ×4, first 2 shown]
	s_and_saveexec_b64 s[20:21], s[4:5]
	s_cbranch_execz .LBB1124_731
; %bb.722:                              ;   in Loop: Header=BB1124_682 Depth=1
	v_cmp_lt_u32_e64 s[6:7], v17, v31
	s_xor_b64 s[4:5], s[0:1], -1
	s_and_b64 s[4:5], s[6:7], s[4:5]
	s_and_saveexec_b64 s[22:23], s[4:5]
	s_cbranch_execz .LBB1124_730
; %bb.723:                              ;   in Loop: Header=BB1124_682 Depth=1
	v_mad_u64_u32 v[2:3], s[4:5], v66, v81, v[8:9]
	v_mul_lo_u32 v12, v66, v80
	v_mul_lo_u32 v13, v67, v81
	v_add3_u32 v3, v13, v3, v12
	v_mad_u64_u32 v[12:13], s[4:5], v66, v71, v[8:9]
	v_mul_lo_u32 v14, v66, v70
	v_mul_lo_u32 v15, v67, v71
	v_add3_u32 v13, v15, v13, v14
	s_mov_b64 s[24:25], 0
	v_mov_b64_e32 v[14:15], v[6:7]
                                        ; implicit-def: $sgpr26_sgpr27
                                        ; implicit-def: $sgpr28_sgpr29
                                        ; implicit-def: $sgpr30_sgpr31
	s_branch .LBB1124_725
.LBB1124_724:                           ;   in Loop: Header=BB1124_725 Depth=2
	s_or_b64 exec, exec, s[40:41]
	s_and_b64 s[4:5], exec, s[34:35]
	s_or_b64 s[24:25], s[4:5], s[24:25]
	s_andn2_b64 s[4:5], s[26:27], exec
	s_and_b64 s[26:27], s[28:29], exec
	s_or_b64 s[26:27], s[4:5], s[26:27]
	s_andn2_b64 exec, exec, s[24:25]
	s_cbranch_execz .LBB1124_729
.LBB1124_725:                           ;   Parent Loop BB1124_682 Depth=1
                                        ; =>  This Inner Loop Header: Depth=2
	flat_load_ushort v18, v[12:13]
	flat_load_ushort v19, v[2:3]
	s_mov_b64 s[34:35], -1
	s_mov_b64 s[38:39], 0
	s_mov_b64 s[36:37], -1
	s_waitcnt vmcnt(0) lgkmcnt(0)
	v_lshlrev_b32_e32 v18, 16, v18
	v_lshlrev_b32_e32 v19, 16, v19
	v_cmp_nlt_f32_e64 s[4:5], v18, v19
	s_and_saveexec_b64 s[40:41], s[4:5]
; %bb.726:                              ;   in Loop: Header=BB1124_725 Depth=2
	v_cmp_ngt_f32_e64 s[4:5], v18, v19
	s_and_b64 s[30:31], s[4:5], s[30:31]
	s_orn2_b64 s[36:37], s[30:31], exec
	s_and_b64 s[38:39], s[4:5], exec
; %bb.727:                              ;   in Loop: Header=BB1124_725 Depth=2
	s_or_b64 exec, exec, s[40:41]
	s_andn2_b64 s[4:5], s[28:29], exec
	s_and_b64 s[28:29], s[36:37], exec
	s_or_b64 s[28:29], s[4:5], s[28:29]
                                        ; implicit-def: $sgpr30_sgpr31
	s_and_saveexec_b64 s[40:41], s[38:39]
	s_cbranch_execz .LBB1124_724
; %bb.728:                              ;   in Loop: Header=BB1124_725 Depth=2
	v_lshl_add_u64 v[14:15], v[14:15], 0, -1
	v_cmp_eq_u64_e64 s[4:5], 0, v[14:15]
	v_lshl_add_u64 v[2:3], v[2:3], 0, 2
	v_lshl_add_u64 v[12:13], v[12:13], 0, 2
	s_and_b64 s[30:31], s[36:37], exec
	s_andn2_b64 s[28:29], s[28:29], exec
	s_orn2_b64 s[34:35], s[4:5], exec
	s_branch .LBB1124_724
.LBB1124_729:                           ;   in Loop: Header=BB1124_682 Depth=1
	s_or_b64 exec, exec, s[24:25]
	s_xor_b64 s[4:5], s[26:27], -1
	s_andn2_b64 s[6:7], s[6:7], exec
	s_and_b64 s[4:5], s[4:5], exec
	s_or_b64 s[6:7], s[6:7], s[4:5]
.LBB1124_730:                           ;   in Loop: Header=BB1124_682 Depth=1
	s_or_b64 exec, exec, s[22:23]
	s_orn2_b64 s[6:7], s[6:7], exec
.LBB1124_731:                           ;   in Loop: Header=BB1124_682 Depth=1
	s_or_b64 exec, exec, s[20:21]
	v_cndmask_b32_e64 v2, v16, v17, s[6:7]
	v_cndmask_b32_e64 v3, v96, v31, s[6:7]
	v_add_u32_e32 v12, 1, v2
	v_add_u32_e32 v2, -1, v3
	v_min_u32_e32 v54, v12, v2
	v_lshl_add_u64 v[2:3], v[54:55], 3, v[10:11]
	flat_load_dwordx2 v[2:3], v[2:3]
	v_cndmask_b32_e64 v16, v12, v16, s[6:7]
	s_mov_b64 s[20:21], -1
	v_cndmask_b32_e64 v17, v17, v12, s[6:7]
	v_cmp_lt_u32_e64 s[4:5], v16, v96
	s_mov_b64 s[22:23], -1
	s_waitcnt vmcnt(0) lgkmcnt(0)
	v_cndmask_b32_e64 v18, v3, v70, s[6:7]
	v_cndmask_b32_e64 v82, v2, v71, s[6:7]
	;; [unrolled: 1-line block ×4, first 2 shown]
	s_and_saveexec_b64 s[24:25], s[4:5]
	s_cbranch_execz .LBB1124_741
; %bb.732:                              ;   in Loop: Header=BB1124_682 Depth=1
	v_cmp_lt_u32_e64 s[22:23], v17, v31
	s_xor_b64 s[4:5], s[0:1], -1
	s_and_b64 s[4:5], s[22:23], s[4:5]
	s_and_saveexec_b64 s[26:27], s[4:5]
	s_cbranch_execz .LBB1124_740
; %bb.733:                              ;   in Loop: Header=BB1124_682 Depth=1
	v_mad_u64_u32 v[2:3], s[4:5], v66, v83, v[8:9]
	v_mul_lo_u32 v12, v66, v19
	v_mul_lo_u32 v13, v67, v83
	v_add3_u32 v3, v13, v3, v12
	v_mad_u64_u32 v[12:13], s[4:5], v66, v82, v[8:9]
	v_mul_lo_u32 v14, v66, v18
	v_mul_lo_u32 v15, v67, v82
	v_add3_u32 v13, v15, v13, v14
	s_mov_b64 s[28:29], 0
	v_mov_b64_e32 v[14:15], v[6:7]
                                        ; implicit-def: $sgpr30_sgpr31
                                        ; implicit-def: $sgpr34_sgpr35
                                        ; implicit-def: $sgpr36_sgpr37
	s_branch .LBB1124_735
.LBB1124_734:                           ;   in Loop: Header=BB1124_735 Depth=2
	s_or_b64 exec, exec, s[44:45]
	s_and_b64 s[4:5], exec, s[38:39]
	s_or_b64 s[28:29], s[4:5], s[28:29]
	s_andn2_b64 s[4:5], s[30:31], exec
	s_and_b64 s[30:31], s[34:35], exec
	s_or_b64 s[30:31], s[4:5], s[30:31]
	s_andn2_b64 exec, exec, s[28:29]
	s_cbranch_execz .LBB1124_739
.LBB1124_735:                           ;   Parent Loop BB1124_682 Depth=1
                                        ; =>  This Inner Loop Header: Depth=2
	flat_load_ushort v54, v[12:13]
	flat_load_ushort v84, v[2:3]
	s_mov_b64 s[38:39], -1
	s_mov_b64 s[42:43], 0
	s_mov_b64 s[40:41], -1
	s_waitcnt vmcnt(0) lgkmcnt(0)
	v_lshlrev_b32_e32 v54, 16, v54
	v_lshlrev_b32_e32 v84, 16, v84
	v_cmp_nlt_f32_e64 s[4:5], v54, v84
	s_and_saveexec_b64 s[44:45], s[4:5]
; %bb.736:                              ;   in Loop: Header=BB1124_735 Depth=2
	v_cmp_ngt_f32_e64 s[4:5], v54, v84
	s_and_b64 s[36:37], s[4:5], s[36:37]
	s_orn2_b64 s[40:41], s[36:37], exec
	s_and_b64 s[42:43], s[4:5], exec
; %bb.737:                              ;   in Loop: Header=BB1124_735 Depth=2
	s_or_b64 exec, exec, s[44:45]
	s_andn2_b64 s[4:5], s[34:35], exec
	s_and_b64 s[34:35], s[40:41], exec
	s_or_b64 s[34:35], s[4:5], s[34:35]
                                        ; implicit-def: $sgpr36_sgpr37
	s_and_saveexec_b64 s[44:45], s[42:43]
	s_cbranch_execz .LBB1124_734
; %bb.738:                              ;   in Loop: Header=BB1124_735 Depth=2
	v_lshl_add_u64 v[14:15], v[14:15], 0, -1
	v_cmp_eq_u64_e64 s[4:5], 0, v[14:15]
	v_lshl_add_u64 v[2:3], v[2:3], 0, 2
	v_lshl_add_u64 v[12:13], v[12:13], 0, 2
	s_and_b64 s[36:37], s[40:41], exec
	s_andn2_b64 s[34:35], s[34:35], exec
	s_orn2_b64 s[38:39], s[4:5], exec
	s_branch .LBB1124_734
.LBB1124_739:                           ;   in Loop: Header=BB1124_682 Depth=1
	s_or_b64 exec, exec, s[28:29]
	s_xor_b64 s[4:5], s[30:31], -1
	s_andn2_b64 s[22:23], s[22:23], exec
	s_and_b64 s[4:5], s[4:5], exec
	s_or_b64 s[22:23], s[22:23], s[4:5]
.LBB1124_740:                           ;   in Loop: Header=BB1124_682 Depth=1
	s_or_b64 exec, exec, s[26:27]
	s_orn2_b64 s[22:23], s[22:23], exec
.LBB1124_741:                           ;   in Loop: Header=BB1124_682 Depth=1
	s_or_b64 exec, exec, s[24:25]
	v_cndmask_b32_e64 v2, v16, v17, s[22:23]
	v_cndmask_b32_e64 v3, v96, v31, s[22:23]
	v_add_u32_e32 v12, 1, v2
	v_add_u32_e32 v2, -1, v3
	v_min_u32_e32 v54, v12, v2
	v_lshl_add_u64 v[2:3], v[54:55], 3, v[10:11]
	flat_load_dwordx2 v[2:3], v[2:3]
	v_cndmask_b32_e64 v16, v12, v16, s[22:23]
	v_cndmask_b32_e64 v17, v17, v12, s[22:23]
	v_cmp_lt_u32_e64 s[4:5], v16, v96
	s_waitcnt vmcnt(0) lgkmcnt(0)
	v_cndmask_b32_e64 v84, v3, v18, s[22:23]
	v_cndmask_b32_e64 v85, v2, v82, s[22:23]
	;; [unrolled: 1-line block ×4, first 2 shown]
	s_and_saveexec_b64 s[24:25], s[4:5]
	s_cbranch_execz .LBB1124_751
; %bb.742:                              ;   in Loop: Header=BB1124_682 Depth=1
	v_cmp_lt_u32_e64 s[20:21], v17, v31
	s_xor_b64 s[4:5], s[0:1], -1
	s_and_b64 s[4:5], s[20:21], s[4:5]
	s_and_saveexec_b64 s[26:27], s[4:5]
	s_cbranch_execz .LBB1124_750
; %bb.743:                              ;   in Loop: Header=BB1124_682 Depth=1
	v_mad_u64_u32 v[2:3], s[4:5], v66, v87, v[8:9]
	v_mul_lo_u32 v12, v66, v86
	v_mul_lo_u32 v13, v67, v87
	v_add3_u32 v3, v13, v3, v12
	v_mad_u64_u32 v[12:13], s[4:5], v66, v85, v[8:9]
	v_mul_lo_u32 v14, v66, v84
	v_mul_lo_u32 v15, v67, v85
	v_add3_u32 v13, v15, v13, v14
	s_mov_b64 s[28:29], 0
	v_mov_b64_e32 v[14:15], v[6:7]
                                        ; implicit-def: $sgpr30_sgpr31
                                        ; implicit-def: $sgpr34_sgpr35
                                        ; implicit-def: $sgpr36_sgpr37
	s_branch .LBB1124_745
.LBB1124_744:                           ;   in Loop: Header=BB1124_745 Depth=2
	s_or_b64 exec, exec, s[44:45]
	s_and_b64 s[4:5], exec, s[38:39]
	s_or_b64 s[28:29], s[4:5], s[28:29]
	s_andn2_b64 s[4:5], s[30:31], exec
	s_and_b64 s[30:31], s[34:35], exec
	s_or_b64 s[30:31], s[4:5], s[30:31]
	s_andn2_b64 exec, exec, s[28:29]
	s_cbranch_execz .LBB1124_749
.LBB1124_745:                           ;   Parent Loop BB1124_682 Depth=1
                                        ; =>  This Inner Loop Header: Depth=2
	flat_load_ushort v54, v[12:13]
	flat_load_ushort v97, v[2:3]
	s_mov_b64 s[38:39], -1
	s_mov_b64 s[42:43], 0
	s_mov_b64 s[40:41], -1
	s_waitcnt vmcnt(0) lgkmcnt(0)
	v_lshlrev_b32_e32 v54, 16, v54
	v_lshlrev_b32_e32 v97, 16, v97
	v_cmp_nlt_f32_e64 s[4:5], v54, v97
	s_and_saveexec_b64 s[44:45], s[4:5]
; %bb.746:                              ;   in Loop: Header=BB1124_745 Depth=2
	v_cmp_ngt_f32_e64 s[4:5], v54, v97
	s_and_b64 s[36:37], s[4:5], s[36:37]
	s_orn2_b64 s[40:41], s[36:37], exec
	s_and_b64 s[42:43], s[4:5], exec
; %bb.747:                              ;   in Loop: Header=BB1124_745 Depth=2
	s_or_b64 exec, exec, s[44:45]
	s_andn2_b64 s[4:5], s[34:35], exec
	s_and_b64 s[34:35], s[40:41], exec
	s_or_b64 s[34:35], s[4:5], s[34:35]
                                        ; implicit-def: $sgpr36_sgpr37
	s_and_saveexec_b64 s[44:45], s[42:43]
	s_cbranch_execz .LBB1124_744
; %bb.748:                              ;   in Loop: Header=BB1124_745 Depth=2
	v_lshl_add_u64 v[14:15], v[14:15], 0, -1
	v_cmp_eq_u64_e64 s[4:5], 0, v[14:15]
	v_lshl_add_u64 v[2:3], v[2:3], 0, 2
	v_lshl_add_u64 v[12:13], v[12:13], 0, 2
	s_and_b64 s[36:37], s[40:41], exec
	s_andn2_b64 s[34:35], s[34:35], exec
	s_orn2_b64 s[38:39], s[4:5], exec
	s_branch .LBB1124_744
.LBB1124_749:                           ;   in Loop: Header=BB1124_682 Depth=1
	s_or_b64 exec, exec, s[28:29]
	s_xor_b64 s[4:5], s[30:31], -1
	s_andn2_b64 s[20:21], s[20:21], exec
	s_and_b64 s[4:5], s[4:5], exec
	s_or_b64 s[20:21], s[20:21], s[4:5]
.LBB1124_750:                           ;   in Loop: Header=BB1124_682 Depth=1
	s_or_b64 exec, exec, s[26:27]
	s_orn2_b64 s[20:21], s[20:21], exec
.LBB1124_751:                           ;   in Loop: Header=BB1124_682 Depth=1
	s_or_b64 exec, exec, s[24:25]
	v_cndmask_b32_e64 v2, v16, v17, s[20:21]
	v_cndmask_b32_e64 v3, v96, v31, s[20:21]
	v_add_u32_e32 v12, 1, v2
	v_add_u32_e32 v2, -1, v3
	v_min_u32_e32 v54, v12, v2
	v_lshl_add_u64 v[2:3], v[54:55], 3, v[10:11]
	flat_load_dwordx2 v[2:3], v[2:3]
	v_cndmask_b32_e64 v16, v12, v16, s[20:21]
	s_mov_b64 s[24:25], -1
	v_cndmask_b32_e64 v17, v17, v12, s[20:21]
	v_cmp_lt_u32_e64 s[4:5], v16, v96
	s_mov_b64 s[26:27], -1
	s_waitcnt vmcnt(0) lgkmcnt(0)
	v_cndmask_b32_e64 v97, v3, v84, s[20:21]
	v_cndmask_b32_e64 v98, v2, v85, s[20:21]
	;; [unrolled: 1-line block ×4, first 2 shown]
	s_and_saveexec_b64 s[28:29], s[4:5]
	s_cbranch_execz .LBB1124_761
; %bb.752:                              ;   in Loop: Header=BB1124_682 Depth=1
	v_cmp_lt_u32_e64 s[26:27], v17, v31
	s_xor_b64 s[4:5], s[0:1], -1
	s_and_b64 s[4:5], s[26:27], s[4:5]
	s_and_saveexec_b64 s[30:31], s[4:5]
	s_cbranch_execz .LBB1124_760
; %bb.753:                              ;   in Loop: Header=BB1124_682 Depth=1
	v_mad_u64_u32 v[2:3], s[4:5], v66, v100, v[8:9]
	v_mul_lo_u32 v12, v66, v99
	v_mul_lo_u32 v13, v67, v100
	v_add3_u32 v3, v13, v3, v12
	v_mad_u64_u32 v[12:13], s[4:5], v66, v98, v[8:9]
	v_mul_lo_u32 v14, v66, v97
	v_mul_lo_u32 v15, v67, v98
	v_add3_u32 v13, v15, v13, v14
	s_mov_b64 s[34:35], 0
	v_mov_b64_e32 v[14:15], v[6:7]
                                        ; implicit-def: $sgpr36_sgpr37
                                        ; implicit-def: $sgpr38_sgpr39
                                        ; implicit-def: $sgpr40_sgpr41
	s_branch .LBB1124_755
.LBB1124_754:                           ;   in Loop: Header=BB1124_755 Depth=2
	s_or_b64 exec, exec, s[48:49]
	s_and_b64 s[4:5], exec, s[42:43]
	s_or_b64 s[34:35], s[4:5], s[34:35]
	s_andn2_b64 s[4:5], s[36:37], exec
	s_and_b64 s[36:37], s[38:39], exec
	s_or_b64 s[36:37], s[4:5], s[36:37]
	s_andn2_b64 exec, exec, s[34:35]
	s_cbranch_execz .LBB1124_759
.LBB1124_755:                           ;   Parent Loop BB1124_682 Depth=1
                                        ; =>  This Inner Loop Header: Depth=2
	flat_load_ushort v54, v[12:13]
	flat_load_ushort v101, v[2:3]
	s_mov_b64 s[42:43], -1
	s_mov_b64 s[46:47], 0
	s_mov_b64 s[44:45], -1
	s_waitcnt vmcnt(0) lgkmcnt(0)
	v_lshlrev_b32_e32 v54, 16, v54
	v_lshlrev_b32_e32 v101, 16, v101
	v_cmp_nlt_f32_e64 s[4:5], v54, v101
	s_and_saveexec_b64 s[48:49], s[4:5]
; %bb.756:                              ;   in Loop: Header=BB1124_755 Depth=2
	v_cmp_ngt_f32_e64 s[4:5], v54, v101
	s_and_b64 s[40:41], s[4:5], s[40:41]
	s_orn2_b64 s[44:45], s[40:41], exec
	s_and_b64 s[46:47], s[4:5], exec
; %bb.757:                              ;   in Loop: Header=BB1124_755 Depth=2
	s_or_b64 exec, exec, s[48:49]
	s_andn2_b64 s[4:5], s[38:39], exec
	s_and_b64 s[38:39], s[44:45], exec
	s_or_b64 s[38:39], s[4:5], s[38:39]
                                        ; implicit-def: $sgpr40_sgpr41
	s_and_saveexec_b64 s[48:49], s[46:47]
	s_cbranch_execz .LBB1124_754
; %bb.758:                              ;   in Loop: Header=BB1124_755 Depth=2
	v_lshl_add_u64 v[14:15], v[14:15], 0, -1
	v_cmp_eq_u64_e64 s[4:5], 0, v[14:15]
	v_lshl_add_u64 v[2:3], v[2:3], 0, 2
	v_lshl_add_u64 v[12:13], v[12:13], 0, 2
	s_and_b64 s[40:41], s[44:45], exec
	s_andn2_b64 s[38:39], s[38:39], exec
	s_orn2_b64 s[42:43], s[4:5], exec
	s_branch .LBB1124_754
.LBB1124_759:                           ;   in Loop: Header=BB1124_682 Depth=1
	s_or_b64 exec, exec, s[34:35]
	s_xor_b64 s[4:5], s[36:37], -1
	s_andn2_b64 s[26:27], s[26:27], exec
	s_and_b64 s[4:5], s[4:5], exec
	s_or_b64 s[26:27], s[26:27], s[4:5]
.LBB1124_760:                           ;   in Loop: Header=BB1124_682 Depth=1
	s_or_b64 exec, exec, s[30:31]
	s_orn2_b64 s[26:27], s[26:27], exec
.LBB1124_761:                           ;   in Loop: Header=BB1124_682 Depth=1
	s_or_b64 exec, exec, s[28:29]
	v_cndmask_b32_e64 v2, v16, v17, s[26:27]
	v_cndmask_b32_e64 v3, v96, v31, s[26:27]
	v_add_u32_e32 v12, 1, v2
	v_add_u32_e32 v2, -1, v3
	v_min_u32_e32 v54, v12, v2
	v_lshl_add_u64 v[2:3], v[54:55], 3, v[10:11]
	flat_load_dwordx2 v[2:3], v[2:3]
	v_cndmask_b32_e64 v113, v12, v16, s[26:27]
	v_cndmask_b32_e64 v16, v17, v12, s[26:27]
	v_cmp_lt_u32_e64 s[4:5], v113, v96
	s_waitcnt vmcnt(0) lgkmcnt(0)
	v_cndmask_b32_e64 v101, v3, v97, s[26:27]
	v_cndmask_b32_e64 v102, v2, v98, s[26:27]
	;; [unrolled: 1-line block ×4, first 2 shown]
	s_and_saveexec_b64 s[28:29], s[4:5]
	s_cbranch_execz .LBB1124_771
; %bb.762:                              ;   in Loop: Header=BB1124_682 Depth=1
	v_cmp_lt_u32_e64 s[24:25], v16, v31
	s_xor_b64 s[4:5], s[0:1], -1
	s_and_b64 s[4:5], s[24:25], s[4:5]
	s_and_saveexec_b64 s[30:31], s[4:5]
	s_cbranch_execz .LBB1124_770
; %bb.763:                              ;   in Loop: Header=BB1124_682 Depth=1
	v_mad_u64_u32 v[2:3], s[4:5], v66, v112, v[8:9]
	v_mul_lo_u32 v12, v66, v103
	v_mul_lo_u32 v13, v67, v112
	v_add3_u32 v3, v13, v3, v12
	v_mad_u64_u32 v[12:13], s[4:5], v66, v102, v[8:9]
	v_mul_lo_u32 v14, v66, v101
	v_mul_lo_u32 v15, v67, v102
	v_add3_u32 v13, v15, v13, v14
	s_mov_b64 s[34:35], 0
	v_mov_b64_e32 v[14:15], v[6:7]
                                        ; implicit-def: $sgpr36_sgpr37
                                        ; implicit-def: $sgpr38_sgpr39
                                        ; implicit-def: $sgpr40_sgpr41
	s_branch .LBB1124_765
.LBB1124_764:                           ;   in Loop: Header=BB1124_765 Depth=2
	s_or_b64 exec, exec, s[48:49]
	s_and_b64 s[4:5], exec, s[42:43]
	s_or_b64 s[34:35], s[4:5], s[34:35]
	s_andn2_b64 s[4:5], s[36:37], exec
	s_and_b64 s[36:37], s[38:39], exec
	s_or_b64 s[36:37], s[4:5], s[36:37]
	s_andn2_b64 exec, exec, s[34:35]
	s_cbranch_execz .LBB1124_769
.LBB1124_765:                           ;   Parent Loop BB1124_682 Depth=1
                                        ; =>  This Inner Loop Header: Depth=2
	flat_load_ushort v17, v[12:13]
	flat_load_ushort v54, v[2:3]
	s_mov_b64 s[42:43], -1
	s_mov_b64 s[46:47], 0
	s_mov_b64 s[44:45], -1
	s_waitcnt vmcnt(0) lgkmcnt(0)
	v_lshlrev_b32_e32 v17, 16, v17
	v_lshlrev_b32_e32 v54, 16, v54
	v_cmp_nlt_f32_e64 s[4:5], v17, v54
	s_and_saveexec_b64 s[48:49], s[4:5]
; %bb.766:                              ;   in Loop: Header=BB1124_765 Depth=2
	v_cmp_ngt_f32_e64 s[4:5], v17, v54
	s_and_b64 s[40:41], s[4:5], s[40:41]
	s_orn2_b64 s[44:45], s[40:41], exec
	s_and_b64 s[46:47], s[4:5], exec
; %bb.767:                              ;   in Loop: Header=BB1124_765 Depth=2
	s_or_b64 exec, exec, s[48:49]
	s_andn2_b64 s[4:5], s[38:39], exec
	s_and_b64 s[38:39], s[44:45], exec
	s_or_b64 s[38:39], s[4:5], s[38:39]
                                        ; implicit-def: $sgpr40_sgpr41
	s_and_saveexec_b64 s[48:49], s[46:47]
	s_cbranch_execz .LBB1124_764
; %bb.768:                              ;   in Loop: Header=BB1124_765 Depth=2
	v_lshl_add_u64 v[14:15], v[14:15], 0, -1
	v_cmp_eq_u64_e64 s[4:5], 0, v[14:15]
	v_lshl_add_u64 v[2:3], v[2:3], 0, 2
	v_lshl_add_u64 v[12:13], v[12:13], 0, 2
	s_and_b64 s[40:41], s[44:45], exec
	s_andn2_b64 s[38:39], s[38:39], exec
	s_orn2_b64 s[42:43], s[4:5], exec
	s_branch .LBB1124_764
.LBB1124_769:                           ;   in Loop: Header=BB1124_682 Depth=1
	s_or_b64 exec, exec, s[34:35]
	s_xor_b64 s[4:5], s[36:37], -1
	s_andn2_b64 s[24:25], s[24:25], exec
	s_and_b64 s[4:5], s[4:5], exec
	s_or_b64 s[24:25], s[24:25], s[4:5]
.LBB1124_770:                           ;   in Loop: Header=BB1124_682 Depth=1
	s_or_b64 exec, exec, s[30:31]
	s_orn2_b64 s[24:25], s[24:25], exec
.LBB1124_771:                           ;   in Loop: Header=BB1124_682 Depth=1
	s_or_b64 exec, exec, s[28:29]
	v_cndmask_b32_e64 v2, v113, v16, s[24:25]
	v_cndmask_b32_e64 v3, v96, v31, s[24:25]
	v_add_u32_e32 v14, 1, v2
	v_add_u32_e32 v2, -1, v3
	v_min_u32_e32 v54, v14, v2
	v_lshl_add_u64 v[2:3], v[54:55], 3, v[10:11]
	flat_load_dwordx2 v[12:13], v[2:3]
	v_cndmask_b32_e64 v15, v14, v113, s[24:25]
	v_cmp_lt_u32_e64 s[4:5], v15, v96
	s_waitcnt vmcnt(0) lgkmcnt(0)
	v_cndmask_b32_e64 v3, v103, v13, s[24:25]
	v_cndmask_b32_e64 v2, v112, v12, s[24:25]
	s_and_saveexec_b64 s[28:29], s[4:5]
	s_cbranch_execz .LBB1124_781
; %bb.772:                              ;   in Loop: Header=BB1124_682 Depth=1
	v_cndmask_b32_e64 v96, v12, v102, s[24:25]
	v_cndmask_b32_e64 v12, v16, v14, s[24:25]
	v_cmp_ge_u32_e64 s[4:5], v12, v31
	v_cndmask_b32_e64 v54, v13, v101, s[24:25]
	s_or_b64 s[30:31], s[4:5], s[0:1]
	v_cndmask_b32_e64 v13, v3, v54, s[4:5]
	s_xor_b64 s[34:35], s[30:31], -1
	v_cndmask_b32_e64 v12, v2, v96, s[4:5]
	s_and_saveexec_b64 s[30:31], s[34:35]
	s_cbranch_execz .LBB1124_780
; %bb.773:                              ;   in Loop: Header=BB1124_682 Depth=1
	v_mad_u64_u32 v[12:13], s[4:5], v66, v2, v[8:9]
	v_mul_lo_u32 v14, v66, v3
	v_mul_lo_u32 v15, v67, v2
	v_add3_u32 v13, v15, v13, v14
	v_mad_u64_u32 v[14:15], s[4:5], v66, v96, v[8:9]
	v_mul_lo_u32 v16, v66, v54
	v_mul_lo_u32 v17, v67, v96
	v_add3_u32 v15, v17, v15, v16
	s_mov_b64 s[34:35], 0
	v_mov_b64_e32 v[16:17], v[6:7]
                                        ; implicit-def: $sgpr36_sgpr37
                                        ; implicit-def: $sgpr38_sgpr39
                                        ; implicit-def: $sgpr40_sgpr41
	s_branch .LBB1124_775
.LBB1124_774:                           ;   in Loop: Header=BB1124_775 Depth=2
	s_or_b64 exec, exec, s[48:49]
	s_and_b64 s[4:5], exec, s[42:43]
	s_or_b64 s[34:35], s[4:5], s[34:35]
	s_andn2_b64 s[4:5], s[36:37], exec
	s_and_b64 s[36:37], s[38:39], exec
	s_or_b64 s[36:37], s[4:5], s[36:37]
	s_andn2_b64 exec, exec, s[34:35]
	s_cbranch_execz .LBB1124_779
.LBB1124_775:                           ;   Parent Loop BB1124_682 Depth=1
                                        ; =>  This Inner Loop Header: Depth=2
	flat_load_ushort v31, v[14:15]
	flat_load_ushort v113, v[12:13]
	s_mov_b64 s[42:43], -1
	s_mov_b64 s[46:47], 0
	s_mov_b64 s[44:45], -1
	s_waitcnt vmcnt(0) lgkmcnt(0)
	v_lshlrev_b32_e32 v31, 16, v31
	v_lshlrev_b32_e32 v113, 16, v113
	v_cmp_nlt_f32_e64 s[4:5], v31, v113
	s_and_saveexec_b64 s[48:49], s[4:5]
; %bb.776:                              ;   in Loop: Header=BB1124_775 Depth=2
	v_cmp_ngt_f32_e64 s[4:5], v31, v113
	s_and_b64 s[40:41], s[4:5], s[40:41]
	s_orn2_b64 s[44:45], s[40:41], exec
	s_and_b64 s[46:47], s[4:5], exec
; %bb.777:                              ;   in Loop: Header=BB1124_775 Depth=2
	s_or_b64 exec, exec, s[48:49]
	s_andn2_b64 s[4:5], s[38:39], exec
	s_and_b64 s[38:39], s[44:45], exec
	s_or_b64 s[38:39], s[4:5], s[38:39]
                                        ; implicit-def: $sgpr40_sgpr41
	s_and_saveexec_b64 s[48:49], s[46:47]
	s_cbranch_execz .LBB1124_774
; %bb.778:                              ;   in Loop: Header=BB1124_775 Depth=2
	v_lshl_add_u64 v[16:17], v[16:17], 0, -1
	v_cmp_eq_u64_e64 s[4:5], 0, v[16:17]
	v_lshl_add_u64 v[12:13], v[12:13], 0, 2
	v_lshl_add_u64 v[14:15], v[14:15], 0, 2
	s_and_b64 s[40:41], s[44:45], exec
	s_andn2_b64 s[38:39], s[38:39], exec
	s_orn2_b64 s[42:43], s[4:5], exec
	s_branch .LBB1124_774
.LBB1124_779:                           ;   in Loop: Header=BB1124_682 Depth=1
	s_or_b64 exec, exec, s[34:35]
	v_cndmask_b32_e64 v13, v3, v54, s[36:37]
	v_cndmask_b32_e64 v12, v2, v96, s[36:37]
.LBB1124_780:                           ;   in Loop: Header=BB1124_682 Depth=1
	s_or_b64 exec, exec, s[30:31]
	v_mov_b64_e32 v[2:3], v[12:13]
.LBB1124_781:                           ;   in Loop: Header=BB1124_682 Depth=1
	s_or_b64 exec, exec, s[28:29]
	v_cndmask_b32_e64 v15, v97, v99, s[26:27]
	v_cndmask_b32_e64 v14, v98, v100, s[26:27]
	;; [unrolled: 1-line block ×14, first 2 shown]
.LBB1124_782:                           ;   in Loop: Header=BB1124_682 Depth=1
	s_or_b64 exec, exec, s[14:15]
	s_cmpk_lt_u32 s50, 0x400
	s_barrier
	s_cbranch_scc0 .LBB1124_784
; %bb.783:                              ;   in Loop: Header=BB1124_682 Depth=1
	s_mov_b32 s50, s51
	s_branch .LBB1124_682
.LBB1124_784:
	s_barrier
	flat_store_dwordx4 v[52:53], v[20:23]
	flat_store_dwordx4 v[52:53], v[16:19] offset:16
	flat_store_dwordx4 v[52:53], v[12:15] offset:32
	;; [unrolled: 1-line block ×3, first 2 shown]
	s_waitcnt lgkmcnt(0)
	s_barrier
	flat_load_dwordx2 v[0:1], v[24:25]
	flat_load_dwordx2 v[2:3], v[36:37] offset:2048
	flat_load_dwordx2 v[6:7], v[32:33]
	flat_load_dwordx2 v[8:9], v[26:27]
	;; [unrolled: 1-line block ×6, first 2 shown]
	v_mov_b32_e32 v31, 0
	s_movk_i32 s0, 0x1000
	v_lshl_add_u64 v[18:19], v[4:5], 0, v[30:31]
	v_add_co_u32_e32 v20, vcc, s0, v18
	s_mov_b64 s[22:23], exec
	s_nop 0
	v_addc_co_u32_e32 v21, vcc, 0, v19, vcc
	v_add_co_u32_e32 v22, vcc, 0x2000, v18
                                        ; implicit-def: $vgpr64
                                        ; implicit-def: $vgpr65
                                        ; implicit-def: $vgpr30
                                        ; implicit-def: $vgpr32
	s_nop 1
	v_addc_co_u32_e32 v23, vcc, 0, v19, vcc
	v_add_co_u32_e32 v24, vcc, 0x3000, v18
	s_nop 1
	v_addc_co_u32_e32 v25, vcc, 0, v19, vcc
	s_waitcnt vmcnt(0) lgkmcnt(0)
	flat_store_dwordx2 v[18:19], v[0:1]
	flat_store_dwordx2 v[18:19], v[2:3] offset:2048
	flat_store_dwordx2 v[20:21], v[6:7]
	flat_store_dwordx2 v[20:21], v[8:9] offset:2048
	;; [unrolled: 2-line block ×3, first 2 shown]
	flat_store_dwordx2 v[24:25], v[16:17]
                                        ; implicit-def: $vgpr0
                                        ; implicit-def: $vgpr6_vgpr7
                                        ; implicit-def: $vgpr2_vgpr3
                                        ; implicit-def: $vgpr8_vgpr9
                                        ; implicit-def: $vgpr10_vgpr11
                                        ; implicit-def: $vgpr1
	s_andn2_saveexec_b64 s[24:25], s[10:11]
	s_cbranch_execz .LBB1124_2
.LBB1124_785:
	v_cmp_lt_u32_e32 vcc, v28, v0
                                        ; implicit-def: $vgpr12_vgpr13
	s_and_saveexec_b64 s[0:1], vcc
	s_cbranch_execz .LBB1124_787
; %bb.786:
	v_mov_b32_e32 v31, 0
	v_lshl_add_u64 v[12:13], v[2:3], 0, v[30:31]
	flat_load_dwordx2 v[12:13], v[12:13]
.LBB1124_787:
	s_or_b64 exec, exec, s[0:1]
	v_add_u32_e32 v33, 0x100, v28
	v_cmp_lt_u32_e64 s[0:1], v33, v0
                                        ; implicit-def: $vgpr14_vgpr15
	s_and_saveexec_b64 s[2:3], s[0:1]
	s_cbranch_execz .LBB1124_789
; %bb.788:
	v_mov_b32_e32 v31, 0
	v_lshl_add_u64 v[14:15], v[2:3], 0, v[30:31]
	flat_load_dwordx2 v[14:15], v[14:15] offset:2048
.LBB1124_789:
	s_or_b64 exec, exec, s[2:3]
	v_add_u32_e32 v31, 0x200, v28
	v_cmp_lt_u32_e64 s[2:3], v31, v0
                                        ; implicit-def: $vgpr16_vgpr17
	s_and_saveexec_b64 s[4:5], s[2:3]
	s_cbranch_execz .LBB1124_791
; %bb.790:
	v_lshlrev_b32_e32 v16, 3, v31
	v_mov_b32_e32 v17, 0
	v_lshl_add_u64 v[16:17], v[2:3], 0, v[16:17]
	flat_load_dwordx2 v[16:17], v[16:17]
.LBB1124_791:
	s_or_b64 exec, exec, s[4:5]
	v_add_u32_e32 v36, 0x300, v28
	v_cmp_lt_u32_e64 s[4:5], v36, v0
                                        ; implicit-def: $vgpr18_vgpr19
	s_and_saveexec_b64 s[6:7], s[4:5]
	s_cbranch_execz .LBB1124_793
; %bb.792:
	v_lshlrev_b32_e32 v18, 3, v36
	v_mov_b32_e32 v19, 0
	v_lshl_add_u64 v[18:19], v[2:3], 0, v[18:19]
	flat_load_dwordx2 v[18:19], v[18:19]
.LBB1124_793:
	s_or_b64 exec, exec, s[6:7]
	v_or_b32_e32 v38, 0x400, v28
	v_cmp_lt_u32_e64 s[6:7], v38, v0
                                        ; implicit-def: $vgpr20_vgpr21
	s_and_saveexec_b64 s[10:11], s[6:7]
	s_cbranch_execz .LBB1124_795
; %bb.794:
	v_lshlrev_b32_e32 v20, 3, v38
	v_mov_b32_e32 v21, 0
	v_lshl_add_u64 v[20:21], v[2:3], 0, v[20:21]
	flat_load_dwordx2 v[20:21], v[20:21]
.LBB1124_795:
	s_or_b64 exec, exec, s[10:11]
	v_add_u32_e32 v48, 0x500, v28
	v_cmp_lt_u32_e64 s[10:11], v48, v0
                                        ; implicit-def: $vgpr22_vgpr23
	s_and_saveexec_b64 s[14:15], s[10:11]
	s_cbranch_execz .LBB1124_797
; %bb.796:
	v_lshlrev_b32_e32 v22, 3, v48
	v_mov_b32_e32 v23, 0
	v_lshl_add_u64 v[22:23], v[2:3], 0, v[22:23]
	flat_load_dwordx2 v[22:23], v[22:23]
.LBB1124_797:
	s_or_b64 exec, exec, s[14:15]
	v_add_u32_e32 v50, 0x600, v28
	v_cmp_lt_u32_e64 s[20:21], v50, v0
                                        ; implicit-def: $vgpr24_vgpr25
	s_and_saveexec_b64 s[14:15], s[20:21]
	s_cbranch_execz .LBB1124_799
; %bb.798:
	v_lshlrev_b32_e32 v24, 3, v50
	v_mov_b32_e32 v25, 0
	v_lshl_add_u64 v[24:25], v[2:3], 0, v[24:25]
	flat_load_dwordx2 v[24:25], v[24:25]
.LBB1124_799:
	s_or_b64 exec, exec, s[14:15]
	v_add_u32_e32 v52, 0x700, v28
	v_cmp_lt_u32_e64 s[14:15], v52, v0
                                        ; implicit-def: $vgpr26_vgpr27
	s_and_saveexec_b64 s[16:17], s[14:15]
	s_cbranch_execz .LBB1124_801
; %bb.800:
	v_lshlrev_b32_e32 v26, 3, v52
	v_mov_b32_e32 v27, 0
	v_lshl_add_u64 v[2:3], v[2:3], 0, v[26:27]
	flat_load_dwordx2 v[26:27], v[2:3]
.LBB1124_801:
	s_or_b64 exec, exec, s[16:17]
	v_mov_b32_e32 v29, 0
	v_add_lshl_u32 v2, v32, v28, 3
	v_mov_b32_e32 v3, v29
	v_lshl_add_u64 v[2:3], v[10:11], 0, v[2:3]
	s_waitcnt vmcnt(0) lgkmcnt(0)
	flat_store_dwordx2 v[2:3], v[12:13]
	v_lshrrev_b32_e32 v12, 5, v33
	v_add_lshl_u32 v12, v12, v28, 3
	v_mov_b32_e32 v13, v29
	v_lshl_add_u64 v[32:33], v[10:11], 0, v[12:13]
	v_lshrrev_b32_e32 v12, 5, v31
	v_add_lshl_u32 v12, v12, v31, 3
	v_lshl_add_u64 v[34:35], v[10:11], 0, v[12:13]
	v_lshrrev_b32_e32 v12, 5, v36
	v_add_lshl_u32 v12, v12, v36, 3
	;; [unrolled: 3-line block ×6, first 2 shown]
	v_lshl_add_u64 v[52:53], v[10:11], 0, v[12:13]
	v_add_lshl_u32 v12, v1, v30, 3
	v_lshl_add_u64 v[54:55], v[10:11], 0, v[12:13]
	flat_store_dwordx2 v[32:33], v[14:15] offset:2048
	flat_store_dwordx2 v[34:35], v[16:17]
	flat_store_dwordx2 v[36:37], v[18:19]
	;; [unrolled: 1-line block ×6, first 2 shown]
	s_waitcnt lgkmcnt(0)
	s_barrier
	flat_load_dwordx4 v[24:27], v[54:55]
	flat_load_dwordx4 v[20:23], v[54:55] offset:16
	flat_load_dwordx4 v[16:19], v[54:55] offset:32
	;; [unrolled: 1-line block ×3, first 2 shown]
	s_waitcnt lgkmcnt(0)
	s_barrier
	s_load_dwordx2 s[16:17], s[8:9], 0x0
	s_mov_b64 s[28:29], 0
	s_waitcnt lgkmcnt(0)
	s_cmp_lt_u32 s12, s16
	s_cselect_b32 s16, 12, 18
	s_cmp_lt_u32 s13, s17
	s_cselect_b32 s12, 14, 20
	s_add_u32 s12, s8, s12
	s_addc_u32 s13, s9, 0
	s_add_u32 s8, s8, s16
	s_addc_u32 s9, s9, 0
	global_load_ushort v1, v29, s[12:13]
	global_load_ushort v31, v29, s[8:9]
	v_cmp_lt_i64_e64 s[16:17], 0, v[6:7]
	v_cmp_gt_i64_e64 s[8:9], 1, v[6:7]
	s_waitcnt vmcnt(0)
	v_mad_u32_u24 v1, v65, v1, v64
	v_mul_lo_u32 v1, v1, v31
	v_add_lshl_u32 v1, v1, v28, 3
	v_sub_u32_e64 v31, v0, v1 clamp
	v_cmp_lt_u32_e64 s[12:13], 1, v31
	s_and_b64 s[18:19], s[12:13], s[16:17]
	s_and_saveexec_b64 s[26:27], s[18:19]
	s_cbranch_execz .LBB1124_811
; %bb.802:
	v_mul_lo_u32 v66, v25, v6
	v_mul_lo_u32 v67, v24, v7
	v_mad_u64_u32 v[64:65], s[12:13], v24, v6, 0
	v_add3_u32 v65, v65, v67, v66
	v_mul_lo_u32 v68, v27, v6
	v_mul_lo_u32 v69, v26, v7
	v_mad_u64_u32 v[66:67], s[12:13], v26, v6, 0
	v_add3_u32 v67, v67, v69, v68
	v_lshl_add_u64 v[64:65], v[64:65], 1, v[8:9]
	v_lshl_add_u64 v[66:67], v[66:67], 1, v[8:9]
	v_mov_b64_e32 v[68:69], v[6:7]
                                        ; implicit-def: $sgpr30_sgpr31
                                        ; implicit-def: $sgpr34_sgpr35
                                        ; implicit-def: $sgpr36_sgpr37
                                        ; implicit-def: $sgpr38_sgpr39
                                        ; implicit-def: $sgpr40_sgpr41
	s_branch .LBB1124_804
.LBB1124_803:                           ;   in Loop: Header=BB1124_804 Depth=1
	s_or_b64 exec, exec, s[44:45]
	s_and_b64 s[12:13], exec, s[12:13]
	s_or_b64 s[28:29], s[12:13], s[28:29]
	s_andn2_b64 s[12:13], s[34:35], exec
	s_and_b64 s[34:35], s[36:37], exec
	s_or_b64 s[34:35], s[12:13], s[34:35]
	s_andn2_b64 s[12:13], s[30:31], exec
	s_and_b64 s[30:31], s[38:39], exec
	s_or_b64 s[30:31], s[12:13], s[30:31]
	s_andn2_b64 exec, exec, s[28:29]
	s_cbranch_execz .LBB1124_808
.LBB1124_804:                           ; =>This Inner Loop Header: Depth=1
	flat_load_ushort v70, v[66:67]
	flat_load_ushort v71, v[64:65]
	s_mov_b64 s[42:43], 0
	s_or_b64 s[38:39], s[38:39], exec
	s_waitcnt vmcnt(0) lgkmcnt(0)
	v_lshlrev_b32_e32 v70, 16, v70
	v_lshlrev_b32_e32 v71, 16, v71
	v_cmp_nlt_f32_e64 s[12:13], v70, v71
	s_and_saveexec_b64 s[44:45], s[12:13]
; %bb.805:                              ;   in Loop: Header=BB1124_804 Depth=1
	v_cmp_ngt_f32_e64 s[12:13], v70, v71
	s_and_b64 s[40:41], s[12:13], s[40:41]
	s_andn2_b64 s[38:39], s[38:39], exec
	s_and_b64 s[40:41], s[40:41], exec
	s_or_b64 s[38:39], s[38:39], s[40:41]
	s_and_b64 s[42:43], s[12:13], exec
; %bb.806:                              ;   in Loop: Header=BB1124_804 Depth=1
	s_or_b64 exec, exec, s[44:45]
	s_mov_b64 s[12:13], -1
	s_or_b64 s[36:37], s[36:37], exec
                                        ; implicit-def: $sgpr40_sgpr41
	s_and_saveexec_b64 s[44:45], s[42:43]
	s_cbranch_execz .LBB1124_803
; %bb.807:                              ;   in Loop: Header=BB1124_804 Depth=1
	v_lshl_add_u64 v[68:69], v[68:69], 0, -1
	v_cmp_eq_u64_e64 s[12:13], 0, v[68:69]
	v_lshl_add_u64 v[64:65], v[64:65], 0, 2
	v_lshl_add_u64 v[66:67], v[66:67], 0, 2
	s_and_b64 s[40:41], s[38:39], exec
	s_andn2_b64 s[36:37], s[36:37], exec
	s_orn2_b64 s[12:13], s[12:13], exec
	s_branch .LBB1124_803
.LBB1124_808:
	s_or_b64 exec, exec, s[28:29]
	s_and_saveexec_b64 s[12:13], s[34:35]
	s_xor_b64 s[12:13], exec, s[12:13]
; %bb.809:
	v_cndmask_b32_e64 v65, v27, v25, s[30:31]
	v_cndmask_b32_e64 v64, v26, v24, s[30:31]
	;; [unrolled: 1-line block ×4, first 2 shown]
	v_mov_b64_e32 v[26:27], v[64:65]
; %bb.810:
	s_or_b64 exec, exec, s[12:13]
.LBB1124_811:
	s_or_b64 exec, exec, s[26:27]
	v_cmp_lt_u32_e64 s[12:13], 3, v31
	s_xor_b64 s[26:27], s[8:9], -1
	s_and_b64 s[28:29], s[12:13], s[26:27]
	s_and_saveexec_b64 s[30:31], s[28:29]
	s_cbranch_execz .LBB1124_821
; %bb.812:
	v_mul_lo_u32 v66, v21, v6
	v_mul_lo_u32 v67, v20, v7
	v_mad_u64_u32 v[64:65], s[12:13], v20, v6, 0
	v_add3_u32 v65, v65, v67, v66
	v_mul_lo_u32 v68, v23, v6
	v_mul_lo_u32 v69, v22, v7
	v_mad_u64_u32 v[66:67], s[12:13], v22, v6, 0
	v_add3_u32 v67, v67, v69, v68
	v_lshl_add_u64 v[64:65], v[64:65], 1, v[8:9]
	v_lshl_add_u64 v[66:67], v[66:67], 1, v[8:9]
	s_mov_b64 s[36:37], 0
	v_mov_b64_e32 v[68:69], v[6:7]
                                        ; implicit-def: $sgpr34_sgpr35
                                        ; implicit-def: $sgpr38_sgpr39
                                        ; implicit-def: $sgpr40_sgpr41
                                        ; implicit-def: $sgpr42_sgpr43
                                        ; implicit-def: $sgpr44_sgpr45
	s_branch .LBB1124_814
.LBB1124_813:                           ;   in Loop: Header=BB1124_814 Depth=1
	s_or_b64 exec, exec, s[48:49]
	s_and_b64 s[12:13], exec, s[12:13]
	s_or_b64 s[36:37], s[12:13], s[36:37]
	s_andn2_b64 s[12:13], s[38:39], exec
	s_and_b64 s[38:39], s[40:41], exec
	s_or_b64 s[38:39], s[12:13], s[38:39]
	s_andn2_b64 s[12:13], s[34:35], exec
	s_and_b64 s[34:35], s[42:43], exec
	s_or_b64 s[34:35], s[12:13], s[34:35]
	s_andn2_b64 exec, exec, s[36:37]
	s_cbranch_execz .LBB1124_818
.LBB1124_814:                           ; =>This Inner Loop Header: Depth=1
	flat_load_ushort v70, v[66:67]
	flat_load_ushort v71, v[64:65]
	s_or_b64 s[42:43], s[42:43], exec
	s_mov_b64 s[46:47], 0
	s_waitcnt vmcnt(0) lgkmcnt(0)
	v_lshlrev_b32_e32 v70, 16, v70
	v_lshlrev_b32_e32 v71, 16, v71
	v_cmp_nlt_f32_e64 s[12:13], v70, v71
	s_and_saveexec_b64 s[48:49], s[12:13]
; %bb.815:                              ;   in Loop: Header=BB1124_814 Depth=1
	v_cmp_ngt_f32_e64 s[12:13], v70, v71
	s_and_b64 s[44:45], s[12:13], s[44:45]
	s_andn2_b64 s[42:43], s[42:43], exec
	s_and_b64 s[44:45], s[44:45], exec
	s_or_b64 s[42:43], s[42:43], s[44:45]
	s_and_b64 s[46:47], s[12:13], exec
; %bb.816:                              ;   in Loop: Header=BB1124_814 Depth=1
	s_or_b64 exec, exec, s[48:49]
	s_mov_b64 s[12:13], -1
	s_or_b64 s[40:41], s[40:41], exec
                                        ; implicit-def: $sgpr44_sgpr45
	s_and_saveexec_b64 s[48:49], s[46:47]
	s_cbranch_execz .LBB1124_813
; %bb.817:                              ;   in Loop: Header=BB1124_814 Depth=1
	v_lshl_add_u64 v[68:69], v[68:69], 0, -1
	v_cmp_eq_u64_e64 s[12:13], 0, v[68:69]
	v_lshl_add_u64 v[64:65], v[64:65], 0, 2
	v_lshl_add_u64 v[66:67], v[66:67], 0, 2
	s_and_b64 s[44:45], s[42:43], exec
	s_andn2_b64 s[40:41], s[40:41], exec
	s_orn2_b64 s[12:13], s[12:13], exec
	s_branch .LBB1124_813
.LBB1124_818:
	s_or_b64 exec, exec, s[36:37]
	s_and_saveexec_b64 s[12:13], s[38:39]
	s_xor_b64 s[12:13], exec, s[12:13]
; %bb.819:
	v_cndmask_b32_e64 v65, v21, v23, s[34:35]
	v_cndmask_b32_e64 v64, v20, v22, s[34:35]
	;; [unrolled: 1-line block ×4, first 2 shown]
	v_mov_b64_e32 v[20:21], v[64:65]
; %bb.820:
	s_or_b64 exec, exec, s[12:13]
.LBB1124_821:
	s_or_b64 exec, exec, s[30:31]
	v_cmp_lt_u32_e64 s[12:13], 5, v31
	s_and_b64 s[30:31], s[12:13], s[26:27]
	s_and_saveexec_b64 s[34:35], s[30:31]
	s_cbranch_execz .LBB1124_831
; %bb.822:
	v_mul_lo_u32 v66, v17, v6
	v_mul_lo_u32 v67, v16, v7
	v_mad_u64_u32 v[64:65], s[12:13], v16, v6, 0
	v_add3_u32 v65, v65, v67, v66
	v_mul_lo_u32 v68, v19, v6
	v_mul_lo_u32 v69, v18, v7
	v_mad_u64_u32 v[66:67], s[12:13], v18, v6, 0
	v_add3_u32 v67, v67, v69, v68
	v_lshl_add_u64 v[64:65], v[64:65], 1, v[8:9]
	v_lshl_add_u64 v[66:67], v[66:67], 1, v[8:9]
	s_mov_b64 s[38:39], 0
	v_mov_b64_e32 v[68:69], v[6:7]
                                        ; implicit-def: $sgpr36_sgpr37
                                        ; implicit-def: $sgpr40_sgpr41
                                        ; implicit-def: $sgpr42_sgpr43
                                        ; implicit-def: $sgpr44_sgpr45
                                        ; implicit-def: $sgpr46_sgpr47
	s_branch .LBB1124_824
.LBB1124_823:                           ;   in Loop: Header=BB1124_824 Depth=1
	s_or_b64 exec, exec, s[50:51]
	s_and_b64 s[12:13], exec, s[12:13]
	s_or_b64 s[38:39], s[12:13], s[38:39]
	s_andn2_b64 s[12:13], s[40:41], exec
	s_and_b64 s[40:41], s[42:43], exec
	s_or_b64 s[40:41], s[12:13], s[40:41]
	s_andn2_b64 s[12:13], s[36:37], exec
	s_and_b64 s[36:37], s[44:45], exec
	s_or_b64 s[36:37], s[12:13], s[36:37]
	s_andn2_b64 exec, exec, s[38:39]
	s_cbranch_execz .LBB1124_828
.LBB1124_824:                           ; =>This Inner Loop Header: Depth=1
	flat_load_ushort v70, v[66:67]
	flat_load_ushort v71, v[64:65]
	s_or_b64 s[44:45], s[44:45], exec
	s_mov_b64 s[48:49], 0
	s_waitcnt vmcnt(0) lgkmcnt(0)
	v_lshlrev_b32_e32 v70, 16, v70
	v_lshlrev_b32_e32 v71, 16, v71
	v_cmp_nlt_f32_e64 s[12:13], v70, v71
	s_and_saveexec_b64 s[50:51], s[12:13]
; %bb.825:                              ;   in Loop: Header=BB1124_824 Depth=1
	v_cmp_ngt_f32_e64 s[12:13], v70, v71
	s_and_b64 s[46:47], s[12:13], s[46:47]
	s_andn2_b64 s[44:45], s[44:45], exec
	s_and_b64 s[46:47], s[46:47], exec
	s_or_b64 s[44:45], s[44:45], s[46:47]
	s_and_b64 s[48:49], s[12:13], exec
; %bb.826:                              ;   in Loop: Header=BB1124_824 Depth=1
	s_or_b64 exec, exec, s[50:51]
	s_mov_b64 s[12:13], -1
	s_or_b64 s[42:43], s[42:43], exec
                                        ; implicit-def: $sgpr46_sgpr47
	s_and_saveexec_b64 s[50:51], s[48:49]
	s_cbranch_execz .LBB1124_823
; %bb.827:                              ;   in Loop: Header=BB1124_824 Depth=1
	v_lshl_add_u64 v[68:69], v[68:69], 0, -1
	v_cmp_eq_u64_e64 s[12:13], 0, v[68:69]
	v_lshl_add_u64 v[64:65], v[64:65], 0, 2
	v_lshl_add_u64 v[66:67], v[66:67], 0, 2
	s_and_b64 s[46:47], s[44:45], exec
	s_andn2_b64 s[42:43], s[42:43], exec
	s_orn2_b64 s[12:13], s[12:13], exec
	s_branch .LBB1124_823
.LBB1124_828:
	s_or_b64 exec, exec, s[38:39]
	s_and_saveexec_b64 s[12:13], s[40:41]
	s_xor_b64 s[12:13], exec, s[12:13]
; %bb.829:
	v_cndmask_b32_e64 v65, v17, v19, s[36:37]
	v_cndmask_b32_e64 v64, v16, v18, s[36:37]
	;; [unrolled: 1-line block ×4, first 2 shown]
	v_mov_b64_e32 v[16:17], v[64:65]
; %bb.830:
	s_or_b64 exec, exec, s[12:13]
.LBB1124_831:
	s_or_b64 exec, exec, s[34:35]
	v_cmp_lt_u32_e64 s[12:13], 7, v31
	s_and_b64 s[34:35], s[12:13], s[26:27]
	s_and_saveexec_b64 s[36:37], s[34:35]
	s_cbranch_execz .LBB1124_841
; %bb.832:
	v_mul_lo_u32 v66, v13, v6
	v_mul_lo_u32 v67, v12, v7
	v_mad_u64_u32 v[64:65], s[12:13], v12, v6, 0
	v_add3_u32 v65, v65, v67, v66
	v_mul_lo_u32 v68, v15, v6
	v_mul_lo_u32 v69, v14, v7
	v_mad_u64_u32 v[66:67], s[12:13], v14, v6, 0
	v_add3_u32 v67, v67, v69, v68
	v_lshl_add_u64 v[64:65], v[64:65], 1, v[8:9]
	v_lshl_add_u64 v[66:67], v[66:67], 1, v[8:9]
	s_mov_b64 s[40:41], 0
	v_mov_b64_e32 v[68:69], v[6:7]
                                        ; implicit-def: $sgpr38_sgpr39
                                        ; implicit-def: $sgpr42_sgpr43
                                        ; implicit-def: $sgpr44_sgpr45
                                        ; implicit-def: $sgpr46_sgpr47
                                        ; implicit-def: $sgpr48_sgpr49
	s_branch .LBB1124_834
.LBB1124_833:                           ;   in Loop: Header=BB1124_834 Depth=1
	s_or_b64 exec, exec, s[52:53]
	s_and_b64 s[12:13], exec, s[12:13]
	s_or_b64 s[40:41], s[12:13], s[40:41]
	s_andn2_b64 s[12:13], s[42:43], exec
	s_and_b64 s[42:43], s[44:45], exec
	s_or_b64 s[42:43], s[12:13], s[42:43]
	s_andn2_b64 s[12:13], s[38:39], exec
	s_and_b64 s[38:39], s[46:47], exec
	s_or_b64 s[38:39], s[12:13], s[38:39]
	s_andn2_b64 exec, exec, s[40:41]
	s_cbranch_execz .LBB1124_838
.LBB1124_834:                           ; =>This Inner Loop Header: Depth=1
	flat_load_ushort v70, v[66:67]
	flat_load_ushort v71, v[64:65]
	s_or_b64 s[46:47], s[46:47], exec
	s_mov_b64 s[50:51], 0
	s_waitcnt vmcnt(0) lgkmcnt(0)
	v_lshlrev_b32_e32 v70, 16, v70
	v_lshlrev_b32_e32 v71, 16, v71
	v_cmp_nlt_f32_e64 s[12:13], v70, v71
	s_and_saveexec_b64 s[52:53], s[12:13]
; %bb.835:                              ;   in Loop: Header=BB1124_834 Depth=1
	v_cmp_ngt_f32_e64 s[12:13], v70, v71
	s_and_b64 s[48:49], s[12:13], s[48:49]
	s_andn2_b64 s[46:47], s[46:47], exec
	s_and_b64 s[48:49], s[48:49], exec
	s_or_b64 s[46:47], s[46:47], s[48:49]
	s_and_b64 s[50:51], s[12:13], exec
; %bb.836:                              ;   in Loop: Header=BB1124_834 Depth=1
	s_or_b64 exec, exec, s[52:53]
	s_mov_b64 s[12:13], -1
	s_or_b64 s[44:45], s[44:45], exec
                                        ; implicit-def: $sgpr48_sgpr49
	s_and_saveexec_b64 s[52:53], s[50:51]
	s_cbranch_execz .LBB1124_833
; %bb.837:                              ;   in Loop: Header=BB1124_834 Depth=1
	v_lshl_add_u64 v[68:69], v[68:69], 0, -1
	v_cmp_eq_u64_e64 s[12:13], 0, v[68:69]
	v_lshl_add_u64 v[64:65], v[64:65], 0, 2
	v_lshl_add_u64 v[66:67], v[66:67], 0, 2
	s_and_b64 s[48:49], s[46:47], exec
	s_andn2_b64 s[44:45], s[44:45], exec
	s_orn2_b64 s[12:13], s[12:13], exec
	s_branch .LBB1124_833
.LBB1124_838:
	s_or_b64 exec, exec, s[40:41]
	s_and_saveexec_b64 s[12:13], s[42:43]
	s_xor_b64 s[12:13], exec, s[12:13]
; %bb.839:
	v_cndmask_b32_e64 v65, v13, v15, s[38:39]
	v_cndmask_b32_e64 v64, v12, v14, s[38:39]
	;; [unrolled: 1-line block ×4, first 2 shown]
	v_mov_b64_e32 v[12:13], v[64:65]
; %bb.840:
	s_or_b64 exec, exec, s[12:13]
.LBB1124_841:
	s_or_b64 exec, exec, s[36:37]
	v_cmp_lt_u32_e64 s[12:13], 2, v31
	s_and_b64 s[36:37], s[12:13], s[26:27]
	s_and_saveexec_b64 s[12:13], s[36:37]
	s_xor_b64 s[38:39], exec, s[12:13]
	s_cbranch_execz .LBB1124_851
; %bb.842:
	v_mul_lo_u32 v66, v27, v6
	v_mul_lo_u32 v67, v26, v7
	v_mad_u64_u32 v[64:65], s[12:13], v26, v6, 0
	v_add3_u32 v65, v65, v67, v66
	v_mul_lo_u32 v68, v21, v6
	v_mul_lo_u32 v69, v20, v7
	v_mad_u64_u32 v[66:67], s[12:13], v20, v6, 0
	v_add3_u32 v67, v67, v69, v68
	v_lshl_add_u64 v[64:65], v[64:65], 1, v[8:9]
	v_lshl_add_u64 v[66:67], v[66:67], 1, v[8:9]
	s_mov_b64 s[42:43], 0
	v_mov_b64_e32 v[68:69], v[6:7]
                                        ; implicit-def: $sgpr40_sgpr41
                                        ; implicit-def: $sgpr44_sgpr45
                                        ; implicit-def: $sgpr46_sgpr47
                                        ; implicit-def: $sgpr48_sgpr49
                                        ; implicit-def: $sgpr50_sgpr51
	s_branch .LBB1124_844
.LBB1124_843:                           ;   in Loop: Header=BB1124_844 Depth=1
	s_or_b64 exec, exec, s[54:55]
	s_and_b64 s[12:13], exec, s[12:13]
	s_or_b64 s[42:43], s[12:13], s[42:43]
	s_andn2_b64 s[12:13], s[44:45], exec
	s_and_b64 s[44:45], s[46:47], exec
	s_or_b64 s[44:45], s[12:13], s[44:45]
	s_andn2_b64 s[12:13], s[40:41], exec
	s_and_b64 s[40:41], s[48:49], exec
	s_or_b64 s[40:41], s[12:13], s[40:41]
	s_andn2_b64 exec, exec, s[42:43]
	s_cbranch_execz .LBB1124_848
.LBB1124_844:                           ; =>This Inner Loop Header: Depth=1
	flat_load_ushort v70, v[66:67]
	flat_load_ushort v71, v[64:65]
	s_or_b64 s[48:49], s[48:49], exec
	s_mov_b64 s[52:53], 0
	s_waitcnt vmcnt(0) lgkmcnt(0)
	v_lshlrev_b32_e32 v70, 16, v70
	v_lshlrev_b32_e32 v71, 16, v71
	v_cmp_nlt_f32_e64 s[12:13], v70, v71
	s_and_saveexec_b64 s[54:55], s[12:13]
; %bb.845:                              ;   in Loop: Header=BB1124_844 Depth=1
	v_cmp_ngt_f32_e64 s[12:13], v70, v71
	s_and_b64 s[50:51], s[12:13], s[50:51]
	s_andn2_b64 s[48:49], s[48:49], exec
	s_and_b64 s[50:51], s[50:51], exec
	s_or_b64 s[48:49], s[48:49], s[50:51]
	s_and_b64 s[52:53], s[12:13], exec
; %bb.846:                              ;   in Loop: Header=BB1124_844 Depth=1
	s_or_b64 exec, exec, s[54:55]
	s_mov_b64 s[12:13], -1
	s_or_b64 s[46:47], s[46:47], exec
                                        ; implicit-def: $sgpr50_sgpr51
	s_and_saveexec_b64 s[54:55], s[52:53]
	s_cbranch_execz .LBB1124_843
; %bb.847:                              ;   in Loop: Header=BB1124_844 Depth=1
	v_lshl_add_u64 v[68:69], v[68:69], 0, -1
	v_cmp_eq_u64_e64 s[12:13], 0, v[68:69]
	v_lshl_add_u64 v[64:65], v[64:65], 0, 2
	v_lshl_add_u64 v[66:67], v[66:67], 0, 2
	s_and_b64 s[50:51], s[48:49], exec
	s_andn2_b64 s[46:47], s[46:47], exec
	s_orn2_b64 s[12:13], s[12:13], exec
	s_branch .LBB1124_843
.LBB1124_848:
	s_or_b64 exec, exec, s[42:43]
	s_and_saveexec_b64 s[12:13], s[44:45]
	s_xor_b64 s[12:13], exec, s[12:13]
; %bb.849:
	v_cndmask_b32_e64 v65, v27, v21, s[40:41]
	v_cndmask_b32_e64 v64, v26, v20, s[40:41]
	;; [unrolled: 1-line block ×4, first 2 shown]
	v_mov_b64_e32 v[26:27], v[64:65]
; %bb.850:
	s_or_b64 exec, exec, s[12:13]
.LBB1124_851:
	s_or_b64 exec, exec, s[38:39]
	v_cmp_lt_u32_e64 s[12:13], 4, v31
	s_and_b64 s[38:39], s[12:13], s[26:27]
	s_and_saveexec_b64 s[40:41], s[38:39]
	s_cbranch_execz .LBB1124_861
; %bb.852:
	v_mul_lo_u32 v66, v23, v6
	v_mul_lo_u32 v67, v22, v7
	v_mad_u64_u32 v[64:65], s[12:13], v22, v6, 0
	v_add3_u32 v65, v65, v67, v66
	v_mul_lo_u32 v68, v17, v6
	v_mul_lo_u32 v69, v16, v7
	v_mad_u64_u32 v[66:67], s[12:13], v16, v6, 0
	v_add3_u32 v67, v67, v69, v68
	v_lshl_add_u64 v[64:65], v[64:65], 1, v[8:9]
	v_lshl_add_u64 v[66:67], v[66:67], 1, v[8:9]
	s_mov_b64 s[44:45], 0
	v_mov_b64_e32 v[68:69], v[6:7]
                                        ; implicit-def: $sgpr42_sgpr43
                                        ; implicit-def: $sgpr46_sgpr47
                                        ; implicit-def: $sgpr48_sgpr49
                                        ; implicit-def: $sgpr50_sgpr51
                                        ; implicit-def: $sgpr52_sgpr53
	s_branch .LBB1124_854
.LBB1124_853:                           ;   in Loop: Header=BB1124_854 Depth=1
	s_or_b64 exec, exec, s[56:57]
	s_and_b64 s[12:13], exec, s[12:13]
	s_or_b64 s[44:45], s[12:13], s[44:45]
	s_andn2_b64 s[12:13], s[46:47], exec
	s_and_b64 s[46:47], s[48:49], exec
	s_or_b64 s[46:47], s[12:13], s[46:47]
	s_andn2_b64 s[12:13], s[42:43], exec
	s_and_b64 s[42:43], s[50:51], exec
	s_or_b64 s[42:43], s[12:13], s[42:43]
	s_andn2_b64 exec, exec, s[44:45]
	s_cbranch_execz .LBB1124_858
.LBB1124_854:                           ; =>This Inner Loop Header: Depth=1
	flat_load_ushort v70, v[66:67]
	flat_load_ushort v71, v[64:65]
	s_or_b64 s[50:51], s[50:51], exec
	s_mov_b64 s[54:55], 0
	s_waitcnt vmcnt(0) lgkmcnt(0)
	v_lshlrev_b32_e32 v70, 16, v70
	v_lshlrev_b32_e32 v71, 16, v71
	v_cmp_nlt_f32_e64 s[12:13], v70, v71
	s_and_saveexec_b64 s[56:57], s[12:13]
; %bb.855:                              ;   in Loop: Header=BB1124_854 Depth=1
	v_cmp_ngt_f32_e64 s[12:13], v70, v71
	s_and_b64 s[52:53], s[12:13], s[52:53]
	s_andn2_b64 s[50:51], s[50:51], exec
	s_and_b64 s[52:53], s[52:53], exec
	s_or_b64 s[50:51], s[50:51], s[52:53]
	s_and_b64 s[54:55], s[12:13], exec
; %bb.856:                              ;   in Loop: Header=BB1124_854 Depth=1
	s_or_b64 exec, exec, s[56:57]
	s_mov_b64 s[12:13], -1
	s_or_b64 s[48:49], s[48:49], exec
                                        ; implicit-def: $sgpr52_sgpr53
	s_and_saveexec_b64 s[56:57], s[54:55]
	s_cbranch_execz .LBB1124_853
; %bb.857:                              ;   in Loop: Header=BB1124_854 Depth=1
	v_lshl_add_u64 v[68:69], v[68:69], 0, -1
	v_cmp_eq_u64_e64 s[12:13], 0, v[68:69]
	v_lshl_add_u64 v[64:65], v[64:65], 0, 2
	v_lshl_add_u64 v[66:67], v[66:67], 0, 2
	s_and_b64 s[52:53], s[50:51], exec
	s_andn2_b64 s[48:49], s[48:49], exec
	s_orn2_b64 s[12:13], s[12:13], exec
	s_branch .LBB1124_853
.LBB1124_858:
	s_or_b64 exec, exec, s[44:45]
	s_and_saveexec_b64 s[12:13], s[46:47]
	s_xor_b64 s[12:13], exec, s[12:13]
; %bb.859:
	v_cndmask_b32_e64 v65, v23, v17, s[42:43]
	v_cndmask_b32_e64 v64, v22, v16, s[42:43]
	;; [unrolled: 1-line block ×4, first 2 shown]
	v_mov_b64_e32 v[22:23], v[64:65]
; %bb.860:
	s_or_b64 exec, exec, s[12:13]
.LBB1124_861:
	s_or_b64 exec, exec, s[40:41]
	v_cmp_lt_u32_e64 s[12:13], 6, v31
	s_and_b64 s[40:41], s[12:13], s[26:27]
	s_and_saveexec_b64 s[42:43], s[40:41]
	s_cbranch_execnz .LBB1124_883
; %bb.862:
	s_or_b64 exec, exec, s[42:43]
	s_and_saveexec_b64 s[42:43], s[18:19]
	s_cbranch_execnz .LBB1124_892
.LBB1124_863:
	s_or_b64 exec, exec, s[42:43]
	s_and_saveexec_b64 s[42:43], s[28:29]
	s_cbranch_execnz .LBB1124_901
.LBB1124_864:
	s_or_b64 exec, exec, s[42:43]
	s_and_saveexec_b64 s[42:43], s[30:31]
	s_cbranch_execnz .LBB1124_910
.LBB1124_865:
	s_or_b64 exec, exec, s[42:43]
	s_and_saveexec_b64 s[42:43], s[34:35]
	s_cbranch_execnz .LBB1124_919
.LBB1124_866:
	s_or_b64 exec, exec, s[42:43]
	s_and_saveexec_b64 s[42:43], s[36:37]
	s_cbranch_execnz .LBB1124_928
.LBB1124_867:
	s_or_b64 exec, exec, s[42:43]
	s_and_saveexec_b64 s[42:43], s[38:39]
	s_cbranch_execnz .LBB1124_937
.LBB1124_868:
	s_or_b64 exec, exec, s[42:43]
	s_and_saveexec_b64 s[42:43], s[40:41]
	s_cbranch_execnz .LBB1124_946
.LBB1124_869:
	s_or_b64 exec, exec, s[42:43]
	s_and_saveexec_b64 s[42:43], s[18:19]
	s_cbranch_execnz .LBB1124_955
.LBB1124_870:
	s_or_b64 exec, exec, s[42:43]
	s_and_saveexec_b64 s[42:43], s[28:29]
	s_cbranch_execnz .LBB1124_964
.LBB1124_871:
	s_or_b64 exec, exec, s[42:43]
	s_and_saveexec_b64 s[42:43], s[30:31]
	s_cbranch_execnz .LBB1124_973
.LBB1124_872:
	s_or_b64 exec, exec, s[42:43]
	s_and_saveexec_b64 s[42:43], s[34:35]
	s_cbranch_execnz .LBB1124_982
.LBB1124_873:
	s_or_b64 exec, exec, s[42:43]
	s_and_saveexec_b64 s[42:43], s[36:37]
	s_cbranch_execnz .LBB1124_991
.LBB1124_874:
	s_or_b64 exec, exec, s[42:43]
	s_and_saveexec_b64 s[42:43], s[38:39]
	s_cbranch_execnz .LBB1124_1000
.LBB1124_875:
	s_or_b64 exec, exec, s[42:43]
	s_and_saveexec_b64 s[42:43], s[40:41]
	s_cbranch_execnz .LBB1124_1009
.LBB1124_876:
	s_or_b64 exec, exec, s[42:43]
	s_and_saveexec_b64 s[42:43], s[18:19]
	s_cbranch_execnz .LBB1124_1018
.LBB1124_877:
	s_or_b64 exec, exec, s[42:43]
	s_and_saveexec_b64 s[18:19], s[28:29]
	s_cbranch_execnz .LBB1124_1027
.LBB1124_878:
	s_or_b64 exec, exec, s[18:19]
	s_and_saveexec_b64 s[18:19], s[30:31]
	s_cbranch_execnz .LBB1124_1036
.LBB1124_879:
	s_or_b64 exec, exec, s[18:19]
	s_and_saveexec_b64 s[18:19], s[34:35]
	s_cbranch_execnz .LBB1124_1045
.LBB1124_880:
	s_or_b64 exec, exec, s[18:19]
	s_and_saveexec_b64 s[18:19], s[36:37]
	s_cbranch_execnz .LBB1124_1054
.LBB1124_881:
	s_or_b64 exec, exec, s[18:19]
	s_and_saveexec_b64 s[18:19], s[38:39]
	s_cbranch_execnz .LBB1124_1063
.LBB1124_882:
	s_or_b64 exec, exec, s[18:19]
	s_and_saveexec_b64 s[18:19], s[40:41]
	s_cbranch_execnz .LBB1124_1072
	s_branch .LBB1124_1081
.LBB1124_883:
	v_mul_lo_u32 v31, v19, v6
	v_mul_lo_u32 v66, v18, v7
	v_mad_u64_u32 v[64:65], s[12:13], v18, v6, 0
	v_add3_u32 v65, v65, v66, v31
	v_mul_lo_u32 v31, v13, v6
	v_mul_lo_u32 v68, v12, v7
	v_mad_u64_u32 v[66:67], s[12:13], v12, v6, 0
	v_add3_u32 v67, v67, v68, v31
	v_lshl_add_u64 v[64:65], v[64:65], 1, v[8:9]
	v_lshl_add_u64 v[66:67], v[66:67], 1, v[8:9]
	s_mov_b64 s[46:47], 0
	v_mov_b64_e32 v[68:69], v[6:7]
                                        ; implicit-def: $sgpr44_sgpr45
                                        ; implicit-def: $sgpr48_sgpr49
                                        ; implicit-def: $sgpr50_sgpr51
                                        ; implicit-def: $sgpr52_sgpr53
                                        ; implicit-def: $sgpr54_sgpr55
	s_branch .LBB1124_885
.LBB1124_884:                           ;   in Loop: Header=BB1124_885 Depth=1
	s_or_b64 exec, exec, s[58:59]
	s_and_b64 s[12:13], exec, s[12:13]
	s_or_b64 s[46:47], s[12:13], s[46:47]
	s_andn2_b64 s[12:13], s[48:49], exec
	s_and_b64 s[48:49], s[50:51], exec
	s_or_b64 s[48:49], s[12:13], s[48:49]
	s_andn2_b64 s[12:13], s[44:45], exec
	s_and_b64 s[44:45], s[52:53], exec
	s_or_b64 s[44:45], s[12:13], s[44:45]
	s_andn2_b64 exec, exec, s[46:47]
	s_cbranch_execz .LBB1124_889
.LBB1124_885:                           ; =>This Inner Loop Header: Depth=1
	flat_load_ushort v31, v[66:67]
	flat_load_ushort v70, v[64:65]
	s_or_b64 s[52:53], s[52:53], exec
	s_mov_b64 s[56:57], 0
	s_waitcnt vmcnt(0) lgkmcnt(0)
	v_lshlrev_b32_e32 v31, 16, v31
	v_lshlrev_b32_e32 v70, 16, v70
	v_cmp_nlt_f32_e64 s[12:13], v31, v70
	s_and_saveexec_b64 s[58:59], s[12:13]
; %bb.886:                              ;   in Loop: Header=BB1124_885 Depth=1
	v_cmp_ngt_f32_e64 s[12:13], v31, v70
	s_and_b64 s[54:55], s[12:13], s[54:55]
	s_andn2_b64 s[52:53], s[52:53], exec
	s_and_b64 s[54:55], s[54:55], exec
	s_or_b64 s[52:53], s[52:53], s[54:55]
	s_and_b64 s[56:57], s[12:13], exec
; %bb.887:                              ;   in Loop: Header=BB1124_885 Depth=1
	s_or_b64 exec, exec, s[58:59]
	s_mov_b64 s[12:13], -1
	s_or_b64 s[50:51], s[50:51], exec
                                        ; implicit-def: $sgpr54_sgpr55
	s_and_saveexec_b64 s[58:59], s[56:57]
	s_cbranch_execz .LBB1124_884
; %bb.888:                              ;   in Loop: Header=BB1124_885 Depth=1
	v_lshl_add_u64 v[68:69], v[68:69], 0, -1
	v_cmp_eq_u64_e64 s[12:13], 0, v[68:69]
	v_lshl_add_u64 v[64:65], v[64:65], 0, 2
	v_lshl_add_u64 v[66:67], v[66:67], 0, 2
	s_and_b64 s[54:55], s[52:53], exec
	s_andn2_b64 s[50:51], s[50:51], exec
	s_orn2_b64 s[12:13], s[12:13], exec
	s_branch .LBB1124_884
.LBB1124_889:
	s_or_b64 exec, exec, s[46:47]
	s_and_saveexec_b64 s[12:13], s[48:49]
	s_xor_b64 s[12:13], exec, s[12:13]
; %bb.890:
	v_cndmask_b32_e64 v65, v19, v13, s[44:45]
	v_cndmask_b32_e64 v64, v18, v12, s[44:45]
	;; [unrolled: 1-line block ×4, first 2 shown]
	v_mov_b64_e32 v[18:19], v[64:65]
; %bb.891:
	s_or_b64 exec, exec, s[12:13]
	s_or_b64 exec, exec, s[42:43]
	s_and_saveexec_b64 s[42:43], s[18:19]
	s_cbranch_execz .LBB1124_863
.LBB1124_892:
	v_mul_lo_u32 v31, v25, v6
	v_mul_lo_u32 v66, v24, v7
	v_mad_u64_u32 v[64:65], s[12:13], v24, v6, 0
	v_add3_u32 v65, v65, v66, v31
	v_mul_lo_u32 v31, v27, v6
	v_mul_lo_u32 v68, v26, v7
	v_mad_u64_u32 v[66:67], s[12:13], v26, v6, 0
	v_add3_u32 v67, v67, v68, v31
	v_lshl_add_u64 v[64:65], v[64:65], 1, v[8:9]
	v_lshl_add_u64 v[66:67], v[66:67], 1, v[8:9]
	s_mov_b64 s[46:47], 0
	v_mov_b64_e32 v[68:69], v[6:7]
                                        ; implicit-def: $sgpr44_sgpr45
                                        ; implicit-def: $sgpr48_sgpr49
                                        ; implicit-def: $sgpr50_sgpr51
                                        ; implicit-def: $sgpr52_sgpr53
                                        ; implicit-def: $sgpr54_sgpr55
	s_branch .LBB1124_894
.LBB1124_893:                           ;   in Loop: Header=BB1124_894 Depth=1
	s_or_b64 exec, exec, s[58:59]
	s_and_b64 s[12:13], exec, s[12:13]
	s_or_b64 s[46:47], s[12:13], s[46:47]
	s_andn2_b64 s[12:13], s[48:49], exec
	s_and_b64 s[48:49], s[50:51], exec
	s_or_b64 s[48:49], s[12:13], s[48:49]
	s_andn2_b64 s[12:13], s[44:45], exec
	s_and_b64 s[44:45], s[52:53], exec
	s_or_b64 s[44:45], s[12:13], s[44:45]
	s_andn2_b64 exec, exec, s[46:47]
	s_cbranch_execz .LBB1124_898
.LBB1124_894:                           ; =>This Inner Loop Header: Depth=1
	flat_load_ushort v31, v[66:67]
	flat_load_ushort v70, v[64:65]
	s_or_b64 s[52:53], s[52:53], exec
	s_mov_b64 s[56:57], 0
	s_waitcnt vmcnt(0) lgkmcnt(0)
	v_lshlrev_b32_e32 v31, 16, v31
	v_lshlrev_b32_e32 v70, 16, v70
	v_cmp_nlt_f32_e64 s[12:13], v31, v70
	s_and_saveexec_b64 s[58:59], s[12:13]
; %bb.895:                              ;   in Loop: Header=BB1124_894 Depth=1
	v_cmp_ngt_f32_e64 s[12:13], v31, v70
	s_and_b64 s[54:55], s[12:13], s[54:55]
	s_andn2_b64 s[52:53], s[52:53], exec
	s_and_b64 s[54:55], s[54:55], exec
	s_or_b64 s[52:53], s[52:53], s[54:55]
	s_and_b64 s[56:57], s[12:13], exec
; %bb.896:                              ;   in Loop: Header=BB1124_894 Depth=1
	s_or_b64 exec, exec, s[58:59]
	s_mov_b64 s[12:13], -1
	s_or_b64 s[50:51], s[50:51], exec
                                        ; implicit-def: $sgpr54_sgpr55
	s_and_saveexec_b64 s[58:59], s[56:57]
	s_cbranch_execz .LBB1124_893
; %bb.897:                              ;   in Loop: Header=BB1124_894 Depth=1
	v_lshl_add_u64 v[68:69], v[68:69], 0, -1
	v_cmp_eq_u64_e64 s[12:13], 0, v[68:69]
	v_lshl_add_u64 v[64:65], v[64:65], 0, 2
	v_lshl_add_u64 v[66:67], v[66:67], 0, 2
	s_and_b64 s[54:55], s[52:53], exec
	s_andn2_b64 s[50:51], s[50:51], exec
	s_orn2_b64 s[12:13], s[12:13], exec
	s_branch .LBB1124_893
.LBB1124_898:
	s_or_b64 exec, exec, s[46:47]
	s_and_saveexec_b64 s[12:13], s[48:49]
	s_xor_b64 s[12:13], exec, s[12:13]
; %bb.899:
	v_cndmask_b32_e64 v65, v27, v25, s[44:45]
	v_cndmask_b32_e64 v64, v26, v24, s[44:45]
	;; [unrolled: 1-line block ×4, first 2 shown]
	v_mov_b64_e32 v[26:27], v[64:65]
; %bb.900:
	s_or_b64 exec, exec, s[12:13]
	s_or_b64 exec, exec, s[42:43]
	s_and_saveexec_b64 s[42:43], s[28:29]
	s_cbranch_execz .LBB1124_864
.LBB1124_901:
	v_mul_lo_u32 v31, v21, v6
	v_mul_lo_u32 v66, v20, v7
	v_mad_u64_u32 v[64:65], s[12:13], v20, v6, 0
	v_add3_u32 v65, v65, v66, v31
	v_mul_lo_u32 v31, v23, v6
	v_mul_lo_u32 v68, v22, v7
	v_mad_u64_u32 v[66:67], s[12:13], v22, v6, 0
	v_add3_u32 v67, v67, v68, v31
	v_lshl_add_u64 v[64:65], v[64:65], 1, v[8:9]
	v_lshl_add_u64 v[66:67], v[66:67], 1, v[8:9]
	s_mov_b64 s[46:47], 0
	v_mov_b64_e32 v[68:69], v[6:7]
                                        ; implicit-def: $sgpr44_sgpr45
                                        ; implicit-def: $sgpr48_sgpr49
                                        ; implicit-def: $sgpr50_sgpr51
                                        ; implicit-def: $sgpr52_sgpr53
                                        ; implicit-def: $sgpr54_sgpr55
	s_branch .LBB1124_903
.LBB1124_902:                           ;   in Loop: Header=BB1124_903 Depth=1
	s_or_b64 exec, exec, s[58:59]
	s_and_b64 s[12:13], exec, s[12:13]
	s_or_b64 s[46:47], s[12:13], s[46:47]
	s_andn2_b64 s[12:13], s[48:49], exec
	s_and_b64 s[48:49], s[50:51], exec
	s_or_b64 s[48:49], s[12:13], s[48:49]
	s_andn2_b64 s[12:13], s[44:45], exec
	s_and_b64 s[44:45], s[52:53], exec
	s_or_b64 s[44:45], s[12:13], s[44:45]
	s_andn2_b64 exec, exec, s[46:47]
	s_cbranch_execz .LBB1124_907
.LBB1124_903:                           ; =>This Inner Loop Header: Depth=1
	flat_load_ushort v31, v[66:67]
	flat_load_ushort v70, v[64:65]
	s_or_b64 s[52:53], s[52:53], exec
	s_mov_b64 s[56:57], 0
	s_waitcnt vmcnt(0) lgkmcnt(0)
	v_lshlrev_b32_e32 v31, 16, v31
	v_lshlrev_b32_e32 v70, 16, v70
	v_cmp_nlt_f32_e64 s[12:13], v31, v70
	s_and_saveexec_b64 s[58:59], s[12:13]
; %bb.904:                              ;   in Loop: Header=BB1124_903 Depth=1
	v_cmp_ngt_f32_e64 s[12:13], v31, v70
	s_and_b64 s[54:55], s[12:13], s[54:55]
	s_andn2_b64 s[52:53], s[52:53], exec
	s_and_b64 s[54:55], s[54:55], exec
	s_or_b64 s[52:53], s[52:53], s[54:55]
	s_and_b64 s[56:57], s[12:13], exec
; %bb.905:                              ;   in Loop: Header=BB1124_903 Depth=1
	s_or_b64 exec, exec, s[58:59]
	s_mov_b64 s[12:13], -1
	s_or_b64 s[50:51], s[50:51], exec
                                        ; implicit-def: $sgpr54_sgpr55
	s_and_saveexec_b64 s[58:59], s[56:57]
	s_cbranch_execz .LBB1124_902
; %bb.906:                              ;   in Loop: Header=BB1124_903 Depth=1
	v_lshl_add_u64 v[68:69], v[68:69], 0, -1
	v_cmp_eq_u64_e64 s[12:13], 0, v[68:69]
	v_lshl_add_u64 v[64:65], v[64:65], 0, 2
	v_lshl_add_u64 v[66:67], v[66:67], 0, 2
	s_and_b64 s[54:55], s[52:53], exec
	s_andn2_b64 s[50:51], s[50:51], exec
	s_orn2_b64 s[12:13], s[12:13], exec
	s_branch .LBB1124_902
.LBB1124_907:
	s_or_b64 exec, exec, s[46:47]
	s_and_saveexec_b64 s[12:13], s[48:49]
	s_xor_b64 s[12:13], exec, s[12:13]
; %bb.908:
	v_cndmask_b32_e64 v65, v21, v23, s[44:45]
	v_cndmask_b32_e64 v64, v20, v22, s[44:45]
	;; [unrolled: 1-line block ×4, first 2 shown]
	v_mov_b64_e32 v[20:21], v[64:65]
; %bb.909:
	s_or_b64 exec, exec, s[12:13]
	s_or_b64 exec, exec, s[42:43]
	s_and_saveexec_b64 s[42:43], s[30:31]
	s_cbranch_execz .LBB1124_865
.LBB1124_910:
	v_mul_lo_u32 v31, v17, v6
	v_mul_lo_u32 v66, v16, v7
	v_mad_u64_u32 v[64:65], s[12:13], v16, v6, 0
	v_add3_u32 v65, v65, v66, v31
	v_mul_lo_u32 v31, v19, v6
	v_mul_lo_u32 v68, v18, v7
	v_mad_u64_u32 v[66:67], s[12:13], v18, v6, 0
	v_add3_u32 v67, v67, v68, v31
	v_lshl_add_u64 v[64:65], v[64:65], 1, v[8:9]
	v_lshl_add_u64 v[66:67], v[66:67], 1, v[8:9]
	s_mov_b64 s[46:47], 0
	v_mov_b64_e32 v[68:69], v[6:7]
                                        ; implicit-def: $sgpr44_sgpr45
                                        ; implicit-def: $sgpr48_sgpr49
                                        ; implicit-def: $sgpr50_sgpr51
                                        ; implicit-def: $sgpr52_sgpr53
                                        ; implicit-def: $sgpr54_sgpr55
	s_branch .LBB1124_912
.LBB1124_911:                           ;   in Loop: Header=BB1124_912 Depth=1
	s_or_b64 exec, exec, s[58:59]
	s_and_b64 s[12:13], exec, s[12:13]
	s_or_b64 s[46:47], s[12:13], s[46:47]
	s_andn2_b64 s[12:13], s[48:49], exec
	s_and_b64 s[48:49], s[50:51], exec
	s_or_b64 s[48:49], s[12:13], s[48:49]
	s_andn2_b64 s[12:13], s[44:45], exec
	s_and_b64 s[44:45], s[52:53], exec
	s_or_b64 s[44:45], s[12:13], s[44:45]
	s_andn2_b64 exec, exec, s[46:47]
	s_cbranch_execz .LBB1124_916
.LBB1124_912:                           ; =>This Inner Loop Header: Depth=1
	flat_load_ushort v31, v[66:67]
	flat_load_ushort v70, v[64:65]
	s_or_b64 s[52:53], s[52:53], exec
	s_mov_b64 s[56:57], 0
	s_waitcnt vmcnt(0) lgkmcnt(0)
	v_lshlrev_b32_e32 v31, 16, v31
	v_lshlrev_b32_e32 v70, 16, v70
	v_cmp_nlt_f32_e64 s[12:13], v31, v70
	s_and_saveexec_b64 s[58:59], s[12:13]
; %bb.913:                              ;   in Loop: Header=BB1124_912 Depth=1
	v_cmp_ngt_f32_e64 s[12:13], v31, v70
	s_and_b64 s[54:55], s[12:13], s[54:55]
	s_andn2_b64 s[52:53], s[52:53], exec
	s_and_b64 s[54:55], s[54:55], exec
	s_or_b64 s[52:53], s[52:53], s[54:55]
	s_and_b64 s[56:57], s[12:13], exec
; %bb.914:                              ;   in Loop: Header=BB1124_912 Depth=1
	s_or_b64 exec, exec, s[58:59]
	s_mov_b64 s[12:13], -1
	s_or_b64 s[50:51], s[50:51], exec
                                        ; implicit-def: $sgpr54_sgpr55
	s_and_saveexec_b64 s[58:59], s[56:57]
	s_cbranch_execz .LBB1124_911
; %bb.915:                              ;   in Loop: Header=BB1124_912 Depth=1
	v_lshl_add_u64 v[68:69], v[68:69], 0, -1
	v_cmp_eq_u64_e64 s[12:13], 0, v[68:69]
	v_lshl_add_u64 v[64:65], v[64:65], 0, 2
	v_lshl_add_u64 v[66:67], v[66:67], 0, 2
	s_and_b64 s[54:55], s[52:53], exec
	s_andn2_b64 s[50:51], s[50:51], exec
	s_orn2_b64 s[12:13], s[12:13], exec
	s_branch .LBB1124_911
.LBB1124_916:
	s_or_b64 exec, exec, s[46:47]
	s_and_saveexec_b64 s[12:13], s[48:49]
	s_xor_b64 s[12:13], exec, s[12:13]
; %bb.917:
	v_cndmask_b32_e64 v65, v17, v19, s[44:45]
	v_cndmask_b32_e64 v64, v16, v18, s[44:45]
	;; [unrolled: 1-line block ×4, first 2 shown]
	v_mov_b64_e32 v[16:17], v[64:65]
; %bb.918:
	s_or_b64 exec, exec, s[12:13]
	s_or_b64 exec, exec, s[42:43]
	s_and_saveexec_b64 s[42:43], s[34:35]
	s_cbranch_execz .LBB1124_866
.LBB1124_919:
	v_mul_lo_u32 v31, v13, v6
	v_mul_lo_u32 v66, v12, v7
	v_mad_u64_u32 v[64:65], s[12:13], v12, v6, 0
	v_add3_u32 v65, v65, v66, v31
	v_mul_lo_u32 v31, v15, v6
	v_mul_lo_u32 v68, v14, v7
	v_mad_u64_u32 v[66:67], s[12:13], v14, v6, 0
	v_add3_u32 v67, v67, v68, v31
	v_lshl_add_u64 v[64:65], v[64:65], 1, v[8:9]
	v_lshl_add_u64 v[66:67], v[66:67], 1, v[8:9]
	s_mov_b64 s[46:47], 0
	v_mov_b64_e32 v[68:69], v[6:7]
                                        ; implicit-def: $sgpr44_sgpr45
                                        ; implicit-def: $sgpr48_sgpr49
                                        ; implicit-def: $sgpr50_sgpr51
                                        ; implicit-def: $sgpr52_sgpr53
                                        ; implicit-def: $sgpr54_sgpr55
	s_branch .LBB1124_921
.LBB1124_920:                           ;   in Loop: Header=BB1124_921 Depth=1
	s_or_b64 exec, exec, s[58:59]
	s_and_b64 s[12:13], exec, s[12:13]
	s_or_b64 s[46:47], s[12:13], s[46:47]
	s_andn2_b64 s[12:13], s[48:49], exec
	s_and_b64 s[48:49], s[50:51], exec
	s_or_b64 s[48:49], s[12:13], s[48:49]
	s_andn2_b64 s[12:13], s[44:45], exec
	s_and_b64 s[44:45], s[52:53], exec
	s_or_b64 s[44:45], s[12:13], s[44:45]
	s_andn2_b64 exec, exec, s[46:47]
	s_cbranch_execz .LBB1124_925
.LBB1124_921:                           ; =>This Inner Loop Header: Depth=1
	flat_load_ushort v31, v[66:67]
	flat_load_ushort v70, v[64:65]
	s_or_b64 s[52:53], s[52:53], exec
	s_mov_b64 s[56:57], 0
	s_waitcnt vmcnt(0) lgkmcnt(0)
	v_lshlrev_b32_e32 v31, 16, v31
	v_lshlrev_b32_e32 v70, 16, v70
	v_cmp_nlt_f32_e64 s[12:13], v31, v70
	s_and_saveexec_b64 s[58:59], s[12:13]
; %bb.922:                              ;   in Loop: Header=BB1124_921 Depth=1
	v_cmp_ngt_f32_e64 s[12:13], v31, v70
	s_and_b64 s[54:55], s[12:13], s[54:55]
	s_andn2_b64 s[52:53], s[52:53], exec
	s_and_b64 s[54:55], s[54:55], exec
	s_or_b64 s[52:53], s[52:53], s[54:55]
	s_and_b64 s[56:57], s[12:13], exec
; %bb.923:                              ;   in Loop: Header=BB1124_921 Depth=1
	s_or_b64 exec, exec, s[58:59]
	s_mov_b64 s[12:13], -1
	s_or_b64 s[50:51], s[50:51], exec
                                        ; implicit-def: $sgpr54_sgpr55
	s_and_saveexec_b64 s[58:59], s[56:57]
	s_cbranch_execz .LBB1124_920
; %bb.924:                              ;   in Loop: Header=BB1124_921 Depth=1
	v_lshl_add_u64 v[68:69], v[68:69], 0, -1
	v_cmp_eq_u64_e64 s[12:13], 0, v[68:69]
	v_lshl_add_u64 v[64:65], v[64:65], 0, 2
	v_lshl_add_u64 v[66:67], v[66:67], 0, 2
	s_and_b64 s[54:55], s[52:53], exec
	s_andn2_b64 s[50:51], s[50:51], exec
	s_orn2_b64 s[12:13], s[12:13], exec
	s_branch .LBB1124_920
.LBB1124_925:
	s_or_b64 exec, exec, s[46:47]
	s_and_saveexec_b64 s[12:13], s[48:49]
	s_xor_b64 s[12:13], exec, s[12:13]
; %bb.926:
	v_cndmask_b32_e64 v65, v13, v15, s[44:45]
	v_cndmask_b32_e64 v64, v12, v14, s[44:45]
	;; [unrolled: 1-line block ×4, first 2 shown]
	v_mov_b64_e32 v[12:13], v[64:65]
; %bb.927:
	s_or_b64 exec, exec, s[12:13]
	s_or_b64 exec, exec, s[42:43]
	s_and_saveexec_b64 s[42:43], s[36:37]
	s_cbranch_execz .LBB1124_867
.LBB1124_928:
	v_mul_lo_u32 v31, v27, v6
	v_mul_lo_u32 v66, v26, v7
	v_mad_u64_u32 v[64:65], s[12:13], v26, v6, 0
	v_add3_u32 v65, v65, v66, v31
	v_mul_lo_u32 v31, v21, v6
	v_mul_lo_u32 v68, v20, v7
	v_mad_u64_u32 v[66:67], s[12:13], v20, v6, 0
	v_add3_u32 v67, v67, v68, v31
	v_lshl_add_u64 v[64:65], v[64:65], 1, v[8:9]
	v_lshl_add_u64 v[66:67], v[66:67], 1, v[8:9]
	s_mov_b64 s[46:47], 0
	v_mov_b64_e32 v[68:69], v[6:7]
                                        ; implicit-def: $sgpr44_sgpr45
                                        ; implicit-def: $sgpr48_sgpr49
                                        ; implicit-def: $sgpr50_sgpr51
                                        ; implicit-def: $sgpr52_sgpr53
                                        ; implicit-def: $sgpr54_sgpr55
	s_branch .LBB1124_930
.LBB1124_929:                           ;   in Loop: Header=BB1124_930 Depth=1
	s_or_b64 exec, exec, s[58:59]
	s_and_b64 s[12:13], exec, s[12:13]
	s_or_b64 s[46:47], s[12:13], s[46:47]
	s_andn2_b64 s[12:13], s[48:49], exec
	s_and_b64 s[48:49], s[50:51], exec
	s_or_b64 s[48:49], s[12:13], s[48:49]
	s_andn2_b64 s[12:13], s[44:45], exec
	s_and_b64 s[44:45], s[52:53], exec
	s_or_b64 s[44:45], s[12:13], s[44:45]
	s_andn2_b64 exec, exec, s[46:47]
	s_cbranch_execz .LBB1124_934
.LBB1124_930:                           ; =>This Inner Loop Header: Depth=1
	flat_load_ushort v31, v[66:67]
	flat_load_ushort v70, v[64:65]
	s_or_b64 s[52:53], s[52:53], exec
	s_mov_b64 s[56:57], 0
	s_waitcnt vmcnt(0) lgkmcnt(0)
	v_lshlrev_b32_e32 v31, 16, v31
	v_lshlrev_b32_e32 v70, 16, v70
	v_cmp_nlt_f32_e64 s[12:13], v31, v70
	s_and_saveexec_b64 s[58:59], s[12:13]
; %bb.931:                              ;   in Loop: Header=BB1124_930 Depth=1
	v_cmp_ngt_f32_e64 s[12:13], v31, v70
	s_and_b64 s[54:55], s[12:13], s[54:55]
	s_andn2_b64 s[52:53], s[52:53], exec
	s_and_b64 s[54:55], s[54:55], exec
	s_or_b64 s[52:53], s[52:53], s[54:55]
	s_and_b64 s[56:57], s[12:13], exec
; %bb.932:                              ;   in Loop: Header=BB1124_930 Depth=1
	s_or_b64 exec, exec, s[58:59]
	s_mov_b64 s[12:13], -1
	s_or_b64 s[50:51], s[50:51], exec
                                        ; implicit-def: $sgpr54_sgpr55
	s_and_saveexec_b64 s[58:59], s[56:57]
	s_cbranch_execz .LBB1124_929
; %bb.933:                              ;   in Loop: Header=BB1124_930 Depth=1
	v_lshl_add_u64 v[68:69], v[68:69], 0, -1
	v_cmp_eq_u64_e64 s[12:13], 0, v[68:69]
	v_lshl_add_u64 v[64:65], v[64:65], 0, 2
	v_lshl_add_u64 v[66:67], v[66:67], 0, 2
	s_and_b64 s[54:55], s[52:53], exec
	s_andn2_b64 s[50:51], s[50:51], exec
	s_orn2_b64 s[12:13], s[12:13], exec
	s_branch .LBB1124_929
.LBB1124_934:
	s_or_b64 exec, exec, s[46:47]
	s_and_saveexec_b64 s[12:13], s[48:49]
	s_xor_b64 s[12:13], exec, s[12:13]
; %bb.935:
	v_cndmask_b32_e64 v65, v27, v21, s[44:45]
	v_cndmask_b32_e64 v64, v26, v20, s[44:45]
	;; [unrolled: 1-line block ×4, first 2 shown]
	v_mov_b64_e32 v[26:27], v[64:65]
; %bb.936:
	s_or_b64 exec, exec, s[12:13]
	s_or_b64 exec, exec, s[42:43]
	s_and_saveexec_b64 s[42:43], s[38:39]
	s_cbranch_execz .LBB1124_868
.LBB1124_937:
	v_mul_lo_u32 v31, v23, v6
	v_mul_lo_u32 v66, v22, v7
	v_mad_u64_u32 v[64:65], s[12:13], v22, v6, 0
	v_add3_u32 v65, v65, v66, v31
	v_mul_lo_u32 v31, v17, v6
	v_mul_lo_u32 v68, v16, v7
	v_mad_u64_u32 v[66:67], s[12:13], v16, v6, 0
	v_add3_u32 v67, v67, v68, v31
	v_lshl_add_u64 v[64:65], v[64:65], 1, v[8:9]
	v_lshl_add_u64 v[66:67], v[66:67], 1, v[8:9]
	s_mov_b64 s[46:47], 0
	v_mov_b64_e32 v[68:69], v[6:7]
                                        ; implicit-def: $sgpr44_sgpr45
                                        ; implicit-def: $sgpr48_sgpr49
                                        ; implicit-def: $sgpr50_sgpr51
                                        ; implicit-def: $sgpr52_sgpr53
                                        ; implicit-def: $sgpr54_sgpr55
	s_branch .LBB1124_939
.LBB1124_938:                           ;   in Loop: Header=BB1124_939 Depth=1
	s_or_b64 exec, exec, s[58:59]
	s_and_b64 s[12:13], exec, s[12:13]
	s_or_b64 s[46:47], s[12:13], s[46:47]
	s_andn2_b64 s[12:13], s[48:49], exec
	s_and_b64 s[48:49], s[50:51], exec
	s_or_b64 s[48:49], s[12:13], s[48:49]
	s_andn2_b64 s[12:13], s[44:45], exec
	s_and_b64 s[44:45], s[52:53], exec
	s_or_b64 s[44:45], s[12:13], s[44:45]
	s_andn2_b64 exec, exec, s[46:47]
	s_cbranch_execz .LBB1124_943
.LBB1124_939:                           ; =>This Inner Loop Header: Depth=1
	flat_load_ushort v31, v[66:67]
	flat_load_ushort v70, v[64:65]
	s_or_b64 s[52:53], s[52:53], exec
	s_mov_b64 s[56:57], 0
	s_waitcnt vmcnt(0) lgkmcnt(0)
	v_lshlrev_b32_e32 v31, 16, v31
	v_lshlrev_b32_e32 v70, 16, v70
	v_cmp_nlt_f32_e64 s[12:13], v31, v70
	s_and_saveexec_b64 s[58:59], s[12:13]
; %bb.940:                              ;   in Loop: Header=BB1124_939 Depth=1
	v_cmp_ngt_f32_e64 s[12:13], v31, v70
	s_and_b64 s[54:55], s[12:13], s[54:55]
	s_andn2_b64 s[52:53], s[52:53], exec
	s_and_b64 s[54:55], s[54:55], exec
	s_or_b64 s[52:53], s[52:53], s[54:55]
	s_and_b64 s[56:57], s[12:13], exec
; %bb.941:                              ;   in Loop: Header=BB1124_939 Depth=1
	s_or_b64 exec, exec, s[58:59]
	s_mov_b64 s[12:13], -1
	s_or_b64 s[50:51], s[50:51], exec
                                        ; implicit-def: $sgpr54_sgpr55
	s_and_saveexec_b64 s[58:59], s[56:57]
	s_cbranch_execz .LBB1124_938
; %bb.942:                              ;   in Loop: Header=BB1124_939 Depth=1
	v_lshl_add_u64 v[68:69], v[68:69], 0, -1
	v_cmp_eq_u64_e64 s[12:13], 0, v[68:69]
	v_lshl_add_u64 v[64:65], v[64:65], 0, 2
	v_lshl_add_u64 v[66:67], v[66:67], 0, 2
	s_and_b64 s[54:55], s[52:53], exec
	s_andn2_b64 s[50:51], s[50:51], exec
	s_orn2_b64 s[12:13], s[12:13], exec
	s_branch .LBB1124_938
.LBB1124_943:
	s_or_b64 exec, exec, s[46:47]
	s_and_saveexec_b64 s[12:13], s[48:49]
	s_xor_b64 s[12:13], exec, s[12:13]
; %bb.944:
	v_cndmask_b32_e64 v65, v23, v17, s[44:45]
	v_cndmask_b32_e64 v64, v22, v16, s[44:45]
	;; [unrolled: 1-line block ×4, first 2 shown]
	v_mov_b64_e32 v[22:23], v[64:65]
; %bb.945:
	s_or_b64 exec, exec, s[12:13]
	s_or_b64 exec, exec, s[42:43]
	s_and_saveexec_b64 s[42:43], s[40:41]
	s_cbranch_execz .LBB1124_869
.LBB1124_946:
	v_mul_lo_u32 v31, v19, v6
	v_mul_lo_u32 v66, v18, v7
	v_mad_u64_u32 v[64:65], s[12:13], v18, v6, 0
	v_add3_u32 v65, v65, v66, v31
	v_mul_lo_u32 v31, v13, v6
	v_mul_lo_u32 v68, v12, v7
	v_mad_u64_u32 v[66:67], s[12:13], v12, v6, 0
	v_add3_u32 v67, v67, v68, v31
	v_lshl_add_u64 v[64:65], v[64:65], 1, v[8:9]
	v_lshl_add_u64 v[66:67], v[66:67], 1, v[8:9]
	s_mov_b64 s[46:47], 0
	v_mov_b64_e32 v[68:69], v[6:7]
                                        ; implicit-def: $sgpr44_sgpr45
                                        ; implicit-def: $sgpr48_sgpr49
                                        ; implicit-def: $sgpr50_sgpr51
                                        ; implicit-def: $sgpr52_sgpr53
                                        ; implicit-def: $sgpr54_sgpr55
	s_branch .LBB1124_948
.LBB1124_947:                           ;   in Loop: Header=BB1124_948 Depth=1
	s_or_b64 exec, exec, s[58:59]
	s_and_b64 s[12:13], exec, s[12:13]
	s_or_b64 s[46:47], s[12:13], s[46:47]
	s_andn2_b64 s[12:13], s[48:49], exec
	s_and_b64 s[48:49], s[50:51], exec
	s_or_b64 s[48:49], s[12:13], s[48:49]
	s_andn2_b64 s[12:13], s[44:45], exec
	s_and_b64 s[44:45], s[52:53], exec
	s_or_b64 s[44:45], s[12:13], s[44:45]
	s_andn2_b64 exec, exec, s[46:47]
	s_cbranch_execz .LBB1124_952
.LBB1124_948:                           ; =>This Inner Loop Header: Depth=1
	flat_load_ushort v31, v[66:67]
	flat_load_ushort v70, v[64:65]
	s_or_b64 s[52:53], s[52:53], exec
	s_mov_b64 s[56:57], 0
	s_waitcnt vmcnt(0) lgkmcnt(0)
	v_lshlrev_b32_e32 v31, 16, v31
	v_lshlrev_b32_e32 v70, 16, v70
	v_cmp_nlt_f32_e64 s[12:13], v31, v70
	s_and_saveexec_b64 s[58:59], s[12:13]
; %bb.949:                              ;   in Loop: Header=BB1124_948 Depth=1
	v_cmp_ngt_f32_e64 s[12:13], v31, v70
	s_and_b64 s[54:55], s[12:13], s[54:55]
	s_andn2_b64 s[52:53], s[52:53], exec
	s_and_b64 s[54:55], s[54:55], exec
	s_or_b64 s[52:53], s[52:53], s[54:55]
	s_and_b64 s[56:57], s[12:13], exec
; %bb.950:                              ;   in Loop: Header=BB1124_948 Depth=1
	s_or_b64 exec, exec, s[58:59]
	s_mov_b64 s[12:13], -1
	s_or_b64 s[50:51], s[50:51], exec
                                        ; implicit-def: $sgpr54_sgpr55
	s_and_saveexec_b64 s[58:59], s[56:57]
	s_cbranch_execz .LBB1124_947
; %bb.951:                              ;   in Loop: Header=BB1124_948 Depth=1
	v_lshl_add_u64 v[68:69], v[68:69], 0, -1
	v_cmp_eq_u64_e64 s[12:13], 0, v[68:69]
	v_lshl_add_u64 v[64:65], v[64:65], 0, 2
	v_lshl_add_u64 v[66:67], v[66:67], 0, 2
	s_and_b64 s[54:55], s[52:53], exec
	s_andn2_b64 s[50:51], s[50:51], exec
	s_orn2_b64 s[12:13], s[12:13], exec
	s_branch .LBB1124_947
.LBB1124_952:
	s_or_b64 exec, exec, s[46:47]
	s_and_saveexec_b64 s[12:13], s[48:49]
	s_xor_b64 s[12:13], exec, s[12:13]
; %bb.953:
	v_cndmask_b32_e64 v65, v19, v13, s[44:45]
	v_cndmask_b32_e64 v64, v18, v12, s[44:45]
	;; [unrolled: 1-line block ×4, first 2 shown]
	v_mov_b64_e32 v[18:19], v[64:65]
; %bb.954:
	s_or_b64 exec, exec, s[12:13]
	s_or_b64 exec, exec, s[42:43]
	s_and_saveexec_b64 s[42:43], s[18:19]
	s_cbranch_execz .LBB1124_870
.LBB1124_955:
	v_mul_lo_u32 v31, v25, v6
	v_mul_lo_u32 v66, v24, v7
	v_mad_u64_u32 v[64:65], s[12:13], v24, v6, 0
	v_add3_u32 v65, v65, v66, v31
	v_mul_lo_u32 v31, v27, v6
	v_mul_lo_u32 v68, v26, v7
	v_mad_u64_u32 v[66:67], s[12:13], v26, v6, 0
	v_add3_u32 v67, v67, v68, v31
	v_lshl_add_u64 v[64:65], v[64:65], 1, v[8:9]
	v_lshl_add_u64 v[66:67], v[66:67], 1, v[8:9]
	s_mov_b64 s[46:47], 0
	v_mov_b64_e32 v[68:69], v[6:7]
                                        ; implicit-def: $sgpr44_sgpr45
                                        ; implicit-def: $sgpr48_sgpr49
                                        ; implicit-def: $sgpr50_sgpr51
                                        ; implicit-def: $sgpr52_sgpr53
                                        ; implicit-def: $sgpr54_sgpr55
	s_branch .LBB1124_957
.LBB1124_956:                           ;   in Loop: Header=BB1124_957 Depth=1
	s_or_b64 exec, exec, s[58:59]
	s_and_b64 s[12:13], exec, s[12:13]
	s_or_b64 s[46:47], s[12:13], s[46:47]
	s_andn2_b64 s[12:13], s[48:49], exec
	s_and_b64 s[48:49], s[50:51], exec
	s_or_b64 s[48:49], s[12:13], s[48:49]
	s_andn2_b64 s[12:13], s[44:45], exec
	s_and_b64 s[44:45], s[52:53], exec
	s_or_b64 s[44:45], s[12:13], s[44:45]
	s_andn2_b64 exec, exec, s[46:47]
	s_cbranch_execz .LBB1124_961
.LBB1124_957:                           ; =>This Inner Loop Header: Depth=1
	flat_load_ushort v31, v[66:67]
	flat_load_ushort v70, v[64:65]
	s_or_b64 s[52:53], s[52:53], exec
	s_mov_b64 s[56:57], 0
	s_waitcnt vmcnt(0) lgkmcnt(0)
	v_lshlrev_b32_e32 v31, 16, v31
	v_lshlrev_b32_e32 v70, 16, v70
	v_cmp_nlt_f32_e64 s[12:13], v31, v70
	s_and_saveexec_b64 s[58:59], s[12:13]
; %bb.958:                              ;   in Loop: Header=BB1124_957 Depth=1
	v_cmp_ngt_f32_e64 s[12:13], v31, v70
	s_and_b64 s[54:55], s[12:13], s[54:55]
	s_andn2_b64 s[52:53], s[52:53], exec
	s_and_b64 s[54:55], s[54:55], exec
	s_or_b64 s[52:53], s[52:53], s[54:55]
	s_and_b64 s[56:57], s[12:13], exec
; %bb.959:                              ;   in Loop: Header=BB1124_957 Depth=1
	s_or_b64 exec, exec, s[58:59]
	s_mov_b64 s[12:13], -1
	s_or_b64 s[50:51], s[50:51], exec
                                        ; implicit-def: $sgpr54_sgpr55
	s_and_saveexec_b64 s[58:59], s[56:57]
	s_cbranch_execz .LBB1124_956
; %bb.960:                              ;   in Loop: Header=BB1124_957 Depth=1
	v_lshl_add_u64 v[68:69], v[68:69], 0, -1
	v_cmp_eq_u64_e64 s[12:13], 0, v[68:69]
	v_lshl_add_u64 v[64:65], v[64:65], 0, 2
	v_lshl_add_u64 v[66:67], v[66:67], 0, 2
	s_and_b64 s[54:55], s[52:53], exec
	s_andn2_b64 s[50:51], s[50:51], exec
	s_orn2_b64 s[12:13], s[12:13], exec
	s_branch .LBB1124_956
.LBB1124_961:
	s_or_b64 exec, exec, s[46:47]
	s_and_saveexec_b64 s[12:13], s[48:49]
	s_xor_b64 s[12:13], exec, s[12:13]
; %bb.962:
	v_cndmask_b32_e64 v65, v27, v25, s[44:45]
	v_cndmask_b32_e64 v64, v26, v24, s[44:45]
	v_cndmask_b32_e64 v25, v25, v27, s[44:45]
	v_cndmask_b32_e64 v24, v24, v26, s[44:45]
	v_mov_b64_e32 v[26:27], v[64:65]
; %bb.963:
	s_or_b64 exec, exec, s[12:13]
	s_or_b64 exec, exec, s[42:43]
	s_and_saveexec_b64 s[42:43], s[28:29]
	s_cbranch_execz .LBB1124_871
.LBB1124_964:
	v_mul_lo_u32 v31, v21, v6
	v_mul_lo_u32 v66, v20, v7
	v_mad_u64_u32 v[64:65], s[12:13], v20, v6, 0
	v_add3_u32 v65, v65, v66, v31
	v_mul_lo_u32 v31, v23, v6
	v_mul_lo_u32 v68, v22, v7
	v_mad_u64_u32 v[66:67], s[12:13], v22, v6, 0
	v_add3_u32 v67, v67, v68, v31
	v_lshl_add_u64 v[64:65], v[64:65], 1, v[8:9]
	v_lshl_add_u64 v[66:67], v[66:67], 1, v[8:9]
	s_mov_b64 s[46:47], 0
	v_mov_b64_e32 v[68:69], v[6:7]
                                        ; implicit-def: $sgpr44_sgpr45
                                        ; implicit-def: $sgpr48_sgpr49
                                        ; implicit-def: $sgpr50_sgpr51
                                        ; implicit-def: $sgpr52_sgpr53
                                        ; implicit-def: $sgpr54_sgpr55
	s_branch .LBB1124_966
.LBB1124_965:                           ;   in Loop: Header=BB1124_966 Depth=1
	s_or_b64 exec, exec, s[58:59]
	s_and_b64 s[12:13], exec, s[12:13]
	s_or_b64 s[46:47], s[12:13], s[46:47]
	s_andn2_b64 s[12:13], s[48:49], exec
	s_and_b64 s[48:49], s[50:51], exec
	s_or_b64 s[48:49], s[12:13], s[48:49]
	s_andn2_b64 s[12:13], s[44:45], exec
	s_and_b64 s[44:45], s[52:53], exec
	s_or_b64 s[44:45], s[12:13], s[44:45]
	s_andn2_b64 exec, exec, s[46:47]
	s_cbranch_execz .LBB1124_970
.LBB1124_966:                           ; =>This Inner Loop Header: Depth=1
	flat_load_ushort v31, v[66:67]
	flat_load_ushort v70, v[64:65]
	s_or_b64 s[52:53], s[52:53], exec
	s_mov_b64 s[56:57], 0
	s_waitcnt vmcnt(0) lgkmcnt(0)
	v_lshlrev_b32_e32 v31, 16, v31
	v_lshlrev_b32_e32 v70, 16, v70
	v_cmp_nlt_f32_e64 s[12:13], v31, v70
	s_and_saveexec_b64 s[58:59], s[12:13]
; %bb.967:                              ;   in Loop: Header=BB1124_966 Depth=1
	v_cmp_ngt_f32_e64 s[12:13], v31, v70
	s_and_b64 s[54:55], s[12:13], s[54:55]
	s_andn2_b64 s[52:53], s[52:53], exec
	s_and_b64 s[54:55], s[54:55], exec
	s_or_b64 s[52:53], s[52:53], s[54:55]
	s_and_b64 s[56:57], s[12:13], exec
; %bb.968:                              ;   in Loop: Header=BB1124_966 Depth=1
	s_or_b64 exec, exec, s[58:59]
	s_mov_b64 s[12:13], -1
	s_or_b64 s[50:51], s[50:51], exec
                                        ; implicit-def: $sgpr54_sgpr55
	s_and_saveexec_b64 s[58:59], s[56:57]
	s_cbranch_execz .LBB1124_965
; %bb.969:                              ;   in Loop: Header=BB1124_966 Depth=1
	v_lshl_add_u64 v[68:69], v[68:69], 0, -1
	v_cmp_eq_u64_e64 s[12:13], 0, v[68:69]
	v_lshl_add_u64 v[64:65], v[64:65], 0, 2
	v_lshl_add_u64 v[66:67], v[66:67], 0, 2
	s_and_b64 s[54:55], s[52:53], exec
	s_andn2_b64 s[50:51], s[50:51], exec
	s_orn2_b64 s[12:13], s[12:13], exec
	s_branch .LBB1124_965
.LBB1124_970:
	s_or_b64 exec, exec, s[46:47]
	s_and_saveexec_b64 s[12:13], s[48:49]
	s_xor_b64 s[12:13], exec, s[12:13]
; %bb.971:
	v_cndmask_b32_e64 v65, v21, v23, s[44:45]
	v_cndmask_b32_e64 v64, v20, v22, s[44:45]
	;; [unrolled: 1-line block ×4, first 2 shown]
	v_mov_b64_e32 v[20:21], v[64:65]
; %bb.972:
	s_or_b64 exec, exec, s[12:13]
	s_or_b64 exec, exec, s[42:43]
	s_and_saveexec_b64 s[42:43], s[30:31]
	s_cbranch_execz .LBB1124_872
.LBB1124_973:
	v_mul_lo_u32 v31, v17, v6
	v_mul_lo_u32 v66, v16, v7
	v_mad_u64_u32 v[64:65], s[12:13], v16, v6, 0
	v_add3_u32 v65, v65, v66, v31
	v_mul_lo_u32 v31, v19, v6
	v_mul_lo_u32 v68, v18, v7
	v_mad_u64_u32 v[66:67], s[12:13], v18, v6, 0
	v_add3_u32 v67, v67, v68, v31
	v_lshl_add_u64 v[64:65], v[64:65], 1, v[8:9]
	v_lshl_add_u64 v[66:67], v[66:67], 1, v[8:9]
	s_mov_b64 s[46:47], 0
	v_mov_b64_e32 v[68:69], v[6:7]
                                        ; implicit-def: $sgpr44_sgpr45
                                        ; implicit-def: $sgpr48_sgpr49
                                        ; implicit-def: $sgpr50_sgpr51
                                        ; implicit-def: $sgpr52_sgpr53
                                        ; implicit-def: $sgpr54_sgpr55
	s_branch .LBB1124_975
.LBB1124_974:                           ;   in Loop: Header=BB1124_975 Depth=1
	s_or_b64 exec, exec, s[58:59]
	s_and_b64 s[12:13], exec, s[12:13]
	s_or_b64 s[46:47], s[12:13], s[46:47]
	s_andn2_b64 s[12:13], s[48:49], exec
	s_and_b64 s[48:49], s[50:51], exec
	s_or_b64 s[48:49], s[12:13], s[48:49]
	s_andn2_b64 s[12:13], s[44:45], exec
	s_and_b64 s[44:45], s[52:53], exec
	s_or_b64 s[44:45], s[12:13], s[44:45]
	s_andn2_b64 exec, exec, s[46:47]
	s_cbranch_execz .LBB1124_979
.LBB1124_975:                           ; =>This Inner Loop Header: Depth=1
	flat_load_ushort v31, v[66:67]
	flat_load_ushort v70, v[64:65]
	s_or_b64 s[52:53], s[52:53], exec
	s_mov_b64 s[56:57], 0
	s_waitcnt vmcnt(0) lgkmcnt(0)
	v_lshlrev_b32_e32 v31, 16, v31
	v_lshlrev_b32_e32 v70, 16, v70
	v_cmp_nlt_f32_e64 s[12:13], v31, v70
	s_and_saveexec_b64 s[58:59], s[12:13]
; %bb.976:                              ;   in Loop: Header=BB1124_975 Depth=1
	v_cmp_ngt_f32_e64 s[12:13], v31, v70
	s_and_b64 s[54:55], s[12:13], s[54:55]
	s_andn2_b64 s[52:53], s[52:53], exec
	s_and_b64 s[54:55], s[54:55], exec
	s_or_b64 s[52:53], s[52:53], s[54:55]
	s_and_b64 s[56:57], s[12:13], exec
; %bb.977:                              ;   in Loop: Header=BB1124_975 Depth=1
	s_or_b64 exec, exec, s[58:59]
	s_mov_b64 s[12:13], -1
	s_or_b64 s[50:51], s[50:51], exec
                                        ; implicit-def: $sgpr54_sgpr55
	s_and_saveexec_b64 s[58:59], s[56:57]
	s_cbranch_execz .LBB1124_974
; %bb.978:                              ;   in Loop: Header=BB1124_975 Depth=1
	v_lshl_add_u64 v[68:69], v[68:69], 0, -1
	v_cmp_eq_u64_e64 s[12:13], 0, v[68:69]
	v_lshl_add_u64 v[64:65], v[64:65], 0, 2
	v_lshl_add_u64 v[66:67], v[66:67], 0, 2
	s_and_b64 s[54:55], s[52:53], exec
	s_andn2_b64 s[50:51], s[50:51], exec
	s_orn2_b64 s[12:13], s[12:13], exec
	s_branch .LBB1124_974
.LBB1124_979:
	s_or_b64 exec, exec, s[46:47]
	s_and_saveexec_b64 s[12:13], s[48:49]
	s_xor_b64 s[12:13], exec, s[12:13]
; %bb.980:
	v_cndmask_b32_e64 v65, v17, v19, s[44:45]
	v_cndmask_b32_e64 v64, v16, v18, s[44:45]
	;; [unrolled: 1-line block ×4, first 2 shown]
	v_mov_b64_e32 v[16:17], v[64:65]
; %bb.981:
	s_or_b64 exec, exec, s[12:13]
	s_or_b64 exec, exec, s[42:43]
	s_and_saveexec_b64 s[42:43], s[34:35]
	s_cbranch_execz .LBB1124_873
.LBB1124_982:
	v_mul_lo_u32 v31, v13, v6
	v_mul_lo_u32 v66, v12, v7
	v_mad_u64_u32 v[64:65], s[12:13], v12, v6, 0
	v_add3_u32 v65, v65, v66, v31
	v_mul_lo_u32 v31, v15, v6
	v_mul_lo_u32 v68, v14, v7
	v_mad_u64_u32 v[66:67], s[12:13], v14, v6, 0
	v_add3_u32 v67, v67, v68, v31
	v_lshl_add_u64 v[64:65], v[64:65], 1, v[8:9]
	v_lshl_add_u64 v[66:67], v[66:67], 1, v[8:9]
	s_mov_b64 s[46:47], 0
	v_mov_b64_e32 v[68:69], v[6:7]
                                        ; implicit-def: $sgpr44_sgpr45
                                        ; implicit-def: $sgpr48_sgpr49
                                        ; implicit-def: $sgpr50_sgpr51
                                        ; implicit-def: $sgpr52_sgpr53
                                        ; implicit-def: $sgpr54_sgpr55
	s_branch .LBB1124_984
.LBB1124_983:                           ;   in Loop: Header=BB1124_984 Depth=1
	s_or_b64 exec, exec, s[58:59]
	s_and_b64 s[12:13], exec, s[12:13]
	s_or_b64 s[46:47], s[12:13], s[46:47]
	s_andn2_b64 s[12:13], s[48:49], exec
	s_and_b64 s[48:49], s[50:51], exec
	s_or_b64 s[48:49], s[12:13], s[48:49]
	s_andn2_b64 s[12:13], s[44:45], exec
	s_and_b64 s[44:45], s[52:53], exec
	s_or_b64 s[44:45], s[12:13], s[44:45]
	s_andn2_b64 exec, exec, s[46:47]
	s_cbranch_execz .LBB1124_988
.LBB1124_984:                           ; =>This Inner Loop Header: Depth=1
	flat_load_ushort v31, v[66:67]
	flat_load_ushort v70, v[64:65]
	s_or_b64 s[52:53], s[52:53], exec
	s_mov_b64 s[56:57], 0
	s_waitcnt vmcnt(0) lgkmcnt(0)
	v_lshlrev_b32_e32 v31, 16, v31
	v_lshlrev_b32_e32 v70, 16, v70
	v_cmp_nlt_f32_e64 s[12:13], v31, v70
	s_and_saveexec_b64 s[58:59], s[12:13]
; %bb.985:                              ;   in Loop: Header=BB1124_984 Depth=1
	v_cmp_ngt_f32_e64 s[12:13], v31, v70
	s_and_b64 s[54:55], s[12:13], s[54:55]
	s_andn2_b64 s[52:53], s[52:53], exec
	s_and_b64 s[54:55], s[54:55], exec
	s_or_b64 s[52:53], s[52:53], s[54:55]
	s_and_b64 s[56:57], s[12:13], exec
; %bb.986:                              ;   in Loop: Header=BB1124_984 Depth=1
	s_or_b64 exec, exec, s[58:59]
	s_mov_b64 s[12:13], -1
	s_or_b64 s[50:51], s[50:51], exec
                                        ; implicit-def: $sgpr54_sgpr55
	s_and_saveexec_b64 s[58:59], s[56:57]
	s_cbranch_execz .LBB1124_983
; %bb.987:                              ;   in Loop: Header=BB1124_984 Depth=1
	v_lshl_add_u64 v[68:69], v[68:69], 0, -1
	v_cmp_eq_u64_e64 s[12:13], 0, v[68:69]
	v_lshl_add_u64 v[64:65], v[64:65], 0, 2
	v_lshl_add_u64 v[66:67], v[66:67], 0, 2
	s_and_b64 s[54:55], s[52:53], exec
	s_andn2_b64 s[50:51], s[50:51], exec
	s_orn2_b64 s[12:13], s[12:13], exec
	s_branch .LBB1124_983
.LBB1124_988:
	s_or_b64 exec, exec, s[46:47]
	s_and_saveexec_b64 s[12:13], s[48:49]
	s_xor_b64 s[12:13], exec, s[12:13]
; %bb.989:
	v_cndmask_b32_e64 v65, v13, v15, s[44:45]
	v_cndmask_b32_e64 v64, v12, v14, s[44:45]
	;; [unrolled: 1-line block ×4, first 2 shown]
	v_mov_b64_e32 v[12:13], v[64:65]
; %bb.990:
	s_or_b64 exec, exec, s[12:13]
	s_or_b64 exec, exec, s[42:43]
	s_and_saveexec_b64 s[42:43], s[36:37]
	s_cbranch_execz .LBB1124_874
.LBB1124_991:
	v_mul_lo_u32 v31, v27, v6
	v_mul_lo_u32 v66, v26, v7
	v_mad_u64_u32 v[64:65], s[12:13], v26, v6, 0
	v_add3_u32 v65, v65, v66, v31
	v_mul_lo_u32 v31, v21, v6
	v_mul_lo_u32 v68, v20, v7
	v_mad_u64_u32 v[66:67], s[12:13], v20, v6, 0
	v_add3_u32 v67, v67, v68, v31
	v_lshl_add_u64 v[64:65], v[64:65], 1, v[8:9]
	v_lshl_add_u64 v[66:67], v[66:67], 1, v[8:9]
	s_mov_b64 s[46:47], 0
	v_mov_b64_e32 v[68:69], v[6:7]
                                        ; implicit-def: $sgpr44_sgpr45
                                        ; implicit-def: $sgpr48_sgpr49
                                        ; implicit-def: $sgpr50_sgpr51
                                        ; implicit-def: $sgpr52_sgpr53
                                        ; implicit-def: $sgpr54_sgpr55
	s_branch .LBB1124_993
.LBB1124_992:                           ;   in Loop: Header=BB1124_993 Depth=1
	s_or_b64 exec, exec, s[58:59]
	s_and_b64 s[12:13], exec, s[12:13]
	s_or_b64 s[46:47], s[12:13], s[46:47]
	s_andn2_b64 s[12:13], s[48:49], exec
	s_and_b64 s[48:49], s[50:51], exec
	s_or_b64 s[48:49], s[12:13], s[48:49]
	s_andn2_b64 s[12:13], s[44:45], exec
	s_and_b64 s[44:45], s[52:53], exec
	s_or_b64 s[44:45], s[12:13], s[44:45]
	s_andn2_b64 exec, exec, s[46:47]
	s_cbranch_execz .LBB1124_997
.LBB1124_993:                           ; =>This Inner Loop Header: Depth=1
	flat_load_ushort v31, v[66:67]
	flat_load_ushort v70, v[64:65]
	s_or_b64 s[52:53], s[52:53], exec
	s_mov_b64 s[56:57], 0
	s_waitcnt vmcnt(0) lgkmcnt(0)
	v_lshlrev_b32_e32 v31, 16, v31
	v_lshlrev_b32_e32 v70, 16, v70
	v_cmp_nlt_f32_e64 s[12:13], v31, v70
	s_and_saveexec_b64 s[58:59], s[12:13]
; %bb.994:                              ;   in Loop: Header=BB1124_993 Depth=1
	v_cmp_ngt_f32_e64 s[12:13], v31, v70
	s_and_b64 s[54:55], s[12:13], s[54:55]
	s_andn2_b64 s[52:53], s[52:53], exec
	s_and_b64 s[54:55], s[54:55], exec
	s_or_b64 s[52:53], s[52:53], s[54:55]
	s_and_b64 s[56:57], s[12:13], exec
; %bb.995:                              ;   in Loop: Header=BB1124_993 Depth=1
	s_or_b64 exec, exec, s[58:59]
	s_mov_b64 s[12:13], -1
	s_or_b64 s[50:51], s[50:51], exec
                                        ; implicit-def: $sgpr54_sgpr55
	s_and_saveexec_b64 s[58:59], s[56:57]
	s_cbranch_execz .LBB1124_992
; %bb.996:                              ;   in Loop: Header=BB1124_993 Depth=1
	v_lshl_add_u64 v[68:69], v[68:69], 0, -1
	v_cmp_eq_u64_e64 s[12:13], 0, v[68:69]
	v_lshl_add_u64 v[64:65], v[64:65], 0, 2
	v_lshl_add_u64 v[66:67], v[66:67], 0, 2
	s_and_b64 s[54:55], s[52:53], exec
	s_andn2_b64 s[50:51], s[50:51], exec
	s_orn2_b64 s[12:13], s[12:13], exec
	s_branch .LBB1124_992
.LBB1124_997:
	s_or_b64 exec, exec, s[46:47]
	s_and_saveexec_b64 s[12:13], s[48:49]
	s_xor_b64 s[12:13], exec, s[12:13]
; %bb.998:
	v_cndmask_b32_e64 v65, v27, v21, s[44:45]
	v_cndmask_b32_e64 v64, v26, v20, s[44:45]
	;; [unrolled: 1-line block ×4, first 2 shown]
	v_mov_b64_e32 v[26:27], v[64:65]
; %bb.999:
	s_or_b64 exec, exec, s[12:13]
	s_or_b64 exec, exec, s[42:43]
	s_and_saveexec_b64 s[42:43], s[38:39]
	s_cbranch_execz .LBB1124_875
.LBB1124_1000:
	v_mul_lo_u32 v31, v23, v6
	v_mul_lo_u32 v66, v22, v7
	v_mad_u64_u32 v[64:65], s[12:13], v22, v6, 0
	v_add3_u32 v65, v65, v66, v31
	v_mul_lo_u32 v31, v17, v6
	v_mul_lo_u32 v68, v16, v7
	v_mad_u64_u32 v[66:67], s[12:13], v16, v6, 0
	v_add3_u32 v67, v67, v68, v31
	v_lshl_add_u64 v[64:65], v[64:65], 1, v[8:9]
	v_lshl_add_u64 v[66:67], v[66:67], 1, v[8:9]
	s_mov_b64 s[46:47], 0
	v_mov_b64_e32 v[68:69], v[6:7]
                                        ; implicit-def: $sgpr44_sgpr45
                                        ; implicit-def: $sgpr48_sgpr49
                                        ; implicit-def: $sgpr50_sgpr51
                                        ; implicit-def: $sgpr52_sgpr53
                                        ; implicit-def: $sgpr54_sgpr55
	s_branch .LBB1124_1002
.LBB1124_1001:                          ;   in Loop: Header=BB1124_1002 Depth=1
	s_or_b64 exec, exec, s[58:59]
	s_and_b64 s[12:13], exec, s[12:13]
	s_or_b64 s[46:47], s[12:13], s[46:47]
	s_andn2_b64 s[12:13], s[48:49], exec
	s_and_b64 s[48:49], s[50:51], exec
	s_or_b64 s[48:49], s[12:13], s[48:49]
	s_andn2_b64 s[12:13], s[44:45], exec
	s_and_b64 s[44:45], s[52:53], exec
	s_or_b64 s[44:45], s[12:13], s[44:45]
	s_andn2_b64 exec, exec, s[46:47]
	s_cbranch_execz .LBB1124_1006
.LBB1124_1002:                          ; =>This Inner Loop Header: Depth=1
	flat_load_ushort v31, v[66:67]
	flat_load_ushort v70, v[64:65]
	s_or_b64 s[52:53], s[52:53], exec
	s_mov_b64 s[56:57], 0
	s_waitcnt vmcnt(0) lgkmcnt(0)
	v_lshlrev_b32_e32 v31, 16, v31
	v_lshlrev_b32_e32 v70, 16, v70
	v_cmp_nlt_f32_e64 s[12:13], v31, v70
	s_and_saveexec_b64 s[58:59], s[12:13]
; %bb.1003:                             ;   in Loop: Header=BB1124_1002 Depth=1
	v_cmp_ngt_f32_e64 s[12:13], v31, v70
	s_and_b64 s[54:55], s[12:13], s[54:55]
	s_andn2_b64 s[52:53], s[52:53], exec
	s_and_b64 s[54:55], s[54:55], exec
	s_or_b64 s[52:53], s[52:53], s[54:55]
	s_and_b64 s[56:57], s[12:13], exec
; %bb.1004:                             ;   in Loop: Header=BB1124_1002 Depth=1
	s_or_b64 exec, exec, s[58:59]
	s_mov_b64 s[12:13], -1
	s_or_b64 s[50:51], s[50:51], exec
                                        ; implicit-def: $sgpr54_sgpr55
	s_and_saveexec_b64 s[58:59], s[56:57]
	s_cbranch_execz .LBB1124_1001
; %bb.1005:                             ;   in Loop: Header=BB1124_1002 Depth=1
	v_lshl_add_u64 v[68:69], v[68:69], 0, -1
	v_cmp_eq_u64_e64 s[12:13], 0, v[68:69]
	v_lshl_add_u64 v[64:65], v[64:65], 0, 2
	v_lshl_add_u64 v[66:67], v[66:67], 0, 2
	s_and_b64 s[54:55], s[52:53], exec
	s_andn2_b64 s[50:51], s[50:51], exec
	s_orn2_b64 s[12:13], s[12:13], exec
	s_branch .LBB1124_1001
.LBB1124_1006:
	s_or_b64 exec, exec, s[46:47]
	s_and_saveexec_b64 s[12:13], s[48:49]
	s_xor_b64 s[12:13], exec, s[12:13]
; %bb.1007:
	v_cndmask_b32_e64 v65, v23, v17, s[44:45]
	v_cndmask_b32_e64 v64, v22, v16, s[44:45]
	;; [unrolled: 1-line block ×4, first 2 shown]
	v_mov_b64_e32 v[22:23], v[64:65]
; %bb.1008:
	s_or_b64 exec, exec, s[12:13]
	s_or_b64 exec, exec, s[42:43]
	s_and_saveexec_b64 s[42:43], s[40:41]
	s_cbranch_execz .LBB1124_876
.LBB1124_1009:
	v_mul_lo_u32 v31, v19, v6
	v_mul_lo_u32 v66, v18, v7
	v_mad_u64_u32 v[64:65], s[12:13], v18, v6, 0
	v_add3_u32 v65, v65, v66, v31
	v_mul_lo_u32 v31, v13, v6
	v_mul_lo_u32 v68, v12, v7
	v_mad_u64_u32 v[66:67], s[12:13], v12, v6, 0
	v_add3_u32 v67, v67, v68, v31
	v_lshl_add_u64 v[64:65], v[64:65], 1, v[8:9]
	v_lshl_add_u64 v[66:67], v[66:67], 1, v[8:9]
	s_mov_b64 s[46:47], 0
	v_mov_b64_e32 v[68:69], v[6:7]
                                        ; implicit-def: $sgpr44_sgpr45
                                        ; implicit-def: $sgpr48_sgpr49
                                        ; implicit-def: $sgpr50_sgpr51
                                        ; implicit-def: $sgpr52_sgpr53
                                        ; implicit-def: $sgpr54_sgpr55
	s_branch .LBB1124_1011
.LBB1124_1010:                          ;   in Loop: Header=BB1124_1011 Depth=1
	s_or_b64 exec, exec, s[58:59]
	s_and_b64 s[12:13], exec, s[12:13]
	s_or_b64 s[46:47], s[12:13], s[46:47]
	s_andn2_b64 s[12:13], s[48:49], exec
	s_and_b64 s[48:49], s[50:51], exec
	s_or_b64 s[48:49], s[12:13], s[48:49]
	s_andn2_b64 s[12:13], s[44:45], exec
	s_and_b64 s[44:45], s[52:53], exec
	s_or_b64 s[44:45], s[12:13], s[44:45]
	s_andn2_b64 exec, exec, s[46:47]
	s_cbranch_execz .LBB1124_1015
.LBB1124_1011:                          ; =>This Inner Loop Header: Depth=1
	flat_load_ushort v31, v[66:67]
	flat_load_ushort v70, v[64:65]
	s_or_b64 s[52:53], s[52:53], exec
	s_mov_b64 s[56:57], 0
	s_waitcnt vmcnt(0) lgkmcnt(0)
	v_lshlrev_b32_e32 v31, 16, v31
	v_lshlrev_b32_e32 v70, 16, v70
	v_cmp_nlt_f32_e64 s[12:13], v31, v70
	s_and_saveexec_b64 s[58:59], s[12:13]
; %bb.1012:                             ;   in Loop: Header=BB1124_1011 Depth=1
	v_cmp_ngt_f32_e64 s[12:13], v31, v70
	s_and_b64 s[54:55], s[12:13], s[54:55]
	s_andn2_b64 s[52:53], s[52:53], exec
	s_and_b64 s[54:55], s[54:55], exec
	s_or_b64 s[52:53], s[52:53], s[54:55]
	s_and_b64 s[56:57], s[12:13], exec
; %bb.1013:                             ;   in Loop: Header=BB1124_1011 Depth=1
	s_or_b64 exec, exec, s[58:59]
	s_mov_b64 s[12:13], -1
	s_or_b64 s[50:51], s[50:51], exec
                                        ; implicit-def: $sgpr54_sgpr55
	s_and_saveexec_b64 s[58:59], s[56:57]
	s_cbranch_execz .LBB1124_1010
; %bb.1014:                             ;   in Loop: Header=BB1124_1011 Depth=1
	v_lshl_add_u64 v[68:69], v[68:69], 0, -1
	v_cmp_eq_u64_e64 s[12:13], 0, v[68:69]
	v_lshl_add_u64 v[64:65], v[64:65], 0, 2
	v_lshl_add_u64 v[66:67], v[66:67], 0, 2
	s_and_b64 s[54:55], s[52:53], exec
	s_andn2_b64 s[50:51], s[50:51], exec
	s_orn2_b64 s[12:13], s[12:13], exec
	s_branch .LBB1124_1010
.LBB1124_1015:
	s_or_b64 exec, exec, s[46:47]
	s_and_saveexec_b64 s[12:13], s[48:49]
	s_xor_b64 s[12:13], exec, s[12:13]
; %bb.1016:
	v_cndmask_b32_e64 v65, v19, v13, s[44:45]
	v_cndmask_b32_e64 v64, v18, v12, s[44:45]
	;; [unrolled: 1-line block ×4, first 2 shown]
	v_mov_b64_e32 v[18:19], v[64:65]
; %bb.1017:
	s_or_b64 exec, exec, s[12:13]
	s_or_b64 exec, exec, s[42:43]
	s_and_saveexec_b64 s[42:43], s[18:19]
	s_cbranch_execz .LBB1124_877
.LBB1124_1018:
	v_mul_lo_u32 v31, v25, v6
	v_mul_lo_u32 v66, v24, v7
	v_mad_u64_u32 v[64:65], s[12:13], v24, v6, 0
	v_add3_u32 v65, v65, v66, v31
	v_mul_lo_u32 v31, v27, v6
	v_mul_lo_u32 v68, v26, v7
	v_mad_u64_u32 v[66:67], s[12:13], v26, v6, 0
	v_add3_u32 v67, v67, v68, v31
	v_lshl_add_u64 v[64:65], v[64:65], 1, v[8:9]
	v_lshl_add_u64 v[66:67], v[66:67], 1, v[8:9]
	s_mov_b64 s[44:45], 0
	v_mov_b64_e32 v[68:69], v[6:7]
                                        ; implicit-def: $sgpr18_sgpr19
                                        ; implicit-def: $sgpr46_sgpr47
                                        ; implicit-def: $sgpr48_sgpr49
                                        ; implicit-def: $sgpr50_sgpr51
                                        ; implicit-def: $sgpr52_sgpr53
	s_branch .LBB1124_1020
.LBB1124_1019:                          ;   in Loop: Header=BB1124_1020 Depth=1
	s_or_b64 exec, exec, s[56:57]
	s_and_b64 s[12:13], exec, s[12:13]
	s_or_b64 s[44:45], s[12:13], s[44:45]
	s_andn2_b64 s[12:13], s[46:47], exec
	s_and_b64 s[46:47], s[48:49], exec
	s_or_b64 s[46:47], s[12:13], s[46:47]
	s_andn2_b64 s[12:13], s[18:19], exec
	s_and_b64 s[18:19], s[50:51], exec
	s_or_b64 s[18:19], s[12:13], s[18:19]
	s_andn2_b64 exec, exec, s[44:45]
	s_cbranch_execz .LBB1124_1024
.LBB1124_1020:                          ; =>This Inner Loop Header: Depth=1
	flat_load_ushort v31, v[66:67]
	flat_load_ushort v70, v[64:65]
	s_or_b64 s[50:51], s[50:51], exec
	s_mov_b64 s[54:55], 0
	s_waitcnt vmcnt(0) lgkmcnt(0)
	v_lshlrev_b32_e32 v31, 16, v31
	v_lshlrev_b32_e32 v70, 16, v70
	v_cmp_nlt_f32_e64 s[12:13], v31, v70
	s_and_saveexec_b64 s[56:57], s[12:13]
; %bb.1021:                             ;   in Loop: Header=BB1124_1020 Depth=1
	v_cmp_ngt_f32_e64 s[12:13], v31, v70
	s_and_b64 s[52:53], s[12:13], s[52:53]
	s_andn2_b64 s[50:51], s[50:51], exec
	s_and_b64 s[52:53], s[52:53], exec
	s_or_b64 s[50:51], s[50:51], s[52:53]
	s_and_b64 s[54:55], s[12:13], exec
; %bb.1022:                             ;   in Loop: Header=BB1124_1020 Depth=1
	s_or_b64 exec, exec, s[56:57]
	s_mov_b64 s[12:13], -1
	s_or_b64 s[48:49], s[48:49], exec
                                        ; implicit-def: $sgpr52_sgpr53
	s_and_saveexec_b64 s[56:57], s[54:55]
	s_cbranch_execz .LBB1124_1019
; %bb.1023:                             ;   in Loop: Header=BB1124_1020 Depth=1
	v_lshl_add_u64 v[68:69], v[68:69], 0, -1
	v_cmp_eq_u64_e64 s[12:13], 0, v[68:69]
	v_lshl_add_u64 v[64:65], v[64:65], 0, 2
	v_lshl_add_u64 v[66:67], v[66:67], 0, 2
	s_and_b64 s[52:53], s[50:51], exec
	s_andn2_b64 s[48:49], s[48:49], exec
	s_orn2_b64 s[12:13], s[12:13], exec
	s_branch .LBB1124_1019
.LBB1124_1024:
	s_or_b64 exec, exec, s[44:45]
	s_and_saveexec_b64 s[12:13], s[46:47]
	s_xor_b64 s[12:13], exec, s[12:13]
; %bb.1025:
	v_cndmask_b32_e64 v65, v27, v25, s[18:19]
	v_cndmask_b32_e64 v64, v26, v24, s[18:19]
	;; [unrolled: 1-line block ×4, first 2 shown]
	v_mov_b64_e32 v[26:27], v[64:65]
; %bb.1026:
	s_or_b64 exec, exec, s[12:13]
	s_or_b64 exec, exec, s[42:43]
	s_and_saveexec_b64 s[18:19], s[28:29]
	s_cbranch_execz .LBB1124_878
.LBB1124_1027:
	v_mul_lo_u32 v31, v21, v6
	v_mul_lo_u32 v66, v20, v7
	v_mad_u64_u32 v[64:65], s[12:13], v20, v6, 0
	v_add3_u32 v65, v65, v66, v31
	v_mul_lo_u32 v31, v23, v6
	v_mul_lo_u32 v68, v22, v7
	v_mad_u64_u32 v[66:67], s[12:13], v22, v6, 0
	v_add3_u32 v67, v67, v68, v31
	v_lshl_add_u64 v[64:65], v[64:65], 1, v[8:9]
	v_lshl_add_u64 v[66:67], v[66:67], 1, v[8:9]
	s_mov_b64 s[42:43], 0
	v_mov_b64_e32 v[68:69], v[6:7]
                                        ; implicit-def: $sgpr28_sgpr29
                                        ; implicit-def: $sgpr44_sgpr45
                                        ; implicit-def: $sgpr46_sgpr47
                                        ; implicit-def: $sgpr48_sgpr49
                                        ; implicit-def: $sgpr50_sgpr51
	s_branch .LBB1124_1029
.LBB1124_1028:                          ;   in Loop: Header=BB1124_1029 Depth=1
	s_or_b64 exec, exec, s[54:55]
	s_and_b64 s[12:13], exec, s[12:13]
	s_or_b64 s[42:43], s[12:13], s[42:43]
	s_andn2_b64 s[12:13], s[44:45], exec
	s_and_b64 s[44:45], s[46:47], exec
	s_or_b64 s[44:45], s[12:13], s[44:45]
	s_andn2_b64 s[12:13], s[28:29], exec
	s_and_b64 s[28:29], s[48:49], exec
	s_or_b64 s[28:29], s[12:13], s[28:29]
	s_andn2_b64 exec, exec, s[42:43]
	s_cbranch_execz .LBB1124_1033
.LBB1124_1029:                          ; =>This Inner Loop Header: Depth=1
	flat_load_ushort v31, v[66:67]
	flat_load_ushort v70, v[64:65]
	s_or_b64 s[48:49], s[48:49], exec
	s_mov_b64 s[52:53], 0
	s_waitcnt vmcnt(0) lgkmcnt(0)
	v_lshlrev_b32_e32 v31, 16, v31
	v_lshlrev_b32_e32 v70, 16, v70
	v_cmp_nlt_f32_e64 s[12:13], v31, v70
	s_and_saveexec_b64 s[54:55], s[12:13]
; %bb.1030:                             ;   in Loop: Header=BB1124_1029 Depth=1
	v_cmp_ngt_f32_e64 s[12:13], v31, v70
	s_and_b64 s[50:51], s[12:13], s[50:51]
	s_andn2_b64 s[48:49], s[48:49], exec
	s_and_b64 s[50:51], s[50:51], exec
	s_or_b64 s[48:49], s[48:49], s[50:51]
	s_and_b64 s[52:53], s[12:13], exec
; %bb.1031:                             ;   in Loop: Header=BB1124_1029 Depth=1
	s_or_b64 exec, exec, s[54:55]
	s_mov_b64 s[12:13], -1
	s_or_b64 s[46:47], s[46:47], exec
                                        ; implicit-def: $sgpr50_sgpr51
	s_and_saveexec_b64 s[54:55], s[52:53]
	s_cbranch_execz .LBB1124_1028
; %bb.1032:                             ;   in Loop: Header=BB1124_1029 Depth=1
	v_lshl_add_u64 v[68:69], v[68:69], 0, -1
	v_cmp_eq_u64_e64 s[12:13], 0, v[68:69]
	v_lshl_add_u64 v[64:65], v[64:65], 0, 2
	v_lshl_add_u64 v[66:67], v[66:67], 0, 2
	s_and_b64 s[50:51], s[48:49], exec
	s_andn2_b64 s[46:47], s[46:47], exec
	s_orn2_b64 s[12:13], s[12:13], exec
	s_branch .LBB1124_1028
.LBB1124_1033:
	s_or_b64 exec, exec, s[42:43]
	s_and_saveexec_b64 s[12:13], s[44:45]
	s_xor_b64 s[12:13], exec, s[12:13]
; %bb.1034:
	v_cndmask_b32_e64 v65, v21, v23, s[28:29]
	v_cndmask_b32_e64 v64, v20, v22, s[28:29]
	;; [unrolled: 1-line block ×4, first 2 shown]
	v_mov_b64_e32 v[20:21], v[64:65]
; %bb.1035:
	s_or_b64 exec, exec, s[12:13]
	s_or_b64 exec, exec, s[18:19]
	s_and_saveexec_b64 s[18:19], s[30:31]
	s_cbranch_execz .LBB1124_879
.LBB1124_1036:
	v_mul_lo_u32 v31, v17, v6
	v_mul_lo_u32 v66, v16, v7
	v_mad_u64_u32 v[64:65], s[12:13], v16, v6, 0
	v_add3_u32 v65, v65, v66, v31
	v_mul_lo_u32 v31, v19, v6
	v_mul_lo_u32 v68, v18, v7
	v_mad_u64_u32 v[66:67], s[12:13], v18, v6, 0
	v_add3_u32 v67, v67, v68, v31
	v_lshl_add_u64 v[64:65], v[64:65], 1, v[8:9]
	v_lshl_add_u64 v[66:67], v[66:67], 1, v[8:9]
	s_mov_b64 s[30:31], 0
	v_mov_b64_e32 v[68:69], v[6:7]
                                        ; implicit-def: $sgpr28_sgpr29
                                        ; implicit-def: $sgpr42_sgpr43
                                        ; implicit-def: $sgpr44_sgpr45
                                        ; implicit-def: $sgpr46_sgpr47
                                        ; implicit-def: $sgpr48_sgpr49
	s_branch .LBB1124_1038
.LBB1124_1037:                          ;   in Loop: Header=BB1124_1038 Depth=1
	s_or_b64 exec, exec, s[52:53]
	s_and_b64 s[12:13], exec, s[12:13]
	s_or_b64 s[30:31], s[12:13], s[30:31]
	s_andn2_b64 s[12:13], s[42:43], exec
	s_and_b64 s[42:43], s[44:45], exec
	s_or_b64 s[42:43], s[12:13], s[42:43]
	s_andn2_b64 s[12:13], s[28:29], exec
	s_and_b64 s[28:29], s[46:47], exec
	s_or_b64 s[28:29], s[12:13], s[28:29]
	s_andn2_b64 exec, exec, s[30:31]
	s_cbranch_execz .LBB1124_1042
.LBB1124_1038:                          ; =>This Inner Loop Header: Depth=1
	flat_load_ushort v31, v[66:67]
	flat_load_ushort v70, v[64:65]
	s_or_b64 s[46:47], s[46:47], exec
	s_mov_b64 s[50:51], 0
	s_waitcnt vmcnt(0) lgkmcnt(0)
	v_lshlrev_b32_e32 v31, 16, v31
	v_lshlrev_b32_e32 v70, 16, v70
	v_cmp_nlt_f32_e64 s[12:13], v31, v70
	s_and_saveexec_b64 s[52:53], s[12:13]
; %bb.1039:                             ;   in Loop: Header=BB1124_1038 Depth=1
	v_cmp_ngt_f32_e64 s[12:13], v31, v70
	s_and_b64 s[48:49], s[12:13], s[48:49]
	s_andn2_b64 s[46:47], s[46:47], exec
	s_and_b64 s[48:49], s[48:49], exec
	s_or_b64 s[46:47], s[46:47], s[48:49]
	s_and_b64 s[50:51], s[12:13], exec
; %bb.1040:                             ;   in Loop: Header=BB1124_1038 Depth=1
	s_or_b64 exec, exec, s[52:53]
	s_mov_b64 s[12:13], -1
	s_or_b64 s[44:45], s[44:45], exec
                                        ; implicit-def: $sgpr48_sgpr49
	s_and_saveexec_b64 s[52:53], s[50:51]
	s_cbranch_execz .LBB1124_1037
; %bb.1041:                             ;   in Loop: Header=BB1124_1038 Depth=1
	v_lshl_add_u64 v[68:69], v[68:69], 0, -1
	v_cmp_eq_u64_e64 s[12:13], 0, v[68:69]
	v_lshl_add_u64 v[64:65], v[64:65], 0, 2
	v_lshl_add_u64 v[66:67], v[66:67], 0, 2
	s_and_b64 s[48:49], s[46:47], exec
	s_andn2_b64 s[44:45], s[44:45], exec
	s_orn2_b64 s[12:13], s[12:13], exec
	s_branch .LBB1124_1037
.LBB1124_1042:
	s_or_b64 exec, exec, s[30:31]
	s_and_saveexec_b64 s[12:13], s[42:43]
	s_xor_b64 s[12:13], exec, s[12:13]
; %bb.1043:
	v_cndmask_b32_e64 v65, v17, v19, s[28:29]
	v_cndmask_b32_e64 v64, v16, v18, s[28:29]
	;; [unrolled: 1-line block ×4, first 2 shown]
	v_mov_b64_e32 v[16:17], v[64:65]
; %bb.1044:
	s_or_b64 exec, exec, s[12:13]
	s_or_b64 exec, exec, s[18:19]
	s_and_saveexec_b64 s[18:19], s[34:35]
	s_cbranch_execz .LBB1124_880
.LBB1124_1045:
	v_mul_lo_u32 v31, v13, v6
	v_mul_lo_u32 v66, v12, v7
	v_mad_u64_u32 v[64:65], s[12:13], v12, v6, 0
	v_add3_u32 v65, v65, v66, v31
	v_mul_lo_u32 v31, v15, v6
	v_mul_lo_u32 v68, v14, v7
	v_mad_u64_u32 v[66:67], s[12:13], v14, v6, 0
	v_add3_u32 v67, v67, v68, v31
	v_lshl_add_u64 v[64:65], v[64:65], 1, v[8:9]
	v_lshl_add_u64 v[66:67], v[66:67], 1, v[8:9]
	s_mov_b64 s[30:31], 0
	v_mov_b64_e32 v[68:69], v[6:7]
                                        ; implicit-def: $sgpr28_sgpr29
                                        ; implicit-def: $sgpr34_sgpr35
                                        ; implicit-def: $sgpr42_sgpr43
                                        ; implicit-def: $sgpr44_sgpr45
                                        ; implicit-def: $sgpr46_sgpr47
	s_branch .LBB1124_1047
.LBB1124_1046:                          ;   in Loop: Header=BB1124_1047 Depth=1
	s_or_b64 exec, exec, s[50:51]
	s_and_b64 s[12:13], exec, s[12:13]
	s_or_b64 s[30:31], s[12:13], s[30:31]
	s_andn2_b64 s[12:13], s[34:35], exec
	s_and_b64 s[34:35], s[42:43], exec
	s_or_b64 s[34:35], s[12:13], s[34:35]
	s_andn2_b64 s[12:13], s[28:29], exec
	s_and_b64 s[28:29], s[44:45], exec
	s_or_b64 s[28:29], s[12:13], s[28:29]
	s_andn2_b64 exec, exec, s[30:31]
	s_cbranch_execz .LBB1124_1051
.LBB1124_1047:                          ; =>This Inner Loop Header: Depth=1
	flat_load_ushort v31, v[66:67]
	flat_load_ushort v70, v[64:65]
	s_or_b64 s[44:45], s[44:45], exec
	s_mov_b64 s[48:49], 0
	s_waitcnt vmcnt(0) lgkmcnt(0)
	v_lshlrev_b32_e32 v31, 16, v31
	v_lshlrev_b32_e32 v70, 16, v70
	v_cmp_nlt_f32_e64 s[12:13], v31, v70
	s_and_saveexec_b64 s[50:51], s[12:13]
; %bb.1048:                             ;   in Loop: Header=BB1124_1047 Depth=1
	v_cmp_ngt_f32_e64 s[12:13], v31, v70
	s_and_b64 s[46:47], s[12:13], s[46:47]
	s_andn2_b64 s[44:45], s[44:45], exec
	s_and_b64 s[46:47], s[46:47], exec
	s_or_b64 s[44:45], s[44:45], s[46:47]
	s_and_b64 s[48:49], s[12:13], exec
; %bb.1049:                             ;   in Loop: Header=BB1124_1047 Depth=1
	s_or_b64 exec, exec, s[50:51]
	s_mov_b64 s[12:13], -1
	s_or_b64 s[42:43], s[42:43], exec
                                        ; implicit-def: $sgpr46_sgpr47
	s_and_saveexec_b64 s[50:51], s[48:49]
	s_cbranch_execz .LBB1124_1046
; %bb.1050:                             ;   in Loop: Header=BB1124_1047 Depth=1
	v_lshl_add_u64 v[68:69], v[68:69], 0, -1
	v_cmp_eq_u64_e64 s[12:13], 0, v[68:69]
	v_lshl_add_u64 v[64:65], v[64:65], 0, 2
	v_lshl_add_u64 v[66:67], v[66:67], 0, 2
	s_and_b64 s[46:47], s[44:45], exec
	s_andn2_b64 s[42:43], s[42:43], exec
	s_orn2_b64 s[12:13], s[12:13], exec
	s_branch .LBB1124_1046
.LBB1124_1051:
	s_or_b64 exec, exec, s[30:31]
	s_and_saveexec_b64 s[12:13], s[34:35]
	s_xor_b64 s[12:13], exec, s[12:13]
; %bb.1052:
	v_cndmask_b32_e64 v65, v13, v15, s[28:29]
	v_cndmask_b32_e64 v64, v12, v14, s[28:29]
	;; [unrolled: 1-line block ×4, first 2 shown]
	v_mov_b64_e32 v[12:13], v[64:65]
; %bb.1053:
	s_or_b64 exec, exec, s[12:13]
	s_or_b64 exec, exec, s[18:19]
	s_and_saveexec_b64 s[18:19], s[36:37]
	s_cbranch_execz .LBB1124_881
.LBB1124_1054:
	v_mul_lo_u32 v31, v27, v6
	v_mul_lo_u32 v66, v26, v7
	v_mad_u64_u32 v[64:65], s[12:13], v26, v6, 0
	v_add3_u32 v65, v65, v66, v31
	v_mul_lo_u32 v31, v21, v6
	v_mul_lo_u32 v68, v20, v7
	v_mad_u64_u32 v[66:67], s[12:13], v20, v6, 0
	v_add3_u32 v67, v67, v68, v31
	v_lshl_add_u64 v[64:65], v[64:65], 1, v[8:9]
	v_lshl_add_u64 v[66:67], v[66:67], 1, v[8:9]
	s_mov_b64 s[30:31], 0
	v_mov_b64_e32 v[68:69], v[6:7]
                                        ; implicit-def: $sgpr28_sgpr29
                                        ; implicit-def: $sgpr34_sgpr35
                                        ; implicit-def: $sgpr36_sgpr37
                                        ; implicit-def: $sgpr42_sgpr43
                                        ; implicit-def: $sgpr44_sgpr45
	s_branch .LBB1124_1056
.LBB1124_1055:                          ;   in Loop: Header=BB1124_1056 Depth=1
	s_or_b64 exec, exec, s[48:49]
	s_and_b64 s[12:13], exec, s[12:13]
	s_or_b64 s[30:31], s[12:13], s[30:31]
	s_andn2_b64 s[12:13], s[34:35], exec
	s_and_b64 s[34:35], s[36:37], exec
	s_or_b64 s[34:35], s[12:13], s[34:35]
	s_andn2_b64 s[12:13], s[28:29], exec
	s_and_b64 s[28:29], s[42:43], exec
	s_or_b64 s[28:29], s[12:13], s[28:29]
	s_andn2_b64 exec, exec, s[30:31]
	s_cbranch_execz .LBB1124_1060
.LBB1124_1056:                          ; =>This Inner Loop Header: Depth=1
	flat_load_ushort v31, v[66:67]
	flat_load_ushort v70, v[64:65]
	s_or_b64 s[42:43], s[42:43], exec
	s_mov_b64 s[46:47], 0
	s_waitcnt vmcnt(0) lgkmcnt(0)
	v_lshlrev_b32_e32 v31, 16, v31
	v_lshlrev_b32_e32 v70, 16, v70
	v_cmp_nlt_f32_e64 s[12:13], v31, v70
	s_and_saveexec_b64 s[48:49], s[12:13]
; %bb.1057:                             ;   in Loop: Header=BB1124_1056 Depth=1
	v_cmp_ngt_f32_e64 s[12:13], v31, v70
	s_and_b64 s[44:45], s[12:13], s[44:45]
	s_andn2_b64 s[42:43], s[42:43], exec
	s_and_b64 s[44:45], s[44:45], exec
	s_or_b64 s[42:43], s[42:43], s[44:45]
	s_and_b64 s[46:47], s[12:13], exec
; %bb.1058:                             ;   in Loop: Header=BB1124_1056 Depth=1
	s_or_b64 exec, exec, s[48:49]
	s_mov_b64 s[12:13], -1
	s_or_b64 s[36:37], s[36:37], exec
                                        ; implicit-def: $sgpr44_sgpr45
	s_and_saveexec_b64 s[48:49], s[46:47]
	s_cbranch_execz .LBB1124_1055
; %bb.1059:                             ;   in Loop: Header=BB1124_1056 Depth=1
	v_lshl_add_u64 v[68:69], v[68:69], 0, -1
	v_cmp_eq_u64_e64 s[12:13], 0, v[68:69]
	v_lshl_add_u64 v[64:65], v[64:65], 0, 2
	v_lshl_add_u64 v[66:67], v[66:67], 0, 2
	s_and_b64 s[44:45], s[42:43], exec
	s_andn2_b64 s[36:37], s[36:37], exec
	s_orn2_b64 s[12:13], s[12:13], exec
	s_branch .LBB1124_1055
.LBB1124_1060:
	s_or_b64 exec, exec, s[30:31]
	s_and_saveexec_b64 s[12:13], s[34:35]
	s_xor_b64 s[12:13], exec, s[12:13]
; %bb.1061:
	v_cndmask_b32_e64 v65, v27, v21, s[28:29]
	v_cndmask_b32_e64 v64, v26, v20, s[28:29]
	;; [unrolled: 1-line block ×4, first 2 shown]
	v_mov_b64_e32 v[26:27], v[64:65]
; %bb.1062:
	s_or_b64 exec, exec, s[12:13]
	s_or_b64 exec, exec, s[18:19]
	s_and_saveexec_b64 s[18:19], s[38:39]
	s_cbranch_execz .LBB1124_882
.LBB1124_1063:
	v_mul_lo_u32 v31, v23, v6
	v_mul_lo_u32 v66, v22, v7
	v_mad_u64_u32 v[64:65], s[12:13], v22, v6, 0
	v_add3_u32 v65, v65, v66, v31
	v_mul_lo_u32 v31, v17, v6
	v_mul_lo_u32 v68, v16, v7
	v_mad_u64_u32 v[66:67], s[12:13], v16, v6, 0
	v_add3_u32 v67, v67, v68, v31
	v_lshl_add_u64 v[64:65], v[64:65], 1, v[8:9]
	v_lshl_add_u64 v[66:67], v[66:67], 1, v[8:9]
	s_mov_b64 s[30:31], 0
	v_mov_b64_e32 v[68:69], v[6:7]
                                        ; implicit-def: $sgpr28_sgpr29
                                        ; implicit-def: $sgpr34_sgpr35
                                        ; implicit-def: $sgpr36_sgpr37
                                        ; implicit-def: $sgpr38_sgpr39
                                        ; implicit-def: $sgpr42_sgpr43
	s_branch .LBB1124_1065
.LBB1124_1064:                          ;   in Loop: Header=BB1124_1065 Depth=1
	s_or_b64 exec, exec, s[46:47]
	s_and_b64 s[12:13], exec, s[12:13]
	s_or_b64 s[30:31], s[12:13], s[30:31]
	s_andn2_b64 s[12:13], s[34:35], exec
	s_and_b64 s[34:35], s[36:37], exec
	s_or_b64 s[34:35], s[12:13], s[34:35]
	s_andn2_b64 s[12:13], s[28:29], exec
	s_and_b64 s[28:29], s[38:39], exec
	s_or_b64 s[28:29], s[12:13], s[28:29]
	s_andn2_b64 exec, exec, s[30:31]
	s_cbranch_execz .LBB1124_1069
.LBB1124_1065:                          ; =>This Inner Loop Header: Depth=1
	flat_load_ushort v31, v[66:67]
	flat_load_ushort v70, v[64:65]
	s_or_b64 s[38:39], s[38:39], exec
	s_mov_b64 s[44:45], 0
	s_waitcnt vmcnt(0) lgkmcnt(0)
	v_lshlrev_b32_e32 v31, 16, v31
	v_lshlrev_b32_e32 v70, 16, v70
	v_cmp_nlt_f32_e64 s[12:13], v31, v70
	s_and_saveexec_b64 s[46:47], s[12:13]
; %bb.1066:                             ;   in Loop: Header=BB1124_1065 Depth=1
	v_cmp_ngt_f32_e64 s[12:13], v31, v70
	s_and_b64 s[42:43], s[12:13], s[42:43]
	s_andn2_b64 s[38:39], s[38:39], exec
	s_and_b64 s[42:43], s[42:43], exec
	s_or_b64 s[38:39], s[38:39], s[42:43]
	s_and_b64 s[44:45], s[12:13], exec
; %bb.1067:                             ;   in Loop: Header=BB1124_1065 Depth=1
	s_or_b64 exec, exec, s[46:47]
	s_mov_b64 s[12:13], -1
	s_or_b64 s[36:37], s[36:37], exec
                                        ; implicit-def: $sgpr42_sgpr43
	s_and_saveexec_b64 s[46:47], s[44:45]
	s_cbranch_execz .LBB1124_1064
; %bb.1068:                             ;   in Loop: Header=BB1124_1065 Depth=1
	v_lshl_add_u64 v[68:69], v[68:69], 0, -1
	v_cmp_eq_u64_e64 s[12:13], 0, v[68:69]
	v_lshl_add_u64 v[64:65], v[64:65], 0, 2
	v_lshl_add_u64 v[66:67], v[66:67], 0, 2
	s_and_b64 s[42:43], s[38:39], exec
	s_andn2_b64 s[36:37], s[36:37], exec
	s_orn2_b64 s[12:13], s[12:13], exec
	s_branch .LBB1124_1064
.LBB1124_1069:
	s_or_b64 exec, exec, s[30:31]
	s_and_saveexec_b64 s[12:13], s[34:35]
	s_xor_b64 s[12:13], exec, s[12:13]
; %bb.1070:
	v_cndmask_b32_e64 v65, v23, v17, s[28:29]
	v_cndmask_b32_e64 v64, v22, v16, s[28:29]
	;; [unrolled: 1-line block ×4, first 2 shown]
	v_mov_b64_e32 v[22:23], v[64:65]
; %bb.1071:
	s_or_b64 exec, exec, s[12:13]
	s_or_b64 exec, exec, s[18:19]
	s_and_saveexec_b64 s[18:19], s[40:41]
	s_cbranch_execz .LBB1124_1081
.LBB1124_1072:
	v_mul_lo_u32 v31, v19, v6
	v_mul_lo_u32 v66, v18, v7
	v_mad_u64_u32 v[64:65], s[12:13], v18, v6, 0
	v_add3_u32 v65, v65, v66, v31
	v_mul_lo_u32 v31, v13, v6
	v_mul_lo_u32 v68, v12, v7
	v_mad_u64_u32 v[66:67], s[12:13], v12, v6, 0
	v_add3_u32 v67, v67, v68, v31
	v_lshl_add_u64 v[64:65], v[64:65], 1, v[8:9]
	v_lshl_add_u64 v[66:67], v[66:67], 1, v[8:9]
	s_mov_b64 s[30:31], 0
	v_mov_b64_e32 v[68:69], v[6:7]
                                        ; implicit-def: $sgpr28_sgpr29
                                        ; implicit-def: $sgpr34_sgpr35
                                        ; implicit-def: $sgpr36_sgpr37
                                        ; implicit-def: $sgpr38_sgpr39
                                        ; implicit-def: $sgpr40_sgpr41
	s_branch .LBB1124_1074
.LBB1124_1073:                          ;   in Loop: Header=BB1124_1074 Depth=1
	s_or_b64 exec, exec, s[44:45]
	s_and_b64 s[12:13], exec, s[12:13]
	s_or_b64 s[30:31], s[12:13], s[30:31]
	s_andn2_b64 s[12:13], s[34:35], exec
	s_and_b64 s[34:35], s[36:37], exec
	s_or_b64 s[34:35], s[12:13], s[34:35]
	s_andn2_b64 s[12:13], s[28:29], exec
	s_and_b64 s[28:29], s[38:39], exec
	s_or_b64 s[28:29], s[12:13], s[28:29]
	s_andn2_b64 exec, exec, s[30:31]
	s_cbranch_execz .LBB1124_1078
.LBB1124_1074:                          ; =>This Inner Loop Header: Depth=1
	flat_load_ushort v31, v[66:67]
	flat_load_ushort v70, v[64:65]
	s_or_b64 s[38:39], s[38:39], exec
	s_mov_b64 s[42:43], 0
	s_waitcnt vmcnt(0) lgkmcnt(0)
	v_lshlrev_b32_e32 v31, 16, v31
	v_lshlrev_b32_e32 v70, 16, v70
	v_cmp_nlt_f32_e64 s[12:13], v31, v70
	s_and_saveexec_b64 s[44:45], s[12:13]
; %bb.1075:                             ;   in Loop: Header=BB1124_1074 Depth=1
	v_cmp_ngt_f32_e64 s[12:13], v31, v70
	s_and_b64 s[40:41], s[12:13], s[40:41]
	s_andn2_b64 s[38:39], s[38:39], exec
	s_and_b64 s[40:41], s[40:41], exec
	s_or_b64 s[38:39], s[38:39], s[40:41]
	s_and_b64 s[42:43], s[12:13], exec
; %bb.1076:                             ;   in Loop: Header=BB1124_1074 Depth=1
	s_or_b64 exec, exec, s[44:45]
	s_mov_b64 s[12:13], -1
	s_or_b64 s[36:37], s[36:37], exec
                                        ; implicit-def: $sgpr40_sgpr41
	s_and_saveexec_b64 s[44:45], s[42:43]
	s_cbranch_execz .LBB1124_1073
; %bb.1077:                             ;   in Loop: Header=BB1124_1074 Depth=1
	v_lshl_add_u64 v[68:69], v[68:69], 0, -1
	v_cmp_eq_u64_e64 s[12:13], 0, v[68:69]
	v_lshl_add_u64 v[64:65], v[64:65], 0, 2
	v_lshl_add_u64 v[66:67], v[66:67], 0, 2
	s_and_b64 s[40:41], s[38:39], exec
	s_andn2_b64 s[36:37], s[36:37], exec
	s_orn2_b64 s[12:13], s[12:13], exec
	s_branch .LBB1124_1073
.LBB1124_1078:
	s_or_b64 exec, exec, s[30:31]
	s_and_saveexec_b64 s[12:13], s[34:35]
	s_xor_b64 s[12:13], exec, s[12:13]
; %bb.1079:
	v_cndmask_b32_e64 v65, v19, v13, s[28:29]
	v_cndmask_b32_e64 v64, v18, v12, s[28:29]
	;; [unrolled: 1-line block ×4, first 2 shown]
	v_mov_b64_e32 v[18:19], v[64:65]
; %bb.1080:
	s_or_b64 exec, exec, s[12:13]
.LBB1124_1081:
	s_or_b64 exec, exec, s[18:19]
	v_mbcnt_lo_u32_b32 v31, -1, 0
	v_mbcnt_hi_u32_b32 v64, -1, v31
	v_and_b32_e32 v70, 0xfffffe00, v1
	v_mov_b32_e32 v71, 0
	v_lshlrev_b32_e32 v31, 3, v64
	v_sub_u32_e64 v1, v0, v70 clamp
	v_lshl_add_u64 v[66:67], v[70:71], 3, v[10:11]
	v_lshlrev_b32_e32 v70, 6, v64
	v_or_b32_e32 v64, 8, v31
	v_min_u32_e32 v100, v1, v64
	v_add_u32_e32 v64, 8, v100
	v_and_b32_e32 v102, 0x3f0, v31
	v_min_u32_e32 v101, v1, v64
	v_and_b32_e32 v64, 8, v31
	v_min_u32_e32 v103, v1, v64
	v_sub_u32_e32 v64, v100, v102
	v_sub_u32_e32 v65, v101, v100
	v_sub_u32_e64 v112, v103, v65 clamp
	v_min_u32_e32 v113, v103, v64
	v_lshl_add_u64 v[68:69], v[66:67], 0, v[70:71]
	v_cmp_lt_u32_e64 s[12:13], v112, v113
	v_lshlrev_b64 v[64:65], 1, v[6:7]
	flat_store_dwordx4 v[68:69], v[24:27]
	flat_store_dwordx4 v[68:69], v[20:23] offset:16
	flat_store_dwordx4 v[68:69], v[16:19] offset:32
	;; [unrolled: 1-line block ×3, first 2 shown]
	; wave barrier
	s_and_saveexec_b64 s[18:19], s[12:13]
	s_cbranch_execz .LBB1124_1093
; %bb.1082:
	v_lshlrev_b32_e32 v70, 3, v102
	v_lshl_add_u64 v[80:81], v[66:67], 0, v[70:71]
	v_lshlrev_b32_e32 v70, 3, v100
	v_lshl_add_u64 v[82:83], v[66:67], 0, v[70:71]
	s_mov_b64 s[28:29], 0
	s_branch .LBB1124_1085
.LBB1124_1083:                          ;   in Loop: Header=BB1124_1085 Depth=1
	s_or_b64 exec, exec, s[34:35]
	s_and_b64 s[12:13], s[36:37], exec
.LBB1124_1084:                          ;   in Loop: Header=BB1124_1085 Depth=1
	s_or_b64 exec, exec, s[30:31]
	v_add_u32_e32 v70, 1, v84
	v_cndmask_b32_e64 v113, v113, v84, s[12:13]
	v_cndmask_b32_e64 v112, v70, v112, s[12:13]
	v_cmp_ge_u32_e64 s[12:13], v112, v113
	s_or_b64 s[28:29], s[12:13], s[28:29]
	s_andn2_b64 exec, exec, s[28:29]
	s_cbranch_execz .LBB1124_1092
.LBB1124_1085:                          ; =>This Loop Header: Depth=1
                                        ;     Child Loop BB1124_1088 Depth 2
	v_add_u32_e32 v70, v113, v112
	v_lshrrev_b32_e32 v84, 1, v70
	s_mov_b64 s[12:13], 0
	s_and_saveexec_b64 s[30:31], s[16:17]
	s_cbranch_execz .LBB1124_1084
; %bb.1086:                             ;   in Loop: Header=BB1124_1085 Depth=1
	v_mov_b32_e32 v85, v71
	v_xad_u32 v70, v84, -1, v103
	v_lshl_add_u64 v[86:87], v[84:85], 3, v[80:81]
	v_lshl_add_u64 v[96:97], v[70:71], 3, v[82:83]
	flat_load_dwordx2 v[86:87], v[86:87]
	s_mov_b64 s[34:35], 0
	flat_load_dwordx2 v[96:97], v[96:97]
                                        ; implicit-def: $sgpr36_sgpr37
                                        ; implicit-def: $sgpr38_sgpr39
                                        ; implicit-def: $sgpr40_sgpr41
	s_waitcnt vmcnt(0) lgkmcnt(0)
	v_mul_lo_u32 v70, v64, v87
	v_mul_lo_u32 v85, v65, v86
	v_mad_u64_u32 v[86:87], s[12:13], v64, v86, v[8:9]
	v_mul_lo_u32 v98, v64, v97
	v_mul_lo_u32 v99, v65, v96
	v_mad_u64_u32 v[96:97], s[12:13], v64, v96, v[8:9]
	v_add3_u32 v87, v85, v87, v70
	v_add3_u32 v97, v99, v97, v98
	v_mov_b64_e32 v[98:99], v[6:7]
	s_branch .LBB1124_1088
.LBB1124_1087:                          ;   in Loop: Header=BB1124_1088 Depth=2
	s_or_b64 exec, exec, s[48:49]
	s_and_b64 s[12:13], exec, s[42:43]
	s_or_b64 s[34:35], s[12:13], s[34:35]
	s_andn2_b64 s[12:13], s[36:37], exec
	s_and_b64 s[36:37], s[38:39], exec
	s_or_b64 s[36:37], s[12:13], s[36:37]
	s_andn2_b64 exec, exec, s[34:35]
	s_cbranch_execz .LBB1124_1083
.LBB1124_1088:                          ;   Parent Loop BB1124_1085 Depth=1
                                        ; =>  This Inner Loop Header: Depth=2
	flat_load_ushort v70, v[96:97]
	flat_load_ushort v85, v[86:87]
	s_mov_b64 s[42:43], -1
	s_mov_b64 s[46:47], 0
	s_mov_b64 s[44:45], -1
	s_waitcnt vmcnt(0) lgkmcnt(0)
	v_lshlrev_b32_e32 v70, 16, v70
	v_lshlrev_b32_e32 v85, 16, v85
	v_cmp_nlt_f32_e64 s[12:13], v70, v85
	s_and_saveexec_b64 s[48:49], s[12:13]
; %bb.1089:                             ;   in Loop: Header=BB1124_1088 Depth=2
	v_cmp_ngt_f32_e64 s[12:13], v70, v85
	s_and_b64 s[40:41], s[12:13], s[40:41]
	s_orn2_b64 s[44:45], s[40:41], exec
	s_and_b64 s[46:47], s[12:13], exec
; %bb.1090:                             ;   in Loop: Header=BB1124_1088 Depth=2
	s_or_b64 exec, exec, s[48:49]
	s_andn2_b64 s[12:13], s[38:39], exec
	s_and_b64 s[38:39], s[44:45], exec
	s_or_b64 s[38:39], s[12:13], s[38:39]
                                        ; implicit-def: $sgpr40_sgpr41
	s_and_saveexec_b64 s[48:49], s[46:47]
	s_cbranch_execz .LBB1124_1087
; %bb.1091:                             ;   in Loop: Header=BB1124_1088 Depth=2
	v_lshl_add_u64 v[98:99], v[98:99], 0, -1
	v_cmp_eq_u64_e64 s[12:13], 0, v[98:99]
	v_lshl_add_u64 v[86:87], v[86:87], 0, 2
	v_lshl_add_u64 v[96:97], v[96:97], 0, 2
	s_andn2_b64 s[38:39], s[38:39], exec
	s_and_b64 s[40:41], s[44:45], exec
	s_orn2_b64 s[42:43], s[12:13], exec
	s_branch .LBB1124_1087
.LBB1124_1092:
	s_or_b64 exec, exec, s[28:29]
.LBB1124_1093:
	s_or_b64 exec, exec, s[18:19]
	v_add_u32_e32 v71, v100, v103
	v_add_u32_e32 v70, v112, v102
	v_sub_u32_e32 v80, v71, v112
	v_cmp_le_u32_e64 s[12:13], v70, v100
	v_cmp_le_u32_e64 s[18:19], v80, v101
	s_or_b64 s[12:13], s[12:13], s[18:19]
	s_and_saveexec_b64 s[28:29], s[12:13]
	s_cbranch_execz .LBB1124_1181
; %bb.1094:
	v_cmp_ge_u32_e64 s[18:19], v70, v100
	v_cmp_lt_u32_e64 s[12:13], v70, v100
                                        ; implicit-def: $vgpr12_vgpr13
	s_and_saveexec_b64 s[30:31], s[12:13]
	s_cbranch_execz .LBB1124_1096
; %bb.1095:
	v_mov_b32_e32 v71, 0
	v_lshl_add_u64 v[12:13], v[70:71], 3, v[66:67]
	flat_load_dwordx2 v[12:13], v[12:13]
.LBB1124_1096:
	s_or_b64 exec, exec, s[30:31]
	v_cmp_ge_u32_e64 s[30:31], v80, v101
	v_cmp_lt_u32_e64 s[12:13], v80, v101
                                        ; implicit-def: $vgpr14_vgpr15
	s_and_saveexec_b64 s[34:35], s[12:13]
	s_cbranch_execz .LBB1124_1098
; %bb.1097:
	v_mov_b32_e32 v81, 0
	v_lshl_add_u64 v[14:15], v[80:81], 3, v[66:67]
	flat_load_dwordx2 v[14:15], v[14:15]
.LBB1124_1098:
	s_or_b64 exec, exec, s[34:35]
	s_or_b64 s[12:13], s[18:19], s[30:31]
	s_xor_b64 s[12:13], s[12:13], -1
	s_and_saveexec_b64 s[18:19], s[12:13]
	s_cbranch_execz .LBB1124_1108
; %bb.1099:
	s_mov_b64 s[12:13], 0
	s_and_saveexec_b64 s[34:35], s[16:17]
	s_cbranch_execz .LBB1124_1107
; %bb.1100:
	s_waitcnt vmcnt(0) lgkmcnt(0)
	v_mul_lo_u32 v18, v13, v6
	v_mul_lo_u32 v19, v12, v7
	v_mad_u64_u32 v[16:17], s[12:13], v12, v6, 0
	v_add3_u32 v17, v17, v19, v18
	v_mul_lo_u32 v20, v15, v6
	v_mul_lo_u32 v21, v14, v7
	v_mad_u64_u32 v[18:19], s[12:13], v14, v6, 0
	v_add3_u32 v19, v19, v21, v20
	v_lshl_add_u64 v[16:17], v[16:17], 1, v[8:9]
	v_lshl_add_u64 v[18:19], v[18:19], 1, v[8:9]
	s_mov_b64 s[36:37], 0
	v_mov_b64_e32 v[20:21], v[6:7]
                                        ; implicit-def: $sgpr38_sgpr39
                                        ; implicit-def: $sgpr40_sgpr41
                                        ; implicit-def: $sgpr42_sgpr43
	s_branch .LBB1124_1102
.LBB1124_1101:                          ;   in Loop: Header=BB1124_1102 Depth=1
	s_or_b64 exec, exec, s[48:49]
	s_and_b64 s[12:13], exec, s[12:13]
	s_or_b64 s[36:37], s[12:13], s[36:37]
	s_andn2_b64 s[12:13], s[38:39], exec
	s_and_b64 s[38:39], s[40:41], exec
	s_or_b64 s[38:39], s[12:13], s[38:39]
	s_andn2_b64 exec, exec, s[36:37]
	s_cbranch_execz .LBB1124_1106
.LBB1124_1102:                          ; =>This Inner Loop Header: Depth=1
	flat_load_ushort v22, v[18:19]
	flat_load_ushort v23, v[16:17]
	s_mov_b64 s[46:47], 0
	s_mov_b64 s[44:45], -1
	s_waitcnt vmcnt(0) lgkmcnt(0)
	v_lshlrev_b32_e32 v22, 16, v22
	v_lshlrev_b32_e32 v23, 16, v23
	v_cmp_nlt_f32_e64 s[12:13], v22, v23
	s_and_saveexec_b64 s[48:49], s[12:13]
; %bb.1103:                             ;   in Loop: Header=BB1124_1102 Depth=1
	v_cmp_ngt_f32_e64 s[12:13], v22, v23
	s_and_b64 s[42:43], s[12:13], s[42:43]
	s_orn2_b64 s[44:45], s[42:43], exec
	s_and_b64 s[46:47], s[12:13], exec
; %bb.1104:                             ;   in Loop: Header=BB1124_1102 Depth=1
	s_or_b64 exec, exec, s[48:49]
	s_andn2_b64 s[40:41], s[40:41], exec
	s_and_b64 s[42:43], s[44:45], exec
	s_mov_b64 s[12:13], -1
	s_or_b64 s[40:41], s[40:41], s[42:43]
                                        ; implicit-def: $sgpr42_sgpr43
	s_and_saveexec_b64 s[48:49], s[46:47]
	s_cbranch_execz .LBB1124_1101
; %bb.1105:                             ;   in Loop: Header=BB1124_1102 Depth=1
	v_lshl_add_u64 v[20:21], v[20:21], 0, -1
	v_cmp_eq_u64_e64 s[12:13], 0, v[20:21]
	v_lshl_add_u64 v[16:17], v[16:17], 0, 2
	v_lshl_add_u64 v[18:19], v[18:19], 0, 2
	s_andn2_b64 s[40:41], s[40:41], exec
	s_and_b64 s[42:43], s[44:45], exec
	s_orn2_b64 s[12:13], s[12:13], exec
	s_branch .LBB1124_1101
.LBB1124_1106:
	s_or_b64 exec, exec, s[36:37]
	s_and_b64 s[12:13], s[38:39], exec
.LBB1124_1107:
	s_or_b64 exec, exec, s[34:35]
	s_xor_b64 s[12:13], s[12:13], -1
	s_andn2_b64 s[30:31], s[30:31], exec
	s_and_b64 s[12:13], s[12:13], exec
	s_or_b64 s[30:31], s[30:31], s[12:13]
.LBB1124_1108:
	s_or_b64 exec, exec, s[18:19]
	v_cndmask_b32_e64 v16, v80, v70, s[30:31]
	v_cndmask_b32_e64 v17, v101, v100, s[30:31]
	v_add_u32_e32 v20, 1, v16
	v_add_u32_e32 v16, -1, v17
	v_min_u32_e32 v16, v20, v16
	v_mov_b32_e32 v17, 0
	v_lshl_add_u64 v[18:19], v[16:17], 3, v[66:67]
	flat_load_dwordx2 v[18:19], v[18:19]
	v_cndmask_b32_e64 v27, v20, v80, s[30:31]
	s_mov_b64 s[18:19], -1
	v_cndmask_b32_e64 v70, v70, v20, s[30:31]
	v_cmp_lt_u32_e64 s[12:13], v27, v101
	s_mov_b64 s[34:35], -1
	s_waitcnt vmcnt(0) lgkmcnt(0)
	v_cndmask_b32_e64 v24, v19, v15, s[30:31]
	v_cndmask_b32_e64 v25, v18, v14, s[30:31]
	;; [unrolled: 1-line block ×4, first 2 shown]
	s_and_saveexec_b64 s[36:37], s[12:13]
	s_cbranch_execz .LBB1124_1120
; %bb.1109:
	v_cmp_lt_u32_e64 s[12:13], v70, v100
	s_mov_b64 s[38:39], 0
	s_and_saveexec_b64 s[34:35], s[12:13]
	s_cbranch_execz .LBB1124_1119
; %bb.1110:
	s_mov_b64 s[12:13], 0
	s_and_saveexec_b64 s[38:39], s[16:17]
	s_cbranch_execz .LBB1124_1118
; %bb.1111:
	v_mul_lo_u32 v16, v26, v6
	v_mul_lo_u32 v20, v80, v7
	v_mad_u64_u32 v[18:19], s[12:13], v80, v6, 0
	v_add3_u32 v19, v19, v20, v16
	v_mul_lo_u32 v16, v24, v6
	v_mul_lo_u32 v22, v25, v7
	v_mad_u64_u32 v[20:21], s[12:13], v25, v6, 0
	v_add3_u32 v21, v21, v22, v16
	v_lshl_add_u64 v[18:19], v[18:19], 1, v[8:9]
	v_lshl_add_u64 v[20:21], v[20:21], 1, v[8:9]
	s_mov_b64 s[40:41], 0
	v_mov_b64_e32 v[22:23], v[6:7]
                                        ; implicit-def: $sgpr42_sgpr43
                                        ; implicit-def: $sgpr44_sgpr45
                                        ; implicit-def: $sgpr46_sgpr47
	s_branch .LBB1124_1113
.LBB1124_1112:                          ;   in Loop: Header=BB1124_1113 Depth=1
	s_or_b64 exec, exec, s[52:53]
	s_and_b64 s[12:13], exec, s[12:13]
	s_or_b64 s[40:41], s[12:13], s[40:41]
	s_andn2_b64 s[12:13], s[42:43], exec
	s_and_b64 s[42:43], s[44:45], exec
	s_or_b64 s[42:43], s[12:13], s[42:43]
	s_andn2_b64 exec, exec, s[40:41]
	s_cbranch_execz .LBB1124_1117
.LBB1124_1113:                          ; =>This Inner Loop Header: Depth=1
	flat_load_ushort v16, v[20:21]
	flat_load_ushort v71, v[18:19]
	s_mov_b64 s[50:51], 0
	s_mov_b64 s[48:49], -1
	s_waitcnt vmcnt(0) lgkmcnt(0)
	v_lshlrev_b32_e32 v16, 16, v16
	v_lshlrev_b32_e32 v71, 16, v71
	v_cmp_nlt_f32_e64 s[12:13], v16, v71
	s_and_saveexec_b64 s[52:53], s[12:13]
; %bb.1114:                             ;   in Loop: Header=BB1124_1113 Depth=1
	v_cmp_ngt_f32_e64 s[12:13], v16, v71
	s_and_b64 s[46:47], s[12:13], s[46:47]
	s_orn2_b64 s[48:49], s[46:47], exec
	s_and_b64 s[50:51], s[12:13], exec
; %bb.1115:                             ;   in Loop: Header=BB1124_1113 Depth=1
	s_or_b64 exec, exec, s[52:53]
	s_andn2_b64 s[44:45], s[44:45], exec
	s_and_b64 s[46:47], s[48:49], exec
	s_mov_b64 s[12:13], -1
	s_or_b64 s[44:45], s[44:45], s[46:47]
                                        ; implicit-def: $sgpr46_sgpr47
	s_and_saveexec_b64 s[52:53], s[50:51]
	s_cbranch_execz .LBB1124_1112
; %bb.1116:                             ;   in Loop: Header=BB1124_1113 Depth=1
	v_lshl_add_u64 v[22:23], v[22:23], 0, -1
	v_cmp_eq_u64_e64 s[12:13], 0, v[22:23]
	v_lshl_add_u64 v[18:19], v[18:19], 0, 2
	v_lshl_add_u64 v[20:21], v[20:21], 0, 2
	s_andn2_b64 s[44:45], s[44:45], exec
	s_and_b64 s[46:47], s[48:49], exec
	s_orn2_b64 s[12:13], s[12:13], exec
	s_branch .LBB1124_1112
.LBB1124_1117:
	s_or_b64 exec, exec, s[40:41]
	s_and_b64 s[12:13], s[42:43], exec
.LBB1124_1118:
	s_or_b64 exec, exec, s[38:39]
	s_xor_b64 s[12:13], s[12:13], -1
	s_and_b64 s[38:39], s[12:13], exec
.LBB1124_1119:
	s_or_b64 exec, exec, s[34:35]
	s_orn2_b64 s[34:35], s[38:39], exec
.LBB1124_1120:
	s_or_b64 exec, exec, s[36:37]
	v_cndmask_b32_e64 v16, v27, v70, s[34:35]
	v_cndmask_b32_e64 v18, v101, v100, s[34:35]
	v_add_u32_e32 v19, 1, v16
	v_add_u32_e32 v16, -1, v18
	v_min_u32_e32 v16, v19, v16
	v_lshl_add_u64 v[16:17], v[16:17], 3, v[66:67]
	flat_load_dwordx2 v[16:17], v[16:17]
	v_cndmask_b32_e64 v22, v19, v27, s[34:35]
	v_cndmask_b32_e64 v23, v70, v19, s[34:35]
	v_cmp_lt_u32_e64 s[12:13], v22, v101
	s_waitcnt vmcnt(0) lgkmcnt(0)
	v_cndmask_b32_e64 v27, v17, v24, s[34:35]
	v_cndmask_b32_e64 v81, v16, v25, s[34:35]
	v_cndmask_b32_e64 v82, v26, v17, s[34:35]
	v_cndmask_b32_e64 v83, v80, v16, s[34:35]
	s_and_saveexec_b64 s[36:37], s[12:13]
	s_cbranch_execz .LBB1124_1130
; %bb.1121:
	v_cmp_lt_u32_e64 s[18:19], v23, v100
	s_and_b64 s[12:13], s[18:19], s[26:27]
	s_and_saveexec_b64 s[38:39], s[12:13]
	s_cbranch_execz .LBB1124_1129
; %bb.1122:
	v_mul_lo_u32 v18, v82, v6
	v_mul_lo_u32 v19, v83, v7
	v_mad_u64_u32 v[16:17], s[12:13], v83, v6, 0
	v_add3_u32 v17, v17, v19, v18
	v_mul_lo_u32 v20, v27, v6
	v_mul_lo_u32 v21, v81, v7
	v_mad_u64_u32 v[18:19], s[12:13], v81, v6, 0
	v_add3_u32 v19, v19, v21, v20
	v_lshl_add_u64 v[16:17], v[16:17], 1, v[8:9]
	v_lshl_add_u64 v[18:19], v[18:19], 1, v[8:9]
	s_mov_b64 s[40:41], 0
	v_mov_b64_e32 v[20:21], v[6:7]
                                        ; implicit-def: $sgpr42_sgpr43
                                        ; implicit-def: $sgpr44_sgpr45
                                        ; implicit-def: $sgpr46_sgpr47
	s_branch .LBB1124_1124
.LBB1124_1123:                          ;   in Loop: Header=BB1124_1124 Depth=1
	s_or_b64 exec, exec, s[54:55]
	s_and_b64 s[12:13], exec, s[48:49]
	s_or_b64 s[40:41], s[12:13], s[40:41]
	s_andn2_b64 s[12:13], s[42:43], exec
	s_and_b64 s[42:43], s[44:45], exec
	s_or_b64 s[42:43], s[12:13], s[42:43]
	s_andn2_b64 exec, exec, s[40:41]
	s_cbranch_execz .LBB1124_1128
.LBB1124_1124:                          ; =>This Inner Loop Header: Depth=1
	flat_load_ushort v70, v[18:19]
	flat_load_ushort v71, v[16:17]
	s_mov_b64 s[48:49], -1
	s_mov_b64 s[52:53], 0
	s_mov_b64 s[50:51], -1
	s_waitcnt vmcnt(0) lgkmcnt(0)
	v_lshlrev_b32_e32 v70, 16, v70
	v_lshlrev_b32_e32 v71, 16, v71
	v_cmp_nlt_f32_e64 s[12:13], v70, v71
	s_and_saveexec_b64 s[54:55], s[12:13]
; %bb.1125:                             ;   in Loop: Header=BB1124_1124 Depth=1
	v_cmp_ngt_f32_e64 s[12:13], v70, v71
	s_and_b64 s[46:47], s[12:13], s[46:47]
	s_orn2_b64 s[50:51], s[46:47], exec
	s_and_b64 s[52:53], s[12:13], exec
; %bb.1126:                             ;   in Loop: Header=BB1124_1124 Depth=1
	s_or_b64 exec, exec, s[54:55]
	s_andn2_b64 s[12:13], s[44:45], exec
	s_and_b64 s[44:45], s[50:51], exec
	s_or_b64 s[44:45], s[12:13], s[44:45]
                                        ; implicit-def: $sgpr46_sgpr47
	s_and_saveexec_b64 s[54:55], s[52:53]
	s_cbranch_execz .LBB1124_1123
; %bb.1127:                             ;   in Loop: Header=BB1124_1124 Depth=1
	v_lshl_add_u64 v[20:21], v[20:21], 0, -1
	v_cmp_eq_u64_e64 s[12:13], 0, v[20:21]
	v_lshl_add_u64 v[16:17], v[16:17], 0, 2
	v_lshl_add_u64 v[18:19], v[18:19], 0, 2
	s_and_b64 s[46:47], s[50:51], exec
	s_andn2_b64 s[44:45], s[44:45], exec
	s_orn2_b64 s[48:49], s[12:13], exec
	s_branch .LBB1124_1123
.LBB1124_1128:
	s_or_b64 exec, exec, s[40:41]
	s_xor_b64 s[12:13], s[42:43], -1
	s_andn2_b64 s[18:19], s[18:19], exec
	s_and_b64 s[12:13], s[12:13], exec
	s_or_b64 s[18:19], s[18:19], s[12:13]
.LBB1124_1129:
	s_or_b64 exec, exec, s[38:39]
	s_orn2_b64 s[18:19], s[18:19], exec
.LBB1124_1130:
	s_or_b64 exec, exec, s[36:37]
	v_cndmask_b32_e64 v16, v22, v23, s[18:19]
	v_cndmask_b32_e64 v17, v101, v100, s[18:19]
	v_add_u32_e32 v20, 1, v16
	v_add_u32_e32 v16, -1, v17
	v_min_u32_e32 v16, v20, v16
	v_mov_b32_e32 v17, 0
	v_lshl_add_u64 v[18:19], v[16:17], 3, v[66:67]
	flat_load_dwordx2 v[18:19], v[18:19]
	v_cndmask_b32_e64 v70, v20, v22, s[18:19]
	s_mov_b64 s[36:37], -1
	v_cndmask_b32_e64 v71, v23, v20, s[18:19]
	v_cmp_lt_u32_e64 s[12:13], v70, v101
	s_mov_b64 s[38:39], -1
	s_waitcnt vmcnt(0) lgkmcnt(0)
	v_cndmask_b32_e64 v84, v19, v27, s[18:19]
	v_cndmask_b32_e64 v85, v18, v81, s[18:19]
	;; [unrolled: 1-line block ×4, first 2 shown]
	s_and_saveexec_b64 s[40:41], s[12:13]
	s_cbranch_execz .LBB1124_1140
; %bb.1131:
	v_cmp_lt_u32_e64 s[38:39], v71, v100
	s_and_b64 s[12:13], s[38:39], s[26:27]
	s_and_saveexec_b64 s[42:43], s[12:13]
	s_cbranch_execz .LBB1124_1139
; %bb.1132:
	v_mul_lo_u32 v16, v86, v6
	v_mul_lo_u32 v20, v87, v7
	v_mad_u64_u32 v[18:19], s[12:13], v87, v6, 0
	v_add3_u32 v19, v19, v20, v16
	v_mul_lo_u32 v16, v84, v6
	v_mul_lo_u32 v22, v85, v7
	v_mad_u64_u32 v[20:21], s[12:13], v85, v6, 0
	v_add3_u32 v21, v21, v22, v16
	v_lshl_add_u64 v[18:19], v[18:19], 1, v[8:9]
	v_lshl_add_u64 v[20:21], v[20:21], 1, v[8:9]
	s_mov_b64 s[44:45], 0
	v_mov_b64_e32 v[22:23], v[6:7]
                                        ; implicit-def: $sgpr46_sgpr47
                                        ; implicit-def: $sgpr48_sgpr49
                                        ; implicit-def: $sgpr50_sgpr51
	s_branch .LBB1124_1134
.LBB1124_1133:                          ;   in Loop: Header=BB1124_1134 Depth=1
	s_or_b64 exec, exec, s[58:59]
	s_and_b64 s[12:13], exec, s[52:53]
	s_or_b64 s[44:45], s[12:13], s[44:45]
	s_andn2_b64 s[12:13], s[46:47], exec
	s_and_b64 s[46:47], s[48:49], exec
	s_or_b64 s[46:47], s[12:13], s[46:47]
	s_andn2_b64 exec, exec, s[44:45]
	s_cbranch_execz .LBB1124_1138
.LBB1124_1134:                          ; =>This Inner Loop Header: Depth=1
	flat_load_ushort v16, v[20:21]
	flat_load_ushort v96, v[18:19]
	s_mov_b64 s[52:53], -1
	s_mov_b64 s[56:57], 0
	s_mov_b64 s[54:55], -1
	s_waitcnt vmcnt(0) lgkmcnt(0)
	v_lshlrev_b32_e32 v16, 16, v16
	v_lshlrev_b32_e32 v96, 16, v96
	v_cmp_nlt_f32_e64 s[12:13], v16, v96
	s_and_saveexec_b64 s[58:59], s[12:13]
; %bb.1135:                             ;   in Loop: Header=BB1124_1134 Depth=1
	v_cmp_ngt_f32_e64 s[12:13], v16, v96
	s_and_b64 s[50:51], s[12:13], s[50:51]
	s_orn2_b64 s[54:55], s[50:51], exec
	s_and_b64 s[56:57], s[12:13], exec
; %bb.1136:                             ;   in Loop: Header=BB1124_1134 Depth=1
	s_or_b64 exec, exec, s[58:59]
	s_andn2_b64 s[12:13], s[48:49], exec
	s_and_b64 s[48:49], s[54:55], exec
	s_or_b64 s[48:49], s[12:13], s[48:49]
                                        ; implicit-def: $sgpr50_sgpr51
	s_and_saveexec_b64 s[58:59], s[56:57]
	s_cbranch_execz .LBB1124_1133
; %bb.1137:                             ;   in Loop: Header=BB1124_1134 Depth=1
	v_lshl_add_u64 v[22:23], v[22:23], 0, -1
	v_cmp_eq_u64_e64 s[12:13], 0, v[22:23]
	v_lshl_add_u64 v[18:19], v[18:19], 0, 2
	v_lshl_add_u64 v[20:21], v[20:21], 0, 2
	s_and_b64 s[50:51], s[54:55], exec
	s_andn2_b64 s[48:49], s[48:49], exec
	s_orn2_b64 s[52:53], s[12:13], exec
	s_branch .LBB1124_1133
.LBB1124_1138:
	s_or_b64 exec, exec, s[44:45]
	s_xor_b64 s[12:13], s[46:47], -1
	s_andn2_b64 s[38:39], s[38:39], exec
	s_and_b64 s[12:13], s[12:13], exec
	s_or_b64 s[38:39], s[38:39], s[12:13]
.LBB1124_1139:
	s_or_b64 exec, exec, s[42:43]
	s_orn2_b64 s[38:39], s[38:39], exec
.LBB1124_1140:
	s_or_b64 exec, exec, s[40:41]
	v_cndmask_b32_e64 v16, v70, v71, s[38:39]
	v_cndmask_b32_e64 v18, v101, v100, s[38:39]
	v_add_u32_e32 v19, 1, v16
	v_add_u32_e32 v16, -1, v18
	v_min_u32_e32 v16, v19, v16
	v_lshl_add_u64 v[16:17], v[16:17], 3, v[66:67]
	flat_load_dwordx2 v[16:17], v[16:17]
	v_cndmask_b32_e64 v22, v19, v70, s[38:39]
	v_cndmask_b32_e64 v23, v71, v19, s[38:39]
	v_cmp_lt_u32_e64 s[12:13], v22, v101
	s_waitcnt vmcnt(0) lgkmcnt(0)
	v_cndmask_b32_e64 v96, v17, v84, s[38:39]
	v_cndmask_b32_e64 v97, v16, v85, s[38:39]
	;; [unrolled: 1-line block ×4, first 2 shown]
	s_and_saveexec_b64 s[40:41], s[12:13]
	s_cbranch_execz .LBB1124_1150
; %bb.1141:
	v_cmp_lt_u32_e64 s[36:37], v23, v100
	s_and_b64 s[12:13], s[36:37], s[26:27]
	s_and_saveexec_b64 s[42:43], s[12:13]
	s_cbranch_execz .LBB1124_1149
; %bb.1142:
	v_mul_lo_u32 v18, v98, v6
	v_mul_lo_u32 v19, v99, v7
	v_mad_u64_u32 v[16:17], s[12:13], v99, v6, 0
	v_add3_u32 v17, v17, v19, v18
	v_mul_lo_u32 v20, v96, v6
	v_mul_lo_u32 v21, v97, v7
	v_mad_u64_u32 v[18:19], s[12:13], v97, v6, 0
	v_add3_u32 v19, v19, v21, v20
	v_lshl_add_u64 v[16:17], v[16:17], 1, v[8:9]
	v_lshl_add_u64 v[18:19], v[18:19], 1, v[8:9]
	s_mov_b64 s[44:45], 0
	v_mov_b64_e32 v[20:21], v[6:7]
                                        ; implicit-def: $sgpr46_sgpr47
                                        ; implicit-def: $sgpr48_sgpr49
                                        ; implicit-def: $sgpr50_sgpr51
	s_branch .LBB1124_1144
.LBB1124_1143:                          ;   in Loop: Header=BB1124_1144 Depth=1
	s_or_b64 exec, exec, s[58:59]
	s_and_b64 s[12:13], exec, s[52:53]
	s_or_b64 s[44:45], s[12:13], s[44:45]
	s_andn2_b64 s[12:13], s[46:47], exec
	s_and_b64 s[46:47], s[48:49], exec
	s_or_b64 s[46:47], s[12:13], s[46:47]
	s_andn2_b64 exec, exec, s[44:45]
	s_cbranch_execz .LBB1124_1148
.LBB1124_1144:                          ; =>This Inner Loop Header: Depth=1
	flat_load_ushort v70, v[18:19]
	flat_load_ushort v71, v[16:17]
	s_mov_b64 s[52:53], -1
	s_mov_b64 s[56:57], 0
	s_mov_b64 s[54:55], -1
	s_waitcnt vmcnt(0) lgkmcnt(0)
	v_lshlrev_b32_e32 v70, 16, v70
	v_lshlrev_b32_e32 v71, 16, v71
	v_cmp_nlt_f32_e64 s[12:13], v70, v71
	s_and_saveexec_b64 s[58:59], s[12:13]
; %bb.1145:                             ;   in Loop: Header=BB1124_1144 Depth=1
	v_cmp_ngt_f32_e64 s[12:13], v70, v71
	s_and_b64 s[50:51], s[12:13], s[50:51]
	s_orn2_b64 s[54:55], s[50:51], exec
	s_and_b64 s[56:57], s[12:13], exec
; %bb.1146:                             ;   in Loop: Header=BB1124_1144 Depth=1
	s_or_b64 exec, exec, s[58:59]
	s_andn2_b64 s[12:13], s[48:49], exec
	s_and_b64 s[48:49], s[54:55], exec
	s_or_b64 s[48:49], s[12:13], s[48:49]
                                        ; implicit-def: $sgpr50_sgpr51
	s_and_saveexec_b64 s[58:59], s[56:57]
	s_cbranch_execz .LBB1124_1143
; %bb.1147:                             ;   in Loop: Header=BB1124_1144 Depth=1
	v_lshl_add_u64 v[20:21], v[20:21], 0, -1
	v_cmp_eq_u64_e64 s[12:13], 0, v[20:21]
	v_lshl_add_u64 v[16:17], v[16:17], 0, 2
	v_lshl_add_u64 v[18:19], v[18:19], 0, 2
	s_and_b64 s[50:51], s[54:55], exec
	s_andn2_b64 s[48:49], s[48:49], exec
	s_orn2_b64 s[52:53], s[12:13], exec
	s_branch .LBB1124_1143
.LBB1124_1148:
	s_or_b64 exec, exec, s[44:45]
	s_xor_b64 s[12:13], s[46:47], -1
	s_andn2_b64 s[36:37], s[36:37], exec
	s_and_b64 s[12:13], s[12:13], exec
	s_or_b64 s[36:37], s[36:37], s[12:13]
.LBB1124_1149:
	s_or_b64 exec, exec, s[42:43]
	s_orn2_b64 s[36:37], s[36:37], exec
.LBB1124_1150:
	s_or_b64 exec, exec, s[40:41]
	v_cndmask_b32_e64 v16, v22, v23, s[36:37]
	v_cndmask_b32_e64 v17, v101, v100, s[36:37]
	v_add_u32_e32 v20, 1, v16
	v_add_u32_e32 v16, -1, v17
	v_min_u32_e32 v16, v20, v16
	v_mov_b32_e32 v17, 0
	v_lshl_add_u64 v[18:19], v[16:17], 3, v[66:67]
	flat_load_dwordx2 v[18:19], v[18:19]
	v_cndmask_b32_e64 v70, v20, v22, s[36:37]
	s_mov_b64 s[40:41], -1
	v_cndmask_b32_e64 v71, v23, v20, s[36:37]
	v_cmp_lt_u32_e64 s[12:13], v70, v101
	s_mov_b64 s[42:43], -1
	s_waitcnt vmcnt(0) lgkmcnt(0)
	v_cndmask_b32_e64 v102, v19, v96, s[36:37]
	v_cndmask_b32_e64 v103, v18, v97, s[36:37]
	;; [unrolled: 1-line block ×4, first 2 shown]
	s_and_saveexec_b64 s[44:45], s[12:13]
	s_cbranch_execz .LBB1124_1160
; %bb.1151:
	v_cmp_lt_u32_e64 s[42:43], v71, v100
	s_and_b64 s[12:13], s[42:43], s[26:27]
	s_and_saveexec_b64 s[46:47], s[12:13]
	s_cbranch_execz .LBB1124_1159
; %bb.1152:
	v_mul_lo_u32 v16, v112, v6
	v_mul_lo_u32 v20, v113, v7
	v_mad_u64_u32 v[18:19], s[12:13], v113, v6, 0
	v_add3_u32 v19, v19, v20, v16
	v_mul_lo_u32 v16, v102, v6
	v_mul_lo_u32 v22, v103, v7
	v_mad_u64_u32 v[20:21], s[12:13], v103, v6, 0
	v_add3_u32 v21, v21, v22, v16
	v_lshl_add_u64 v[18:19], v[18:19], 1, v[8:9]
	v_lshl_add_u64 v[20:21], v[20:21], 1, v[8:9]
	s_mov_b64 s[48:49], 0
	v_mov_b64_e32 v[22:23], v[6:7]
                                        ; implicit-def: $sgpr50_sgpr51
                                        ; implicit-def: $sgpr52_sgpr53
                                        ; implicit-def: $sgpr54_sgpr55
	s_branch .LBB1124_1154
.LBB1124_1153:                          ;   in Loop: Header=BB1124_1154 Depth=1
	s_or_b64 exec, exec, s[62:63]
	s_and_b64 s[12:13], exec, s[56:57]
	s_or_b64 s[48:49], s[12:13], s[48:49]
	s_andn2_b64 s[12:13], s[50:51], exec
	s_and_b64 s[50:51], s[52:53], exec
	s_or_b64 s[50:51], s[12:13], s[50:51]
	s_andn2_b64 exec, exec, s[48:49]
	s_cbranch_execz .LBB1124_1158
.LBB1124_1154:                          ; =>This Inner Loop Header: Depth=1
	flat_load_ushort v16, v[20:21]
	flat_load_ushort v114, v[18:19]
	s_mov_b64 s[56:57], -1
	s_mov_b64 s[60:61], 0
	s_mov_b64 s[58:59], -1
	s_waitcnt vmcnt(0) lgkmcnt(0)
	v_lshlrev_b32_e32 v16, 16, v16
	v_lshlrev_b32_e32 v114, 16, v114
	v_cmp_nlt_f32_e64 s[12:13], v16, v114
	s_and_saveexec_b64 s[62:63], s[12:13]
; %bb.1155:                             ;   in Loop: Header=BB1124_1154 Depth=1
	v_cmp_ngt_f32_e64 s[12:13], v16, v114
	s_and_b64 s[54:55], s[12:13], s[54:55]
	s_orn2_b64 s[58:59], s[54:55], exec
	s_and_b64 s[60:61], s[12:13], exec
; %bb.1156:                             ;   in Loop: Header=BB1124_1154 Depth=1
	s_or_b64 exec, exec, s[62:63]
	s_andn2_b64 s[12:13], s[52:53], exec
	s_and_b64 s[52:53], s[58:59], exec
	s_or_b64 s[52:53], s[12:13], s[52:53]
                                        ; implicit-def: $sgpr54_sgpr55
	s_and_saveexec_b64 s[62:63], s[60:61]
	s_cbranch_execz .LBB1124_1153
; %bb.1157:                             ;   in Loop: Header=BB1124_1154 Depth=1
	v_lshl_add_u64 v[22:23], v[22:23], 0, -1
	v_cmp_eq_u64_e64 s[12:13], 0, v[22:23]
	v_lshl_add_u64 v[18:19], v[18:19], 0, 2
	v_lshl_add_u64 v[20:21], v[20:21], 0, 2
	s_and_b64 s[54:55], s[58:59], exec
	s_andn2_b64 s[52:53], s[52:53], exec
	s_orn2_b64 s[56:57], s[12:13], exec
	s_branch .LBB1124_1153
.LBB1124_1158:
	s_or_b64 exec, exec, s[48:49]
	s_xor_b64 s[12:13], s[50:51], -1
	s_andn2_b64 s[42:43], s[42:43], exec
	s_and_b64 s[12:13], s[12:13], exec
	s_or_b64 s[42:43], s[42:43], s[12:13]
.LBB1124_1159:
	s_or_b64 exec, exec, s[46:47]
	s_orn2_b64 s[42:43], s[42:43], exec
.LBB1124_1160:
	s_or_b64 exec, exec, s[44:45]
	v_cndmask_b32_e64 v16, v70, v71, s[42:43]
	v_cndmask_b32_e64 v18, v101, v100, s[42:43]
	v_add_u32_e32 v19, 1, v16
	v_add_u32_e32 v16, -1, v18
	v_min_u32_e32 v16, v19, v16
	v_lshl_add_u64 v[16:17], v[16:17], 3, v[66:67]
	flat_load_dwordx2 v[16:17], v[16:17]
	v_cndmask_b32_e64 v117, v19, v70, s[42:43]
	v_cndmask_b32_e64 v114, v71, v19, s[42:43]
	v_cmp_lt_u32_e64 s[12:13], v117, v101
	s_waitcnt vmcnt(0) lgkmcnt(0)
	v_cndmask_b32_e64 v115, v17, v102, s[42:43]
	v_cndmask_b32_e64 v116, v16, v103, s[42:43]
	;; [unrolled: 1-line block ×4, first 2 shown]
	s_and_saveexec_b64 s[44:45], s[12:13]
	s_cbranch_execz .LBB1124_1170
; %bb.1161:
	v_cmp_lt_u32_e64 s[40:41], v114, v100
	s_and_b64 s[12:13], s[40:41], s[26:27]
	s_and_saveexec_b64 s[46:47], s[12:13]
	s_cbranch_execz .LBB1124_1169
; %bb.1162:
	v_mul_lo_u32 v18, v118, v6
	v_mul_lo_u32 v19, v119, v7
	v_mad_u64_u32 v[16:17], s[12:13], v119, v6, 0
	v_add3_u32 v17, v17, v19, v18
	v_mul_lo_u32 v20, v115, v6
	v_mul_lo_u32 v21, v116, v7
	v_mad_u64_u32 v[18:19], s[12:13], v116, v6, 0
	v_add3_u32 v19, v19, v21, v20
	v_lshl_add_u64 v[16:17], v[16:17], 1, v[8:9]
	v_lshl_add_u64 v[18:19], v[18:19], 1, v[8:9]
	s_mov_b64 s[48:49], 0
	v_mov_b64_e32 v[20:21], v[6:7]
                                        ; implicit-def: $sgpr50_sgpr51
                                        ; implicit-def: $sgpr52_sgpr53
                                        ; implicit-def: $sgpr54_sgpr55
	s_branch .LBB1124_1164
.LBB1124_1163:                          ;   in Loop: Header=BB1124_1164 Depth=1
	s_or_b64 exec, exec, s[62:63]
	s_and_b64 s[12:13], exec, s[56:57]
	s_or_b64 s[48:49], s[12:13], s[48:49]
	s_andn2_b64 s[12:13], s[50:51], exec
	s_and_b64 s[50:51], s[52:53], exec
	s_or_b64 s[50:51], s[12:13], s[50:51]
	s_andn2_b64 exec, exec, s[48:49]
	s_cbranch_execz .LBB1124_1168
.LBB1124_1164:                          ; =>This Inner Loop Header: Depth=1
	flat_load_ushort v22, v[18:19]
	flat_load_ushort v23, v[16:17]
	s_mov_b64 s[56:57], -1
	s_mov_b64 s[60:61], 0
	s_mov_b64 s[58:59], -1
	s_waitcnt vmcnt(0) lgkmcnt(0)
	v_lshlrev_b32_e32 v22, 16, v22
	v_lshlrev_b32_e32 v23, 16, v23
	v_cmp_nlt_f32_e64 s[12:13], v22, v23
	s_and_saveexec_b64 s[62:63], s[12:13]
; %bb.1165:                             ;   in Loop: Header=BB1124_1164 Depth=1
	v_cmp_ngt_f32_e64 s[12:13], v22, v23
	s_and_b64 s[54:55], s[12:13], s[54:55]
	s_orn2_b64 s[58:59], s[54:55], exec
	s_and_b64 s[60:61], s[12:13], exec
; %bb.1166:                             ;   in Loop: Header=BB1124_1164 Depth=1
	s_or_b64 exec, exec, s[62:63]
	s_andn2_b64 s[12:13], s[52:53], exec
	s_and_b64 s[52:53], s[58:59], exec
	s_or_b64 s[52:53], s[12:13], s[52:53]
                                        ; implicit-def: $sgpr54_sgpr55
	s_and_saveexec_b64 s[62:63], s[60:61]
	s_cbranch_execz .LBB1124_1163
; %bb.1167:                             ;   in Loop: Header=BB1124_1164 Depth=1
	v_lshl_add_u64 v[20:21], v[20:21], 0, -1
	v_cmp_eq_u64_e64 s[12:13], 0, v[20:21]
	v_lshl_add_u64 v[16:17], v[16:17], 0, 2
	v_lshl_add_u64 v[18:19], v[18:19], 0, 2
	s_and_b64 s[54:55], s[58:59], exec
	s_andn2_b64 s[52:53], s[52:53], exec
	s_orn2_b64 s[56:57], s[12:13], exec
	s_branch .LBB1124_1163
.LBB1124_1168:
	s_or_b64 exec, exec, s[48:49]
	s_xor_b64 s[12:13], s[50:51], -1
	s_andn2_b64 s[40:41], s[40:41], exec
	s_and_b64 s[12:13], s[12:13], exec
	s_or_b64 s[40:41], s[40:41], s[12:13]
.LBB1124_1169:
	s_or_b64 exec, exec, s[46:47]
	s_orn2_b64 s[40:41], s[40:41], exec
.LBB1124_1170:
	s_or_b64 exec, exec, s[44:45]
	v_cndmask_b32_e64 v16, v117, v114, s[40:41]
	v_cndmask_b32_e64 v17, v101, v100, s[40:41]
	v_add_u32_e32 v128, 1, v16
	v_add_u32_e32 v16, -1, v17
	v_min_u32_e32 v16, v128, v16
	v_mov_b32_e32 v17, 0
	v_lshl_add_u64 v[16:17], v[16:17], 3, v[66:67]
	flat_load_dwordx2 v[70:71], v[16:17]
	v_cndmask_b32_e64 v21, v27, v82, s[18:19]
	v_cndmask_b32_e64 v27, v24, v26, s[34:35]
	v_cndmask_b32_e64 v26, v25, v80, s[34:35]
	v_cndmask_b32_e64 v80, v128, v117, s[40:41]
	v_cndmask_b32_e64 v19, v102, v112, s[42:43]
	v_cndmask_b32_e64 v18, v103, v113, s[42:43]
	v_cndmask_b32_e64 v17, v96, v98, s[36:37]
	v_cndmask_b32_e64 v16, v97, v99, s[36:37]
	v_cndmask_b32_e64 v23, v84, v86, s[38:39]
	v_cndmask_b32_e64 v22, v85, v87, s[38:39]
	v_cndmask_b32_e64 v20, v81, v83, s[18:19]
	v_cndmask_b32_e64 v25, v15, v13, s[30:31]
	v_cndmask_b32_e64 v24, v14, v12, s[30:31]
	v_cndmask_b32_e64 v13, v115, v118, s[40:41]
	v_cndmask_b32_e64 v12, v116, v119, s[40:41]
	v_cmp_lt_u32_e64 s[12:13], v80, v101
	s_waitcnt vmcnt(0) lgkmcnt(0)
	v_cndmask_b32_e64 v15, v118, v71, s[40:41]
	v_cndmask_b32_e64 v14, v119, v70, s[40:41]
	s_and_saveexec_b64 s[18:19], s[12:13]
	s_cbranch_execz .LBB1124_1180
; %bb.1171:
	v_cndmask_b32_e64 v85, v70, v116, s[40:41]
	v_cndmask_b32_e64 v70, v114, v128, s[40:41]
	v_cmp_ge_u32_e64 s[12:13], v70, v100
	v_cndmask_b32_e64 v84, v71, v115, s[40:41]
	s_or_b64 s[30:31], s[12:13], s[8:9]
	v_cndmask_b32_e64 v71, v15, v84, s[12:13]
	s_xor_b64 s[34:35], s[30:31], -1
	v_cndmask_b32_e64 v70, v14, v85, s[12:13]
	s_and_saveexec_b64 s[30:31], s[34:35]
	s_cbranch_execz .LBB1124_1179
; %bb.1172:
	v_mul_lo_u32 v80, v15, v6
	v_mul_lo_u32 v81, v14, v7
	v_mad_u64_u32 v[70:71], s[12:13], v14, v6, 0
	v_add3_u32 v71, v71, v81, v80
	v_mul_lo_u32 v82, v84, v6
	v_mul_lo_u32 v83, v85, v7
	v_mad_u64_u32 v[80:81], s[12:13], v85, v6, 0
	v_add3_u32 v81, v81, v83, v82
	v_lshl_add_u64 v[70:71], v[70:71], 1, v[8:9]
	v_lshl_add_u64 v[80:81], v[80:81], 1, v[8:9]
	s_mov_b64 s[34:35], 0
	v_mov_b64_e32 v[82:83], v[6:7]
                                        ; implicit-def: $sgpr36_sgpr37
                                        ; implicit-def: $sgpr38_sgpr39
                                        ; implicit-def: $sgpr40_sgpr41
	s_branch .LBB1124_1174
.LBB1124_1173:                          ;   in Loop: Header=BB1124_1174 Depth=1
	s_or_b64 exec, exec, s[48:49]
	s_and_b64 s[12:13], exec, s[42:43]
	s_or_b64 s[34:35], s[12:13], s[34:35]
	s_andn2_b64 s[12:13], s[36:37], exec
	s_and_b64 s[36:37], s[38:39], exec
	s_or_b64 s[36:37], s[12:13], s[36:37]
	s_andn2_b64 exec, exec, s[34:35]
	s_cbranch_execz .LBB1124_1178
.LBB1124_1174:                          ; =>This Inner Loop Header: Depth=1
	flat_load_ushort v86, v[80:81]
	flat_load_ushort v87, v[70:71]
	s_mov_b64 s[42:43], -1
	s_mov_b64 s[46:47], 0
	s_mov_b64 s[44:45], -1
	s_waitcnt vmcnt(0) lgkmcnt(0)
	v_lshlrev_b32_e32 v86, 16, v86
	v_lshlrev_b32_e32 v87, 16, v87
	v_cmp_nlt_f32_e64 s[12:13], v86, v87
	s_and_saveexec_b64 s[48:49], s[12:13]
; %bb.1175:                             ;   in Loop: Header=BB1124_1174 Depth=1
	v_cmp_ngt_f32_e64 s[12:13], v86, v87
	s_and_b64 s[40:41], s[12:13], s[40:41]
	s_orn2_b64 s[44:45], s[40:41], exec
	s_and_b64 s[46:47], s[12:13], exec
; %bb.1176:                             ;   in Loop: Header=BB1124_1174 Depth=1
	s_or_b64 exec, exec, s[48:49]
	s_andn2_b64 s[12:13], s[38:39], exec
	s_and_b64 s[38:39], s[44:45], exec
	s_or_b64 s[38:39], s[12:13], s[38:39]
                                        ; implicit-def: $sgpr40_sgpr41
	s_and_saveexec_b64 s[48:49], s[46:47]
	s_cbranch_execz .LBB1124_1173
; %bb.1177:                             ;   in Loop: Header=BB1124_1174 Depth=1
	v_lshl_add_u64 v[82:83], v[82:83], 0, -1
	v_cmp_eq_u64_e64 s[12:13], 0, v[82:83]
	v_lshl_add_u64 v[70:71], v[70:71], 0, 2
	v_lshl_add_u64 v[80:81], v[80:81], 0, 2
	s_and_b64 s[40:41], s[44:45], exec
	s_andn2_b64 s[38:39], s[38:39], exec
	s_orn2_b64 s[42:43], s[12:13], exec
	s_branch .LBB1124_1173
.LBB1124_1178:
	s_or_b64 exec, exec, s[34:35]
	v_cndmask_b32_e64 v71, v15, v84, s[36:37]
	v_cndmask_b32_e64 v70, v14, v85, s[36:37]
.LBB1124_1179:
	s_or_b64 exec, exec, s[30:31]
	v_mov_b64_e32 v[14:15], v[70:71]
.LBB1124_1180:
	s_or_b64 exec, exec, s[18:19]
.LBB1124_1181:
	s_or_b64 exec, exec, s[28:29]
	v_and_b32_e32 v102, 0x3e0, v31
	v_or_b32_e32 v70, 16, v102
	v_min_u32_e32 v100, v1, v70
	v_add_u32_e32 v70, 16, v100
	v_min_u32_e32 v101, v1, v70
	v_and_b32_e32 v70, 24, v31
	v_min_u32_e32 v103, v1, v70
	v_sub_u32_e32 v70, v100, v102
	v_sub_u32_e32 v71, v101, v100
	v_sub_u32_e64 v112, v103, v71 clamp
	v_min_u32_e32 v113, v103, v70
	v_cmp_lt_u32_e64 s[12:13], v112, v113
	; wave barrier
	flat_store_dwordx4 v[68:69], v[24:27]
	flat_store_dwordx4 v[68:69], v[20:23] offset:16
	flat_store_dwordx4 v[68:69], v[16:19] offset:32
	;; [unrolled: 1-line block ×3, first 2 shown]
	; wave barrier
	s_and_saveexec_b64 s[18:19], s[12:13]
	s_cbranch_execz .LBB1124_1193
; %bb.1182:
	v_lshlrev_b32_e32 v70, 3, v102
	v_mov_b32_e32 v71, 0
	v_lshl_add_u64 v[80:81], v[66:67], 0, v[70:71]
	v_lshlrev_b32_e32 v70, 3, v100
	v_lshl_add_u64 v[82:83], v[66:67], 0, v[70:71]
	s_mov_b64 s[28:29], 0
	s_branch .LBB1124_1185
.LBB1124_1183:                          ;   in Loop: Header=BB1124_1185 Depth=1
	s_or_b64 exec, exec, s[34:35]
	s_and_b64 s[12:13], s[36:37], exec
.LBB1124_1184:                          ;   in Loop: Header=BB1124_1185 Depth=1
	s_or_b64 exec, exec, s[30:31]
	v_add_u32_e32 v70, 1, v84
	v_cndmask_b32_e64 v113, v113, v84, s[12:13]
	v_cndmask_b32_e64 v112, v70, v112, s[12:13]
	v_cmp_ge_u32_e64 s[12:13], v112, v113
	s_or_b64 s[28:29], s[12:13], s[28:29]
	s_andn2_b64 exec, exec, s[28:29]
	s_cbranch_execz .LBB1124_1192
.LBB1124_1185:                          ; =>This Loop Header: Depth=1
                                        ;     Child Loop BB1124_1188 Depth 2
	v_add_u32_e32 v70, v113, v112
	v_lshrrev_b32_e32 v84, 1, v70
	s_mov_b64 s[12:13], 0
	s_and_saveexec_b64 s[30:31], s[16:17]
	s_cbranch_execz .LBB1124_1184
; %bb.1186:                             ;   in Loop: Header=BB1124_1185 Depth=1
	v_mov_b32_e32 v85, v71
	v_xad_u32 v70, v84, -1, v103
	v_lshl_add_u64 v[86:87], v[84:85], 3, v[80:81]
	v_lshl_add_u64 v[96:97], v[70:71], 3, v[82:83]
	flat_load_dwordx2 v[86:87], v[86:87]
	s_mov_b64 s[34:35], 0
	flat_load_dwordx2 v[96:97], v[96:97]
                                        ; implicit-def: $sgpr36_sgpr37
                                        ; implicit-def: $sgpr38_sgpr39
                                        ; implicit-def: $sgpr40_sgpr41
	s_waitcnt vmcnt(0) lgkmcnt(0)
	v_mul_lo_u32 v70, v64, v87
	v_mul_lo_u32 v85, v65, v86
	v_mad_u64_u32 v[86:87], s[12:13], v64, v86, v[8:9]
	v_mul_lo_u32 v98, v64, v97
	v_mul_lo_u32 v99, v65, v96
	v_mad_u64_u32 v[96:97], s[12:13], v64, v96, v[8:9]
	v_add3_u32 v87, v85, v87, v70
	v_add3_u32 v97, v99, v97, v98
	v_mov_b64_e32 v[98:99], v[6:7]
	s_branch .LBB1124_1188
.LBB1124_1187:                          ;   in Loop: Header=BB1124_1188 Depth=2
	s_or_b64 exec, exec, s[48:49]
	s_and_b64 s[12:13], exec, s[42:43]
	s_or_b64 s[34:35], s[12:13], s[34:35]
	s_andn2_b64 s[12:13], s[36:37], exec
	s_and_b64 s[36:37], s[38:39], exec
	s_or_b64 s[36:37], s[12:13], s[36:37]
	s_andn2_b64 exec, exec, s[34:35]
	s_cbranch_execz .LBB1124_1183
.LBB1124_1188:                          ;   Parent Loop BB1124_1185 Depth=1
                                        ; =>  This Inner Loop Header: Depth=2
	flat_load_ushort v70, v[96:97]
	flat_load_ushort v85, v[86:87]
	s_mov_b64 s[42:43], -1
	s_mov_b64 s[46:47], 0
	s_mov_b64 s[44:45], -1
	s_waitcnt vmcnt(0) lgkmcnt(0)
	v_lshlrev_b32_e32 v70, 16, v70
	v_lshlrev_b32_e32 v85, 16, v85
	v_cmp_nlt_f32_e64 s[12:13], v70, v85
	s_and_saveexec_b64 s[48:49], s[12:13]
; %bb.1189:                             ;   in Loop: Header=BB1124_1188 Depth=2
	v_cmp_ngt_f32_e64 s[12:13], v70, v85
	s_and_b64 s[40:41], s[12:13], s[40:41]
	s_orn2_b64 s[44:45], s[40:41], exec
	s_and_b64 s[46:47], s[12:13], exec
; %bb.1190:                             ;   in Loop: Header=BB1124_1188 Depth=2
	s_or_b64 exec, exec, s[48:49]
	s_andn2_b64 s[12:13], s[38:39], exec
	s_and_b64 s[38:39], s[44:45], exec
	s_or_b64 s[38:39], s[12:13], s[38:39]
                                        ; implicit-def: $sgpr40_sgpr41
	s_and_saveexec_b64 s[48:49], s[46:47]
	s_cbranch_execz .LBB1124_1187
; %bb.1191:                             ;   in Loop: Header=BB1124_1188 Depth=2
	v_lshl_add_u64 v[98:99], v[98:99], 0, -1
	v_cmp_eq_u64_e64 s[12:13], 0, v[98:99]
	v_lshl_add_u64 v[86:87], v[86:87], 0, 2
	v_lshl_add_u64 v[96:97], v[96:97], 0, 2
	s_andn2_b64 s[38:39], s[38:39], exec
	s_and_b64 s[40:41], s[44:45], exec
	s_orn2_b64 s[42:43], s[12:13], exec
	s_branch .LBB1124_1187
.LBB1124_1192:
	s_or_b64 exec, exec, s[28:29]
.LBB1124_1193:
	s_or_b64 exec, exec, s[18:19]
	v_add_u32_e32 v71, v100, v103
	v_add_u32_e32 v70, v112, v102
	v_sub_u32_e32 v80, v71, v112
	v_cmp_le_u32_e64 s[12:13], v70, v100
	v_cmp_le_u32_e64 s[18:19], v80, v101
	s_or_b64 s[12:13], s[12:13], s[18:19]
	s_and_saveexec_b64 s[28:29], s[12:13]
	s_cbranch_execz .LBB1124_1281
; %bb.1194:
	v_cmp_ge_u32_e64 s[18:19], v70, v100
	v_cmp_lt_u32_e64 s[12:13], v70, v100
                                        ; implicit-def: $vgpr12_vgpr13
	s_and_saveexec_b64 s[30:31], s[12:13]
	s_cbranch_execz .LBB1124_1196
; %bb.1195:
	v_mov_b32_e32 v71, 0
	v_lshl_add_u64 v[12:13], v[70:71], 3, v[66:67]
	flat_load_dwordx2 v[12:13], v[12:13]
.LBB1124_1196:
	s_or_b64 exec, exec, s[30:31]
	v_cmp_ge_u32_e64 s[30:31], v80, v101
	v_cmp_lt_u32_e64 s[12:13], v80, v101
                                        ; implicit-def: $vgpr14_vgpr15
	s_and_saveexec_b64 s[34:35], s[12:13]
	s_cbranch_execz .LBB1124_1198
; %bb.1197:
	v_mov_b32_e32 v81, 0
	v_lshl_add_u64 v[14:15], v[80:81], 3, v[66:67]
	flat_load_dwordx2 v[14:15], v[14:15]
.LBB1124_1198:
	s_or_b64 exec, exec, s[34:35]
	s_or_b64 s[12:13], s[18:19], s[30:31]
	s_xor_b64 s[12:13], s[12:13], -1
	s_and_saveexec_b64 s[18:19], s[12:13]
	s_cbranch_execz .LBB1124_1208
; %bb.1199:
	s_mov_b64 s[12:13], 0
	s_and_saveexec_b64 s[34:35], s[16:17]
	s_cbranch_execz .LBB1124_1207
; %bb.1200:
	s_waitcnt vmcnt(0) lgkmcnt(0)
	v_mul_lo_u32 v18, v13, v6
	v_mul_lo_u32 v19, v12, v7
	v_mad_u64_u32 v[16:17], s[12:13], v12, v6, 0
	v_add3_u32 v17, v17, v19, v18
	v_mul_lo_u32 v20, v15, v6
	v_mul_lo_u32 v21, v14, v7
	v_mad_u64_u32 v[18:19], s[12:13], v14, v6, 0
	v_add3_u32 v19, v19, v21, v20
	v_lshl_add_u64 v[16:17], v[16:17], 1, v[8:9]
	v_lshl_add_u64 v[18:19], v[18:19], 1, v[8:9]
	s_mov_b64 s[36:37], 0
	v_mov_b64_e32 v[20:21], v[6:7]
                                        ; implicit-def: $sgpr38_sgpr39
                                        ; implicit-def: $sgpr40_sgpr41
                                        ; implicit-def: $sgpr42_sgpr43
	s_branch .LBB1124_1202
.LBB1124_1201:                          ;   in Loop: Header=BB1124_1202 Depth=1
	s_or_b64 exec, exec, s[48:49]
	s_and_b64 s[12:13], exec, s[12:13]
	s_or_b64 s[36:37], s[12:13], s[36:37]
	s_andn2_b64 s[12:13], s[38:39], exec
	s_and_b64 s[38:39], s[40:41], exec
	s_or_b64 s[38:39], s[12:13], s[38:39]
	s_andn2_b64 exec, exec, s[36:37]
	s_cbranch_execz .LBB1124_1206
.LBB1124_1202:                          ; =>This Inner Loop Header: Depth=1
	flat_load_ushort v22, v[18:19]
	flat_load_ushort v23, v[16:17]
	s_mov_b64 s[46:47], 0
	s_mov_b64 s[44:45], -1
	s_waitcnt vmcnt(0) lgkmcnt(0)
	v_lshlrev_b32_e32 v22, 16, v22
	v_lshlrev_b32_e32 v23, 16, v23
	v_cmp_nlt_f32_e64 s[12:13], v22, v23
	s_and_saveexec_b64 s[48:49], s[12:13]
; %bb.1203:                             ;   in Loop: Header=BB1124_1202 Depth=1
	v_cmp_ngt_f32_e64 s[12:13], v22, v23
	s_and_b64 s[42:43], s[12:13], s[42:43]
	s_orn2_b64 s[44:45], s[42:43], exec
	s_and_b64 s[46:47], s[12:13], exec
; %bb.1204:                             ;   in Loop: Header=BB1124_1202 Depth=1
	s_or_b64 exec, exec, s[48:49]
	s_andn2_b64 s[40:41], s[40:41], exec
	s_and_b64 s[42:43], s[44:45], exec
	s_mov_b64 s[12:13], -1
	s_or_b64 s[40:41], s[40:41], s[42:43]
                                        ; implicit-def: $sgpr42_sgpr43
	s_and_saveexec_b64 s[48:49], s[46:47]
	s_cbranch_execz .LBB1124_1201
; %bb.1205:                             ;   in Loop: Header=BB1124_1202 Depth=1
	v_lshl_add_u64 v[20:21], v[20:21], 0, -1
	v_cmp_eq_u64_e64 s[12:13], 0, v[20:21]
	v_lshl_add_u64 v[16:17], v[16:17], 0, 2
	v_lshl_add_u64 v[18:19], v[18:19], 0, 2
	s_andn2_b64 s[40:41], s[40:41], exec
	s_and_b64 s[42:43], s[44:45], exec
	s_orn2_b64 s[12:13], s[12:13], exec
	s_branch .LBB1124_1201
.LBB1124_1206:
	s_or_b64 exec, exec, s[36:37]
	s_and_b64 s[12:13], s[38:39], exec
.LBB1124_1207:
	s_or_b64 exec, exec, s[34:35]
	s_xor_b64 s[12:13], s[12:13], -1
	s_andn2_b64 s[30:31], s[30:31], exec
	s_and_b64 s[12:13], s[12:13], exec
	s_or_b64 s[30:31], s[30:31], s[12:13]
.LBB1124_1208:
	s_or_b64 exec, exec, s[18:19]
	v_cndmask_b32_e64 v16, v80, v70, s[30:31]
	v_cndmask_b32_e64 v17, v101, v100, s[30:31]
	v_add_u32_e32 v20, 1, v16
	v_add_u32_e32 v16, -1, v17
	v_min_u32_e32 v16, v20, v16
	v_mov_b32_e32 v17, 0
	v_lshl_add_u64 v[18:19], v[16:17], 3, v[66:67]
	flat_load_dwordx2 v[18:19], v[18:19]
	v_cndmask_b32_e64 v27, v20, v80, s[30:31]
	s_mov_b64 s[18:19], -1
	v_cndmask_b32_e64 v70, v70, v20, s[30:31]
	v_cmp_lt_u32_e64 s[12:13], v27, v101
	s_mov_b64 s[34:35], -1
	s_waitcnt vmcnt(0) lgkmcnt(0)
	v_cndmask_b32_e64 v24, v19, v15, s[30:31]
	v_cndmask_b32_e64 v25, v18, v14, s[30:31]
	;; [unrolled: 1-line block ×4, first 2 shown]
	s_and_saveexec_b64 s[36:37], s[12:13]
	s_cbranch_execz .LBB1124_1220
; %bb.1209:
	v_cmp_lt_u32_e64 s[12:13], v70, v100
	s_mov_b64 s[38:39], 0
	s_and_saveexec_b64 s[34:35], s[12:13]
	s_cbranch_execz .LBB1124_1219
; %bb.1210:
	s_mov_b64 s[12:13], 0
	s_and_saveexec_b64 s[38:39], s[16:17]
	s_cbranch_execz .LBB1124_1218
; %bb.1211:
	v_mul_lo_u32 v16, v26, v6
	v_mul_lo_u32 v20, v80, v7
	v_mad_u64_u32 v[18:19], s[12:13], v80, v6, 0
	v_add3_u32 v19, v19, v20, v16
	v_mul_lo_u32 v16, v24, v6
	v_mul_lo_u32 v22, v25, v7
	v_mad_u64_u32 v[20:21], s[12:13], v25, v6, 0
	v_add3_u32 v21, v21, v22, v16
	v_lshl_add_u64 v[18:19], v[18:19], 1, v[8:9]
	v_lshl_add_u64 v[20:21], v[20:21], 1, v[8:9]
	s_mov_b64 s[40:41], 0
	v_mov_b64_e32 v[22:23], v[6:7]
                                        ; implicit-def: $sgpr42_sgpr43
                                        ; implicit-def: $sgpr44_sgpr45
                                        ; implicit-def: $sgpr46_sgpr47
	s_branch .LBB1124_1213
.LBB1124_1212:                          ;   in Loop: Header=BB1124_1213 Depth=1
	s_or_b64 exec, exec, s[52:53]
	s_and_b64 s[12:13], exec, s[12:13]
	s_or_b64 s[40:41], s[12:13], s[40:41]
	s_andn2_b64 s[12:13], s[42:43], exec
	s_and_b64 s[42:43], s[44:45], exec
	s_or_b64 s[42:43], s[12:13], s[42:43]
	s_andn2_b64 exec, exec, s[40:41]
	s_cbranch_execz .LBB1124_1217
.LBB1124_1213:                          ; =>This Inner Loop Header: Depth=1
	flat_load_ushort v16, v[20:21]
	flat_load_ushort v71, v[18:19]
	s_mov_b64 s[50:51], 0
	s_mov_b64 s[48:49], -1
	s_waitcnt vmcnt(0) lgkmcnt(0)
	v_lshlrev_b32_e32 v16, 16, v16
	v_lshlrev_b32_e32 v71, 16, v71
	v_cmp_nlt_f32_e64 s[12:13], v16, v71
	s_and_saveexec_b64 s[52:53], s[12:13]
; %bb.1214:                             ;   in Loop: Header=BB1124_1213 Depth=1
	v_cmp_ngt_f32_e64 s[12:13], v16, v71
	s_and_b64 s[46:47], s[12:13], s[46:47]
	s_orn2_b64 s[48:49], s[46:47], exec
	s_and_b64 s[50:51], s[12:13], exec
; %bb.1215:                             ;   in Loop: Header=BB1124_1213 Depth=1
	s_or_b64 exec, exec, s[52:53]
	s_andn2_b64 s[44:45], s[44:45], exec
	s_and_b64 s[46:47], s[48:49], exec
	s_mov_b64 s[12:13], -1
	s_or_b64 s[44:45], s[44:45], s[46:47]
                                        ; implicit-def: $sgpr46_sgpr47
	s_and_saveexec_b64 s[52:53], s[50:51]
	s_cbranch_execz .LBB1124_1212
; %bb.1216:                             ;   in Loop: Header=BB1124_1213 Depth=1
	v_lshl_add_u64 v[22:23], v[22:23], 0, -1
	v_cmp_eq_u64_e64 s[12:13], 0, v[22:23]
	v_lshl_add_u64 v[18:19], v[18:19], 0, 2
	v_lshl_add_u64 v[20:21], v[20:21], 0, 2
	s_andn2_b64 s[44:45], s[44:45], exec
	s_and_b64 s[46:47], s[48:49], exec
	s_orn2_b64 s[12:13], s[12:13], exec
	s_branch .LBB1124_1212
.LBB1124_1217:
	s_or_b64 exec, exec, s[40:41]
	s_and_b64 s[12:13], s[42:43], exec
.LBB1124_1218:
	s_or_b64 exec, exec, s[38:39]
	s_xor_b64 s[12:13], s[12:13], -1
	s_and_b64 s[38:39], s[12:13], exec
.LBB1124_1219:
	s_or_b64 exec, exec, s[34:35]
	s_orn2_b64 s[34:35], s[38:39], exec
.LBB1124_1220:
	s_or_b64 exec, exec, s[36:37]
	v_cndmask_b32_e64 v16, v27, v70, s[34:35]
	v_cndmask_b32_e64 v18, v101, v100, s[34:35]
	v_add_u32_e32 v19, 1, v16
	v_add_u32_e32 v16, -1, v18
	v_min_u32_e32 v16, v19, v16
	v_lshl_add_u64 v[16:17], v[16:17], 3, v[66:67]
	flat_load_dwordx2 v[16:17], v[16:17]
	v_cndmask_b32_e64 v22, v19, v27, s[34:35]
	v_cndmask_b32_e64 v23, v70, v19, s[34:35]
	v_cmp_lt_u32_e64 s[12:13], v22, v101
	s_waitcnt vmcnt(0) lgkmcnt(0)
	v_cndmask_b32_e64 v27, v17, v24, s[34:35]
	v_cndmask_b32_e64 v81, v16, v25, s[34:35]
	;; [unrolled: 1-line block ×4, first 2 shown]
	s_and_saveexec_b64 s[36:37], s[12:13]
	s_cbranch_execz .LBB1124_1230
; %bb.1221:
	v_cmp_lt_u32_e64 s[18:19], v23, v100
	s_and_b64 s[12:13], s[18:19], s[26:27]
	s_and_saveexec_b64 s[38:39], s[12:13]
	s_cbranch_execz .LBB1124_1229
; %bb.1222:
	v_mul_lo_u32 v18, v82, v6
	v_mul_lo_u32 v19, v83, v7
	v_mad_u64_u32 v[16:17], s[12:13], v83, v6, 0
	v_add3_u32 v17, v17, v19, v18
	v_mul_lo_u32 v20, v27, v6
	v_mul_lo_u32 v21, v81, v7
	v_mad_u64_u32 v[18:19], s[12:13], v81, v6, 0
	v_add3_u32 v19, v19, v21, v20
	v_lshl_add_u64 v[16:17], v[16:17], 1, v[8:9]
	v_lshl_add_u64 v[18:19], v[18:19], 1, v[8:9]
	s_mov_b64 s[40:41], 0
	v_mov_b64_e32 v[20:21], v[6:7]
                                        ; implicit-def: $sgpr42_sgpr43
                                        ; implicit-def: $sgpr44_sgpr45
                                        ; implicit-def: $sgpr46_sgpr47
	s_branch .LBB1124_1224
.LBB1124_1223:                          ;   in Loop: Header=BB1124_1224 Depth=1
	s_or_b64 exec, exec, s[54:55]
	s_and_b64 s[12:13], exec, s[48:49]
	s_or_b64 s[40:41], s[12:13], s[40:41]
	s_andn2_b64 s[12:13], s[42:43], exec
	s_and_b64 s[42:43], s[44:45], exec
	s_or_b64 s[42:43], s[12:13], s[42:43]
	s_andn2_b64 exec, exec, s[40:41]
	s_cbranch_execz .LBB1124_1228
.LBB1124_1224:                          ; =>This Inner Loop Header: Depth=1
	flat_load_ushort v70, v[18:19]
	flat_load_ushort v71, v[16:17]
	s_mov_b64 s[48:49], -1
	s_mov_b64 s[52:53], 0
	s_mov_b64 s[50:51], -1
	s_waitcnt vmcnt(0) lgkmcnt(0)
	v_lshlrev_b32_e32 v70, 16, v70
	v_lshlrev_b32_e32 v71, 16, v71
	v_cmp_nlt_f32_e64 s[12:13], v70, v71
	s_and_saveexec_b64 s[54:55], s[12:13]
; %bb.1225:                             ;   in Loop: Header=BB1124_1224 Depth=1
	v_cmp_ngt_f32_e64 s[12:13], v70, v71
	s_and_b64 s[46:47], s[12:13], s[46:47]
	s_orn2_b64 s[50:51], s[46:47], exec
	s_and_b64 s[52:53], s[12:13], exec
; %bb.1226:                             ;   in Loop: Header=BB1124_1224 Depth=1
	s_or_b64 exec, exec, s[54:55]
	s_andn2_b64 s[12:13], s[44:45], exec
	s_and_b64 s[44:45], s[50:51], exec
	s_or_b64 s[44:45], s[12:13], s[44:45]
                                        ; implicit-def: $sgpr46_sgpr47
	s_and_saveexec_b64 s[54:55], s[52:53]
	s_cbranch_execz .LBB1124_1223
; %bb.1227:                             ;   in Loop: Header=BB1124_1224 Depth=1
	v_lshl_add_u64 v[20:21], v[20:21], 0, -1
	v_cmp_eq_u64_e64 s[12:13], 0, v[20:21]
	v_lshl_add_u64 v[16:17], v[16:17], 0, 2
	v_lshl_add_u64 v[18:19], v[18:19], 0, 2
	s_and_b64 s[46:47], s[50:51], exec
	s_andn2_b64 s[44:45], s[44:45], exec
	s_orn2_b64 s[48:49], s[12:13], exec
	s_branch .LBB1124_1223
.LBB1124_1228:
	s_or_b64 exec, exec, s[40:41]
	s_xor_b64 s[12:13], s[42:43], -1
	s_andn2_b64 s[18:19], s[18:19], exec
	s_and_b64 s[12:13], s[12:13], exec
	s_or_b64 s[18:19], s[18:19], s[12:13]
.LBB1124_1229:
	s_or_b64 exec, exec, s[38:39]
	s_orn2_b64 s[18:19], s[18:19], exec
.LBB1124_1230:
	s_or_b64 exec, exec, s[36:37]
	v_cndmask_b32_e64 v16, v22, v23, s[18:19]
	v_cndmask_b32_e64 v17, v101, v100, s[18:19]
	v_add_u32_e32 v20, 1, v16
	v_add_u32_e32 v16, -1, v17
	v_min_u32_e32 v16, v20, v16
	v_mov_b32_e32 v17, 0
	v_lshl_add_u64 v[18:19], v[16:17], 3, v[66:67]
	flat_load_dwordx2 v[18:19], v[18:19]
	v_cndmask_b32_e64 v70, v20, v22, s[18:19]
	s_mov_b64 s[36:37], -1
	v_cndmask_b32_e64 v71, v23, v20, s[18:19]
	v_cmp_lt_u32_e64 s[12:13], v70, v101
	s_mov_b64 s[38:39], -1
	s_waitcnt vmcnt(0) lgkmcnt(0)
	v_cndmask_b32_e64 v84, v19, v27, s[18:19]
	v_cndmask_b32_e64 v85, v18, v81, s[18:19]
	;; [unrolled: 1-line block ×4, first 2 shown]
	s_and_saveexec_b64 s[40:41], s[12:13]
	s_cbranch_execz .LBB1124_1240
; %bb.1231:
	v_cmp_lt_u32_e64 s[38:39], v71, v100
	s_and_b64 s[12:13], s[38:39], s[26:27]
	s_and_saveexec_b64 s[42:43], s[12:13]
	s_cbranch_execz .LBB1124_1239
; %bb.1232:
	v_mul_lo_u32 v16, v86, v6
	v_mul_lo_u32 v20, v87, v7
	v_mad_u64_u32 v[18:19], s[12:13], v87, v6, 0
	v_add3_u32 v19, v19, v20, v16
	v_mul_lo_u32 v16, v84, v6
	v_mul_lo_u32 v22, v85, v7
	v_mad_u64_u32 v[20:21], s[12:13], v85, v6, 0
	v_add3_u32 v21, v21, v22, v16
	v_lshl_add_u64 v[18:19], v[18:19], 1, v[8:9]
	v_lshl_add_u64 v[20:21], v[20:21], 1, v[8:9]
	s_mov_b64 s[44:45], 0
	v_mov_b64_e32 v[22:23], v[6:7]
                                        ; implicit-def: $sgpr46_sgpr47
                                        ; implicit-def: $sgpr48_sgpr49
                                        ; implicit-def: $sgpr50_sgpr51
	s_branch .LBB1124_1234
.LBB1124_1233:                          ;   in Loop: Header=BB1124_1234 Depth=1
	s_or_b64 exec, exec, s[58:59]
	s_and_b64 s[12:13], exec, s[52:53]
	s_or_b64 s[44:45], s[12:13], s[44:45]
	s_andn2_b64 s[12:13], s[46:47], exec
	s_and_b64 s[46:47], s[48:49], exec
	s_or_b64 s[46:47], s[12:13], s[46:47]
	s_andn2_b64 exec, exec, s[44:45]
	s_cbranch_execz .LBB1124_1238
.LBB1124_1234:                          ; =>This Inner Loop Header: Depth=1
	flat_load_ushort v16, v[20:21]
	flat_load_ushort v96, v[18:19]
	s_mov_b64 s[52:53], -1
	s_mov_b64 s[56:57], 0
	s_mov_b64 s[54:55], -1
	s_waitcnt vmcnt(0) lgkmcnt(0)
	v_lshlrev_b32_e32 v16, 16, v16
	v_lshlrev_b32_e32 v96, 16, v96
	v_cmp_nlt_f32_e64 s[12:13], v16, v96
	s_and_saveexec_b64 s[58:59], s[12:13]
; %bb.1235:                             ;   in Loop: Header=BB1124_1234 Depth=1
	v_cmp_ngt_f32_e64 s[12:13], v16, v96
	s_and_b64 s[50:51], s[12:13], s[50:51]
	s_orn2_b64 s[54:55], s[50:51], exec
	s_and_b64 s[56:57], s[12:13], exec
; %bb.1236:                             ;   in Loop: Header=BB1124_1234 Depth=1
	s_or_b64 exec, exec, s[58:59]
	s_andn2_b64 s[12:13], s[48:49], exec
	s_and_b64 s[48:49], s[54:55], exec
	s_or_b64 s[48:49], s[12:13], s[48:49]
                                        ; implicit-def: $sgpr50_sgpr51
	s_and_saveexec_b64 s[58:59], s[56:57]
	s_cbranch_execz .LBB1124_1233
; %bb.1237:                             ;   in Loop: Header=BB1124_1234 Depth=1
	v_lshl_add_u64 v[22:23], v[22:23], 0, -1
	v_cmp_eq_u64_e64 s[12:13], 0, v[22:23]
	v_lshl_add_u64 v[18:19], v[18:19], 0, 2
	v_lshl_add_u64 v[20:21], v[20:21], 0, 2
	s_and_b64 s[50:51], s[54:55], exec
	s_andn2_b64 s[48:49], s[48:49], exec
	s_orn2_b64 s[52:53], s[12:13], exec
	s_branch .LBB1124_1233
.LBB1124_1238:
	s_or_b64 exec, exec, s[44:45]
	s_xor_b64 s[12:13], s[46:47], -1
	s_andn2_b64 s[38:39], s[38:39], exec
	s_and_b64 s[12:13], s[12:13], exec
	s_or_b64 s[38:39], s[38:39], s[12:13]
.LBB1124_1239:
	s_or_b64 exec, exec, s[42:43]
	s_orn2_b64 s[38:39], s[38:39], exec
.LBB1124_1240:
	s_or_b64 exec, exec, s[40:41]
	v_cndmask_b32_e64 v16, v70, v71, s[38:39]
	v_cndmask_b32_e64 v18, v101, v100, s[38:39]
	v_add_u32_e32 v19, 1, v16
	v_add_u32_e32 v16, -1, v18
	v_min_u32_e32 v16, v19, v16
	v_lshl_add_u64 v[16:17], v[16:17], 3, v[66:67]
	flat_load_dwordx2 v[16:17], v[16:17]
	v_cndmask_b32_e64 v22, v19, v70, s[38:39]
	v_cndmask_b32_e64 v23, v71, v19, s[38:39]
	v_cmp_lt_u32_e64 s[12:13], v22, v101
	s_waitcnt vmcnt(0) lgkmcnt(0)
	v_cndmask_b32_e64 v96, v17, v84, s[38:39]
	v_cndmask_b32_e64 v97, v16, v85, s[38:39]
	;; [unrolled: 1-line block ×4, first 2 shown]
	s_and_saveexec_b64 s[40:41], s[12:13]
	s_cbranch_execz .LBB1124_1250
; %bb.1241:
	v_cmp_lt_u32_e64 s[36:37], v23, v100
	s_and_b64 s[12:13], s[36:37], s[26:27]
	s_and_saveexec_b64 s[42:43], s[12:13]
	s_cbranch_execz .LBB1124_1249
; %bb.1242:
	v_mul_lo_u32 v18, v98, v6
	v_mul_lo_u32 v19, v99, v7
	v_mad_u64_u32 v[16:17], s[12:13], v99, v6, 0
	v_add3_u32 v17, v17, v19, v18
	v_mul_lo_u32 v20, v96, v6
	v_mul_lo_u32 v21, v97, v7
	v_mad_u64_u32 v[18:19], s[12:13], v97, v6, 0
	v_add3_u32 v19, v19, v21, v20
	v_lshl_add_u64 v[16:17], v[16:17], 1, v[8:9]
	v_lshl_add_u64 v[18:19], v[18:19], 1, v[8:9]
	s_mov_b64 s[44:45], 0
	v_mov_b64_e32 v[20:21], v[6:7]
                                        ; implicit-def: $sgpr46_sgpr47
                                        ; implicit-def: $sgpr48_sgpr49
                                        ; implicit-def: $sgpr50_sgpr51
	s_branch .LBB1124_1244
.LBB1124_1243:                          ;   in Loop: Header=BB1124_1244 Depth=1
	s_or_b64 exec, exec, s[58:59]
	s_and_b64 s[12:13], exec, s[52:53]
	s_or_b64 s[44:45], s[12:13], s[44:45]
	s_andn2_b64 s[12:13], s[46:47], exec
	s_and_b64 s[46:47], s[48:49], exec
	s_or_b64 s[46:47], s[12:13], s[46:47]
	s_andn2_b64 exec, exec, s[44:45]
	s_cbranch_execz .LBB1124_1248
.LBB1124_1244:                          ; =>This Inner Loop Header: Depth=1
	flat_load_ushort v70, v[18:19]
	flat_load_ushort v71, v[16:17]
	s_mov_b64 s[52:53], -1
	s_mov_b64 s[56:57], 0
	s_mov_b64 s[54:55], -1
	s_waitcnt vmcnt(0) lgkmcnt(0)
	v_lshlrev_b32_e32 v70, 16, v70
	v_lshlrev_b32_e32 v71, 16, v71
	v_cmp_nlt_f32_e64 s[12:13], v70, v71
	s_and_saveexec_b64 s[58:59], s[12:13]
; %bb.1245:                             ;   in Loop: Header=BB1124_1244 Depth=1
	v_cmp_ngt_f32_e64 s[12:13], v70, v71
	s_and_b64 s[50:51], s[12:13], s[50:51]
	s_orn2_b64 s[54:55], s[50:51], exec
	s_and_b64 s[56:57], s[12:13], exec
; %bb.1246:                             ;   in Loop: Header=BB1124_1244 Depth=1
	s_or_b64 exec, exec, s[58:59]
	s_andn2_b64 s[12:13], s[48:49], exec
	s_and_b64 s[48:49], s[54:55], exec
	s_or_b64 s[48:49], s[12:13], s[48:49]
                                        ; implicit-def: $sgpr50_sgpr51
	s_and_saveexec_b64 s[58:59], s[56:57]
	s_cbranch_execz .LBB1124_1243
; %bb.1247:                             ;   in Loop: Header=BB1124_1244 Depth=1
	v_lshl_add_u64 v[20:21], v[20:21], 0, -1
	v_cmp_eq_u64_e64 s[12:13], 0, v[20:21]
	v_lshl_add_u64 v[16:17], v[16:17], 0, 2
	v_lshl_add_u64 v[18:19], v[18:19], 0, 2
	s_and_b64 s[50:51], s[54:55], exec
	s_andn2_b64 s[48:49], s[48:49], exec
	s_orn2_b64 s[52:53], s[12:13], exec
	s_branch .LBB1124_1243
.LBB1124_1248:
	s_or_b64 exec, exec, s[44:45]
	s_xor_b64 s[12:13], s[46:47], -1
	s_andn2_b64 s[36:37], s[36:37], exec
	s_and_b64 s[12:13], s[12:13], exec
	s_or_b64 s[36:37], s[36:37], s[12:13]
.LBB1124_1249:
	s_or_b64 exec, exec, s[42:43]
	s_orn2_b64 s[36:37], s[36:37], exec
.LBB1124_1250:
	s_or_b64 exec, exec, s[40:41]
	v_cndmask_b32_e64 v16, v22, v23, s[36:37]
	v_cndmask_b32_e64 v17, v101, v100, s[36:37]
	v_add_u32_e32 v20, 1, v16
	v_add_u32_e32 v16, -1, v17
	v_min_u32_e32 v16, v20, v16
	v_mov_b32_e32 v17, 0
	v_lshl_add_u64 v[18:19], v[16:17], 3, v[66:67]
	flat_load_dwordx2 v[18:19], v[18:19]
	v_cndmask_b32_e64 v70, v20, v22, s[36:37]
	s_mov_b64 s[40:41], -1
	v_cndmask_b32_e64 v71, v23, v20, s[36:37]
	v_cmp_lt_u32_e64 s[12:13], v70, v101
	s_mov_b64 s[42:43], -1
	s_waitcnt vmcnt(0) lgkmcnt(0)
	v_cndmask_b32_e64 v102, v19, v96, s[36:37]
	v_cndmask_b32_e64 v103, v18, v97, s[36:37]
	;; [unrolled: 1-line block ×4, first 2 shown]
	s_and_saveexec_b64 s[44:45], s[12:13]
	s_cbranch_execz .LBB1124_1260
; %bb.1251:
	v_cmp_lt_u32_e64 s[42:43], v71, v100
	s_and_b64 s[12:13], s[42:43], s[26:27]
	s_and_saveexec_b64 s[46:47], s[12:13]
	s_cbranch_execz .LBB1124_1259
; %bb.1252:
	v_mul_lo_u32 v16, v112, v6
	v_mul_lo_u32 v20, v113, v7
	v_mad_u64_u32 v[18:19], s[12:13], v113, v6, 0
	v_add3_u32 v19, v19, v20, v16
	v_mul_lo_u32 v16, v102, v6
	v_mul_lo_u32 v22, v103, v7
	v_mad_u64_u32 v[20:21], s[12:13], v103, v6, 0
	v_add3_u32 v21, v21, v22, v16
	v_lshl_add_u64 v[18:19], v[18:19], 1, v[8:9]
	v_lshl_add_u64 v[20:21], v[20:21], 1, v[8:9]
	s_mov_b64 s[48:49], 0
	v_mov_b64_e32 v[22:23], v[6:7]
                                        ; implicit-def: $sgpr50_sgpr51
                                        ; implicit-def: $sgpr52_sgpr53
                                        ; implicit-def: $sgpr54_sgpr55
	s_branch .LBB1124_1254
.LBB1124_1253:                          ;   in Loop: Header=BB1124_1254 Depth=1
	s_or_b64 exec, exec, s[62:63]
	s_and_b64 s[12:13], exec, s[56:57]
	s_or_b64 s[48:49], s[12:13], s[48:49]
	s_andn2_b64 s[12:13], s[50:51], exec
	s_and_b64 s[50:51], s[52:53], exec
	s_or_b64 s[50:51], s[12:13], s[50:51]
	s_andn2_b64 exec, exec, s[48:49]
	s_cbranch_execz .LBB1124_1258
.LBB1124_1254:                          ; =>This Inner Loop Header: Depth=1
	flat_load_ushort v16, v[20:21]
	flat_load_ushort v114, v[18:19]
	s_mov_b64 s[56:57], -1
	s_mov_b64 s[60:61], 0
	s_mov_b64 s[58:59], -1
	s_waitcnt vmcnt(0) lgkmcnt(0)
	v_lshlrev_b32_e32 v16, 16, v16
	v_lshlrev_b32_e32 v114, 16, v114
	v_cmp_nlt_f32_e64 s[12:13], v16, v114
	s_and_saveexec_b64 s[62:63], s[12:13]
; %bb.1255:                             ;   in Loop: Header=BB1124_1254 Depth=1
	v_cmp_ngt_f32_e64 s[12:13], v16, v114
	s_and_b64 s[54:55], s[12:13], s[54:55]
	s_orn2_b64 s[58:59], s[54:55], exec
	s_and_b64 s[60:61], s[12:13], exec
; %bb.1256:                             ;   in Loop: Header=BB1124_1254 Depth=1
	s_or_b64 exec, exec, s[62:63]
	s_andn2_b64 s[12:13], s[52:53], exec
	s_and_b64 s[52:53], s[58:59], exec
	s_or_b64 s[52:53], s[12:13], s[52:53]
                                        ; implicit-def: $sgpr54_sgpr55
	s_and_saveexec_b64 s[62:63], s[60:61]
	s_cbranch_execz .LBB1124_1253
; %bb.1257:                             ;   in Loop: Header=BB1124_1254 Depth=1
	v_lshl_add_u64 v[22:23], v[22:23], 0, -1
	v_cmp_eq_u64_e64 s[12:13], 0, v[22:23]
	v_lshl_add_u64 v[18:19], v[18:19], 0, 2
	v_lshl_add_u64 v[20:21], v[20:21], 0, 2
	s_and_b64 s[54:55], s[58:59], exec
	s_andn2_b64 s[52:53], s[52:53], exec
	s_orn2_b64 s[56:57], s[12:13], exec
	s_branch .LBB1124_1253
.LBB1124_1258:
	s_or_b64 exec, exec, s[48:49]
	s_xor_b64 s[12:13], s[50:51], -1
	s_andn2_b64 s[42:43], s[42:43], exec
	s_and_b64 s[12:13], s[12:13], exec
	s_or_b64 s[42:43], s[42:43], s[12:13]
.LBB1124_1259:
	s_or_b64 exec, exec, s[46:47]
	s_orn2_b64 s[42:43], s[42:43], exec
.LBB1124_1260:
	s_or_b64 exec, exec, s[44:45]
	v_cndmask_b32_e64 v16, v70, v71, s[42:43]
	v_cndmask_b32_e64 v18, v101, v100, s[42:43]
	v_add_u32_e32 v19, 1, v16
	v_add_u32_e32 v16, -1, v18
	v_min_u32_e32 v16, v19, v16
	v_lshl_add_u64 v[16:17], v[16:17], 3, v[66:67]
	flat_load_dwordx2 v[16:17], v[16:17]
	v_cndmask_b32_e64 v117, v19, v70, s[42:43]
	v_cndmask_b32_e64 v114, v71, v19, s[42:43]
	v_cmp_lt_u32_e64 s[12:13], v117, v101
	s_waitcnt vmcnt(0) lgkmcnt(0)
	v_cndmask_b32_e64 v115, v17, v102, s[42:43]
	v_cndmask_b32_e64 v116, v16, v103, s[42:43]
	;; [unrolled: 1-line block ×4, first 2 shown]
	s_and_saveexec_b64 s[44:45], s[12:13]
	s_cbranch_execz .LBB1124_1270
; %bb.1261:
	v_cmp_lt_u32_e64 s[40:41], v114, v100
	s_and_b64 s[12:13], s[40:41], s[26:27]
	s_and_saveexec_b64 s[46:47], s[12:13]
	s_cbranch_execz .LBB1124_1269
; %bb.1262:
	v_mul_lo_u32 v18, v118, v6
	v_mul_lo_u32 v19, v119, v7
	v_mad_u64_u32 v[16:17], s[12:13], v119, v6, 0
	v_add3_u32 v17, v17, v19, v18
	v_mul_lo_u32 v20, v115, v6
	v_mul_lo_u32 v21, v116, v7
	v_mad_u64_u32 v[18:19], s[12:13], v116, v6, 0
	v_add3_u32 v19, v19, v21, v20
	v_lshl_add_u64 v[16:17], v[16:17], 1, v[8:9]
	v_lshl_add_u64 v[18:19], v[18:19], 1, v[8:9]
	s_mov_b64 s[48:49], 0
	v_mov_b64_e32 v[20:21], v[6:7]
                                        ; implicit-def: $sgpr50_sgpr51
                                        ; implicit-def: $sgpr52_sgpr53
                                        ; implicit-def: $sgpr54_sgpr55
	s_branch .LBB1124_1264
.LBB1124_1263:                          ;   in Loop: Header=BB1124_1264 Depth=1
	s_or_b64 exec, exec, s[62:63]
	s_and_b64 s[12:13], exec, s[56:57]
	s_or_b64 s[48:49], s[12:13], s[48:49]
	s_andn2_b64 s[12:13], s[50:51], exec
	s_and_b64 s[50:51], s[52:53], exec
	s_or_b64 s[50:51], s[12:13], s[50:51]
	s_andn2_b64 exec, exec, s[48:49]
	s_cbranch_execz .LBB1124_1268
.LBB1124_1264:                          ; =>This Inner Loop Header: Depth=1
	flat_load_ushort v22, v[18:19]
	flat_load_ushort v23, v[16:17]
	s_mov_b64 s[56:57], -1
	s_mov_b64 s[60:61], 0
	s_mov_b64 s[58:59], -1
	s_waitcnt vmcnt(0) lgkmcnt(0)
	v_lshlrev_b32_e32 v22, 16, v22
	v_lshlrev_b32_e32 v23, 16, v23
	v_cmp_nlt_f32_e64 s[12:13], v22, v23
	s_and_saveexec_b64 s[62:63], s[12:13]
; %bb.1265:                             ;   in Loop: Header=BB1124_1264 Depth=1
	v_cmp_ngt_f32_e64 s[12:13], v22, v23
	s_and_b64 s[54:55], s[12:13], s[54:55]
	s_orn2_b64 s[58:59], s[54:55], exec
	s_and_b64 s[60:61], s[12:13], exec
; %bb.1266:                             ;   in Loop: Header=BB1124_1264 Depth=1
	s_or_b64 exec, exec, s[62:63]
	s_andn2_b64 s[12:13], s[52:53], exec
	s_and_b64 s[52:53], s[58:59], exec
	s_or_b64 s[52:53], s[12:13], s[52:53]
                                        ; implicit-def: $sgpr54_sgpr55
	s_and_saveexec_b64 s[62:63], s[60:61]
	s_cbranch_execz .LBB1124_1263
; %bb.1267:                             ;   in Loop: Header=BB1124_1264 Depth=1
	v_lshl_add_u64 v[20:21], v[20:21], 0, -1
	v_cmp_eq_u64_e64 s[12:13], 0, v[20:21]
	v_lshl_add_u64 v[16:17], v[16:17], 0, 2
	v_lshl_add_u64 v[18:19], v[18:19], 0, 2
	s_and_b64 s[54:55], s[58:59], exec
	s_andn2_b64 s[52:53], s[52:53], exec
	s_orn2_b64 s[56:57], s[12:13], exec
	s_branch .LBB1124_1263
.LBB1124_1268:
	s_or_b64 exec, exec, s[48:49]
	s_xor_b64 s[12:13], s[50:51], -1
	s_andn2_b64 s[40:41], s[40:41], exec
	s_and_b64 s[12:13], s[12:13], exec
	s_or_b64 s[40:41], s[40:41], s[12:13]
.LBB1124_1269:
	s_or_b64 exec, exec, s[46:47]
	s_orn2_b64 s[40:41], s[40:41], exec
.LBB1124_1270:
	s_or_b64 exec, exec, s[44:45]
	v_cndmask_b32_e64 v16, v117, v114, s[40:41]
	v_cndmask_b32_e64 v17, v101, v100, s[40:41]
	v_add_u32_e32 v128, 1, v16
	v_add_u32_e32 v16, -1, v17
	v_min_u32_e32 v16, v128, v16
	v_mov_b32_e32 v17, 0
	v_lshl_add_u64 v[16:17], v[16:17], 3, v[66:67]
	flat_load_dwordx2 v[70:71], v[16:17]
	v_cndmask_b32_e64 v21, v27, v82, s[18:19]
	v_cndmask_b32_e64 v27, v24, v26, s[34:35]
	;; [unrolled: 1-line block ×15, first 2 shown]
	v_cmp_lt_u32_e64 s[12:13], v80, v101
	s_waitcnt vmcnt(0) lgkmcnt(0)
	v_cndmask_b32_e64 v15, v118, v71, s[40:41]
	v_cndmask_b32_e64 v14, v119, v70, s[40:41]
	s_and_saveexec_b64 s[18:19], s[12:13]
	s_cbranch_execz .LBB1124_1280
; %bb.1271:
	v_cndmask_b32_e64 v85, v70, v116, s[40:41]
	v_cndmask_b32_e64 v70, v114, v128, s[40:41]
	v_cmp_ge_u32_e64 s[12:13], v70, v100
	v_cndmask_b32_e64 v84, v71, v115, s[40:41]
	s_or_b64 s[30:31], s[12:13], s[8:9]
	v_cndmask_b32_e64 v71, v15, v84, s[12:13]
	s_xor_b64 s[34:35], s[30:31], -1
	v_cndmask_b32_e64 v70, v14, v85, s[12:13]
	s_and_saveexec_b64 s[30:31], s[34:35]
	s_cbranch_execz .LBB1124_1279
; %bb.1272:
	v_mul_lo_u32 v80, v15, v6
	v_mul_lo_u32 v81, v14, v7
	v_mad_u64_u32 v[70:71], s[12:13], v14, v6, 0
	v_add3_u32 v71, v71, v81, v80
	v_mul_lo_u32 v82, v84, v6
	v_mul_lo_u32 v83, v85, v7
	v_mad_u64_u32 v[80:81], s[12:13], v85, v6, 0
	v_add3_u32 v81, v81, v83, v82
	v_lshl_add_u64 v[70:71], v[70:71], 1, v[8:9]
	v_lshl_add_u64 v[80:81], v[80:81], 1, v[8:9]
	s_mov_b64 s[34:35], 0
	v_mov_b64_e32 v[82:83], v[6:7]
                                        ; implicit-def: $sgpr36_sgpr37
                                        ; implicit-def: $sgpr38_sgpr39
                                        ; implicit-def: $sgpr40_sgpr41
	s_branch .LBB1124_1274
.LBB1124_1273:                          ;   in Loop: Header=BB1124_1274 Depth=1
	s_or_b64 exec, exec, s[48:49]
	s_and_b64 s[12:13], exec, s[42:43]
	s_or_b64 s[34:35], s[12:13], s[34:35]
	s_andn2_b64 s[12:13], s[36:37], exec
	s_and_b64 s[36:37], s[38:39], exec
	s_or_b64 s[36:37], s[12:13], s[36:37]
	s_andn2_b64 exec, exec, s[34:35]
	s_cbranch_execz .LBB1124_1278
.LBB1124_1274:                          ; =>This Inner Loop Header: Depth=1
	flat_load_ushort v86, v[80:81]
	flat_load_ushort v87, v[70:71]
	s_mov_b64 s[42:43], -1
	s_mov_b64 s[46:47], 0
	s_mov_b64 s[44:45], -1
	s_waitcnt vmcnt(0) lgkmcnt(0)
	v_lshlrev_b32_e32 v86, 16, v86
	v_lshlrev_b32_e32 v87, 16, v87
	v_cmp_nlt_f32_e64 s[12:13], v86, v87
	s_and_saveexec_b64 s[48:49], s[12:13]
; %bb.1275:                             ;   in Loop: Header=BB1124_1274 Depth=1
	v_cmp_ngt_f32_e64 s[12:13], v86, v87
	s_and_b64 s[40:41], s[12:13], s[40:41]
	s_orn2_b64 s[44:45], s[40:41], exec
	s_and_b64 s[46:47], s[12:13], exec
; %bb.1276:                             ;   in Loop: Header=BB1124_1274 Depth=1
	s_or_b64 exec, exec, s[48:49]
	s_andn2_b64 s[12:13], s[38:39], exec
	s_and_b64 s[38:39], s[44:45], exec
	s_or_b64 s[38:39], s[12:13], s[38:39]
                                        ; implicit-def: $sgpr40_sgpr41
	s_and_saveexec_b64 s[48:49], s[46:47]
	s_cbranch_execz .LBB1124_1273
; %bb.1277:                             ;   in Loop: Header=BB1124_1274 Depth=1
	v_lshl_add_u64 v[82:83], v[82:83], 0, -1
	v_cmp_eq_u64_e64 s[12:13], 0, v[82:83]
	v_lshl_add_u64 v[70:71], v[70:71], 0, 2
	v_lshl_add_u64 v[80:81], v[80:81], 0, 2
	s_and_b64 s[40:41], s[44:45], exec
	s_andn2_b64 s[38:39], s[38:39], exec
	s_orn2_b64 s[42:43], s[12:13], exec
	s_branch .LBB1124_1273
.LBB1124_1278:
	s_or_b64 exec, exec, s[34:35]
	v_cndmask_b32_e64 v71, v15, v84, s[36:37]
	v_cndmask_b32_e64 v70, v14, v85, s[36:37]
.LBB1124_1279:
	s_or_b64 exec, exec, s[30:31]
	v_mov_b64_e32 v[14:15], v[70:71]
.LBB1124_1280:
	s_or_b64 exec, exec, s[18:19]
.LBB1124_1281:
	s_or_b64 exec, exec, s[28:29]
	v_and_b32_e32 v102, 0x3c0, v31
	v_or_b32_e32 v70, 32, v102
	v_min_u32_e32 v100, v1, v70
	v_add_u32_e32 v70, 32, v100
	v_min_u32_e32 v101, v1, v70
	v_and_b32_e32 v70, 56, v31
	v_min_u32_e32 v103, v1, v70
	v_sub_u32_e32 v70, v100, v102
	v_sub_u32_e32 v71, v101, v100
	v_sub_u32_e64 v112, v103, v71 clamp
	v_min_u32_e32 v113, v103, v70
	v_cmp_lt_u32_e64 s[12:13], v112, v113
	; wave barrier
	flat_store_dwordx4 v[68:69], v[24:27]
	flat_store_dwordx4 v[68:69], v[20:23] offset:16
	flat_store_dwordx4 v[68:69], v[16:19] offset:32
	;; [unrolled: 1-line block ×3, first 2 shown]
	; wave barrier
	s_and_saveexec_b64 s[18:19], s[12:13]
	s_cbranch_execz .LBB1124_1293
; %bb.1282:
	v_lshlrev_b32_e32 v70, 3, v102
	v_mov_b32_e32 v71, 0
	v_lshl_add_u64 v[80:81], v[66:67], 0, v[70:71]
	v_lshlrev_b32_e32 v70, 3, v100
	v_lshl_add_u64 v[82:83], v[66:67], 0, v[70:71]
	s_mov_b64 s[28:29], 0
	s_branch .LBB1124_1285
.LBB1124_1283:                          ;   in Loop: Header=BB1124_1285 Depth=1
	s_or_b64 exec, exec, s[34:35]
	s_and_b64 s[12:13], s[36:37], exec
.LBB1124_1284:                          ;   in Loop: Header=BB1124_1285 Depth=1
	s_or_b64 exec, exec, s[30:31]
	v_add_u32_e32 v70, 1, v84
	v_cndmask_b32_e64 v113, v113, v84, s[12:13]
	v_cndmask_b32_e64 v112, v70, v112, s[12:13]
	v_cmp_ge_u32_e64 s[12:13], v112, v113
	s_or_b64 s[28:29], s[12:13], s[28:29]
	s_andn2_b64 exec, exec, s[28:29]
	s_cbranch_execz .LBB1124_1292
.LBB1124_1285:                          ; =>This Loop Header: Depth=1
                                        ;     Child Loop BB1124_1288 Depth 2
	v_add_u32_e32 v70, v113, v112
	v_lshrrev_b32_e32 v84, 1, v70
	s_mov_b64 s[12:13], 0
	s_and_saveexec_b64 s[30:31], s[16:17]
	s_cbranch_execz .LBB1124_1284
; %bb.1286:                             ;   in Loop: Header=BB1124_1285 Depth=1
	v_mov_b32_e32 v85, v71
	v_xad_u32 v70, v84, -1, v103
	v_lshl_add_u64 v[86:87], v[84:85], 3, v[80:81]
	v_lshl_add_u64 v[96:97], v[70:71], 3, v[82:83]
	flat_load_dwordx2 v[86:87], v[86:87]
	s_mov_b64 s[34:35], 0
	flat_load_dwordx2 v[96:97], v[96:97]
                                        ; implicit-def: $sgpr36_sgpr37
                                        ; implicit-def: $sgpr38_sgpr39
                                        ; implicit-def: $sgpr40_sgpr41
	s_waitcnt vmcnt(0) lgkmcnt(0)
	v_mul_lo_u32 v70, v64, v87
	v_mul_lo_u32 v85, v65, v86
	v_mad_u64_u32 v[86:87], s[12:13], v64, v86, v[8:9]
	v_mul_lo_u32 v98, v64, v97
	v_mul_lo_u32 v99, v65, v96
	v_mad_u64_u32 v[96:97], s[12:13], v64, v96, v[8:9]
	v_add3_u32 v87, v85, v87, v70
	v_add3_u32 v97, v99, v97, v98
	v_mov_b64_e32 v[98:99], v[6:7]
	s_branch .LBB1124_1288
.LBB1124_1287:                          ;   in Loop: Header=BB1124_1288 Depth=2
	s_or_b64 exec, exec, s[48:49]
	s_and_b64 s[12:13], exec, s[42:43]
	s_or_b64 s[34:35], s[12:13], s[34:35]
	s_andn2_b64 s[12:13], s[36:37], exec
	s_and_b64 s[36:37], s[38:39], exec
	s_or_b64 s[36:37], s[12:13], s[36:37]
	s_andn2_b64 exec, exec, s[34:35]
	s_cbranch_execz .LBB1124_1283
.LBB1124_1288:                          ;   Parent Loop BB1124_1285 Depth=1
                                        ; =>  This Inner Loop Header: Depth=2
	flat_load_ushort v70, v[96:97]
	flat_load_ushort v85, v[86:87]
	s_mov_b64 s[42:43], -1
	s_mov_b64 s[46:47], 0
	s_mov_b64 s[44:45], -1
	s_waitcnt vmcnt(0) lgkmcnt(0)
	v_lshlrev_b32_e32 v70, 16, v70
	v_lshlrev_b32_e32 v85, 16, v85
	v_cmp_nlt_f32_e64 s[12:13], v70, v85
	s_and_saveexec_b64 s[48:49], s[12:13]
; %bb.1289:                             ;   in Loop: Header=BB1124_1288 Depth=2
	v_cmp_ngt_f32_e64 s[12:13], v70, v85
	s_and_b64 s[40:41], s[12:13], s[40:41]
	s_orn2_b64 s[44:45], s[40:41], exec
	s_and_b64 s[46:47], s[12:13], exec
; %bb.1290:                             ;   in Loop: Header=BB1124_1288 Depth=2
	s_or_b64 exec, exec, s[48:49]
	s_andn2_b64 s[12:13], s[38:39], exec
	s_and_b64 s[38:39], s[44:45], exec
	s_or_b64 s[38:39], s[12:13], s[38:39]
                                        ; implicit-def: $sgpr40_sgpr41
	s_and_saveexec_b64 s[48:49], s[46:47]
	s_cbranch_execz .LBB1124_1287
; %bb.1291:                             ;   in Loop: Header=BB1124_1288 Depth=2
	v_lshl_add_u64 v[98:99], v[98:99], 0, -1
	v_cmp_eq_u64_e64 s[12:13], 0, v[98:99]
	v_lshl_add_u64 v[86:87], v[86:87], 0, 2
	v_lshl_add_u64 v[96:97], v[96:97], 0, 2
	s_andn2_b64 s[38:39], s[38:39], exec
	s_and_b64 s[40:41], s[44:45], exec
	s_orn2_b64 s[42:43], s[12:13], exec
	s_branch .LBB1124_1287
.LBB1124_1292:
	s_or_b64 exec, exec, s[28:29]
.LBB1124_1293:
	s_or_b64 exec, exec, s[18:19]
	v_add_u32_e32 v71, v100, v103
	v_add_u32_e32 v70, v112, v102
	v_sub_u32_e32 v80, v71, v112
	v_cmp_le_u32_e64 s[12:13], v70, v100
	v_cmp_le_u32_e64 s[18:19], v80, v101
	s_or_b64 s[12:13], s[12:13], s[18:19]
	s_and_saveexec_b64 s[28:29], s[12:13]
	s_cbranch_execz .LBB1124_1381
; %bb.1294:
	v_cmp_ge_u32_e64 s[18:19], v70, v100
	v_cmp_lt_u32_e64 s[12:13], v70, v100
                                        ; implicit-def: $vgpr12_vgpr13
	s_and_saveexec_b64 s[30:31], s[12:13]
	s_cbranch_execz .LBB1124_1296
; %bb.1295:
	v_mov_b32_e32 v71, 0
	v_lshl_add_u64 v[12:13], v[70:71], 3, v[66:67]
	flat_load_dwordx2 v[12:13], v[12:13]
.LBB1124_1296:
	s_or_b64 exec, exec, s[30:31]
	v_cmp_ge_u32_e64 s[30:31], v80, v101
	v_cmp_lt_u32_e64 s[12:13], v80, v101
                                        ; implicit-def: $vgpr14_vgpr15
	s_and_saveexec_b64 s[34:35], s[12:13]
	s_cbranch_execz .LBB1124_1298
; %bb.1297:
	v_mov_b32_e32 v81, 0
	v_lshl_add_u64 v[14:15], v[80:81], 3, v[66:67]
	flat_load_dwordx2 v[14:15], v[14:15]
.LBB1124_1298:
	s_or_b64 exec, exec, s[34:35]
	s_or_b64 s[12:13], s[18:19], s[30:31]
	s_xor_b64 s[12:13], s[12:13], -1
	s_and_saveexec_b64 s[18:19], s[12:13]
	s_cbranch_execz .LBB1124_1308
; %bb.1299:
	s_mov_b64 s[12:13], 0
	s_and_saveexec_b64 s[34:35], s[16:17]
	s_cbranch_execz .LBB1124_1307
; %bb.1300:
	s_waitcnt vmcnt(0) lgkmcnt(0)
	v_mul_lo_u32 v18, v13, v6
	v_mul_lo_u32 v19, v12, v7
	v_mad_u64_u32 v[16:17], s[12:13], v12, v6, 0
	v_add3_u32 v17, v17, v19, v18
	v_mul_lo_u32 v20, v15, v6
	v_mul_lo_u32 v21, v14, v7
	v_mad_u64_u32 v[18:19], s[12:13], v14, v6, 0
	v_add3_u32 v19, v19, v21, v20
	v_lshl_add_u64 v[16:17], v[16:17], 1, v[8:9]
	v_lshl_add_u64 v[18:19], v[18:19], 1, v[8:9]
	s_mov_b64 s[36:37], 0
	v_mov_b64_e32 v[20:21], v[6:7]
                                        ; implicit-def: $sgpr38_sgpr39
                                        ; implicit-def: $sgpr40_sgpr41
                                        ; implicit-def: $sgpr42_sgpr43
	s_branch .LBB1124_1302
.LBB1124_1301:                          ;   in Loop: Header=BB1124_1302 Depth=1
	s_or_b64 exec, exec, s[48:49]
	s_and_b64 s[12:13], exec, s[12:13]
	s_or_b64 s[36:37], s[12:13], s[36:37]
	s_andn2_b64 s[12:13], s[38:39], exec
	s_and_b64 s[38:39], s[40:41], exec
	s_or_b64 s[38:39], s[12:13], s[38:39]
	s_andn2_b64 exec, exec, s[36:37]
	s_cbranch_execz .LBB1124_1306
.LBB1124_1302:                          ; =>This Inner Loop Header: Depth=1
	flat_load_ushort v22, v[18:19]
	flat_load_ushort v23, v[16:17]
	s_mov_b64 s[46:47], 0
	s_mov_b64 s[44:45], -1
	s_waitcnt vmcnt(0) lgkmcnt(0)
	v_lshlrev_b32_e32 v22, 16, v22
	v_lshlrev_b32_e32 v23, 16, v23
	v_cmp_nlt_f32_e64 s[12:13], v22, v23
	s_and_saveexec_b64 s[48:49], s[12:13]
; %bb.1303:                             ;   in Loop: Header=BB1124_1302 Depth=1
	v_cmp_ngt_f32_e64 s[12:13], v22, v23
	s_and_b64 s[42:43], s[12:13], s[42:43]
	s_orn2_b64 s[44:45], s[42:43], exec
	s_and_b64 s[46:47], s[12:13], exec
; %bb.1304:                             ;   in Loop: Header=BB1124_1302 Depth=1
	s_or_b64 exec, exec, s[48:49]
	s_andn2_b64 s[40:41], s[40:41], exec
	s_and_b64 s[42:43], s[44:45], exec
	s_mov_b64 s[12:13], -1
	s_or_b64 s[40:41], s[40:41], s[42:43]
                                        ; implicit-def: $sgpr42_sgpr43
	s_and_saveexec_b64 s[48:49], s[46:47]
	s_cbranch_execz .LBB1124_1301
; %bb.1305:                             ;   in Loop: Header=BB1124_1302 Depth=1
	v_lshl_add_u64 v[20:21], v[20:21], 0, -1
	v_cmp_eq_u64_e64 s[12:13], 0, v[20:21]
	v_lshl_add_u64 v[16:17], v[16:17], 0, 2
	v_lshl_add_u64 v[18:19], v[18:19], 0, 2
	s_andn2_b64 s[40:41], s[40:41], exec
	s_and_b64 s[42:43], s[44:45], exec
	s_orn2_b64 s[12:13], s[12:13], exec
	s_branch .LBB1124_1301
.LBB1124_1306:
	s_or_b64 exec, exec, s[36:37]
	s_and_b64 s[12:13], s[38:39], exec
.LBB1124_1307:
	s_or_b64 exec, exec, s[34:35]
	s_xor_b64 s[12:13], s[12:13], -1
	s_andn2_b64 s[30:31], s[30:31], exec
	s_and_b64 s[12:13], s[12:13], exec
	s_or_b64 s[30:31], s[30:31], s[12:13]
.LBB1124_1308:
	s_or_b64 exec, exec, s[18:19]
	v_cndmask_b32_e64 v16, v80, v70, s[30:31]
	v_cndmask_b32_e64 v17, v101, v100, s[30:31]
	v_add_u32_e32 v20, 1, v16
	v_add_u32_e32 v16, -1, v17
	v_min_u32_e32 v16, v20, v16
	v_mov_b32_e32 v17, 0
	v_lshl_add_u64 v[18:19], v[16:17], 3, v[66:67]
	flat_load_dwordx2 v[18:19], v[18:19]
	v_cndmask_b32_e64 v27, v20, v80, s[30:31]
	s_mov_b64 s[18:19], -1
	v_cndmask_b32_e64 v70, v70, v20, s[30:31]
	v_cmp_lt_u32_e64 s[12:13], v27, v101
	s_mov_b64 s[34:35], -1
	s_waitcnt vmcnt(0) lgkmcnt(0)
	v_cndmask_b32_e64 v24, v19, v15, s[30:31]
	v_cndmask_b32_e64 v25, v18, v14, s[30:31]
	;; [unrolled: 1-line block ×4, first 2 shown]
	s_and_saveexec_b64 s[36:37], s[12:13]
	s_cbranch_execz .LBB1124_1320
; %bb.1309:
	v_cmp_lt_u32_e64 s[12:13], v70, v100
	s_mov_b64 s[38:39], 0
	s_and_saveexec_b64 s[34:35], s[12:13]
	s_cbranch_execz .LBB1124_1319
; %bb.1310:
	s_mov_b64 s[12:13], 0
	s_and_saveexec_b64 s[38:39], s[16:17]
	s_cbranch_execz .LBB1124_1318
; %bb.1311:
	v_mul_lo_u32 v16, v26, v6
	v_mul_lo_u32 v20, v80, v7
	v_mad_u64_u32 v[18:19], s[12:13], v80, v6, 0
	v_add3_u32 v19, v19, v20, v16
	v_mul_lo_u32 v16, v24, v6
	v_mul_lo_u32 v22, v25, v7
	v_mad_u64_u32 v[20:21], s[12:13], v25, v6, 0
	v_add3_u32 v21, v21, v22, v16
	v_lshl_add_u64 v[18:19], v[18:19], 1, v[8:9]
	v_lshl_add_u64 v[20:21], v[20:21], 1, v[8:9]
	s_mov_b64 s[40:41], 0
	v_mov_b64_e32 v[22:23], v[6:7]
                                        ; implicit-def: $sgpr42_sgpr43
                                        ; implicit-def: $sgpr44_sgpr45
                                        ; implicit-def: $sgpr46_sgpr47
	s_branch .LBB1124_1313
.LBB1124_1312:                          ;   in Loop: Header=BB1124_1313 Depth=1
	s_or_b64 exec, exec, s[52:53]
	s_and_b64 s[12:13], exec, s[12:13]
	s_or_b64 s[40:41], s[12:13], s[40:41]
	s_andn2_b64 s[12:13], s[42:43], exec
	s_and_b64 s[42:43], s[44:45], exec
	s_or_b64 s[42:43], s[12:13], s[42:43]
	s_andn2_b64 exec, exec, s[40:41]
	s_cbranch_execz .LBB1124_1317
.LBB1124_1313:                          ; =>This Inner Loop Header: Depth=1
	flat_load_ushort v16, v[20:21]
	flat_load_ushort v71, v[18:19]
	s_mov_b64 s[50:51], 0
	s_mov_b64 s[48:49], -1
	s_waitcnt vmcnt(0) lgkmcnt(0)
	v_lshlrev_b32_e32 v16, 16, v16
	v_lshlrev_b32_e32 v71, 16, v71
	v_cmp_nlt_f32_e64 s[12:13], v16, v71
	s_and_saveexec_b64 s[52:53], s[12:13]
; %bb.1314:                             ;   in Loop: Header=BB1124_1313 Depth=1
	v_cmp_ngt_f32_e64 s[12:13], v16, v71
	s_and_b64 s[46:47], s[12:13], s[46:47]
	s_orn2_b64 s[48:49], s[46:47], exec
	s_and_b64 s[50:51], s[12:13], exec
; %bb.1315:                             ;   in Loop: Header=BB1124_1313 Depth=1
	s_or_b64 exec, exec, s[52:53]
	s_andn2_b64 s[44:45], s[44:45], exec
	s_and_b64 s[46:47], s[48:49], exec
	s_mov_b64 s[12:13], -1
	s_or_b64 s[44:45], s[44:45], s[46:47]
                                        ; implicit-def: $sgpr46_sgpr47
	s_and_saveexec_b64 s[52:53], s[50:51]
	s_cbranch_execz .LBB1124_1312
; %bb.1316:                             ;   in Loop: Header=BB1124_1313 Depth=1
	v_lshl_add_u64 v[22:23], v[22:23], 0, -1
	v_cmp_eq_u64_e64 s[12:13], 0, v[22:23]
	v_lshl_add_u64 v[18:19], v[18:19], 0, 2
	v_lshl_add_u64 v[20:21], v[20:21], 0, 2
	s_andn2_b64 s[44:45], s[44:45], exec
	s_and_b64 s[46:47], s[48:49], exec
	s_orn2_b64 s[12:13], s[12:13], exec
	s_branch .LBB1124_1312
.LBB1124_1317:
	s_or_b64 exec, exec, s[40:41]
	s_and_b64 s[12:13], s[42:43], exec
.LBB1124_1318:
	s_or_b64 exec, exec, s[38:39]
	s_xor_b64 s[12:13], s[12:13], -1
	s_and_b64 s[38:39], s[12:13], exec
.LBB1124_1319:
	s_or_b64 exec, exec, s[34:35]
	s_orn2_b64 s[34:35], s[38:39], exec
.LBB1124_1320:
	s_or_b64 exec, exec, s[36:37]
	v_cndmask_b32_e64 v16, v27, v70, s[34:35]
	v_cndmask_b32_e64 v18, v101, v100, s[34:35]
	v_add_u32_e32 v19, 1, v16
	v_add_u32_e32 v16, -1, v18
	v_min_u32_e32 v16, v19, v16
	v_lshl_add_u64 v[16:17], v[16:17], 3, v[66:67]
	flat_load_dwordx2 v[16:17], v[16:17]
	v_cndmask_b32_e64 v22, v19, v27, s[34:35]
	v_cndmask_b32_e64 v23, v70, v19, s[34:35]
	v_cmp_lt_u32_e64 s[12:13], v22, v101
	s_waitcnt vmcnt(0) lgkmcnt(0)
	v_cndmask_b32_e64 v27, v17, v24, s[34:35]
	v_cndmask_b32_e64 v81, v16, v25, s[34:35]
	v_cndmask_b32_e64 v82, v26, v17, s[34:35]
	v_cndmask_b32_e64 v83, v80, v16, s[34:35]
	s_and_saveexec_b64 s[36:37], s[12:13]
	s_cbranch_execz .LBB1124_1330
; %bb.1321:
	v_cmp_lt_u32_e64 s[18:19], v23, v100
	s_and_b64 s[12:13], s[18:19], s[26:27]
	s_and_saveexec_b64 s[38:39], s[12:13]
	s_cbranch_execz .LBB1124_1329
; %bb.1322:
	v_mul_lo_u32 v18, v82, v6
	v_mul_lo_u32 v19, v83, v7
	v_mad_u64_u32 v[16:17], s[12:13], v83, v6, 0
	v_add3_u32 v17, v17, v19, v18
	v_mul_lo_u32 v20, v27, v6
	v_mul_lo_u32 v21, v81, v7
	v_mad_u64_u32 v[18:19], s[12:13], v81, v6, 0
	v_add3_u32 v19, v19, v21, v20
	v_lshl_add_u64 v[16:17], v[16:17], 1, v[8:9]
	v_lshl_add_u64 v[18:19], v[18:19], 1, v[8:9]
	s_mov_b64 s[40:41], 0
	v_mov_b64_e32 v[20:21], v[6:7]
                                        ; implicit-def: $sgpr42_sgpr43
                                        ; implicit-def: $sgpr44_sgpr45
                                        ; implicit-def: $sgpr46_sgpr47
	s_branch .LBB1124_1324
.LBB1124_1323:                          ;   in Loop: Header=BB1124_1324 Depth=1
	s_or_b64 exec, exec, s[54:55]
	s_and_b64 s[12:13], exec, s[48:49]
	s_or_b64 s[40:41], s[12:13], s[40:41]
	s_andn2_b64 s[12:13], s[42:43], exec
	s_and_b64 s[42:43], s[44:45], exec
	s_or_b64 s[42:43], s[12:13], s[42:43]
	s_andn2_b64 exec, exec, s[40:41]
	s_cbranch_execz .LBB1124_1328
.LBB1124_1324:                          ; =>This Inner Loop Header: Depth=1
	flat_load_ushort v70, v[18:19]
	flat_load_ushort v71, v[16:17]
	s_mov_b64 s[48:49], -1
	s_mov_b64 s[52:53], 0
	s_mov_b64 s[50:51], -1
	s_waitcnt vmcnt(0) lgkmcnt(0)
	v_lshlrev_b32_e32 v70, 16, v70
	v_lshlrev_b32_e32 v71, 16, v71
	v_cmp_nlt_f32_e64 s[12:13], v70, v71
	s_and_saveexec_b64 s[54:55], s[12:13]
; %bb.1325:                             ;   in Loop: Header=BB1124_1324 Depth=1
	v_cmp_ngt_f32_e64 s[12:13], v70, v71
	s_and_b64 s[46:47], s[12:13], s[46:47]
	s_orn2_b64 s[50:51], s[46:47], exec
	s_and_b64 s[52:53], s[12:13], exec
; %bb.1326:                             ;   in Loop: Header=BB1124_1324 Depth=1
	s_or_b64 exec, exec, s[54:55]
	s_andn2_b64 s[12:13], s[44:45], exec
	s_and_b64 s[44:45], s[50:51], exec
	s_or_b64 s[44:45], s[12:13], s[44:45]
                                        ; implicit-def: $sgpr46_sgpr47
	s_and_saveexec_b64 s[54:55], s[52:53]
	s_cbranch_execz .LBB1124_1323
; %bb.1327:                             ;   in Loop: Header=BB1124_1324 Depth=1
	v_lshl_add_u64 v[20:21], v[20:21], 0, -1
	v_cmp_eq_u64_e64 s[12:13], 0, v[20:21]
	v_lshl_add_u64 v[16:17], v[16:17], 0, 2
	v_lshl_add_u64 v[18:19], v[18:19], 0, 2
	s_and_b64 s[46:47], s[50:51], exec
	s_andn2_b64 s[44:45], s[44:45], exec
	s_orn2_b64 s[48:49], s[12:13], exec
	s_branch .LBB1124_1323
.LBB1124_1328:
	s_or_b64 exec, exec, s[40:41]
	s_xor_b64 s[12:13], s[42:43], -1
	s_andn2_b64 s[18:19], s[18:19], exec
	s_and_b64 s[12:13], s[12:13], exec
	s_or_b64 s[18:19], s[18:19], s[12:13]
.LBB1124_1329:
	s_or_b64 exec, exec, s[38:39]
	s_orn2_b64 s[18:19], s[18:19], exec
.LBB1124_1330:
	s_or_b64 exec, exec, s[36:37]
	v_cndmask_b32_e64 v16, v22, v23, s[18:19]
	v_cndmask_b32_e64 v17, v101, v100, s[18:19]
	v_add_u32_e32 v20, 1, v16
	v_add_u32_e32 v16, -1, v17
	v_min_u32_e32 v16, v20, v16
	v_mov_b32_e32 v17, 0
	v_lshl_add_u64 v[18:19], v[16:17], 3, v[66:67]
	flat_load_dwordx2 v[18:19], v[18:19]
	v_cndmask_b32_e64 v70, v20, v22, s[18:19]
	s_mov_b64 s[36:37], -1
	v_cndmask_b32_e64 v71, v23, v20, s[18:19]
	v_cmp_lt_u32_e64 s[12:13], v70, v101
	s_mov_b64 s[38:39], -1
	s_waitcnt vmcnt(0) lgkmcnt(0)
	v_cndmask_b32_e64 v84, v19, v27, s[18:19]
	v_cndmask_b32_e64 v85, v18, v81, s[18:19]
	;; [unrolled: 1-line block ×4, first 2 shown]
	s_and_saveexec_b64 s[40:41], s[12:13]
	s_cbranch_execz .LBB1124_1340
; %bb.1331:
	v_cmp_lt_u32_e64 s[38:39], v71, v100
	s_and_b64 s[12:13], s[38:39], s[26:27]
	s_and_saveexec_b64 s[42:43], s[12:13]
	s_cbranch_execz .LBB1124_1339
; %bb.1332:
	v_mul_lo_u32 v16, v86, v6
	v_mul_lo_u32 v20, v87, v7
	v_mad_u64_u32 v[18:19], s[12:13], v87, v6, 0
	v_add3_u32 v19, v19, v20, v16
	v_mul_lo_u32 v16, v84, v6
	v_mul_lo_u32 v22, v85, v7
	v_mad_u64_u32 v[20:21], s[12:13], v85, v6, 0
	v_add3_u32 v21, v21, v22, v16
	v_lshl_add_u64 v[18:19], v[18:19], 1, v[8:9]
	v_lshl_add_u64 v[20:21], v[20:21], 1, v[8:9]
	s_mov_b64 s[44:45], 0
	v_mov_b64_e32 v[22:23], v[6:7]
                                        ; implicit-def: $sgpr46_sgpr47
                                        ; implicit-def: $sgpr48_sgpr49
                                        ; implicit-def: $sgpr50_sgpr51
	s_branch .LBB1124_1334
.LBB1124_1333:                          ;   in Loop: Header=BB1124_1334 Depth=1
	s_or_b64 exec, exec, s[58:59]
	s_and_b64 s[12:13], exec, s[52:53]
	s_or_b64 s[44:45], s[12:13], s[44:45]
	s_andn2_b64 s[12:13], s[46:47], exec
	s_and_b64 s[46:47], s[48:49], exec
	s_or_b64 s[46:47], s[12:13], s[46:47]
	s_andn2_b64 exec, exec, s[44:45]
	s_cbranch_execz .LBB1124_1338
.LBB1124_1334:                          ; =>This Inner Loop Header: Depth=1
	flat_load_ushort v16, v[20:21]
	flat_load_ushort v96, v[18:19]
	s_mov_b64 s[52:53], -1
	s_mov_b64 s[56:57], 0
	s_mov_b64 s[54:55], -1
	s_waitcnt vmcnt(0) lgkmcnt(0)
	v_lshlrev_b32_e32 v16, 16, v16
	v_lshlrev_b32_e32 v96, 16, v96
	v_cmp_nlt_f32_e64 s[12:13], v16, v96
	s_and_saveexec_b64 s[58:59], s[12:13]
; %bb.1335:                             ;   in Loop: Header=BB1124_1334 Depth=1
	v_cmp_ngt_f32_e64 s[12:13], v16, v96
	s_and_b64 s[50:51], s[12:13], s[50:51]
	s_orn2_b64 s[54:55], s[50:51], exec
	s_and_b64 s[56:57], s[12:13], exec
; %bb.1336:                             ;   in Loop: Header=BB1124_1334 Depth=1
	s_or_b64 exec, exec, s[58:59]
	s_andn2_b64 s[12:13], s[48:49], exec
	s_and_b64 s[48:49], s[54:55], exec
	s_or_b64 s[48:49], s[12:13], s[48:49]
                                        ; implicit-def: $sgpr50_sgpr51
	s_and_saveexec_b64 s[58:59], s[56:57]
	s_cbranch_execz .LBB1124_1333
; %bb.1337:                             ;   in Loop: Header=BB1124_1334 Depth=1
	v_lshl_add_u64 v[22:23], v[22:23], 0, -1
	v_cmp_eq_u64_e64 s[12:13], 0, v[22:23]
	v_lshl_add_u64 v[18:19], v[18:19], 0, 2
	v_lshl_add_u64 v[20:21], v[20:21], 0, 2
	s_and_b64 s[50:51], s[54:55], exec
	s_andn2_b64 s[48:49], s[48:49], exec
	s_orn2_b64 s[52:53], s[12:13], exec
	s_branch .LBB1124_1333
.LBB1124_1338:
	s_or_b64 exec, exec, s[44:45]
	s_xor_b64 s[12:13], s[46:47], -1
	s_andn2_b64 s[38:39], s[38:39], exec
	s_and_b64 s[12:13], s[12:13], exec
	s_or_b64 s[38:39], s[38:39], s[12:13]
.LBB1124_1339:
	s_or_b64 exec, exec, s[42:43]
	s_orn2_b64 s[38:39], s[38:39], exec
.LBB1124_1340:
	s_or_b64 exec, exec, s[40:41]
	v_cndmask_b32_e64 v16, v70, v71, s[38:39]
	v_cndmask_b32_e64 v18, v101, v100, s[38:39]
	v_add_u32_e32 v19, 1, v16
	v_add_u32_e32 v16, -1, v18
	v_min_u32_e32 v16, v19, v16
	v_lshl_add_u64 v[16:17], v[16:17], 3, v[66:67]
	flat_load_dwordx2 v[16:17], v[16:17]
	v_cndmask_b32_e64 v22, v19, v70, s[38:39]
	v_cndmask_b32_e64 v23, v71, v19, s[38:39]
	v_cmp_lt_u32_e64 s[12:13], v22, v101
	s_waitcnt vmcnt(0) lgkmcnt(0)
	v_cndmask_b32_e64 v96, v17, v84, s[38:39]
	v_cndmask_b32_e64 v97, v16, v85, s[38:39]
	v_cndmask_b32_e64 v98, v86, v17, s[38:39]
	v_cndmask_b32_e64 v99, v87, v16, s[38:39]
	s_and_saveexec_b64 s[40:41], s[12:13]
	s_cbranch_execz .LBB1124_1350
; %bb.1341:
	v_cmp_lt_u32_e64 s[36:37], v23, v100
	s_and_b64 s[12:13], s[36:37], s[26:27]
	s_and_saveexec_b64 s[42:43], s[12:13]
	s_cbranch_execz .LBB1124_1349
; %bb.1342:
	v_mul_lo_u32 v18, v98, v6
	v_mul_lo_u32 v19, v99, v7
	v_mad_u64_u32 v[16:17], s[12:13], v99, v6, 0
	v_add3_u32 v17, v17, v19, v18
	v_mul_lo_u32 v20, v96, v6
	v_mul_lo_u32 v21, v97, v7
	v_mad_u64_u32 v[18:19], s[12:13], v97, v6, 0
	v_add3_u32 v19, v19, v21, v20
	v_lshl_add_u64 v[16:17], v[16:17], 1, v[8:9]
	v_lshl_add_u64 v[18:19], v[18:19], 1, v[8:9]
	s_mov_b64 s[44:45], 0
	v_mov_b64_e32 v[20:21], v[6:7]
                                        ; implicit-def: $sgpr46_sgpr47
                                        ; implicit-def: $sgpr48_sgpr49
                                        ; implicit-def: $sgpr50_sgpr51
	s_branch .LBB1124_1344
.LBB1124_1343:                          ;   in Loop: Header=BB1124_1344 Depth=1
	s_or_b64 exec, exec, s[58:59]
	s_and_b64 s[12:13], exec, s[52:53]
	s_or_b64 s[44:45], s[12:13], s[44:45]
	s_andn2_b64 s[12:13], s[46:47], exec
	s_and_b64 s[46:47], s[48:49], exec
	s_or_b64 s[46:47], s[12:13], s[46:47]
	s_andn2_b64 exec, exec, s[44:45]
	s_cbranch_execz .LBB1124_1348
.LBB1124_1344:                          ; =>This Inner Loop Header: Depth=1
	flat_load_ushort v70, v[18:19]
	flat_load_ushort v71, v[16:17]
	s_mov_b64 s[52:53], -1
	s_mov_b64 s[56:57], 0
	s_mov_b64 s[54:55], -1
	s_waitcnt vmcnt(0) lgkmcnt(0)
	v_lshlrev_b32_e32 v70, 16, v70
	v_lshlrev_b32_e32 v71, 16, v71
	v_cmp_nlt_f32_e64 s[12:13], v70, v71
	s_and_saveexec_b64 s[58:59], s[12:13]
; %bb.1345:                             ;   in Loop: Header=BB1124_1344 Depth=1
	v_cmp_ngt_f32_e64 s[12:13], v70, v71
	s_and_b64 s[50:51], s[12:13], s[50:51]
	s_orn2_b64 s[54:55], s[50:51], exec
	s_and_b64 s[56:57], s[12:13], exec
; %bb.1346:                             ;   in Loop: Header=BB1124_1344 Depth=1
	s_or_b64 exec, exec, s[58:59]
	s_andn2_b64 s[12:13], s[48:49], exec
	s_and_b64 s[48:49], s[54:55], exec
	s_or_b64 s[48:49], s[12:13], s[48:49]
                                        ; implicit-def: $sgpr50_sgpr51
	s_and_saveexec_b64 s[58:59], s[56:57]
	s_cbranch_execz .LBB1124_1343
; %bb.1347:                             ;   in Loop: Header=BB1124_1344 Depth=1
	v_lshl_add_u64 v[20:21], v[20:21], 0, -1
	v_cmp_eq_u64_e64 s[12:13], 0, v[20:21]
	v_lshl_add_u64 v[16:17], v[16:17], 0, 2
	v_lshl_add_u64 v[18:19], v[18:19], 0, 2
	s_and_b64 s[50:51], s[54:55], exec
	s_andn2_b64 s[48:49], s[48:49], exec
	s_orn2_b64 s[52:53], s[12:13], exec
	s_branch .LBB1124_1343
.LBB1124_1348:
	s_or_b64 exec, exec, s[44:45]
	s_xor_b64 s[12:13], s[46:47], -1
	s_andn2_b64 s[36:37], s[36:37], exec
	s_and_b64 s[12:13], s[12:13], exec
	s_or_b64 s[36:37], s[36:37], s[12:13]
.LBB1124_1349:
	s_or_b64 exec, exec, s[42:43]
	s_orn2_b64 s[36:37], s[36:37], exec
.LBB1124_1350:
	s_or_b64 exec, exec, s[40:41]
	v_cndmask_b32_e64 v16, v22, v23, s[36:37]
	v_cndmask_b32_e64 v17, v101, v100, s[36:37]
	v_add_u32_e32 v20, 1, v16
	v_add_u32_e32 v16, -1, v17
	v_min_u32_e32 v16, v20, v16
	v_mov_b32_e32 v17, 0
	v_lshl_add_u64 v[18:19], v[16:17], 3, v[66:67]
	flat_load_dwordx2 v[18:19], v[18:19]
	v_cndmask_b32_e64 v70, v20, v22, s[36:37]
	s_mov_b64 s[40:41], -1
	v_cndmask_b32_e64 v71, v23, v20, s[36:37]
	v_cmp_lt_u32_e64 s[12:13], v70, v101
	s_mov_b64 s[42:43], -1
	s_waitcnt vmcnt(0) lgkmcnt(0)
	v_cndmask_b32_e64 v102, v19, v96, s[36:37]
	v_cndmask_b32_e64 v103, v18, v97, s[36:37]
	;; [unrolled: 1-line block ×4, first 2 shown]
	s_and_saveexec_b64 s[44:45], s[12:13]
	s_cbranch_execz .LBB1124_1360
; %bb.1351:
	v_cmp_lt_u32_e64 s[42:43], v71, v100
	s_and_b64 s[12:13], s[42:43], s[26:27]
	s_and_saveexec_b64 s[46:47], s[12:13]
	s_cbranch_execz .LBB1124_1359
; %bb.1352:
	v_mul_lo_u32 v16, v112, v6
	v_mul_lo_u32 v20, v113, v7
	v_mad_u64_u32 v[18:19], s[12:13], v113, v6, 0
	v_add3_u32 v19, v19, v20, v16
	v_mul_lo_u32 v16, v102, v6
	v_mul_lo_u32 v22, v103, v7
	v_mad_u64_u32 v[20:21], s[12:13], v103, v6, 0
	v_add3_u32 v21, v21, v22, v16
	v_lshl_add_u64 v[18:19], v[18:19], 1, v[8:9]
	v_lshl_add_u64 v[20:21], v[20:21], 1, v[8:9]
	s_mov_b64 s[48:49], 0
	v_mov_b64_e32 v[22:23], v[6:7]
                                        ; implicit-def: $sgpr50_sgpr51
                                        ; implicit-def: $sgpr52_sgpr53
                                        ; implicit-def: $sgpr54_sgpr55
	s_branch .LBB1124_1354
.LBB1124_1353:                          ;   in Loop: Header=BB1124_1354 Depth=1
	s_or_b64 exec, exec, s[62:63]
	s_and_b64 s[12:13], exec, s[56:57]
	s_or_b64 s[48:49], s[12:13], s[48:49]
	s_andn2_b64 s[12:13], s[50:51], exec
	s_and_b64 s[50:51], s[52:53], exec
	s_or_b64 s[50:51], s[12:13], s[50:51]
	s_andn2_b64 exec, exec, s[48:49]
	s_cbranch_execz .LBB1124_1358
.LBB1124_1354:                          ; =>This Inner Loop Header: Depth=1
	flat_load_ushort v16, v[20:21]
	flat_load_ushort v114, v[18:19]
	s_mov_b64 s[56:57], -1
	s_mov_b64 s[60:61], 0
	s_mov_b64 s[58:59], -1
	s_waitcnt vmcnt(0) lgkmcnt(0)
	v_lshlrev_b32_e32 v16, 16, v16
	v_lshlrev_b32_e32 v114, 16, v114
	v_cmp_nlt_f32_e64 s[12:13], v16, v114
	s_and_saveexec_b64 s[62:63], s[12:13]
; %bb.1355:                             ;   in Loop: Header=BB1124_1354 Depth=1
	v_cmp_ngt_f32_e64 s[12:13], v16, v114
	s_and_b64 s[54:55], s[12:13], s[54:55]
	s_orn2_b64 s[58:59], s[54:55], exec
	s_and_b64 s[60:61], s[12:13], exec
; %bb.1356:                             ;   in Loop: Header=BB1124_1354 Depth=1
	s_or_b64 exec, exec, s[62:63]
	s_andn2_b64 s[12:13], s[52:53], exec
	s_and_b64 s[52:53], s[58:59], exec
	s_or_b64 s[52:53], s[12:13], s[52:53]
                                        ; implicit-def: $sgpr54_sgpr55
	s_and_saveexec_b64 s[62:63], s[60:61]
	s_cbranch_execz .LBB1124_1353
; %bb.1357:                             ;   in Loop: Header=BB1124_1354 Depth=1
	v_lshl_add_u64 v[22:23], v[22:23], 0, -1
	v_cmp_eq_u64_e64 s[12:13], 0, v[22:23]
	v_lshl_add_u64 v[18:19], v[18:19], 0, 2
	v_lshl_add_u64 v[20:21], v[20:21], 0, 2
	s_and_b64 s[54:55], s[58:59], exec
	s_andn2_b64 s[52:53], s[52:53], exec
	s_orn2_b64 s[56:57], s[12:13], exec
	s_branch .LBB1124_1353
.LBB1124_1358:
	s_or_b64 exec, exec, s[48:49]
	s_xor_b64 s[12:13], s[50:51], -1
	s_andn2_b64 s[42:43], s[42:43], exec
	s_and_b64 s[12:13], s[12:13], exec
	s_or_b64 s[42:43], s[42:43], s[12:13]
.LBB1124_1359:
	s_or_b64 exec, exec, s[46:47]
	s_orn2_b64 s[42:43], s[42:43], exec
.LBB1124_1360:
	s_or_b64 exec, exec, s[44:45]
	v_cndmask_b32_e64 v16, v70, v71, s[42:43]
	v_cndmask_b32_e64 v18, v101, v100, s[42:43]
	v_add_u32_e32 v19, 1, v16
	v_add_u32_e32 v16, -1, v18
	v_min_u32_e32 v16, v19, v16
	v_lshl_add_u64 v[16:17], v[16:17], 3, v[66:67]
	flat_load_dwordx2 v[16:17], v[16:17]
	v_cndmask_b32_e64 v117, v19, v70, s[42:43]
	v_cndmask_b32_e64 v114, v71, v19, s[42:43]
	v_cmp_lt_u32_e64 s[12:13], v117, v101
	s_waitcnt vmcnt(0) lgkmcnt(0)
	v_cndmask_b32_e64 v115, v17, v102, s[42:43]
	v_cndmask_b32_e64 v116, v16, v103, s[42:43]
	;; [unrolled: 1-line block ×4, first 2 shown]
	s_and_saveexec_b64 s[44:45], s[12:13]
	s_cbranch_execz .LBB1124_1370
; %bb.1361:
	v_cmp_lt_u32_e64 s[40:41], v114, v100
	s_and_b64 s[12:13], s[40:41], s[26:27]
	s_and_saveexec_b64 s[46:47], s[12:13]
	s_cbranch_execz .LBB1124_1369
; %bb.1362:
	v_mul_lo_u32 v18, v118, v6
	v_mul_lo_u32 v19, v119, v7
	v_mad_u64_u32 v[16:17], s[12:13], v119, v6, 0
	v_add3_u32 v17, v17, v19, v18
	v_mul_lo_u32 v20, v115, v6
	v_mul_lo_u32 v21, v116, v7
	v_mad_u64_u32 v[18:19], s[12:13], v116, v6, 0
	v_add3_u32 v19, v19, v21, v20
	v_lshl_add_u64 v[16:17], v[16:17], 1, v[8:9]
	v_lshl_add_u64 v[18:19], v[18:19], 1, v[8:9]
	s_mov_b64 s[48:49], 0
	v_mov_b64_e32 v[20:21], v[6:7]
                                        ; implicit-def: $sgpr50_sgpr51
                                        ; implicit-def: $sgpr52_sgpr53
                                        ; implicit-def: $sgpr54_sgpr55
	s_branch .LBB1124_1364
.LBB1124_1363:                          ;   in Loop: Header=BB1124_1364 Depth=1
	s_or_b64 exec, exec, s[62:63]
	s_and_b64 s[12:13], exec, s[56:57]
	s_or_b64 s[48:49], s[12:13], s[48:49]
	s_andn2_b64 s[12:13], s[50:51], exec
	s_and_b64 s[50:51], s[52:53], exec
	s_or_b64 s[50:51], s[12:13], s[50:51]
	s_andn2_b64 exec, exec, s[48:49]
	s_cbranch_execz .LBB1124_1368
.LBB1124_1364:                          ; =>This Inner Loop Header: Depth=1
	flat_load_ushort v22, v[18:19]
	flat_load_ushort v23, v[16:17]
	s_mov_b64 s[56:57], -1
	s_mov_b64 s[60:61], 0
	s_mov_b64 s[58:59], -1
	s_waitcnt vmcnt(0) lgkmcnt(0)
	v_lshlrev_b32_e32 v22, 16, v22
	v_lshlrev_b32_e32 v23, 16, v23
	v_cmp_nlt_f32_e64 s[12:13], v22, v23
	s_and_saveexec_b64 s[62:63], s[12:13]
; %bb.1365:                             ;   in Loop: Header=BB1124_1364 Depth=1
	v_cmp_ngt_f32_e64 s[12:13], v22, v23
	s_and_b64 s[54:55], s[12:13], s[54:55]
	s_orn2_b64 s[58:59], s[54:55], exec
	s_and_b64 s[60:61], s[12:13], exec
; %bb.1366:                             ;   in Loop: Header=BB1124_1364 Depth=1
	s_or_b64 exec, exec, s[62:63]
	s_andn2_b64 s[12:13], s[52:53], exec
	s_and_b64 s[52:53], s[58:59], exec
	s_or_b64 s[52:53], s[12:13], s[52:53]
                                        ; implicit-def: $sgpr54_sgpr55
	s_and_saveexec_b64 s[62:63], s[60:61]
	s_cbranch_execz .LBB1124_1363
; %bb.1367:                             ;   in Loop: Header=BB1124_1364 Depth=1
	v_lshl_add_u64 v[20:21], v[20:21], 0, -1
	v_cmp_eq_u64_e64 s[12:13], 0, v[20:21]
	v_lshl_add_u64 v[16:17], v[16:17], 0, 2
	v_lshl_add_u64 v[18:19], v[18:19], 0, 2
	s_and_b64 s[54:55], s[58:59], exec
	s_andn2_b64 s[52:53], s[52:53], exec
	s_orn2_b64 s[56:57], s[12:13], exec
	s_branch .LBB1124_1363
.LBB1124_1368:
	s_or_b64 exec, exec, s[48:49]
	s_xor_b64 s[12:13], s[50:51], -1
	s_andn2_b64 s[40:41], s[40:41], exec
	s_and_b64 s[12:13], s[12:13], exec
	s_or_b64 s[40:41], s[40:41], s[12:13]
.LBB1124_1369:
	s_or_b64 exec, exec, s[46:47]
	s_orn2_b64 s[40:41], s[40:41], exec
.LBB1124_1370:
	s_or_b64 exec, exec, s[44:45]
	v_cndmask_b32_e64 v16, v117, v114, s[40:41]
	v_cndmask_b32_e64 v17, v101, v100, s[40:41]
	v_add_u32_e32 v128, 1, v16
	v_add_u32_e32 v16, -1, v17
	v_min_u32_e32 v16, v128, v16
	v_mov_b32_e32 v17, 0
	v_lshl_add_u64 v[16:17], v[16:17], 3, v[66:67]
	flat_load_dwordx2 v[70:71], v[16:17]
	v_cndmask_b32_e64 v21, v27, v82, s[18:19]
	v_cndmask_b32_e64 v27, v24, v26, s[34:35]
	;; [unrolled: 1-line block ×15, first 2 shown]
	v_cmp_lt_u32_e64 s[12:13], v80, v101
	s_waitcnt vmcnt(0) lgkmcnt(0)
	v_cndmask_b32_e64 v15, v118, v71, s[40:41]
	v_cndmask_b32_e64 v14, v119, v70, s[40:41]
	s_and_saveexec_b64 s[18:19], s[12:13]
	s_cbranch_execz .LBB1124_1380
; %bb.1371:
	v_cndmask_b32_e64 v85, v70, v116, s[40:41]
	v_cndmask_b32_e64 v70, v114, v128, s[40:41]
	v_cmp_ge_u32_e64 s[12:13], v70, v100
	v_cndmask_b32_e64 v84, v71, v115, s[40:41]
	s_or_b64 s[30:31], s[12:13], s[8:9]
	v_cndmask_b32_e64 v71, v15, v84, s[12:13]
	s_xor_b64 s[34:35], s[30:31], -1
	v_cndmask_b32_e64 v70, v14, v85, s[12:13]
	s_and_saveexec_b64 s[30:31], s[34:35]
	s_cbranch_execz .LBB1124_1379
; %bb.1372:
	v_mul_lo_u32 v80, v15, v6
	v_mul_lo_u32 v81, v14, v7
	v_mad_u64_u32 v[70:71], s[12:13], v14, v6, 0
	v_add3_u32 v71, v71, v81, v80
	v_mul_lo_u32 v82, v84, v6
	v_mul_lo_u32 v83, v85, v7
	v_mad_u64_u32 v[80:81], s[12:13], v85, v6, 0
	v_add3_u32 v81, v81, v83, v82
	v_lshl_add_u64 v[70:71], v[70:71], 1, v[8:9]
	v_lshl_add_u64 v[80:81], v[80:81], 1, v[8:9]
	s_mov_b64 s[34:35], 0
	v_mov_b64_e32 v[82:83], v[6:7]
                                        ; implicit-def: $sgpr36_sgpr37
                                        ; implicit-def: $sgpr38_sgpr39
                                        ; implicit-def: $sgpr40_sgpr41
	s_branch .LBB1124_1374
.LBB1124_1373:                          ;   in Loop: Header=BB1124_1374 Depth=1
	s_or_b64 exec, exec, s[48:49]
	s_and_b64 s[12:13], exec, s[42:43]
	s_or_b64 s[34:35], s[12:13], s[34:35]
	s_andn2_b64 s[12:13], s[36:37], exec
	s_and_b64 s[36:37], s[38:39], exec
	s_or_b64 s[36:37], s[12:13], s[36:37]
	s_andn2_b64 exec, exec, s[34:35]
	s_cbranch_execz .LBB1124_1378
.LBB1124_1374:                          ; =>This Inner Loop Header: Depth=1
	flat_load_ushort v86, v[80:81]
	flat_load_ushort v87, v[70:71]
	s_mov_b64 s[42:43], -1
	s_mov_b64 s[46:47], 0
	s_mov_b64 s[44:45], -1
	s_waitcnt vmcnt(0) lgkmcnt(0)
	v_lshlrev_b32_e32 v86, 16, v86
	v_lshlrev_b32_e32 v87, 16, v87
	v_cmp_nlt_f32_e64 s[12:13], v86, v87
	s_and_saveexec_b64 s[48:49], s[12:13]
; %bb.1375:                             ;   in Loop: Header=BB1124_1374 Depth=1
	v_cmp_ngt_f32_e64 s[12:13], v86, v87
	s_and_b64 s[40:41], s[12:13], s[40:41]
	s_orn2_b64 s[44:45], s[40:41], exec
	s_and_b64 s[46:47], s[12:13], exec
; %bb.1376:                             ;   in Loop: Header=BB1124_1374 Depth=1
	s_or_b64 exec, exec, s[48:49]
	s_andn2_b64 s[12:13], s[38:39], exec
	s_and_b64 s[38:39], s[44:45], exec
	s_or_b64 s[38:39], s[12:13], s[38:39]
                                        ; implicit-def: $sgpr40_sgpr41
	s_and_saveexec_b64 s[48:49], s[46:47]
	s_cbranch_execz .LBB1124_1373
; %bb.1377:                             ;   in Loop: Header=BB1124_1374 Depth=1
	v_lshl_add_u64 v[82:83], v[82:83], 0, -1
	v_cmp_eq_u64_e64 s[12:13], 0, v[82:83]
	v_lshl_add_u64 v[70:71], v[70:71], 0, 2
	v_lshl_add_u64 v[80:81], v[80:81], 0, 2
	s_and_b64 s[40:41], s[44:45], exec
	s_andn2_b64 s[38:39], s[38:39], exec
	s_orn2_b64 s[42:43], s[12:13], exec
	s_branch .LBB1124_1373
.LBB1124_1378:
	s_or_b64 exec, exec, s[34:35]
	v_cndmask_b32_e64 v71, v15, v84, s[36:37]
	v_cndmask_b32_e64 v70, v14, v85, s[36:37]
.LBB1124_1379:
	s_or_b64 exec, exec, s[30:31]
	v_mov_b64_e32 v[14:15], v[70:71]
.LBB1124_1380:
	s_or_b64 exec, exec, s[18:19]
.LBB1124_1381:
	s_or_b64 exec, exec, s[28:29]
	v_and_b32_e32 v100, 0x380, v31
	; wave barrier
	flat_store_dwordx4 v[68:69], v[24:27]
	flat_store_dwordx4 v[68:69], v[20:23] offset:16
	flat_store_dwordx4 v[68:69], v[16:19] offset:32
	;; [unrolled: 1-line block ×3, first 2 shown]
	v_or_b32_e32 v68, 64, v100
	v_min_u32_e32 v98, v1, v68
	v_add_u32_e32 v68, 64, v98
	v_min_u32_e32 v99, v1, v68
	v_and_b32_e32 v31, 0x78, v31
	v_min_u32_e32 v1, v1, v31
	v_sub_u32_e32 v68, v98, v100
	v_sub_u32_e32 v31, v99, v98
	v_sub_u32_e64 v31, v1, v31 clamp
	v_min_u32_e32 v101, v1, v68
	v_cmp_lt_u32_e64 s[12:13], v31, v101
	; wave barrier
	s_and_saveexec_b64 s[18:19], s[12:13]
	s_cbranch_execz .LBB1124_1393
; %bb.1382:
	v_lshlrev_b32_e32 v68, 3, v100
	v_mov_b32_e32 v69, 0
	v_lshl_add_u64 v[70:71], v[66:67], 0, v[68:69]
	v_lshlrev_b32_e32 v68, 3, v98
	v_lshl_add_u64 v[80:81], v[66:67], 0, v[68:69]
	s_mov_b64 s[28:29], 0
	s_branch .LBB1124_1385
.LBB1124_1383:                          ;   in Loop: Header=BB1124_1385 Depth=1
	s_or_b64 exec, exec, s[34:35]
	s_and_b64 s[12:13], s[36:37], exec
.LBB1124_1384:                          ;   in Loop: Header=BB1124_1385 Depth=1
	s_or_b64 exec, exec, s[30:31]
	v_add_u32_e32 v68, 1, v82
	v_cndmask_b32_e64 v101, v101, v82, s[12:13]
	v_cndmask_b32_e64 v31, v68, v31, s[12:13]
	v_cmp_ge_u32_e64 s[12:13], v31, v101
	s_or_b64 s[28:29], s[12:13], s[28:29]
	s_andn2_b64 exec, exec, s[28:29]
	s_cbranch_execz .LBB1124_1392
.LBB1124_1385:                          ; =>This Loop Header: Depth=1
                                        ;     Child Loop BB1124_1388 Depth 2
	v_add_u32_e32 v68, v101, v31
	v_lshrrev_b32_e32 v82, 1, v68
	s_mov_b64 s[12:13], 0
	s_and_saveexec_b64 s[30:31], s[16:17]
	s_cbranch_execz .LBB1124_1384
; %bb.1386:                             ;   in Loop: Header=BB1124_1385 Depth=1
	v_mov_b32_e32 v83, v69
	v_xad_u32 v68, v82, -1, v1
	v_lshl_add_u64 v[84:85], v[82:83], 3, v[70:71]
	v_lshl_add_u64 v[86:87], v[68:69], 3, v[80:81]
	flat_load_dwordx2 v[84:85], v[84:85]
	s_mov_b64 s[34:35], 0
	flat_load_dwordx2 v[86:87], v[86:87]
                                        ; implicit-def: $sgpr36_sgpr37
                                        ; implicit-def: $sgpr38_sgpr39
                                        ; implicit-def: $sgpr40_sgpr41
	s_waitcnt vmcnt(0) lgkmcnt(0)
	v_mul_lo_u32 v68, v64, v85
	v_mul_lo_u32 v83, v65, v84
	v_mad_u64_u32 v[84:85], s[12:13], v64, v84, v[8:9]
	v_mul_lo_u32 v96, v64, v87
	v_mul_lo_u32 v97, v65, v86
	v_mad_u64_u32 v[86:87], s[12:13], v64, v86, v[8:9]
	v_add3_u32 v85, v83, v85, v68
	v_add3_u32 v87, v97, v87, v96
	v_mov_b64_e32 v[96:97], v[6:7]
	s_branch .LBB1124_1388
.LBB1124_1387:                          ;   in Loop: Header=BB1124_1388 Depth=2
	s_or_b64 exec, exec, s[48:49]
	s_and_b64 s[12:13], exec, s[42:43]
	s_or_b64 s[34:35], s[12:13], s[34:35]
	s_andn2_b64 s[12:13], s[36:37], exec
	s_and_b64 s[36:37], s[38:39], exec
	s_or_b64 s[36:37], s[12:13], s[36:37]
	s_andn2_b64 exec, exec, s[34:35]
	s_cbranch_execz .LBB1124_1383
.LBB1124_1388:                          ;   Parent Loop BB1124_1385 Depth=1
                                        ; =>  This Inner Loop Header: Depth=2
	flat_load_ushort v68, v[86:87]
	flat_load_ushort v83, v[84:85]
	s_mov_b64 s[42:43], -1
	s_mov_b64 s[46:47], 0
	s_mov_b64 s[44:45], -1
	s_waitcnt vmcnt(0) lgkmcnt(0)
	v_lshlrev_b32_e32 v68, 16, v68
	v_lshlrev_b32_e32 v83, 16, v83
	v_cmp_nlt_f32_e64 s[12:13], v68, v83
	s_and_saveexec_b64 s[48:49], s[12:13]
; %bb.1389:                             ;   in Loop: Header=BB1124_1388 Depth=2
	v_cmp_ngt_f32_e64 s[12:13], v68, v83
	s_and_b64 s[40:41], s[12:13], s[40:41]
	s_orn2_b64 s[44:45], s[40:41], exec
	s_and_b64 s[46:47], s[12:13], exec
; %bb.1390:                             ;   in Loop: Header=BB1124_1388 Depth=2
	s_or_b64 exec, exec, s[48:49]
	s_andn2_b64 s[12:13], s[38:39], exec
	s_and_b64 s[38:39], s[44:45], exec
	s_or_b64 s[38:39], s[12:13], s[38:39]
                                        ; implicit-def: $sgpr40_sgpr41
	s_and_saveexec_b64 s[48:49], s[46:47]
	s_cbranch_execz .LBB1124_1387
; %bb.1391:                             ;   in Loop: Header=BB1124_1388 Depth=2
	v_lshl_add_u64 v[96:97], v[96:97], 0, -1
	v_cmp_eq_u64_e64 s[12:13], 0, v[96:97]
	v_lshl_add_u64 v[84:85], v[84:85], 0, 2
	v_lshl_add_u64 v[86:87], v[86:87], 0, 2
	s_andn2_b64 s[38:39], s[38:39], exec
	s_and_b64 s[40:41], s[44:45], exec
	s_orn2_b64 s[42:43], s[12:13], exec
	s_branch .LBB1124_1387
.LBB1124_1392:
	s_or_b64 exec, exec, s[28:29]
.LBB1124_1393:
	s_or_b64 exec, exec, s[18:19]
	v_add_u32_e32 v1, v98, v1
	v_add_u32_e32 v68, v31, v100
	v_sub_u32_e32 v70, v1, v31
	v_cmp_le_u32_e64 s[12:13], v68, v98
	v_cmp_le_u32_e64 s[18:19], v70, v99
	s_or_b64 s[12:13], s[12:13], s[18:19]
	s_and_saveexec_b64 s[28:29], s[12:13]
	s_cbranch_execz .LBB1124_1481
; %bb.1394:
	v_cmp_ge_u32_e64 s[18:19], v68, v98
	v_cmp_lt_u32_e64 s[12:13], v68, v98
                                        ; implicit-def: $vgpr12_vgpr13
	s_and_saveexec_b64 s[30:31], s[12:13]
	s_cbranch_execz .LBB1124_1396
; %bb.1395:
	v_mov_b32_e32 v69, 0
	v_lshl_add_u64 v[12:13], v[68:69], 3, v[66:67]
	flat_load_dwordx2 v[12:13], v[12:13]
.LBB1124_1396:
	s_or_b64 exec, exec, s[30:31]
	v_cmp_ge_u32_e64 s[30:31], v70, v99
	v_cmp_lt_u32_e64 s[12:13], v70, v99
                                        ; implicit-def: $vgpr14_vgpr15
	s_and_saveexec_b64 s[34:35], s[12:13]
	s_cbranch_execz .LBB1124_1398
; %bb.1397:
	v_mov_b32_e32 v71, 0
	v_lshl_add_u64 v[14:15], v[70:71], 3, v[66:67]
	flat_load_dwordx2 v[14:15], v[14:15]
.LBB1124_1398:
	s_or_b64 exec, exec, s[34:35]
	s_or_b64 s[12:13], s[18:19], s[30:31]
	s_xor_b64 s[12:13], s[12:13], -1
	s_and_saveexec_b64 s[18:19], s[12:13]
	s_cbranch_execz .LBB1124_1408
; %bb.1399:
	s_mov_b64 s[12:13], 0
	s_and_saveexec_b64 s[34:35], s[16:17]
	s_cbranch_execz .LBB1124_1407
; %bb.1400:
	s_waitcnt vmcnt(0) lgkmcnt(0)
	v_mul_lo_u32 v1, v13, v6
	v_mul_lo_u32 v18, v12, v7
	v_mad_u64_u32 v[16:17], s[12:13], v12, v6, 0
	v_add3_u32 v17, v17, v18, v1
	v_mul_lo_u32 v1, v15, v6
	v_mul_lo_u32 v20, v14, v7
	v_mad_u64_u32 v[18:19], s[12:13], v14, v6, 0
	v_add3_u32 v19, v19, v20, v1
	v_lshl_add_u64 v[16:17], v[16:17], 1, v[8:9]
	v_lshl_add_u64 v[18:19], v[18:19], 1, v[8:9]
	s_mov_b64 s[36:37], 0
	v_mov_b64_e32 v[20:21], v[6:7]
                                        ; implicit-def: $sgpr38_sgpr39
                                        ; implicit-def: $sgpr40_sgpr41
                                        ; implicit-def: $sgpr42_sgpr43
	s_branch .LBB1124_1402
.LBB1124_1401:                          ;   in Loop: Header=BB1124_1402 Depth=1
	s_or_b64 exec, exec, s[48:49]
	s_and_b64 s[12:13], exec, s[12:13]
	s_or_b64 s[36:37], s[12:13], s[36:37]
	s_andn2_b64 s[12:13], s[38:39], exec
	s_and_b64 s[38:39], s[40:41], exec
	s_or_b64 s[38:39], s[12:13], s[38:39]
	s_andn2_b64 exec, exec, s[36:37]
	s_cbranch_execz .LBB1124_1406
.LBB1124_1402:                          ; =>This Inner Loop Header: Depth=1
	flat_load_ushort v1, v[18:19]
	flat_load_ushort v22, v[16:17]
	s_mov_b64 s[46:47], 0
	s_mov_b64 s[44:45], -1
	s_waitcnt vmcnt(0) lgkmcnt(0)
	v_lshlrev_b32_e32 v1, 16, v1
	v_lshlrev_b32_e32 v22, 16, v22
	v_cmp_nlt_f32_e64 s[12:13], v1, v22
	s_and_saveexec_b64 s[48:49], s[12:13]
; %bb.1403:                             ;   in Loop: Header=BB1124_1402 Depth=1
	v_cmp_ngt_f32_e64 s[12:13], v1, v22
	s_and_b64 s[42:43], s[12:13], s[42:43]
	s_orn2_b64 s[44:45], s[42:43], exec
	s_and_b64 s[46:47], s[12:13], exec
; %bb.1404:                             ;   in Loop: Header=BB1124_1402 Depth=1
	s_or_b64 exec, exec, s[48:49]
	s_andn2_b64 s[40:41], s[40:41], exec
	s_and_b64 s[42:43], s[44:45], exec
	s_mov_b64 s[12:13], -1
	s_or_b64 s[40:41], s[40:41], s[42:43]
                                        ; implicit-def: $sgpr42_sgpr43
	s_and_saveexec_b64 s[48:49], s[46:47]
	s_cbranch_execz .LBB1124_1401
; %bb.1405:                             ;   in Loop: Header=BB1124_1402 Depth=1
	v_lshl_add_u64 v[20:21], v[20:21], 0, -1
	v_cmp_eq_u64_e64 s[12:13], 0, v[20:21]
	v_lshl_add_u64 v[16:17], v[16:17], 0, 2
	v_lshl_add_u64 v[18:19], v[18:19], 0, 2
	s_andn2_b64 s[40:41], s[40:41], exec
	s_and_b64 s[42:43], s[44:45], exec
	s_orn2_b64 s[12:13], s[12:13], exec
	s_branch .LBB1124_1401
.LBB1124_1406:
	s_or_b64 exec, exec, s[36:37]
	s_and_b64 s[12:13], s[38:39], exec
.LBB1124_1407:
	s_or_b64 exec, exec, s[34:35]
	s_xor_b64 s[12:13], s[12:13], -1
	s_andn2_b64 s[30:31], s[30:31], exec
	s_and_b64 s[12:13], s[12:13], exec
	s_or_b64 s[30:31], s[30:31], s[12:13]
.LBB1124_1408:
	s_or_b64 exec, exec, s[18:19]
	v_cndmask_b32_e64 v1, v70, v68, s[30:31]
	v_cndmask_b32_e64 v16, v99, v98, s[30:31]
	v_add_u32_e32 v1, 1, v1
	v_add_u32_e32 v16, -1, v16
	v_min_u32_e32 v16, v1, v16
	v_mov_b32_e32 v17, 0
	v_lshl_add_u64 v[18:19], v[16:17], 3, v[66:67]
	flat_load_dwordx2 v[18:19], v[18:19]
	v_cndmask_b32_e64 v27, v1, v70, s[30:31]
	s_mov_b64 s[18:19], -1
	v_cndmask_b32_e64 v31, v68, v1, s[30:31]
	v_cmp_lt_u32_e64 s[12:13], v27, v99
	s_mov_b64 s[34:35], -1
	s_waitcnt vmcnt(0) lgkmcnt(0)
	v_cndmask_b32_e64 v1, v19, v15, s[30:31]
	v_cndmask_b32_e64 v24, v18, v14, s[30:31]
	;; [unrolled: 1-line block ×4, first 2 shown]
	s_and_saveexec_b64 s[36:37], s[12:13]
	s_cbranch_execz .LBB1124_1420
; %bb.1409:
	v_cmp_lt_u32_e64 s[12:13], v31, v98
	s_mov_b64 s[38:39], 0
	s_and_saveexec_b64 s[34:35], s[12:13]
	s_cbranch_execz .LBB1124_1419
; %bb.1410:
	s_mov_b64 s[12:13], 0
	s_and_saveexec_b64 s[38:39], s[16:17]
	s_cbranch_execz .LBB1124_1418
; %bb.1411:
	v_mul_lo_u32 v16, v25, v6
	v_mul_lo_u32 v20, v26, v7
	v_mad_u64_u32 v[18:19], s[12:13], v26, v6, 0
	v_add3_u32 v19, v19, v20, v16
	v_mul_lo_u32 v16, v1, v6
	v_mul_lo_u32 v22, v24, v7
	v_mad_u64_u32 v[20:21], s[12:13], v24, v6, 0
	v_add3_u32 v21, v21, v22, v16
	v_lshl_add_u64 v[18:19], v[18:19], 1, v[8:9]
	v_lshl_add_u64 v[20:21], v[20:21], 1, v[8:9]
	s_mov_b64 s[40:41], 0
	v_mov_b64_e32 v[22:23], v[6:7]
                                        ; implicit-def: $sgpr42_sgpr43
                                        ; implicit-def: $sgpr44_sgpr45
                                        ; implicit-def: $sgpr46_sgpr47
	s_branch .LBB1124_1413
.LBB1124_1412:                          ;   in Loop: Header=BB1124_1413 Depth=1
	s_or_b64 exec, exec, s[52:53]
	s_and_b64 s[12:13], exec, s[12:13]
	s_or_b64 s[40:41], s[12:13], s[40:41]
	s_andn2_b64 s[12:13], s[42:43], exec
	s_and_b64 s[42:43], s[44:45], exec
	s_or_b64 s[42:43], s[12:13], s[42:43]
	s_andn2_b64 exec, exec, s[40:41]
	s_cbranch_execz .LBB1124_1417
.LBB1124_1413:                          ; =>This Inner Loop Header: Depth=1
	flat_load_ushort v16, v[20:21]
	flat_load_ushort v68, v[18:19]
	s_mov_b64 s[50:51], 0
	s_mov_b64 s[48:49], -1
	s_waitcnt vmcnt(0) lgkmcnt(0)
	v_lshlrev_b32_e32 v16, 16, v16
	v_lshlrev_b32_e32 v68, 16, v68
	v_cmp_nlt_f32_e64 s[12:13], v16, v68
	s_and_saveexec_b64 s[52:53], s[12:13]
; %bb.1414:                             ;   in Loop: Header=BB1124_1413 Depth=1
	v_cmp_ngt_f32_e64 s[12:13], v16, v68
	s_and_b64 s[46:47], s[12:13], s[46:47]
	s_orn2_b64 s[48:49], s[46:47], exec
	s_and_b64 s[50:51], s[12:13], exec
; %bb.1415:                             ;   in Loop: Header=BB1124_1413 Depth=1
	s_or_b64 exec, exec, s[52:53]
	s_andn2_b64 s[44:45], s[44:45], exec
	s_and_b64 s[46:47], s[48:49], exec
	s_mov_b64 s[12:13], -1
	s_or_b64 s[44:45], s[44:45], s[46:47]
                                        ; implicit-def: $sgpr46_sgpr47
	s_and_saveexec_b64 s[52:53], s[50:51]
	s_cbranch_execz .LBB1124_1412
; %bb.1416:                             ;   in Loop: Header=BB1124_1413 Depth=1
	v_lshl_add_u64 v[22:23], v[22:23], 0, -1
	v_cmp_eq_u64_e64 s[12:13], 0, v[22:23]
	v_lshl_add_u64 v[18:19], v[18:19], 0, 2
	v_lshl_add_u64 v[20:21], v[20:21], 0, 2
	s_andn2_b64 s[44:45], s[44:45], exec
	s_and_b64 s[46:47], s[48:49], exec
	s_orn2_b64 s[12:13], s[12:13], exec
	s_branch .LBB1124_1412
.LBB1124_1417:
	s_or_b64 exec, exec, s[40:41]
	s_and_b64 s[12:13], s[42:43], exec
.LBB1124_1418:
	s_or_b64 exec, exec, s[38:39]
	s_xor_b64 s[12:13], s[12:13], -1
	s_and_b64 s[38:39], s[12:13], exec
.LBB1124_1419:
	s_or_b64 exec, exec, s[34:35]
	s_orn2_b64 s[34:35], s[38:39], exec
.LBB1124_1420:
	s_or_b64 exec, exec, s[36:37]
	v_cndmask_b32_e64 v16, v27, v31, s[34:35]
	v_cndmask_b32_e64 v18, v99, v98, s[34:35]
	v_add_u32_e32 v19, 1, v16
	v_add_u32_e32 v16, -1, v18
	v_min_u32_e32 v16, v19, v16
	v_lshl_add_u64 v[16:17], v[16:17], 3, v[66:67]
	flat_load_dwordx2 v[16:17], v[16:17]
	v_cndmask_b32_e64 v22, v19, v27, s[34:35]
	v_cndmask_b32_e64 v23, v31, v19, s[34:35]
	v_cmp_lt_u32_e64 s[12:13], v22, v99
	s_waitcnt vmcnt(0) lgkmcnt(0)
	v_cndmask_b32_e64 v27, v17, v1, s[34:35]
	v_cndmask_b32_e64 v31, v16, v24, s[34:35]
	;; [unrolled: 1-line block ×4, first 2 shown]
	s_and_saveexec_b64 s[36:37], s[12:13]
	s_cbranch_execz .LBB1124_1430
; %bb.1421:
	v_cmp_lt_u32_e64 s[18:19], v23, v98
	s_and_b64 s[12:13], s[18:19], s[26:27]
	s_and_saveexec_b64 s[38:39], s[12:13]
	s_cbranch_execz .LBB1124_1429
; %bb.1422:
	v_mul_lo_u32 v18, v68, v6
	v_mul_lo_u32 v19, v69, v7
	v_mad_u64_u32 v[16:17], s[12:13], v69, v6, 0
	v_add3_u32 v17, v17, v19, v18
	v_mul_lo_u32 v20, v27, v6
	v_mul_lo_u32 v21, v31, v7
	v_mad_u64_u32 v[18:19], s[12:13], v31, v6, 0
	v_add3_u32 v19, v19, v21, v20
	v_lshl_add_u64 v[16:17], v[16:17], 1, v[8:9]
	v_lshl_add_u64 v[18:19], v[18:19], 1, v[8:9]
	s_mov_b64 s[40:41], 0
	v_mov_b64_e32 v[20:21], v[6:7]
                                        ; implicit-def: $sgpr42_sgpr43
                                        ; implicit-def: $sgpr44_sgpr45
                                        ; implicit-def: $sgpr46_sgpr47
	s_branch .LBB1124_1424
.LBB1124_1423:                          ;   in Loop: Header=BB1124_1424 Depth=1
	s_or_b64 exec, exec, s[54:55]
	s_and_b64 s[12:13], exec, s[48:49]
	s_or_b64 s[40:41], s[12:13], s[40:41]
	s_andn2_b64 s[12:13], s[42:43], exec
	s_and_b64 s[42:43], s[44:45], exec
	s_or_b64 s[42:43], s[12:13], s[42:43]
	s_andn2_b64 exec, exec, s[40:41]
	s_cbranch_execz .LBB1124_1428
.LBB1124_1424:                          ; =>This Inner Loop Header: Depth=1
	flat_load_ushort v70, v[18:19]
	flat_load_ushort v71, v[16:17]
	s_mov_b64 s[48:49], -1
	s_mov_b64 s[52:53], 0
	s_mov_b64 s[50:51], -1
	s_waitcnt vmcnt(0) lgkmcnt(0)
	v_lshlrev_b32_e32 v70, 16, v70
	v_lshlrev_b32_e32 v71, 16, v71
	v_cmp_nlt_f32_e64 s[12:13], v70, v71
	s_and_saveexec_b64 s[54:55], s[12:13]
; %bb.1425:                             ;   in Loop: Header=BB1124_1424 Depth=1
	v_cmp_ngt_f32_e64 s[12:13], v70, v71
	s_and_b64 s[46:47], s[12:13], s[46:47]
	s_orn2_b64 s[50:51], s[46:47], exec
	s_and_b64 s[52:53], s[12:13], exec
; %bb.1426:                             ;   in Loop: Header=BB1124_1424 Depth=1
	s_or_b64 exec, exec, s[54:55]
	s_andn2_b64 s[12:13], s[44:45], exec
	s_and_b64 s[44:45], s[50:51], exec
	s_or_b64 s[44:45], s[12:13], s[44:45]
                                        ; implicit-def: $sgpr46_sgpr47
	s_and_saveexec_b64 s[54:55], s[52:53]
	s_cbranch_execz .LBB1124_1423
; %bb.1427:                             ;   in Loop: Header=BB1124_1424 Depth=1
	v_lshl_add_u64 v[20:21], v[20:21], 0, -1
	v_cmp_eq_u64_e64 s[12:13], 0, v[20:21]
	v_lshl_add_u64 v[16:17], v[16:17], 0, 2
	v_lshl_add_u64 v[18:19], v[18:19], 0, 2
	s_and_b64 s[46:47], s[50:51], exec
	s_andn2_b64 s[44:45], s[44:45], exec
	s_orn2_b64 s[48:49], s[12:13], exec
	s_branch .LBB1124_1423
.LBB1124_1428:
	s_or_b64 exec, exec, s[40:41]
	s_xor_b64 s[12:13], s[42:43], -1
	s_andn2_b64 s[18:19], s[18:19], exec
	s_and_b64 s[12:13], s[12:13], exec
	s_or_b64 s[18:19], s[18:19], s[12:13]
.LBB1124_1429:
	s_or_b64 exec, exec, s[38:39]
	s_orn2_b64 s[18:19], s[18:19], exec
.LBB1124_1430:
	s_or_b64 exec, exec, s[36:37]
	v_cndmask_b32_e64 v16, v22, v23, s[18:19]
	v_cndmask_b32_e64 v17, v99, v98, s[18:19]
	v_add_u32_e32 v20, 1, v16
	v_add_u32_e32 v16, -1, v17
	v_min_u32_e32 v16, v20, v16
	v_mov_b32_e32 v17, 0
	v_lshl_add_u64 v[18:19], v[16:17], 3, v[66:67]
	flat_load_dwordx2 v[18:19], v[18:19]
	v_cndmask_b32_e64 v82, v20, v22, s[18:19]
	s_mov_b64 s[36:37], -1
	v_cndmask_b32_e64 v83, v23, v20, s[18:19]
	v_cmp_lt_u32_e64 s[12:13], v82, v99
	s_mov_b64 s[38:39], -1
	s_waitcnt vmcnt(0) lgkmcnt(0)
	v_cndmask_b32_e64 v70, v19, v27, s[18:19]
	v_cndmask_b32_e64 v71, v18, v31, s[18:19]
	;; [unrolled: 1-line block ×4, first 2 shown]
	s_and_saveexec_b64 s[40:41], s[12:13]
	s_cbranch_execz .LBB1124_1440
; %bb.1431:
	v_cmp_lt_u32_e64 s[38:39], v83, v98
	s_and_b64 s[12:13], s[38:39], s[26:27]
	s_and_saveexec_b64 s[42:43], s[12:13]
	s_cbranch_execz .LBB1124_1439
; %bb.1432:
	v_mul_lo_u32 v16, v80, v6
	v_mul_lo_u32 v20, v81, v7
	v_mad_u64_u32 v[18:19], s[12:13], v81, v6, 0
	v_add3_u32 v19, v19, v20, v16
	v_mul_lo_u32 v16, v70, v6
	v_mul_lo_u32 v22, v71, v7
	v_mad_u64_u32 v[20:21], s[12:13], v71, v6, 0
	v_add3_u32 v21, v21, v22, v16
	v_lshl_add_u64 v[18:19], v[18:19], 1, v[8:9]
	v_lshl_add_u64 v[20:21], v[20:21], 1, v[8:9]
	s_mov_b64 s[44:45], 0
	v_mov_b64_e32 v[22:23], v[6:7]
                                        ; implicit-def: $sgpr46_sgpr47
                                        ; implicit-def: $sgpr48_sgpr49
                                        ; implicit-def: $sgpr50_sgpr51
	s_branch .LBB1124_1434
.LBB1124_1433:                          ;   in Loop: Header=BB1124_1434 Depth=1
	s_or_b64 exec, exec, s[58:59]
	s_and_b64 s[12:13], exec, s[52:53]
	s_or_b64 s[44:45], s[12:13], s[44:45]
	s_andn2_b64 s[12:13], s[46:47], exec
	s_and_b64 s[46:47], s[48:49], exec
	s_or_b64 s[46:47], s[12:13], s[46:47]
	s_andn2_b64 exec, exec, s[44:45]
	s_cbranch_execz .LBB1124_1438
.LBB1124_1434:                          ; =>This Inner Loop Header: Depth=1
	flat_load_ushort v16, v[20:21]
	flat_load_ushort v84, v[18:19]
	s_mov_b64 s[52:53], -1
	s_mov_b64 s[56:57], 0
	s_mov_b64 s[54:55], -1
	s_waitcnt vmcnt(0) lgkmcnt(0)
	v_lshlrev_b32_e32 v16, 16, v16
	v_lshlrev_b32_e32 v84, 16, v84
	v_cmp_nlt_f32_e64 s[12:13], v16, v84
	s_and_saveexec_b64 s[58:59], s[12:13]
; %bb.1435:                             ;   in Loop: Header=BB1124_1434 Depth=1
	v_cmp_ngt_f32_e64 s[12:13], v16, v84
	s_and_b64 s[50:51], s[12:13], s[50:51]
	s_orn2_b64 s[54:55], s[50:51], exec
	s_and_b64 s[56:57], s[12:13], exec
; %bb.1436:                             ;   in Loop: Header=BB1124_1434 Depth=1
	s_or_b64 exec, exec, s[58:59]
	s_andn2_b64 s[12:13], s[48:49], exec
	s_and_b64 s[48:49], s[54:55], exec
	s_or_b64 s[48:49], s[12:13], s[48:49]
                                        ; implicit-def: $sgpr50_sgpr51
	s_and_saveexec_b64 s[58:59], s[56:57]
	s_cbranch_execz .LBB1124_1433
; %bb.1437:                             ;   in Loop: Header=BB1124_1434 Depth=1
	v_lshl_add_u64 v[22:23], v[22:23], 0, -1
	v_cmp_eq_u64_e64 s[12:13], 0, v[22:23]
	v_lshl_add_u64 v[18:19], v[18:19], 0, 2
	v_lshl_add_u64 v[20:21], v[20:21], 0, 2
	s_and_b64 s[50:51], s[54:55], exec
	s_andn2_b64 s[48:49], s[48:49], exec
	s_orn2_b64 s[52:53], s[12:13], exec
	s_branch .LBB1124_1433
.LBB1124_1438:
	s_or_b64 exec, exec, s[44:45]
	s_xor_b64 s[12:13], s[46:47], -1
	s_andn2_b64 s[38:39], s[38:39], exec
	s_and_b64 s[12:13], s[12:13], exec
	s_or_b64 s[38:39], s[38:39], s[12:13]
.LBB1124_1439:
	s_or_b64 exec, exec, s[42:43]
	s_orn2_b64 s[38:39], s[38:39], exec
.LBB1124_1440:
	s_or_b64 exec, exec, s[40:41]
	v_cndmask_b32_e64 v16, v82, v83, s[38:39]
	v_cndmask_b32_e64 v18, v99, v98, s[38:39]
	v_add_u32_e32 v19, 1, v16
	v_add_u32_e32 v16, -1, v18
	v_min_u32_e32 v16, v19, v16
	v_lshl_add_u64 v[16:17], v[16:17], 3, v[66:67]
	flat_load_dwordx2 v[16:17], v[16:17]
	v_cndmask_b32_e64 v22, v19, v82, s[38:39]
	v_cndmask_b32_e64 v23, v83, v19, s[38:39]
	v_cmp_lt_u32_e64 s[12:13], v22, v99
	s_waitcnt vmcnt(0) lgkmcnt(0)
	v_cndmask_b32_e64 v82, v17, v70, s[38:39]
	v_cndmask_b32_e64 v83, v16, v71, s[38:39]
	;; [unrolled: 1-line block ×4, first 2 shown]
	s_and_saveexec_b64 s[40:41], s[12:13]
	s_cbranch_execz .LBB1124_1450
; %bb.1441:
	v_cmp_lt_u32_e64 s[36:37], v23, v98
	s_and_b64 s[12:13], s[36:37], s[26:27]
	s_and_saveexec_b64 s[42:43], s[12:13]
	s_cbranch_execz .LBB1124_1449
; %bb.1442:
	v_mul_lo_u32 v18, v84, v6
	v_mul_lo_u32 v19, v85, v7
	v_mad_u64_u32 v[16:17], s[12:13], v85, v6, 0
	v_add3_u32 v17, v17, v19, v18
	v_mul_lo_u32 v20, v82, v6
	v_mul_lo_u32 v21, v83, v7
	v_mad_u64_u32 v[18:19], s[12:13], v83, v6, 0
	v_add3_u32 v19, v19, v21, v20
	v_lshl_add_u64 v[16:17], v[16:17], 1, v[8:9]
	v_lshl_add_u64 v[18:19], v[18:19], 1, v[8:9]
	s_mov_b64 s[44:45], 0
	v_mov_b64_e32 v[20:21], v[6:7]
                                        ; implicit-def: $sgpr46_sgpr47
                                        ; implicit-def: $sgpr48_sgpr49
                                        ; implicit-def: $sgpr50_sgpr51
	s_branch .LBB1124_1444
.LBB1124_1443:                          ;   in Loop: Header=BB1124_1444 Depth=1
	s_or_b64 exec, exec, s[58:59]
	s_and_b64 s[12:13], exec, s[52:53]
	s_or_b64 s[44:45], s[12:13], s[44:45]
	s_andn2_b64 s[12:13], s[46:47], exec
	s_and_b64 s[46:47], s[48:49], exec
	s_or_b64 s[46:47], s[12:13], s[46:47]
	s_andn2_b64 exec, exec, s[44:45]
	s_cbranch_execz .LBB1124_1448
.LBB1124_1444:                          ; =>This Inner Loop Header: Depth=1
	flat_load_ushort v86, v[18:19]
	flat_load_ushort v87, v[16:17]
	s_mov_b64 s[52:53], -1
	s_mov_b64 s[56:57], 0
	s_mov_b64 s[54:55], -1
	s_waitcnt vmcnt(0) lgkmcnt(0)
	v_lshlrev_b32_e32 v86, 16, v86
	v_lshlrev_b32_e32 v87, 16, v87
	v_cmp_nlt_f32_e64 s[12:13], v86, v87
	s_and_saveexec_b64 s[58:59], s[12:13]
; %bb.1445:                             ;   in Loop: Header=BB1124_1444 Depth=1
	v_cmp_ngt_f32_e64 s[12:13], v86, v87
	s_and_b64 s[50:51], s[12:13], s[50:51]
	s_orn2_b64 s[54:55], s[50:51], exec
	s_and_b64 s[56:57], s[12:13], exec
; %bb.1446:                             ;   in Loop: Header=BB1124_1444 Depth=1
	s_or_b64 exec, exec, s[58:59]
	s_andn2_b64 s[12:13], s[48:49], exec
	s_and_b64 s[48:49], s[54:55], exec
	s_or_b64 s[48:49], s[12:13], s[48:49]
                                        ; implicit-def: $sgpr50_sgpr51
	s_and_saveexec_b64 s[58:59], s[56:57]
	s_cbranch_execz .LBB1124_1443
; %bb.1447:                             ;   in Loop: Header=BB1124_1444 Depth=1
	v_lshl_add_u64 v[20:21], v[20:21], 0, -1
	v_cmp_eq_u64_e64 s[12:13], 0, v[20:21]
	v_lshl_add_u64 v[16:17], v[16:17], 0, 2
	v_lshl_add_u64 v[18:19], v[18:19], 0, 2
	s_and_b64 s[50:51], s[54:55], exec
	s_andn2_b64 s[48:49], s[48:49], exec
	s_orn2_b64 s[52:53], s[12:13], exec
	s_branch .LBB1124_1443
.LBB1124_1448:
	s_or_b64 exec, exec, s[44:45]
	s_xor_b64 s[12:13], s[46:47], -1
	s_andn2_b64 s[36:37], s[36:37], exec
	s_and_b64 s[12:13], s[12:13], exec
	s_or_b64 s[36:37], s[36:37], s[12:13]
.LBB1124_1449:
	s_or_b64 exec, exec, s[42:43]
	s_orn2_b64 s[36:37], s[36:37], exec
.LBB1124_1450:
	s_or_b64 exec, exec, s[40:41]
	v_cndmask_b32_e64 v16, v22, v23, s[36:37]
	v_cndmask_b32_e64 v17, v99, v98, s[36:37]
	v_add_u32_e32 v20, 1, v16
	v_add_u32_e32 v16, -1, v17
	v_min_u32_e32 v16, v20, v16
	v_mov_b32_e32 v17, 0
	v_lshl_add_u64 v[18:19], v[16:17], 3, v[66:67]
	flat_load_dwordx2 v[18:19], v[18:19]
	v_cndmask_b32_e64 v100, v20, v22, s[36:37]
	s_mov_b64 s[40:41], -1
	v_cndmask_b32_e64 v101, v23, v20, s[36:37]
	v_cmp_lt_u32_e64 s[12:13], v100, v99
	s_mov_b64 s[42:43], -1
	s_waitcnt vmcnt(0) lgkmcnt(0)
	v_cndmask_b32_e64 v86, v19, v82, s[36:37]
	v_cndmask_b32_e64 v87, v18, v83, s[36:37]
	;; [unrolled: 1-line block ×4, first 2 shown]
	s_and_saveexec_b64 s[44:45], s[12:13]
	s_cbranch_execz .LBB1124_1460
; %bb.1451:
	v_cmp_lt_u32_e64 s[42:43], v101, v98
	s_and_b64 s[12:13], s[42:43], s[26:27]
	s_and_saveexec_b64 s[46:47], s[12:13]
	s_cbranch_execz .LBB1124_1459
; %bb.1452:
	v_mul_lo_u32 v16, v96, v6
	v_mul_lo_u32 v20, v97, v7
	v_mad_u64_u32 v[18:19], s[12:13], v97, v6, 0
	v_add3_u32 v19, v19, v20, v16
	v_mul_lo_u32 v16, v86, v6
	v_mul_lo_u32 v22, v87, v7
	v_mad_u64_u32 v[20:21], s[12:13], v87, v6, 0
	v_add3_u32 v21, v21, v22, v16
	v_lshl_add_u64 v[18:19], v[18:19], 1, v[8:9]
	v_lshl_add_u64 v[20:21], v[20:21], 1, v[8:9]
	s_mov_b64 s[48:49], 0
	v_mov_b64_e32 v[22:23], v[6:7]
                                        ; implicit-def: $sgpr50_sgpr51
                                        ; implicit-def: $sgpr52_sgpr53
                                        ; implicit-def: $sgpr54_sgpr55
	s_branch .LBB1124_1454
.LBB1124_1453:                          ;   in Loop: Header=BB1124_1454 Depth=1
	s_or_b64 exec, exec, s[62:63]
	s_and_b64 s[12:13], exec, s[56:57]
	s_or_b64 s[48:49], s[12:13], s[48:49]
	s_andn2_b64 s[12:13], s[50:51], exec
	s_and_b64 s[50:51], s[52:53], exec
	s_or_b64 s[50:51], s[12:13], s[50:51]
	s_andn2_b64 exec, exec, s[48:49]
	s_cbranch_execz .LBB1124_1458
.LBB1124_1454:                          ; =>This Inner Loop Header: Depth=1
	flat_load_ushort v16, v[20:21]
	flat_load_ushort v102, v[18:19]
	s_mov_b64 s[56:57], -1
	s_mov_b64 s[60:61], 0
	s_mov_b64 s[58:59], -1
	s_waitcnt vmcnt(0) lgkmcnt(0)
	v_lshlrev_b32_e32 v16, 16, v16
	v_lshlrev_b32_e32 v102, 16, v102
	v_cmp_nlt_f32_e64 s[12:13], v16, v102
	s_and_saveexec_b64 s[62:63], s[12:13]
; %bb.1455:                             ;   in Loop: Header=BB1124_1454 Depth=1
	v_cmp_ngt_f32_e64 s[12:13], v16, v102
	s_and_b64 s[54:55], s[12:13], s[54:55]
	s_orn2_b64 s[58:59], s[54:55], exec
	s_and_b64 s[60:61], s[12:13], exec
; %bb.1456:                             ;   in Loop: Header=BB1124_1454 Depth=1
	s_or_b64 exec, exec, s[62:63]
	s_andn2_b64 s[12:13], s[52:53], exec
	s_and_b64 s[52:53], s[58:59], exec
	s_or_b64 s[52:53], s[12:13], s[52:53]
                                        ; implicit-def: $sgpr54_sgpr55
	s_and_saveexec_b64 s[62:63], s[60:61]
	s_cbranch_execz .LBB1124_1453
; %bb.1457:                             ;   in Loop: Header=BB1124_1454 Depth=1
	v_lshl_add_u64 v[22:23], v[22:23], 0, -1
	v_cmp_eq_u64_e64 s[12:13], 0, v[22:23]
	v_lshl_add_u64 v[18:19], v[18:19], 0, 2
	v_lshl_add_u64 v[20:21], v[20:21], 0, 2
	s_and_b64 s[54:55], s[58:59], exec
	s_andn2_b64 s[52:53], s[52:53], exec
	s_orn2_b64 s[56:57], s[12:13], exec
	s_branch .LBB1124_1453
.LBB1124_1458:
	s_or_b64 exec, exec, s[48:49]
	s_xor_b64 s[12:13], s[50:51], -1
	s_andn2_b64 s[42:43], s[42:43], exec
	s_and_b64 s[12:13], s[12:13], exec
	s_or_b64 s[42:43], s[42:43], s[12:13]
.LBB1124_1459:
	s_or_b64 exec, exec, s[46:47]
	s_orn2_b64 s[42:43], s[42:43], exec
.LBB1124_1460:
	s_or_b64 exec, exec, s[44:45]
	v_cndmask_b32_e64 v16, v100, v101, s[42:43]
	v_cndmask_b32_e64 v18, v99, v98, s[42:43]
	v_add_u32_e32 v19, 1, v16
	v_add_u32_e32 v16, -1, v18
	v_min_u32_e32 v16, v19, v16
	v_lshl_add_u64 v[16:17], v[16:17], 3, v[66:67]
	flat_load_dwordx2 v[16:17], v[16:17]
	v_cndmask_b32_e64 v103, v19, v100, s[42:43]
	v_cndmask_b32_e64 v100, v101, v19, s[42:43]
	v_cmp_lt_u32_e64 s[12:13], v103, v99
	s_waitcnt vmcnt(0) lgkmcnt(0)
	v_cndmask_b32_e64 v101, v17, v86, s[42:43]
	v_cndmask_b32_e64 v102, v16, v87, s[42:43]
	;; [unrolled: 1-line block ×4, first 2 shown]
	s_and_saveexec_b64 s[44:45], s[12:13]
	s_cbranch_execz .LBB1124_1470
; %bb.1461:
	v_cmp_lt_u32_e64 s[40:41], v100, v98
	s_and_b64 s[12:13], s[40:41], s[26:27]
	s_and_saveexec_b64 s[46:47], s[12:13]
	s_cbranch_execz .LBB1124_1469
; %bb.1462:
	v_mul_lo_u32 v18, v112, v6
	v_mul_lo_u32 v19, v113, v7
	v_mad_u64_u32 v[16:17], s[12:13], v113, v6, 0
	v_add3_u32 v17, v17, v19, v18
	v_mul_lo_u32 v20, v101, v6
	v_mul_lo_u32 v21, v102, v7
	v_mad_u64_u32 v[18:19], s[12:13], v102, v6, 0
	v_add3_u32 v19, v19, v21, v20
	v_lshl_add_u64 v[16:17], v[16:17], 1, v[8:9]
	v_lshl_add_u64 v[18:19], v[18:19], 1, v[8:9]
	s_mov_b64 s[48:49], 0
	v_mov_b64_e32 v[20:21], v[6:7]
                                        ; implicit-def: $sgpr50_sgpr51
                                        ; implicit-def: $sgpr52_sgpr53
                                        ; implicit-def: $sgpr54_sgpr55
	s_branch .LBB1124_1464
.LBB1124_1463:                          ;   in Loop: Header=BB1124_1464 Depth=1
	s_or_b64 exec, exec, s[62:63]
	s_and_b64 s[12:13], exec, s[56:57]
	s_or_b64 s[48:49], s[12:13], s[48:49]
	s_andn2_b64 s[12:13], s[50:51], exec
	s_and_b64 s[50:51], s[52:53], exec
	s_or_b64 s[50:51], s[12:13], s[50:51]
	s_andn2_b64 exec, exec, s[48:49]
	s_cbranch_execz .LBB1124_1468
.LBB1124_1464:                          ; =>This Inner Loop Header: Depth=1
	flat_load_ushort v22, v[18:19]
	flat_load_ushort v23, v[16:17]
	s_mov_b64 s[56:57], -1
	s_mov_b64 s[60:61], 0
	s_mov_b64 s[58:59], -1
	s_waitcnt vmcnt(0) lgkmcnt(0)
	v_lshlrev_b32_e32 v22, 16, v22
	v_lshlrev_b32_e32 v23, 16, v23
	v_cmp_nlt_f32_e64 s[12:13], v22, v23
	s_and_saveexec_b64 s[62:63], s[12:13]
; %bb.1465:                             ;   in Loop: Header=BB1124_1464 Depth=1
	v_cmp_ngt_f32_e64 s[12:13], v22, v23
	s_and_b64 s[54:55], s[12:13], s[54:55]
	s_orn2_b64 s[58:59], s[54:55], exec
	s_and_b64 s[60:61], s[12:13], exec
; %bb.1466:                             ;   in Loop: Header=BB1124_1464 Depth=1
	s_or_b64 exec, exec, s[62:63]
	s_andn2_b64 s[12:13], s[52:53], exec
	s_and_b64 s[52:53], s[58:59], exec
	s_or_b64 s[52:53], s[12:13], s[52:53]
                                        ; implicit-def: $sgpr54_sgpr55
	s_and_saveexec_b64 s[62:63], s[60:61]
	s_cbranch_execz .LBB1124_1463
; %bb.1467:                             ;   in Loop: Header=BB1124_1464 Depth=1
	v_lshl_add_u64 v[20:21], v[20:21], 0, -1
	v_cmp_eq_u64_e64 s[12:13], 0, v[20:21]
	v_lshl_add_u64 v[16:17], v[16:17], 0, 2
	v_lshl_add_u64 v[18:19], v[18:19], 0, 2
	s_and_b64 s[54:55], s[58:59], exec
	s_andn2_b64 s[52:53], s[52:53], exec
	s_orn2_b64 s[56:57], s[12:13], exec
	s_branch .LBB1124_1463
.LBB1124_1468:
	s_or_b64 exec, exec, s[48:49]
	s_xor_b64 s[12:13], s[50:51], -1
	s_andn2_b64 s[40:41], s[40:41], exec
	s_and_b64 s[12:13], s[12:13], exec
	s_or_b64 s[40:41], s[40:41], s[12:13]
.LBB1124_1469:
	s_or_b64 exec, exec, s[46:47]
	s_orn2_b64 s[40:41], s[40:41], exec
.LBB1124_1470:
	s_or_b64 exec, exec, s[44:45]
	v_cndmask_b32_e64 v16, v103, v100, s[40:41]
	v_cndmask_b32_e64 v17, v99, v98, s[40:41]
	v_add_u32_e32 v114, 1, v16
	v_add_u32_e32 v16, -1, v17
	v_min_u32_e32 v16, v114, v16
	v_mov_b32_e32 v17, 0
	v_lshl_add_u64 v[16:17], v[16:17], 3, v[66:67]
	flat_load_dwordx2 v[66:67], v[16:17]
	v_cndmask_b32_e64 v21, v27, v68, s[18:19]
	v_cndmask_b32_e64 v27, v1, v25, s[34:35]
	;; [unrolled: 1-line block ×15, first 2 shown]
	v_cmp_lt_u32_e64 s[12:13], v1, v99
	s_waitcnt vmcnt(0) lgkmcnt(0)
	v_cndmask_b32_e64 v15, v112, v67, s[40:41]
	v_cndmask_b32_e64 v14, v113, v66, s[40:41]
	s_and_saveexec_b64 s[18:19], s[12:13]
	s_cbranch_execz .LBB1124_1480
; %bb.1471:
	v_cndmask_b32_e64 v31, v66, v102, s[40:41]
	v_cndmask_b32_e64 v66, v100, v114, s[40:41]
	v_cmp_ge_u32_e64 s[12:13], v66, v98
	v_cndmask_b32_e64 v1, v67, v101, s[40:41]
	s_or_b64 s[30:31], s[12:13], s[8:9]
	v_cndmask_b32_e64 v67, v15, v1, s[12:13]
	s_xor_b64 s[34:35], s[30:31], -1
	v_cndmask_b32_e64 v66, v14, v31, s[12:13]
	s_and_saveexec_b64 s[30:31], s[34:35]
	s_cbranch_execz .LBB1124_1479
; %bb.1472:
	v_mul_lo_u32 v68, v15, v6
	v_mul_lo_u32 v69, v14, v7
	v_mad_u64_u32 v[66:67], s[12:13], v14, v6, 0
	v_add3_u32 v67, v67, v69, v68
	v_mul_lo_u32 v70, v1, v6
	v_mul_lo_u32 v71, v31, v7
	v_mad_u64_u32 v[68:69], s[12:13], v31, v6, 0
	v_add3_u32 v69, v69, v71, v70
	v_lshl_add_u64 v[66:67], v[66:67], 1, v[8:9]
	v_lshl_add_u64 v[68:69], v[68:69], 1, v[8:9]
	s_mov_b64 s[34:35], 0
	v_mov_b64_e32 v[70:71], v[6:7]
                                        ; implicit-def: $sgpr36_sgpr37
                                        ; implicit-def: $sgpr38_sgpr39
                                        ; implicit-def: $sgpr40_sgpr41
	s_branch .LBB1124_1474
.LBB1124_1473:                          ;   in Loop: Header=BB1124_1474 Depth=1
	s_or_b64 exec, exec, s[48:49]
	s_and_b64 s[12:13], exec, s[42:43]
	s_or_b64 s[34:35], s[12:13], s[34:35]
	s_andn2_b64 s[12:13], s[36:37], exec
	s_and_b64 s[36:37], s[38:39], exec
	s_or_b64 s[36:37], s[12:13], s[36:37]
	s_andn2_b64 exec, exec, s[34:35]
	s_cbranch_execz .LBB1124_1478
.LBB1124_1474:                          ; =>This Inner Loop Header: Depth=1
	flat_load_ushort v80, v[68:69]
	flat_load_ushort v81, v[66:67]
	s_mov_b64 s[42:43], -1
	s_mov_b64 s[46:47], 0
	s_mov_b64 s[44:45], -1
	s_waitcnt vmcnt(0) lgkmcnt(0)
	v_lshlrev_b32_e32 v80, 16, v80
	v_lshlrev_b32_e32 v81, 16, v81
	v_cmp_nlt_f32_e64 s[12:13], v80, v81
	s_and_saveexec_b64 s[48:49], s[12:13]
; %bb.1475:                             ;   in Loop: Header=BB1124_1474 Depth=1
	v_cmp_ngt_f32_e64 s[12:13], v80, v81
	s_and_b64 s[40:41], s[12:13], s[40:41]
	s_orn2_b64 s[44:45], s[40:41], exec
	s_and_b64 s[46:47], s[12:13], exec
; %bb.1476:                             ;   in Loop: Header=BB1124_1474 Depth=1
	s_or_b64 exec, exec, s[48:49]
	s_andn2_b64 s[12:13], s[38:39], exec
	s_and_b64 s[38:39], s[44:45], exec
	s_or_b64 s[38:39], s[12:13], s[38:39]
                                        ; implicit-def: $sgpr40_sgpr41
	s_and_saveexec_b64 s[48:49], s[46:47]
	s_cbranch_execz .LBB1124_1473
; %bb.1477:                             ;   in Loop: Header=BB1124_1474 Depth=1
	v_lshl_add_u64 v[70:71], v[70:71], 0, -1
	v_cmp_eq_u64_e64 s[12:13], 0, v[70:71]
	v_lshl_add_u64 v[66:67], v[66:67], 0, 2
	v_lshl_add_u64 v[68:69], v[68:69], 0, 2
	s_and_b64 s[40:41], s[44:45], exec
	s_andn2_b64 s[38:39], s[38:39], exec
	s_orn2_b64 s[42:43], s[12:13], exec
	s_branch .LBB1124_1473
.LBB1124_1478:
	s_or_b64 exec, exec, s[34:35]
	v_cndmask_b32_e64 v67, v15, v1, s[36:37]
	v_cndmask_b32_e64 v66, v14, v31, s[36:37]
.LBB1124_1479:
	s_or_b64 exec, exec, s[30:31]
	v_mov_b64_e32 v[14:15], v[66:67]
.LBB1124_1480:
	s_or_b64 exec, exec, s[18:19]
.LBB1124_1481:
	s_or_b64 exec, exec, s[28:29]
	s_movk_i32 s68, 0x80
	v_cmp_lt_u32_e64 s[12:13], s68, v0
	; wave barrier
	s_waitcnt lgkmcnt(0)
	s_barrier
	s_and_saveexec_b64 s[28:29], s[12:13]
	s_cbranch_execz .LBB1124_1585
; %bb.1482:
	v_lshlrev_b32_e32 v66, 3, v30
	v_mov_b32_e32 v67, 0
	v_lshl_add_u64 v[68:69], v[10:11], 0, v[66:67]
	s_mov_b64 s[30:31], 0
	s_branch .LBB1124_1487
.LBB1124_1483:                          ;   in Loop: Header=BB1124_1487 Depth=1
	s_or_b64 exec, exec, s[52:53]
	v_cndmask_b32_e64 v17, v15, v1, s[54:55]
	v_cndmask_b32_e64 v16, v14, v66, s[54:55]
.LBB1124_1484:                          ;   in Loop: Header=BB1124_1487 Depth=1
	s_or_b64 exec, exec, s[50:51]
	v_mov_b64_e32 v[14:15], v[16:17]
.LBB1124_1485:                          ;   in Loop: Header=BB1124_1487 Depth=1
	s_or_b64 exec, exec, s[48:49]
	v_cndmask_b32_e64 v19, v98, v100, s[46:47]
	v_cndmask_b32_e64 v18, v99, v101, s[46:47]
	;; [unrolled: 1-line block ×14, first 2 shown]
.LBB1124_1486:                          ;   in Loop: Header=BB1124_1487 Depth=1
	s_or_b64 exec, exec, s[34:35]
	v_cmp_ge_u32_e64 s[12:13], s68, v0
	s_or_b64 s[30:31], s[12:13], s[30:31]
	s_barrier
	s_andn2_b64 exec, exec, s[30:31]
	s_cbranch_execz .LBB1124_1584
.LBB1124_1487:                          ; =>This Loop Header: Depth=1
                                        ;     Child Loop BB1124_1491 Depth 2
                                        ;       Child Loop BB1124_1494 Depth 3
                                        ;     Child Loop BB1124_1508 Depth 2
                                        ;     Child Loop BB1124_1519 Depth 2
	;; [unrolled: 1-line block ×8, first 2 shown]
	s_mov_b32 s12, s68
	s_lshl_b32 s68, s68, 1
	s_sub_i32 s18, 0, s68
	v_and_b32_e32 v31, s18, v30
	v_add_u32_e32 v1, s12, v31
	v_min_u32_e32 v70, v1, v0
	s_add_i32 s13, s68, -1
	v_add_u32_e32 v1, s12, v70
	v_min_u32_e32 v1, v1, v0
	v_and_b32_e32 v66, s13, v30
	v_min_u32_e32 v100, v66, v0
	v_sub_u32_e32 v66, v70, v31
	v_sub_u32_e32 v71, v1, v70
	v_sub_u32_e64 v101, v100, v71 clamp
	v_min_u32_e32 v102, v100, v66
	v_cmp_lt_u32_e64 s[12:13], v101, v102
	flat_store_dwordx4 v[68:69], v[24:27]
	flat_store_dwordx4 v[68:69], v[20:23] offset:16
	flat_store_dwordx4 v[68:69], v[16:19] offset:32
	;; [unrolled: 1-line block ×3, first 2 shown]
	s_waitcnt lgkmcnt(0)
	s_barrier
	s_and_saveexec_b64 s[18:19], s[12:13]
	s_cbranch_execz .LBB1124_1499
; %bb.1488:                             ;   in Loop: Header=BB1124_1487 Depth=1
	v_lshlrev_b32_e32 v66, 3, v31
	v_mov_b32_e32 v71, v67
	v_lshl_add_u64 v[80:81], v[10:11], 0, v[66:67]
	v_lshl_add_u64 v[82:83], v[70:71], 3, v[10:11]
	s_mov_b64 s[34:35], 0
	s_branch .LBB1124_1491
.LBB1124_1489:                          ;   in Loop: Header=BB1124_1491 Depth=2
	s_or_b64 exec, exec, s[38:39]
	s_and_b64 s[12:13], s[40:41], exec
.LBB1124_1490:                          ;   in Loop: Header=BB1124_1491 Depth=2
	s_or_b64 exec, exec, s[36:37]
	v_add_u32_e32 v66, 1, v84
	v_cndmask_b32_e64 v102, v102, v84, s[12:13]
	v_cndmask_b32_e64 v101, v66, v101, s[12:13]
	v_cmp_ge_u32_e64 s[12:13], v101, v102
	s_or_b64 s[34:35], s[12:13], s[34:35]
	s_andn2_b64 exec, exec, s[34:35]
	s_cbranch_execz .LBB1124_1498
.LBB1124_1491:                          ;   Parent Loop BB1124_1487 Depth=1
                                        ; =>  This Loop Header: Depth=2
                                        ;       Child Loop BB1124_1494 Depth 3
	v_add_u32_e32 v66, v102, v101
	v_lshrrev_b32_e32 v84, 1, v66
	s_mov_b64 s[12:13], 0
	s_and_saveexec_b64 s[36:37], s[16:17]
	s_cbranch_execz .LBB1124_1490
; %bb.1492:                             ;   in Loop: Header=BB1124_1491 Depth=2
	v_mov_b32_e32 v85, v67
	v_xad_u32 v66, v84, -1, v100
	v_lshl_add_u64 v[86:87], v[84:85], 3, v[80:81]
	v_lshl_add_u64 v[96:97], v[66:67], 3, v[82:83]
	flat_load_dwordx2 v[86:87], v[86:87]
	s_mov_b64 s[38:39], 0
	flat_load_dwordx2 v[96:97], v[96:97]
                                        ; implicit-def: $sgpr40_sgpr41
                                        ; implicit-def: $sgpr42_sgpr43
                                        ; implicit-def: $sgpr44_sgpr45
	s_waitcnt vmcnt(0) lgkmcnt(0)
	v_mul_lo_u32 v66, v64, v87
	v_mul_lo_u32 v71, v65, v86
	v_mad_u64_u32 v[86:87], s[12:13], v64, v86, v[8:9]
	v_mul_lo_u32 v85, v64, v97
	v_mul_lo_u32 v98, v65, v96
	v_mad_u64_u32 v[96:97], s[12:13], v64, v96, v[8:9]
	v_add3_u32 v87, v71, v87, v66
	v_add3_u32 v97, v98, v97, v85
	v_mov_b64_e32 v[98:99], v[6:7]
	s_branch .LBB1124_1494
.LBB1124_1493:                          ;   in Loop: Header=BB1124_1494 Depth=3
	s_or_b64 exec, exec, s[52:53]
	s_and_b64 s[12:13], exec, s[46:47]
	s_or_b64 s[38:39], s[12:13], s[38:39]
	s_andn2_b64 s[12:13], s[40:41], exec
	s_and_b64 s[40:41], s[42:43], exec
	s_or_b64 s[40:41], s[12:13], s[40:41]
	s_andn2_b64 exec, exec, s[38:39]
	s_cbranch_execz .LBB1124_1489
.LBB1124_1494:                          ;   Parent Loop BB1124_1487 Depth=1
                                        ;     Parent Loop BB1124_1491 Depth=2
                                        ; =>    This Inner Loop Header: Depth=3
	flat_load_ushort v66, v[96:97]
	flat_load_ushort v71, v[86:87]
	s_mov_b64 s[46:47], -1
	s_mov_b64 s[50:51], 0
	s_mov_b64 s[48:49], -1
	s_waitcnt vmcnt(0) lgkmcnt(0)
	v_lshlrev_b32_e32 v66, 16, v66
	v_lshlrev_b32_e32 v71, 16, v71
	v_cmp_nlt_f32_e64 s[12:13], v66, v71
	s_and_saveexec_b64 s[52:53], s[12:13]
; %bb.1495:                             ;   in Loop: Header=BB1124_1494 Depth=3
	v_cmp_ngt_f32_e64 s[12:13], v66, v71
	s_and_b64 s[44:45], s[12:13], s[44:45]
	s_orn2_b64 s[48:49], s[44:45], exec
	s_and_b64 s[50:51], s[12:13], exec
; %bb.1496:                             ;   in Loop: Header=BB1124_1494 Depth=3
	s_or_b64 exec, exec, s[52:53]
	s_andn2_b64 s[12:13], s[42:43], exec
	s_and_b64 s[42:43], s[48:49], exec
	s_or_b64 s[42:43], s[12:13], s[42:43]
                                        ; implicit-def: $sgpr44_sgpr45
	s_and_saveexec_b64 s[52:53], s[50:51]
	s_cbranch_execz .LBB1124_1493
; %bb.1497:                             ;   in Loop: Header=BB1124_1494 Depth=3
	v_lshl_add_u64 v[98:99], v[98:99], 0, -1
	v_cmp_eq_u64_e64 s[12:13], 0, v[98:99]
	v_lshl_add_u64 v[86:87], v[86:87], 0, 2
	v_lshl_add_u64 v[96:97], v[96:97], 0, 2
	s_andn2_b64 s[42:43], s[42:43], exec
	s_and_b64 s[44:45], s[48:49], exec
	s_orn2_b64 s[46:47], s[12:13], exec
	s_branch .LBB1124_1493
.LBB1124_1498:                          ;   in Loop: Header=BB1124_1487 Depth=1
	s_or_b64 exec, exec, s[34:35]
.LBB1124_1499:                          ;   in Loop: Header=BB1124_1487 Depth=1
	s_or_b64 exec, exec, s[18:19]
	v_sub_u32_e32 v66, v100, v101
	v_add_u32_e32 v80, v101, v31
	v_add_u32_e32 v82, v66, v70
	v_cmp_le_u32_e64 s[12:13], v80, v70
	v_cmp_le_u32_e64 s[18:19], v82, v1
	s_or_b64 s[12:13], s[12:13], s[18:19]
	s_and_saveexec_b64 s[34:35], s[12:13]
	s_cbranch_execz .LBB1124_1486
; %bb.1500:                             ;   in Loop: Header=BB1124_1487 Depth=1
	v_cmp_ge_u32_e64 s[18:19], v80, v70
	v_cmp_lt_u32_e64 s[12:13], v80, v70
                                        ; implicit-def: $vgpr12_vgpr13
	s_and_saveexec_b64 s[36:37], s[12:13]
	s_cbranch_execz .LBB1124_1502
; %bb.1501:                             ;   in Loop: Header=BB1124_1487 Depth=1
	v_mov_b32_e32 v81, v67
	v_lshl_add_u64 v[12:13], v[80:81], 3, v[10:11]
	flat_load_dwordx2 v[12:13], v[12:13]
.LBB1124_1502:                          ;   in Loop: Header=BB1124_1487 Depth=1
	s_or_b64 exec, exec, s[36:37]
	v_cmp_ge_u32_e64 s[36:37], v82, v1
	v_cmp_lt_u32_e64 s[12:13], v82, v1
                                        ; implicit-def: $vgpr24_vgpr25
	s_and_saveexec_b64 s[38:39], s[12:13]
	s_cbranch_execz .LBB1124_1504
; %bb.1503:                             ;   in Loop: Header=BB1124_1487 Depth=1
	v_mov_b32_e32 v83, v67
	v_lshl_add_u64 v[14:15], v[82:83], 3, v[10:11]
	flat_load_dwordx2 v[24:25], v[14:15]
.LBB1124_1504:                          ;   in Loop: Header=BB1124_1487 Depth=1
	s_or_b64 exec, exec, s[38:39]
	s_or_b64 s[12:13], s[18:19], s[36:37]
	s_xor_b64 s[12:13], s[12:13], -1
	s_and_saveexec_b64 s[18:19], s[12:13]
	s_cbranch_execz .LBB1124_1514
; %bb.1505:                             ;   in Loop: Header=BB1124_1487 Depth=1
	s_mov_b64 s[12:13], 0
	s_and_saveexec_b64 s[38:39], s[16:17]
	s_cbranch_execz .LBB1124_1513
; %bb.1506:                             ;   in Loop: Header=BB1124_1487 Depth=1
	s_waitcnt vmcnt(0) lgkmcnt(0)
	v_mad_u64_u32 v[14:15], s[12:13], v64, v12, v[8:9]
	v_mul_lo_u32 v16, v64, v13
	v_mul_lo_u32 v17, v65, v12
	v_add3_u32 v15, v17, v15, v16
	v_mad_u64_u32 v[16:17], s[12:13], v64, v24, v[8:9]
	v_mul_lo_u32 v18, v64, v25
	v_mul_lo_u32 v19, v65, v24
	v_add3_u32 v17, v19, v17, v18
	s_mov_b64 s[40:41], 0
	v_mov_b64_e32 v[18:19], v[6:7]
                                        ; implicit-def: $sgpr42_sgpr43
                                        ; implicit-def: $sgpr44_sgpr45
                                        ; implicit-def: $sgpr46_sgpr47
	s_branch .LBB1124_1508
.LBB1124_1507:                          ;   in Loop: Header=BB1124_1508 Depth=2
	s_or_b64 exec, exec, s[54:55]
	s_and_b64 s[12:13], exec, s[48:49]
	s_or_b64 s[40:41], s[12:13], s[40:41]
	s_andn2_b64 s[12:13], s[42:43], exec
	s_and_b64 s[42:43], s[44:45], exec
	s_or_b64 s[42:43], s[12:13], s[42:43]
	s_andn2_b64 exec, exec, s[40:41]
	s_cbranch_execz .LBB1124_1512
.LBB1124_1508:                          ;   Parent Loop BB1124_1487 Depth=1
                                        ; =>  This Inner Loop Header: Depth=2
	flat_load_ushort v20, v[16:17]
	flat_load_ushort v21, v[14:15]
	s_mov_b64 s[48:49], -1
	s_mov_b64 s[52:53], 0
	s_mov_b64 s[50:51], -1
	s_waitcnt vmcnt(0) lgkmcnt(0)
	v_lshlrev_b32_e32 v20, 16, v20
	v_lshlrev_b32_e32 v21, 16, v21
	v_cmp_nlt_f32_e64 s[12:13], v20, v21
	s_and_saveexec_b64 s[54:55], s[12:13]
; %bb.1509:                             ;   in Loop: Header=BB1124_1508 Depth=2
	v_cmp_ngt_f32_e64 s[12:13], v20, v21
	s_and_b64 s[46:47], s[12:13], s[46:47]
	s_orn2_b64 s[50:51], s[46:47], exec
	s_and_b64 s[52:53], s[12:13], exec
; %bb.1510:                             ;   in Loop: Header=BB1124_1508 Depth=2
	s_or_b64 exec, exec, s[54:55]
	s_andn2_b64 s[12:13], s[44:45], exec
	s_and_b64 s[44:45], s[50:51], exec
	s_or_b64 s[44:45], s[12:13], s[44:45]
                                        ; implicit-def: $sgpr46_sgpr47
	s_and_saveexec_b64 s[54:55], s[52:53]
	s_cbranch_execz .LBB1124_1507
; %bb.1511:                             ;   in Loop: Header=BB1124_1508 Depth=2
	v_lshl_add_u64 v[18:19], v[18:19], 0, -1
	v_cmp_eq_u64_e64 s[12:13], 0, v[18:19]
	v_lshl_add_u64 v[14:15], v[14:15], 0, 2
	v_lshl_add_u64 v[16:17], v[16:17], 0, 2
	s_andn2_b64 s[44:45], s[44:45], exec
	s_and_b64 s[46:47], s[50:51], exec
	s_orn2_b64 s[48:49], s[12:13], exec
	s_branch .LBB1124_1507
.LBB1124_1512:                          ;   in Loop: Header=BB1124_1487 Depth=1
	s_or_b64 exec, exec, s[40:41]
	s_and_b64 s[12:13], s[42:43], exec
.LBB1124_1513:                          ;   in Loop: Header=BB1124_1487 Depth=1
	s_or_b64 exec, exec, s[38:39]
	s_xor_b64 s[12:13], s[12:13], -1
	s_andn2_b64 s[36:37], s[36:37], exec
	s_and_b64 s[12:13], s[12:13], exec
	s_or_b64 s[36:37], s[36:37], s[12:13]
.LBB1124_1514:                          ;   in Loop: Header=BB1124_1487 Depth=1
	s_or_b64 exec, exec, s[18:19]
	v_cndmask_b32_e64 v14, v82, v80, s[36:37]
	v_cndmask_b32_e64 v15, v1, v70, s[36:37]
	v_add_u32_e32 v16, 1, v14
	v_add_u32_e32 v14, -1, v15
	v_min_u32_e32 v66, v16, v14
	v_lshl_add_u64 v[14:15], v[66:67], 3, v[10:11]
	flat_load_dwordx2 v[14:15], v[14:15]
	v_cndmask_b32_e64 v20, v16, v82, s[36:37]
	s_mov_b64 s[18:19], -1
	v_cndmask_b32_e64 v21, v80, v16, s[36:37]
	v_cmp_lt_u32_e64 s[12:13], v20, v1
	s_mov_b64 s[38:39], -1
	s_waitcnt vmcnt(0) lgkmcnt(0)
	v_cndmask_b32_e64 v26, v15, v25, s[36:37]
	v_cndmask_b32_e64 v31, v14, v24, s[36:37]
	;; [unrolled: 1-line block ×4, first 2 shown]
	s_and_saveexec_b64 s[40:41], s[12:13]
	s_cbranch_execz .LBB1124_1526
; %bb.1515:                             ;   in Loop: Header=BB1124_1487 Depth=1
	v_cmp_lt_u32_e64 s[12:13], v21, v70
	s_mov_b64 s[42:43], 0
	s_and_saveexec_b64 s[38:39], s[12:13]
	s_cbranch_execz .LBB1124_1525
; %bb.1516:                             ;   in Loop: Header=BB1124_1487 Depth=1
	s_mov_b64 s[12:13], 0
	s_and_saveexec_b64 s[42:43], s[16:17]
	s_cbranch_execz .LBB1124_1524
; %bb.1517:                             ;   in Loop: Header=BB1124_1487 Depth=1
	v_mad_u64_u32 v[14:15], s[12:13], v64, v71, v[8:9]
	v_mul_lo_u32 v16, v64, v27
	v_mul_lo_u32 v17, v65, v71
	v_add3_u32 v15, v17, v15, v16
	v_mad_u64_u32 v[16:17], s[12:13], v64, v31, v[8:9]
	v_mul_lo_u32 v18, v64, v26
	v_mul_lo_u32 v19, v65, v31
	v_add3_u32 v17, v19, v17, v18
	s_mov_b64 s[44:45], 0
	v_mov_b64_e32 v[18:19], v[6:7]
                                        ; implicit-def: $sgpr46_sgpr47
                                        ; implicit-def: $sgpr48_sgpr49
                                        ; implicit-def: $sgpr50_sgpr51
	s_branch .LBB1124_1519
.LBB1124_1518:                          ;   in Loop: Header=BB1124_1519 Depth=2
	s_or_b64 exec, exec, s[58:59]
	s_and_b64 s[12:13], exec, s[52:53]
	s_or_b64 s[44:45], s[12:13], s[44:45]
	s_andn2_b64 s[12:13], s[46:47], exec
	s_and_b64 s[46:47], s[48:49], exec
	s_or_b64 s[46:47], s[12:13], s[46:47]
	s_andn2_b64 exec, exec, s[44:45]
	s_cbranch_execz .LBB1124_1523
.LBB1124_1519:                          ;   Parent Loop BB1124_1487 Depth=1
                                        ; =>  This Inner Loop Header: Depth=2
	flat_load_ushort v22, v[16:17]
	flat_load_ushort v23, v[14:15]
	s_mov_b64 s[52:53], -1
	s_mov_b64 s[56:57], 0
	s_mov_b64 s[54:55], -1
	s_waitcnt vmcnt(0) lgkmcnt(0)
	v_lshlrev_b32_e32 v22, 16, v22
	v_lshlrev_b32_e32 v23, 16, v23
	v_cmp_nlt_f32_e64 s[12:13], v22, v23
	s_and_saveexec_b64 s[58:59], s[12:13]
; %bb.1520:                             ;   in Loop: Header=BB1124_1519 Depth=2
	v_cmp_ngt_f32_e64 s[12:13], v22, v23
	s_and_b64 s[50:51], s[12:13], s[50:51]
	s_orn2_b64 s[54:55], s[50:51], exec
	s_and_b64 s[56:57], s[12:13], exec
; %bb.1521:                             ;   in Loop: Header=BB1124_1519 Depth=2
	s_or_b64 exec, exec, s[58:59]
	s_andn2_b64 s[12:13], s[48:49], exec
	s_and_b64 s[48:49], s[54:55], exec
	s_or_b64 s[48:49], s[12:13], s[48:49]
                                        ; implicit-def: $sgpr50_sgpr51
	s_and_saveexec_b64 s[58:59], s[56:57]
	s_cbranch_execz .LBB1124_1518
; %bb.1522:                             ;   in Loop: Header=BB1124_1519 Depth=2
	v_lshl_add_u64 v[18:19], v[18:19], 0, -1
	v_cmp_eq_u64_e64 s[12:13], 0, v[18:19]
	v_lshl_add_u64 v[14:15], v[14:15], 0, 2
	v_lshl_add_u64 v[16:17], v[16:17], 0, 2
	s_andn2_b64 s[48:49], s[48:49], exec
	s_and_b64 s[50:51], s[54:55], exec
	s_orn2_b64 s[52:53], s[12:13], exec
	s_branch .LBB1124_1518
.LBB1124_1523:                          ;   in Loop: Header=BB1124_1487 Depth=1
	s_or_b64 exec, exec, s[44:45]
	s_and_b64 s[12:13], s[46:47], exec
.LBB1124_1524:                          ;   in Loop: Header=BB1124_1487 Depth=1
	s_or_b64 exec, exec, s[42:43]
	s_xor_b64 s[12:13], s[12:13], -1
	s_and_b64 s[42:43], s[12:13], exec
.LBB1124_1525:                          ;   in Loop: Header=BB1124_1487 Depth=1
	s_or_b64 exec, exec, s[38:39]
	s_orn2_b64 s[38:39], s[42:43], exec
.LBB1124_1526:                          ;   in Loop: Header=BB1124_1487 Depth=1
	s_or_b64 exec, exec, s[40:41]
	v_cndmask_b32_e64 v14, v20, v21, s[38:39]
	v_cndmask_b32_e64 v15, v1, v70, s[38:39]
	v_add_u32_e32 v16, 1, v14
	v_add_u32_e32 v14, -1, v15
	v_min_u32_e32 v66, v16, v14
	v_lshl_add_u64 v[14:15], v[66:67], 3, v[10:11]
	flat_load_dwordx2 v[14:15], v[14:15]
	v_cndmask_b32_e64 v20, v16, v20, s[38:39]
	v_cndmask_b32_e64 v21, v21, v16, s[38:39]
	v_cmp_lt_u32_e64 s[12:13], v20, v1
	s_waitcnt vmcnt(0) lgkmcnt(0)
	v_cndmask_b32_e64 v80, v15, v26, s[38:39]
	v_cndmask_b32_e64 v81, v14, v31, s[38:39]
	;; [unrolled: 1-line block ×4, first 2 shown]
	s_and_saveexec_b64 s[40:41], s[12:13]
	s_cbranch_execz .LBB1124_1536
; %bb.1527:                             ;   in Loop: Header=BB1124_1487 Depth=1
	v_cmp_lt_u32_e64 s[18:19], v21, v70
	s_and_b64 s[12:13], s[18:19], s[26:27]
	s_and_saveexec_b64 s[42:43], s[12:13]
	s_cbranch_execz .LBB1124_1535
; %bb.1528:                             ;   in Loop: Header=BB1124_1487 Depth=1
	v_mad_u64_u32 v[14:15], s[12:13], v64, v83, v[8:9]
	v_mul_lo_u32 v16, v64, v82
	v_mul_lo_u32 v17, v65, v83
	v_add3_u32 v15, v17, v15, v16
	v_mad_u64_u32 v[16:17], s[12:13], v64, v81, v[8:9]
	v_mul_lo_u32 v18, v64, v80
	v_mul_lo_u32 v19, v65, v81
	v_add3_u32 v17, v19, v17, v18
	s_mov_b64 s[44:45], 0
	v_mov_b64_e32 v[18:19], v[6:7]
                                        ; implicit-def: $sgpr46_sgpr47
                                        ; implicit-def: $sgpr48_sgpr49
                                        ; implicit-def: $sgpr50_sgpr51
	s_branch .LBB1124_1530
.LBB1124_1529:                          ;   in Loop: Header=BB1124_1530 Depth=2
	s_or_b64 exec, exec, s[58:59]
	s_and_b64 s[12:13], exec, s[52:53]
	s_or_b64 s[44:45], s[12:13], s[44:45]
	s_andn2_b64 s[12:13], s[46:47], exec
	s_and_b64 s[46:47], s[48:49], exec
	s_or_b64 s[46:47], s[12:13], s[46:47]
	s_andn2_b64 exec, exec, s[44:45]
	s_cbranch_execz .LBB1124_1534
.LBB1124_1530:                          ;   Parent Loop BB1124_1487 Depth=1
                                        ; =>  This Inner Loop Header: Depth=2
	flat_load_ushort v22, v[16:17]
	flat_load_ushort v23, v[14:15]
	s_mov_b64 s[52:53], -1
	s_mov_b64 s[56:57], 0
	s_mov_b64 s[54:55], -1
	s_waitcnt vmcnt(0) lgkmcnt(0)
	v_lshlrev_b32_e32 v22, 16, v22
	v_lshlrev_b32_e32 v23, 16, v23
	v_cmp_nlt_f32_e64 s[12:13], v22, v23
	s_and_saveexec_b64 s[58:59], s[12:13]
; %bb.1531:                             ;   in Loop: Header=BB1124_1530 Depth=2
	v_cmp_ngt_f32_e64 s[12:13], v22, v23
	s_and_b64 s[50:51], s[12:13], s[50:51]
	s_orn2_b64 s[54:55], s[50:51], exec
	s_and_b64 s[56:57], s[12:13], exec
; %bb.1532:                             ;   in Loop: Header=BB1124_1530 Depth=2
	s_or_b64 exec, exec, s[58:59]
	s_andn2_b64 s[12:13], s[48:49], exec
	s_and_b64 s[48:49], s[54:55], exec
	s_or_b64 s[48:49], s[12:13], s[48:49]
                                        ; implicit-def: $sgpr50_sgpr51
	s_and_saveexec_b64 s[58:59], s[56:57]
	s_cbranch_execz .LBB1124_1529
; %bb.1533:                             ;   in Loop: Header=BB1124_1530 Depth=2
	v_lshl_add_u64 v[18:19], v[18:19], 0, -1
	v_cmp_eq_u64_e64 s[12:13], 0, v[18:19]
	v_lshl_add_u64 v[14:15], v[14:15], 0, 2
	v_lshl_add_u64 v[16:17], v[16:17], 0, 2
	s_and_b64 s[50:51], s[54:55], exec
	s_andn2_b64 s[48:49], s[48:49], exec
	s_orn2_b64 s[52:53], s[12:13], exec
	s_branch .LBB1124_1529
.LBB1124_1534:                          ;   in Loop: Header=BB1124_1487 Depth=1
	s_or_b64 exec, exec, s[44:45]
	s_xor_b64 s[12:13], s[46:47], -1
	s_andn2_b64 s[18:19], s[18:19], exec
	s_and_b64 s[12:13], s[12:13], exec
	s_or_b64 s[18:19], s[18:19], s[12:13]
.LBB1124_1535:                          ;   in Loop: Header=BB1124_1487 Depth=1
	s_or_b64 exec, exec, s[42:43]
	s_orn2_b64 s[18:19], s[18:19], exec
.LBB1124_1536:                          ;   in Loop: Header=BB1124_1487 Depth=1
	s_or_b64 exec, exec, s[40:41]
	v_cndmask_b32_e64 v14, v20, v21, s[18:19]
	v_cndmask_b32_e64 v15, v1, v70, s[18:19]
	v_add_u32_e32 v16, 1, v14
	v_add_u32_e32 v14, -1, v15
	v_min_u32_e32 v66, v16, v14
	v_lshl_add_u64 v[14:15], v[66:67], 3, v[10:11]
	flat_load_dwordx2 v[14:15], v[14:15]
	v_cndmask_b32_e64 v20, v16, v20, s[18:19]
	s_mov_b64 s[40:41], -1
	v_cndmask_b32_e64 v21, v21, v16, s[18:19]
	v_cmp_lt_u32_e64 s[12:13], v20, v1
	s_mov_b64 s[42:43], -1
	s_waitcnt vmcnt(0) lgkmcnt(0)
	v_cndmask_b32_e64 v22, v15, v80, s[18:19]
	v_cndmask_b32_e64 v84, v14, v81, s[18:19]
	v_cndmask_b32_e64 v23, v82, v15, s[18:19]
	v_cndmask_b32_e64 v85, v83, v14, s[18:19]
	s_and_saveexec_b64 s[44:45], s[12:13]
	s_cbranch_execz .LBB1124_1546
; %bb.1537:                             ;   in Loop: Header=BB1124_1487 Depth=1
	v_cmp_lt_u32_e64 s[42:43], v21, v70
	s_and_b64 s[12:13], s[42:43], s[26:27]
	s_and_saveexec_b64 s[46:47], s[12:13]
	s_cbranch_execz .LBB1124_1545
; %bb.1538:                             ;   in Loop: Header=BB1124_1487 Depth=1
	v_mad_u64_u32 v[14:15], s[12:13], v64, v85, v[8:9]
	v_mul_lo_u32 v16, v64, v23
	v_mul_lo_u32 v17, v65, v85
	v_add3_u32 v15, v17, v15, v16
	v_mad_u64_u32 v[16:17], s[12:13], v64, v84, v[8:9]
	v_mul_lo_u32 v18, v64, v22
	v_mul_lo_u32 v19, v65, v84
	v_add3_u32 v17, v19, v17, v18
	s_mov_b64 s[48:49], 0
	v_mov_b64_e32 v[18:19], v[6:7]
                                        ; implicit-def: $sgpr50_sgpr51
                                        ; implicit-def: $sgpr52_sgpr53
                                        ; implicit-def: $sgpr54_sgpr55
	s_branch .LBB1124_1540
.LBB1124_1539:                          ;   in Loop: Header=BB1124_1540 Depth=2
	s_or_b64 exec, exec, s[62:63]
	s_and_b64 s[12:13], exec, s[56:57]
	s_or_b64 s[48:49], s[12:13], s[48:49]
	s_andn2_b64 s[12:13], s[50:51], exec
	s_and_b64 s[50:51], s[52:53], exec
	s_or_b64 s[50:51], s[12:13], s[50:51]
	s_andn2_b64 exec, exec, s[48:49]
	s_cbranch_execz .LBB1124_1544
.LBB1124_1540:                          ;   Parent Loop BB1124_1487 Depth=1
                                        ; =>  This Inner Loop Header: Depth=2
	flat_load_ushort v66, v[16:17]
	flat_load_ushort v86, v[14:15]
	s_mov_b64 s[56:57], -1
	s_mov_b64 s[60:61], 0
	s_mov_b64 s[58:59], -1
	s_waitcnt vmcnt(0) lgkmcnt(0)
	v_lshlrev_b32_e32 v66, 16, v66
	v_lshlrev_b32_e32 v86, 16, v86
	v_cmp_nlt_f32_e64 s[12:13], v66, v86
	s_and_saveexec_b64 s[62:63], s[12:13]
; %bb.1541:                             ;   in Loop: Header=BB1124_1540 Depth=2
	v_cmp_ngt_f32_e64 s[12:13], v66, v86
	s_and_b64 s[54:55], s[12:13], s[54:55]
	s_orn2_b64 s[58:59], s[54:55], exec
	s_and_b64 s[60:61], s[12:13], exec
; %bb.1542:                             ;   in Loop: Header=BB1124_1540 Depth=2
	s_or_b64 exec, exec, s[62:63]
	s_andn2_b64 s[12:13], s[52:53], exec
	s_and_b64 s[52:53], s[58:59], exec
	s_or_b64 s[52:53], s[12:13], s[52:53]
                                        ; implicit-def: $sgpr54_sgpr55
	s_and_saveexec_b64 s[62:63], s[60:61]
	s_cbranch_execz .LBB1124_1539
; %bb.1543:                             ;   in Loop: Header=BB1124_1540 Depth=2
	v_lshl_add_u64 v[18:19], v[18:19], 0, -1
	v_cmp_eq_u64_e64 s[12:13], 0, v[18:19]
	v_lshl_add_u64 v[14:15], v[14:15], 0, 2
	v_lshl_add_u64 v[16:17], v[16:17], 0, 2
	s_and_b64 s[54:55], s[58:59], exec
	s_andn2_b64 s[52:53], s[52:53], exec
	s_orn2_b64 s[56:57], s[12:13], exec
	s_branch .LBB1124_1539
.LBB1124_1544:                          ;   in Loop: Header=BB1124_1487 Depth=1
	s_or_b64 exec, exec, s[48:49]
	s_xor_b64 s[12:13], s[50:51], -1
	s_andn2_b64 s[42:43], s[42:43], exec
	s_and_b64 s[12:13], s[12:13], exec
	s_or_b64 s[42:43], s[42:43], s[12:13]
.LBB1124_1545:                          ;   in Loop: Header=BB1124_1487 Depth=1
	s_or_b64 exec, exec, s[46:47]
	s_orn2_b64 s[42:43], s[42:43], exec
.LBB1124_1546:                          ;   in Loop: Header=BB1124_1487 Depth=1
	s_or_b64 exec, exec, s[44:45]
	v_cndmask_b32_e64 v14, v20, v21, s[42:43]
	v_cndmask_b32_e64 v15, v1, v70, s[42:43]
	v_add_u32_e32 v16, 1, v14
	v_add_u32_e32 v14, -1, v15
	v_min_u32_e32 v66, v16, v14
	v_lshl_add_u64 v[14:15], v[66:67], 3, v[10:11]
	flat_load_dwordx2 v[14:15], v[14:15]
	v_cndmask_b32_e64 v20, v16, v20, s[42:43]
	v_cndmask_b32_e64 v21, v21, v16, s[42:43]
	v_cmp_lt_u32_e64 s[12:13], v20, v1
	s_waitcnt vmcnt(0) lgkmcnt(0)
	v_cndmask_b32_e64 v86, v15, v22, s[42:43]
	v_cndmask_b32_e64 v87, v14, v84, s[42:43]
	;; [unrolled: 1-line block ×4, first 2 shown]
	s_and_saveexec_b64 s[44:45], s[12:13]
	s_cbranch_execz .LBB1124_1556
; %bb.1547:                             ;   in Loop: Header=BB1124_1487 Depth=1
	v_cmp_lt_u32_e64 s[40:41], v21, v70
	s_and_b64 s[12:13], s[40:41], s[26:27]
	s_and_saveexec_b64 s[46:47], s[12:13]
	s_cbranch_execz .LBB1124_1555
; %bb.1548:                             ;   in Loop: Header=BB1124_1487 Depth=1
	v_mad_u64_u32 v[14:15], s[12:13], v64, v97, v[8:9]
	v_mul_lo_u32 v16, v64, v96
	v_mul_lo_u32 v17, v65, v97
	v_add3_u32 v15, v17, v15, v16
	v_mad_u64_u32 v[16:17], s[12:13], v64, v87, v[8:9]
	v_mul_lo_u32 v18, v64, v86
	v_mul_lo_u32 v19, v65, v87
	v_add3_u32 v17, v19, v17, v18
	s_mov_b64 s[48:49], 0
	v_mov_b64_e32 v[18:19], v[6:7]
                                        ; implicit-def: $sgpr50_sgpr51
                                        ; implicit-def: $sgpr52_sgpr53
                                        ; implicit-def: $sgpr54_sgpr55
	s_branch .LBB1124_1550
.LBB1124_1549:                          ;   in Loop: Header=BB1124_1550 Depth=2
	s_or_b64 exec, exec, s[62:63]
	s_and_b64 s[12:13], exec, s[56:57]
	s_or_b64 s[48:49], s[12:13], s[48:49]
	s_andn2_b64 s[12:13], s[50:51], exec
	s_and_b64 s[50:51], s[52:53], exec
	s_or_b64 s[50:51], s[12:13], s[50:51]
	s_andn2_b64 exec, exec, s[48:49]
	s_cbranch_execz .LBB1124_1554
.LBB1124_1550:                          ;   Parent Loop BB1124_1487 Depth=1
                                        ; =>  This Inner Loop Header: Depth=2
	flat_load_ushort v66, v[16:17]
	flat_load_ushort v98, v[14:15]
	s_mov_b64 s[56:57], -1
	s_mov_b64 s[60:61], 0
	s_mov_b64 s[58:59], -1
	s_waitcnt vmcnt(0) lgkmcnt(0)
	v_lshlrev_b32_e32 v66, 16, v66
	v_lshlrev_b32_e32 v98, 16, v98
	v_cmp_nlt_f32_e64 s[12:13], v66, v98
	s_and_saveexec_b64 s[62:63], s[12:13]
; %bb.1551:                             ;   in Loop: Header=BB1124_1550 Depth=2
	v_cmp_ngt_f32_e64 s[12:13], v66, v98
	s_and_b64 s[54:55], s[12:13], s[54:55]
	s_orn2_b64 s[58:59], s[54:55], exec
	s_and_b64 s[60:61], s[12:13], exec
; %bb.1552:                             ;   in Loop: Header=BB1124_1550 Depth=2
	s_or_b64 exec, exec, s[62:63]
	s_andn2_b64 s[12:13], s[52:53], exec
	s_and_b64 s[52:53], s[58:59], exec
	s_or_b64 s[52:53], s[12:13], s[52:53]
                                        ; implicit-def: $sgpr54_sgpr55
	s_and_saveexec_b64 s[62:63], s[60:61]
	s_cbranch_execz .LBB1124_1549
; %bb.1553:                             ;   in Loop: Header=BB1124_1550 Depth=2
	v_lshl_add_u64 v[18:19], v[18:19], 0, -1
	v_cmp_eq_u64_e64 s[12:13], 0, v[18:19]
	v_lshl_add_u64 v[14:15], v[14:15], 0, 2
	v_lshl_add_u64 v[16:17], v[16:17], 0, 2
	s_and_b64 s[54:55], s[58:59], exec
	s_andn2_b64 s[52:53], s[52:53], exec
	s_orn2_b64 s[56:57], s[12:13], exec
	s_branch .LBB1124_1549
.LBB1124_1554:                          ;   in Loop: Header=BB1124_1487 Depth=1
	s_or_b64 exec, exec, s[48:49]
	s_xor_b64 s[12:13], s[50:51], -1
	s_andn2_b64 s[40:41], s[40:41], exec
	s_and_b64 s[12:13], s[12:13], exec
	s_or_b64 s[40:41], s[40:41], s[12:13]
.LBB1124_1555:                          ;   in Loop: Header=BB1124_1487 Depth=1
	s_or_b64 exec, exec, s[46:47]
	s_orn2_b64 s[40:41], s[40:41], exec
.LBB1124_1556:                          ;   in Loop: Header=BB1124_1487 Depth=1
	s_or_b64 exec, exec, s[44:45]
	v_cndmask_b32_e64 v14, v20, v21, s[40:41]
	v_cndmask_b32_e64 v15, v1, v70, s[40:41]
	v_add_u32_e32 v16, 1, v14
	v_add_u32_e32 v14, -1, v15
	v_min_u32_e32 v66, v16, v14
	v_lshl_add_u64 v[14:15], v[66:67], 3, v[10:11]
	flat_load_dwordx2 v[14:15], v[14:15]
	v_cndmask_b32_e64 v20, v16, v20, s[40:41]
	s_mov_b64 s[44:45], -1
	v_cndmask_b32_e64 v21, v21, v16, s[40:41]
	v_cmp_lt_u32_e64 s[12:13], v20, v1
	s_mov_b64 s[46:47], -1
	s_waitcnt vmcnt(0) lgkmcnt(0)
	v_cndmask_b32_e64 v98, v15, v86, s[40:41]
	v_cndmask_b32_e64 v99, v14, v87, s[40:41]
	;; [unrolled: 1-line block ×4, first 2 shown]
	s_and_saveexec_b64 s[48:49], s[12:13]
	s_cbranch_execz .LBB1124_1566
; %bb.1557:                             ;   in Loop: Header=BB1124_1487 Depth=1
	v_cmp_lt_u32_e64 s[46:47], v21, v70
	s_and_b64 s[12:13], s[46:47], s[26:27]
	s_and_saveexec_b64 s[50:51], s[12:13]
	s_cbranch_execz .LBB1124_1565
; %bb.1558:                             ;   in Loop: Header=BB1124_1487 Depth=1
	v_mad_u64_u32 v[14:15], s[12:13], v64, v101, v[8:9]
	v_mul_lo_u32 v16, v64, v100
	v_mul_lo_u32 v17, v65, v101
	v_add3_u32 v15, v17, v15, v16
	v_mad_u64_u32 v[16:17], s[12:13], v64, v99, v[8:9]
	v_mul_lo_u32 v18, v64, v98
	v_mul_lo_u32 v19, v65, v99
	v_add3_u32 v17, v19, v17, v18
	s_mov_b64 s[52:53], 0
	v_mov_b64_e32 v[18:19], v[6:7]
                                        ; implicit-def: $sgpr54_sgpr55
                                        ; implicit-def: $sgpr56_sgpr57
                                        ; implicit-def: $sgpr58_sgpr59
	s_branch .LBB1124_1560
.LBB1124_1559:                          ;   in Loop: Header=BB1124_1560 Depth=2
	s_or_b64 exec, exec, s[66:67]
	s_and_b64 s[12:13], exec, s[60:61]
	s_or_b64 s[52:53], s[12:13], s[52:53]
	s_andn2_b64 s[12:13], s[54:55], exec
	s_and_b64 s[54:55], s[56:57], exec
	s_or_b64 s[54:55], s[12:13], s[54:55]
	s_andn2_b64 exec, exec, s[52:53]
	s_cbranch_execz .LBB1124_1564
.LBB1124_1560:                          ;   Parent Loop BB1124_1487 Depth=1
                                        ; =>  This Inner Loop Header: Depth=2
	flat_load_ushort v66, v[16:17]
	flat_load_ushort v102, v[14:15]
	s_mov_b64 s[60:61], -1
	s_mov_b64 s[64:65], 0
	s_mov_b64 s[62:63], -1
	s_waitcnt vmcnt(0) lgkmcnt(0)
	v_lshlrev_b32_e32 v66, 16, v66
	v_lshlrev_b32_e32 v102, 16, v102
	v_cmp_nlt_f32_e64 s[12:13], v66, v102
	s_and_saveexec_b64 s[66:67], s[12:13]
; %bb.1561:                             ;   in Loop: Header=BB1124_1560 Depth=2
	v_cmp_ngt_f32_e64 s[12:13], v66, v102
	s_and_b64 s[58:59], s[12:13], s[58:59]
	s_orn2_b64 s[62:63], s[58:59], exec
	s_and_b64 s[64:65], s[12:13], exec
; %bb.1562:                             ;   in Loop: Header=BB1124_1560 Depth=2
	s_or_b64 exec, exec, s[66:67]
	s_andn2_b64 s[12:13], s[56:57], exec
	s_and_b64 s[56:57], s[62:63], exec
	s_or_b64 s[56:57], s[12:13], s[56:57]
                                        ; implicit-def: $sgpr58_sgpr59
	s_and_saveexec_b64 s[66:67], s[64:65]
	s_cbranch_execz .LBB1124_1559
; %bb.1563:                             ;   in Loop: Header=BB1124_1560 Depth=2
	v_lshl_add_u64 v[18:19], v[18:19], 0, -1
	v_cmp_eq_u64_e64 s[12:13], 0, v[18:19]
	v_lshl_add_u64 v[14:15], v[14:15], 0, 2
	v_lshl_add_u64 v[16:17], v[16:17], 0, 2
	s_and_b64 s[58:59], s[62:63], exec
	s_andn2_b64 s[56:57], s[56:57], exec
	s_orn2_b64 s[60:61], s[12:13], exec
	s_branch .LBB1124_1559
.LBB1124_1564:                          ;   in Loop: Header=BB1124_1487 Depth=1
	s_or_b64 exec, exec, s[52:53]
	s_xor_b64 s[12:13], s[54:55], -1
	s_andn2_b64 s[46:47], s[46:47], exec
	s_and_b64 s[12:13], s[12:13], exec
	s_or_b64 s[46:47], s[46:47], s[12:13]
.LBB1124_1565:                          ;   in Loop: Header=BB1124_1487 Depth=1
	s_or_b64 exec, exec, s[50:51]
	s_orn2_b64 s[46:47], s[46:47], exec
.LBB1124_1566:                          ;   in Loop: Header=BB1124_1487 Depth=1
	s_or_b64 exec, exec, s[48:49]
	v_cndmask_b32_e64 v14, v20, v21, s[46:47]
	v_cndmask_b32_e64 v15, v1, v70, s[46:47]
	v_add_u32_e32 v16, 1, v14
	v_add_u32_e32 v14, -1, v15
	v_min_u32_e32 v66, v16, v14
	v_lshl_add_u64 v[14:15], v[66:67], 3, v[10:11]
	flat_load_dwordx2 v[14:15], v[14:15]
	v_cndmask_b32_e64 v114, v16, v20, s[46:47]
	v_cndmask_b32_e64 v20, v21, v16, s[46:47]
	v_cmp_lt_u32_e64 s[12:13], v114, v1
	s_waitcnt vmcnt(0) lgkmcnt(0)
	v_cndmask_b32_e64 v102, v15, v98, s[46:47]
	v_cndmask_b32_e64 v103, v14, v99, s[46:47]
	;; [unrolled: 1-line block ×4, first 2 shown]
	s_and_saveexec_b64 s[48:49], s[12:13]
	s_cbranch_execz .LBB1124_1576
; %bb.1567:                             ;   in Loop: Header=BB1124_1487 Depth=1
	v_cmp_lt_u32_e64 s[44:45], v20, v70
	s_and_b64 s[12:13], s[44:45], s[26:27]
	s_and_saveexec_b64 s[50:51], s[12:13]
	s_cbranch_execz .LBB1124_1575
; %bb.1568:                             ;   in Loop: Header=BB1124_1487 Depth=1
	v_mad_u64_u32 v[14:15], s[12:13], v64, v113, v[8:9]
	v_mul_lo_u32 v16, v64, v112
	v_mul_lo_u32 v17, v65, v113
	v_add3_u32 v15, v17, v15, v16
	v_mad_u64_u32 v[16:17], s[12:13], v64, v103, v[8:9]
	v_mul_lo_u32 v18, v64, v102
	v_mul_lo_u32 v19, v65, v103
	v_add3_u32 v17, v19, v17, v18
	s_mov_b64 s[52:53], 0
	v_mov_b64_e32 v[18:19], v[6:7]
                                        ; implicit-def: $sgpr54_sgpr55
                                        ; implicit-def: $sgpr56_sgpr57
                                        ; implicit-def: $sgpr58_sgpr59
	s_branch .LBB1124_1570
.LBB1124_1569:                          ;   in Loop: Header=BB1124_1570 Depth=2
	s_or_b64 exec, exec, s[66:67]
	s_and_b64 s[12:13], exec, s[60:61]
	s_or_b64 s[52:53], s[12:13], s[52:53]
	s_andn2_b64 s[12:13], s[54:55], exec
	s_and_b64 s[54:55], s[56:57], exec
	s_or_b64 s[54:55], s[12:13], s[54:55]
	s_andn2_b64 exec, exec, s[52:53]
	s_cbranch_execz .LBB1124_1574
.LBB1124_1570:                          ;   Parent Loop BB1124_1487 Depth=1
                                        ; =>  This Inner Loop Header: Depth=2
	flat_load_ushort v21, v[16:17]
	flat_load_ushort v66, v[14:15]
	s_mov_b64 s[60:61], -1
	s_mov_b64 s[64:65], 0
	s_mov_b64 s[62:63], -1
	s_waitcnt vmcnt(0) lgkmcnt(0)
	v_lshlrev_b32_e32 v21, 16, v21
	v_lshlrev_b32_e32 v66, 16, v66
	v_cmp_nlt_f32_e64 s[12:13], v21, v66
	s_and_saveexec_b64 s[66:67], s[12:13]
; %bb.1571:                             ;   in Loop: Header=BB1124_1570 Depth=2
	v_cmp_ngt_f32_e64 s[12:13], v21, v66
	s_and_b64 s[58:59], s[12:13], s[58:59]
	s_orn2_b64 s[62:63], s[58:59], exec
	s_and_b64 s[64:65], s[12:13], exec
; %bb.1572:                             ;   in Loop: Header=BB1124_1570 Depth=2
	s_or_b64 exec, exec, s[66:67]
	s_andn2_b64 s[12:13], s[56:57], exec
	s_and_b64 s[56:57], s[62:63], exec
	s_or_b64 s[56:57], s[12:13], s[56:57]
                                        ; implicit-def: $sgpr58_sgpr59
	s_and_saveexec_b64 s[66:67], s[64:65]
	s_cbranch_execz .LBB1124_1569
; %bb.1573:                             ;   in Loop: Header=BB1124_1570 Depth=2
	v_lshl_add_u64 v[18:19], v[18:19], 0, -1
	v_cmp_eq_u64_e64 s[12:13], 0, v[18:19]
	v_lshl_add_u64 v[14:15], v[14:15], 0, 2
	v_lshl_add_u64 v[16:17], v[16:17], 0, 2
	s_and_b64 s[58:59], s[62:63], exec
	s_andn2_b64 s[56:57], s[56:57], exec
	s_orn2_b64 s[60:61], s[12:13], exec
	s_branch .LBB1124_1569
.LBB1124_1574:                          ;   in Loop: Header=BB1124_1487 Depth=1
	s_or_b64 exec, exec, s[52:53]
	s_xor_b64 s[12:13], s[54:55], -1
	s_andn2_b64 s[44:45], s[44:45], exec
	s_and_b64 s[12:13], s[12:13], exec
	s_or_b64 s[44:45], s[44:45], s[12:13]
.LBB1124_1575:                          ;   in Loop: Header=BB1124_1487 Depth=1
	s_or_b64 exec, exec, s[50:51]
	s_orn2_b64 s[44:45], s[44:45], exec
.LBB1124_1576:                          ;   in Loop: Header=BB1124_1487 Depth=1
	s_or_b64 exec, exec, s[48:49]
	v_cndmask_b32_e64 v14, v114, v20, s[44:45]
	v_cndmask_b32_e64 v15, v1, v70, s[44:45]
	v_add_u32_e32 v18, 1, v14
	v_add_u32_e32 v14, -1, v15
	v_min_u32_e32 v66, v18, v14
	v_lshl_add_u64 v[14:15], v[66:67], 3, v[10:11]
	flat_load_dwordx2 v[16:17], v[14:15]
	v_cndmask_b32_e64 v19, v18, v114, s[44:45]
	v_cmp_lt_u32_e64 s[12:13], v19, v1
	s_waitcnt vmcnt(0) lgkmcnt(0)
	v_cndmask_b32_e64 v15, v112, v17, s[44:45]
	v_cndmask_b32_e64 v14, v113, v16, s[44:45]
	s_and_saveexec_b64 s[48:49], s[12:13]
	s_cbranch_execz .LBB1124_1485
; %bb.1577:                             ;   in Loop: Header=BB1124_1487 Depth=1
	v_cndmask_b32_e64 v66, v16, v103, s[44:45]
	v_cndmask_b32_e64 v16, v20, v18, s[44:45]
	v_cmp_ge_u32_e64 s[12:13], v16, v70
	v_cndmask_b32_e64 v1, v17, v102, s[44:45]
	s_or_b64 s[50:51], s[12:13], s[8:9]
	v_cndmask_b32_e64 v17, v15, v1, s[12:13]
	s_xor_b64 s[52:53], s[50:51], -1
	v_cndmask_b32_e64 v16, v14, v66, s[12:13]
	s_and_saveexec_b64 s[50:51], s[52:53]
	s_cbranch_execz .LBB1124_1484
; %bb.1578:                             ;   in Loop: Header=BB1124_1487 Depth=1
	v_mad_u64_u32 v[16:17], s[12:13], v64, v14, v[8:9]
	v_mul_lo_u32 v18, v64, v15
	v_mul_lo_u32 v19, v65, v14
	v_add3_u32 v17, v19, v17, v18
	v_mad_u64_u32 v[18:19], s[12:13], v64, v66, v[8:9]
	v_mul_lo_u32 v20, v64, v1
	v_mul_lo_u32 v21, v65, v66
	v_add3_u32 v19, v21, v19, v20
	s_mov_b64 s[52:53], 0
	v_mov_b64_e32 v[20:21], v[6:7]
                                        ; implicit-def: $sgpr54_sgpr55
                                        ; implicit-def: $sgpr56_sgpr57
                                        ; implicit-def: $sgpr58_sgpr59
	s_branch .LBB1124_1580
.LBB1124_1579:                          ;   in Loop: Header=BB1124_1580 Depth=2
	s_or_b64 exec, exec, s[66:67]
	s_and_b64 s[12:13], exec, s[60:61]
	s_or_b64 s[52:53], s[12:13], s[52:53]
	s_andn2_b64 s[12:13], s[54:55], exec
	s_and_b64 s[54:55], s[56:57], exec
	s_or_b64 s[54:55], s[12:13], s[54:55]
	s_andn2_b64 exec, exec, s[52:53]
	s_cbranch_execz .LBB1124_1483
.LBB1124_1580:                          ;   Parent Loop BB1124_1487 Depth=1
                                        ; =>  This Inner Loop Header: Depth=2
	flat_load_ushort v70, v[18:19]
	flat_load_ushort v114, v[16:17]
	s_mov_b64 s[60:61], -1
	s_mov_b64 s[64:65], 0
	s_mov_b64 s[62:63], -1
	s_waitcnt vmcnt(0) lgkmcnt(0)
	v_lshlrev_b32_e32 v70, 16, v70
	v_lshlrev_b32_e32 v114, 16, v114
	v_cmp_nlt_f32_e64 s[12:13], v70, v114
	s_and_saveexec_b64 s[66:67], s[12:13]
; %bb.1581:                             ;   in Loop: Header=BB1124_1580 Depth=2
	v_cmp_ngt_f32_e64 s[12:13], v70, v114
	s_and_b64 s[58:59], s[12:13], s[58:59]
	s_orn2_b64 s[62:63], s[58:59], exec
	s_and_b64 s[64:65], s[12:13], exec
; %bb.1582:                             ;   in Loop: Header=BB1124_1580 Depth=2
	s_or_b64 exec, exec, s[66:67]
	s_andn2_b64 s[12:13], s[56:57], exec
	s_and_b64 s[56:57], s[62:63], exec
	s_or_b64 s[56:57], s[12:13], s[56:57]
                                        ; implicit-def: $sgpr58_sgpr59
	s_and_saveexec_b64 s[66:67], s[64:65]
	s_cbranch_execz .LBB1124_1579
; %bb.1583:                             ;   in Loop: Header=BB1124_1580 Depth=2
	v_lshl_add_u64 v[20:21], v[20:21], 0, -1
	v_cmp_eq_u64_e64 s[12:13], 0, v[20:21]
	v_lshl_add_u64 v[16:17], v[16:17], 0, 2
	v_lshl_add_u64 v[18:19], v[18:19], 0, 2
	s_and_b64 s[58:59], s[62:63], exec
	s_andn2_b64 s[56:57], s[56:57], exec
	s_orn2_b64 s[60:61], s[12:13], exec
	s_branch .LBB1124_1579
.LBB1124_1584:
	s_or_b64 exec, exec, s[30:31]
.LBB1124_1585:
	s_or_b64 exec, exec, s[28:29]
	s_barrier
	flat_store_dwordx4 v[54:55], v[24:27]
	flat_store_dwordx4 v[54:55], v[20:23] offset:16
	flat_store_dwordx4 v[54:55], v[16:19] offset:32
	;; [unrolled: 1-line block ×3, first 2 shown]
	s_waitcnt lgkmcnt(0)
	s_barrier
	flat_load_dwordx2 v[18:19], v[32:33] offset:2048
	flat_load_dwordx2 v[16:17], v[34:35]
	flat_load_dwordx2 v[14:15], v[36:37]
	;; [unrolled: 1-line block ×6, first 2 shown]
	v_mov_b32_e32 v31, 0
	v_lshl_add_u64 v[8:9], v[4:5], 0, v[30:31]
	s_and_saveexec_b64 s[8:9], vcc
	s_cbranch_execnz .LBB1124_1594
; %bb.1586:
	s_or_b64 exec, exec, s[8:9]
	s_and_saveexec_b64 s[8:9], s[0:1]
	s_cbranch_execnz .LBB1124_1595
.LBB1124_1587:
	s_or_b64 exec, exec, s[8:9]
	s_and_saveexec_b64 s[0:1], s[2:3]
	s_cbranch_execnz .LBB1124_1596
.LBB1124_1588:
	s_or_b64 exec, exec, s[0:1]
	s_and_saveexec_b64 s[0:1], s[4:5]
	s_cbranch_execnz .LBB1124_1597
.LBB1124_1589:
	s_or_b64 exec, exec, s[0:1]
	s_and_saveexec_b64 s[0:1], s[6:7]
	s_cbranch_execnz .LBB1124_1598
.LBB1124_1590:
	s_or_b64 exec, exec, s[0:1]
	s_and_saveexec_b64 s[0:1], s[10:11]
	s_cbranch_execnz .LBB1124_1599
.LBB1124_1591:
	s_or_b64 exec, exec, s[0:1]
	s_and_saveexec_b64 s[0:1], s[20:21]
	s_cbranch_execz .LBB1124_1593
.LBB1124_1592:
	v_add_co_u32_e32 v2, vcc, 0x3000, v8
	s_nop 1
	v_addc_co_u32_e32 v3, vcc, 0, v9, vcc
	s_waitcnt vmcnt(0) lgkmcnt(0)
	flat_store_dwordx2 v[2:3], v[0:1]
.LBB1124_1593:
	s_or_b64 exec, exec, s[0:1]
	s_andn2_b64 s[0:1], s[22:23], exec
	s_and_b64 s[2:3], s[14:15], exec
	s_or_b64 s[22:23], s[0:1], s[2:3]
	s_or_b64 exec, exec, s[24:25]
	s_and_saveexec_b64 s[0:1], s[22:23]
	s_cbranch_execnz .LBB1124_3
	s_branch .LBB1124_4
.LBB1124_1594:
	flat_load_dwordx2 v[2:3], v[2:3]
	s_waitcnt vmcnt(0) lgkmcnt(0)
	flat_store_dwordx2 v[8:9], v[2:3]
	s_or_b64 exec, exec, s[8:9]
	s_and_saveexec_b64 s[8:9], s[0:1]
	s_cbranch_execz .LBB1124_1587
.LBB1124_1595:
	s_waitcnt vmcnt(0) lgkmcnt(0)
	flat_store_dwordx2 v[8:9], v[18:19] offset:2048
	s_or_b64 exec, exec, s[8:9]
	s_and_saveexec_b64 s[0:1], s[2:3]
	s_cbranch_execz .LBB1124_1588
.LBB1124_1596:
	v_add_co_u32_e32 v2, vcc, 0x1000, v8
	s_nop 1
	v_addc_co_u32_e32 v3, vcc, 0, v9, vcc
	s_waitcnt vmcnt(0) lgkmcnt(0)
	flat_store_dwordx2 v[2:3], v[16:17]
	s_or_b64 exec, exec, s[0:1]
	s_and_saveexec_b64 s[0:1], s[4:5]
	s_cbranch_execz .LBB1124_1589
.LBB1124_1597:
	v_add_co_u32_e32 v2, vcc, 0x1000, v8
	s_nop 1
	v_addc_co_u32_e32 v3, vcc, 0, v9, vcc
	s_waitcnt vmcnt(0) lgkmcnt(0)
	flat_store_dwordx2 v[2:3], v[14:15] offset:2048
	s_or_b64 exec, exec, s[0:1]
	s_and_saveexec_b64 s[0:1], s[6:7]
	s_cbranch_execz .LBB1124_1590
.LBB1124_1598:
	v_add_co_u32_e32 v2, vcc, 0x2000, v8
	s_nop 1
	v_addc_co_u32_e32 v3, vcc, 0, v9, vcc
	s_waitcnt vmcnt(0) lgkmcnt(0)
	flat_store_dwordx2 v[2:3], v[10:11]
	s_or_b64 exec, exec, s[0:1]
	s_and_saveexec_b64 s[0:1], s[10:11]
	s_cbranch_execz .LBB1124_1591
.LBB1124_1599:
	v_add_co_u32_e32 v2, vcc, 0x2000, v8
	s_nop 1
	v_addc_co_u32_e32 v3, vcc, 0, v9, vcc
	s_waitcnt vmcnt(0) lgkmcnt(0)
	flat_store_dwordx2 v[2:3], v[6:7] offset:2048
	s_or_b64 exec, exec, s[0:1]
	s_and_saveexec_b64 s[0:1], s[20:21]
	s_cbranch_execnz .LBB1124_1592
	s_branch .LBB1124_1593
.Lfunc_end1124:
	.size	_ZN7rocprim17ROCPRIM_400000_NS6detail15block_sort_implIlNS0_10empty_typeELj256ELj8ELNS0_4arch9wavefront6targetE1EvE4sortIPlS9_PS3_SA_ZN2at6native12_GLOBAL__N_124unique_dim_cuda_templateIN3c108BFloat16EEESt5tupleIJNSB_6TensorESI_SI_EERKSI_lbbbEUlllE_EEvjbT_T0_T1_T2_T3_RNS7_12storage_typeE, .Lfunc_end1124-_ZN7rocprim17ROCPRIM_400000_NS6detail15block_sort_implIlNS0_10empty_typeELj256ELj8ELNS0_4arch9wavefront6targetE1EvE4sortIPlS9_PS3_SA_ZN2at6native12_GLOBAL__N_124unique_dim_cuda_templateIN3c108BFloat16EEESt5tupleIJNSB_6TensorESI_SI_EERKSI_lbbbEUlllE_EEvjbT_T0_T1_T2_T3_RNS7_12storage_typeE
                                        ; -- End function
	.section	.AMDGPU.csdata,"",@progbits
; Function info:
; codeLenInByte = 64916
; NumSgprs: 75
; NumVgprs: 129
; NumAgprs: 0
; TotalNumVgprs: 129
; ScratchSize: 8
; MemoryBound: 1
	.section	.text._ZN7rocprim17ROCPRIM_400000_NS6detail17trampoline_kernelINS0_14default_configENS1_37merge_sort_block_sort_config_selectorIlNS0_10empty_typeEEEZNS1_21merge_sort_block_sortIS3_PlS8_PS5_S9_ZN2at6native12_GLOBAL__N_124unique_dim_cuda_templateIN3c108BFloat16EEESt5tupleIJNSA_6TensorESH_SH_EERKSH_lbbbEUlllE_EE10hipError_tT0_T1_T2_T3_mRjT4_P12ihipStream_tbNS1_7vsmem_tEEUlT_E_NS1_11comp_targetILNS1_3genE5ELNS1_11target_archE942ELNS1_3gpuE9ELNS1_3repE0EEENS1_30default_config_static_selectorELNS0_4arch9wavefront6targetE1EEEvSO_,"axG",@progbits,_ZN7rocprim17ROCPRIM_400000_NS6detail17trampoline_kernelINS0_14default_configENS1_37merge_sort_block_sort_config_selectorIlNS0_10empty_typeEEEZNS1_21merge_sort_block_sortIS3_PlS8_PS5_S9_ZN2at6native12_GLOBAL__N_124unique_dim_cuda_templateIN3c108BFloat16EEESt5tupleIJNSA_6TensorESH_SH_EERKSH_lbbbEUlllE_EE10hipError_tT0_T1_T2_T3_mRjT4_P12ihipStream_tbNS1_7vsmem_tEEUlT_E_NS1_11comp_targetILNS1_3genE5ELNS1_11target_archE942ELNS1_3gpuE9ELNS1_3repE0EEENS1_30default_config_static_selectorELNS0_4arch9wavefront6targetE1EEEvSO_,comdat
	.globl	_ZN7rocprim17ROCPRIM_400000_NS6detail17trampoline_kernelINS0_14default_configENS1_37merge_sort_block_sort_config_selectorIlNS0_10empty_typeEEEZNS1_21merge_sort_block_sortIS3_PlS8_PS5_S9_ZN2at6native12_GLOBAL__N_124unique_dim_cuda_templateIN3c108BFloat16EEESt5tupleIJNSA_6TensorESH_SH_EERKSH_lbbbEUlllE_EE10hipError_tT0_T1_T2_T3_mRjT4_P12ihipStream_tbNS1_7vsmem_tEEUlT_E_NS1_11comp_targetILNS1_3genE5ELNS1_11target_archE942ELNS1_3gpuE9ELNS1_3repE0EEENS1_30default_config_static_selectorELNS0_4arch9wavefront6targetE1EEEvSO_ ; -- Begin function _ZN7rocprim17ROCPRIM_400000_NS6detail17trampoline_kernelINS0_14default_configENS1_37merge_sort_block_sort_config_selectorIlNS0_10empty_typeEEEZNS1_21merge_sort_block_sortIS3_PlS8_PS5_S9_ZN2at6native12_GLOBAL__N_124unique_dim_cuda_templateIN3c108BFloat16EEESt5tupleIJNSA_6TensorESH_SH_EERKSH_lbbbEUlllE_EE10hipError_tT0_T1_T2_T3_mRjT4_P12ihipStream_tbNS1_7vsmem_tEEUlT_E_NS1_11comp_targetILNS1_3genE5ELNS1_11target_archE942ELNS1_3gpuE9ELNS1_3repE0EEENS1_30default_config_static_selectorELNS0_4arch9wavefront6targetE1EEEvSO_
	.p2align	8
	.type	_ZN7rocprim17ROCPRIM_400000_NS6detail17trampoline_kernelINS0_14default_configENS1_37merge_sort_block_sort_config_selectorIlNS0_10empty_typeEEEZNS1_21merge_sort_block_sortIS3_PlS8_PS5_S9_ZN2at6native12_GLOBAL__N_124unique_dim_cuda_templateIN3c108BFloat16EEESt5tupleIJNSA_6TensorESH_SH_EERKSH_lbbbEUlllE_EE10hipError_tT0_T1_T2_T3_mRjT4_P12ihipStream_tbNS1_7vsmem_tEEUlT_E_NS1_11comp_targetILNS1_3genE5ELNS1_11target_archE942ELNS1_3gpuE9ELNS1_3repE0EEENS1_30default_config_static_selectorELNS0_4arch9wavefront6targetE1EEEvSO_,@function
_ZN7rocprim17ROCPRIM_400000_NS6detail17trampoline_kernelINS0_14default_configENS1_37merge_sort_block_sort_config_selectorIlNS0_10empty_typeEEEZNS1_21merge_sort_block_sortIS3_PlS8_PS5_S9_ZN2at6native12_GLOBAL__N_124unique_dim_cuda_templateIN3c108BFloat16EEESt5tupleIJNSA_6TensorESH_SH_EERKSH_lbbbEUlllE_EE10hipError_tT0_T1_T2_T3_mRjT4_P12ihipStream_tbNS1_7vsmem_tEEUlT_E_NS1_11comp_targetILNS1_3genE5ELNS1_11target_archE942ELNS1_3gpuE9ELNS1_3repE0EEENS1_30default_config_static_selectorELNS0_4arch9wavefront6targetE1EEEvSO_: ; @_ZN7rocprim17ROCPRIM_400000_NS6detail17trampoline_kernelINS0_14default_configENS1_37merge_sort_block_sort_config_selectorIlNS0_10empty_typeEEEZNS1_21merge_sort_block_sortIS3_PlS8_PS5_S9_ZN2at6native12_GLOBAL__N_124unique_dim_cuda_templateIN3c108BFloat16EEESt5tupleIJNSA_6TensorESH_SH_EERKSH_lbbbEUlllE_EE10hipError_tT0_T1_T2_T3_mRjT4_P12ihipStream_tbNS1_7vsmem_tEEUlT_E_NS1_11comp_targetILNS1_3genE5ELNS1_11target_archE942ELNS1_3gpuE9ELNS1_3repE0EEENS1_30default_config_static_selectorELNS0_4arch9wavefront6targetE1EEEvSO_
; %bb.0:
	s_load_dwordx2 s[6:7], s[0:1], 0x48
	s_load_dword s5, s[0:1], 0x0
	s_mov_b32 s32, 0
	s_waitcnt lgkmcnt(0)
	s_mul_i32 s4, s7, s4
	s_add_i32 s4, s4, s3
	s_mul_i32 s4, s4, s6
	s_add_i32 s4, s4, s2
	s_cmp_ge_u32 s4, s5
	s_cbranch_scc1 .LBB1125_2
; %bb.1:
	s_load_dwordx4 s[8:11], s[0:1], 0x18
	s_load_dwordx2 s[6:7], s[0:1], 0x8
	s_load_dwordx4 s[16:19], s[0:1], 0x38
	s_mov_b32 s5, 0
	s_lshl_b64 s[12:13], s[4:5], 14
	s_waitcnt lgkmcnt(0)
	s_add_u32 s10, s10, s12
	s_addc_u32 s11, s11, s13
	s_add_u32 s14, s8, s12
	s_addc_u32 s15, s9, s13
	s_lshr_b64 s[8:9], s[6:7], 11
	s_cmp_eq_u64 s[8:9], s[4:5]
	s_cselect_b64 s[8:9], -1, 0
	s_lshl_b32 s4, s4, 11
	s_sub_i32 s6, s6, s4
	v_cndmask_b32_e64 v1, 0, 1, s[8:9]
	s_add_u32 s8, s0, 0x48
	s_addc_u32 s9, s1, 0
	s_mov_b64 s[0:1], src_shared_base
	s_mov_b32 s12, s2
	s_mov_b32 s13, s3
	v_mov_b32_e32 v31, v0
	v_mov_b32_e32 v0, s6
	;; [unrolled: 1-line block ×12, first 2 shown]
	s_getpc_b64 s[4:5]
	s_add_u32 s4, s4, _ZN7rocprim17ROCPRIM_400000_NS6detail15block_sort_implIlNS0_10empty_typeELj256ELj8ELNS0_4arch9wavefront6targetE1EvE4sortIPlS9_PS3_SA_ZN2at6native12_GLOBAL__N_124unique_dim_cuda_templateIN3c108BFloat16EEESt5tupleIJNSB_6TensorESI_SI_EERKSI_lbbbEUlllE_EEvjbT_T0_T1_T2_T3_RNS7_12storage_typeE@rel32@lo+4
	s_addc_u32 s5, s5, _ZN7rocprim17ROCPRIM_400000_NS6detail15block_sort_implIlNS0_10empty_typeELj256ELj8ELNS0_4arch9wavefront6targetE1EvE4sortIPlS9_PS3_SA_ZN2at6native12_GLOBAL__N_124unique_dim_cuda_templateIN3c108BFloat16EEESt5tupleIJNSB_6TensorESI_SI_EERKSI_lbbbEUlllE_EEvjbT_T0_T1_T2_T3_RNS7_12storage_typeE@rel32@hi+12
	s_swappc_b64 s[30:31], s[4:5]
.LBB1125_2:
	s_endpgm
	.section	.rodata,"a",@progbits
	.p2align	6, 0x0
	.amdhsa_kernel _ZN7rocprim17ROCPRIM_400000_NS6detail17trampoline_kernelINS0_14default_configENS1_37merge_sort_block_sort_config_selectorIlNS0_10empty_typeEEEZNS1_21merge_sort_block_sortIS3_PlS8_PS5_S9_ZN2at6native12_GLOBAL__N_124unique_dim_cuda_templateIN3c108BFloat16EEESt5tupleIJNSA_6TensorESH_SH_EERKSH_lbbbEUlllE_EE10hipError_tT0_T1_T2_T3_mRjT4_P12ihipStream_tbNS1_7vsmem_tEEUlT_E_NS1_11comp_targetILNS1_3genE5ELNS1_11target_archE942ELNS1_3gpuE9ELNS1_3repE0EEENS1_30default_config_static_selectorELNS0_4arch9wavefront6targetE1EEEvSO_
		.amdhsa_group_segment_fixed_size 16896
		.amdhsa_private_segment_fixed_size 8
		.amdhsa_kernarg_size 328
		.amdhsa_user_sgpr_count 2
		.amdhsa_user_sgpr_dispatch_ptr 0
		.amdhsa_user_sgpr_queue_ptr 0
		.amdhsa_user_sgpr_kernarg_segment_ptr 1
		.amdhsa_user_sgpr_dispatch_id 0
		.amdhsa_user_sgpr_kernarg_preload_length 0
		.amdhsa_user_sgpr_kernarg_preload_offset 0
		.amdhsa_user_sgpr_private_segment_size 0
		.amdhsa_uses_dynamic_stack 0
		.amdhsa_enable_private_segment 1
		.amdhsa_system_sgpr_workgroup_id_x 1
		.amdhsa_system_sgpr_workgroup_id_y 1
		.amdhsa_system_sgpr_workgroup_id_z 1
		.amdhsa_system_sgpr_workgroup_info 0
		.amdhsa_system_vgpr_workitem_id 2
		.amdhsa_next_free_vgpr 129
		.amdhsa_next_free_sgpr 69
		.amdhsa_accum_offset 132
		.amdhsa_reserve_vcc 1
		.amdhsa_float_round_mode_32 0
		.amdhsa_float_round_mode_16_64 0
		.amdhsa_float_denorm_mode_32 3
		.amdhsa_float_denorm_mode_16_64 3
		.amdhsa_dx10_clamp 1
		.amdhsa_ieee_mode 1
		.amdhsa_fp16_overflow 0
		.amdhsa_tg_split 0
		.amdhsa_exception_fp_ieee_invalid_op 0
		.amdhsa_exception_fp_denorm_src 0
		.amdhsa_exception_fp_ieee_div_zero 0
		.amdhsa_exception_fp_ieee_overflow 0
		.amdhsa_exception_fp_ieee_underflow 0
		.amdhsa_exception_fp_ieee_inexact 0
		.amdhsa_exception_int_div_zero 0
	.end_amdhsa_kernel
	.section	.text._ZN7rocprim17ROCPRIM_400000_NS6detail17trampoline_kernelINS0_14default_configENS1_37merge_sort_block_sort_config_selectorIlNS0_10empty_typeEEEZNS1_21merge_sort_block_sortIS3_PlS8_PS5_S9_ZN2at6native12_GLOBAL__N_124unique_dim_cuda_templateIN3c108BFloat16EEESt5tupleIJNSA_6TensorESH_SH_EERKSH_lbbbEUlllE_EE10hipError_tT0_T1_T2_T3_mRjT4_P12ihipStream_tbNS1_7vsmem_tEEUlT_E_NS1_11comp_targetILNS1_3genE5ELNS1_11target_archE942ELNS1_3gpuE9ELNS1_3repE0EEENS1_30default_config_static_selectorELNS0_4arch9wavefront6targetE1EEEvSO_,"axG",@progbits,_ZN7rocprim17ROCPRIM_400000_NS6detail17trampoline_kernelINS0_14default_configENS1_37merge_sort_block_sort_config_selectorIlNS0_10empty_typeEEEZNS1_21merge_sort_block_sortIS3_PlS8_PS5_S9_ZN2at6native12_GLOBAL__N_124unique_dim_cuda_templateIN3c108BFloat16EEESt5tupleIJNSA_6TensorESH_SH_EERKSH_lbbbEUlllE_EE10hipError_tT0_T1_T2_T3_mRjT4_P12ihipStream_tbNS1_7vsmem_tEEUlT_E_NS1_11comp_targetILNS1_3genE5ELNS1_11target_archE942ELNS1_3gpuE9ELNS1_3repE0EEENS1_30default_config_static_selectorELNS0_4arch9wavefront6targetE1EEEvSO_,comdat
.Lfunc_end1125:
	.size	_ZN7rocprim17ROCPRIM_400000_NS6detail17trampoline_kernelINS0_14default_configENS1_37merge_sort_block_sort_config_selectorIlNS0_10empty_typeEEEZNS1_21merge_sort_block_sortIS3_PlS8_PS5_S9_ZN2at6native12_GLOBAL__N_124unique_dim_cuda_templateIN3c108BFloat16EEESt5tupleIJNSA_6TensorESH_SH_EERKSH_lbbbEUlllE_EE10hipError_tT0_T1_T2_T3_mRjT4_P12ihipStream_tbNS1_7vsmem_tEEUlT_E_NS1_11comp_targetILNS1_3genE5ELNS1_11target_archE942ELNS1_3gpuE9ELNS1_3repE0EEENS1_30default_config_static_selectorELNS0_4arch9wavefront6targetE1EEEvSO_, .Lfunc_end1125-_ZN7rocprim17ROCPRIM_400000_NS6detail17trampoline_kernelINS0_14default_configENS1_37merge_sort_block_sort_config_selectorIlNS0_10empty_typeEEEZNS1_21merge_sort_block_sortIS3_PlS8_PS5_S9_ZN2at6native12_GLOBAL__N_124unique_dim_cuda_templateIN3c108BFloat16EEESt5tupleIJNSA_6TensorESH_SH_EERKSH_lbbbEUlllE_EE10hipError_tT0_T1_T2_T3_mRjT4_P12ihipStream_tbNS1_7vsmem_tEEUlT_E_NS1_11comp_targetILNS1_3genE5ELNS1_11target_archE942ELNS1_3gpuE9ELNS1_3repE0EEENS1_30default_config_static_selectorELNS0_4arch9wavefront6targetE1EEEvSO_
                                        ; -- End function
	.section	.AMDGPU.csdata,"",@progbits
; Kernel info:
; codeLenInByte = 228
; NumSgprs: 75
; NumVgprs: 129
; NumAgprs: 0
; TotalNumVgprs: 129
; ScratchSize: 8
; MemoryBound: 0
; FloatMode: 240
; IeeeMode: 1
; LDSByteSize: 16896 bytes/workgroup (compile time only)
; SGPRBlocks: 9
; VGPRBlocks: 16
; NumSGPRsForWavesPerEU: 75
; NumVGPRsForWavesPerEU: 129
; AccumOffset: 132
; Occupancy: 3
; WaveLimiterHint : 1
; COMPUTE_PGM_RSRC2:SCRATCH_EN: 1
; COMPUTE_PGM_RSRC2:USER_SGPR: 2
; COMPUTE_PGM_RSRC2:TRAP_HANDLER: 0
; COMPUTE_PGM_RSRC2:TGID_X_EN: 1
; COMPUTE_PGM_RSRC2:TGID_Y_EN: 1
; COMPUTE_PGM_RSRC2:TGID_Z_EN: 1
; COMPUTE_PGM_RSRC2:TIDIG_COMP_CNT: 2
; COMPUTE_PGM_RSRC3_GFX90A:ACCUM_OFFSET: 32
; COMPUTE_PGM_RSRC3_GFX90A:TG_SPLIT: 0
	.section	.text._ZN7rocprim17ROCPRIM_400000_NS6detail17trampoline_kernelINS0_14default_configENS1_37merge_sort_block_sort_config_selectorIlNS0_10empty_typeEEEZNS1_21merge_sort_block_sortIS3_PlS8_PS5_S9_ZN2at6native12_GLOBAL__N_124unique_dim_cuda_templateIN3c108BFloat16EEESt5tupleIJNSA_6TensorESH_SH_EERKSH_lbbbEUlllE_EE10hipError_tT0_T1_T2_T3_mRjT4_P12ihipStream_tbNS1_7vsmem_tEEUlT_E_NS1_11comp_targetILNS1_3genE4ELNS1_11target_archE910ELNS1_3gpuE8ELNS1_3repE0EEENS1_30default_config_static_selectorELNS0_4arch9wavefront6targetE1EEEvSO_,"axG",@progbits,_ZN7rocprim17ROCPRIM_400000_NS6detail17trampoline_kernelINS0_14default_configENS1_37merge_sort_block_sort_config_selectorIlNS0_10empty_typeEEEZNS1_21merge_sort_block_sortIS3_PlS8_PS5_S9_ZN2at6native12_GLOBAL__N_124unique_dim_cuda_templateIN3c108BFloat16EEESt5tupleIJNSA_6TensorESH_SH_EERKSH_lbbbEUlllE_EE10hipError_tT0_T1_T2_T3_mRjT4_P12ihipStream_tbNS1_7vsmem_tEEUlT_E_NS1_11comp_targetILNS1_3genE4ELNS1_11target_archE910ELNS1_3gpuE8ELNS1_3repE0EEENS1_30default_config_static_selectorELNS0_4arch9wavefront6targetE1EEEvSO_,comdat
	.globl	_ZN7rocprim17ROCPRIM_400000_NS6detail17trampoline_kernelINS0_14default_configENS1_37merge_sort_block_sort_config_selectorIlNS0_10empty_typeEEEZNS1_21merge_sort_block_sortIS3_PlS8_PS5_S9_ZN2at6native12_GLOBAL__N_124unique_dim_cuda_templateIN3c108BFloat16EEESt5tupleIJNSA_6TensorESH_SH_EERKSH_lbbbEUlllE_EE10hipError_tT0_T1_T2_T3_mRjT4_P12ihipStream_tbNS1_7vsmem_tEEUlT_E_NS1_11comp_targetILNS1_3genE4ELNS1_11target_archE910ELNS1_3gpuE8ELNS1_3repE0EEENS1_30default_config_static_selectorELNS0_4arch9wavefront6targetE1EEEvSO_ ; -- Begin function _ZN7rocprim17ROCPRIM_400000_NS6detail17trampoline_kernelINS0_14default_configENS1_37merge_sort_block_sort_config_selectorIlNS0_10empty_typeEEEZNS1_21merge_sort_block_sortIS3_PlS8_PS5_S9_ZN2at6native12_GLOBAL__N_124unique_dim_cuda_templateIN3c108BFloat16EEESt5tupleIJNSA_6TensorESH_SH_EERKSH_lbbbEUlllE_EE10hipError_tT0_T1_T2_T3_mRjT4_P12ihipStream_tbNS1_7vsmem_tEEUlT_E_NS1_11comp_targetILNS1_3genE4ELNS1_11target_archE910ELNS1_3gpuE8ELNS1_3repE0EEENS1_30default_config_static_selectorELNS0_4arch9wavefront6targetE1EEEvSO_
	.p2align	8
	.type	_ZN7rocprim17ROCPRIM_400000_NS6detail17trampoline_kernelINS0_14default_configENS1_37merge_sort_block_sort_config_selectorIlNS0_10empty_typeEEEZNS1_21merge_sort_block_sortIS3_PlS8_PS5_S9_ZN2at6native12_GLOBAL__N_124unique_dim_cuda_templateIN3c108BFloat16EEESt5tupleIJNSA_6TensorESH_SH_EERKSH_lbbbEUlllE_EE10hipError_tT0_T1_T2_T3_mRjT4_P12ihipStream_tbNS1_7vsmem_tEEUlT_E_NS1_11comp_targetILNS1_3genE4ELNS1_11target_archE910ELNS1_3gpuE8ELNS1_3repE0EEENS1_30default_config_static_selectorELNS0_4arch9wavefront6targetE1EEEvSO_,@function
_ZN7rocprim17ROCPRIM_400000_NS6detail17trampoline_kernelINS0_14default_configENS1_37merge_sort_block_sort_config_selectorIlNS0_10empty_typeEEEZNS1_21merge_sort_block_sortIS3_PlS8_PS5_S9_ZN2at6native12_GLOBAL__N_124unique_dim_cuda_templateIN3c108BFloat16EEESt5tupleIJNSA_6TensorESH_SH_EERKSH_lbbbEUlllE_EE10hipError_tT0_T1_T2_T3_mRjT4_P12ihipStream_tbNS1_7vsmem_tEEUlT_E_NS1_11comp_targetILNS1_3genE4ELNS1_11target_archE910ELNS1_3gpuE8ELNS1_3repE0EEENS1_30default_config_static_selectorELNS0_4arch9wavefront6targetE1EEEvSO_: ; @_ZN7rocprim17ROCPRIM_400000_NS6detail17trampoline_kernelINS0_14default_configENS1_37merge_sort_block_sort_config_selectorIlNS0_10empty_typeEEEZNS1_21merge_sort_block_sortIS3_PlS8_PS5_S9_ZN2at6native12_GLOBAL__N_124unique_dim_cuda_templateIN3c108BFloat16EEESt5tupleIJNSA_6TensorESH_SH_EERKSH_lbbbEUlllE_EE10hipError_tT0_T1_T2_T3_mRjT4_P12ihipStream_tbNS1_7vsmem_tEEUlT_E_NS1_11comp_targetILNS1_3genE4ELNS1_11target_archE910ELNS1_3gpuE8ELNS1_3repE0EEENS1_30default_config_static_selectorELNS0_4arch9wavefront6targetE1EEEvSO_
; %bb.0:
	.section	.rodata,"a",@progbits
	.p2align	6, 0x0
	.amdhsa_kernel _ZN7rocprim17ROCPRIM_400000_NS6detail17trampoline_kernelINS0_14default_configENS1_37merge_sort_block_sort_config_selectorIlNS0_10empty_typeEEEZNS1_21merge_sort_block_sortIS3_PlS8_PS5_S9_ZN2at6native12_GLOBAL__N_124unique_dim_cuda_templateIN3c108BFloat16EEESt5tupleIJNSA_6TensorESH_SH_EERKSH_lbbbEUlllE_EE10hipError_tT0_T1_T2_T3_mRjT4_P12ihipStream_tbNS1_7vsmem_tEEUlT_E_NS1_11comp_targetILNS1_3genE4ELNS1_11target_archE910ELNS1_3gpuE8ELNS1_3repE0EEENS1_30default_config_static_selectorELNS0_4arch9wavefront6targetE1EEEvSO_
		.amdhsa_group_segment_fixed_size 0
		.amdhsa_private_segment_fixed_size 0
		.amdhsa_kernarg_size 72
		.amdhsa_user_sgpr_count 2
		.amdhsa_user_sgpr_dispatch_ptr 0
		.amdhsa_user_sgpr_queue_ptr 0
		.amdhsa_user_sgpr_kernarg_segment_ptr 1
		.amdhsa_user_sgpr_dispatch_id 0
		.amdhsa_user_sgpr_kernarg_preload_length 0
		.amdhsa_user_sgpr_kernarg_preload_offset 0
		.amdhsa_user_sgpr_private_segment_size 0
		.amdhsa_uses_dynamic_stack 0
		.amdhsa_enable_private_segment 0
		.amdhsa_system_sgpr_workgroup_id_x 1
		.amdhsa_system_sgpr_workgroup_id_y 0
		.amdhsa_system_sgpr_workgroup_id_z 0
		.amdhsa_system_sgpr_workgroup_info 0
		.amdhsa_system_vgpr_workitem_id 0
		.amdhsa_next_free_vgpr 1
		.amdhsa_next_free_sgpr 0
		.amdhsa_accum_offset 4
		.amdhsa_reserve_vcc 0
		.amdhsa_float_round_mode_32 0
		.amdhsa_float_round_mode_16_64 0
		.amdhsa_float_denorm_mode_32 3
		.amdhsa_float_denorm_mode_16_64 3
		.amdhsa_dx10_clamp 1
		.amdhsa_ieee_mode 1
		.amdhsa_fp16_overflow 0
		.amdhsa_tg_split 0
		.amdhsa_exception_fp_ieee_invalid_op 0
		.amdhsa_exception_fp_denorm_src 0
		.amdhsa_exception_fp_ieee_div_zero 0
		.amdhsa_exception_fp_ieee_overflow 0
		.amdhsa_exception_fp_ieee_underflow 0
		.amdhsa_exception_fp_ieee_inexact 0
		.amdhsa_exception_int_div_zero 0
	.end_amdhsa_kernel
	.section	.text._ZN7rocprim17ROCPRIM_400000_NS6detail17trampoline_kernelINS0_14default_configENS1_37merge_sort_block_sort_config_selectorIlNS0_10empty_typeEEEZNS1_21merge_sort_block_sortIS3_PlS8_PS5_S9_ZN2at6native12_GLOBAL__N_124unique_dim_cuda_templateIN3c108BFloat16EEESt5tupleIJNSA_6TensorESH_SH_EERKSH_lbbbEUlllE_EE10hipError_tT0_T1_T2_T3_mRjT4_P12ihipStream_tbNS1_7vsmem_tEEUlT_E_NS1_11comp_targetILNS1_3genE4ELNS1_11target_archE910ELNS1_3gpuE8ELNS1_3repE0EEENS1_30default_config_static_selectorELNS0_4arch9wavefront6targetE1EEEvSO_,"axG",@progbits,_ZN7rocprim17ROCPRIM_400000_NS6detail17trampoline_kernelINS0_14default_configENS1_37merge_sort_block_sort_config_selectorIlNS0_10empty_typeEEEZNS1_21merge_sort_block_sortIS3_PlS8_PS5_S9_ZN2at6native12_GLOBAL__N_124unique_dim_cuda_templateIN3c108BFloat16EEESt5tupleIJNSA_6TensorESH_SH_EERKSH_lbbbEUlllE_EE10hipError_tT0_T1_T2_T3_mRjT4_P12ihipStream_tbNS1_7vsmem_tEEUlT_E_NS1_11comp_targetILNS1_3genE4ELNS1_11target_archE910ELNS1_3gpuE8ELNS1_3repE0EEENS1_30default_config_static_selectorELNS0_4arch9wavefront6targetE1EEEvSO_,comdat
.Lfunc_end1126:
	.size	_ZN7rocprim17ROCPRIM_400000_NS6detail17trampoline_kernelINS0_14default_configENS1_37merge_sort_block_sort_config_selectorIlNS0_10empty_typeEEEZNS1_21merge_sort_block_sortIS3_PlS8_PS5_S9_ZN2at6native12_GLOBAL__N_124unique_dim_cuda_templateIN3c108BFloat16EEESt5tupleIJNSA_6TensorESH_SH_EERKSH_lbbbEUlllE_EE10hipError_tT0_T1_T2_T3_mRjT4_P12ihipStream_tbNS1_7vsmem_tEEUlT_E_NS1_11comp_targetILNS1_3genE4ELNS1_11target_archE910ELNS1_3gpuE8ELNS1_3repE0EEENS1_30default_config_static_selectorELNS0_4arch9wavefront6targetE1EEEvSO_, .Lfunc_end1126-_ZN7rocprim17ROCPRIM_400000_NS6detail17trampoline_kernelINS0_14default_configENS1_37merge_sort_block_sort_config_selectorIlNS0_10empty_typeEEEZNS1_21merge_sort_block_sortIS3_PlS8_PS5_S9_ZN2at6native12_GLOBAL__N_124unique_dim_cuda_templateIN3c108BFloat16EEESt5tupleIJNSA_6TensorESH_SH_EERKSH_lbbbEUlllE_EE10hipError_tT0_T1_T2_T3_mRjT4_P12ihipStream_tbNS1_7vsmem_tEEUlT_E_NS1_11comp_targetILNS1_3genE4ELNS1_11target_archE910ELNS1_3gpuE8ELNS1_3repE0EEENS1_30default_config_static_selectorELNS0_4arch9wavefront6targetE1EEEvSO_
                                        ; -- End function
	.section	.AMDGPU.csdata,"",@progbits
; Kernel info:
; codeLenInByte = 0
; NumSgprs: 6
; NumVgprs: 0
; NumAgprs: 0
; TotalNumVgprs: 0
; ScratchSize: 0
; MemoryBound: 0
; FloatMode: 240
; IeeeMode: 1
; LDSByteSize: 0 bytes/workgroup (compile time only)
; SGPRBlocks: 0
; VGPRBlocks: 0
; NumSGPRsForWavesPerEU: 6
; NumVGPRsForWavesPerEU: 1
; AccumOffset: 4
; Occupancy: 8
; WaveLimiterHint : 0
; COMPUTE_PGM_RSRC2:SCRATCH_EN: 0
; COMPUTE_PGM_RSRC2:USER_SGPR: 2
; COMPUTE_PGM_RSRC2:TRAP_HANDLER: 0
; COMPUTE_PGM_RSRC2:TGID_X_EN: 1
; COMPUTE_PGM_RSRC2:TGID_Y_EN: 0
; COMPUTE_PGM_RSRC2:TGID_Z_EN: 0
; COMPUTE_PGM_RSRC2:TIDIG_COMP_CNT: 0
; COMPUTE_PGM_RSRC3_GFX90A:ACCUM_OFFSET: 0
; COMPUTE_PGM_RSRC3_GFX90A:TG_SPLIT: 0
	.section	.text._ZN7rocprim17ROCPRIM_400000_NS6detail17trampoline_kernelINS0_14default_configENS1_37merge_sort_block_sort_config_selectorIlNS0_10empty_typeEEEZNS1_21merge_sort_block_sortIS3_PlS8_PS5_S9_ZN2at6native12_GLOBAL__N_124unique_dim_cuda_templateIN3c108BFloat16EEESt5tupleIJNSA_6TensorESH_SH_EERKSH_lbbbEUlllE_EE10hipError_tT0_T1_T2_T3_mRjT4_P12ihipStream_tbNS1_7vsmem_tEEUlT_E_NS1_11comp_targetILNS1_3genE3ELNS1_11target_archE908ELNS1_3gpuE7ELNS1_3repE0EEENS1_30default_config_static_selectorELNS0_4arch9wavefront6targetE1EEEvSO_,"axG",@progbits,_ZN7rocprim17ROCPRIM_400000_NS6detail17trampoline_kernelINS0_14default_configENS1_37merge_sort_block_sort_config_selectorIlNS0_10empty_typeEEEZNS1_21merge_sort_block_sortIS3_PlS8_PS5_S9_ZN2at6native12_GLOBAL__N_124unique_dim_cuda_templateIN3c108BFloat16EEESt5tupleIJNSA_6TensorESH_SH_EERKSH_lbbbEUlllE_EE10hipError_tT0_T1_T2_T3_mRjT4_P12ihipStream_tbNS1_7vsmem_tEEUlT_E_NS1_11comp_targetILNS1_3genE3ELNS1_11target_archE908ELNS1_3gpuE7ELNS1_3repE0EEENS1_30default_config_static_selectorELNS0_4arch9wavefront6targetE1EEEvSO_,comdat
	.globl	_ZN7rocprim17ROCPRIM_400000_NS6detail17trampoline_kernelINS0_14default_configENS1_37merge_sort_block_sort_config_selectorIlNS0_10empty_typeEEEZNS1_21merge_sort_block_sortIS3_PlS8_PS5_S9_ZN2at6native12_GLOBAL__N_124unique_dim_cuda_templateIN3c108BFloat16EEESt5tupleIJNSA_6TensorESH_SH_EERKSH_lbbbEUlllE_EE10hipError_tT0_T1_T2_T3_mRjT4_P12ihipStream_tbNS1_7vsmem_tEEUlT_E_NS1_11comp_targetILNS1_3genE3ELNS1_11target_archE908ELNS1_3gpuE7ELNS1_3repE0EEENS1_30default_config_static_selectorELNS0_4arch9wavefront6targetE1EEEvSO_ ; -- Begin function _ZN7rocprim17ROCPRIM_400000_NS6detail17trampoline_kernelINS0_14default_configENS1_37merge_sort_block_sort_config_selectorIlNS0_10empty_typeEEEZNS1_21merge_sort_block_sortIS3_PlS8_PS5_S9_ZN2at6native12_GLOBAL__N_124unique_dim_cuda_templateIN3c108BFloat16EEESt5tupleIJNSA_6TensorESH_SH_EERKSH_lbbbEUlllE_EE10hipError_tT0_T1_T2_T3_mRjT4_P12ihipStream_tbNS1_7vsmem_tEEUlT_E_NS1_11comp_targetILNS1_3genE3ELNS1_11target_archE908ELNS1_3gpuE7ELNS1_3repE0EEENS1_30default_config_static_selectorELNS0_4arch9wavefront6targetE1EEEvSO_
	.p2align	8
	.type	_ZN7rocprim17ROCPRIM_400000_NS6detail17trampoline_kernelINS0_14default_configENS1_37merge_sort_block_sort_config_selectorIlNS0_10empty_typeEEEZNS1_21merge_sort_block_sortIS3_PlS8_PS5_S9_ZN2at6native12_GLOBAL__N_124unique_dim_cuda_templateIN3c108BFloat16EEESt5tupleIJNSA_6TensorESH_SH_EERKSH_lbbbEUlllE_EE10hipError_tT0_T1_T2_T3_mRjT4_P12ihipStream_tbNS1_7vsmem_tEEUlT_E_NS1_11comp_targetILNS1_3genE3ELNS1_11target_archE908ELNS1_3gpuE7ELNS1_3repE0EEENS1_30default_config_static_selectorELNS0_4arch9wavefront6targetE1EEEvSO_,@function
_ZN7rocprim17ROCPRIM_400000_NS6detail17trampoline_kernelINS0_14default_configENS1_37merge_sort_block_sort_config_selectorIlNS0_10empty_typeEEEZNS1_21merge_sort_block_sortIS3_PlS8_PS5_S9_ZN2at6native12_GLOBAL__N_124unique_dim_cuda_templateIN3c108BFloat16EEESt5tupleIJNSA_6TensorESH_SH_EERKSH_lbbbEUlllE_EE10hipError_tT0_T1_T2_T3_mRjT4_P12ihipStream_tbNS1_7vsmem_tEEUlT_E_NS1_11comp_targetILNS1_3genE3ELNS1_11target_archE908ELNS1_3gpuE7ELNS1_3repE0EEENS1_30default_config_static_selectorELNS0_4arch9wavefront6targetE1EEEvSO_: ; @_ZN7rocprim17ROCPRIM_400000_NS6detail17trampoline_kernelINS0_14default_configENS1_37merge_sort_block_sort_config_selectorIlNS0_10empty_typeEEEZNS1_21merge_sort_block_sortIS3_PlS8_PS5_S9_ZN2at6native12_GLOBAL__N_124unique_dim_cuda_templateIN3c108BFloat16EEESt5tupleIJNSA_6TensorESH_SH_EERKSH_lbbbEUlllE_EE10hipError_tT0_T1_T2_T3_mRjT4_P12ihipStream_tbNS1_7vsmem_tEEUlT_E_NS1_11comp_targetILNS1_3genE3ELNS1_11target_archE908ELNS1_3gpuE7ELNS1_3repE0EEENS1_30default_config_static_selectorELNS0_4arch9wavefront6targetE1EEEvSO_
; %bb.0:
	.section	.rodata,"a",@progbits
	.p2align	6, 0x0
	.amdhsa_kernel _ZN7rocprim17ROCPRIM_400000_NS6detail17trampoline_kernelINS0_14default_configENS1_37merge_sort_block_sort_config_selectorIlNS0_10empty_typeEEEZNS1_21merge_sort_block_sortIS3_PlS8_PS5_S9_ZN2at6native12_GLOBAL__N_124unique_dim_cuda_templateIN3c108BFloat16EEESt5tupleIJNSA_6TensorESH_SH_EERKSH_lbbbEUlllE_EE10hipError_tT0_T1_T2_T3_mRjT4_P12ihipStream_tbNS1_7vsmem_tEEUlT_E_NS1_11comp_targetILNS1_3genE3ELNS1_11target_archE908ELNS1_3gpuE7ELNS1_3repE0EEENS1_30default_config_static_selectorELNS0_4arch9wavefront6targetE1EEEvSO_
		.amdhsa_group_segment_fixed_size 0
		.amdhsa_private_segment_fixed_size 0
		.amdhsa_kernarg_size 72
		.amdhsa_user_sgpr_count 2
		.amdhsa_user_sgpr_dispatch_ptr 0
		.amdhsa_user_sgpr_queue_ptr 0
		.amdhsa_user_sgpr_kernarg_segment_ptr 1
		.amdhsa_user_sgpr_dispatch_id 0
		.amdhsa_user_sgpr_kernarg_preload_length 0
		.amdhsa_user_sgpr_kernarg_preload_offset 0
		.amdhsa_user_sgpr_private_segment_size 0
		.amdhsa_uses_dynamic_stack 0
		.amdhsa_enable_private_segment 0
		.amdhsa_system_sgpr_workgroup_id_x 1
		.amdhsa_system_sgpr_workgroup_id_y 0
		.amdhsa_system_sgpr_workgroup_id_z 0
		.amdhsa_system_sgpr_workgroup_info 0
		.amdhsa_system_vgpr_workitem_id 0
		.amdhsa_next_free_vgpr 1
		.amdhsa_next_free_sgpr 0
		.amdhsa_accum_offset 4
		.amdhsa_reserve_vcc 0
		.amdhsa_float_round_mode_32 0
		.amdhsa_float_round_mode_16_64 0
		.amdhsa_float_denorm_mode_32 3
		.amdhsa_float_denorm_mode_16_64 3
		.amdhsa_dx10_clamp 1
		.amdhsa_ieee_mode 1
		.amdhsa_fp16_overflow 0
		.amdhsa_tg_split 0
		.amdhsa_exception_fp_ieee_invalid_op 0
		.amdhsa_exception_fp_denorm_src 0
		.amdhsa_exception_fp_ieee_div_zero 0
		.amdhsa_exception_fp_ieee_overflow 0
		.amdhsa_exception_fp_ieee_underflow 0
		.amdhsa_exception_fp_ieee_inexact 0
		.amdhsa_exception_int_div_zero 0
	.end_amdhsa_kernel
	.section	.text._ZN7rocprim17ROCPRIM_400000_NS6detail17trampoline_kernelINS0_14default_configENS1_37merge_sort_block_sort_config_selectorIlNS0_10empty_typeEEEZNS1_21merge_sort_block_sortIS3_PlS8_PS5_S9_ZN2at6native12_GLOBAL__N_124unique_dim_cuda_templateIN3c108BFloat16EEESt5tupleIJNSA_6TensorESH_SH_EERKSH_lbbbEUlllE_EE10hipError_tT0_T1_T2_T3_mRjT4_P12ihipStream_tbNS1_7vsmem_tEEUlT_E_NS1_11comp_targetILNS1_3genE3ELNS1_11target_archE908ELNS1_3gpuE7ELNS1_3repE0EEENS1_30default_config_static_selectorELNS0_4arch9wavefront6targetE1EEEvSO_,"axG",@progbits,_ZN7rocprim17ROCPRIM_400000_NS6detail17trampoline_kernelINS0_14default_configENS1_37merge_sort_block_sort_config_selectorIlNS0_10empty_typeEEEZNS1_21merge_sort_block_sortIS3_PlS8_PS5_S9_ZN2at6native12_GLOBAL__N_124unique_dim_cuda_templateIN3c108BFloat16EEESt5tupleIJNSA_6TensorESH_SH_EERKSH_lbbbEUlllE_EE10hipError_tT0_T1_T2_T3_mRjT4_P12ihipStream_tbNS1_7vsmem_tEEUlT_E_NS1_11comp_targetILNS1_3genE3ELNS1_11target_archE908ELNS1_3gpuE7ELNS1_3repE0EEENS1_30default_config_static_selectorELNS0_4arch9wavefront6targetE1EEEvSO_,comdat
.Lfunc_end1127:
	.size	_ZN7rocprim17ROCPRIM_400000_NS6detail17trampoline_kernelINS0_14default_configENS1_37merge_sort_block_sort_config_selectorIlNS0_10empty_typeEEEZNS1_21merge_sort_block_sortIS3_PlS8_PS5_S9_ZN2at6native12_GLOBAL__N_124unique_dim_cuda_templateIN3c108BFloat16EEESt5tupleIJNSA_6TensorESH_SH_EERKSH_lbbbEUlllE_EE10hipError_tT0_T1_T2_T3_mRjT4_P12ihipStream_tbNS1_7vsmem_tEEUlT_E_NS1_11comp_targetILNS1_3genE3ELNS1_11target_archE908ELNS1_3gpuE7ELNS1_3repE0EEENS1_30default_config_static_selectorELNS0_4arch9wavefront6targetE1EEEvSO_, .Lfunc_end1127-_ZN7rocprim17ROCPRIM_400000_NS6detail17trampoline_kernelINS0_14default_configENS1_37merge_sort_block_sort_config_selectorIlNS0_10empty_typeEEEZNS1_21merge_sort_block_sortIS3_PlS8_PS5_S9_ZN2at6native12_GLOBAL__N_124unique_dim_cuda_templateIN3c108BFloat16EEESt5tupleIJNSA_6TensorESH_SH_EERKSH_lbbbEUlllE_EE10hipError_tT0_T1_T2_T3_mRjT4_P12ihipStream_tbNS1_7vsmem_tEEUlT_E_NS1_11comp_targetILNS1_3genE3ELNS1_11target_archE908ELNS1_3gpuE7ELNS1_3repE0EEENS1_30default_config_static_selectorELNS0_4arch9wavefront6targetE1EEEvSO_
                                        ; -- End function
	.section	.AMDGPU.csdata,"",@progbits
; Kernel info:
; codeLenInByte = 0
; NumSgprs: 6
; NumVgprs: 0
; NumAgprs: 0
; TotalNumVgprs: 0
; ScratchSize: 0
; MemoryBound: 0
; FloatMode: 240
; IeeeMode: 1
; LDSByteSize: 0 bytes/workgroup (compile time only)
; SGPRBlocks: 0
; VGPRBlocks: 0
; NumSGPRsForWavesPerEU: 6
; NumVGPRsForWavesPerEU: 1
; AccumOffset: 4
; Occupancy: 8
; WaveLimiterHint : 0
; COMPUTE_PGM_RSRC2:SCRATCH_EN: 0
; COMPUTE_PGM_RSRC2:USER_SGPR: 2
; COMPUTE_PGM_RSRC2:TRAP_HANDLER: 0
; COMPUTE_PGM_RSRC2:TGID_X_EN: 1
; COMPUTE_PGM_RSRC2:TGID_Y_EN: 0
; COMPUTE_PGM_RSRC2:TGID_Z_EN: 0
; COMPUTE_PGM_RSRC2:TIDIG_COMP_CNT: 0
; COMPUTE_PGM_RSRC3_GFX90A:ACCUM_OFFSET: 0
; COMPUTE_PGM_RSRC3_GFX90A:TG_SPLIT: 0
	.section	.text._ZN7rocprim17ROCPRIM_400000_NS6detail17trampoline_kernelINS0_14default_configENS1_37merge_sort_block_sort_config_selectorIlNS0_10empty_typeEEEZNS1_21merge_sort_block_sortIS3_PlS8_PS5_S9_ZN2at6native12_GLOBAL__N_124unique_dim_cuda_templateIN3c108BFloat16EEESt5tupleIJNSA_6TensorESH_SH_EERKSH_lbbbEUlllE_EE10hipError_tT0_T1_T2_T3_mRjT4_P12ihipStream_tbNS1_7vsmem_tEEUlT_E_NS1_11comp_targetILNS1_3genE2ELNS1_11target_archE906ELNS1_3gpuE6ELNS1_3repE0EEENS1_30default_config_static_selectorELNS0_4arch9wavefront6targetE1EEEvSO_,"axG",@progbits,_ZN7rocprim17ROCPRIM_400000_NS6detail17trampoline_kernelINS0_14default_configENS1_37merge_sort_block_sort_config_selectorIlNS0_10empty_typeEEEZNS1_21merge_sort_block_sortIS3_PlS8_PS5_S9_ZN2at6native12_GLOBAL__N_124unique_dim_cuda_templateIN3c108BFloat16EEESt5tupleIJNSA_6TensorESH_SH_EERKSH_lbbbEUlllE_EE10hipError_tT0_T1_T2_T3_mRjT4_P12ihipStream_tbNS1_7vsmem_tEEUlT_E_NS1_11comp_targetILNS1_3genE2ELNS1_11target_archE906ELNS1_3gpuE6ELNS1_3repE0EEENS1_30default_config_static_selectorELNS0_4arch9wavefront6targetE1EEEvSO_,comdat
	.globl	_ZN7rocprim17ROCPRIM_400000_NS6detail17trampoline_kernelINS0_14default_configENS1_37merge_sort_block_sort_config_selectorIlNS0_10empty_typeEEEZNS1_21merge_sort_block_sortIS3_PlS8_PS5_S9_ZN2at6native12_GLOBAL__N_124unique_dim_cuda_templateIN3c108BFloat16EEESt5tupleIJNSA_6TensorESH_SH_EERKSH_lbbbEUlllE_EE10hipError_tT0_T1_T2_T3_mRjT4_P12ihipStream_tbNS1_7vsmem_tEEUlT_E_NS1_11comp_targetILNS1_3genE2ELNS1_11target_archE906ELNS1_3gpuE6ELNS1_3repE0EEENS1_30default_config_static_selectorELNS0_4arch9wavefront6targetE1EEEvSO_ ; -- Begin function _ZN7rocprim17ROCPRIM_400000_NS6detail17trampoline_kernelINS0_14default_configENS1_37merge_sort_block_sort_config_selectorIlNS0_10empty_typeEEEZNS1_21merge_sort_block_sortIS3_PlS8_PS5_S9_ZN2at6native12_GLOBAL__N_124unique_dim_cuda_templateIN3c108BFloat16EEESt5tupleIJNSA_6TensorESH_SH_EERKSH_lbbbEUlllE_EE10hipError_tT0_T1_T2_T3_mRjT4_P12ihipStream_tbNS1_7vsmem_tEEUlT_E_NS1_11comp_targetILNS1_3genE2ELNS1_11target_archE906ELNS1_3gpuE6ELNS1_3repE0EEENS1_30default_config_static_selectorELNS0_4arch9wavefront6targetE1EEEvSO_
	.p2align	8
	.type	_ZN7rocprim17ROCPRIM_400000_NS6detail17trampoline_kernelINS0_14default_configENS1_37merge_sort_block_sort_config_selectorIlNS0_10empty_typeEEEZNS1_21merge_sort_block_sortIS3_PlS8_PS5_S9_ZN2at6native12_GLOBAL__N_124unique_dim_cuda_templateIN3c108BFloat16EEESt5tupleIJNSA_6TensorESH_SH_EERKSH_lbbbEUlllE_EE10hipError_tT0_T1_T2_T3_mRjT4_P12ihipStream_tbNS1_7vsmem_tEEUlT_E_NS1_11comp_targetILNS1_3genE2ELNS1_11target_archE906ELNS1_3gpuE6ELNS1_3repE0EEENS1_30default_config_static_selectorELNS0_4arch9wavefront6targetE1EEEvSO_,@function
_ZN7rocprim17ROCPRIM_400000_NS6detail17trampoline_kernelINS0_14default_configENS1_37merge_sort_block_sort_config_selectorIlNS0_10empty_typeEEEZNS1_21merge_sort_block_sortIS3_PlS8_PS5_S9_ZN2at6native12_GLOBAL__N_124unique_dim_cuda_templateIN3c108BFloat16EEESt5tupleIJNSA_6TensorESH_SH_EERKSH_lbbbEUlllE_EE10hipError_tT0_T1_T2_T3_mRjT4_P12ihipStream_tbNS1_7vsmem_tEEUlT_E_NS1_11comp_targetILNS1_3genE2ELNS1_11target_archE906ELNS1_3gpuE6ELNS1_3repE0EEENS1_30default_config_static_selectorELNS0_4arch9wavefront6targetE1EEEvSO_: ; @_ZN7rocprim17ROCPRIM_400000_NS6detail17trampoline_kernelINS0_14default_configENS1_37merge_sort_block_sort_config_selectorIlNS0_10empty_typeEEEZNS1_21merge_sort_block_sortIS3_PlS8_PS5_S9_ZN2at6native12_GLOBAL__N_124unique_dim_cuda_templateIN3c108BFloat16EEESt5tupleIJNSA_6TensorESH_SH_EERKSH_lbbbEUlllE_EE10hipError_tT0_T1_T2_T3_mRjT4_P12ihipStream_tbNS1_7vsmem_tEEUlT_E_NS1_11comp_targetILNS1_3genE2ELNS1_11target_archE906ELNS1_3gpuE6ELNS1_3repE0EEENS1_30default_config_static_selectorELNS0_4arch9wavefront6targetE1EEEvSO_
; %bb.0:
	.section	.rodata,"a",@progbits
	.p2align	6, 0x0
	.amdhsa_kernel _ZN7rocprim17ROCPRIM_400000_NS6detail17trampoline_kernelINS0_14default_configENS1_37merge_sort_block_sort_config_selectorIlNS0_10empty_typeEEEZNS1_21merge_sort_block_sortIS3_PlS8_PS5_S9_ZN2at6native12_GLOBAL__N_124unique_dim_cuda_templateIN3c108BFloat16EEESt5tupleIJNSA_6TensorESH_SH_EERKSH_lbbbEUlllE_EE10hipError_tT0_T1_T2_T3_mRjT4_P12ihipStream_tbNS1_7vsmem_tEEUlT_E_NS1_11comp_targetILNS1_3genE2ELNS1_11target_archE906ELNS1_3gpuE6ELNS1_3repE0EEENS1_30default_config_static_selectorELNS0_4arch9wavefront6targetE1EEEvSO_
		.amdhsa_group_segment_fixed_size 0
		.amdhsa_private_segment_fixed_size 0
		.amdhsa_kernarg_size 72
		.amdhsa_user_sgpr_count 2
		.amdhsa_user_sgpr_dispatch_ptr 0
		.amdhsa_user_sgpr_queue_ptr 0
		.amdhsa_user_sgpr_kernarg_segment_ptr 1
		.amdhsa_user_sgpr_dispatch_id 0
		.amdhsa_user_sgpr_kernarg_preload_length 0
		.amdhsa_user_sgpr_kernarg_preload_offset 0
		.amdhsa_user_sgpr_private_segment_size 0
		.amdhsa_uses_dynamic_stack 0
		.amdhsa_enable_private_segment 0
		.amdhsa_system_sgpr_workgroup_id_x 1
		.amdhsa_system_sgpr_workgroup_id_y 0
		.amdhsa_system_sgpr_workgroup_id_z 0
		.amdhsa_system_sgpr_workgroup_info 0
		.amdhsa_system_vgpr_workitem_id 0
		.amdhsa_next_free_vgpr 1
		.amdhsa_next_free_sgpr 0
		.amdhsa_accum_offset 4
		.amdhsa_reserve_vcc 0
		.amdhsa_float_round_mode_32 0
		.amdhsa_float_round_mode_16_64 0
		.amdhsa_float_denorm_mode_32 3
		.amdhsa_float_denorm_mode_16_64 3
		.amdhsa_dx10_clamp 1
		.amdhsa_ieee_mode 1
		.amdhsa_fp16_overflow 0
		.amdhsa_tg_split 0
		.amdhsa_exception_fp_ieee_invalid_op 0
		.amdhsa_exception_fp_denorm_src 0
		.amdhsa_exception_fp_ieee_div_zero 0
		.amdhsa_exception_fp_ieee_overflow 0
		.amdhsa_exception_fp_ieee_underflow 0
		.amdhsa_exception_fp_ieee_inexact 0
		.amdhsa_exception_int_div_zero 0
	.end_amdhsa_kernel
	.section	.text._ZN7rocprim17ROCPRIM_400000_NS6detail17trampoline_kernelINS0_14default_configENS1_37merge_sort_block_sort_config_selectorIlNS0_10empty_typeEEEZNS1_21merge_sort_block_sortIS3_PlS8_PS5_S9_ZN2at6native12_GLOBAL__N_124unique_dim_cuda_templateIN3c108BFloat16EEESt5tupleIJNSA_6TensorESH_SH_EERKSH_lbbbEUlllE_EE10hipError_tT0_T1_T2_T3_mRjT4_P12ihipStream_tbNS1_7vsmem_tEEUlT_E_NS1_11comp_targetILNS1_3genE2ELNS1_11target_archE906ELNS1_3gpuE6ELNS1_3repE0EEENS1_30default_config_static_selectorELNS0_4arch9wavefront6targetE1EEEvSO_,"axG",@progbits,_ZN7rocprim17ROCPRIM_400000_NS6detail17trampoline_kernelINS0_14default_configENS1_37merge_sort_block_sort_config_selectorIlNS0_10empty_typeEEEZNS1_21merge_sort_block_sortIS3_PlS8_PS5_S9_ZN2at6native12_GLOBAL__N_124unique_dim_cuda_templateIN3c108BFloat16EEESt5tupleIJNSA_6TensorESH_SH_EERKSH_lbbbEUlllE_EE10hipError_tT0_T1_T2_T3_mRjT4_P12ihipStream_tbNS1_7vsmem_tEEUlT_E_NS1_11comp_targetILNS1_3genE2ELNS1_11target_archE906ELNS1_3gpuE6ELNS1_3repE0EEENS1_30default_config_static_selectorELNS0_4arch9wavefront6targetE1EEEvSO_,comdat
.Lfunc_end1128:
	.size	_ZN7rocprim17ROCPRIM_400000_NS6detail17trampoline_kernelINS0_14default_configENS1_37merge_sort_block_sort_config_selectorIlNS0_10empty_typeEEEZNS1_21merge_sort_block_sortIS3_PlS8_PS5_S9_ZN2at6native12_GLOBAL__N_124unique_dim_cuda_templateIN3c108BFloat16EEESt5tupleIJNSA_6TensorESH_SH_EERKSH_lbbbEUlllE_EE10hipError_tT0_T1_T2_T3_mRjT4_P12ihipStream_tbNS1_7vsmem_tEEUlT_E_NS1_11comp_targetILNS1_3genE2ELNS1_11target_archE906ELNS1_3gpuE6ELNS1_3repE0EEENS1_30default_config_static_selectorELNS0_4arch9wavefront6targetE1EEEvSO_, .Lfunc_end1128-_ZN7rocprim17ROCPRIM_400000_NS6detail17trampoline_kernelINS0_14default_configENS1_37merge_sort_block_sort_config_selectorIlNS0_10empty_typeEEEZNS1_21merge_sort_block_sortIS3_PlS8_PS5_S9_ZN2at6native12_GLOBAL__N_124unique_dim_cuda_templateIN3c108BFloat16EEESt5tupleIJNSA_6TensorESH_SH_EERKSH_lbbbEUlllE_EE10hipError_tT0_T1_T2_T3_mRjT4_P12ihipStream_tbNS1_7vsmem_tEEUlT_E_NS1_11comp_targetILNS1_3genE2ELNS1_11target_archE906ELNS1_3gpuE6ELNS1_3repE0EEENS1_30default_config_static_selectorELNS0_4arch9wavefront6targetE1EEEvSO_
                                        ; -- End function
	.section	.AMDGPU.csdata,"",@progbits
; Kernel info:
; codeLenInByte = 0
; NumSgprs: 6
; NumVgprs: 0
; NumAgprs: 0
; TotalNumVgprs: 0
; ScratchSize: 0
; MemoryBound: 0
; FloatMode: 240
; IeeeMode: 1
; LDSByteSize: 0 bytes/workgroup (compile time only)
; SGPRBlocks: 0
; VGPRBlocks: 0
; NumSGPRsForWavesPerEU: 6
; NumVGPRsForWavesPerEU: 1
; AccumOffset: 4
; Occupancy: 8
; WaveLimiterHint : 0
; COMPUTE_PGM_RSRC2:SCRATCH_EN: 0
; COMPUTE_PGM_RSRC2:USER_SGPR: 2
; COMPUTE_PGM_RSRC2:TRAP_HANDLER: 0
; COMPUTE_PGM_RSRC2:TGID_X_EN: 1
; COMPUTE_PGM_RSRC2:TGID_Y_EN: 0
; COMPUTE_PGM_RSRC2:TGID_Z_EN: 0
; COMPUTE_PGM_RSRC2:TIDIG_COMP_CNT: 0
; COMPUTE_PGM_RSRC3_GFX90A:ACCUM_OFFSET: 0
; COMPUTE_PGM_RSRC3_GFX90A:TG_SPLIT: 0
	.section	.text._ZN7rocprim17ROCPRIM_400000_NS6detail17trampoline_kernelINS0_14default_configENS1_37merge_sort_block_sort_config_selectorIlNS0_10empty_typeEEEZNS1_21merge_sort_block_sortIS3_PlS8_PS5_S9_ZN2at6native12_GLOBAL__N_124unique_dim_cuda_templateIN3c108BFloat16EEESt5tupleIJNSA_6TensorESH_SH_EERKSH_lbbbEUlllE_EE10hipError_tT0_T1_T2_T3_mRjT4_P12ihipStream_tbNS1_7vsmem_tEEUlT_E_NS1_11comp_targetILNS1_3genE10ELNS1_11target_archE1201ELNS1_3gpuE5ELNS1_3repE0EEENS1_30default_config_static_selectorELNS0_4arch9wavefront6targetE1EEEvSO_,"axG",@progbits,_ZN7rocprim17ROCPRIM_400000_NS6detail17trampoline_kernelINS0_14default_configENS1_37merge_sort_block_sort_config_selectorIlNS0_10empty_typeEEEZNS1_21merge_sort_block_sortIS3_PlS8_PS5_S9_ZN2at6native12_GLOBAL__N_124unique_dim_cuda_templateIN3c108BFloat16EEESt5tupleIJNSA_6TensorESH_SH_EERKSH_lbbbEUlllE_EE10hipError_tT0_T1_T2_T3_mRjT4_P12ihipStream_tbNS1_7vsmem_tEEUlT_E_NS1_11comp_targetILNS1_3genE10ELNS1_11target_archE1201ELNS1_3gpuE5ELNS1_3repE0EEENS1_30default_config_static_selectorELNS0_4arch9wavefront6targetE1EEEvSO_,comdat
	.globl	_ZN7rocprim17ROCPRIM_400000_NS6detail17trampoline_kernelINS0_14default_configENS1_37merge_sort_block_sort_config_selectorIlNS0_10empty_typeEEEZNS1_21merge_sort_block_sortIS3_PlS8_PS5_S9_ZN2at6native12_GLOBAL__N_124unique_dim_cuda_templateIN3c108BFloat16EEESt5tupleIJNSA_6TensorESH_SH_EERKSH_lbbbEUlllE_EE10hipError_tT0_T1_T2_T3_mRjT4_P12ihipStream_tbNS1_7vsmem_tEEUlT_E_NS1_11comp_targetILNS1_3genE10ELNS1_11target_archE1201ELNS1_3gpuE5ELNS1_3repE0EEENS1_30default_config_static_selectorELNS0_4arch9wavefront6targetE1EEEvSO_ ; -- Begin function _ZN7rocprim17ROCPRIM_400000_NS6detail17trampoline_kernelINS0_14default_configENS1_37merge_sort_block_sort_config_selectorIlNS0_10empty_typeEEEZNS1_21merge_sort_block_sortIS3_PlS8_PS5_S9_ZN2at6native12_GLOBAL__N_124unique_dim_cuda_templateIN3c108BFloat16EEESt5tupleIJNSA_6TensorESH_SH_EERKSH_lbbbEUlllE_EE10hipError_tT0_T1_T2_T3_mRjT4_P12ihipStream_tbNS1_7vsmem_tEEUlT_E_NS1_11comp_targetILNS1_3genE10ELNS1_11target_archE1201ELNS1_3gpuE5ELNS1_3repE0EEENS1_30default_config_static_selectorELNS0_4arch9wavefront6targetE1EEEvSO_
	.p2align	8
	.type	_ZN7rocprim17ROCPRIM_400000_NS6detail17trampoline_kernelINS0_14default_configENS1_37merge_sort_block_sort_config_selectorIlNS0_10empty_typeEEEZNS1_21merge_sort_block_sortIS3_PlS8_PS5_S9_ZN2at6native12_GLOBAL__N_124unique_dim_cuda_templateIN3c108BFloat16EEESt5tupleIJNSA_6TensorESH_SH_EERKSH_lbbbEUlllE_EE10hipError_tT0_T1_T2_T3_mRjT4_P12ihipStream_tbNS1_7vsmem_tEEUlT_E_NS1_11comp_targetILNS1_3genE10ELNS1_11target_archE1201ELNS1_3gpuE5ELNS1_3repE0EEENS1_30default_config_static_selectorELNS0_4arch9wavefront6targetE1EEEvSO_,@function
_ZN7rocprim17ROCPRIM_400000_NS6detail17trampoline_kernelINS0_14default_configENS1_37merge_sort_block_sort_config_selectorIlNS0_10empty_typeEEEZNS1_21merge_sort_block_sortIS3_PlS8_PS5_S9_ZN2at6native12_GLOBAL__N_124unique_dim_cuda_templateIN3c108BFloat16EEESt5tupleIJNSA_6TensorESH_SH_EERKSH_lbbbEUlllE_EE10hipError_tT0_T1_T2_T3_mRjT4_P12ihipStream_tbNS1_7vsmem_tEEUlT_E_NS1_11comp_targetILNS1_3genE10ELNS1_11target_archE1201ELNS1_3gpuE5ELNS1_3repE0EEENS1_30default_config_static_selectorELNS0_4arch9wavefront6targetE1EEEvSO_: ; @_ZN7rocprim17ROCPRIM_400000_NS6detail17trampoline_kernelINS0_14default_configENS1_37merge_sort_block_sort_config_selectorIlNS0_10empty_typeEEEZNS1_21merge_sort_block_sortIS3_PlS8_PS5_S9_ZN2at6native12_GLOBAL__N_124unique_dim_cuda_templateIN3c108BFloat16EEESt5tupleIJNSA_6TensorESH_SH_EERKSH_lbbbEUlllE_EE10hipError_tT0_T1_T2_T3_mRjT4_P12ihipStream_tbNS1_7vsmem_tEEUlT_E_NS1_11comp_targetILNS1_3genE10ELNS1_11target_archE1201ELNS1_3gpuE5ELNS1_3repE0EEENS1_30default_config_static_selectorELNS0_4arch9wavefront6targetE1EEEvSO_
; %bb.0:
	.section	.rodata,"a",@progbits
	.p2align	6, 0x0
	.amdhsa_kernel _ZN7rocprim17ROCPRIM_400000_NS6detail17trampoline_kernelINS0_14default_configENS1_37merge_sort_block_sort_config_selectorIlNS0_10empty_typeEEEZNS1_21merge_sort_block_sortIS3_PlS8_PS5_S9_ZN2at6native12_GLOBAL__N_124unique_dim_cuda_templateIN3c108BFloat16EEESt5tupleIJNSA_6TensorESH_SH_EERKSH_lbbbEUlllE_EE10hipError_tT0_T1_T2_T3_mRjT4_P12ihipStream_tbNS1_7vsmem_tEEUlT_E_NS1_11comp_targetILNS1_3genE10ELNS1_11target_archE1201ELNS1_3gpuE5ELNS1_3repE0EEENS1_30default_config_static_selectorELNS0_4arch9wavefront6targetE1EEEvSO_
		.amdhsa_group_segment_fixed_size 0
		.amdhsa_private_segment_fixed_size 0
		.amdhsa_kernarg_size 72
		.amdhsa_user_sgpr_count 2
		.amdhsa_user_sgpr_dispatch_ptr 0
		.amdhsa_user_sgpr_queue_ptr 0
		.amdhsa_user_sgpr_kernarg_segment_ptr 1
		.amdhsa_user_sgpr_dispatch_id 0
		.amdhsa_user_sgpr_kernarg_preload_length 0
		.amdhsa_user_sgpr_kernarg_preload_offset 0
		.amdhsa_user_sgpr_private_segment_size 0
		.amdhsa_uses_dynamic_stack 0
		.amdhsa_enable_private_segment 0
		.amdhsa_system_sgpr_workgroup_id_x 1
		.amdhsa_system_sgpr_workgroup_id_y 0
		.amdhsa_system_sgpr_workgroup_id_z 0
		.amdhsa_system_sgpr_workgroup_info 0
		.amdhsa_system_vgpr_workitem_id 0
		.amdhsa_next_free_vgpr 1
		.amdhsa_next_free_sgpr 0
		.amdhsa_accum_offset 4
		.amdhsa_reserve_vcc 0
		.amdhsa_float_round_mode_32 0
		.amdhsa_float_round_mode_16_64 0
		.amdhsa_float_denorm_mode_32 3
		.amdhsa_float_denorm_mode_16_64 3
		.amdhsa_dx10_clamp 1
		.amdhsa_ieee_mode 1
		.amdhsa_fp16_overflow 0
		.amdhsa_tg_split 0
		.amdhsa_exception_fp_ieee_invalid_op 0
		.amdhsa_exception_fp_denorm_src 0
		.amdhsa_exception_fp_ieee_div_zero 0
		.amdhsa_exception_fp_ieee_overflow 0
		.amdhsa_exception_fp_ieee_underflow 0
		.amdhsa_exception_fp_ieee_inexact 0
		.amdhsa_exception_int_div_zero 0
	.end_amdhsa_kernel
	.section	.text._ZN7rocprim17ROCPRIM_400000_NS6detail17trampoline_kernelINS0_14default_configENS1_37merge_sort_block_sort_config_selectorIlNS0_10empty_typeEEEZNS1_21merge_sort_block_sortIS3_PlS8_PS5_S9_ZN2at6native12_GLOBAL__N_124unique_dim_cuda_templateIN3c108BFloat16EEESt5tupleIJNSA_6TensorESH_SH_EERKSH_lbbbEUlllE_EE10hipError_tT0_T1_T2_T3_mRjT4_P12ihipStream_tbNS1_7vsmem_tEEUlT_E_NS1_11comp_targetILNS1_3genE10ELNS1_11target_archE1201ELNS1_3gpuE5ELNS1_3repE0EEENS1_30default_config_static_selectorELNS0_4arch9wavefront6targetE1EEEvSO_,"axG",@progbits,_ZN7rocprim17ROCPRIM_400000_NS6detail17trampoline_kernelINS0_14default_configENS1_37merge_sort_block_sort_config_selectorIlNS0_10empty_typeEEEZNS1_21merge_sort_block_sortIS3_PlS8_PS5_S9_ZN2at6native12_GLOBAL__N_124unique_dim_cuda_templateIN3c108BFloat16EEESt5tupleIJNSA_6TensorESH_SH_EERKSH_lbbbEUlllE_EE10hipError_tT0_T1_T2_T3_mRjT4_P12ihipStream_tbNS1_7vsmem_tEEUlT_E_NS1_11comp_targetILNS1_3genE10ELNS1_11target_archE1201ELNS1_3gpuE5ELNS1_3repE0EEENS1_30default_config_static_selectorELNS0_4arch9wavefront6targetE1EEEvSO_,comdat
.Lfunc_end1129:
	.size	_ZN7rocprim17ROCPRIM_400000_NS6detail17trampoline_kernelINS0_14default_configENS1_37merge_sort_block_sort_config_selectorIlNS0_10empty_typeEEEZNS1_21merge_sort_block_sortIS3_PlS8_PS5_S9_ZN2at6native12_GLOBAL__N_124unique_dim_cuda_templateIN3c108BFloat16EEESt5tupleIJNSA_6TensorESH_SH_EERKSH_lbbbEUlllE_EE10hipError_tT0_T1_T2_T3_mRjT4_P12ihipStream_tbNS1_7vsmem_tEEUlT_E_NS1_11comp_targetILNS1_3genE10ELNS1_11target_archE1201ELNS1_3gpuE5ELNS1_3repE0EEENS1_30default_config_static_selectorELNS0_4arch9wavefront6targetE1EEEvSO_, .Lfunc_end1129-_ZN7rocprim17ROCPRIM_400000_NS6detail17trampoline_kernelINS0_14default_configENS1_37merge_sort_block_sort_config_selectorIlNS0_10empty_typeEEEZNS1_21merge_sort_block_sortIS3_PlS8_PS5_S9_ZN2at6native12_GLOBAL__N_124unique_dim_cuda_templateIN3c108BFloat16EEESt5tupleIJNSA_6TensorESH_SH_EERKSH_lbbbEUlllE_EE10hipError_tT0_T1_T2_T3_mRjT4_P12ihipStream_tbNS1_7vsmem_tEEUlT_E_NS1_11comp_targetILNS1_3genE10ELNS1_11target_archE1201ELNS1_3gpuE5ELNS1_3repE0EEENS1_30default_config_static_selectorELNS0_4arch9wavefront6targetE1EEEvSO_
                                        ; -- End function
	.section	.AMDGPU.csdata,"",@progbits
; Kernel info:
; codeLenInByte = 0
; NumSgprs: 6
; NumVgprs: 0
; NumAgprs: 0
; TotalNumVgprs: 0
; ScratchSize: 0
; MemoryBound: 0
; FloatMode: 240
; IeeeMode: 1
; LDSByteSize: 0 bytes/workgroup (compile time only)
; SGPRBlocks: 0
; VGPRBlocks: 0
; NumSGPRsForWavesPerEU: 6
; NumVGPRsForWavesPerEU: 1
; AccumOffset: 4
; Occupancy: 8
; WaveLimiterHint : 0
; COMPUTE_PGM_RSRC2:SCRATCH_EN: 0
; COMPUTE_PGM_RSRC2:USER_SGPR: 2
; COMPUTE_PGM_RSRC2:TRAP_HANDLER: 0
; COMPUTE_PGM_RSRC2:TGID_X_EN: 1
; COMPUTE_PGM_RSRC2:TGID_Y_EN: 0
; COMPUTE_PGM_RSRC2:TGID_Z_EN: 0
; COMPUTE_PGM_RSRC2:TIDIG_COMP_CNT: 0
; COMPUTE_PGM_RSRC3_GFX90A:ACCUM_OFFSET: 0
; COMPUTE_PGM_RSRC3_GFX90A:TG_SPLIT: 0
	.section	.text._ZN7rocprim17ROCPRIM_400000_NS6detail17trampoline_kernelINS0_14default_configENS1_37merge_sort_block_sort_config_selectorIlNS0_10empty_typeEEEZNS1_21merge_sort_block_sortIS3_PlS8_PS5_S9_ZN2at6native12_GLOBAL__N_124unique_dim_cuda_templateIN3c108BFloat16EEESt5tupleIJNSA_6TensorESH_SH_EERKSH_lbbbEUlllE_EE10hipError_tT0_T1_T2_T3_mRjT4_P12ihipStream_tbNS1_7vsmem_tEEUlT_E_NS1_11comp_targetILNS1_3genE10ELNS1_11target_archE1200ELNS1_3gpuE4ELNS1_3repE0EEENS1_30default_config_static_selectorELNS0_4arch9wavefront6targetE1EEEvSO_,"axG",@progbits,_ZN7rocprim17ROCPRIM_400000_NS6detail17trampoline_kernelINS0_14default_configENS1_37merge_sort_block_sort_config_selectorIlNS0_10empty_typeEEEZNS1_21merge_sort_block_sortIS3_PlS8_PS5_S9_ZN2at6native12_GLOBAL__N_124unique_dim_cuda_templateIN3c108BFloat16EEESt5tupleIJNSA_6TensorESH_SH_EERKSH_lbbbEUlllE_EE10hipError_tT0_T1_T2_T3_mRjT4_P12ihipStream_tbNS1_7vsmem_tEEUlT_E_NS1_11comp_targetILNS1_3genE10ELNS1_11target_archE1200ELNS1_3gpuE4ELNS1_3repE0EEENS1_30default_config_static_selectorELNS0_4arch9wavefront6targetE1EEEvSO_,comdat
	.globl	_ZN7rocprim17ROCPRIM_400000_NS6detail17trampoline_kernelINS0_14default_configENS1_37merge_sort_block_sort_config_selectorIlNS0_10empty_typeEEEZNS1_21merge_sort_block_sortIS3_PlS8_PS5_S9_ZN2at6native12_GLOBAL__N_124unique_dim_cuda_templateIN3c108BFloat16EEESt5tupleIJNSA_6TensorESH_SH_EERKSH_lbbbEUlllE_EE10hipError_tT0_T1_T2_T3_mRjT4_P12ihipStream_tbNS1_7vsmem_tEEUlT_E_NS1_11comp_targetILNS1_3genE10ELNS1_11target_archE1200ELNS1_3gpuE4ELNS1_3repE0EEENS1_30default_config_static_selectorELNS0_4arch9wavefront6targetE1EEEvSO_ ; -- Begin function _ZN7rocprim17ROCPRIM_400000_NS6detail17trampoline_kernelINS0_14default_configENS1_37merge_sort_block_sort_config_selectorIlNS0_10empty_typeEEEZNS1_21merge_sort_block_sortIS3_PlS8_PS5_S9_ZN2at6native12_GLOBAL__N_124unique_dim_cuda_templateIN3c108BFloat16EEESt5tupleIJNSA_6TensorESH_SH_EERKSH_lbbbEUlllE_EE10hipError_tT0_T1_T2_T3_mRjT4_P12ihipStream_tbNS1_7vsmem_tEEUlT_E_NS1_11comp_targetILNS1_3genE10ELNS1_11target_archE1200ELNS1_3gpuE4ELNS1_3repE0EEENS1_30default_config_static_selectorELNS0_4arch9wavefront6targetE1EEEvSO_
	.p2align	8
	.type	_ZN7rocprim17ROCPRIM_400000_NS6detail17trampoline_kernelINS0_14default_configENS1_37merge_sort_block_sort_config_selectorIlNS0_10empty_typeEEEZNS1_21merge_sort_block_sortIS3_PlS8_PS5_S9_ZN2at6native12_GLOBAL__N_124unique_dim_cuda_templateIN3c108BFloat16EEESt5tupleIJNSA_6TensorESH_SH_EERKSH_lbbbEUlllE_EE10hipError_tT0_T1_T2_T3_mRjT4_P12ihipStream_tbNS1_7vsmem_tEEUlT_E_NS1_11comp_targetILNS1_3genE10ELNS1_11target_archE1200ELNS1_3gpuE4ELNS1_3repE0EEENS1_30default_config_static_selectorELNS0_4arch9wavefront6targetE1EEEvSO_,@function
_ZN7rocprim17ROCPRIM_400000_NS6detail17trampoline_kernelINS0_14default_configENS1_37merge_sort_block_sort_config_selectorIlNS0_10empty_typeEEEZNS1_21merge_sort_block_sortIS3_PlS8_PS5_S9_ZN2at6native12_GLOBAL__N_124unique_dim_cuda_templateIN3c108BFloat16EEESt5tupleIJNSA_6TensorESH_SH_EERKSH_lbbbEUlllE_EE10hipError_tT0_T1_T2_T3_mRjT4_P12ihipStream_tbNS1_7vsmem_tEEUlT_E_NS1_11comp_targetILNS1_3genE10ELNS1_11target_archE1200ELNS1_3gpuE4ELNS1_3repE0EEENS1_30default_config_static_selectorELNS0_4arch9wavefront6targetE1EEEvSO_: ; @_ZN7rocprim17ROCPRIM_400000_NS6detail17trampoline_kernelINS0_14default_configENS1_37merge_sort_block_sort_config_selectorIlNS0_10empty_typeEEEZNS1_21merge_sort_block_sortIS3_PlS8_PS5_S9_ZN2at6native12_GLOBAL__N_124unique_dim_cuda_templateIN3c108BFloat16EEESt5tupleIJNSA_6TensorESH_SH_EERKSH_lbbbEUlllE_EE10hipError_tT0_T1_T2_T3_mRjT4_P12ihipStream_tbNS1_7vsmem_tEEUlT_E_NS1_11comp_targetILNS1_3genE10ELNS1_11target_archE1200ELNS1_3gpuE4ELNS1_3repE0EEENS1_30default_config_static_selectorELNS0_4arch9wavefront6targetE1EEEvSO_
; %bb.0:
	.section	.rodata,"a",@progbits
	.p2align	6, 0x0
	.amdhsa_kernel _ZN7rocprim17ROCPRIM_400000_NS6detail17trampoline_kernelINS0_14default_configENS1_37merge_sort_block_sort_config_selectorIlNS0_10empty_typeEEEZNS1_21merge_sort_block_sortIS3_PlS8_PS5_S9_ZN2at6native12_GLOBAL__N_124unique_dim_cuda_templateIN3c108BFloat16EEESt5tupleIJNSA_6TensorESH_SH_EERKSH_lbbbEUlllE_EE10hipError_tT0_T1_T2_T3_mRjT4_P12ihipStream_tbNS1_7vsmem_tEEUlT_E_NS1_11comp_targetILNS1_3genE10ELNS1_11target_archE1200ELNS1_3gpuE4ELNS1_3repE0EEENS1_30default_config_static_selectorELNS0_4arch9wavefront6targetE1EEEvSO_
		.amdhsa_group_segment_fixed_size 0
		.amdhsa_private_segment_fixed_size 0
		.amdhsa_kernarg_size 72
		.amdhsa_user_sgpr_count 2
		.amdhsa_user_sgpr_dispatch_ptr 0
		.amdhsa_user_sgpr_queue_ptr 0
		.amdhsa_user_sgpr_kernarg_segment_ptr 1
		.amdhsa_user_sgpr_dispatch_id 0
		.amdhsa_user_sgpr_kernarg_preload_length 0
		.amdhsa_user_sgpr_kernarg_preload_offset 0
		.amdhsa_user_sgpr_private_segment_size 0
		.amdhsa_uses_dynamic_stack 0
		.amdhsa_enable_private_segment 0
		.amdhsa_system_sgpr_workgroup_id_x 1
		.amdhsa_system_sgpr_workgroup_id_y 0
		.amdhsa_system_sgpr_workgroup_id_z 0
		.amdhsa_system_sgpr_workgroup_info 0
		.amdhsa_system_vgpr_workitem_id 0
		.amdhsa_next_free_vgpr 1
		.amdhsa_next_free_sgpr 0
		.amdhsa_accum_offset 4
		.amdhsa_reserve_vcc 0
		.amdhsa_float_round_mode_32 0
		.amdhsa_float_round_mode_16_64 0
		.amdhsa_float_denorm_mode_32 3
		.amdhsa_float_denorm_mode_16_64 3
		.amdhsa_dx10_clamp 1
		.amdhsa_ieee_mode 1
		.amdhsa_fp16_overflow 0
		.amdhsa_tg_split 0
		.amdhsa_exception_fp_ieee_invalid_op 0
		.amdhsa_exception_fp_denorm_src 0
		.amdhsa_exception_fp_ieee_div_zero 0
		.amdhsa_exception_fp_ieee_overflow 0
		.amdhsa_exception_fp_ieee_underflow 0
		.amdhsa_exception_fp_ieee_inexact 0
		.amdhsa_exception_int_div_zero 0
	.end_amdhsa_kernel
	.section	.text._ZN7rocprim17ROCPRIM_400000_NS6detail17trampoline_kernelINS0_14default_configENS1_37merge_sort_block_sort_config_selectorIlNS0_10empty_typeEEEZNS1_21merge_sort_block_sortIS3_PlS8_PS5_S9_ZN2at6native12_GLOBAL__N_124unique_dim_cuda_templateIN3c108BFloat16EEESt5tupleIJNSA_6TensorESH_SH_EERKSH_lbbbEUlllE_EE10hipError_tT0_T1_T2_T3_mRjT4_P12ihipStream_tbNS1_7vsmem_tEEUlT_E_NS1_11comp_targetILNS1_3genE10ELNS1_11target_archE1200ELNS1_3gpuE4ELNS1_3repE0EEENS1_30default_config_static_selectorELNS0_4arch9wavefront6targetE1EEEvSO_,"axG",@progbits,_ZN7rocprim17ROCPRIM_400000_NS6detail17trampoline_kernelINS0_14default_configENS1_37merge_sort_block_sort_config_selectorIlNS0_10empty_typeEEEZNS1_21merge_sort_block_sortIS3_PlS8_PS5_S9_ZN2at6native12_GLOBAL__N_124unique_dim_cuda_templateIN3c108BFloat16EEESt5tupleIJNSA_6TensorESH_SH_EERKSH_lbbbEUlllE_EE10hipError_tT0_T1_T2_T3_mRjT4_P12ihipStream_tbNS1_7vsmem_tEEUlT_E_NS1_11comp_targetILNS1_3genE10ELNS1_11target_archE1200ELNS1_3gpuE4ELNS1_3repE0EEENS1_30default_config_static_selectorELNS0_4arch9wavefront6targetE1EEEvSO_,comdat
.Lfunc_end1130:
	.size	_ZN7rocprim17ROCPRIM_400000_NS6detail17trampoline_kernelINS0_14default_configENS1_37merge_sort_block_sort_config_selectorIlNS0_10empty_typeEEEZNS1_21merge_sort_block_sortIS3_PlS8_PS5_S9_ZN2at6native12_GLOBAL__N_124unique_dim_cuda_templateIN3c108BFloat16EEESt5tupleIJNSA_6TensorESH_SH_EERKSH_lbbbEUlllE_EE10hipError_tT0_T1_T2_T3_mRjT4_P12ihipStream_tbNS1_7vsmem_tEEUlT_E_NS1_11comp_targetILNS1_3genE10ELNS1_11target_archE1200ELNS1_3gpuE4ELNS1_3repE0EEENS1_30default_config_static_selectorELNS0_4arch9wavefront6targetE1EEEvSO_, .Lfunc_end1130-_ZN7rocprim17ROCPRIM_400000_NS6detail17trampoline_kernelINS0_14default_configENS1_37merge_sort_block_sort_config_selectorIlNS0_10empty_typeEEEZNS1_21merge_sort_block_sortIS3_PlS8_PS5_S9_ZN2at6native12_GLOBAL__N_124unique_dim_cuda_templateIN3c108BFloat16EEESt5tupleIJNSA_6TensorESH_SH_EERKSH_lbbbEUlllE_EE10hipError_tT0_T1_T2_T3_mRjT4_P12ihipStream_tbNS1_7vsmem_tEEUlT_E_NS1_11comp_targetILNS1_3genE10ELNS1_11target_archE1200ELNS1_3gpuE4ELNS1_3repE0EEENS1_30default_config_static_selectorELNS0_4arch9wavefront6targetE1EEEvSO_
                                        ; -- End function
	.section	.AMDGPU.csdata,"",@progbits
; Kernel info:
; codeLenInByte = 0
; NumSgprs: 6
; NumVgprs: 0
; NumAgprs: 0
; TotalNumVgprs: 0
; ScratchSize: 0
; MemoryBound: 0
; FloatMode: 240
; IeeeMode: 1
; LDSByteSize: 0 bytes/workgroup (compile time only)
; SGPRBlocks: 0
; VGPRBlocks: 0
; NumSGPRsForWavesPerEU: 6
; NumVGPRsForWavesPerEU: 1
; AccumOffset: 4
; Occupancy: 8
; WaveLimiterHint : 0
; COMPUTE_PGM_RSRC2:SCRATCH_EN: 0
; COMPUTE_PGM_RSRC2:USER_SGPR: 2
; COMPUTE_PGM_RSRC2:TRAP_HANDLER: 0
; COMPUTE_PGM_RSRC2:TGID_X_EN: 1
; COMPUTE_PGM_RSRC2:TGID_Y_EN: 0
; COMPUTE_PGM_RSRC2:TGID_Z_EN: 0
; COMPUTE_PGM_RSRC2:TIDIG_COMP_CNT: 0
; COMPUTE_PGM_RSRC3_GFX90A:ACCUM_OFFSET: 0
; COMPUTE_PGM_RSRC3_GFX90A:TG_SPLIT: 0
	.section	.text._ZN7rocprim17ROCPRIM_400000_NS6detail17trampoline_kernelINS0_14default_configENS1_37merge_sort_block_sort_config_selectorIlNS0_10empty_typeEEEZNS1_21merge_sort_block_sortIS3_PlS8_PS5_S9_ZN2at6native12_GLOBAL__N_124unique_dim_cuda_templateIN3c108BFloat16EEESt5tupleIJNSA_6TensorESH_SH_EERKSH_lbbbEUlllE_EE10hipError_tT0_T1_T2_T3_mRjT4_P12ihipStream_tbNS1_7vsmem_tEEUlT_E_NS1_11comp_targetILNS1_3genE9ELNS1_11target_archE1100ELNS1_3gpuE3ELNS1_3repE0EEENS1_30default_config_static_selectorELNS0_4arch9wavefront6targetE1EEEvSO_,"axG",@progbits,_ZN7rocprim17ROCPRIM_400000_NS6detail17trampoline_kernelINS0_14default_configENS1_37merge_sort_block_sort_config_selectorIlNS0_10empty_typeEEEZNS1_21merge_sort_block_sortIS3_PlS8_PS5_S9_ZN2at6native12_GLOBAL__N_124unique_dim_cuda_templateIN3c108BFloat16EEESt5tupleIJNSA_6TensorESH_SH_EERKSH_lbbbEUlllE_EE10hipError_tT0_T1_T2_T3_mRjT4_P12ihipStream_tbNS1_7vsmem_tEEUlT_E_NS1_11comp_targetILNS1_3genE9ELNS1_11target_archE1100ELNS1_3gpuE3ELNS1_3repE0EEENS1_30default_config_static_selectorELNS0_4arch9wavefront6targetE1EEEvSO_,comdat
	.globl	_ZN7rocprim17ROCPRIM_400000_NS6detail17trampoline_kernelINS0_14default_configENS1_37merge_sort_block_sort_config_selectorIlNS0_10empty_typeEEEZNS1_21merge_sort_block_sortIS3_PlS8_PS5_S9_ZN2at6native12_GLOBAL__N_124unique_dim_cuda_templateIN3c108BFloat16EEESt5tupleIJNSA_6TensorESH_SH_EERKSH_lbbbEUlllE_EE10hipError_tT0_T1_T2_T3_mRjT4_P12ihipStream_tbNS1_7vsmem_tEEUlT_E_NS1_11comp_targetILNS1_3genE9ELNS1_11target_archE1100ELNS1_3gpuE3ELNS1_3repE0EEENS1_30default_config_static_selectorELNS0_4arch9wavefront6targetE1EEEvSO_ ; -- Begin function _ZN7rocprim17ROCPRIM_400000_NS6detail17trampoline_kernelINS0_14default_configENS1_37merge_sort_block_sort_config_selectorIlNS0_10empty_typeEEEZNS1_21merge_sort_block_sortIS3_PlS8_PS5_S9_ZN2at6native12_GLOBAL__N_124unique_dim_cuda_templateIN3c108BFloat16EEESt5tupleIJNSA_6TensorESH_SH_EERKSH_lbbbEUlllE_EE10hipError_tT0_T1_T2_T3_mRjT4_P12ihipStream_tbNS1_7vsmem_tEEUlT_E_NS1_11comp_targetILNS1_3genE9ELNS1_11target_archE1100ELNS1_3gpuE3ELNS1_3repE0EEENS1_30default_config_static_selectorELNS0_4arch9wavefront6targetE1EEEvSO_
	.p2align	8
	.type	_ZN7rocprim17ROCPRIM_400000_NS6detail17trampoline_kernelINS0_14default_configENS1_37merge_sort_block_sort_config_selectorIlNS0_10empty_typeEEEZNS1_21merge_sort_block_sortIS3_PlS8_PS5_S9_ZN2at6native12_GLOBAL__N_124unique_dim_cuda_templateIN3c108BFloat16EEESt5tupleIJNSA_6TensorESH_SH_EERKSH_lbbbEUlllE_EE10hipError_tT0_T1_T2_T3_mRjT4_P12ihipStream_tbNS1_7vsmem_tEEUlT_E_NS1_11comp_targetILNS1_3genE9ELNS1_11target_archE1100ELNS1_3gpuE3ELNS1_3repE0EEENS1_30default_config_static_selectorELNS0_4arch9wavefront6targetE1EEEvSO_,@function
_ZN7rocprim17ROCPRIM_400000_NS6detail17trampoline_kernelINS0_14default_configENS1_37merge_sort_block_sort_config_selectorIlNS0_10empty_typeEEEZNS1_21merge_sort_block_sortIS3_PlS8_PS5_S9_ZN2at6native12_GLOBAL__N_124unique_dim_cuda_templateIN3c108BFloat16EEESt5tupleIJNSA_6TensorESH_SH_EERKSH_lbbbEUlllE_EE10hipError_tT0_T1_T2_T3_mRjT4_P12ihipStream_tbNS1_7vsmem_tEEUlT_E_NS1_11comp_targetILNS1_3genE9ELNS1_11target_archE1100ELNS1_3gpuE3ELNS1_3repE0EEENS1_30default_config_static_selectorELNS0_4arch9wavefront6targetE1EEEvSO_: ; @_ZN7rocprim17ROCPRIM_400000_NS6detail17trampoline_kernelINS0_14default_configENS1_37merge_sort_block_sort_config_selectorIlNS0_10empty_typeEEEZNS1_21merge_sort_block_sortIS3_PlS8_PS5_S9_ZN2at6native12_GLOBAL__N_124unique_dim_cuda_templateIN3c108BFloat16EEESt5tupleIJNSA_6TensorESH_SH_EERKSH_lbbbEUlllE_EE10hipError_tT0_T1_T2_T3_mRjT4_P12ihipStream_tbNS1_7vsmem_tEEUlT_E_NS1_11comp_targetILNS1_3genE9ELNS1_11target_archE1100ELNS1_3gpuE3ELNS1_3repE0EEENS1_30default_config_static_selectorELNS0_4arch9wavefront6targetE1EEEvSO_
; %bb.0:
	.section	.rodata,"a",@progbits
	.p2align	6, 0x0
	.amdhsa_kernel _ZN7rocprim17ROCPRIM_400000_NS6detail17trampoline_kernelINS0_14default_configENS1_37merge_sort_block_sort_config_selectorIlNS0_10empty_typeEEEZNS1_21merge_sort_block_sortIS3_PlS8_PS5_S9_ZN2at6native12_GLOBAL__N_124unique_dim_cuda_templateIN3c108BFloat16EEESt5tupleIJNSA_6TensorESH_SH_EERKSH_lbbbEUlllE_EE10hipError_tT0_T1_T2_T3_mRjT4_P12ihipStream_tbNS1_7vsmem_tEEUlT_E_NS1_11comp_targetILNS1_3genE9ELNS1_11target_archE1100ELNS1_3gpuE3ELNS1_3repE0EEENS1_30default_config_static_selectorELNS0_4arch9wavefront6targetE1EEEvSO_
		.amdhsa_group_segment_fixed_size 0
		.amdhsa_private_segment_fixed_size 0
		.amdhsa_kernarg_size 72
		.amdhsa_user_sgpr_count 2
		.amdhsa_user_sgpr_dispatch_ptr 0
		.amdhsa_user_sgpr_queue_ptr 0
		.amdhsa_user_sgpr_kernarg_segment_ptr 1
		.amdhsa_user_sgpr_dispatch_id 0
		.amdhsa_user_sgpr_kernarg_preload_length 0
		.amdhsa_user_sgpr_kernarg_preload_offset 0
		.amdhsa_user_sgpr_private_segment_size 0
		.amdhsa_uses_dynamic_stack 0
		.amdhsa_enable_private_segment 0
		.amdhsa_system_sgpr_workgroup_id_x 1
		.amdhsa_system_sgpr_workgroup_id_y 0
		.amdhsa_system_sgpr_workgroup_id_z 0
		.amdhsa_system_sgpr_workgroup_info 0
		.amdhsa_system_vgpr_workitem_id 0
		.amdhsa_next_free_vgpr 1
		.amdhsa_next_free_sgpr 0
		.amdhsa_accum_offset 4
		.amdhsa_reserve_vcc 0
		.amdhsa_float_round_mode_32 0
		.amdhsa_float_round_mode_16_64 0
		.amdhsa_float_denorm_mode_32 3
		.amdhsa_float_denorm_mode_16_64 3
		.amdhsa_dx10_clamp 1
		.amdhsa_ieee_mode 1
		.amdhsa_fp16_overflow 0
		.amdhsa_tg_split 0
		.amdhsa_exception_fp_ieee_invalid_op 0
		.amdhsa_exception_fp_denorm_src 0
		.amdhsa_exception_fp_ieee_div_zero 0
		.amdhsa_exception_fp_ieee_overflow 0
		.amdhsa_exception_fp_ieee_underflow 0
		.amdhsa_exception_fp_ieee_inexact 0
		.amdhsa_exception_int_div_zero 0
	.end_amdhsa_kernel
	.section	.text._ZN7rocprim17ROCPRIM_400000_NS6detail17trampoline_kernelINS0_14default_configENS1_37merge_sort_block_sort_config_selectorIlNS0_10empty_typeEEEZNS1_21merge_sort_block_sortIS3_PlS8_PS5_S9_ZN2at6native12_GLOBAL__N_124unique_dim_cuda_templateIN3c108BFloat16EEESt5tupleIJNSA_6TensorESH_SH_EERKSH_lbbbEUlllE_EE10hipError_tT0_T1_T2_T3_mRjT4_P12ihipStream_tbNS1_7vsmem_tEEUlT_E_NS1_11comp_targetILNS1_3genE9ELNS1_11target_archE1100ELNS1_3gpuE3ELNS1_3repE0EEENS1_30default_config_static_selectorELNS0_4arch9wavefront6targetE1EEEvSO_,"axG",@progbits,_ZN7rocprim17ROCPRIM_400000_NS6detail17trampoline_kernelINS0_14default_configENS1_37merge_sort_block_sort_config_selectorIlNS0_10empty_typeEEEZNS1_21merge_sort_block_sortIS3_PlS8_PS5_S9_ZN2at6native12_GLOBAL__N_124unique_dim_cuda_templateIN3c108BFloat16EEESt5tupleIJNSA_6TensorESH_SH_EERKSH_lbbbEUlllE_EE10hipError_tT0_T1_T2_T3_mRjT4_P12ihipStream_tbNS1_7vsmem_tEEUlT_E_NS1_11comp_targetILNS1_3genE9ELNS1_11target_archE1100ELNS1_3gpuE3ELNS1_3repE0EEENS1_30default_config_static_selectorELNS0_4arch9wavefront6targetE1EEEvSO_,comdat
.Lfunc_end1131:
	.size	_ZN7rocprim17ROCPRIM_400000_NS6detail17trampoline_kernelINS0_14default_configENS1_37merge_sort_block_sort_config_selectorIlNS0_10empty_typeEEEZNS1_21merge_sort_block_sortIS3_PlS8_PS5_S9_ZN2at6native12_GLOBAL__N_124unique_dim_cuda_templateIN3c108BFloat16EEESt5tupleIJNSA_6TensorESH_SH_EERKSH_lbbbEUlllE_EE10hipError_tT0_T1_T2_T3_mRjT4_P12ihipStream_tbNS1_7vsmem_tEEUlT_E_NS1_11comp_targetILNS1_3genE9ELNS1_11target_archE1100ELNS1_3gpuE3ELNS1_3repE0EEENS1_30default_config_static_selectorELNS0_4arch9wavefront6targetE1EEEvSO_, .Lfunc_end1131-_ZN7rocprim17ROCPRIM_400000_NS6detail17trampoline_kernelINS0_14default_configENS1_37merge_sort_block_sort_config_selectorIlNS0_10empty_typeEEEZNS1_21merge_sort_block_sortIS3_PlS8_PS5_S9_ZN2at6native12_GLOBAL__N_124unique_dim_cuda_templateIN3c108BFloat16EEESt5tupleIJNSA_6TensorESH_SH_EERKSH_lbbbEUlllE_EE10hipError_tT0_T1_T2_T3_mRjT4_P12ihipStream_tbNS1_7vsmem_tEEUlT_E_NS1_11comp_targetILNS1_3genE9ELNS1_11target_archE1100ELNS1_3gpuE3ELNS1_3repE0EEENS1_30default_config_static_selectorELNS0_4arch9wavefront6targetE1EEEvSO_
                                        ; -- End function
	.section	.AMDGPU.csdata,"",@progbits
; Kernel info:
; codeLenInByte = 0
; NumSgprs: 6
; NumVgprs: 0
; NumAgprs: 0
; TotalNumVgprs: 0
; ScratchSize: 0
; MemoryBound: 0
; FloatMode: 240
; IeeeMode: 1
; LDSByteSize: 0 bytes/workgroup (compile time only)
; SGPRBlocks: 0
; VGPRBlocks: 0
; NumSGPRsForWavesPerEU: 6
; NumVGPRsForWavesPerEU: 1
; AccumOffset: 4
; Occupancy: 8
; WaveLimiterHint : 0
; COMPUTE_PGM_RSRC2:SCRATCH_EN: 0
; COMPUTE_PGM_RSRC2:USER_SGPR: 2
; COMPUTE_PGM_RSRC2:TRAP_HANDLER: 0
; COMPUTE_PGM_RSRC2:TGID_X_EN: 1
; COMPUTE_PGM_RSRC2:TGID_Y_EN: 0
; COMPUTE_PGM_RSRC2:TGID_Z_EN: 0
; COMPUTE_PGM_RSRC2:TIDIG_COMP_CNT: 0
; COMPUTE_PGM_RSRC3_GFX90A:ACCUM_OFFSET: 0
; COMPUTE_PGM_RSRC3_GFX90A:TG_SPLIT: 0
	.section	.text._ZN7rocprim17ROCPRIM_400000_NS6detail17trampoline_kernelINS0_14default_configENS1_37merge_sort_block_sort_config_selectorIlNS0_10empty_typeEEEZNS1_21merge_sort_block_sortIS3_PlS8_PS5_S9_ZN2at6native12_GLOBAL__N_124unique_dim_cuda_templateIN3c108BFloat16EEESt5tupleIJNSA_6TensorESH_SH_EERKSH_lbbbEUlllE_EE10hipError_tT0_T1_T2_T3_mRjT4_P12ihipStream_tbNS1_7vsmem_tEEUlT_E_NS1_11comp_targetILNS1_3genE8ELNS1_11target_archE1030ELNS1_3gpuE2ELNS1_3repE0EEENS1_30default_config_static_selectorELNS0_4arch9wavefront6targetE1EEEvSO_,"axG",@progbits,_ZN7rocprim17ROCPRIM_400000_NS6detail17trampoline_kernelINS0_14default_configENS1_37merge_sort_block_sort_config_selectorIlNS0_10empty_typeEEEZNS1_21merge_sort_block_sortIS3_PlS8_PS5_S9_ZN2at6native12_GLOBAL__N_124unique_dim_cuda_templateIN3c108BFloat16EEESt5tupleIJNSA_6TensorESH_SH_EERKSH_lbbbEUlllE_EE10hipError_tT0_T1_T2_T3_mRjT4_P12ihipStream_tbNS1_7vsmem_tEEUlT_E_NS1_11comp_targetILNS1_3genE8ELNS1_11target_archE1030ELNS1_3gpuE2ELNS1_3repE0EEENS1_30default_config_static_selectorELNS0_4arch9wavefront6targetE1EEEvSO_,comdat
	.globl	_ZN7rocprim17ROCPRIM_400000_NS6detail17trampoline_kernelINS0_14default_configENS1_37merge_sort_block_sort_config_selectorIlNS0_10empty_typeEEEZNS1_21merge_sort_block_sortIS3_PlS8_PS5_S9_ZN2at6native12_GLOBAL__N_124unique_dim_cuda_templateIN3c108BFloat16EEESt5tupleIJNSA_6TensorESH_SH_EERKSH_lbbbEUlllE_EE10hipError_tT0_T1_T2_T3_mRjT4_P12ihipStream_tbNS1_7vsmem_tEEUlT_E_NS1_11comp_targetILNS1_3genE8ELNS1_11target_archE1030ELNS1_3gpuE2ELNS1_3repE0EEENS1_30default_config_static_selectorELNS0_4arch9wavefront6targetE1EEEvSO_ ; -- Begin function _ZN7rocprim17ROCPRIM_400000_NS6detail17trampoline_kernelINS0_14default_configENS1_37merge_sort_block_sort_config_selectorIlNS0_10empty_typeEEEZNS1_21merge_sort_block_sortIS3_PlS8_PS5_S9_ZN2at6native12_GLOBAL__N_124unique_dim_cuda_templateIN3c108BFloat16EEESt5tupleIJNSA_6TensorESH_SH_EERKSH_lbbbEUlllE_EE10hipError_tT0_T1_T2_T3_mRjT4_P12ihipStream_tbNS1_7vsmem_tEEUlT_E_NS1_11comp_targetILNS1_3genE8ELNS1_11target_archE1030ELNS1_3gpuE2ELNS1_3repE0EEENS1_30default_config_static_selectorELNS0_4arch9wavefront6targetE1EEEvSO_
	.p2align	8
	.type	_ZN7rocprim17ROCPRIM_400000_NS6detail17trampoline_kernelINS0_14default_configENS1_37merge_sort_block_sort_config_selectorIlNS0_10empty_typeEEEZNS1_21merge_sort_block_sortIS3_PlS8_PS5_S9_ZN2at6native12_GLOBAL__N_124unique_dim_cuda_templateIN3c108BFloat16EEESt5tupleIJNSA_6TensorESH_SH_EERKSH_lbbbEUlllE_EE10hipError_tT0_T1_T2_T3_mRjT4_P12ihipStream_tbNS1_7vsmem_tEEUlT_E_NS1_11comp_targetILNS1_3genE8ELNS1_11target_archE1030ELNS1_3gpuE2ELNS1_3repE0EEENS1_30default_config_static_selectorELNS0_4arch9wavefront6targetE1EEEvSO_,@function
_ZN7rocprim17ROCPRIM_400000_NS6detail17trampoline_kernelINS0_14default_configENS1_37merge_sort_block_sort_config_selectorIlNS0_10empty_typeEEEZNS1_21merge_sort_block_sortIS3_PlS8_PS5_S9_ZN2at6native12_GLOBAL__N_124unique_dim_cuda_templateIN3c108BFloat16EEESt5tupleIJNSA_6TensorESH_SH_EERKSH_lbbbEUlllE_EE10hipError_tT0_T1_T2_T3_mRjT4_P12ihipStream_tbNS1_7vsmem_tEEUlT_E_NS1_11comp_targetILNS1_3genE8ELNS1_11target_archE1030ELNS1_3gpuE2ELNS1_3repE0EEENS1_30default_config_static_selectorELNS0_4arch9wavefront6targetE1EEEvSO_: ; @_ZN7rocprim17ROCPRIM_400000_NS6detail17trampoline_kernelINS0_14default_configENS1_37merge_sort_block_sort_config_selectorIlNS0_10empty_typeEEEZNS1_21merge_sort_block_sortIS3_PlS8_PS5_S9_ZN2at6native12_GLOBAL__N_124unique_dim_cuda_templateIN3c108BFloat16EEESt5tupleIJNSA_6TensorESH_SH_EERKSH_lbbbEUlllE_EE10hipError_tT0_T1_T2_T3_mRjT4_P12ihipStream_tbNS1_7vsmem_tEEUlT_E_NS1_11comp_targetILNS1_3genE8ELNS1_11target_archE1030ELNS1_3gpuE2ELNS1_3repE0EEENS1_30default_config_static_selectorELNS0_4arch9wavefront6targetE1EEEvSO_
; %bb.0:
	.section	.rodata,"a",@progbits
	.p2align	6, 0x0
	.amdhsa_kernel _ZN7rocprim17ROCPRIM_400000_NS6detail17trampoline_kernelINS0_14default_configENS1_37merge_sort_block_sort_config_selectorIlNS0_10empty_typeEEEZNS1_21merge_sort_block_sortIS3_PlS8_PS5_S9_ZN2at6native12_GLOBAL__N_124unique_dim_cuda_templateIN3c108BFloat16EEESt5tupleIJNSA_6TensorESH_SH_EERKSH_lbbbEUlllE_EE10hipError_tT0_T1_T2_T3_mRjT4_P12ihipStream_tbNS1_7vsmem_tEEUlT_E_NS1_11comp_targetILNS1_3genE8ELNS1_11target_archE1030ELNS1_3gpuE2ELNS1_3repE0EEENS1_30default_config_static_selectorELNS0_4arch9wavefront6targetE1EEEvSO_
		.amdhsa_group_segment_fixed_size 0
		.amdhsa_private_segment_fixed_size 0
		.amdhsa_kernarg_size 72
		.amdhsa_user_sgpr_count 2
		.amdhsa_user_sgpr_dispatch_ptr 0
		.amdhsa_user_sgpr_queue_ptr 0
		.amdhsa_user_sgpr_kernarg_segment_ptr 1
		.amdhsa_user_sgpr_dispatch_id 0
		.amdhsa_user_sgpr_kernarg_preload_length 0
		.amdhsa_user_sgpr_kernarg_preload_offset 0
		.amdhsa_user_sgpr_private_segment_size 0
		.amdhsa_uses_dynamic_stack 0
		.amdhsa_enable_private_segment 0
		.amdhsa_system_sgpr_workgroup_id_x 1
		.amdhsa_system_sgpr_workgroup_id_y 0
		.amdhsa_system_sgpr_workgroup_id_z 0
		.amdhsa_system_sgpr_workgroup_info 0
		.amdhsa_system_vgpr_workitem_id 0
		.amdhsa_next_free_vgpr 1
		.amdhsa_next_free_sgpr 0
		.amdhsa_accum_offset 4
		.amdhsa_reserve_vcc 0
		.amdhsa_float_round_mode_32 0
		.amdhsa_float_round_mode_16_64 0
		.amdhsa_float_denorm_mode_32 3
		.amdhsa_float_denorm_mode_16_64 3
		.amdhsa_dx10_clamp 1
		.amdhsa_ieee_mode 1
		.amdhsa_fp16_overflow 0
		.amdhsa_tg_split 0
		.amdhsa_exception_fp_ieee_invalid_op 0
		.amdhsa_exception_fp_denorm_src 0
		.amdhsa_exception_fp_ieee_div_zero 0
		.amdhsa_exception_fp_ieee_overflow 0
		.amdhsa_exception_fp_ieee_underflow 0
		.amdhsa_exception_fp_ieee_inexact 0
		.amdhsa_exception_int_div_zero 0
	.end_amdhsa_kernel
	.section	.text._ZN7rocprim17ROCPRIM_400000_NS6detail17trampoline_kernelINS0_14default_configENS1_37merge_sort_block_sort_config_selectorIlNS0_10empty_typeEEEZNS1_21merge_sort_block_sortIS3_PlS8_PS5_S9_ZN2at6native12_GLOBAL__N_124unique_dim_cuda_templateIN3c108BFloat16EEESt5tupleIJNSA_6TensorESH_SH_EERKSH_lbbbEUlllE_EE10hipError_tT0_T1_T2_T3_mRjT4_P12ihipStream_tbNS1_7vsmem_tEEUlT_E_NS1_11comp_targetILNS1_3genE8ELNS1_11target_archE1030ELNS1_3gpuE2ELNS1_3repE0EEENS1_30default_config_static_selectorELNS0_4arch9wavefront6targetE1EEEvSO_,"axG",@progbits,_ZN7rocprim17ROCPRIM_400000_NS6detail17trampoline_kernelINS0_14default_configENS1_37merge_sort_block_sort_config_selectorIlNS0_10empty_typeEEEZNS1_21merge_sort_block_sortIS3_PlS8_PS5_S9_ZN2at6native12_GLOBAL__N_124unique_dim_cuda_templateIN3c108BFloat16EEESt5tupleIJNSA_6TensorESH_SH_EERKSH_lbbbEUlllE_EE10hipError_tT0_T1_T2_T3_mRjT4_P12ihipStream_tbNS1_7vsmem_tEEUlT_E_NS1_11comp_targetILNS1_3genE8ELNS1_11target_archE1030ELNS1_3gpuE2ELNS1_3repE0EEENS1_30default_config_static_selectorELNS0_4arch9wavefront6targetE1EEEvSO_,comdat
.Lfunc_end1132:
	.size	_ZN7rocprim17ROCPRIM_400000_NS6detail17trampoline_kernelINS0_14default_configENS1_37merge_sort_block_sort_config_selectorIlNS0_10empty_typeEEEZNS1_21merge_sort_block_sortIS3_PlS8_PS5_S9_ZN2at6native12_GLOBAL__N_124unique_dim_cuda_templateIN3c108BFloat16EEESt5tupleIJNSA_6TensorESH_SH_EERKSH_lbbbEUlllE_EE10hipError_tT0_T1_T2_T3_mRjT4_P12ihipStream_tbNS1_7vsmem_tEEUlT_E_NS1_11comp_targetILNS1_3genE8ELNS1_11target_archE1030ELNS1_3gpuE2ELNS1_3repE0EEENS1_30default_config_static_selectorELNS0_4arch9wavefront6targetE1EEEvSO_, .Lfunc_end1132-_ZN7rocprim17ROCPRIM_400000_NS6detail17trampoline_kernelINS0_14default_configENS1_37merge_sort_block_sort_config_selectorIlNS0_10empty_typeEEEZNS1_21merge_sort_block_sortIS3_PlS8_PS5_S9_ZN2at6native12_GLOBAL__N_124unique_dim_cuda_templateIN3c108BFloat16EEESt5tupleIJNSA_6TensorESH_SH_EERKSH_lbbbEUlllE_EE10hipError_tT0_T1_T2_T3_mRjT4_P12ihipStream_tbNS1_7vsmem_tEEUlT_E_NS1_11comp_targetILNS1_3genE8ELNS1_11target_archE1030ELNS1_3gpuE2ELNS1_3repE0EEENS1_30default_config_static_selectorELNS0_4arch9wavefront6targetE1EEEvSO_
                                        ; -- End function
	.section	.AMDGPU.csdata,"",@progbits
; Kernel info:
; codeLenInByte = 0
; NumSgprs: 6
; NumVgprs: 0
; NumAgprs: 0
; TotalNumVgprs: 0
; ScratchSize: 0
; MemoryBound: 0
; FloatMode: 240
; IeeeMode: 1
; LDSByteSize: 0 bytes/workgroup (compile time only)
; SGPRBlocks: 0
; VGPRBlocks: 0
; NumSGPRsForWavesPerEU: 6
; NumVGPRsForWavesPerEU: 1
; AccumOffset: 4
; Occupancy: 8
; WaveLimiterHint : 0
; COMPUTE_PGM_RSRC2:SCRATCH_EN: 0
; COMPUTE_PGM_RSRC2:USER_SGPR: 2
; COMPUTE_PGM_RSRC2:TRAP_HANDLER: 0
; COMPUTE_PGM_RSRC2:TGID_X_EN: 1
; COMPUTE_PGM_RSRC2:TGID_Y_EN: 0
; COMPUTE_PGM_RSRC2:TGID_Z_EN: 0
; COMPUTE_PGM_RSRC2:TIDIG_COMP_CNT: 0
; COMPUTE_PGM_RSRC3_GFX90A:ACCUM_OFFSET: 0
; COMPUTE_PGM_RSRC3_GFX90A:TG_SPLIT: 0
	.section	.text._ZN7rocprim17ROCPRIM_400000_NS6detail17trampoline_kernelINS0_14default_configENS1_38merge_sort_block_merge_config_selectorIlNS0_10empty_typeEEEZZNS1_27merge_sort_block_merge_implIS3_PlPS5_mZN2at6native12_GLOBAL__N_124unique_dim_cuda_templateIN3c108BFloat16EEESt5tupleIJNSA_6TensorESH_SH_EERKSH_lbbbEUlllE_EE10hipError_tT0_T1_T2_jT3_P12ihipStream_tbPNSt15iterator_traitsISN_E10value_typeEPNST_ISO_E10value_typeEPSP_NS1_7vsmem_tEENKUlT_SN_SO_SP_E_clIS8_S8_S9_S9_EESM_S12_SN_SO_SP_EUlS12_E_NS1_11comp_targetILNS1_3genE0ELNS1_11target_archE4294967295ELNS1_3gpuE0ELNS1_3repE0EEENS1_48merge_mergepath_partition_config_static_selectorELNS0_4arch9wavefront6targetE1EEEvSO_,"axG",@progbits,_ZN7rocprim17ROCPRIM_400000_NS6detail17trampoline_kernelINS0_14default_configENS1_38merge_sort_block_merge_config_selectorIlNS0_10empty_typeEEEZZNS1_27merge_sort_block_merge_implIS3_PlPS5_mZN2at6native12_GLOBAL__N_124unique_dim_cuda_templateIN3c108BFloat16EEESt5tupleIJNSA_6TensorESH_SH_EERKSH_lbbbEUlllE_EE10hipError_tT0_T1_T2_jT3_P12ihipStream_tbPNSt15iterator_traitsISN_E10value_typeEPNST_ISO_E10value_typeEPSP_NS1_7vsmem_tEENKUlT_SN_SO_SP_E_clIS8_S8_S9_S9_EESM_S12_SN_SO_SP_EUlS12_E_NS1_11comp_targetILNS1_3genE0ELNS1_11target_archE4294967295ELNS1_3gpuE0ELNS1_3repE0EEENS1_48merge_mergepath_partition_config_static_selectorELNS0_4arch9wavefront6targetE1EEEvSO_,comdat
	.globl	_ZN7rocprim17ROCPRIM_400000_NS6detail17trampoline_kernelINS0_14default_configENS1_38merge_sort_block_merge_config_selectorIlNS0_10empty_typeEEEZZNS1_27merge_sort_block_merge_implIS3_PlPS5_mZN2at6native12_GLOBAL__N_124unique_dim_cuda_templateIN3c108BFloat16EEESt5tupleIJNSA_6TensorESH_SH_EERKSH_lbbbEUlllE_EE10hipError_tT0_T1_T2_jT3_P12ihipStream_tbPNSt15iterator_traitsISN_E10value_typeEPNST_ISO_E10value_typeEPSP_NS1_7vsmem_tEENKUlT_SN_SO_SP_E_clIS8_S8_S9_S9_EESM_S12_SN_SO_SP_EUlS12_E_NS1_11comp_targetILNS1_3genE0ELNS1_11target_archE4294967295ELNS1_3gpuE0ELNS1_3repE0EEENS1_48merge_mergepath_partition_config_static_selectorELNS0_4arch9wavefront6targetE1EEEvSO_ ; -- Begin function _ZN7rocprim17ROCPRIM_400000_NS6detail17trampoline_kernelINS0_14default_configENS1_38merge_sort_block_merge_config_selectorIlNS0_10empty_typeEEEZZNS1_27merge_sort_block_merge_implIS3_PlPS5_mZN2at6native12_GLOBAL__N_124unique_dim_cuda_templateIN3c108BFloat16EEESt5tupleIJNSA_6TensorESH_SH_EERKSH_lbbbEUlllE_EE10hipError_tT0_T1_T2_jT3_P12ihipStream_tbPNSt15iterator_traitsISN_E10value_typeEPNST_ISO_E10value_typeEPSP_NS1_7vsmem_tEENKUlT_SN_SO_SP_E_clIS8_S8_S9_S9_EESM_S12_SN_SO_SP_EUlS12_E_NS1_11comp_targetILNS1_3genE0ELNS1_11target_archE4294967295ELNS1_3gpuE0ELNS1_3repE0EEENS1_48merge_mergepath_partition_config_static_selectorELNS0_4arch9wavefront6targetE1EEEvSO_
	.p2align	8
	.type	_ZN7rocprim17ROCPRIM_400000_NS6detail17trampoline_kernelINS0_14default_configENS1_38merge_sort_block_merge_config_selectorIlNS0_10empty_typeEEEZZNS1_27merge_sort_block_merge_implIS3_PlPS5_mZN2at6native12_GLOBAL__N_124unique_dim_cuda_templateIN3c108BFloat16EEESt5tupleIJNSA_6TensorESH_SH_EERKSH_lbbbEUlllE_EE10hipError_tT0_T1_T2_jT3_P12ihipStream_tbPNSt15iterator_traitsISN_E10value_typeEPNST_ISO_E10value_typeEPSP_NS1_7vsmem_tEENKUlT_SN_SO_SP_E_clIS8_S8_S9_S9_EESM_S12_SN_SO_SP_EUlS12_E_NS1_11comp_targetILNS1_3genE0ELNS1_11target_archE4294967295ELNS1_3gpuE0ELNS1_3repE0EEENS1_48merge_mergepath_partition_config_static_selectorELNS0_4arch9wavefront6targetE1EEEvSO_,@function
_ZN7rocprim17ROCPRIM_400000_NS6detail17trampoline_kernelINS0_14default_configENS1_38merge_sort_block_merge_config_selectorIlNS0_10empty_typeEEEZZNS1_27merge_sort_block_merge_implIS3_PlPS5_mZN2at6native12_GLOBAL__N_124unique_dim_cuda_templateIN3c108BFloat16EEESt5tupleIJNSA_6TensorESH_SH_EERKSH_lbbbEUlllE_EE10hipError_tT0_T1_T2_jT3_P12ihipStream_tbPNSt15iterator_traitsISN_E10value_typeEPNST_ISO_E10value_typeEPSP_NS1_7vsmem_tEENKUlT_SN_SO_SP_E_clIS8_S8_S9_S9_EESM_S12_SN_SO_SP_EUlS12_E_NS1_11comp_targetILNS1_3genE0ELNS1_11target_archE4294967295ELNS1_3gpuE0ELNS1_3repE0EEENS1_48merge_mergepath_partition_config_static_selectorELNS0_4arch9wavefront6targetE1EEEvSO_: ; @_ZN7rocprim17ROCPRIM_400000_NS6detail17trampoline_kernelINS0_14default_configENS1_38merge_sort_block_merge_config_selectorIlNS0_10empty_typeEEEZZNS1_27merge_sort_block_merge_implIS3_PlPS5_mZN2at6native12_GLOBAL__N_124unique_dim_cuda_templateIN3c108BFloat16EEESt5tupleIJNSA_6TensorESH_SH_EERKSH_lbbbEUlllE_EE10hipError_tT0_T1_T2_jT3_P12ihipStream_tbPNSt15iterator_traitsISN_E10value_typeEPNST_ISO_E10value_typeEPSP_NS1_7vsmem_tEENKUlT_SN_SO_SP_E_clIS8_S8_S9_S9_EESM_S12_SN_SO_SP_EUlS12_E_NS1_11comp_targetILNS1_3genE0ELNS1_11target_archE4294967295ELNS1_3gpuE0ELNS1_3repE0EEENS1_48merge_mergepath_partition_config_static_selectorELNS0_4arch9wavefront6targetE1EEEvSO_
; %bb.0:
	.section	.rodata,"a",@progbits
	.p2align	6, 0x0
	.amdhsa_kernel _ZN7rocprim17ROCPRIM_400000_NS6detail17trampoline_kernelINS0_14default_configENS1_38merge_sort_block_merge_config_selectorIlNS0_10empty_typeEEEZZNS1_27merge_sort_block_merge_implIS3_PlPS5_mZN2at6native12_GLOBAL__N_124unique_dim_cuda_templateIN3c108BFloat16EEESt5tupleIJNSA_6TensorESH_SH_EERKSH_lbbbEUlllE_EE10hipError_tT0_T1_T2_jT3_P12ihipStream_tbPNSt15iterator_traitsISN_E10value_typeEPNST_ISO_E10value_typeEPSP_NS1_7vsmem_tEENKUlT_SN_SO_SP_E_clIS8_S8_S9_S9_EESM_S12_SN_SO_SP_EUlS12_E_NS1_11comp_targetILNS1_3genE0ELNS1_11target_archE4294967295ELNS1_3gpuE0ELNS1_3repE0EEENS1_48merge_mergepath_partition_config_static_selectorELNS0_4arch9wavefront6targetE1EEEvSO_
		.amdhsa_group_segment_fixed_size 0
		.amdhsa_private_segment_fixed_size 0
		.amdhsa_kernarg_size 56
		.amdhsa_user_sgpr_count 2
		.amdhsa_user_sgpr_dispatch_ptr 0
		.amdhsa_user_sgpr_queue_ptr 0
		.amdhsa_user_sgpr_kernarg_segment_ptr 1
		.amdhsa_user_sgpr_dispatch_id 0
		.amdhsa_user_sgpr_kernarg_preload_length 0
		.amdhsa_user_sgpr_kernarg_preload_offset 0
		.amdhsa_user_sgpr_private_segment_size 0
		.amdhsa_uses_dynamic_stack 0
		.amdhsa_enable_private_segment 0
		.amdhsa_system_sgpr_workgroup_id_x 1
		.amdhsa_system_sgpr_workgroup_id_y 0
		.amdhsa_system_sgpr_workgroup_id_z 0
		.amdhsa_system_sgpr_workgroup_info 0
		.amdhsa_system_vgpr_workitem_id 0
		.amdhsa_next_free_vgpr 1
		.amdhsa_next_free_sgpr 0
		.amdhsa_accum_offset 4
		.amdhsa_reserve_vcc 0
		.amdhsa_float_round_mode_32 0
		.amdhsa_float_round_mode_16_64 0
		.amdhsa_float_denorm_mode_32 3
		.amdhsa_float_denorm_mode_16_64 3
		.amdhsa_dx10_clamp 1
		.amdhsa_ieee_mode 1
		.amdhsa_fp16_overflow 0
		.amdhsa_tg_split 0
		.amdhsa_exception_fp_ieee_invalid_op 0
		.amdhsa_exception_fp_denorm_src 0
		.amdhsa_exception_fp_ieee_div_zero 0
		.amdhsa_exception_fp_ieee_overflow 0
		.amdhsa_exception_fp_ieee_underflow 0
		.amdhsa_exception_fp_ieee_inexact 0
		.amdhsa_exception_int_div_zero 0
	.end_amdhsa_kernel
	.section	.text._ZN7rocprim17ROCPRIM_400000_NS6detail17trampoline_kernelINS0_14default_configENS1_38merge_sort_block_merge_config_selectorIlNS0_10empty_typeEEEZZNS1_27merge_sort_block_merge_implIS3_PlPS5_mZN2at6native12_GLOBAL__N_124unique_dim_cuda_templateIN3c108BFloat16EEESt5tupleIJNSA_6TensorESH_SH_EERKSH_lbbbEUlllE_EE10hipError_tT0_T1_T2_jT3_P12ihipStream_tbPNSt15iterator_traitsISN_E10value_typeEPNST_ISO_E10value_typeEPSP_NS1_7vsmem_tEENKUlT_SN_SO_SP_E_clIS8_S8_S9_S9_EESM_S12_SN_SO_SP_EUlS12_E_NS1_11comp_targetILNS1_3genE0ELNS1_11target_archE4294967295ELNS1_3gpuE0ELNS1_3repE0EEENS1_48merge_mergepath_partition_config_static_selectorELNS0_4arch9wavefront6targetE1EEEvSO_,"axG",@progbits,_ZN7rocprim17ROCPRIM_400000_NS6detail17trampoline_kernelINS0_14default_configENS1_38merge_sort_block_merge_config_selectorIlNS0_10empty_typeEEEZZNS1_27merge_sort_block_merge_implIS3_PlPS5_mZN2at6native12_GLOBAL__N_124unique_dim_cuda_templateIN3c108BFloat16EEESt5tupleIJNSA_6TensorESH_SH_EERKSH_lbbbEUlllE_EE10hipError_tT0_T1_T2_jT3_P12ihipStream_tbPNSt15iterator_traitsISN_E10value_typeEPNST_ISO_E10value_typeEPSP_NS1_7vsmem_tEENKUlT_SN_SO_SP_E_clIS8_S8_S9_S9_EESM_S12_SN_SO_SP_EUlS12_E_NS1_11comp_targetILNS1_3genE0ELNS1_11target_archE4294967295ELNS1_3gpuE0ELNS1_3repE0EEENS1_48merge_mergepath_partition_config_static_selectorELNS0_4arch9wavefront6targetE1EEEvSO_,comdat
.Lfunc_end1133:
	.size	_ZN7rocprim17ROCPRIM_400000_NS6detail17trampoline_kernelINS0_14default_configENS1_38merge_sort_block_merge_config_selectorIlNS0_10empty_typeEEEZZNS1_27merge_sort_block_merge_implIS3_PlPS5_mZN2at6native12_GLOBAL__N_124unique_dim_cuda_templateIN3c108BFloat16EEESt5tupleIJNSA_6TensorESH_SH_EERKSH_lbbbEUlllE_EE10hipError_tT0_T1_T2_jT3_P12ihipStream_tbPNSt15iterator_traitsISN_E10value_typeEPNST_ISO_E10value_typeEPSP_NS1_7vsmem_tEENKUlT_SN_SO_SP_E_clIS8_S8_S9_S9_EESM_S12_SN_SO_SP_EUlS12_E_NS1_11comp_targetILNS1_3genE0ELNS1_11target_archE4294967295ELNS1_3gpuE0ELNS1_3repE0EEENS1_48merge_mergepath_partition_config_static_selectorELNS0_4arch9wavefront6targetE1EEEvSO_, .Lfunc_end1133-_ZN7rocprim17ROCPRIM_400000_NS6detail17trampoline_kernelINS0_14default_configENS1_38merge_sort_block_merge_config_selectorIlNS0_10empty_typeEEEZZNS1_27merge_sort_block_merge_implIS3_PlPS5_mZN2at6native12_GLOBAL__N_124unique_dim_cuda_templateIN3c108BFloat16EEESt5tupleIJNSA_6TensorESH_SH_EERKSH_lbbbEUlllE_EE10hipError_tT0_T1_T2_jT3_P12ihipStream_tbPNSt15iterator_traitsISN_E10value_typeEPNST_ISO_E10value_typeEPSP_NS1_7vsmem_tEENKUlT_SN_SO_SP_E_clIS8_S8_S9_S9_EESM_S12_SN_SO_SP_EUlS12_E_NS1_11comp_targetILNS1_3genE0ELNS1_11target_archE4294967295ELNS1_3gpuE0ELNS1_3repE0EEENS1_48merge_mergepath_partition_config_static_selectorELNS0_4arch9wavefront6targetE1EEEvSO_
                                        ; -- End function
	.section	.AMDGPU.csdata,"",@progbits
; Kernel info:
; codeLenInByte = 0
; NumSgprs: 6
; NumVgprs: 0
; NumAgprs: 0
; TotalNumVgprs: 0
; ScratchSize: 0
; MemoryBound: 0
; FloatMode: 240
; IeeeMode: 1
; LDSByteSize: 0 bytes/workgroup (compile time only)
; SGPRBlocks: 0
; VGPRBlocks: 0
; NumSGPRsForWavesPerEU: 6
; NumVGPRsForWavesPerEU: 1
; AccumOffset: 4
; Occupancy: 8
; WaveLimiterHint : 0
; COMPUTE_PGM_RSRC2:SCRATCH_EN: 0
; COMPUTE_PGM_RSRC2:USER_SGPR: 2
; COMPUTE_PGM_RSRC2:TRAP_HANDLER: 0
; COMPUTE_PGM_RSRC2:TGID_X_EN: 1
; COMPUTE_PGM_RSRC2:TGID_Y_EN: 0
; COMPUTE_PGM_RSRC2:TGID_Z_EN: 0
; COMPUTE_PGM_RSRC2:TIDIG_COMP_CNT: 0
; COMPUTE_PGM_RSRC3_GFX90A:ACCUM_OFFSET: 0
; COMPUTE_PGM_RSRC3_GFX90A:TG_SPLIT: 0
	.section	.text._ZN7rocprim17ROCPRIM_400000_NS6detail17trampoline_kernelINS0_14default_configENS1_38merge_sort_block_merge_config_selectorIlNS0_10empty_typeEEEZZNS1_27merge_sort_block_merge_implIS3_PlPS5_mZN2at6native12_GLOBAL__N_124unique_dim_cuda_templateIN3c108BFloat16EEESt5tupleIJNSA_6TensorESH_SH_EERKSH_lbbbEUlllE_EE10hipError_tT0_T1_T2_jT3_P12ihipStream_tbPNSt15iterator_traitsISN_E10value_typeEPNST_ISO_E10value_typeEPSP_NS1_7vsmem_tEENKUlT_SN_SO_SP_E_clIS8_S8_S9_S9_EESM_S12_SN_SO_SP_EUlS12_E_NS1_11comp_targetILNS1_3genE10ELNS1_11target_archE1201ELNS1_3gpuE5ELNS1_3repE0EEENS1_48merge_mergepath_partition_config_static_selectorELNS0_4arch9wavefront6targetE1EEEvSO_,"axG",@progbits,_ZN7rocprim17ROCPRIM_400000_NS6detail17trampoline_kernelINS0_14default_configENS1_38merge_sort_block_merge_config_selectorIlNS0_10empty_typeEEEZZNS1_27merge_sort_block_merge_implIS3_PlPS5_mZN2at6native12_GLOBAL__N_124unique_dim_cuda_templateIN3c108BFloat16EEESt5tupleIJNSA_6TensorESH_SH_EERKSH_lbbbEUlllE_EE10hipError_tT0_T1_T2_jT3_P12ihipStream_tbPNSt15iterator_traitsISN_E10value_typeEPNST_ISO_E10value_typeEPSP_NS1_7vsmem_tEENKUlT_SN_SO_SP_E_clIS8_S8_S9_S9_EESM_S12_SN_SO_SP_EUlS12_E_NS1_11comp_targetILNS1_3genE10ELNS1_11target_archE1201ELNS1_3gpuE5ELNS1_3repE0EEENS1_48merge_mergepath_partition_config_static_selectorELNS0_4arch9wavefront6targetE1EEEvSO_,comdat
	.globl	_ZN7rocprim17ROCPRIM_400000_NS6detail17trampoline_kernelINS0_14default_configENS1_38merge_sort_block_merge_config_selectorIlNS0_10empty_typeEEEZZNS1_27merge_sort_block_merge_implIS3_PlPS5_mZN2at6native12_GLOBAL__N_124unique_dim_cuda_templateIN3c108BFloat16EEESt5tupleIJNSA_6TensorESH_SH_EERKSH_lbbbEUlllE_EE10hipError_tT0_T1_T2_jT3_P12ihipStream_tbPNSt15iterator_traitsISN_E10value_typeEPNST_ISO_E10value_typeEPSP_NS1_7vsmem_tEENKUlT_SN_SO_SP_E_clIS8_S8_S9_S9_EESM_S12_SN_SO_SP_EUlS12_E_NS1_11comp_targetILNS1_3genE10ELNS1_11target_archE1201ELNS1_3gpuE5ELNS1_3repE0EEENS1_48merge_mergepath_partition_config_static_selectorELNS0_4arch9wavefront6targetE1EEEvSO_ ; -- Begin function _ZN7rocprim17ROCPRIM_400000_NS6detail17trampoline_kernelINS0_14default_configENS1_38merge_sort_block_merge_config_selectorIlNS0_10empty_typeEEEZZNS1_27merge_sort_block_merge_implIS3_PlPS5_mZN2at6native12_GLOBAL__N_124unique_dim_cuda_templateIN3c108BFloat16EEESt5tupleIJNSA_6TensorESH_SH_EERKSH_lbbbEUlllE_EE10hipError_tT0_T1_T2_jT3_P12ihipStream_tbPNSt15iterator_traitsISN_E10value_typeEPNST_ISO_E10value_typeEPSP_NS1_7vsmem_tEENKUlT_SN_SO_SP_E_clIS8_S8_S9_S9_EESM_S12_SN_SO_SP_EUlS12_E_NS1_11comp_targetILNS1_3genE10ELNS1_11target_archE1201ELNS1_3gpuE5ELNS1_3repE0EEENS1_48merge_mergepath_partition_config_static_selectorELNS0_4arch9wavefront6targetE1EEEvSO_
	.p2align	8
	.type	_ZN7rocprim17ROCPRIM_400000_NS6detail17trampoline_kernelINS0_14default_configENS1_38merge_sort_block_merge_config_selectorIlNS0_10empty_typeEEEZZNS1_27merge_sort_block_merge_implIS3_PlPS5_mZN2at6native12_GLOBAL__N_124unique_dim_cuda_templateIN3c108BFloat16EEESt5tupleIJNSA_6TensorESH_SH_EERKSH_lbbbEUlllE_EE10hipError_tT0_T1_T2_jT3_P12ihipStream_tbPNSt15iterator_traitsISN_E10value_typeEPNST_ISO_E10value_typeEPSP_NS1_7vsmem_tEENKUlT_SN_SO_SP_E_clIS8_S8_S9_S9_EESM_S12_SN_SO_SP_EUlS12_E_NS1_11comp_targetILNS1_3genE10ELNS1_11target_archE1201ELNS1_3gpuE5ELNS1_3repE0EEENS1_48merge_mergepath_partition_config_static_selectorELNS0_4arch9wavefront6targetE1EEEvSO_,@function
_ZN7rocprim17ROCPRIM_400000_NS6detail17trampoline_kernelINS0_14default_configENS1_38merge_sort_block_merge_config_selectorIlNS0_10empty_typeEEEZZNS1_27merge_sort_block_merge_implIS3_PlPS5_mZN2at6native12_GLOBAL__N_124unique_dim_cuda_templateIN3c108BFloat16EEESt5tupleIJNSA_6TensorESH_SH_EERKSH_lbbbEUlllE_EE10hipError_tT0_T1_T2_jT3_P12ihipStream_tbPNSt15iterator_traitsISN_E10value_typeEPNST_ISO_E10value_typeEPSP_NS1_7vsmem_tEENKUlT_SN_SO_SP_E_clIS8_S8_S9_S9_EESM_S12_SN_SO_SP_EUlS12_E_NS1_11comp_targetILNS1_3genE10ELNS1_11target_archE1201ELNS1_3gpuE5ELNS1_3repE0EEENS1_48merge_mergepath_partition_config_static_selectorELNS0_4arch9wavefront6targetE1EEEvSO_: ; @_ZN7rocprim17ROCPRIM_400000_NS6detail17trampoline_kernelINS0_14default_configENS1_38merge_sort_block_merge_config_selectorIlNS0_10empty_typeEEEZZNS1_27merge_sort_block_merge_implIS3_PlPS5_mZN2at6native12_GLOBAL__N_124unique_dim_cuda_templateIN3c108BFloat16EEESt5tupleIJNSA_6TensorESH_SH_EERKSH_lbbbEUlllE_EE10hipError_tT0_T1_T2_jT3_P12ihipStream_tbPNSt15iterator_traitsISN_E10value_typeEPNST_ISO_E10value_typeEPSP_NS1_7vsmem_tEENKUlT_SN_SO_SP_E_clIS8_S8_S9_S9_EESM_S12_SN_SO_SP_EUlS12_E_NS1_11comp_targetILNS1_3genE10ELNS1_11target_archE1201ELNS1_3gpuE5ELNS1_3repE0EEENS1_48merge_mergepath_partition_config_static_selectorELNS0_4arch9wavefront6targetE1EEEvSO_
; %bb.0:
	.section	.rodata,"a",@progbits
	.p2align	6, 0x0
	.amdhsa_kernel _ZN7rocprim17ROCPRIM_400000_NS6detail17trampoline_kernelINS0_14default_configENS1_38merge_sort_block_merge_config_selectorIlNS0_10empty_typeEEEZZNS1_27merge_sort_block_merge_implIS3_PlPS5_mZN2at6native12_GLOBAL__N_124unique_dim_cuda_templateIN3c108BFloat16EEESt5tupleIJNSA_6TensorESH_SH_EERKSH_lbbbEUlllE_EE10hipError_tT0_T1_T2_jT3_P12ihipStream_tbPNSt15iterator_traitsISN_E10value_typeEPNST_ISO_E10value_typeEPSP_NS1_7vsmem_tEENKUlT_SN_SO_SP_E_clIS8_S8_S9_S9_EESM_S12_SN_SO_SP_EUlS12_E_NS1_11comp_targetILNS1_3genE10ELNS1_11target_archE1201ELNS1_3gpuE5ELNS1_3repE0EEENS1_48merge_mergepath_partition_config_static_selectorELNS0_4arch9wavefront6targetE1EEEvSO_
		.amdhsa_group_segment_fixed_size 0
		.amdhsa_private_segment_fixed_size 0
		.amdhsa_kernarg_size 56
		.amdhsa_user_sgpr_count 2
		.amdhsa_user_sgpr_dispatch_ptr 0
		.amdhsa_user_sgpr_queue_ptr 0
		.amdhsa_user_sgpr_kernarg_segment_ptr 1
		.amdhsa_user_sgpr_dispatch_id 0
		.amdhsa_user_sgpr_kernarg_preload_length 0
		.amdhsa_user_sgpr_kernarg_preload_offset 0
		.amdhsa_user_sgpr_private_segment_size 0
		.amdhsa_uses_dynamic_stack 0
		.amdhsa_enable_private_segment 0
		.amdhsa_system_sgpr_workgroup_id_x 1
		.amdhsa_system_sgpr_workgroup_id_y 0
		.amdhsa_system_sgpr_workgroup_id_z 0
		.amdhsa_system_sgpr_workgroup_info 0
		.amdhsa_system_vgpr_workitem_id 0
		.amdhsa_next_free_vgpr 1
		.amdhsa_next_free_sgpr 0
		.amdhsa_accum_offset 4
		.amdhsa_reserve_vcc 0
		.amdhsa_float_round_mode_32 0
		.amdhsa_float_round_mode_16_64 0
		.amdhsa_float_denorm_mode_32 3
		.amdhsa_float_denorm_mode_16_64 3
		.amdhsa_dx10_clamp 1
		.amdhsa_ieee_mode 1
		.amdhsa_fp16_overflow 0
		.amdhsa_tg_split 0
		.amdhsa_exception_fp_ieee_invalid_op 0
		.amdhsa_exception_fp_denorm_src 0
		.amdhsa_exception_fp_ieee_div_zero 0
		.amdhsa_exception_fp_ieee_overflow 0
		.amdhsa_exception_fp_ieee_underflow 0
		.amdhsa_exception_fp_ieee_inexact 0
		.amdhsa_exception_int_div_zero 0
	.end_amdhsa_kernel
	.section	.text._ZN7rocprim17ROCPRIM_400000_NS6detail17trampoline_kernelINS0_14default_configENS1_38merge_sort_block_merge_config_selectorIlNS0_10empty_typeEEEZZNS1_27merge_sort_block_merge_implIS3_PlPS5_mZN2at6native12_GLOBAL__N_124unique_dim_cuda_templateIN3c108BFloat16EEESt5tupleIJNSA_6TensorESH_SH_EERKSH_lbbbEUlllE_EE10hipError_tT0_T1_T2_jT3_P12ihipStream_tbPNSt15iterator_traitsISN_E10value_typeEPNST_ISO_E10value_typeEPSP_NS1_7vsmem_tEENKUlT_SN_SO_SP_E_clIS8_S8_S9_S9_EESM_S12_SN_SO_SP_EUlS12_E_NS1_11comp_targetILNS1_3genE10ELNS1_11target_archE1201ELNS1_3gpuE5ELNS1_3repE0EEENS1_48merge_mergepath_partition_config_static_selectorELNS0_4arch9wavefront6targetE1EEEvSO_,"axG",@progbits,_ZN7rocprim17ROCPRIM_400000_NS6detail17trampoline_kernelINS0_14default_configENS1_38merge_sort_block_merge_config_selectorIlNS0_10empty_typeEEEZZNS1_27merge_sort_block_merge_implIS3_PlPS5_mZN2at6native12_GLOBAL__N_124unique_dim_cuda_templateIN3c108BFloat16EEESt5tupleIJNSA_6TensorESH_SH_EERKSH_lbbbEUlllE_EE10hipError_tT0_T1_T2_jT3_P12ihipStream_tbPNSt15iterator_traitsISN_E10value_typeEPNST_ISO_E10value_typeEPSP_NS1_7vsmem_tEENKUlT_SN_SO_SP_E_clIS8_S8_S9_S9_EESM_S12_SN_SO_SP_EUlS12_E_NS1_11comp_targetILNS1_3genE10ELNS1_11target_archE1201ELNS1_3gpuE5ELNS1_3repE0EEENS1_48merge_mergepath_partition_config_static_selectorELNS0_4arch9wavefront6targetE1EEEvSO_,comdat
.Lfunc_end1134:
	.size	_ZN7rocprim17ROCPRIM_400000_NS6detail17trampoline_kernelINS0_14default_configENS1_38merge_sort_block_merge_config_selectorIlNS0_10empty_typeEEEZZNS1_27merge_sort_block_merge_implIS3_PlPS5_mZN2at6native12_GLOBAL__N_124unique_dim_cuda_templateIN3c108BFloat16EEESt5tupleIJNSA_6TensorESH_SH_EERKSH_lbbbEUlllE_EE10hipError_tT0_T1_T2_jT3_P12ihipStream_tbPNSt15iterator_traitsISN_E10value_typeEPNST_ISO_E10value_typeEPSP_NS1_7vsmem_tEENKUlT_SN_SO_SP_E_clIS8_S8_S9_S9_EESM_S12_SN_SO_SP_EUlS12_E_NS1_11comp_targetILNS1_3genE10ELNS1_11target_archE1201ELNS1_3gpuE5ELNS1_3repE0EEENS1_48merge_mergepath_partition_config_static_selectorELNS0_4arch9wavefront6targetE1EEEvSO_, .Lfunc_end1134-_ZN7rocprim17ROCPRIM_400000_NS6detail17trampoline_kernelINS0_14default_configENS1_38merge_sort_block_merge_config_selectorIlNS0_10empty_typeEEEZZNS1_27merge_sort_block_merge_implIS3_PlPS5_mZN2at6native12_GLOBAL__N_124unique_dim_cuda_templateIN3c108BFloat16EEESt5tupleIJNSA_6TensorESH_SH_EERKSH_lbbbEUlllE_EE10hipError_tT0_T1_T2_jT3_P12ihipStream_tbPNSt15iterator_traitsISN_E10value_typeEPNST_ISO_E10value_typeEPSP_NS1_7vsmem_tEENKUlT_SN_SO_SP_E_clIS8_S8_S9_S9_EESM_S12_SN_SO_SP_EUlS12_E_NS1_11comp_targetILNS1_3genE10ELNS1_11target_archE1201ELNS1_3gpuE5ELNS1_3repE0EEENS1_48merge_mergepath_partition_config_static_selectorELNS0_4arch9wavefront6targetE1EEEvSO_
                                        ; -- End function
	.section	.AMDGPU.csdata,"",@progbits
; Kernel info:
; codeLenInByte = 0
; NumSgprs: 6
; NumVgprs: 0
; NumAgprs: 0
; TotalNumVgprs: 0
; ScratchSize: 0
; MemoryBound: 0
; FloatMode: 240
; IeeeMode: 1
; LDSByteSize: 0 bytes/workgroup (compile time only)
; SGPRBlocks: 0
; VGPRBlocks: 0
; NumSGPRsForWavesPerEU: 6
; NumVGPRsForWavesPerEU: 1
; AccumOffset: 4
; Occupancy: 8
; WaveLimiterHint : 0
; COMPUTE_PGM_RSRC2:SCRATCH_EN: 0
; COMPUTE_PGM_RSRC2:USER_SGPR: 2
; COMPUTE_PGM_RSRC2:TRAP_HANDLER: 0
; COMPUTE_PGM_RSRC2:TGID_X_EN: 1
; COMPUTE_PGM_RSRC2:TGID_Y_EN: 0
; COMPUTE_PGM_RSRC2:TGID_Z_EN: 0
; COMPUTE_PGM_RSRC2:TIDIG_COMP_CNT: 0
; COMPUTE_PGM_RSRC3_GFX90A:ACCUM_OFFSET: 0
; COMPUTE_PGM_RSRC3_GFX90A:TG_SPLIT: 0
	.section	.text._ZN7rocprim17ROCPRIM_400000_NS6detail17trampoline_kernelINS0_14default_configENS1_38merge_sort_block_merge_config_selectorIlNS0_10empty_typeEEEZZNS1_27merge_sort_block_merge_implIS3_PlPS5_mZN2at6native12_GLOBAL__N_124unique_dim_cuda_templateIN3c108BFloat16EEESt5tupleIJNSA_6TensorESH_SH_EERKSH_lbbbEUlllE_EE10hipError_tT0_T1_T2_jT3_P12ihipStream_tbPNSt15iterator_traitsISN_E10value_typeEPNST_ISO_E10value_typeEPSP_NS1_7vsmem_tEENKUlT_SN_SO_SP_E_clIS8_S8_S9_S9_EESM_S12_SN_SO_SP_EUlS12_E_NS1_11comp_targetILNS1_3genE5ELNS1_11target_archE942ELNS1_3gpuE9ELNS1_3repE0EEENS1_48merge_mergepath_partition_config_static_selectorELNS0_4arch9wavefront6targetE1EEEvSO_,"axG",@progbits,_ZN7rocprim17ROCPRIM_400000_NS6detail17trampoline_kernelINS0_14default_configENS1_38merge_sort_block_merge_config_selectorIlNS0_10empty_typeEEEZZNS1_27merge_sort_block_merge_implIS3_PlPS5_mZN2at6native12_GLOBAL__N_124unique_dim_cuda_templateIN3c108BFloat16EEESt5tupleIJNSA_6TensorESH_SH_EERKSH_lbbbEUlllE_EE10hipError_tT0_T1_T2_jT3_P12ihipStream_tbPNSt15iterator_traitsISN_E10value_typeEPNST_ISO_E10value_typeEPSP_NS1_7vsmem_tEENKUlT_SN_SO_SP_E_clIS8_S8_S9_S9_EESM_S12_SN_SO_SP_EUlS12_E_NS1_11comp_targetILNS1_3genE5ELNS1_11target_archE942ELNS1_3gpuE9ELNS1_3repE0EEENS1_48merge_mergepath_partition_config_static_selectorELNS0_4arch9wavefront6targetE1EEEvSO_,comdat
	.globl	_ZN7rocprim17ROCPRIM_400000_NS6detail17trampoline_kernelINS0_14default_configENS1_38merge_sort_block_merge_config_selectorIlNS0_10empty_typeEEEZZNS1_27merge_sort_block_merge_implIS3_PlPS5_mZN2at6native12_GLOBAL__N_124unique_dim_cuda_templateIN3c108BFloat16EEESt5tupleIJNSA_6TensorESH_SH_EERKSH_lbbbEUlllE_EE10hipError_tT0_T1_T2_jT3_P12ihipStream_tbPNSt15iterator_traitsISN_E10value_typeEPNST_ISO_E10value_typeEPSP_NS1_7vsmem_tEENKUlT_SN_SO_SP_E_clIS8_S8_S9_S9_EESM_S12_SN_SO_SP_EUlS12_E_NS1_11comp_targetILNS1_3genE5ELNS1_11target_archE942ELNS1_3gpuE9ELNS1_3repE0EEENS1_48merge_mergepath_partition_config_static_selectorELNS0_4arch9wavefront6targetE1EEEvSO_ ; -- Begin function _ZN7rocprim17ROCPRIM_400000_NS6detail17trampoline_kernelINS0_14default_configENS1_38merge_sort_block_merge_config_selectorIlNS0_10empty_typeEEEZZNS1_27merge_sort_block_merge_implIS3_PlPS5_mZN2at6native12_GLOBAL__N_124unique_dim_cuda_templateIN3c108BFloat16EEESt5tupleIJNSA_6TensorESH_SH_EERKSH_lbbbEUlllE_EE10hipError_tT0_T1_T2_jT3_P12ihipStream_tbPNSt15iterator_traitsISN_E10value_typeEPNST_ISO_E10value_typeEPSP_NS1_7vsmem_tEENKUlT_SN_SO_SP_E_clIS8_S8_S9_S9_EESM_S12_SN_SO_SP_EUlS12_E_NS1_11comp_targetILNS1_3genE5ELNS1_11target_archE942ELNS1_3gpuE9ELNS1_3repE0EEENS1_48merge_mergepath_partition_config_static_selectorELNS0_4arch9wavefront6targetE1EEEvSO_
	.p2align	8
	.type	_ZN7rocprim17ROCPRIM_400000_NS6detail17trampoline_kernelINS0_14default_configENS1_38merge_sort_block_merge_config_selectorIlNS0_10empty_typeEEEZZNS1_27merge_sort_block_merge_implIS3_PlPS5_mZN2at6native12_GLOBAL__N_124unique_dim_cuda_templateIN3c108BFloat16EEESt5tupleIJNSA_6TensorESH_SH_EERKSH_lbbbEUlllE_EE10hipError_tT0_T1_T2_jT3_P12ihipStream_tbPNSt15iterator_traitsISN_E10value_typeEPNST_ISO_E10value_typeEPSP_NS1_7vsmem_tEENKUlT_SN_SO_SP_E_clIS8_S8_S9_S9_EESM_S12_SN_SO_SP_EUlS12_E_NS1_11comp_targetILNS1_3genE5ELNS1_11target_archE942ELNS1_3gpuE9ELNS1_3repE0EEENS1_48merge_mergepath_partition_config_static_selectorELNS0_4arch9wavefront6targetE1EEEvSO_,@function
_ZN7rocprim17ROCPRIM_400000_NS6detail17trampoline_kernelINS0_14default_configENS1_38merge_sort_block_merge_config_selectorIlNS0_10empty_typeEEEZZNS1_27merge_sort_block_merge_implIS3_PlPS5_mZN2at6native12_GLOBAL__N_124unique_dim_cuda_templateIN3c108BFloat16EEESt5tupleIJNSA_6TensorESH_SH_EERKSH_lbbbEUlllE_EE10hipError_tT0_T1_T2_jT3_P12ihipStream_tbPNSt15iterator_traitsISN_E10value_typeEPNST_ISO_E10value_typeEPSP_NS1_7vsmem_tEENKUlT_SN_SO_SP_E_clIS8_S8_S9_S9_EESM_S12_SN_SO_SP_EUlS12_E_NS1_11comp_targetILNS1_3genE5ELNS1_11target_archE942ELNS1_3gpuE9ELNS1_3repE0EEENS1_48merge_mergepath_partition_config_static_selectorELNS0_4arch9wavefront6targetE1EEEvSO_: ; @_ZN7rocprim17ROCPRIM_400000_NS6detail17trampoline_kernelINS0_14default_configENS1_38merge_sort_block_merge_config_selectorIlNS0_10empty_typeEEEZZNS1_27merge_sort_block_merge_implIS3_PlPS5_mZN2at6native12_GLOBAL__N_124unique_dim_cuda_templateIN3c108BFloat16EEESt5tupleIJNSA_6TensorESH_SH_EERKSH_lbbbEUlllE_EE10hipError_tT0_T1_T2_jT3_P12ihipStream_tbPNSt15iterator_traitsISN_E10value_typeEPNST_ISO_E10value_typeEPSP_NS1_7vsmem_tEENKUlT_SN_SO_SP_E_clIS8_S8_S9_S9_EESM_S12_SN_SO_SP_EUlS12_E_NS1_11comp_targetILNS1_3genE5ELNS1_11target_archE942ELNS1_3gpuE9ELNS1_3repE0EEENS1_48merge_mergepath_partition_config_static_selectorELNS0_4arch9wavefront6targetE1EEEvSO_
; %bb.0:
	s_load_dword s3, s[0:1], 0x0
	v_lshl_or_b32 v0, s2, 7, v0
	s_waitcnt lgkmcnt(0)
	v_cmp_gt_u32_e32 vcc, s3, v0
	s_and_saveexec_b64 s[2:3], vcc
	s_cbranch_execz .LBB1135_14
; %bb.1:
	s_load_dwordx4 s[12:15], s[0:1], 0x8
	s_load_dwordx8 s[4:11], s[0:1], 0x18
	v_mov_b32_e32 v5, 0
	v_mov_b32_e32 v7, v5
	s_waitcnt lgkmcnt(0)
	v_mov_b32_e32 v1, s12
	v_alignbit_b32 v1, s13, v1, 9
	v_and_b32_e32 v1, -2, v1
	v_add_u32_e32 v2, -1, v1
	v_sub_u32_e32 v1, 0, v1
	v_and_b32_e32 v4, v0, v1
	v_lshlrev_b64 v[8:9], 10, v[4:5]
	v_mov_b32_e32 v1, s15
	v_cmp_lt_u64_e32 vcc, s[14:15], v[8:9]
	v_mov_b32_e32 v4, s14
	v_and_b32_e32 v6, v2, v0
	v_cndmask_b32_e32 v3, v9, v1, vcc
	v_cndmask_b32_e32 v2, v8, v4, vcc
	v_lshl_add_u64 v[8:9], v[8:9], 0, s[12:13]
	v_cmp_lt_u64_e32 vcc, s[14:15], v[8:9]
	s_nop 1
	v_cndmask_b32_e32 v11, v9, v1, vcc
	v_cndmask_b32_e32 v10, v8, v4, vcc
	v_lshl_add_u64 v[8:9], v[10:11], 0, s[12:13]
	v_cmp_lt_u64_e32 vcc, s[14:15], v[8:9]
	s_nop 1
	v_cndmask_b32_e32 v14, v8, v4, vcc
	v_cndmask_b32_e32 v1, v9, v1, vcc
	v_sub_co_u32_e32 v8, vcc, v14, v2
	v_lshlrev_b64 v[4:5], 10, v[6:7]
	s_nop 0
	v_subb_co_u32_e32 v9, vcc, v1, v3, vcc
	v_cmp_lt_u64_e32 vcc, v[8:9], v[4:5]
	s_nop 1
	v_cndmask_b32_e32 v13, v5, v9, vcc
	v_cndmask_b32_e32 v12, v4, v8, vcc
	v_sub_co_u32_e32 v6, vcc, v10, v2
	s_nop 1
	v_subb_co_u32_e32 v7, vcc, v11, v3, vcc
	v_sub_co_u32_e32 v4, vcc, v10, v14
	s_nop 1
	v_subb_co_u32_e32 v5, vcc, v11, v1, vcc
	v_lshl_add_u64 v[4:5], v[12:13], 0, v[4:5]
	v_cmp_gt_u64_e32 vcc, v[4:5], v[12:13]
	s_nop 1
	v_cndmask_b32_e64 v5, v5, 0, vcc
	v_cndmask_b32_e64 v4, v4, 0, vcc
	v_cmp_lt_u64_e32 vcc, v[12:13], v[6:7]
	s_nop 1
	v_cndmask_b32_e32 v7, v7, v13, vcc
	v_cndmask_b32_e32 v6, v6, v12, vcc
	v_cmp_lt_u64_e32 vcc, v[4:5], v[6:7]
	s_and_saveexec_b64 s[2:3], vcc
	s_cbranch_execz .LBB1135_13
; %bb.2:
	v_cmp_gt_i64_e64 s[0:1], s[6:7], 0
	v_lshl_add_u64 v[10:11], v[10:11], 3, s[4:5]
	v_lshl_add_u64 v[8:9], v[2:3], 3, s[4:5]
	v_cndmask_b32_e64 v1, 0, 1, s[0:1]
	s_mov_b64 s[4:5], 0
	v_lshl_add_u64 v[10:11], v[12:13], 3, v[10:11]
	s_lshl_b64 s[12:13], s[6:7], 1
	v_cmp_ne_u32_e64 s[0:1], 1, v1
	s_branch .LBB1135_5
.LBB1135_3:                             ;   in Loop: Header=BB1135_5 Depth=1
	s_or_b64 exec, exec, s[16:17]
.LBB1135_4:                             ;   in Loop: Header=BB1135_5 Depth=1
	v_lshl_add_u64 v[14:15], v[12:13], 0, 1
	v_cndmask_b32_e64 v7, v7, v13, s[14:15]
	v_cndmask_b32_e64 v6, v6, v12, s[14:15]
	;; [unrolled: 1-line block ×4, first 2 shown]
	v_cmp_ge_u64_e32 vcc, v[4:5], v[6:7]
	s_or_b64 s[4:5], vcc, s[4:5]
	s_andn2_b64 exec, exec, s[4:5]
	s_cbranch_execz .LBB1135_12
.LBB1135_5:                             ; =>This Loop Header: Depth=1
                                        ;     Child Loop BB1135_8 Depth 2
	v_lshl_add_u64 v[12:13], v[6:7], 0, v[4:5]
	v_lshrrev_b64 v[12:13], 1, v[12:13]
	s_and_b64 vcc, exec, s[0:1]
	s_mov_b64 s[14:15], 0
	s_cbranch_vccnz .LBB1135_4
; %bb.6:                                ;   in Loop: Header=BB1135_5 Depth=1
	v_not_b32_e32 v15, v13
	v_not_b32_e32 v14, v12
	v_lshl_add_u64 v[14:15], v[14:15], 3, v[10:11]
	v_lshl_add_u64 v[16:17], v[12:13], 3, v[8:9]
	global_load_dwordx2 v[14:15], v[14:15], off
	v_mov_b64_e32 v[18:19], s[8:9]
	global_load_dwordx2 v[16:17], v[16:17], off
	s_mov_b64 s[16:17], 0
                                        ; implicit-def: $sgpr14_sgpr15
                                        ; implicit-def: $sgpr18_sgpr19
                                        ; implicit-def: $sgpr22_sgpr23
	s_waitcnt vmcnt(1)
	v_mul_lo_u32 v1, s12, v15
	v_mul_lo_u32 v20, s13, v14
	v_mad_u64_u32 v[14:15], s[20:21], s12, v14, v[18:19]
	s_waitcnt vmcnt(0)
	v_mul_lo_u32 v21, s12, v17
	v_mul_lo_u32 v22, s13, v16
	v_mad_u64_u32 v[16:17], s[20:21], s12, v16, v[18:19]
	v_add3_u32 v15, v20, v15, v1
	v_add3_u32 v17, v22, v17, v21
	s_mov_b64 s[20:21], s[6:7]
	s_branch .LBB1135_8
.LBB1135_7:                             ;   in Loop: Header=BB1135_8 Depth=2
	s_or_b64 exec, exec, s[30:31]
	s_and_b64 s[24:25], exec, s[24:25]
	s_or_b64 s[16:17], s[24:25], s[16:17]
	s_andn2_b64 s[14:15], s[14:15], exec
	s_and_b64 s[24:25], s[18:19], exec
	s_or_b64 s[14:15], s[14:15], s[24:25]
	s_andn2_b64 exec, exec, s[16:17]
	s_cbranch_execz .LBB1135_3
.LBB1135_8:                             ;   Parent Loop BB1135_5 Depth=1
                                        ; =>  This Inner Loop Header: Depth=2
	global_load_ushort v1, v[14:15], off
	global_load_ushort v18, v[16:17], off
	s_mov_b64 s[24:25], -1
	s_mov_b64 s[28:29], 0
	s_mov_b64 s[26:27], -1
	s_waitcnt vmcnt(1)
	v_lshlrev_b32_e32 v1, 16, v1
	s_waitcnt vmcnt(0)
	v_lshlrev_b32_e32 v18, 16, v18
	v_cmp_nlt_f32_e32 vcc, v1, v18
	s_and_saveexec_b64 s[30:31], vcc
; %bb.9:                                ;   in Loop: Header=BB1135_8 Depth=2
	v_cmp_ngt_f32_e32 vcc, v1, v18
	s_and_b64 s[22:23], vcc, s[22:23]
	s_orn2_b64 s[26:27], s[22:23], exec
	s_and_b64 s[28:29], vcc, exec
; %bb.10:                               ;   in Loop: Header=BB1135_8 Depth=2
	s_or_b64 exec, exec, s[30:31]
	s_andn2_b64 s[18:19], s[18:19], exec
	s_and_b64 s[22:23], s[26:27], exec
	s_or_b64 s[18:19], s[18:19], s[22:23]
                                        ; implicit-def: $sgpr22_sgpr23
	s_and_saveexec_b64 s[30:31], s[28:29]
	s_cbranch_execz .LBB1135_7
; %bb.11:                               ;   in Loop: Header=BB1135_8 Depth=2
	s_add_u32 s20, s20, -1
	s_addc_u32 s21, s21, -1
	s_cmp_eq_u64 s[20:21], 0
	s_cselect_b64 s[24:25], -1, 0
	v_lshl_add_u64 v[14:15], v[14:15], 0, 2
	v_lshl_add_u64 v[16:17], v[16:17], 0, 2
	s_andn2_b64 s[18:19], s[18:19], exec
	s_and_b64 s[22:23], s[26:27], exec
	s_orn2_b64 s[24:25], s[24:25], exec
	s_branch .LBB1135_7
.LBB1135_12:
	s_or_b64 exec, exec, s[4:5]
.LBB1135_13:
	s_or_b64 exec, exec, s[2:3]
	v_mov_b32_e32 v6, s10
	v_mov_b32_e32 v7, s11
	;; [unrolled: 1-line block ×3, first 2 shown]
	v_lshl_add_u64 v[2:3], v[4:5], 0, v[2:3]
	v_lshl_add_u64 v[0:1], v[0:1], 3, v[6:7]
	global_store_dwordx2 v[0:1], v[2:3], off
.LBB1135_14:
	s_endpgm
	.section	.rodata,"a",@progbits
	.p2align	6, 0x0
	.amdhsa_kernel _ZN7rocprim17ROCPRIM_400000_NS6detail17trampoline_kernelINS0_14default_configENS1_38merge_sort_block_merge_config_selectorIlNS0_10empty_typeEEEZZNS1_27merge_sort_block_merge_implIS3_PlPS5_mZN2at6native12_GLOBAL__N_124unique_dim_cuda_templateIN3c108BFloat16EEESt5tupleIJNSA_6TensorESH_SH_EERKSH_lbbbEUlllE_EE10hipError_tT0_T1_T2_jT3_P12ihipStream_tbPNSt15iterator_traitsISN_E10value_typeEPNST_ISO_E10value_typeEPSP_NS1_7vsmem_tEENKUlT_SN_SO_SP_E_clIS8_S8_S9_S9_EESM_S12_SN_SO_SP_EUlS12_E_NS1_11comp_targetILNS1_3genE5ELNS1_11target_archE942ELNS1_3gpuE9ELNS1_3repE0EEENS1_48merge_mergepath_partition_config_static_selectorELNS0_4arch9wavefront6targetE1EEEvSO_
		.amdhsa_group_segment_fixed_size 0
		.amdhsa_private_segment_fixed_size 0
		.amdhsa_kernarg_size 56
		.amdhsa_user_sgpr_count 2
		.amdhsa_user_sgpr_dispatch_ptr 0
		.amdhsa_user_sgpr_queue_ptr 0
		.amdhsa_user_sgpr_kernarg_segment_ptr 1
		.amdhsa_user_sgpr_dispatch_id 0
		.amdhsa_user_sgpr_kernarg_preload_length 0
		.amdhsa_user_sgpr_kernarg_preload_offset 0
		.amdhsa_user_sgpr_private_segment_size 0
		.amdhsa_uses_dynamic_stack 0
		.amdhsa_enable_private_segment 0
		.amdhsa_system_sgpr_workgroup_id_x 1
		.amdhsa_system_sgpr_workgroup_id_y 0
		.amdhsa_system_sgpr_workgroup_id_z 0
		.amdhsa_system_sgpr_workgroup_info 0
		.amdhsa_system_vgpr_workitem_id 0
		.amdhsa_next_free_vgpr 23
		.amdhsa_next_free_sgpr 32
		.amdhsa_accum_offset 24
		.amdhsa_reserve_vcc 1
		.amdhsa_float_round_mode_32 0
		.amdhsa_float_round_mode_16_64 0
		.amdhsa_float_denorm_mode_32 3
		.amdhsa_float_denorm_mode_16_64 3
		.amdhsa_dx10_clamp 1
		.amdhsa_ieee_mode 1
		.amdhsa_fp16_overflow 0
		.amdhsa_tg_split 0
		.amdhsa_exception_fp_ieee_invalid_op 0
		.amdhsa_exception_fp_denorm_src 0
		.amdhsa_exception_fp_ieee_div_zero 0
		.amdhsa_exception_fp_ieee_overflow 0
		.amdhsa_exception_fp_ieee_underflow 0
		.amdhsa_exception_fp_ieee_inexact 0
		.amdhsa_exception_int_div_zero 0
	.end_amdhsa_kernel
	.section	.text._ZN7rocprim17ROCPRIM_400000_NS6detail17trampoline_kernelINS0_14default_configENS1_38merge_sort_block_merge_config_selectorIlNS0_10empty_typeEEEZZNS1_27merge_sort_block_merge_implIS3_PlPS5_mZN2at6native12_GLOBAL__N_124unique_dim_cuda_templateIN3c108BFloat16EEESt5tupleIJNSA_6TensorESH_SH_EERKSH_lbbbEUlllE_EE10hipError_tT0_T1_T2_jT3_P12ihipStream_tbPNSt15iterator_traitsISN_E10value_typeEPNST_ISO_E10value_typeEPSP_NS1_7vsmem_tEENKUlT_SN_SO_SP_E_clIS8_S8_S9_S9_EESM_S12_SN_SO_SP_EUlS12_E_NS1_11comp_targetILNS1_3genE5ELNS1_11target_archE942ELNS1_3gpuE9ELNS1_3repE0EEENS1_48merge_mergepath_partition_config_static_selectorELNS0_4arch9wavefront6targetE1EEEvSO_,"axG",@progbits,_ZN7rocprim17ROCPRIM_400000_NS6detail17trampoline_kernelINS0_14default_configENS1_38merge_sort_block_merge_config_selectorIlNS0_10empty_typeEEEZZNS1_27merge_sort_block_merge_implIS3_PlPS5_mZN2at6native12_GLOBAL__N_124unique_dim_cuda_templateIN3c108BFloat16EEESt5tupleIJNSA_6TensorESH_SH_EERKSH_lbbbEUlllE_EE10hipError_tT0_T1_T2_jT3_P12ihipStream_tbPNSt15iterator_traitsISN_E10value_typeEPNST_ISO_E10value_typeEPSP_NS1_7vsmem_tEENKUlT_SN_SO_SP_E_clIS8_S8_S9_S9_EESM_S12_SN_SO_SP_EUlS12_E_NS1_11comp_targetILNS1_3genE5ELNS1_11target_archE942ELNS1_3gpuE9ELNS1_3repE0EEENS1_48merge_mergepath_partition_config_static_selectorELNS0_4arch9wavefront6targetE1EEEvSO_,comdat
.Lfunc_end1135:
	.size	_ZN7rocprim17ROCPRIM_400000_NS6detail17trampoline_kernelINS0_14default_configENS1_38merge_sort_block_merge_config_selectorIlNS0_10empty_typeEEEZZNS1_27merge_sort_block_merge_implIS3_PlPS5_mZN2at6native12_GLOBAL__N_124unique_dim_cuda_templateIN3c108BFloat16EEESt5tupleIJNSA_6TensorESH_SH_EERKSH_lbbbEUlllE_EE10hipError_tT0_T1_T2_jT3_P12ihipStream_tbPNSt15iterator_traitsISN_E10value_typeEPNST_ISO_E10value_typeEPSP_NS1_7vsmem_tEENKUlT_SN_SO_SP_E_clIS8_S8_S9_S9_EESM_S12_SN_SO_SP_EUlS12_E_NS1_11comp_targetILNS1_3genE5ELNS1_11target_archE942ELNS1_3gpuE9ELNS1_3repE0EEENS1_48merge_mergepath_partition_config_static_selectorELNS0_4arch9wavefront6targetE1EEEvSO_, .Lfunc_end1135-_ZN7rocprim17ROCPRIM_400000_NS6detail17trampoline_kernelINS0_14default_configENS1_38merge_sort_block_merge_config_selectorIlNS0_10empty_typeEEEZZNS1_27merge_sort_block_merge_implIS3_PlPS5_mZN2at6native12_GLOBAL__N_124unique_dim_cuda_templateIN3c108BFloat16EEESt5tupleIJNSA_6TensorESH_SH_EERKSH_lbbbEUlllE_EE10hipError_tT0_T1_T2_jT3_P12ihipStream_tbPNSt15iterator_traitsISN_E10value_typeEPNST_ISO_E10value_typeEPSP_NS1_7vsmem_tEENKUlT_SN_SO_SP_E_clIS8_S8_S9_S9_EESM_S12_SN_SO_SP_EUlS12_E_NS1_11comp_targetILNS1_3genE5ELNS1_11target_archE942ELNS1_3gpuE9ELNS1_3repE0EEENS1_48merge_mergepath_partition_config_static_selectorELNS0_4arch9wavefront6targetE1EEEvSO_
                                        ; -- End function
	.section	.AMDGPU.csdata,"",@progbits
; Kernel info:
; codeLenInByte = 784
; NumSgprs: 38
; NumVgprs: 23
; NumAgprs: 0
; TotalNumVgprs: 23
; ScratchSize: 0
; MemoryBound: 0
; FloatMode: 240
; IeeeMode: 1
; LDSByteSize: 0 bytes/workgroup (compile time only)
; SGPRBlocks: 4
; VGPRBlocks: 2
; NumSGPRsForWavesPerEU: 38
; NumVGPRsForWavesPerEU: 23
; AccumOffset: 24
; Occupancy: 8
; WaveLimiterHint : 0
; COMPUTE_PGM_RSRC2:SCRATCH_EN: 0
; COMPUTE_PGM_RSRC2:USER_SGPR: 2
; COMPUTE_PGM_RSRC2:TRAP_HANDLER: 0
; COMPUTE_PGM_RSRC2:TGID_X_EN: 1
; COMPUTE_PGM_RSRC2:TGID_Y_EN: 0
; COMPUTE_PGM_RSRC2:TGID_Z_EN: 0
; COMPUTE_PGM_RSRC2:TIDIG_COMP_CNT: 0
; COMPUTE_PGM_RSRC3_GFX90A:ACCUM_OFFSET: 5
; COMPUTE_PGM_RSRC3_GFX90A:TG_SPLIT: 0
	.section	.text._ZN7rocprim17ROCPRIM_400000_NS6detail17trampoline_kernelINS0_14default_configENS1_38merge_sort_block_merge_config_selectorIlNS0_10empty_typeEEEZZNS1_27merge_sort_block_merge_implIS3_PlPS5_mZN2at6native12_GLOBAL__N_124unique_dim_cuda_templateIN3c108BFloat16EEESt5tupleIJNSA_6TensorESH_SH_EERKSH_lbbbEUlllE_EE10hipError_tT0_T1_T2_jT3_P12ihipStream_tbPNSt15iterator_traitsISN_E10value_typeEPNST_ISO_E10value_typeEPSP_NS1_7vsmem_tEENKUlT_SN_SO_SP_E_clIS8_S8_S9_S9_EESM_S12_SN_SO_SP_EUlS12_E_NS1_11comp_targetILNS1_3genE4ELNS1_11target_archE910ELNS1_3gpuE8ELNS1_3repE0EEENS1_48merge_mergepath_partition_config_static_selectorELNS0_4arch9wavefront6targetE1EEEvSO_,"axG",@progbits,_ZN7rocprim17ROCPRIM_400000_NS6detail17trampoline_kernelINS0_14default_configENS1_38merge_sort_block_merge_config_selectorIlNS0_10empty_typeEEEZZNS1_27merge_sort_block_merge_implIS3_PlPS5_mZN2at6native12_GLOBAL__N_124unique_dim_cuda_templateIN3c108BFloat16EEESt5tupleIJNSA_6TensorESH_SH_EERKSH_lbbbEUlllE_EE10hipError_tT0_T1_T2_jT3_P12ihipStream_tbPNSt15iterator_traitsISN_E10value_typeEPNST_ISO_E10value_typeEPSP_NS1_7vsmem_tEENKUlT_SN_SO_SP_E_clIS8_S8_S9_S9_EESM_S12_SN_SO_SP_EUlS12_E_NS1_11comp_targetILNS1_3genE4ELNS1_11target_archE910ELNS1_3gpuE8ELNS1_3repE0EEENS1_48merge_mergepath_partition_config_static_selectorELNS0_4arch9wavefront6targetE1EEEvSO_,comdat
	.globl	_ZN7rocprim17ROCPRIM_400000_NS6detail17trampoline_kernelINS0_14default_configENS1_38merge_sort_block_merge_config_selectorIlNS0_10empty_typeEEEZZNS1_27merge_sort_block_merge_implIS3_PlPS5_mZN2at6native12_GLOBAL__N_124unique_dim_cuda_templateIN3c108BFloat16EEESt5tupleIJNSA_6TensorESH_SH_EERKSH_lbbbEUlllE_EE10hipError_tT0_T1_T2_jT3_P12ihipStream_tbPNSt15iterator_traitsISN_E10value_typeEPNST_ISO_E10value_typeEPSP_NS1_7vsmem_tEENKUlT_SN_SO_SP_E_clIS8_S8_S9_S9_EESM_S12_SN_SO_SP_EUlS12_E_NS1_11comp_targetILNS1_3genE4ELNS1_11target_archE910ELNS1_3gpuE8ELNS1_3repE0EEENS1_48merge_mergepath_partition_config_static_selectorELNS0_4arch9wavefront6targetE1EEEvSO_ ; -- Begin function _ZN7rocprim17ROCPRIM_400000_NS6detail17trampoline_kernelINS0_14default_configENS1_38merge_sort_block_merge_config_selectorIlNS0_10empty_typeEEEZZNS1_27merge_sort_block_merge_implIS3_PlPS5_mZN2at6native12_GLOBAL__N_124unique_dim_cuda_templateIN3c108BFloat16EEESt5tupleIJNSA_6TensorESH_SH_EERKSH_lbbbEUlllE_EE10hipError_tT0_T1_T2_jT3_P12ihipStream_tbPNSt15iterator_traitsISN_E10value_typeEPNST_ISO_E10value_typeEPSP_NS1_7vsmem_tEENKUlT_SN_SO_SP_E_clIS8_S8_S9_S9_EESM_S12_SN_SO_SP_EUlS12_E_NS1_11comp_targetILNS1_3genE4ELNS1_11target_archE910ELNS1_3gpuE8ELNS1_3repE0EEENS1_48merge_mergepath_partition_config_static_selectorELNS0_4arch9wavefront6targetE1EEEvSO_
	.p2align	8
	.type	_ZN7rocprim17ROCPRIM_400000_NS6detail17trampoline_kernelINS0_14default_configENS1_38merge_sort_block_merge_config_selectorIlNS0_10empty_typeEEEZZNS1_27merge_sort_block_merge_implIS3_PlPS5_mZN2at6native12_GLOBAL__N_124unique_dim_cuda_templateIN3c108BFloat16EEESt5tupleIJNSA_6TensorESH_SH_EERKSH_lbbbEUlllE_EE10hipError_tT0_T1_T2_jT3_P12ihipStream_tbPNSt15iterator_traitsISN_E10value_typeEPNST_ISO_E10value_typeEPSP_NS1_7vsmem_tEENKUlT_SN_SO_SP_E_clIS8_S8_S9_S9_EESM_S12_SN_SO_SP_EUlS12_E_NS1_11comp_targetILNS1_3genE4ELNS1_11target_archE910ELNS1_3gpuE8ELNS1_3repE0EEENS1_48merge_mergepath_partition_config_static_selectorELNS0_4arch9wavefront6targetE1EEEvSO_,@function
_ZN7rocprim17ROCPRIM_400000_NS6detail17trampoline_kernelINS0_14default_configENS1_38merge_sort_block_merge_config_selectorIlNS0_10empty_typeEEEZZNS1_27merge_sort_block_merge_implIS3_PlPS5_mZN2at6native12_GLOBAL__N_124unique_dim_cuda_templateIN3c108BFloat16EEESt5tupleIJNSA_6TensorESH_SH_EERKSH_lbbbEUlllE_EE10hipError_tT0_T1_T2_jT3_P12ihipStream_tbPNSt15iterator_traitsISN_E10value_typeEPNST_ISO_E10value_typeEPSP_NS1_7vsmem_tEENKUlT_SN_SO_SP_E_clIS8_S8_S9_S9_EESM_S12_SN_SO_SP_EUlS12_E_NS1_11comp_targetILNS1_3genE4ELNS1_11target_archE910ELNS1_3gpuE8ELNS1_3repE0EEENS1_48merge_mergepath_partition_config_static_selectorELNS0_4arch9wavefront6targetE1EEEvSO_: ; @_ZN7rocprim17ROCPRIM_400000_NS6detail17trampoline_kernelINS0_14default_configENS1_38merge_sort_block_merge_config_selectorIlNS0_10empty_typeEEEZZNS1_27merge_sort_block_merge_implIS3_PlPS5_mZN2at6native12_GLOBAL__N_124unique_dim_cuda_templateIN3c108BFloat16EEESt5tupleIJNSA_6TensorESH_SH_EERKSH_lbbbEUlllE_EE10hipError_tT0_T1_T2_jT3_P12ihipStream_tbPNSt15iterator_traitsISN_E10value_typeEPNST_ISO_E10value_typeEPSP_NS1_7vsmem_tEENKUlT_SN_SO_SP_E_clIS8_S8_S9_S9_EESM_S12_SN_SO_SP_EUlS12_E_NS1_11comp_targetILNS1_3genE4ELNS1_11target_archE910ELNS1_3gpuE8ELNS1_3repE0EEENS1_48merge_mergepath_partition_config_static_selectorELNS0_4arch9wavefront6targetE1EEEvSO_
; %bb.0:
	.section	.rodata,"a",@progbits
	.p2align	6, 0x0
	.amdhsa_kernel _ZN7rocprim17ROCPRIM_400000_NS6detail17trampoline_kernelINS0_14default_configENS1_38merge_sort_block_merge_config_selectorIlNS0_10empty_typeEEEZZNS1_27merge_sort_block_merge_implIS3_PlPS5_mZN2at6native12_GLOBAL__N_124unique_dim_cuda_templateIN3c108BFloat16EEESt5tupleIJNSA_6TensorESH_SH_EERKSH_lbbbEUlllE_EE10hipError_tT0_T1_T2_jT3_P12ihipStream_tbPNSt15iterator_traitsISN_E10value_typeEPNST_ISO_E10value_typeEPSP_NS1_7vsmem_tEENKUlT_SN_SO_SP_E_clIS8_S8_S9_S9_EESM_S12_SN_SO_SP_EUlS12_E_NS1_11comp_targetILNS1_3genE4ELNS1_11target_archE910ELNS1_3gpuE8ELNS1_3repE0EEENS1_48merge_mergepath_partition_config_static_selectorELNS0_4arch9wavefront6targetE1EEEvSO_
		.amdhsa_group_segment_fixed_size 0
		.amdhsa_private_segment_fixed_size 0
		.amdhsa_kernarg_size 56
		.amdhsa_user_sgpr_count 2
		.amdhsa_user_sgpr_dispatch_ptr 0
		.amdhsa_user_sgpr_queue_ptr 0
		.amdhsa_user_sgpr_kernarg_segment_ptr 1
		.amdhsa_user_sgpr_dispatch_id 0
		.amdhsa_user_sgpr_kernarg_preload_length 0
		.amdhsa_user_sgpr_kernarg_preload_offset 0
		.amdhsa_user_sgpr_private_segment_size 0
		.amdhsa_uses_dynamic_stack 0
		.amdhsa_enable_private_segment 0
		.amdhsa_system_sgpr_workgroup_id_x 1
		.amdhsa_system_sgpr_workgroup_id_y 0
		.amdhsa_system_sgpr_workgroup_id_z 0
		.amdhsa_system_sgpr_workgroup_info 0
		.amdhsa_system_vgpr_workitem_id 0
		.amdhsa_next_free_vgpr 1
		.amdhsa_next_free_sgpr 0
		.amdhsa_accum_offset 4
		.amdhsa_reserve_vcc 0
		.amdhsa_float_round_mode_32 0
		.amdhsa_float_round_mode_16_64 0
		.amdhsa_float_denorm_mode_32 3
		.amdhsa_float_denorm_mode_16_64 3
		.amdhsa_dx10_clamp 1
		.amdhsa_ieee_mode 1
		.amdhsa_fp16_overflow 0
		.amdhsa_tg_split 0
		.amdhsa_exception_fp_ieee_invalid_op 0
		.amdhsa_exception_fp_denorm_src 0
		.amdhsa_exception_fp_ieee_div_zero 0
		.amdhsa_exception_fp_ieee_overflow 0
		.amdhsa_exception_fp_ieee_underflow 0
		.amdhsa_exception_fp_ieee_inexact 0
		.amdhsa_exception_int_div_zero 0
	.end_amdhsa_kernel
	.section	.text._ZN7rocprim17ROCPRIM_400000_NS6detail17trampoline_kernelINS0_14default_configENS1_38merge_sort_block_merge_config_selectorIlNS0_10empty_typeEEEZZNS1_27merge_sort_block_merge_implIS3_PlPS5_mZN2at6native12_GLOBAL__N_124unique_dim_cuda_templateIN3c108BFloat16EEESt5tupleIJNSA_6TensorESH_SH_EERKSH_lbbbEUlllE_EE10hipError_tT0_T1_T2_jT3_P12ihipStream_tbPNSt15iterator_traitsISN_E10value_typeEPNST_ISO_E10value_typeEPSP_NS1_7vsmem_tEENKUlT_SN_SO_SP_E_clIS8_S8_S9_S9_EESM_S12_SN_SO_SP_EUlS12_E_NS1_11comp_targetILNS1_3genE4ELNS1_11target_archE910ELNS1_3gpuE8ELNS1_3repE0EEENS1_48merge_mergepath_partition_config_static_selectorELNS0_4arch9wavefront6targetE1EEEvSO_,"axG",@progbits,_ZN7rocprim17ROCPRIM_400000_NS6detail17trampoline_kernelINS0_14default_configENS1_38merge_sort_block_merge_config_selectorIlNS0_10empty_typeEEEZZNS1_27merge_sort_block_merge_implIS3_PlPS5_mZN2at6native12_GLOBAL__N_124unique_dim_cuda_templateIN3c108BFloat16EEESt5tupleIJNSA_6TensorESH_SH_EERKSH_lbbbEUlllE_EE10hipError_tT0_T1_T2_jT3_P12ihipStream_tbPNSt15iterator_traitsISN_E10value_typeEPNST_ISO_E10value_typeEPSP_NS1_7vsmem_tEENKUlT_SN_SO_SP_E_clIS8_S8_S9_S9_EESM_S12_SN_SO_SP_EUlS12_E_NS1_11comp_targetILNS1_3genE4ELNS1_11target_archE910ELNS1_3gpuE8ELNS1_3repE0EEENS1_48merge_mergepath_partition_config_static_selectorELNS0_4arch9wavefront6targetE1EEEvSO_,comdat
.Lfunc_end1136:
	.size	_ZN7rocprim17ROCPRIM_400000_NS6detail17trampoline_kernelINS0_14default_configENS1_38merge_sort_block_merge_config_selectorIlNS0_10empty_typeEEEZZNS1_27merge_sort_block_merge_implIS3_PlPS5_mZN2at6native12_GLOBAL__N_124unique_dim_cuda_templateIN3c108BFloat16EEESt5tupleIJNSA_6TensorESH_SH_EERKSH_lbbbEUlllE_EE10hipError_tT0_T1_T2_jT3_P12ihipStream_tbPNSt15iterator_traitsISN_E10value_typeEPNST_ISO_E10value_typeEPSP_NS1_7vsmem_tEENKUlT_SN_SO_SP_E_clIS8_S8_S9_S9_EESM_S12_SN_SO_SP_EUlS12_E_NS1_11comp_targetILNS1_3genE4ELNS1_11target_archE910ELNS1_3gpuE8ELNS1_3repE0EEENS1_48merge_mergepath_partition_config_static_selectorELNS0_4arch9wavefront6targetE1EEEvSO_, .Lfunc_end1136-_ZN7rocprim17ROCPRIM_400000_NS6detail17trampoline_kernelINS0_14default_configENS1_38merge_sort_block_merge_config_selectorIlNS0_10empty_typeEEEZZNS1_27merge_sort_block_merge_implIS3_PlPS5_mZN2at6native12_GLOBAL__N_124unique_dim_cuda_templateIN3c108BFloat16EEESt5tupleIJNSA_6TensorESH_SH_EERKSH_lbbbEUlllE_EE10hipError_tT0_T1_T2_jT3_P12ihipStream_tbPNSt15iterator_traitsISN_E10value_typeEPNST_ISO_E10value_typeEPSP_NS1_7vsmem_tEENKUlT_SN_SO_SP_E_clIS8_S8_S9_S9_EESM_S12_SN_SO_SP_EUlS12_E_NS1_11comp_targetILNS1_3genE4ELNS1_11target_archE910ELNS1_3gpuE8ELNS1_3repE0EEENS1_48merge_mergepath_partition_config_static_selectorELNS0_4arch9wavefront6targetE1EEEvSO_
                                        ; -- End function
	.section	.AMDGPU.csdata,"",@progbits
; Kernel info:
; codeLenInByte = 0
; NumSgprs: 6
; NumVgprs: 0
; NumAgprs: 0
; TotalNumVgprs: 0
; ScratchSize: 0
; MemoryBound: 0
; FloatMode: 240
; IeeeMode: 1
; LDSByteSize: 0 bytes/workgroup (compile time only)
; SGPRBlocks: 0
; VGPRBlocks: 0
; NumSGPRsForWavesPerEU: 6
; NumVGPRsForWavesPerEU: 1
; AccumOffset: 4
; Occupancy: 8
; WaveLimiterHint : 0
; COMPUTE_PGM_RSRC2:SCRATCH_EN: 0
; COMPUTE_PGM_RSRC2:USER_SGPR: 2
; COMPUTE_PGM_RSRC2:TRAP_HANDLER: 0
; COMPUTE_PGM_RSRC2:TGID_X_EN: 1
; COMPUTE_PGM_RSRC2:TGID_Y_EN: 0
; COMPUTE_PGM_RSRC2:TGID_Z_EN: 0
; COMPUTE_PGM_RSRC2:TIDIG_COMP_CNT: 0
; COMPUTE_PGM_RSRC3_GFX90A:ACCUM_OFFSET: 0
; COMPUTE_PGM_RSRC3_GFX90A:TG_SPLIT: 0
	.section	.text._ZN7rocprim17ROCPRIM_400000_NS6detail17trampoline_kernelINS0_14default_configENS1_38merge_sort_block_merge_config_selectorIlNS0_10empty_typeEEEZZNS1_27merge_sort_block_merge_implIS3_PlPS5_mZN2at6native12_GLOBAL__N_124unique_dim_cuda_templateIN3c108BFloat16EEESt5tupleIJNSA_6TensorESH_SH_EERKSH_lbbbEUlllE_EE10hipError_tT0_T1_T2_jT3_P12ihipStream_tbPNSt15iterator_traitsISN_E10value_typeEPNST_ISO_E10value_typeEPSP_NS1_7vsmem_tEENKUlT_SN_SO_SP_E_clIS8_S8_S9_S9_EESM_S12_SN_SO_SP_EUlS12_E_NS1_11comp_targetILNS1_3genE3ELNS1_11target_archE908ELNS1_3gpuE7ELNS1_3repE0EEENS1_48merge_mergepath_partition_config_static_selectorELNS0_4arch9wavefront6targetE1EEEvSO_,"axG",@progbits,_ZN7rocprim17ROCPRIM_400000_NS6detail17trampoline_kernelINS0_14default_configENS1_38merge_sort_block_merge_config_selectorIlNS0_10empty_typeEEEZZNS1_27merge_sort_block_merge_implIS3_PlPS5_mZN2at6native12_GLOBAL__N_124unique_dim_cuda_templateIN3c108BFloat16EEESt5tupleIJNSA_6TensorESH_SH_EERKSH_lbbbEUlllE_EE10hipError_tT0_T1_T2_jT3_P12ihipStream_tbPNSt15iterator_traitsISN_E10value_typeEPNST_ISO_E10value_typeEPSP_NS1_7vsmem_tEENKUlT_SN_SO_SP_E_clIS8_S8_S9_S9_EESM_S12_SN_SO_SP_EUlS12_E_NS1_11comp_targetILNS1_3genE3ELNS1_11target_archE908ELNS1_3gpuE7ELNS1_3repE0EEENS1_48merge_mergepath_partition_config_static_selectorELNS0_4arch9wavefront6targetE1EEEvSO_,comdat
	.globl	_ZN7rocprim17ROCPRIM_400000_NS6detail17trampoline_kernelINS0_14default_configENS1_38merge_sort_block_merge_config_selectorIlNS0_10empty_typeEEEZZNS1_27merge_sort_block_merge_implIS3_PlPS5_mZN2at6native12_GLOBAL__N_124unique_dim_cuda_templateIN3c108BFloat16EEESt5tupleIJNSA_6TensorESH_SH_EERKSH_lbbbEUlllE_EE10hipError_tT0_T1_T2_jT3_P12ihipStream_tbPNSt15iterator_traitsISN_E10value_typeEPNST_ISO_E10value_typeEPSP_NS1_7vsmem_tEENKUlT_SN_SO_SP_E_clIS8_S8_S9_S9_EESM_S12_SN_SO_SP_EUlS12_E_NS1_11comp_targetILNS1_3genE3ELNS1_11target_archE908ELNS1_3gpuE7ELNS1_3repE0EEENS1_48merge_mergepath_partition_config_static_selectorELNS0_4arch9wavefront6targetE1EEEvSO_ ; -- Begin function _ZN7rocprim17ROCPRIM_400000_NS6detail17trampoline_kernelINS0_14default_configENS1_38merge_sort_block_merge_config_selectorIlNS0_10empty_typeEEEZZNS1_27merge_sort_block_merge_implIS3_PlPS5_mZN2at6native12_GLOBAL__N_124unique_dim_cuda_templateIN3c108BFloat16EEESt5tupleIJNSA_6TensorESH_SH_EERKSH_lbbbEUlllE_EE10hipError_tT0_T1_T2_jT3_P12ihipStream_tbPNSt15iterator_traitsISN_E10value_typeEPNST_ISO_E10value_typeEPSP_NS1_7vsmem_tEENKUlT_SN_SO_SP_E_clIS8_S8_S9_S9_EESM_S12_SN_SO_SP_EUlS12_E_NS1_11comp_targetILNS1_3genE3ELNS1_11target_archE908ELNS1_3gpuE7ELNS1_3repE0EEENS1_48merge_mergepath_partition_config_static_selectorELNS0_4arch9wavefront6targetE1EEEvSO_
	.p2align	8
	.type	_ZN7rocprim17ROCPRIM_400000_NS6detail17trampoline_kernelINS0_14default_configENS1_38merge_sort_block_merge_config_selectorIlNS0_10empty_typeEEEZZNS1_27merge_sort_block_merge_implIS3_PlPS5_mZN2at6native12_GLOBAL__N_124unique_dim_cuda_templateIN3c108BFloat16EEESt5tupleIJNSA_6TensorESH_SH_EERKSH_lbbbEUlllE_EE10hipError_tT0_T1_T2_jT3_P12ihipStream_tbPNSt15iterator_traitsISN_E10value_typeEPNST_ISO_E10value_typeEPSP_NS1_7vsmem_tEENKUlT_SN_SO_SP_E_clIS8_S8_S9_S9_EESM_S12_SN_SO_SP_EUlS12_E_NS1_11comp_targetILNS1_3genE3ELNS1_11target_archE908ELNS1_3gpuE7ELNS1_3repE0EEENS1_48merge_mergepath_partition_config_static_selectorELNS0_4arch9wavefront6targetE1EEEvSO_,@function
_ZN7rocprim17ROCPRIM_400000_NS6detail17trampoline_kernelINS0_14default_configENS1_38merge_sort_block_merge_config_selectorIlNS0_10empty_typeEEEZZNS1_27merge_sort_block_merge_implIS3_PlPS5_mZN2at6native12_GLOBAL__N_124unique_dim_cuda_templateIN3c108BFloat16EEESt5tupleIJNSA_6TensorESH_SH_EERKSH_lbbbEUlllE_EE10hipError_tT0_T1_T2_jT3_P12ihipStream_tbPNSt15iterator_traitsISN_E10value_typeEPNST_ISO_E10value_typeEPSP_NS1_7vsmem_tEENKUlT_SN_SO_SP_E_clIS8_S8_S9_S9_EESM_S12_SN_SO_SP_EUlS12_E_NS1_11comp_targetILNS1_3genE3ELNS1_11target_archE908ELNS1_3gpuE7ELNS1_3repE0EEENS1_48merge_mergepath_partition_config_static_selectorELNS0_4arch9wavefront6targetE1EEEvSO_: ; @_ZN7rocprim17ROCPRIM_400000_NS6detail17trampoline_kernelINS0_14default_configENS1_38merge_sort_block_merge_config_selectorIlNS0_10empty_typeEEEZZNS1_27merge_sort_block_merge_implIS3_PlPS5_mZN2at6native12_GLOBAL__N_124unique_dim_cuda_templateIN3c108BFloat16EEESt5tupleIJNSA_6TensorESH_SH_EERKSH_lbbbEUlllE_EE10hipError_tT0_T1_T2_jT3_P12ihipStream_tbPNSt15iterator_traitsISN_E10value_typeEPNST_ISO_E10value_typeEPSP_NS1_7vsmem_tEENKUlT_SN_SO_SP_E_clIS8_S8_S9_S9_EESM_S12_SN_SO_SP_EUlS12_E_NS1_11comp_targetILNS1_3genE3ELNS1_11target_archE908ELNS1_3gpuE7ELNS1_3repE0EEENS1_48merge_mergepath_partition_config_static_selectorELNS0_4arch9wavefront6targetE1EEEvSO_
; %bb.0:
	.section	.rodata,"a",@progbits
	.p2align	6, 0x0
	.amdhsa_kernel _ZN7rocprim17ROCPRIM_400000_NS6detail17trampoline_kernelINS0_14default_configENS1_38merge_sort_block_merge_config_selectorIlNS0_10empty_typeEEEZZNS1_27merge_sort_block_merge_implIS3_PlPS5_mZN2at6native12_GLOBAL__N_124unique_dim_cuda_templateIN3c108BFloat16EEESt5tupleIJNSA_6TensorESH_SH_EERKSH_lbbbEUlllE_EE10hipError_tT0_T1_T2_jT3_P12ihipStream_tbPNSt15iterator_traitsISN_E10value_typeEPNST_ISO_E10value_typeEPSP_NS1_7vsmem_tEENKUlT_SN_SO_SP_E_clIS8_S8_S9_S9_EESM_S12_SN_SO_SP_EUlS12_E_NS1_11comp_targetILNS1_3genE3ELNS1_11target_archE908ELNS1_3gpuE7ELNS1_3repE0EEENS1_48merge_mergepath_partition_config_static_selectorELNS0_4arch9wavefront6targetE1EEEvSO_
		.amdhsa_group_segment_fixed_size 0
		.amdhsa_private_segment_fixed_size 0
		.amdhsa_kernarg_size 56
		.amdhsa_user_sgpr_count 2
		.amdhsa_user_sgpr_dispatch_ptr 0
		.amdhsa_user_sgpr_queue_ptr 0
		.amdhsa_user_sgpr_kernarg_segment_ptr 1
		.amdhsa_user_sgpr_dispatch_id 0
		.amdhsa_user_sgpr_kernarg_preload_length 0
		.amdhsa_user_sgpr_kernarg_preload_offset 0
		.amdhsa_user_sgpr_private_segment_size 0
		.amdhsa_uses_dynamic_stack 0
		.amdhsa_enable_private_segment 0
		.amdhsa_system_sgpr_workgroup_id_x 1
		.amdhsa_system_sgpr_workgroup_id_y 0
		.amdhsa_system_sgpr_workgroup_id_z 0
		.amdhsa_system_sgpr_workgroup_info 0
		.amdhsa_system_vgpr_workitem_id 0
		.amdhsa_next_free_vgpr 1
		.amdhsa_next_free_sgpr 0
		.amdhsa_accum_offset 4
		.amdhsa_reserve_vcc 0
		.amdhsa_float_round_mode_32 0
		.amdhsa_float_round_mode_16_64 0
		.amdhsa_float_denorm_mode_32 3
		.amdhsa_float_denorm_mode_16_64 3
		.amdhsa_dx10_clamp 1
		.amdhsa_ieee_mode 1
		.amdhsa_fp16_overflow 0
		.amdhsa_tg_split 0
		.amdhsa_exception_fp_ieee_invalid_op 0
		.amdhsa_exception_fp_denorm_src 0
		.amdhsa_exception_fp_ieee_div_zero 0
		.amdhsa_exception_fp_ieee_overflow 0
		.amdhsa_exception_fp_ieee_underflow 0
		.amdhsa_exception_fp_ieee_inexact 0
		.amdhsa_exception_int_div_zero 0
	.end_amdhsa_kernel
	.section	.text._ZN7rocprim17ROCPRIM_400000_NS6detail17trampoline_kernelINS0_14default_configENS1_38merge_sort_block_merge_config_selectorIlNS0_10empty_typeEEEZZNS1_27merge_sort_block_merge_implIS3_PlPS5_mZN2at6native12_GLOBAL__N_124unique_dim_cuda_templateIN3c108BFloat16EEESt5tupleIJNSA_6TensorESH_SH_EERKSH_lbbbEUlllE_EE10hipError_tT0_T1_T2_jT3_P12ihipStream_tbPNSt15iterator_traitsISN_E10value_typeEPNST_ISO_E10value_typeEPSP_NS1_7vsmem_tEENKUlT_SN_SO_SP_E_clIS8_S8_S9_S9_EESM_S12_SN_SO_SP_EUlS12_E_NS1_11comp_targetILNS1_3genE3ELNS1_11target_archE908ELNS1_3gpuE7ELNS1_3repE0EEENS1_48merge_mergepath_partition_config_static_selectorELNS0_4arch9wavefront6targetE1EEEvSO_,"axG",@progbits,_ZN7rocprim17ROCPRIM_400000_NS6detail17trampoline_kernelINS0_14default_configENS1_38merge_sort_block_merge_config_selectorIlNS0_10empty_typeEEEZZNS1_27merge_sort_block_merge_implIS3_PlPS5_mZN2at6native12_GLOBAL__N_124unique_dim_cuda_templateIN3c108BFloat16EEESt5tupleIJNSA_6TensorESH_SH_EERKSH_lbbbEUlllE_EE10hipError_tT0_T1_T2_jT3_P12ihipStream_tbPNSt15iterator_traitsISN_E10value_typeEPNST_ISO_E10value_typeEPSP_NS1_7vsmem_tEENKUlT_SN_SO_SP_E_clIS8_S8_S9_S9_EESM_S12_SN_SO_SP_EUlS12_E_NS1_11comp_targetILNS1_3genE3ELNS1_11target_archE908ELNS1_3gpuE7ELNS1_3repE0EEENS1_48merge_mergepath_partition_config_static_selectorELNS0_4arch9wavefront6targetE1EEEvSO_,comdat
.Lfunc_end1137:
	.size	_ZN7rocprim17ROCPRIM_400000_NS6detail17trampoline_kernelINS0_14default_configENS1_38merge_sort_block_merge_config_selectorIlNS0_10empty_typeEEEZZNS1_27merge_sort_block_merge_implIS3_PlPS5_mZN2at6native12_GLOBAL__N_124unique_dim_cuda_templateIN3c108BFloat16EEESt5tupleIJNSA_6TensorESH_SH_EERKSH_lbbbEUlllE_EE10hipError_tT0_T1_T2_jT3_P12ihipStream_tbPNSt15iterator_traitsISN_E10value_typeEPNST_ISO_E10value_typeEPSP_NS1_7vsmem_tEENKUlT_SN_SO_SP_E_clIS8_S8_S9_S9_EESM_S12_SN_SO_SP_EUlS12_E_NS1_11comp_targetILNS1_3genE3ELNS1_11target_archE908ELNS1_3gpuE7ELNS1_3repE0EEENS1_48merge_mergepath_partition_config_static_selectorELNS0_4arch9wavefront6targetE1EEEvSO_, .Lfunc_end1137-_ZN7rocprim17ROCPRIM_400000_NS6detail17trampoline_kernelINS0_14default_configENS1_38merge_sort_block_merge_config_selectorIlNS0_10empty_typeEEEZZNS1_27merge_sort_block_merge_implIS3_PlPS5_mZN2at6native12_GLOBAL__N_124unique_dim_cuda_templateIN3c108BFloat16EEESt5tupleIJNSA_6TensorESH_SH_EERKSH_lbbbEUlllE_EE10hipError_tT0_T1_T2_jT3_P12ihipStream_tbPNSt15iterator_traitsISN_E10value_typeEPNST_ISO_E10value_typeEPSP_NS1_7vsmem_tEENKUlT_SN_SO_SP_E_clIS8_S8_S9_S9_EESM_S12_SN_SO_SP_EUlS12_E_NS1_11comp_targetILNS1_3genE3ELNS1_11target_archE908ELNS1_3gpuE7ELNS1_3repE0EEENS1_48merge_mergepath_partition_config_static_selectorELNS0_4arch9wavefront6targetE1EEEvSO_
                                        ; -- End function
	.section	.AMDGPU.csdata,"",@progbits
; Kernel info:
; codeLenInByte = 0
; NumSgprs: 6
; NumVgprs: 0
; NumAgprs: 0
; TotalNumVgprs: 0
; ScratchSize: 0
; MemoryBound: 0
; FloatMode: 240
; IeeeMode: 1
; LDSByteSize: 0 bytes/workgroup (compile time only)
; SGPRBlocks: 0
; VGPRBlocks: 0
; NumSGPRsForWavesPerEU: 6
; NumVGPRsForWavesPerEU: 1
; AccumOffset: 4
; Occupancy: 8
; WaveLimiterHint : 0
; COMPUTE_PGM_RSRC2:SCRATCH_EN: 0
; COMPUTE_PGM_RSRC2:USER_SGPR: 2
; COMPUTE_PGM_RSRC2:TRAP_HANDLER: 0
; COMPUTE_PGM_RSRC2:TGID_X_EN: 1
; COMPUTE_PGM_RSRC2:TGID_Y_EN: 0
; COMPUTE_PGM_RSRC2:TGID_Z_EN: 0
; COMPUTE_PGM_RSRC2:TIDIG_COMP_CNT: 0
; COMPUTE_PGM_RSRC3_GFX90A:ACCUM_OFFSET: 0
; COMPUTE_PGM_RSRC3_GFX90A:TG_SPLIT: 0
	.section	.text._ZN7rocprim17ROCPRIM_400000_NS6detail17trampoline_kernelINS0_14default_configENS1_38merge_sort_block_merge_config_selectorIlNS0_10empty_typeEEEZZNS1_27merge_sort_block_merge_implIS3_PlPS5_mZN2at6native12_GLOBAL__N_124unique_dim_cuda_templateIN3c108BFloat16EEESt5tupleIJNSA_6TensorESH_SH_EERKSH_lbbbEUlllE_EE10hipError_tT0_T1_T2_jT3_P12ihipStream_tbPNSt15iterator_traitsISN_E10value_typeEPNST_ISO_E10value_typeEPSP_NS1_7vsmem_tEENKUlT_SN_SO_SP_E_clIS8_S8_S9_S9_EESM_S12_SN_SO_SP_EUlS12_E_NS1_11comp_targetILNS1_3genE2ELNS1_11target_archE906ELNS1_3gpuE6ELNS1_3repE0EEENS1_48merge_mergepath_partition_config_static_selectorELNS0_4arch9wavefront6targetE1EEEvSO_,"axG",@progbits,_ZN7rocprim17ROCPRIM_400000_NS6detail17trampoline_kernelINS0_14default_configENS1_38merge_sort_block_merge_config_selectorIlNS0_10empty_typeEEEZZNS1_27merge_sort_block_merge_implIS3_PlPS5_mZN2at6native12_GLOBAL__N_124unique_dim_cuda_templateIN3c108BFloat16EEESt5tupleIJNSA_6TensorESH_SH_EERKSH_lbbbEUlllE_EE10hipError_tT0_T1_T2_jT3_P12ihipStream_tbPNSt15iterator_traitsISN_E10value_typeEPNST_ISO_E10value_typeEPSP_NS1_7vsmem_tEENKUlT_SN_SO_SP_E_clIS8_S8_S9_S9_EESM_S12_SN_SO_SP_EUlS12_E_NS1_11comp_targetILNS1_3genE2ELNS1_11target_archE906ELNS1_3gpuE6ELNS1_3repE0EEENS1_48merge_mergepath_partition_config_static_selectorELNS0_4arch9wavefront6targetE1EEEvSO_,comdat
	.globl	_ZN7rocprim17ROCPRIM_400000_NS6detail17trampoline_kernelINS0_14default_configENS1_38merge_sort_block_merge_config_selectorIlNS0_10empty_typeEEEZZNS1_27merge_sort_block_merge_implIS3_PlPS5_mZN2at6native12_GLOBAL__N_124unique_dim_cuda_templateIN3c108BFloat16EEESt5tupleIJNSA_6TensorESH_SH_EERKSH_lbbbEUlllE_EE10hipError_tT0_T1_T2_jT3_P12ihipStream_tbPNSt15iterator_traitsISN_E10value_typeEPNST_ISO_E10value_typeEPSP_NS1_7vsmem_tEENKUlT_SN_SO_SP_E_clIS8_S8_S9_S9_EESM_S12_SN_SO_SP_EUlS12_E_NS1_11comp_targetILNS1_3genE2ELNS1_11target_archE906ELNS1_3gpuE6ELNS1_3repE0EEENS1_48merge_mergepath_partition_config_static_selectorELNS0_4arch9wavefront6targetE1EEEvSO_ ; -- Begin function _ZN7rocprim17ROCPRIM_400000_NS6detail17trampoline_kernelINS0_14default_configENS1_38merge_sort_block_merge_config_selectorIlNS0_10empty_typeEEEZZNS1_27merge_sort_block_merge_implIS3_PlPS5_mZN2at6native12_GLOBAL__N_124unique_dim_cuda_templateIN3c108BFloat16EEESt5tupleIJNSA_6TensorESH_SH_EERKSH_lbbbEUlllE_EE10hipError_tT0_T1_T2_jT3_P12ihipStream_tbPNSt15iterator_traitsISN_E10value_typeEPNST_ISO_E10value_typeEPSP_NS1_7vsmem_tEENKUlT_SN_SO_SP_E_clIS8_S8_S9_S9_EESM_S12_SN_SO_SP_EUlS12_E_NS1_11comp_targetILNS1_3genE2ELNS1_11target_archE906ELNS1_3gpuE6ELNS1_3repE0EEENS1_48merge_mergepath_partition_config_static_selectorELNS0_4arch9wavefront6targetE1EEEvSO_
	.p2align	8
	.type	_ZN7rocprim17ROCPRIM_400000_NS6detail17trampoline_kernelINS0_14default_configENS1_38merge_sort_block_merge_config_selectorIlNS0_10empty_typeEEEZZNS1_27merge_sort_block_merge_implIS3_PlPS5_mZN2at6native12_GLOBAL__N_124unique_dim_cuda_templateIN3c108BFloat16EEESt5tupleIJNSA_6TensorESH_SH_EERKSH_lbbbEUlllE_EE10hipError_tT0_T1_T2_jT3_P12ihipStream_tbPNSt15iterator_traitsISN_E10value_typeEPNST_ISO_E10value_typeEPSP_NS1_7vsmem_tEENKUlT_SN_SO_SP_E_clIS8_S8_S9_S9_EESM_S12_SN_SO_SP_EUlS12_E_NS1_11comp_targetILNS1_3genE2ELNS1_11target_archE906ELNS1_3gpuE6ELNS1_3repE0EEENS1_48merge_mergepath_partition_config_static_selectorELNS0_4arch9wavefront6targetE1EEEvSO_,@function
_ZN7rocprim17ROCPRIM_400000_NS6detail17trampoline_kernelINS0_14default_configENS1_38merge_sort_block_merge_config_selectorIlNS0_10empty_typeEEEZZNS1_27merge_sort_block_merge_implIS3_PlPS5_mZN2at6native12_GLOBAL__N_124unique_dim_cuda_templateIN3c108BFloat16EEESt5tupleIJNSA_6TensorESH_SH_EERKSH_lbbbEUlllE_EE10hipError_tT0_T1_T2_jT3_P12ihipStream_tbPNSt15iterator_traitsISN_E10value_typeEPNST_ISO_E10value_typeEPSP_NS1_7vsmem_tEENKUlT_SN_SO_SP_E_clIS8_S8_S9_S9_EESM_S12_SN_SO_SP_EUlS12_E_NS1_11comp_targetILNS1_3genE2ELNS1_11target_archE906ELNS1_3gpuE6ELNS1_3repE0EEENS1_48merge_mergepath_partition_config_static_selectorELNS0_4arch9wavefront6targetE1EEEvSO_: ; @_ZN7rocprim17ROCPRIM_400000_NS6detail17trampoline_kernelINS0_14default_configENS1_38merge_sort_block_merge_config_selectorIlNS0_10empty_typeEEEZZNS1_27merge_sort_block_merge_implIS3_PlPS5_mZN2at6native12_GLOBAL__N_124unique_dim_cuda_templateIN3c108BFloat16EEESt5tupleIJNSA_6TensorESH_SH_EERKSH_lbbbEUlllE_EE10hipError_tT0_T1_T2_jT3_P12ihipStream_tbPNSt15iterator_traitsISN_E10value_typeEPNST_ISO_E10value_typeEPSP_NS1_7vsmem_tEENKUlT_SN_SO_SP_E_clIS8_S8_S9_S9_EESM_S12_SN_SO_SP_EUlS12_E_NS1_11comp_targetILNS1_3genE2ELNS1_11target_archE906ELNS1_3gpuE6ELNS1_3repE0EEENS1_48merge_mergepath_partition_config_static_selectorELNS0_4arch9wavefront6targetE1EEEvSO_
; %bb.0:
	.section	.rodata,"a",@progbits
	.p2align	6, 0x0
	.amdhsa_kernel _ZN7rocprim17ROCPRIM_400000_NS6detail17trampoline_kernelINS0_14default_configENS1_38merge_sort_block_merge_config_selectorIlNS0_10empty_typeEEEZZNS1_27merge_sort_block_merge_implIS3_PlPS5_mZN2at6native12_GLOBAL__N_124unique_dim_cuda_templateIN3c108BFloat16EEESt5tupleIJNSA_6TensorESH_SH_EERKSH_lbbbEUlllE_EE10hipError_tT0_T1_T2_jT3_P12ihipStream_tbPNSt15iterator_traitsISN_E10value_typeEPNST_ISO_E10value_typeEPSP_NS1_7vsmem_tEENKUlT_SN_SO_SP_E_clIS8_S8_S9_S9_EESM_S12_SN_SO_SP_EUlS12_E_NS1_11comp_targetILNS1_3genE2ELNS1_11target_archE906ELNS1_3gpuE6ELNS1_3repE0EEENS1_48merge_mergepath_partition_config_static_selectorELNS0_4arch9wavefront6targetE1EEEvSO_
		.amdhsa_group_segment_fixed_size 0
		.amdhsa_private_segment_fixed_size 0
		.amdhsa_kernarg_size 56
		.amdhsa_user_sgpr_count 2
		.amdhsa_user_sgpr_dispatch_ptr 0
		.amdhsa_user_sgpr_queue_ptr 0
		.amdhsa_user_sgpr_kernarg_segment_ptr 1
		.amdhsa_user_sgpr_dispatch_id 0
		.amdhsa_user_sgpr_kernarg_preload_length 0
		.amdhsa_user_sgpr_kernarg_preload_offset 0
		.amdhsa_user_sgpr_private_segment_size 0
		.amdhsa_uses_dynamic_stack 0
		.amdhsa_enable_private_segment 0
		.amdhsa_system_sgpr_workgroup_id_x 1
		.amdhsa_system_sgpr_workgroup_id_y 0
		.amdhsa_system_sgpr_workgroup_id_z 0
		.amdhsa_system_sgpr_workgroup_info 0
		.amdhsa_system_vgpr_workitem_id 0
		.amdhsa_next_free_vgpr 1
		.amdhsa_next_free_sgpr 0
		.amdhsa_accum_offset 4
		.amdhsa_reserve_vcc 0
		.amdhsa_float_round_mode_32 0
		.amdhsa_float_round_mode_16_64 0
		.amdhsa_float_denorm_mode_32 3
		.amdhsa_float_denorm_mode_16_64 3
		.amdhsa_dx10_clamp 1
		.amdhsa_ieee_mode 1
		.amdhsa_fp16_overflow 0
		.amdhsa_tg_split 0
		.amdhsa_exception_fp_ieee_invalid_op 0
		.amdhsa_exception_fp_denorm_src 0
		.amdhsa_exception_fp_ieee_div_zero 0
		.amdhsa_exception_fp_ieee_overflow 0
		.amdhsa_exception_fp_ieee_underflow 0
		.amdhsa_exception_fp_ieee_inexact 0
		.amdhsa_exception_int_div_zero 0
	.end_amdhsa_kernel
	.section	.text._ZN7rocprim17ROCPRIM_400000_NS6detail17trampoline_kernelINS0_14default_configENS1_38merge_sort_block_merge_config_selectorIlNS0_10empty_typeEEEZZNS1_27merge_sort_block_merge_implIS3_PlPS5_mZN2at6native12_GLOBAL__N_124unique_dim_cuda_templateIN3c108BFloat16EEESt5tupleIJNSA_6TensorESH_SH_EERKSH_lbbbEUlllE_EE10hipError_tT0_T1_T2_jT3_P12ihipStream_tbPNSt15iterator_traitsISN_E10value_typeEPNST_ISO_E10value_typeEPSP_NS1_7vsmem_tEENKUlT_SN_SO_SP_E_clIS8_S8_S9_S9_EESM_S12_SN_SO_SP_EUlS12_E_NS1_11comp_targetILNS1_3genE2ELNS1_11target_archE906ELNS1_3gpuE6ELNS1_3repE0EEENS1_48merge_mergepath_partition_config_static_selectorELNS0_4arch9wavefront6targetE1EEEvSO_,"axG",@progbits,_ZN7rocprim17ROCPRIM_400000_NS6detail17trampoline_kernelINS0_14default_configENS1_38merge_sort_block_merge_config_selectorIlNS0_10empty_typeEEEZZNS1_27merge_sort_block_merge_implIS3_PlPS5_mZN2at6native12_GLOBAL__N_124unique_dim_cuda_templateIN3c108BFloat16EEESt5tupleIJNSA_6TensorESH_SH_EERKSH_lbbbEUlllE_EE10hipError_tT0_T1_T2_jT3_P12ihipStream_tbPNSt15iterator_traitsISN_E10value_typeEPNST_ISO_E10value_typeEPSP_NS1_7vsmem_tEENKUlT_SN_SO_SP_E_clIS8_S8_S9_S9_EESM_S12_SN_SO_SP_EUlS12_E_NS1_11comp_targetILNS1_3genE2ELNS1_11target_archE906ELNS1_3gpuE6ELNS1_3repE0EEENS1_48merge_mergepath_partition_config_static_selectorELNS0_4arch9wavefront6targetE1EEEvSO_,comdat
.Lfunc_end1138:
	.size	_ZN7rocprim17ROCPRIM_400000_NS6detail17trampoline_kernelINS0_14default_configENS1_38merge_sort_block_merge_config_selectorIlNS0_10empty_typeEEEZZNS1_27merge_sort_block_merge_implIS3_PlPS5_mZN2at6native12_GLOBAL__N_124unique_dim_cuda_templateIN3c108BFloat16EEESt5tupleIJNSA_6TensorESH_SH_EERKSH_lbbbEUlllE_EE10hipError_tT0_T1_T2_jT3_P12ihipStream_tbPNSt15iterator_traitsISN_E10value_typeEPNST_ISO_E10value_typeEPSP_NS1_7vsmem_tEENKUlT_SN_SO_SP_E_clIS8_S8_S9_S9_EESM_S12_SN_SO_SP_EUlS12_E_NS1_11comp_targetILNS1_3genE2ELNS1_11target_archE906ELNS1_3gpuE6ELNS1_3repE0EEENS1_48merge_mergepath_partition_config_static_selectorELNS0_4arch9wavefront6targetE1EEEvSO_, .Lfunc_end1138-_ZN7rocprim17ROCPRIM_400000_NS6detail17trampoline_kernelINS0_14default_configENS1_38merge_sort_block_merge_config_selectorIlNS0_10empty_typeEEEZZNS1_27merge_sort_block_merge_implIS3_PlPS5_mZN2at6native12_GLOBAL__N_124unique_dim_cuda_templateIN3c108BFloat16EEESt5tupleIJNSA_6TensorESH_SH_EERKSH_lbbbEUlllE_EE10hipError_tT0_T1_T2_jT3_P12ihipStream_tbPNSt15iterator_traitsISN_E10value_typeEPNST_ISO_E10value_typeEPSP_NS1_7vsmem_tEENKUlT_SN_SO_SP_E_clIS8_S8_S9_S9_EESM_S12_SN_SO_SP_EUlS12_E_NS1_11comp_targetILNS1_3genE2ELNS1_11target_archE906ELNS1_3gpuE6ELNS1_3repE0EEENS1_48merge_mergepath_partition_config_static_selectorELNS0_4arch9wavefront6targetE1EEEvSO_
                                        ; -- End function
	.section	.AMDGPU.csdata,"",@progbits
; Kernel info:
; codeLenInByte = 0
; NumSgprs: 6
; NumVgprs: 0
; NumAgprs: 0
; TotalNumVgprs: 0
; ScratchSize: 0
; MemoryBound: 0
; FloatMode: 240
; IeeeMode: 1
; LDSByteSize: 0 bytes/workgroup (compile time only)
; SGPRBlocks: 0
; VGPRBlocks: 0
; NumSGPRsForWavesPerEU: 6
; NumVGPRsForWavesPerEU: 1
; AccumOffset: 4
; Occupancy: 8
; WaveLimiterHint : 0
; COMPUTE_PGM_RSRC2:SCRATCH_EN: 0
; COMPUTE_PGM_RSRC2:USER_SGPR: 2
; COMPUTE_PGM_RSRC2:TRAP_HANDLER: 0
; COMPUTE_PGM_RSRC2:TGID_X_EN: 1
; COMPUTE_PGM_RSRC2:TGID_Y_EN: 0
; COMPUTE_PGM_RSRC2:TGID_Z_EN: 0
; COMPUTE_PGM_RSRC2:TIDIG_COMP_CNT: 0
; COMPUTE_PGM_RSRC3_GFX90A:ACCUM_OFFSET: 0
; COMPUTE_PGM_RSRC3_GFX90A:TG_SPLIT: 0
	.section	.text._ZN7rocprim17ROCPRIM_400000_NS6detail17trampoline_kernelINS0_14default_configENS1_38merge_sort_block_merge_config_selectorIlNS0_10empty_typeEEEZZNS1_27merge_sort_block_merge_implIS3_PlPS5_mZN2at6native12_GLOBAL__N_124unique_dim_cuda_templateIN3c108BFloat16EEESt5tupleIJNSA_6TensorESH_SH_EERKSH_lbbbEUlllE_EE10hipError_tT0_T1_T2_jT3_P12ihipStream_tbPNSt15iterator_traitsISN_E10value_typeEPNST_ISO_E10value_typeEPSP_NS1_7vsmem_tEENKUlT_SN_SO_SP_E_clIS8_S8_S9_S9_EESM_S12_SN_SO_SP_EUlS12_E_NS1_11comp_targetILNS1_3genE9ELNS1_11target_archE1100ELNS1_3gpuE3ELNS1_3repE0EEENS1_48merge_mergepath_partition_config_static_selectorELNS0_4arch9wavefront6targetE1EEEvSO_,"axG",@progbits,_ZN7rocprim17ROCPRIM_400000_NS6detail17trampoline_kernelINS0_14default_configENS1_38merge_sort_block_merge_config_selectorIlNS0_10empty_typeEEEZZNS1_27merge_sort_block_merge_implIS3_PlPS5_mZN2at6native12_GLOBAL__N_124unique_dim_cuda_templateIN3c108BFloat16EEESt5tupleIJNSA_6TensorESH_SH_EERKSH_lbbbEUlllE_EE10hipError_tT0_T1_T2_jT3_P12ihipStream_tbPNSt15iterator_traitsISN_E10value_typeEPNST_ISO_E10value_typeEPSP_NS1_7vsmem_tEENKUlT_SN_SO_SP_E_clIS8_S8_S9_S9_EESM_S12_SN_SO_SP_EUlS12_E_NS1_11comp_targetILNS1_3genE9ELNS1_11target_archE1100ELNS1_3gpuE3ELNS1_3repE0EEENS1_48merge_mergepath_partition_config_static_selectorELNS0_4arch9wavefront6targetE1EEEvSO_,comdat
	.globl	_ZN7rocprim17ROCPRIM_400000_NS6detail17trampoline_kernelINS0_14default_configENS1_38merge_sort_block_merge_config_selectorIlNS0_10empty_typeEEEZZNS1_27merge_sort_block_merge_implIS3_PlPS5_mZN2at6native12_GLOBAL__N_124unique_dim_cuda_templateIN3c108BFloat16EEESt5tupleIJNSA_6TensorESH_SH_EERKSH_lbbbEUlllE_EE10hipError_tT0_T1_T2_jT3_P12ihipStream_tbPNSt15iterator_traitsISN_E10value_typeEPNST_ISO_E10value_typeEPSP_NS1_7vsmem_tEENKUlT_SN_SO_SP_E_clIS8_S8_S9_S9_EESM_S12_SN_SO_SP_EUlS12_E_NS1_11comp_targetILNS1_3genE9ELNS1_11target_archE1100ELNS1_3gpuE3ELNS1_3repE0EEENS1_48merge_mergepath_partition_config_static_selectorELNS0_4arch9wavefront6targetE1EEEvSO_ ; -- Begin function _ZN7rocprim17ROCPRIM_400000_NS6detail17trampoline_kernelINS0_14default_configENS1_38merge_sort_block_merge_config_selectorIlNS0_10empty_typeEEEZZNS1_27merge_sort_block_merge_implIS3_PlPS5_mZN2at6native12_GLOBAL__N_124unique_dim_cuda_templateIN3c108BFloat16EEESt5tupleIJNSA_6TensorESH_SH_EERKSH_lbbbEUlllE_EE10hipError_tT0_T1_T2_jT3_P12ihipStream_tbPNSt15iterator_traitsISN_E10value_typeEPNST_ISO_E10value_typeEPSP_NS1_7vsmem_tEENKUlT_SN_SO_SP_E_clIS8_S8_S9_S9_EESM_S12_SN_SO_SP_EUlS12_E_NS1_11comp_targetILNS1_3genE9ELNS1_11target_archE1100ELNS1_3gpuE3ELNS1_3repE0EEENS1_48merge_mergepath_partition_config_static_selectorELNS0_4arch9wavefront6targetE1EEEvSO_
	.p2align	8
	.type	_ZN7rocprim17ROCPRIM_400000_NS6detail17trampoline_kernelINS0_14default_configENS1_38merge_sort_block_merge_config_selectorIlNS0_10empty_typeEEEZZNS1_27merge_sort_block_merge_implIS3_PlPS5_mZN2at6native12_GLOBAL__N_124unique_dim_cuda_templateIN3c108BFloat16EEESt5tupleIJNSA_6TensorESH_SH_EERKSH_lbbbEUlllE_EE10hipError_tT0_T1_T2_jT3_P12ihipStream_tbPNSt15iterator_traitsISN_E10value_typeEPNST_ISO_E10value_typeEPSP_NS1_7vsmem_tEENKUlT_SN_SO_SP_E_clIS8_S8_S9_S9_EESM_S12_SN_SO_SP_EUlS12_E_NS1_11comp_targetILNS1_3genE9ELNS1_11target_archE1100ELNS1_3gpuE3ELNS1_3repE0EEENS1_48merge_mergepath_partition_config_static_selectorELNS0_4arch9wavefront6targetE1EEEvSO_,@function
_ZN7rocprim17ROCPRIM_400000_NS6detail17trampoline_kernelINS0_14default_configENS1_38merge_sort_block_merge_config_selectorIlNS0_10empty_typeEEEZZNS1_27merge_sort_block_merge_implIS3_PlPS5_mZN2at6native12_GLOBAL__N_124unique_dim_cuda_templateIN3c108BFloat16EEESt5tupleIJNSA_6TensorESH_SH_EERKSH_lbbbEUlllE_EE10hipError_tT0_T1_T2_jT3_P12ihipStream_tbPNSt15iterator_traitsISN_E10value_typeEPNST_ISO_E10value_typeEPSP_NS1_7vsmem_tEENKUlT_SN_SO_SP_E_clIS8_S8_S9_S9_EESM_S12_SN_SO_SP_EUlS12_E_NS1_11comp_targetILNS1_3genE9ELNS1_11target_archE1100ELNS1_3gpuE3ELNS1_3repE0EEENS1_48merge_mergepath_partition_config_static_selectorELNS0_4arch9wavefront6targetE1EEEvSO_: ; @_ZN7rocprim17ROCPRIM_400000_NS6detail17trampoline_kernelINS0_14default_configENS1_38merge_sort_block_merge_config_selectorIlNS0_10empty_typeEEEZZNS1_27merge_sort_block_merge_implIS3_PlPS5_mZN2at6native12_GLOBAL__N_124unique_dim_cuda_templateIN3c108BFloat16EEESt5tupleIJNSA_6TensorESH_SH_EERKSH_lbbbEUlllE_EE10hipError_tT0_T1_T2_jT3_P12ihipStream_tbPNSt15iterator_traitsISN_E10value_typeEPNST_ISO_E10value_typeEPSP_NS1_7vsmem_tEENKUlT_SN_SO_SP_E_clIS8_S8_S9_S9_EESM_S12_SN_SO_SP_EUlS12_E_NS1_11comp_targetILNS1_3genE9ELNS1_11target_archE1100ELNS1_3gpuE3ELNS1_3repE0EEENS1_48merge_mergepath_partition_config_static_selectorELNS0_4arch9wavefront6targetE1EEEvSO_
; %bb.0:
	.section	.rodata,"a",@progbits
	.p2align	6, 0x0
	.amdhsa_kernel _ZN7rocprim17ROCPRIM_400000_NS6detail17trampoline_kernelINS0_14default_configENS1_38merge_sort_block_merge_config_selectorIlNS0_10empty_typeEEEZZNS1_27merge_sort_block_merge_implIS3_PlPS5_mZN2at6native12_GLOBAL__N_124unique_dim_cuda_templateIN3c108BFloat16EEESt5tupleIJNSA_6TensorESH_SH_EERKSH_lbbbEUlllE_EE10hipError_tT0_T1_T2_jT3_P12ihipStream_tbPNSt15iterator_traitsISN_E10value_typeEPNST_ISO_E10value_typeEPSP_NS1_7vsmem_tEENKUlT_SN_SO_SP_E_clIS8_S8_S9_S9_EESM_S12_SN_SO_SP_EUlS12_E_NS1_11comp_targetILNS1_3genE9ELNS1_11target_archE1100ELNS1_3gpuE3ELNS1_3repE0EEENS1_48merge_mergepath_partition_config_static_selectorELNS0_4arch9wavefront6targetE1EEEvSO_
		.amdhsa_group_segment_fixed_size 0
		.amdhsa_private_segment_fixed_size 0
		.amdhsa_kernarg_size 56
		.amdhsa_user_sgpr_count 2
		.amdhsa_user_sgpr_dispatch_ptr 0
		.amdhsa_user_sgpr_queue_ptr 0
		.amdhsa_user_sgpr_kernarg_segment_ptr 1
		.amdhsa_user_sgpr_dispatch_id 0
		.amdhsa_user_sgpr_kernarg_preload_length 0
		.amdhsa_user_sgpr_kernarg_preload_offset 0
		.amdhsa_user_sgpr_private_segment_size 0
		.amdhsa_uses_dynamic_stack 0
		.amdhsa_enable_private_segment 0
		.amdhsa_system_sgpr_workgroup_id_x 1
		.amdhsa_system_sgpr_workgroup_id_y 0
		.amdhsa_system_sgpr_workgroup_id_z 0
		.amdhsa_system_sgpr_workgroup_info 0
		.amdhsa_system_vgpr_workitem_id 0
		.amdhsa_next_free_vgpr 1
		.amdhsa_next_free_sgpr 0
		.amdhsa_accum_offset 4
		.amdhsa_reserve_vcc 0
		.amdhsa_float_round_mode_32 0
		.amdhsa_float_round_mode_16_64 0
		.amdhsa_float_denorm_mode_32 3
		.amdhsa_float_denorm_mode_16_64 3
		.amdhsa_dx10_clamp 1
		.amdhsa_ieee_mode 1
		.amdhsa_fp16_overflow 0
		.amdhsa_tg_split 0
		.amdhsa_exception_fp_ieee_invalid_op 0
		.amdhsa_exception_fp_denorm_src 0
		.amdhsa_exception_fp_ieee_div_zero 0
		.amdhsa_exception_fp_ieee_overflow 0
		.amdhsa_exception_fp_ieee_underflow 0
		.amdhsa_exception_fp_ieee_inexact 0
		.amdhsa_exception_int_div_zero 0
	.end_amdhsa_kernel
	.section	.text._ZN7rocprim17ROCPRIM_400000_NS6detail17trampoline_kernelINS0_14default_configENS1_38merge_sort_block_merge_config_selectorIlNS0_10empty_typeEEEZZNS1_27merge_sort_block_merge_implIS3_PlPS5_mZN2at6native12_GLOBAL__N_124unique_dim_cuda_templateIN3c108BFloat16EEESt5tupleIJNSA_6TensorESH_SH_EERKSH_lbbbEUlllE_EE10hipError_tT0_T1_T2_jT3_P12ihipStream_tbPNSt15iterator_traitsISN_E10value_typeEPNST_ISO_E10value_typeEPSP_NS1_7vsmem_tEENKUlT_SN_SO_SP_E_clIS8_S8_S9_S9_EESM_S12_SN_SO_SP_EUlS12_E_NS1_11comp_targetILNS1_3genE9ELNS1_11target_archE1100ELNS1_3gpuE3ELNS1_3repE0EEENS1_48merge_mergepath_partition_config_static_selectorELNS0_4arch9wavefront6targetE1EEEvSO_,"axG",@progbits,_ZN7rocprim17ROCPRIM_400000_NS6detail17trampoline_kernelINS0_14default_configENS1_38merge_sort_block_merge_config_selectorIlNS0_10empty_typeEEEZZNS1_27merge_sort_block_merge_implIS3_PlPS5_mZN2at6native12_GLOBAL__N_124unique_dim_cuda_templateIN3c108BFloat16EEESt5tupleIJNSA_6TensorESH_SH_EERKSH_lbbbEUlllE_EE10hipError_tT0_T1_T2_jT3_P12ihipStream_tbPNSt15iterator_traitsISN_E10value_typeEPNST_ISO_E10value_typeEPSP_NS1_7vsmem_tEENKUlT_SN_SO_SP_E_clIS8_S8_S9_S9_EESM_S12_SN_SO_SP_EUlS12_E_NS1_11comp_targetILNS1_3genE9ELNS1_11target_archE1100ELNS1_3gpuE3ELNS1_3repE0EEENS1_48merge_mergepath_partition_config_static_selectorELNS0_4arch9wavefront6targetE1EEEvSO_,comdat
.Lfunc_end1139:
	.size	_ZN7rocprim17ROCPRIM_400000_NS6detail17trampoline_kernelINS0_14default_configENS1_38merge_sort_block_merge_config_selectorIlNS0_10empty_typeEEEZZNS1_27merge_sort_block_merge_implIS3_PlPS5_mZN2at6native12_GLOBAL__N_124unique_dim_cuda_templateIN3c108BFloat16EEESt5tupleIJNSA_6TensorESH_SH_EERKSH_lbbbEUlllE_EE10hipError_tT0_T1_T2_jT3_P12ihipStream_tbPNSt15iterator_traitsISN_E10value_typeEPNST_ISO_E10value_typeEPSP_NS1_7vsmem_tEENKUlT_SN_SO_SP_E_clIS8_S8_S9_S9_EESM_S12_SN_SO_SP_EUlS12_E_NS1_11comp_targetILNS1_3genE9ELNS1_11target_archE1100ELNS1_3gpuE3ELNS1_3repE0EEENS1_48merge_mergepath_partition_config_static_selectorELNS0_4arch9wavefront6targetE1EEEvSO_, .Lfunc_end1139-_ZN7rocprim17ROCPRIM_400000_NS6detail17trampoline_kernelINS0_14default_configENS1_38merge_sort_block_merge_config_selectorIlNS0_10empty_typeEEEZZNS1_27merge_sort_block_merge_implIS3_PlPS5_mZN2at6native12_GLOBAL__N_124unique_dim_cuda_templateIN3c108BFloat16EEESt5tupleIJNSA_6TensorESH_SH_EERKSH_lbbbEUlllE_EE10hipError_tT0_T1_T2_jT3_P12ihipStream_tbPNSt15iterator_traitsISN_E10value_typeEPNST_ISO_E10value_typeEPSP_NS1_7vsmem_tEENKUlT_SN_SO_SP_E_clIS8_S8_S9_S9_EESM_S12_SN_SO_SP_EUlS12_E_NS1_11comp_targetILNS1_3genE9ELNS1_11target_archE1100ELNS1_3gpuE3ELNS1_3repE0EEENS1_48merge_mergepath_partition_config_static_selectorELNS0_4arch9wavefront6targetE1EEEvSO_
                                        ; -- End function
	.section	.AMDGPU.csdata,"",@progbits
; Kernel info:
; codeLenInByte = 0
; NumSgprs: 6
; NumVgprs: 0
; NumAgprs: 0
; TotalNumVgprs: 0
; ScratchSize: 0
; MemoryBound: 0
; FloatMode: 240
; IeeeMode: 1
; LDSByteSize: 0 bytes/workgroup (compile time only)
; SGPRBlocks: 0
; VGPRBlocks: 0
; NumSGPRsForWavesPerEU: 6
; NumVGPRsForWavesPerEU: 1
; AccumOffset: 4
; Occupancy: 8
; WaveLimiterHint : 0
; COMPUTE_PGM_RSRC2:SCRATCH_EN: 0
; COMPUTE_PGM_RSRC2:USER_SGPR: 2
; COMPUTE_PGM_RSRC2:TRAP_HANDLER: 0
; COMPUTE_PGM_RSRC2:TGID_X_EN: 1
; COMPUTE_PGM_RSRC2:TGID_Y_EN: 0
; COMPUTE_PGM_RSRC2:TGID_Z_EN: 0
; COMPUTE_PGM_RSRC2:TIDIG_COMP_CNT: 0
; COMPUTE_PGM_RSRC3_GFX90A:ACCUM_OFFSET: 0
; COMPUTE_PGM_RSRC3_GFX90A:TG_SPLIT: 0
	.section	.text._ZN7rocprim17ROCPRIM_400000_NS6detail17trampoline_kernelINS0_14default_configENS1_38merge_sort_block_merge_config_selectorIlNS0_10empty_typeEEEZZNS1_27merge_sort_block_merge_implIS3_PlPS5_mZN2at6native12_GLOBAL__N_124unique_dim_cuda_templateIN3c108BFloat16EEESt5tupleIJNSA_6TensorESH_SH_EERKSH_lbbbEUlllE_EE10hipError_tT0_T1_T2_jT3_P12ihipStream_tbPNSt15iterator_traitsISN_E10value_typeEPNST_ISO_E10value_typeEPSP_NS1_7vsmem_tEENKUlT_SN_SO_SP_E_clIS8_S8_S9_S9_EESM_S12_SN_SO_SP_EUlS12_E_NS1_11comp_targetILNS1_3genE8ELNS1_11target_archE1030ELNS1_3gpuE2ELNS1_3repE0EEENS1_48merge_mergepath_partition_config_static_selectorELNS0_4arch9wavefront6targetE1EEEvSO_,"axG",@progbits,_ZN7rocprim17ROCPRIM_400000_NS6detail17trampoline_kernelINS0_14default_configENS1_38merge_sort_block_merge_config_selectorIlNS0_10empty_typeEEEZZNS1_27merge_sort_block_merge_implIS3_PlPS5_mZN2at6native12_GLOBAL__N_124unique_dim_cuda_templateIN3c108BFloat16EEESt5tupleIJNSA_6TensorESH_SH_EERKSH_lbbbEUlllE_EE10hipError_tT0_T1_T2_jT3_P12ihipStream_tbPNSt15iterator_traitsISN_E10value_typeEPNST_ISO_E10value_typeEPSP_NS1_7vsmem_tEENKUlT_SN_SO_SP_E_clIS8_S8_S9_S9_EESM_S12_SN_SO_SP_EUlS12_E_NS1_11comp_targetILNS1_3genE8ELNS1_11target_archE1030ELNS1_3gpuE2ELNS1_3repE0EEENS1_48merge_mergepath_partition_config_static_selectorELNS0_4arch9wavefront6targetE1EEEvSO_,comdat
	.globl	_ZN7rocprim17ROCPRIM_400000_NS6detail17trampoline_kernelINS0_14default_configENS1_38merge_sort_block_merge_config_selectorIlNS0_10empty_typeEEEZZNS1_27merge_sort_block_merge_implIS3_PlPS5_mZN2at6native12_GLOBAL__N_124unique_dim_cuda_templateIN3c108BFloat16EEESt5tupleIJNSA_6TensorESH_SH_EERKSH_lbbbEUlllE_EE10hipError_tT0_T1_T2_jT3_P12ihipStream_tbPNSt15iterator_traitsISN_E10value_typeEPNST_ISO_E10value_typeEPSP_NS1_7vsmem_tEENKUlT_SN_SO_SP_E_clIS8_S8_S9_S9_EESM_S12_SN_SO_SP_EUlS12_E_NS1_11comp_targetILNS1_3genE8ELNS1_11target_archE1030ELNS1_3gpuE2ELNS1_3repE0EEENS1_48merge_mergepath_partition_config_static_selectorELNS0_4arch9wavefront6targetE1EEEvSO_ ; -- Begin function _ZN7rocprim17ROCPRIM_400000_NS6detail17trampoline_kernelINS0_14default_configENS1_38merge_sort_block_merge_config_selectorIlNS0_10empty_typeEEEZZNS1_27merge_sort_block_merge_implIS3_PlPS5_mZN2at6native12_GLOBAL__N_124unique_dim_cuda_templateIN3c108BFloat16EEESt5tupleIJNSA_6TensorESH_SH_EERKSH_lbbbEUlllE_EE10hipError_tT0_T1_T2_jT3_P12ihipStream_tbPNSt15iterator_traitsISN_E10value_typeEPNST_ISO_E10value_typeEPSP_NS1_7vsmem_tEENKUlT_SN_SO_SP_E_clIS8_S8_S9_S9_EESM_S12_SN_SO_SP_EUlS12_E_NS1_11comp_targetILNS1_3genE8ELNS1_11target_archE1030ELNS1_3gpuE2ELNS1_3repE0EEENS1_48merge_mergepath_partition_config_static_selectorELNS0_4arch9wavefront6targetE1EEEvSO_
	.p2align	8
	.type	_ZN7rocprim17ROCPRIM_400000_NS6detail17trampoline_kernelINS0_14default_configENS1_38merge_sort_block_merge_config_selectorIlNS0_10empty_typeEEEZZNS1_27merge_sort_block_merge_implIS3_PlPS5_mZN2at6native12_GLOBAL__N_124unique_dim_cuda_templateIN3c108BFloat16EEESt5tupleIJNSA_6TensorESH_SH_EERKSH_lbbbEUlllE_EE10hipError_tT0_T1_T2_jT3_P12ihipStream_tbPNSt15iterator_traitsISN_E10value_typeEPNST_ISO_E10value_typeEPSP_NS1_7vsmem_tEENKUlT_SN_SO_SP_E_clIS8_S8_S9_S9_EESM_S12_SN_SO_SP_EUlS12_E_NS1_11comp_targetILNS1_3genE8ELNS1_11target_archE1030ELNS1_3gpuE2ELNS1_3repE0EEENS1_48merge_mergepath_partition_config_static_selectorELNS0_4arch9wavefront6targetE1EEEvSO_,@function
_ZN7rocprim17ROCPRIM_400000_NS6detail17trampoline_kernelINS0_14default_configENS1_38merge_sort_block_merge_config_selectorIlNS0_10empty_typeEEEZZNS1_27merge_sort_block_merge_implIS3_PlPS5_mZN2at6native12_GLOBAL__N_124unique_dim_cuda_templateIN3c108BFloat16EEESt5tupleIJNSA_6TensorESH_SH_EERKSH_lbbbEUlllE_EE10hipError_tT0_T1_T2_jT3_P12ihipStream_tbPNSt15iterator_traitsISN_E10value_typeEPNST_ISO_E10value_typeEPSP_NS1_7vsmem_tEENKUlT_SN_SO_SP_E_clIS8_S8_S9_S9_EESM_S12_SN_SO_SP_EUlS12_E_NS1_11comp_targetILNS1_3genE8ELNS1_11target_archE1030ELNS1_3gpuE2ELNS1_3repE0EEENS1_48merge_mergepath_partition_config_static_selectorELNS0_4arch9wavefront6targetE1EEEvSO_: ; @_ZN7rocprim17ROCPRIM_400000_NS6detail17trampoline_kernelINS0_14default_configENS1_38merge_sort_block_merge_config_selectorIlNS0_10empty_typeEEEZZNS1_27merge_sort_block_merge_implIS3_PlPS5_mZN2at6native12_GLOBAL__N_124unique_dim_cuda_templateIN3c108BFloat16EEESt5tupleIJNSA_6TensorESH_SH_EERKSH_lbbbEUlllE_EE10hipError_tT0_T1_T2_jT3_P12ihipStream_tbPNSt15iterator_traitsISN_E10value_typeEPNST_ISO_E10value_typeEPSP_NS1_7vsmem_tEENKUlT_SN_SO_SP_E_clIS8_S8_S9_S9_EESM_S12_SN_SO_SP_EUlS12_E_NS1_11comp_targetILNS1_3genE8ELNS1_11target_archE1030ELNS1_3gpuE2ELNS1_3repE0EEENS1_48merge_mergepath_partition_config_static_selectorELNS0_4arch9wavefront6targetE1EEEvSO_
; %bb.0:
	.section	.rodata,"a",@progbits
	.p2align	6, 0x0
	.amdhsa_kernel _ZN7rocprim17ROCPRIM_400000_NS6detail17trampoline_kernelINS0_14default_configENS1_38merge_sort_block_merge_config_selectorIlNS0_10empty_typeEEEZZNS1_27merge_sort_block_merge_implIS3_PlPS5_mZN2at6native12_GLOBAL__N_124unique_dim_cuda_templateIN3c108BFloat16EEESt5tupleIJNSA_6TensorESH_SH_EERKSH_lbbbEUlllE_EE10hipError_tT0_T1_T2_jT3_P12ihipStream_tbPNSt15iterator_traitsISN_E10value_typeEPNST_ISO_E10value_typeEPSP_NS1_7vsmem_tEENKUlT_SN_SO_SP_E_clIS8_S8_S9_S9_EESM_S12_SN_SO_SP_EUlS12_E_NS1_11comp_targetILNS1_3genE8ELNS1_11target_archE1030ELNS1_3gpuE2ELNS1_3repE0EEENS1_48merge_mergepath_partition_config_static_selectorELNS0_4arch9wavefront6targetE1EEEvSO_
		.amdhsa_group_segment_fixed_size 0
		.amdhsa_private_segment_fixed_size 0
		.amdhsa_kernarg_size 56
		.amdhsa_user_sgpr_count 2
		.amdhsa_user_sgpr_dispatch_ptr 0
		.amdhsa_user_sgpr_queue_ptr 0
		.amdhsa_user_sgpr_kernarg_segment_ptr 1
		.amdhsa_user_sgpr_dispatch_id 0
		.amdhsa_user_sgpr_kernarg_preload_length 0
		.amdhsa_user_sgpr_kernarg_preload_offset 0
		.amdhsa_user_sgpr_private_segment_size 0
		.amdhsa_uses_dynamic_stack 0
		.amdhsa_enable_private_segment 0
		.amdhsa_system_sgpr_workgroup_id_x 1
		.amdhsa_system_sgpr_workgroup_id_y 0
		.amdhsa_system_sgpr_workgroup_id_z 0
		.amdhsa_system_sgpr_workgroup_info 0
		.amdhsa_system_vgpr_workitem_id 0
		.amdhsa_next_free_vgpr 1
		.amdhsa_next_free_sgpr 0
		.amdhsa_accum_offset 4
		.amdhsa_reserve_vcc 0
		.amdhsa_float_round_mode_32 0
		.amdhsa_float_round_mode_16_64 0
		.amdhsa_float_denorm_mode_32 3
		.amdhsa_float_denorm_mode_16_64 3
		.amdhsa_dx10_clamp 1
		.amdhsa_ieee_mode 1
		.amdhsa_fp16_overflow 0
		.amdhsa_tg_split 0
		.amdhsa_exception_fp_ieee_invalid_op 0
		.amdhsa_exception_fp_denorm_src 0
		.amdhsa_exception_fp_ieee_div_zero 0
		.amdhsa_exception_fp_ieee_overflow 0
		.amdhsa_exception_fp_ieee_underflow 0
		.amdhsa_exception_fp_ieee_inexact 0
		.amdhsa_exception_int_div_zero 0
	.end_amdhsa_kernel
	.section	.text._ZN7rocprim17ROCPRIM_400000_NS6detail17trampoline_kernelINS0_14default_configENS1_38merge_sort_block_merge_config_selectorIlNS0_10empty_typeEEEZZNS1_27merge_sort_block_merge_implIS3_PlPS5_mZN2at6native12_GLOBAL__N_124unique_dim_cuda_templateIN3c108BFloat16EEESt5tupleIJNSA_6TensorESH_SH_EERKSH_lbbbEUlllE_EE10hipError_tT0_T1_T2_jT3_P12ihipStream_tbPNSt15iterator_traitsISN_E10value_typeEPNST_ISO_E10value_typeEPSP_NS1_7vsmem_tEENKUlT_SN_SO_SP_E_clIS8_S8_S9_S9_EESM_S12_SN_SO_SP_EUlS12_E_NS1_11comp_targetILNS1_3genE8ELNS1_11target_archE1030ELNS1_3gpuE2ELNS1_3repE0EEENS1_48merge_mergepath_partition_config_static_selectorELNS0_4arch9wavefront6targetE1EEEvSO_,"axG",@progbits,_ZN7rocprim17ROCPRIM_400000_NS6detail17trampoline_kernelINS0_14default_configENS1_38merge_sort_block_merge_config_selectorIlNS0_10empty_typeEEEZZNS1_27merge_sort_block_merge_implIS3_PlPS5_mZN2at6native12_GLOBAL__N_124unique_dim_cuda_templateIN3c108BFloat16EEESt5tupleIJNSA_6TensorESH_SH_EERKSH_lbbbEUlllE_EE10hipError_tT0_T1_T2_jT3_P12ihipStream_tbPNSt15iterator_traitsISN_E10value_typeEPNST_ISO_E10value_typeEPSP_NS1_7vsmem_tEENKUlT_SN_SO_SP_E_clIS8_S8_S9_S9_EESM_S12_SN_SO_SP_EUlS12_E_NS1_11comp_targetILNS1_3genE8ELNS1_11target_archE1030ELNS1_3gpuE2ELNS1_3repE0EEENS1_48merge_mergepath_partition_config_static_selectorELNS0_4arch9wavefront6targetE1EEEvSO_,comdat
.Lfunc_end1140:
	.size	_ZN7rocprim17ROCPRIM_400000_NS6detail17trampoline_kernelINS0_14default_configENS1_38merge_sort_block_merge_config_selectorIlNS0_10empty_typeEEEZZNS1_27merge_sort_block_merge_implIS3_PlPS5_mZN2at6native12_GLOBAL__N_124unique_dim_cuda_templateIN3c108BFloat16EEESt5tupleIJNSA_6TensorESH_SH_EERKSH_lbbbEUlllE_EE10hipError_tT0_T1_T2_jT3_P12ihipStream_tbPNSt15iterator_traitsISN_E10value_typeEPNST_ISO_E10value_typeEPSP_NS1_7vsmem_tEENKUlT_SN_SO_SP_E_clIS8_S8_S9_S9_EESM_S12_SN_SO_SP_EUlS12_E_NS1_11comp_targetILNS1_3genE8ELNS1_11target_archE1030ELNS1_3gpuE2ELNS1_3repE0EEENS1_48merge_mergepath_partition_config_static_selectorELNS0_4arch9wavefront6targetE1EEEvSO_, .Lfunc_end1140-_ZN7rocprim17ROCPRIM_400000_NS6detail17trampoline_kernelINS0_14default_configENS1_38merge_sort_block_merge_config_selectorIlNS0_10empty_typeEEEZZNS1_27merge_sort_block_merge_implIS3_PlPS5_mZN2at6native12_GLOBAL__N_124unique_dim_cuda_templateIN3c108BFloat16EEESt5tupleIJNSA_6TensorESH_SH_EERKSH_lbbbEUlllE_EE10hipError_tT0_T1_T2_jT3_P12ihipStream_tbPNSt15iterator_traitsISN_E10value_typeEPNST_ISO_E10value_typeEPSP_NS1_7vsmem_tEENKUlT_SN_SO_SP_E_clIS8_S8_S9_S9_EESM_S12_SN_SO_SP_EUlS12_E_NS1_11comp_targetILNS1_3genE8ELNS1_11target_archE1030ELNS1_3gpuE2ELNS1_3repE0EEENS1_48merge_mergepath_partition_config_static_selectorELNS0_4arch9wavefront6targetE1EEEvSO_
                                        ; -- End function
	.section	.AMDGPU.csdata,"",@progbits
; Kernel info:
; codeLenInByte = 0
; NumSgprs: 6
; NumVgprs: 0
; NumAgprs: 0
; TotalNumVgprs: 0
; ScratchSize: 0
; MemoryBound: 0
; FloatMode: 240
; IeeeMode: 1
; LDSByteSize: 0 bytes/workgroup (compile time only)
; SGPRBlocks: 0
; VGPRBlocks: 0
; NumSGPRsForWavesPerEU: 6
; NumVGPRsForWavesPerEU: 1
; AccumOffset: 4
; Occupancy: 8
; WaveLimiterHint : 0
; COMPUTE_PGM_RSRC2:SCRATCH_EN: 0
; COMPUTE_PGM_RSRC2:USER_SGPR: 2
; COMPUTE_PGM_RSRC2:TRAP_HANDLER: 0
; COMPUTE_PGM_RSRC2:TGID_X_EN: 1
; COMPUTE_PGM_RSRC2:TGID_Y_EN: 0
; COMPUTE_PGM_RSRC2:TGID_Z_EN: 0
; COMPUTE_PGM_RSRC2:TIDIG_COMP_CNT: 0
; COMPUTE_PGM_RSRC3_GFX90A:ACCUM_OFFSET: 0
; COMPUTE_PGM_RSRC3_GFX90A:TG_SPLIT: 0
	.section	.text._ZN7rocprim17ROCPRIM_400000_NS6detail17trampoline_kernelINS0_14default_configENS1_38merge_sort_block_merge_config_selectorIlNS0_10empty_typeEEEZZNS1_27merge_sort_block_merge_implIS3_PlPS5_mZN2at6native12_GLOBAL__N_124unique_dim_cuda_templateIN3c108BFloat16EEESt5tupleIJNSA_6TensorESH_SH_EERKSH_lbbbEUlllE_EE10hipError_tT0_T1_T2_jT3_P12ihipStream_tbPNSt15iterator_traitsISN_E10value_typeEPNST_ISO_E10value_typeEPSP_NS1_7vsmem_tEENKUlT_SN_SO_SP_E_clIS8_S8_S9_S9_EESM_S12_SN_SO_SP_EUlS12_E0_NS1_11comp_targetILNS1_3genE0ELNS1_11target_archE4294967295ELNS1_3gpuE0ELNS1_3repE0EEENS1_38merge_mergepath_config_static_selectorELNS0_4arch9wavefront6targetE1EEEvSO_,"axG",@progbits,_ZN7rocprim17ROCPRIM_400000_NS6detail17trampoline_kernelINS0_14default_configENS1_38merge_sort_block_merge_config_selectorIlNS0_10empty_typeEEEZZNS1_27merge_sort_block_merge_implIS3_PlPS5_mZN2at6native12_GLOBAL__N_124unique_dim_cuda_templateIN3c108BFloat16EEESt5tupleIJNSA_6TensorESH_SH_EERKSH_lbbbEUlllE_EE10hipError_tT0_T1_T2_jT3_P12ihipStream_tbPNSt15iterator_traitsISN_E10value_typeEPNST_ISO_E10value_typeEPSP_NS1_7vsmem_tEENKUlT_SN_SO_SP_E_clIS8_S8_S9_S9_EESM_S12_SN_SO_SP_EUlS12_E0_NS1_11comp_targetILNS1_3genE0ELNS1_11target_archE4294967295ELNS1_3gpuE0ELNS1_3repE0EEENS1_38merge_mergepath_config_static_selectorELNS0_4arch9wavefront6targetE1EEEvSO_,comdat
	.globl	_ZN7rocprim17ROCPRIM_400000_NS6detail17trampoline_kernelINS0_14default_configENS1_38merge_sort_block_merge_config_selectorIlNS0_10empty_typeEEEZZNS1_27merge_sort_block_merge_implIS3_PlPS5_mZN2at6native12_GLOBAL__N_124unique_dim_cuda_templateIN3c108BFloat16EEESt5tupleIJNSA_6TensorESH_SH_EERKSH_lbbbEUlllE_EE10hipError_tT0_T1_T2_jT3_P12ihipStream_tbPNSt15iterator_traitsISN_E10value_typeEPNST_ISO_E10value_typeEPSP_NS1_7vsmem_tEENKUlT_SN_SO_SP_E_clIS8_S8_S9_S9_EESM_S12_SN_SO_SP_EUlS12_E0_NS1_11comp_targetILNS1_3genE0ELNS1_11target_archE4294967295ELNS1_3gpuE0ELNS1_3repE0EEENS1_38merge_mergepath_config_static_selectorELNS0_4arch9wavefront6targetE1EEEvSO_ ; -- Begin function _ZN7rocprim17ROCPRIM_400000_NS6detail17trampoline_kernelINS0_14default_configENS1_38merge_sort_block_merge_config_selectorIlNS0_10empty_typeEEEZZNS1_27merge_sort_block_merge_implIS3_PlPS5_mZN2at6native12_GLOBAL__N_124unique_dim_cuda_templateIN3c108BFloat16EEESt5tupleIJNSA_6TensorESH_SH_EERKSH_lbbbEUlllE_EE10hipError_tT0_T1_T2_jT3_P12ihipStream_tbPNSt15iterator_traitsISN_E10value_typeEPNST_ISO_E10value_typeEPSP_NS1_7vsmem_tEENKUlT_SN_SO_SP_E_clIS8_S8_S9_S9_EESM_S12_SN_SO_SP_EUlS12_E0_NS1_11comp_targetILNS1_3genE0ELNS1_11target_archE4294967295ELNS1_3gpuE0ELNS1_3repE0EEENS1_38merge_mergepath_config_static_selectorELNS0_4arch9wavefront6targetE1EEEvSO_
	.p2align	8
	.type	_ZN7rocprim17ROCPRIM_400000_NS6detail17trampoline_kernelINS0_14default_configENS1_38merge_sort_block_merge_config_selectorIlNS0_10empty_typeEEEZZNS1_27merge_sort_block_merge_implIS3_PlPS5_mZN2at6native12_GLOBAL__N_124unique_dim_cuda_templateIN3c108BFloat16EEESt5tupleIJNSA_6TensorESH_SH_EERKSH_lbbbEUlllE_EE10hipError_tT0_T1_T2_jT3_P12ihipStream_tbPNSt15iterator_traitsISN_E10value_typeEPNST_ISO_E10value_typeEPSP_NS1_7vsmem_tEENKUlT_SN_SO_SP_E_clIS8_S8_S9_S9_EESM_S12_SN_SO_SP_EUlS12_E0_NS1_11comp_targetILNS1_3genE0ELNS1_11target_archE4294967295ELNS1_3gpuE0ELNS1_3repE0EEENS1_38merge_mergepath_config_static_selectorELNS0_4arch9wavefront6targetE1EEEvSO_,@function
_ZN7rocprim17ROCPRIM_400000_NS6detail17trampoline_kernelINS0_14default_configENS1_38merge_sort_block_merge_config_selectorIlNS0_10empty_typeEEEZZNS1_27merge_sort_block_merge_implIS3_PlPS5_mZN2at6native12_GLOBAL__N_124unique_dim_cuda_templateIN3c108BFloat16EEESt5tupleIJNSA_6TensorESH_SH_EERKSH_lbbbEUlllE_EE10hipError_tT0_T1_T2_jT3_P12ihipStream_tbPNSt15iterator_traitsISN_E10value_typeEPNST_ISO_E10value_typeEPSP_NS1_7vsmem_tEENKUlT_SN_SO_SP_E_clIS8_S8_S9_S9_EESM_S12_SN_SO_SP_EUlS12_E0_NS1_11comp_targetILNS1_3genE0ELNS1_11target_archE4294967295ELNS1_3gpuE0ELNS1_3repE0EEENS1_38merge_mergepath_config_static_selectorELNS0_4arch9wavefront6targetE1EEEvSO_: ; @_ZN7rocprim17ROCPRIM_400000_NS6detail17trampoline_kernelINS0_14default_configENS1_38merge_sort_block_merge_config_selectorIlNS0_10empty_typeEEEZZNS1_27merge_sort_block_merge_implIS3_PlPS5_mZN2at6native12_GLOBAL__N_124unique_dim_cuda_templateIN3c108BFloat16EEESt5tupleIJNSA_6TensorESH_SH_EERKSH_lbbbEUlllE_EE10hipError_tT0_T1_T2_jT3_P12ihipStream_tbPNSt15iterator_traitsISN_E10value_typeEPNST_ISO_E10value_typeEPSP_NS1_7vsmem_tEENKUlT_SN_SO_SP_E_clIS8_S8_S9_S9_EESM_S12_SN_SO_SP_EUlS12_E0_NS1_11comp_targetILNS1_3genE0ELNS1_11target_archE4294967295ELNS1_3gpuE0ELNS1_3repE0EEENS1_38merge_mergepath_config_static_selectorELNS0_4arch9wavefront6targetE1EEEvSO_
; %bb.0:
	.section	.rodata,"a",@progbits
	.p2align	6, 0x0
	.amdhsa_kernel _ZN7rocprim17ROCPRIM_400000_NS6detail17trampoline_kernelINS0_14default_configENS1_38merge_sort_block_merge_config_selectorIlNS0_10empty_typeEEEZZNS1_27merge_sort_block_merge_implIS3_PlPS5_mZN2at6native12_GLOBAL__N_124unique_dim_cuda_templateIN3c108BFloat16EEESt5tupleIJNSA_6TensorESH_SH_EERKSH_lbbbEUlllE_EE10hipError_tT0_T1_T2_jT3_P12ihipStream_tbPNSt15iterator_traitsISN_E10value_typeEPNST_ISO_E10value_typeEPSP_NS1_7vsmem_tEENKUlT_SN_SO_SP_E_clIS8_S8_S9_S9_EESM_S12_SN_SO_SP_EUlS12_E0_NS1_11comp_targetILNS1_3genE0ELNS1_11target_archE4294967295ELNS1_3gpuE0ELNS1_3repE0EEENS1_38merge_mergepath_config_static_selectorELNS0_4arch9wavefront6targetE1EEEvSO_
		.amdhsa_group_segment_fixed_size 0
		.amdhsa_private_segment_fixed_size 0
		.amdhsa_kernarg_size 88
		.amdhsa_user_sgpr_count 2
		.amdhsa_user_sgpr_dispatch_ptr 0
		.amdhsa_user_sgpr_queue_ptr 0
		.amdhsa_user_sgpr_kernarg_segment_ptr 1
		.amdhsa_user_sgpr_dispatch_id 0
		.amdhsa_user_sgpr_kernarg_preload_length 0
		.amdhsa_user_sgpr_kernarg_preload_offset 0
		.amdhsa_user_sgpr_private_segment_size 0
		.amdhsa_uses_dynamic_stack 0
		.amdhsa_enable_private_segment 0
		.amdhsa_system_sgpr_workgroup_id_x 1
		.amdhsa_system_sgpr_workgroup_id_y 0
		.amdhsa_system_sgpr_workgroup_id_z 0
		.amdhsa_system_sgpr_workgroup_info 0
		.amdhsa_system_vgpr_workitem_id 0
		.amdhsa_next_free_vgpr 1
		.amdhsa_next_free_sgpr 0
		.amdhsa_accum_offset 4
		.amdhsa_reserve_vcc 0
		.amdhsa_float_round_mode_32 0
		.amdhsa_float_round_mode_16_64 0
		.amdhsa_float_denorm_mode_32 3
		.amdhsa_float_denorm_mode_16_64 3
		.amdhsa_dx10_clamp 1
		.amdhsa_ieee_mode 1
		.amdhsa_fp16_overflow 0
		.amdhsa_tg_split 0
		.amdhsa_exception_fp_ieee_invalid_op 0
		.amdhsa_exception_fp_denorm_src 0
		.amdhsa_exception_fp_ieee_div_zero 0
		.amdhsa_exception_fp_ieee_overflow 0
		.amdhsa_exception_fp_ieee_underflow 0
		.amdhsa_exception_fp_ieee_inexact 0
		.amdhsa_exception_int_div_zero 0
	.end_amdhsa_kernel
	.section	.text._ZN7rocprim17ROCPRIM_400000_NS6detail17trampoline_kernelINS0_14default_configENS1_38merge_sort_block_merge_config_selectorIlNS0_10empty_typeEEEZZNS1_27merge_sort_block_merge_implIS3_PlPS5_mZN2at6native12_GLOBAL__N_124unique_dim_cuda_templateIN3c108BFloat16EEESt5tupleIJNSA_6TensorESH_SH_EERKSH_lbbbEUlllE_EE10hipError_tT0_T1_T2_jT3_P12ihipStream_tbPNSt15iterator_traitsISN_E10value_typeEPNST_ISO_E10value_typeEPSP_NS1_7vsmem_tEENKUlT_SN_SO_SP_E_clIS8_S8_S9_S9_EESM_S12_SN_SO_SP_EUlS12_E0_NS1_11comp_targetILNS1_3genE0ELNS1_11target_archE4294967295ELNS1_3gpuE0ELNS1_3repE0EEENS1_38merge_mergepath_config_static_selectorELNS0_4arch9wavefront6targetE1EEEvSO_,"axG",@progbits,_ZN7rocprim17ROCPRIM_400000_NS6detail17trampoline_kernelINS0_14default_configENS1_38merge_sort_block_merge_config_selectorIlNS0_10empty_typeEEEZZNS1_27merge_sort_block_merge_implIS3_PlPS5_mZN2at6native12_GLOBAL__N_124unique_dim_cuda_templateIN3c108BFloat16EEESt5tupleIJNSA_6TensorESH_SH_EERKSH_lbbbEUlllE_EE10hipError_tT0_T1_T2_jT3_P12ihipStream_tbPNSt15iterator_traitsISN_E10value_typeEPNST_ISO_E10value_typeEPSP_NS1_7vsmem_tEENKUlT_SN_SO_SP_E_clIS8_S8_S9_S9_EESM_S12_SN_SO_SP_EUlS12_E0_NS1_11comp_targetILNS1_3genE0ELNS1_11target_archE4294967295ELNS1_3gpuE0ELNS1_3repE0EEENS1_38merge_mergepath_config_static_selectorELNS0_4arch9wavefront6targetE1EEEvSO_,comdat
.Lfunc_end1141:
	.size	_ZN7rocprim17ROCPRIM_400000_NS6detail17trampoline_kernelINS0_14default_configENS1_38merge_sort_block_merge_config_selectorIlNS0_10empty_typeEEEZZNS1_27merge_sort_block_merge_implIS3_PlPS5_mZN2at6native12_GLOBAL__N_124unique_dim_cuda_templateIN3c108BFloat16EEESt5tupleIJNSA_6TensorESH_SH_EERKSH_lbbbEUlllE_EE10hipError_tT0_T1_T2_jT3_P12ihipStream_tbPNSt15iterator_traitsISN_E10value_typeEPNST_ISO_E10value_typeEPSP_NS1_7vsmem_tEENKUlT_SN_SO_SP_E_clIS8_S8_S9_S9_EESM_S12_SN_SO_SP_EUlS12_E0_NS1_11comp_targetILNS1_3genE0ELNS1_11target_archE4294967295ELNS1_3gpuE0ELNS1_3repE0EEENS1_38merge_mergepath_config_static_selectorELNS0_4arch9wavefront6targetE1EEEvSO_, .Lfunc_end1141-_ZN7rocprim17ROCPRIM_400000_NS6detail17trampoline_kernelINS0_14default_configENS1_38merge_sort_block_merge_config_selectorIlNS0_10empty_typeEEEZZNS1_27merge_sort_block_merge_implIS3_PlPS5_mZN2at6native12_GLOBAL__N_124unique_dim_cuda_templateIN3c108BFloat16EEESt5tupleIJNSA_6TensorESH_SH_EERKSH_lbbbEUlllE_EE10hipError_tT0_T1_T2_jT3_P12ihipStream_tbPNSt15iterator_traitsISN_E10value_typeEPNST_ISO_E10value_typeEPSP_NS1_7vsmem_tEENKUlT_SN_SO_SP_E_clIS8_S8_S9_S9_EESM_S12_SN_SO_SP_EUlS12_E0_NS1_11comp_targetILNS1_3genE0ELNS1_11target_archE4294967295ELNS1_3gpuE0ELNS1_3repE0EEENS1_38merge_mergepath_config_static_selectorELNS0_4arch9wavefront6targetE1EEEvSO_
                                        ; -- End function
	.section	.AMDGPU.csdata,"",@progbits
; Kernel info:
; codeLenInByte = 0
; NumSgprs: 6
; NumVgprs: 0
; NumAgprs: 0
; TotalNumVgprs: 0
; ScratchSize: 0
; MemoryBound: 0
; FloatMode: 240
; IeeeMode: 1
; LDSByteSize: 0 bytes/workgroup (compile time only)
; SGPRBlocks: 0
; VGPRBlocks: 0
; NumSGPRsForWavesPerEU: 6
; NumVGPRsForWavesPerEU: 1
; AccumOffset: 4
; Occupancy: 8
; WaveLimiterHint : 0
; COMPUTE_PGM_RSRC2:SCRATCH_EN: 0
; COMPUTE_PGM_RSRC2:USER_SGPR: 2
; COMPUTE_PGM_RSRC2:TRAP_HANDLER: 0
; COMPUTE_PGM_RSRC2:TGID_X_EN: 1
; COMPUTE_PGM_RSRC2:TGID_Y_EN: 0
; COMPUTE_PGM_RSRC2:TGID_Z_EN: 0
; COMPUTE_PGM_RSRC2:TIDIG_COMP_CNT: 0
; COMPUTE_PGM_RSRC3_GFX90A:ACCUM_OFFSET: 0
; COMPUTE_PGM_RSRC3_GFX90A:TG_SPLIT: 0
	.section	.text._ZN7rocprim17ROCPRIM_400000_NS6detail17trampoline_kernelINS0_14default_configENS1_38merge_sort_block_merge_config_selectorIlNS0_10empty_typeEEEZZNS1_27merge_sort_block_merge_implIS3_PlPS5_mZN2at6native12_GLOBAL__N_124unique_dim_cuda_templateIN3c108BFloat16EEESt5tupleIJNSA_6TensorESH_SH_EERKSH_lbbbEUlllE_EE10hipError_tT0_T1_T2_jT3_P12ihipStream_tbPNSt15iterator_traitsISN_E10value_typeEPNST_ISO_E10value_typeEPSP_NS1_7vsmem_tEENKUlT_SN_SO_SP_E_clIS8_S8_S9_S9_EESM_S12_SN_SO_SP_EUlS12_E0_NS1_11comp_targetILNS1_3genE10ELNS1_11target_archE1201ELNS1_3gpuE5ELNS1_3repE0EEENS1_38merge_mergepath_config_static_selectorELNS0_4arch9wavefront6targetE1EEEvSO_,"axG",@progbits,_ZN7rocprim17ROCPRIM_400000_NS6detail17trampoline_kernelINS0_14default_configENS1_38merge_sort_block_merge_config_selectorIlNS0_10empty_typeEEEZZNS1_27merge_sort_block_merge_implIS3_PlPS5_mZN2at6native12_GLOBAL__N_124unique_dim_cuda_templateIN3c108BFloat16EEESt5tupleIJNSA_6TensorESH_SH_EERKSH_lbbbEUlllE_EE10hipError_tT0_T1_T2_jT3_P12ihipStream_tbPNSt15iterator_traitsISN_E10value_typeEPNST_ISO_E10value_typeEPSP_NS1_7vsmem_tEENKUlT_SN_SO_SP_E_clIS8_S8_S9_S9_EESM_S12_SN_SO_SP_EUlS12_E0_NS1_11comp_targetILNS1_3genE10ELNS1_11target_archE1201ELNS1_3gpuE5ELNS1_3repE0EEENS1_38merge_mergepath_config_static_selectorELNS0_4arch9wavefront6targetE1EEEvSO_,comdat
	.globl	_ZN7rocprim17ROCPRIM_400000_NS6detail17trampoline_kernelINS0_14default_configENS1_38merge_sort_block_merge_config_selectorIlNS0_10empty_typeEEEZZNS1_27merge_sort_block_merge_implIS3_PlPS5_mZN2at6native12_GLOBAL__N_124unique_dim_cuda_templateIN3c108BFloat16EEESt5tupleIJNSA_6TensorESH_SH_EERKSH_lbbbEUlllE_EE10hipError_tT0_T1_T2_jT3_P12ihipStream_tbPNSt15iterator_traitsISN_E10value_typeEPNST_ISO_E10value_typeEPSP_NS1_7vsmem_tEENKUlT_SN_SO_SP_E_clIS8_S8_S9_S9_EESM_S12_SN_SO_SP_EUlS12_E0_NS1_11comp_targetILNS1_3genE10ELNS1_11target_archE1201ELNS1_3gpuE5ELNS1_3repE0EEENS1_38merge_mergepath_config_static_selectorELNS0_4arch9wavefront6targetE1EEEvSO_ ; -- Begin function _ZN7rocprim17ROCPRIM_400000_NS6detail17trampoline_kernelINS0_14default_configENS1_38merge_sort_block_merge_config_selectorIlNS0_10empty_typeEEEZZNS1_27merge_sort_block_merge_implIS3_PlPS5_mZN2at6native12_GLOBAL__N_124unique_dim_cuda_templateIN3c108BFloat16EEESt5tupleIJNSA_6TensorESH_SH_EERKSH_lbbbEUlllE_EE10hipError_tT0_T1_T2_jT3_P12ihipStream_tbPNSt15iterator_traitsISN_E10value_typeEPNST_ISO_E10value_typeEPSP_NS1_7vsmem_tEENKUlT_SN_SO_SP_E_clIS8_S8_S9_S9_EESM_S12_SN_SO_SP_EUlS12_E0_NS1_11comp_targetILNS1_3genE10ELNS1_11target_archE1201ELNS1_3gpuE5ELNS1_3repE0EEENS1_38merge_mergepath_config_static_selectorELNS0_4arch9wavefront6targetE1EEEvSO_
	.p2align	8
	.type	_ZN7rocprim17ROCPRIM_400000_NS6detail17trampoline_kernelINS0_14default_configENS1_38merge_sort_block_merge_config_selectorIlNS0_10empty_typeEEEZZNS1_27merge_sort_block_merge_implIS3_PlPS5_mZN2at6native12_GLOBAL__N_124unique_dim_cuda_templateIN3c108BFloat16EEESt5tupleIJNSA_6TensorESH_SH_EERKSH_lbbbEUlllE_EE10hipError_tT0_T1_T2_jT3_P12ihipStream_tbPNSt15iterator_traitsISN_E10value_typeEPNST_ISO_E10value_typeEPSP_NS1_7vsmem_tEENKUlT_SN_SO_SP_E_clIS8_S8_S9_S9_EESM_S12_SN_SO_SP_EUlS12_E0_NS1_11comp_targetILNS1_3genE10ELNS1_11target_archE1201ELNS1_3gpuE5ELNS1_3repE0EEENS1_38merge_mergepath_config_static_selectorELNS0_4arch9wavefront6targetE1EEEvSO_,@function
_ZN7rocprim17ROCPRIM_400000_NS6detail17trampoline_kernelINS0_14default_configENS1_38merge_sort_block_merge_config_selectorIlNS0_10empty_typeEEEZZNS1_27merge_sort_block_merge_implIS3_PlPS5_mZN2at6native12_GLOBAL__N_124unique_dim_cuda_templateIN3c108BFloat16EEESt5tupleIJNSA_6TensorESH_SH_EERKSH_lbbbEUlllE_EE10hipError_tT0_T1_T2_jT3_P12ihipStream_tbPNSt15iterator_traitsISN_E10value_typeEPNST_ISO_E10value_typeEPSP_NS1_7vsmem_tEENKUlT_SN_SO_SP_E_clIS8_S8_S9_S9_EESM_S12_SN_SO_SP_EUlS12_E0_NS1_11comp_targetILNS1_3genE10ELNS1_11target_archE1201ELNS1_3gpuE5ELNS1_3repE0EEENS1_38merge_mergepath_config_static_selectorELNS0_4arch9wavefront6targetE1EEEvSO_: ; @_ZN7rocprim17ROCPRIM_400000_NS6detail17trampoline_kernelINS0_14default_configENS1_38merge_sort_block_merge_config_selectorIlNS0_10empty_typeEEEZZNS1_27merge_sort_block_merge_implIS3_PlPS5_mZN2at6native12_GLOBAL__N_124unique_dim_cuda_templateIN3c108BFloat16EEESt5tupleIJNSA_6TensorESH_SH_EERKSH_lbbbEUlllE_EE10hipError_tT0_T1_T2_jT3_P12ihipStream_tbPNSt15iterator_traitsISN_E10value_typeEPNST_ISO_E10value_typeEPSP_NS1_7vsmem_tEENKUlT_SN_SO_SP_E_clIS8_S8_S9_S9_EESM_S12_SN_SO_SP_EUlS12_E0_NS1_11comp_targetILNS1_3genE10ELNS1_11target_archE1201ELNS1_3gpuE5ELNS1_3repE0EEENS1_38merge_mergepath_config_static_selectorELNS0_4arch9wavefront6targetE1EEEvSO_
; %bb.0:
	.section	.rodata,"a",@progbits
	.p2align	6, 0x0
	.amdhsa_kernel _ZN7rocprim17ROCPRIM_400000_NS6detail17trampoline_kernelINS0_14default_configENS1_38merge_sort_block_merge_config_selectorIlNS0_10empty_typeEEEZZNS1_27merge_sort_block_merge_implIS3_PlPS5_mZN2at6native12_GLOBAL__N_124unique_dim_cuda_templateIN3c108BFloat16EEESt5tupleIJNSA_6TensorESH_SH_EERKSH_lbbbEUlllE_EE10hipError_tT0_T1_T2_jT3_P12ihipStream_tbPNSt15iterator_traitsISN_E10value_typeEPNST_ISO_E10value_typeEPSP_NS1_7vsmem_tEENKUlT_SN_SO_SP_E_clIS8_S8_S9_S9_EESM_S12_SN_SO_SP_EUlS12_E0_NS1_11comp_targetILNS1_3genE10ELNS1_11target_archE1201ELNS1_3gpuE5ELNS1_3repE0EEENS1_38merge_mergepath_config_static_selectorELNS0_4arch9wavefront6targetE1EEEvSO_
		.amdhsa_group_segment_fixed_size 0
		.amdhsa_private_segment_fixed_size 0
		.amdhsa_kernarg_size 88
		.amdhsa_user_sgpr_count 2
		.amdhsa_user_sgpr_dispatch_ptr 0
		.amdhsa_user_sgpr_queue_ptr 0
		.amdhsa_user_sgpr_kernarg_segment_ptr 1
		.amdhsa_user_sgpr_dispatch_id 0
		.amdhsa_user_sgpr_kernarg_preload_length 0
		.amdhsa_user_sgpr_kernarg_preload_offset 0
		.amdhsa_user_sgpr_private_segment_size 0
		.amdhsa_uses_dynamic_stack 0
		.amdhsa_enable_private_segment 0
		.amdhsa_system_sgpr_workgroup_id_x 1
		.amdhsa_system_sgpr_workgroup_id_y 0
		.amdhsa_system_sgpr_workgroup_id_z 0
		.amdhsa_system_sgpr_workgroup_info 0
		.amdhsa_system_vgpr_workitem_id 0
		.amdhsa_next_free_vgpr 1
		.amdhsa_next_free_sgpr 0
		.amdhsa_accum_offset 4
		.amdhsa_reserve_vcc 0
		.amdhsa_float_round_mode_32 0
		.amdhsa_float_round_mode_16_64 0
		.amdhsa_float_denorm_mode_32 3
		.amdhsa_float_denorm_mode_16_64 3
		.amdhsa_dx10_clamp 1
		.amdhsa_ieee_mode 1
		.amdhsa_fp16_overflow 0
		.amdhsa_tg_split 0
		.amdhsa_exception_fp_ieee_invalid_op 0
		.amdhsa_exception_fp_denorm_src 0
		.amdhsa_exception_fp_ieee_div_zero 0
		.amdhsa_exception_fp_ieee_overflow 0
		.amdhsa_exception_fp_ieee_underflow 0
		.amdhsa_exception_fp_ieee_inexact 0
		.amdhsa_exception_int_div_zero 0
	.end_amdhsa_kernel
	.section	.text._ZN7rocprim17ROCPRIM_400000_NS6detail17trampoline_kernelINS0_14default_configENS1_38merge_sort_block_merge_config_selectorIlNS0_10empty_typeEEEZZNS1_27merge_sort_block_merge_implIS3_PlPS5_mZN2at6native12_GLOBAL__N_124unique_dim_cuda_templateIN3c108BFloat16EEESt5tupleIJNSA_6TensorESH_SH_EERKSH_lbbbEUlllE_EE10hipError_tT0_T1_T2_jT3_P12ihipStream_tbPNSt15iterator_traitsISN_E10value_typeEPNST_ISO_E10value_typeEPSP_NS1_7vsmem_tEENKUlT_SN_SO_SP_E_clIS8_S8_S9_S9_EESM_S12_SN_SO_SP_EUlS12_E0_NS1_11comp_targetILNS1_3genE10ELNS1_11target_archE1201ELNS1_3gpuE5ELNS1_3repE0EEENS1_38merge_mergepath_config_static_selectorELNS0_4arch9wavefront6targetE1EEEvSO_,"axG",@progbits,_ZN7rocprim17ROCPRIM_400000_NS6detail17trampoline_kernelINS0_14default_configENS1_38merge_sort_block_merge_config_selectorIlNS0_10empty_typeEEEZZNS1_27merge_sort_block_merge_implIS3_PlPS5_mZN2at6native12_GLOBAL__N_124unique_dim_cuda_templateIN3c108BFloat16EEESt5tupleIJNSA_6TensorESH_SH_EERKSH_lbbbEUlllE_EE10hipError_tT0_T1_T2_jT3_P12ihipStream_tbPNSt15iterator_traitsISN_E10value_typeEPNST_ISO_E10value_typeEPSP_NS1_7vsmem_tEENKUlT_SN_SO_SP_E_clIS8_S8_S9_S9_EESM_S12_SN_SO_SP_EUlS12_E0_NS1_11comp_targetILNS1_3genE10ELNS1_11target_archE1201ELNS1_3gpuE5ELNS1_3repE0EEENS1_38merge_mergepath_config_static_selectorELNS0_4arch9wavefront6targetE1EEEvSO_,comdat
.Lfunc_end1142:
	.size	_ZN7rocprim17ROCPRIM_400000_NS6detail17trampoline_kernelINS0_14default_configENS1_38merge_sort_block_merge_config_selectorIlNS0_10empty_typeEEEZZNS1_27merge_sort_block_merge_implIS3_PlPS5_mZN2at6native12_GLOBAL__N_124unique_dim_cuda_templateIN3c108BFloat16EEESt5tupleIJNSA_6TensorESH_SH_EERKSH_lbbbEUlllE_EE10hipError_tT0_T1_T2_jT3_P12ihipStream_tbPNSt15iterator_traitsISN_E10value_typeEPNST_ISO_E10value_typeEPSP_NS1_7vsmem_tEENKUlT_SN_SO_SP_E_clIS8_S8_S9_S9_EESM_S12_SN_SO_SP_EUlS12_E0_NS1_11comp_targetILNS1_3genE10ELNS1_11target_archE1201ELNS1_3gpuE5ELNS1_3repE0EEENS1_38merge_mergepath_config_static_selectorELNS0_4arch9wavefront6targetE1EEEvSO_, .Lfunc_end1142-_ZN7rocprim17ROCPRIM_400000_NS6detail17trampoline_kernelINS0_14default_configENS1_38merge_sort_block_merge_config_selectorIlNS0_10empty_typeEEEZZNS1_27merge_sort_block_merge_implIS3_PlPS5_mZN2at6native12_GLOBAL__N_124unique_dim_cuda_templateIN3c108BFloat16EEESt5tupleIJNSA_6TensorESH_SH_EERKSH_lbbbEUlllE_EE10hipError_tT0_T1_T2_jT3_P12ihipStream_tbPNSt15iterator_traitsISN_E10value_typeEPNST_ISO_E10value_typeEPSP_NS1_7vsmem_tEENKUlT_SN_SO_SP_E_clIS8_S8_S9_S9_EESM_S12_SN_SO_SP_EUlS12_E0_NS1_11comp_targetILNS1_3genE10ELNS1_11target_archE1201ELNS1_3gpuE5ELNS1_3repE0EEENS1_38merge_mergepath_config_static_selectorELNS0_4arch9wavefront6targetE1EEEvSO_
                                        ; -- End function
	.section	.AMDGPU.csdata,"",@progbits
; Kernel info:
; codeLenInByte = 0
; NumSgprs: 6
; NumVgprs: 0
; NumAgprs: 0
; TotalNumVgprs: 0
; ScratchSize: 0
; MemoryBound: 0
; FloatMode: 240
; IeeeMode: 1
; LDSByteSize: 0 bytes/workgroup (compile time only)
; SGPRBlocks: 0
; VGPRBlocks: 0
; NumSGPRsForWavesPerEU: 6
; NumVGPRsForWavesPerEU: 1
; AccumOffset: 4
; Occupancy: 8
; WaveLimiterHint : 0
; COMPUTE_PGM_RSRC2:SCRATCH_EN: 0
; COMPUTE_PGM_RSRC2:USER_SGPR: 2
; COMPUTE_PGM_RSRC2:TRAP_HANDLER: 0
; COMPUTE_PGM_RSRC2:TGID_X_EN: 1
; COMPUTE_PGM_RSRC2:TGID_Y_EN: 0
; COMPUTE_PGM_RSRC2:TGID_Z_EN: 0
; COMPUTE_PGM_RSRC2:TIDIG_COMP_CNT: 0
; COMPUTE_PGM_RSRC3_GFX90A:ACCUM_OFFSET: 0
; COMPUTE_PGM_RSRC3_GFX90A:TG_SPLIT: 0
	.section	.text._ZN7rocprim17ROCPRIM_400000_NS6detail17trampoline_kernelINS0_14default_configENS1_38merge_sort_block_merge_config_selectorIlNS0_10empty_typeEEEZZNS1_27merge_sort_block_merge_implIS3_PlPS5_mZN2at6native12_GLOBAL__N_124unique_dim_cuda_templateIN3c108BFloat16EEESt5tupleIJNSA_6TensorESH_SH_EERKSH_lbbbEUlllE_EE10hipError_tT0_T1_T2_jT3_P12ihipStream_tbPNSt15iterator_traitsISN_E10value_typeEPNST_ISO_E10value_typeEPSP_NS1_7vsmem_tEENKUlT_SN_SO_SP_E_clIS8_S8_S9_S9_EESM_S12_SN_SO_SP_EUlS12_E0_NS1_11comp_targetILNS1_3genE5ELNS1_11target_archE942ELNS1_3gpuE9ELNS1_3repE0EEENS1_38merge_mergepath_config_static_selectorELNS0_4arch9wavefront6targetE1EEEvSO_,"axG",@progbits,_ZN7rocprim17ROCPRIM_400000_NS6detail17trampoline_kernelINS0_14default_configENS1_38merge_sort_block_merge_config_selectorIlNS0_10empty_typeEEEZZNS1_27merge_sort_block_merge_implIS3_PlPS5_mZN2at6native12_GLOBAL__N_124unique_dim_cuda_templateIN3c108BFloat16EEESt5tupleIJNSA_6TensorESH_SH_EERKSH_lbbbEUlllE_EE10hipError_tT0_T1_T2_jT3_P12ihipStream_tbPNSt15iterator_traitsISN_E10value_typeEPNST_ISO_E10value_typeEPSP_NS1_7vsmem_tEENKUlT_SN_SO_SP_E_clIS8_S8_S9_S9_EESM_S12_SN_SO_SP_EUlS12_E0_NS1_11comp_targetILNS1_3genE5ELNS1_11target_archE942ELNS1_3gpuE9ELNS1_3repE0EEENS1_38merge_mergepath_config_static_selectorELNS0_4arch9wavefront6targetE1EEEvSO_,comdat
	.globl	_ZN7rocprim17ROCPRIM_400000_NS6detail17trampoline_kernelINS0_14default_configENS1_38merge_sort_block_merge_config_selectorIlNS0_10empty_typeEEEZZNS1_27merge_sort_block_merge_implIS3_PlPS5_mZN2at6native12_GLOBAL__N_124unique_dim_cuda_templateIN3c108BFloat16EEESt5tupleIJNSA_6TensorESH_SH_EERKSH_lbbbEUlllE_EE10hipError_tT0_T1_T2_jT3_P12ihipStream_tbPNSt15iterator_traitsISN_E10value_typeEPNST_ISO_E10value_typeEPSP_NS1_7vsmem_tEENKUlT_SN_SO_SP_E_clIS8_S8_S9_S9_EESM_S12_SN_SO_SP_EUlS12_E0_NS1_11comp_targetILNS1_3genE5ELNS1_11target_archE942ELNS1_3gpuE9ELNS1_3repE0EEENS1_38merge_mergepath_config_static_selectorELNS0_4arch9wavefront6targetE1EEEvSO_ ; -- Begin function _ZN7rocprim17ROCPRIM_400000_NS6detail17trampoline_kernelINS0_14default_configENS1_38merge_sort_block_merge_config_selectorIlNS0_10empty_typeEEEZZNS1_27merge_sort_block_merge_implIS3_PlPS5_mZN2at6native12_GLOBAL__N_124unique_dim_cuda_templateIN3c108BFloat16EEESt5tupleIJNSA_6TensorESH_SH_EERKSH_lbbbEUlllE_EE10hipError_tT0_T1_T2_jT3_P12ihipStream_tbPNSt15iterator_traitsISN_E10value_typeEPNST_ISO_E10value_typeEPSP_NS1_7vsmem_tEENKUlT_SN_SO_SP_E_clIS8_S8_S9_S9_EESM_S12_SN_SO_SP_EUlS12_E0_NS1_11comp_targetILNS1_3genE5ELNS1_11target_archE942ELNS1_3gpuE9ELNS1_3repE0EEENS1_38merge_mergepath_config_static_selectorELNS0_4arch9wavefront6targetE1EEEvSO_
	.p2align	8
	.type	_ZN7rocprim17ROCPRIM_400000_NS6detail17trampoline_kernelINS0_14default_configENS1_38merge_sort_block_merge_config_selectorIlNS0_10empty_typeEEEZZNS1_27merge_sort_block_merge_implIS3_PlPS5_mZN2at6native12_GLOBAL__N_124unique_dim_cuda_templateIN3c108BFloat16EEESt5tupleIJNSA_6TensorESH_SH_EERKSH_lbbbEUlllE_EE10hipError_tT0_T1_T2_jT3_P12ihipStream_tbPNSt15iterator_traitsISN_E10value_typeEPNST_ISO_E10value_typeEPSP_NS1_7vsmem_tEENKUlT_SN_SO_SP_E_clIS8_S8_S9_S9_EESM_S12_SN_SO_SP_EUlS12_E0_NS1_11comp_targetILNS1_3genE5ELNS1_11target_archE942ELNS1_3gpuE9ELNS1_3repE0EEENS1_38merge_mergepath_config_static_selectorELNS0_4arch9wavefront6targetE1EEEvSO_,@function
_ZN7rocprim17ROCPRIM_400000_NS6detail17trampoline_kernelINS0_14default_configENS1_38merge_sort_block_merge_config_selectorIlNS0_10empty_typeEEEZZNS1_27merge_sort_block_merge_implIS3_PlPS5_mZN2at6native12_GLOBAL__N_124unique_dim_cuda_templateIN3c108BFloat16EEESt5tupleIJNSA_6TensorESH_SH_EERKSH_lbbbEUlllE_EE10hipError_tT0_T1_T2_jT3_P12ihipStream_tbPNSt15iterator_traitsISN_E10value_typeEPNST_ISO_E10value_typeEPSP_NS1_7vsmem_tEENKUlT_SN_SO_SP_E_clIS8_S8_S9_S9_EESM_S12_SN_SO_SP_EUlS12_E0_NS1_11comp_targetILNS1_3genE5ELNS1_11target_archE942ELNS1_3gpuE9ELNS1_3repE0EEENS1_38merge_mergepath_config_static_selectorELNS0_4arch9wavefront6targetE1EEEvSO_: ; @_ZN7rocprim17ROCPRIM_400000_NS6detail17trampoline_kernelINS0_14default_configENS1_38merge_sort_block_merge_config_selectorIlNS0_10empty_typeEEEZZNS1_27merge_sort_block_merge_implIS3_PlPS5_mZN2at6native12_GLOBAL__N_124unique_dim_cuda_templateIN3c108BFloat16EEESt5tupleIJNSA_6TensorESH_SH_EERKSH_lbbbEUlllE_EE10hipError_tT0_T1_T2_jT3_P12ihipStream_tbPNSt15iterator_traitsISN_E10value_typeEPNST_ISO_E10value_typeEPSP_NS1_7vsmem_tEENKUlT_SN_SO_SP_E_clIS8_S8_S9_S9_EESM_S12_SN_SO_SP_EUlS12_E0_NS1_11comp_targetILNS1_3genE5ELNS1_11target_archE942ELNS1_3gpuE9ELNS1_3repE0EEENS1_38merge_mergepath_config_static_selectorELNS0_4arch9wavefront6targetE1EEEvSO_
; %bb.0:
	s_load_dwordx2 s[24:25], s[0:1], 0x58
	s_load_dword s5, s[0:1], 0x38
	s_add_u32 s22, s0, 0x58
	s_addc_u32 s23, s1, 0
	s_waitcnt lgkmcnt(0)
	s_mul_i32 s4, s25, s4
	s_add_i32 s3, s4, s3
	s_mul_i32 s3, s3, s24
	s_add_i32 s6, s3, s2
	s_cmp_ge_u32 s6, s5
	s_cbranch_scc1 .LBB1143_138
; %bb.1:
	s_load_dwordx2 s[4:5], s[0:1], 0x50
	s_load_dwordx4 s[12:15], s[0:1], 0x8
	s_load_dwordx4 s[8:11], s[0:1], 0x28
	s_mov_b32 s7, 0
	s_lshl_b64 s[16:17], s[6:7], 3
	s_waitcnt lgkmcnt(0)
	s_add_u32 s4, s4, s16
	s_addc_u32 s5, s5, s17
	v_mov_b32_e32 v1, s10
	v_alignbit_b32 v1, s11, v1, 9
	v_and_b32_e32 v1, -2, v1
	v_sub_u32_e32 v1, 0, v1
	s_load_dwordx4 s[16:19], s[4:5], 0x0
	v_and_b32_e32 v2, s6, v1
	v_mov_b32_e32 v3, 0
	v_lshlrev_b64 v[6:7], 10, v[2:3]
	s_lshl_b64 s[20:21], s[6:7], 10
	v_mov_b32_e32 v5, s21
	v_sub_co_u32_e32 v4, vcc, s20, v6
	v_lshlrev_b64 v[2:3], 11, v[2:3]
	s_nop 0
	v_subb_co_u32_e32 v5, vcc, v5, v7, vcc
	v_lshl_add_u64 v[8:9], v[2:3], 0, s[10:11]
	v_lshl_add_u64 v[2:3], v[8:9], 0, v[4:5]
	s_waitcnt lgkmcnt(0)
	v_mov_b32_e32 v5, s19
	v_subrev_co_u32_e32 v4, vcc, s18, v2
	s_mov_b64 s[4:5], 0x400
	s_nop 0
	v_subb_co_u32_e32 v5, vcc, v3, v5, vcc
	v_or_b32_e32 v1, s6, v1
	v_lshl_add_u64 v[10:11], v[4:5], 0, s[4:5]
	v_cmp_ne_u32_e32 vcc, -1, v1
	v_cmp_lt_u64_e64 s[4:5], s[8:9], v[10:11]
	s_cbranch_vccz .LBB1143_3
; %bb.2:
	v_mov_b32_e32 v1, s8
	v_mov_b64_e32 v[4:5], s[18:19]
	v_cndmask_b32_e64 v6, v10, v1, s[4:5]
	s_branch .LBB1143_4
.LBB1143_3:
	v_sub_co_u32_e32 v6, vcc, v8, v6
	v_mov_b32_e32 v1, s8
	s_nop 0
	v_subb_co_u32_e32 v7, vcc, v9, v7, vcc
	v_cmp_lt_u64_e32 vcc, s[8:9], v[6:7]
	s_nop 1
	v_cndmask_b32_e32 v4, v6, v1, vcc
	v_lshl_add_u64 v[6:7], v[6:7], 0, s[10:11]
	v_cmp_lt_u64_e32 vcc, s[8:9], v[6:7]
	s_nop 1
	v_cndmask_b32_e32 v6, v6, v1, vcc
.LBB1143_4:
	s_lshr_b64 s[18:19], s[8:9], 10
	s_cmp_lg_u64 s[18:19], s[6:7]
	s_cselect_b64 s[10:11], -1, 0
	s_lshl_b64 s[4:5], s[16:17], 3
	s_add_u32 s4, s12, s4
	s_addc_u32 s5, s13, s5
	s_cmp_lt_u32 s2, s24
	v_mov_b32_e32 v19, 0
	s_cselect_b32 s2, 12, 18
	global_load_dword v5, v19, s[22:23] offset:14
	s_add_u32 s2, s22, s2
	s_addc_u32 s3, s23, 0
	global_load_ushort v7, v19, s[2:3]
	v_mov_b32_e32 v8, s17
	v_subrev_co_u32_e32 v2, vcc, s16, v2
	v_mov_b32_e32 v9, s9
	s_nop 0
	v_subb_co_u32_e32 v3, vcc, v3, v8, vcc
	v_mov_b32_e32 v10, s8
	v_cmp_lt_u64_e32 vcc, s[8:9], v[2:3]
	v_subrev_u32_e32 v1, s16, v4
	s_cmp_eq_u64 s[18:19], s[6:7]
	v_cndmask_b32_e32 v3, v3, v9, vcc
	v_cndmask_b32_e32 v2, v2, v10, vcc
	v_sub_u32_e32 v25, v6, v2
	v_lshlrev_b64 v[2:3], 3, v[2:3]
	v_lshl_add_u64 v[20:21], s[12:13], 0, v[2:3]
	v_lshlrev_b32_e32 v18, 3, v0
	s_waitcnt vmcnt(1)
	v_lshrrev_b32_e32 v2, 16, v5
	v_and_b32_e32 v3, 0xffff, v5
	v_mul_lo_u32 v2, v3, v2
	s_waitcnt vmcnt(0)
	v_mul_lo_u32 v26, v2, v7
	s_cbranch_scc1 .LBB1143_6
; %bb.5:
	v_sub_u32_e32 v4, v0, v1
	v_mov_b32_e32 v5, v19
	v_add_u32_e32 v6, v26, v0
	v_lshl_add_u64 v[2:3], s[4:5], 0, v[18:19]
	v_lshl_add_u64 v[4:5], v[4:5], 3, v[20:21]
	v_cmp_lt_u32_e32 vcc, v0, v1
	v_mov_b32_e32 v7, v19
	v_sub_u32_e32 v8, v6, v1
	v_mov_b32_e32 v9, v19
	v_cndmask_b32_e32 v3, v5, v3, vcc
	v_cndmask_b32_e32 v2, v4, v2, vcc
	v_lshl_add_u64 v[4:5], v[6:7], 3, s[4:5]
	v_lshl_add_u64 v[8:9], v[8:9], 3, v[20:21]
	v_cmp_lt_u32_e32 vcc, v6, v1
	v_mov_b32_e32 v11, v19
	v_mov_b32_e32 v13, v19
	v_cndmask_b32_e32 v4, v8, v4, vcc
	v_add_u32_e32 v8, v6, v26
	v_cndmask_b32_e32 v5, v9, v5, vcc
	v_mov_b32_e32 v9, v19
	v_sub_u32_e32 v10, v8, v1
	v_lshl_add_u64 v[6:7], v[8:9], 3, s[4:5]
	v_lshl_add_u64 v[10:11], v[10:11], 3, v[20:21]
	v_cmp_lt_u32_e32 vcc, v8, v1
	v_mov_b32_e32 v15, v19
	v_mov_b32_e32 v17, v19
	v_cndmask_b32_e32 v6, v10, v6, vcc
	v_add_u32_e32 v10, v8, v26
	v_cndmask_b32_e32 v7, v11, v7, vcc
	v_mov_b32_e32 v11, v19
	v_sub_u32_e32 v12, v10, v1
	;; [unrolled: 10-line block ×3, first 2 shown]
	v_lshl_add_u64 v[10:11], v[12:13], 3, s[4:5]
	v_lshl_add_u64 v[14:15], v[14:15], 3, v[20:21]
	v_cmp_lt_u32_e32 vcc, v12, v1
	global_load_dwordx2 v[2:3], v[2:3], off
	v_add_u32_e32 v24, v1, v25
	v_cndmask_b32_e32 v10, v14, v10, vcc
	v_add_u32_e32 v14, v12, v26
	v_cndmask_b32_e32 v11, v15, v11, vcc
	v_mov_b32_e32 v15, v19
	v_sub_u32_e32 v16, v14, v1
	v_lshl_add_u64 v[12:13], v[14:15], 3, s[4:5]
	v_lshl_add_u64 v[16:17], v[16:17], 3, v[20:21]
	v_cmp_lt_u32_e32 vcc, v14, v1
	global_load_dwordx2 v[4:5], v[4:5], off
	s_nop 0
	v_cndmask_b32_e32 v13, v17, v13, vcc
	v_cndmask_b32_e32 v12, v16, v12, vcc
	v_add_u32_e32 v16, v14, v26
	v_mov_b32_e32 v17, v19
	v_lshl_add_u64 v[14:15], v[16:17], 3, s[4:5]
	v_sub_u32_e32 v22, v16, v1
	v_cmp_lt_u32_e32 vcc, v16, v1
	v_add_u32_e32 v16, v16, v26
	v_lshl_add_u64 v[22:23], v[22:23], 3, v[20:21]
	v_sub_u32_e32 v28, v16, v1
	v_cndmask_b32_e32 v15, v23, v15, vcc
	v_cndmask_b32_e32 v14, v22, v14, vcc
	v_lshl_add_u64 v[22:23], v[16:17], 3, s[4:5]
	v_lshl_add_u64 v[28:29], v[28:29], 3, v[20:21]
	v_cmp_lt_u32_e32 vcc, v16, v1
	global_load_dwordx2 v[6:7], v[6:7], off
	s_nop 0
	v_cndmask_b32_e32 v17, v29, v23, vcc
	v_cndmask_b32_e32 v16, v28, v22, vcc
	global_load_dwordx2 v[8:9], v[8:9], off
	s_nop 0
	global_load_dwordx2 v[10:11], v[10:11], off
	s_nop 0
	;; [unrolled: 2-line block ×4, first 2 shown]
	global_load_dwordx2 v[16:17], v[16:17], off
	s_cbranch_execz .LBB1143_7
	s_branch .LBB1143_24
.LBB1143_6:
                                        ; implicit-def: $vgpr2_vgpr3_vgpr4_vgpr5_vgpr6_vgpr7_vgpr8_vgpr9_vgpr10_vgpr11_vgpr12_vgpr13_vgpr14_vgpr15_vgpr16_vgpr17
                                        ; implicit-def: $vgpr24
.LBB1143_7:
	v_add_u32_e32 v24, v1, v25
	v_cmp_lt_u32_e32 vcc, v0, v24
                                        ; implicit-def: $vgpr2_vgpr3_vgpr4_vgpr5_vgpr6_vgpr7_vgpr8_vgpr9_vgpr10_vgpr11_vgpr12_vgpr13_vgpr14_vgpr15_vgpr16_vgpr17
	s_and_saveexec_b64 s[2:3], vcc
	s_cbranch_execz .LBB1143_9
; %bb.8:
	v_mov_b32_e32 v19, 0
	s_waitcnt vmcnt(6)
	v_sub_u32_e32 v4, v0, v1
	v_mov_b32_e32 v5, v19
	v_lshl_add_u64 v[2:3], s[4:5], 0, v[18:19]
	v_lshl_add_u64 v[4:5], v[4:5], 3, v[20:21]
	v_cmp_lt_u32_e32 vcc, v0, v1
	s_nop 1
	v_cndmask_b32_e32 v3, v5, v3, vcc
	v_cndmask_b32_e32 v2, v4, v2, vcc
	global_load_dwordx2 v[2:3], v[2:3], off
.LBB1143_9:
	s_or_b64 exec, exec, s[2:3]
	v_add_u32_e32 v22, v26, v0
	v_cmp_lt_u32_e32 vcc, v22, v24
	s_and_saveexec_b64 s[2:3], vcc
	s_cbranch_execz .LBB1143_11
; %bb.10:
	v_mov_b32_e32 v23, 0
	v_sub_u32_e32 v28, v22, v1
	v_mov_b32_e32 v29, v23
	s_waitcnt vmcnt(6)
	v_lshl_add_u64 v[4:5], v[22:23], 3, s[4:5]
	v_lshl_add_u64 v[28:29], v[28:29], 3, v[20:21]
	v_cmp_lt_u32_e32 vcc, v22, v1
	s_nop 1
	v_cndmask_b32_e32 v5, v29, v5, vcc
	v_cndmask_b32_e32 v4, v28, v4, vcc
	global_load_dwordx2 v[4:5], v[4:5], off
.LBB1143_11:
	s_or_b64 exec, exec, s[2:3]
	v_add_u32_e32 v22, v22, v26
	v_cmp_lt_u32_e32 vcc, v22, v24
	s_and_saveexec_b64 s[2:3], vcc
	s_cbranch_execz .LBB1143_13
; %bb.12:
	v_mov_b32_e32 v23, 0
	v_sub_u32_e32 v28, v22, v1
	v_mov_b32_e32 v29, v23
	s_waitcnt vmcnt(5)
	v_lshl_add_u64 v[6:7], v[22:23], 3, s[4:5]
	v_lshl_add_u64 v[28:29], v[28:29], 3, v[20:21]
	v_cmp_lt_u32_e32 vcc, v22, v1
	s_nop 1
	v_cndmask_b32_e32 v7, v29, v7, vcc
	v_cndmask_b32_e32 v6, v28, v6, vcc
	global_load_dwordx2 v[6:7], v[6:7], off
.LBB1143_13:
	;; [unrolled: 18-line block ×6, first 2 shown]
	s_or_b64 exec, exec, s[2:3]
	v_add_u32_e32 v22, v22, v26
	v_cmp_lt_u32_e32 vcc, v22, v24
	s_and_saveexec_b64 s[2:3], vcc
	s_cbranch_execz .LBB1143_23
; %bb.22:
	v_mov_b32_e32 v23, 0
	s_waitcnt vmcnt(0)
	v_lshl_add_u64 v[16:17], v[22:23], 3, s[4:5]
	v_cmp_lt_u32_e32 vcc, v22, v1
	v_sub_u32_e32 v22, v22, v1
	v_lshl_add_u64 v[20:21], v[22:23], 3, v[20:21]
	v_cndmask_b32_e32 v17, v21, v17, vcc
	v_cndmask_b32_e32 v16, v20, v16, vcc
	global_load_dwordx2 v[16:17], v[16:17], off
.LBB1143_23:
	s_or_b64 exec, exec, s[2:3]
.LBB1143_24:
	s_load_dwordx4 s[4:7], s[0:1], 0x40
	v_min_u32_e32 v19, v24, v18
	v_sub_u32_e64 v25, v19, v25 clamp
	v_min_u32_e32 v26, v19, v1
	v_cmp_lt_u32_e32 vcc, v25, v26
	s_waitcnt vmcnt(0)
	ds_write2st64_b64 v18, v[2:3], v[4:5] offset1:2
	ds_write2st64_b64 v18, v[6:7], v[8:9] offset0:4 offset1:6
	ds_write2st64_b64 v18, v[10:11], v[12:13] offset0:8 offset1:10
	;; [unrolled: 1-line block ×3, first 2 shown]
	s_waitcnt lgkmcnt(0)
	s_barrier
	s_and_saveexec_b64 s[2:3], vcc
	s_cbranch_execz .LBB1143_36
; %bb.25:
	v_lshlrev_b32_e32 v20, 3, v19
	v_cmp_gt_i64_e64 s[0:1], s[4:5], 0
	v_lshl_add_u32 v27, v1, 3, v20
	s_mov_b64 s[12:13], 0
	v_cndmask_b32_e64 v20, 0, 1, s[0:1]
	s_lshl_b64 s[16:17], s[4:5], 1
	v_cmp_ne_u32_e64 s[0:1], 1, v20
	s_branch .LBB1143_28
.LBB1143_26:                            ;   in Loop: Header=BB1143_28 Depth=1
	s_or_b64 exec, exec, s[22:23]
.LBB1143_27:                            ;   in Loop: Header=BB1143_28 Depth=1
	v_add_u32_e32 v20, 1, v28
	v_cndmask_b32_e64 v26, v26, v28, s[18:19]
	v_cndmask_b32_e64 v25, v20, v25, s[18:19]
	v_cmp_ge_u32_e32 vcc, v25, v26
	s_or_b64 s[12:13], vcc, s[12:13]
	s_andn2_b64 exec, exec, s[12:13]
	s_cbranch_execz .LBB1143_35
.LBB1143_28:                            ; =>This Loop Header: Depth=1
                                        ;     Child Loop BB1143_31 Depth 2
	v_add_u32_e32 v20, v26, v25
	v_lshrrev_b32_e32 v28, 1, v20
	s_and_b64 vcc, exec, s[0:1]
	s_mov_b64 s[18:19], 0
	s_cbranch_vccnz .LBB1143_27
; %bb.29:                               ;   in Loop: Header=BB1143_28 Depth=1
	v_not_b32_e32 v20, v28
	v_lshl_add_u32 v20, v20, 3, v27
	ds_read_b64 v[20:21], v20
	v_lshlrev_b32_e32 v29, 3, v28
	ds_read_b64 v[30:31], v29
	v_mov_b64_e32 v[22:23], s[6:7]
	s_mov_b64 s[22:23], 0
	s_waitcnt lgkmcnt(1)
	v_mul_lo_u32 v29, s16, v21
	v_mul_lo_u32 v32, s17, v20
	v_mad_u64_u32 v[20:21], s[18:19], s16, v20, v[22:23]
	v_add3_u32 v21, v32, v21, v29
	s_waitcnt lgkmcnt(0)
	v_mul_lo_u32 v29, s16, v31
	v_mul_lo_u32 v31, s17, v30
	v_mad_u64_u32 v[22:23], s[18:19], s16, v30, v[22:23]
	v_add3_u32 v23, v31, v23, v29
	s_mov_b64 s[26:27], s[4:5]
                                        ; implicit-def: $sgpr18_sgpr19
                                        ; implicit-def: $sgpr24_sgpr25
                                        ; implicit-def: $sgpr28_sgpr29
	s_branch .LBB1143_31
.LBB1143_30:                            ;   in Loop: Header=BB1143_31 Depth=2
	s_or_b64 exec, exec, s[38:39]
	s_and_b64 s[30:31], exec, s[30:31]
	s_or_b64 s[22:23], s[30:31], s[22:23]
	s_andn2_b64 s[18:19], s[18:19], exec
	s_and_b64 s[30:31], s[24:25], exec
	s_or_b64 s[18:19], s[18:19], s[30:31]
	s_andn2_b64 exec, exec, s[22:23]
	s_cbranch_execz .LBB1143_26
.LBB1143_31:                            ;   Parent Loop BB1143_28 Depth=1
                                        ; =>  This Inner Loop Header: Depth=2
	global_load_ushort v29, v[20:21], off
	global_load_ushort v30, v[22:23], off
	s_mov_b64 s[30:31], -1
	s_mov_b64 s[36:37], 0
	s_mov_b64 s[34:35], -1
	s_waitcnt vmcnt(1)
	v_lshlrev_b32_e32 v29, 16, v29
	s_waitcnt vmcnt(0)
	v_lshlrev_b32_e32 v30, 16, v30
	v_cmp_nlt_f32_e32 vcc, v29, v30
	s_and_saveexec_b64 s[38:39], vcc
; %bb.32:                               ;   in Loop: Header=BB1143_31 Depth=2
	v_cmp_ngt_f32_e32 vcc, v29, v30
	s_and_b64 s[28:29], vcc, s[28:29]
	s_orn2_b64 s[34:35], s[28:29], exec
	s_and_b64 s[36:37], vcc, exec
; %bb.33:                               ;   in Loop: Header=BB1143_31 Depth=2
	s_or_b64 exec, exec, s[38:39]
	s_andn2_b64 s[24:25], s[24:25], exec
	s_and_b64 s[28:29], s[34:35], exec
	s_or_b64 s[24:25], s[24:25], s[28:29]
                                        ; implicit-def: $sgpr28_sgpr29
	s_and_saveexec_b64 s[38:39], s[36:37]
	s_cbranch_execz .LBB1143_30
; %bb.34:                               ;   in Loop: Header=BB1143_31 Depth=2
	s_add_u32 s26, s26, -1
	s_addc_u32 s27, s27, -1
	s_cmp_eq_u64 s[26:27], 0
	s_cselect_b64 s[30:31], -1, 0
	v_lshl_add_u64 v[20:21], v[20:21], 0, 2
	v_lshl_add_u64 v[22:23], v[22:23], 0, 2
	s_andn2_b64 s[24:25], s[24:25], exec
	s_and_b64 s[28:29], s[34:35], exec
	s_orn2_b64 s[30:31], s[30:31], exec
	s_branch .LBB1143_30
.LBB1143_35:
	s_or_b64 exec, exec, s[12:13]
.LBB1143_36:
	s_or_b64 exec, exec, s[2:3]
	v_sub_u32_e32 v19, v19, v25
	v_add_u32_e32 v23, v19, v1
	v_cmp_le_u32_e32 vcc, v25, v1
	v_cmp_le_u32_e64 s[0:1], v23, v24
	s_or_b64 s[0:1], vcc, s[0:1]
	s_and_saveexec_b64 s[2:3], s[0:1]
	s_cbranch_execz .LBB1143_124
; %bb.37:
	v_cmp_ge_u32_e32 vcc, v25, v1
	v_cmp_lt_u32_e64 s[0:1], v25, v1
                                        ; implicit-def: $vgpr2_vgpr3
	s_and_saveexec_b64 s[12:13], s[0:1]
	s_cbranch_execz .LBB1143_39
; %bb.38:
	v_lshlrev_b32_e32 v2, 3, v25
	ds_read_b64 v[2:3], v2
.LBB1143_39:
	s_or_b64 exec, exec, s[12:13]
	v_cmp_ge_u32_e64 s[12:13], v23, v24
	v_cmp_lt_u32_e64 s[0:1], v23, v24
                                        ; implicit-def: $vgpr16_vgpr17
	s_and_saveexec_b64 s[16:17], s[0:1]
	s_cbranch_execz .LBB1143_41
; %bb.40:
	v_lshlrev_b32_e32 v4, 3, v23
	ds_read_b64 v[16:17], v4
.LBB1143_41:
	s_or_b64 exec, exec, s[16:17]
	s_or_b64 s[16:17], vcc, s[12:13]
	v_cmp_lt_i64_e64 s[0:1], s[4:5], 1
	s_mov_b64 s[18:19], 0
	v_cmp_gt_i64_e64 s[22:23], s[4:5], 0
	s_xor_b64 s[24:25], s[16:17], -1
	s_and_saveexec_b64 s[16:17], s[24:25]
	s_cbranch_execz .LBB1143_51
; %bb.42:
	s_andn2_b64 vcc, exec, s[22:23]
	s_cbranch_vccnz .LBB1143_50
; %bb.43:
	s_waitcnt lgkmcnt(0)
	v_mul_lo_u32 v6, v17, s4
	v_mul_lo_u32 v7, v16, s5
	v_mad_u64_u32 v[4:5], s[18:19], v16, s4, 0
	v_add3_u32 v5, v5, v7, v6
	v_mul_lo_u32 v8, v3, s4
	v_mul_lo_u32 v9, v2, s5
	v_mad_u64_u32 v[6:7], s[18:19], v2, s4, 0
	v_add3_u32 v7, v7, v9, v8
	v_lshl_add_u64 v[4:5], v[4:5], 1, s[6:7]
	v_lshl_add_u64 v[6:7], v[6:7], 1, s[6:7]
	s_mov_b64 s[24:25], 0
	s_mov_b64 s[28:29], s[4:5]
                                        ; implicit-def: $sgpr18_sgpr19
                                        ; implicit-def: $sgpr26_sgpr27
                                        ; implicit-def: $sgpr30_sgpr31
	s_branch .LBB1143_45
.LBB1143_44:                            ;   in Loop: Header=BB1143_45 Depth=1
	s_or_b64 exec, exec, s[40:41]
	s_and_b64 s[34:35], exec, s[36:37]
	s_or_b64 s[24:25], s[34:35], s[24:25]
	s_andn2_b64 s[18:19], s[18:19], exec
	s_and_b64 s[34:35], s[26:27], exec
	s_or_b64 s[18:19], s[18:19], s[34:35]
	s_andn2_b64 exec, exec, s[24:25]
	s_cbranch_execz .LBB1143_49
.LBB1143_45:                            ; =>This Inner Loop Header: Depth=1
	global_load_ushort v8, v[4:5], off
	global_load_ushort v9, v[6:7], off
	s_mov_b64 s[38:39], 0
	s_mov_b64 s[34:35], -1
	s_waitcnt vmcnt(1)
	v_lshlrev_b32_e32 v8, 16, v8
	s_waitcnt vmcnt(0)
	v_lshlrev_b32_e32 v9, 16, v9
	v_cmp_nlt_f32_e32 vcc, v8, v9
	s_and_saveexec_b64 s[36:37], vcc
; %bb.46:                               ;   in Loop: Header=BB1143_45 Depth=1
	v_cmp_ngt_f32_e32 vcc, v8, v9
	s_and_b64 s[30:31], vcc, s[30:31]
	s_orn2_b64 s[34:35], s[30:31], exec
	s_and_b64 s[38:39], vcc, exec
; %bb.47:                               ;   in Loop: Header=BB1143_45 Depth=1
	s_or_b64 exec, exec, s[36:37]
	s_andn2_b64 s[26:27], s[26:27], exec
	s_and_b64 s[30:31], s[34:35], exec
	s_mov_b64 s[36:37], -1
	s_or_b64 s[26:27], s[26:27], s[30:31]
                                        ; implicit-def: $sgpr30_sgpr31
	s_and_saveexec_b64 s[40:41], s[38:39]
	s_cbranch_execz .LBB1143_44
; %bb.48:                               ;   in Loop: Header=BB1143_45 Depth=1
	s_add_u32 s28, s28, -1
	s_addc_u32 s29, s29, -1
	s_cmp_eq_u64 s[28:29], 0
	s_cselect_b64 s[36:37], -1, 0
	v_lshl_add_u64 v[4:5], v[4:5], 0, 2
	v_lshl_add_u64 v[6:7], v[6:7], 0, 2
	s_andn2_b64 s[26:27], s[26:27], exec
	s_and_b64 s[30:31], s[34:35], exec
	s_orn2_b64 s[36:37], s[36:37], exec
	s_branch .LBB1143_44
.LBB1143_49:
	s_or_b64 exec, exec, s[24:25]
.LBB1143_50:
	s_xor_b64 s[18:19], s[18:19], -1
	s_andn2_b64 s[12:13], s[12:13], exec
	s_and_b64 s[18:19], s[18:19], exec
	s_or_b64 s[12:13], s[12:13], s[18:19]
.LBB1143_51:
	s_or_b64 exec, exec, s[16:17]
	v_cndmask_b32_e64 v4, v23, v25, s[12:13]
	v_cndmask_b32_e64 v5, v24, v1, s[12:13]
	v_add_u32_e32 v6, 1, v4
	v_add_u32_e32 v4, -1, v5
	v_min_u32_e32 v4, v6, v4
	v_lshlrev_b32_e32 v4, 3, v4
	ds_read_b64 v[4:5], v4
	v_cndmask_b32_e64 v8, v6, v23, s[12:13]
	v_cndmask_b32_e64 v9, v25, v6, s[12:13]
	v_cmp_lt_u32_e32 vcc, v8, v24
	s_mov_b64 s[16:17], -1
	s_waitcnt lgkmcnt(0)
	v_cndmask_b32_e64 v19, v5, v17, s[12:13]
	v_cndmask_b32_e64 v20, v4, v16, s[12:13]
	;; [unrolled: 1-line block ×4, first 2 shown]
	s_mov_b64 s[18:19], -1
	s_and_saveexec_b64 s[24:25], vcc
	s_cbranch_execz .LBB1143_63
; %bb.52:
	v_cmp_lt_u32_e32 vcc, v9, v1
	s_mov_b64 s[26:27], 0
	s_and_saveexec_b64 s[18:19], vcc
	s_cbranch_execz .LBB1143_62
; %bb.53:
	s_andn2_b64 vcc, exec, s[22:23]
	s_mov_b64 s[22:23], 0
	s_cbranch_vccnz .LBB1143_61
; %bb.54:
	v_mul_lo_u32 v6, v19, s4
	v_mul_lo_u32 v7, v20, s5
	v_mad_u64_u32 v[4:5], s[22:23], v20, s4, 0
	v_add3_u32 v5, v5, v7, v6
	v_mul_lo_u32 v10, v21, s4
	v_mul_lo_u32 v11, v22, s5
	v_mad_u64_u32 v[6:7], s[22:23], v22, s4, 0
	v_add3_u32 v7, v7, v11, v10
	v_lshl_add_u64 v[4:5], v[4:5], 1, s[6:7]
	v_lshl_add_u64 v[6:7], v[6:7], 1, s[6:7]
	s_mov_b64 s[30:31], s[4:5]
                                        ; implicit-def: $sgpr22_sgpr23
                                        ; implicit-def: $sgpr28_sgpr29
                                        ; implicit-def: $sgpr34_sgpr35
	s_branch .LBB1143_56
.LBB1143_55:                            ;   in Loop: Header=BB1143_56 Depth=1
	s_or_b64 exec, exec, s[42:43]
	s_and_b64 s[36:37], exec, s[38:39]
	s_or_b64 s[26:27], s[36:37], s[26:27]
	s_andn2_b64 s[22:23], s[22:23], exec
	s_and_b64 s[36:37], s[28:29], exec
	s_or_b64 s[22:23], s[22:23], s[36:37]
	s_andn2_b64 exec, exec, s[26:27]
	s_cbranch_execz .LBB1143_60
.LBB1143_56:                            ; =>This Inner Loop Header: Depth=1
	global_load_ushort v10, v[4:5], off
	global_load_ushort v11, v[6:7], off
	s_mov_b64 s[40:41], 0
	s_mov_b64 s[36:37], -1
	s_waitcnt vmcnt(1)
	v_lshlrev_b32_e32 v10, 16, v10
	s_waitcnt vmcnt(0)
	v_lshlrev_b32_e32 v11, 16, v11
	v_cmp_nlt_f32_e32 vcc, v10, v11
	s_and_saveexec_b64 s[38:39], vcc
; %bb.57:                               ;   in Loop: Header=BB1143_56 Depth=1
	v_cmp_ngt_f32_e32 vcc, v10, v11
	s_and_b64 s[34:35], vcc, s[34:35]
	s_orn2_b64 s[36:37], s[34:35], exec
	s_and_b64 s[40:41], vcc, exec
; %bb.58:                               ;   in Loop: Header=BB1143_56 Depth=1
	s_or_b64 exec, exec, s[38:39]
	s_andn2_b64 s[28:29], s[28:29], exec
	s_and_b64 s[34:35], s[36:37], exec
	s_mov_b64 s[38:39], -1
	s_or_b64 s[28:29], s[28:29], s[34:35]
                                        ; implicit-def: $sgpr34_sgpr35
	s_and_saveexec_b64 s[42:43], s[40:41]
	s_cbranch_execz .LBB1143_55
; %bb.59:                               ;   in Loop: Header=BB1143_56 Depth=1
	s_add_u32 s30, s30, -1
	s_addc_u32 s31, s31, -1
	s_cmp_eq_u64 s[30:31], 0
	s_cselect_b64 s[38:39], -1, 0
	v_lshl_add_u64 v[4:5], v[4:5], 0, 2
	v_lshl_add_u64 v[6:7], v[6:7], 0, 2
	s_andn2_b64 s[28:29], s[28:29], exec
	s_and_b64 s[34:35], s[36:37], exec
	s_orn2_b64 s[38:39], s[38:39], exec
	s_branch .LBB1143_55
.LBB1143_60:
	s_or_b64 exec, exec, s[26:27]
.LBB1143_61:
	s_xor_b64 s[22:23], s[22:23], -1
	s_and_b64 s[26:27], s[22:23], exec
.LBB1143_62:
	s_or_b64 exec, exec, s[18:19]
	s_orn2_b64 s[18:19], s[26:27], exec
.LBB1143_63:
	s_or_b64 exec, exec, s[24:25]
	v_cndmask_b32_e64 v4, v8, v9, s[18:19]
	v_cndmask_b32_e64 v5, v24, v1, s[18:19]
	v_add_u32_e32 v6, 1, v4
	v_add_u32_e32 v4, -1, v5
	v_min_u32_e32 v4, v6, v4
	v_lshlrev_b32_e32 v4, 3, v4
	ds_read_b64 v[4:5], v4
	v_cndmask_b32_e64 v10, v6, v8, s[18:19]
	v_cndmask_b32_e64 v11, v9, v6, s[18:19]
	v_cmp_lt_u32_e32 vcc, v10, v24
	s_waitcnt lgkmcnt(0)
	v_cndmask_b32_e64 v23, v5, v19, s[18:19]
	v_cndmask_b32_e64 v25, v4, v20, s[18:19]
	;; [unrolled: 1-line block ×4, first 2 shown]
	s_and_saveexec_b64 s[22:23], vcc
	s_cbranch_execz .LBB1143_73
; %bb.64:
	v_cmp_lt_u32_e64 s[16:17], v11, v1
	s_xor_b64 s[24:25], s[0:1], -1
	s_and_b64 s[26:27], s[16:17], s[24:25]
	s_and_saveexec_b64 s[24:25], s[26:27]
	s_cbranch_execz .LBB1143_72
; %bb.65:
	v_mul_lo_u32 v6, v23, s4
	v_mul_lo_u32 v7, v25, s5
	v_mad_u64_u32 v[4:5], s[26:27], v25, s4, 0
	v_add3_u32 v5, v5, v7, v6
	v_mul_lo_u32 v8, v26, s4
	v_mul_lo_u32 v9, v27, s5
	v_mad_u64_u32 v[6:7], s[26:27], v27, s4, 0
	v_add3_u32 v7, v7, v9, v8
	v_lshl_add_u64 v[4:5], v[4:5], 1, s[6:7]
	v_lshl_add_u64 v[6:7], v[6:7], 1, s[6:7]
	s_mov_b64 s[26:27], 0
	s_mov_b64 s[34:35], s[4:5]
                                        ; implicit-def: $sgpr28_sgpr29
                                        ; implicit-def: $sgpr30_sgpr31
                                        ; implicit-def: $sgpr36_sgpr37
	s_branch .LBB1143_67
.LBB1143_66:                            ;   in Loop: Header=BB1143_67 Depth=1
	s_or_b64 exec, exec, s[44:45]
	s_and_b64 s[38:39], exec, s[40:41]
	s_or_b64 s[26:27], s[38:39], s[26:27]
	s_andn2_b64 s[28:29], s[28:29], exec
	s_and_b64 s[38:39], s[30:31], exec
	s_or_b64 s[28:29], s[28:29], s[38:39]
	s_andn2_b64 exec, exec, s[26:27]
	s_cbranch_execz .LBB1143_71
.LBB1143_67:                            ; =>This Inner Loop Header: Depth=1
	global_load_ushort v8, v[4:5], off
	global_load_ushort v9, v[6:7], off
	s_mov_b64 s[42:43], 0
	s_mov_b64 s[38:39], -1
	s_waitcnt vmcnt(1)
	v_lshlrev_b32_e32 v8, 16, v8
	s_waitcnt vmcnt(0)
	v_lshlrev_b32_e32 v9, 16, v9
	v_cmp_nlt_f32_e32 vcc, v8, v9
	s_and_saveexec_b64 s[40:41], vcc
; %bb.68:                               ;   in Loop: Header=BB1143_67 Depth=1
	v_cmp_ngt_f32_e32 vcc, v8, v9
	s_and_b64 s[36:37], vcc, s[36:37]
	s_orn2_b64 s[38:39], s[36:37], exec
	s_and_b64 s[42:43], vcc, exec
; %bb.69:                               ;   in Loop: Header=BB1143_67 Depth=1
	s_or_b64 exec, exec, s[40:41]
	s_andn2_b64 s[30:31], s[30:31], exec
	s_and_b64 s[36:37], s[38:39], exec
	s_mov_b64 s[40:41], -1
	s_or_b64 s[30:31], s[30:31], s[36:37]
                                        ; implicit-def: $sgpr36_sgpr37
	s_and_saveexec_b64 s[44:45], s[42:43]
	s_cbranch_execz .LBB1143_66
; %bb.70:                               ;   in Loop: Header=BB1143_67 Depth=1
	s_add_u32 s34, s34, -1
	s_addc_u32 s35, s35, -1
	s_cmp_eq_u64 s[34:35], 0
	s_cselect_b64 s[40:41], -1, 0
	v_lshl_add_u64 v[4:5], v[4:5], 0, 2
	v_lshl_add_u64 v[6:7], v[6:7], 0, 2
	s_and_b64 s[36:37], s[38:39], exec
	s_andn2_b64 s[30:31], s[30:31], exec
	s_orn2_b64 s[40:41], s[40:41], exec
	s_branch .LBB1143_66
.LBB1143_71:
	s_or_b64 exec, exec, s[26:27]
	s_xor_b64 s[26:27], s[28:29], -1
	s_andn2_b64 s[16:17], s[16:17], exec
	s_and_b64 s[26:27], s[26:27], exec
	s_or_b64 s[16:17], s[16:17], s[26:27]
.LBB1143_72:
	s_or_b64 exec, exec, s[24:25]
	s_orn2_b64 s[16:17], s[16:17], exec
.LBB1143_73:
	s_or_b64 exec, exec, s[22:23]
	v_cndmask_b32_e64 v4, v10, v11, s[16:17]
	v_cndmask_b32_e64 v5, v24, v1, s[16:17]
	v_add_u32_e32 v6, 1, v4
	v_add_u32_e32 v4, -1, v5
	v_min_u32_e32 v4, v6, v4
	v_lshlrev_b32_e32 v4, 3, v4
	ds_read_b64 v[4:5], v4
	v_cndmask_b32_e64 v12, v6, v10, s[16:17]
	v_cndmask_b32_e64 v13, v11, v6, s[16:17]
	v_cmp_lt_u32_e32 vcc, v12, v24
	s_mov_b64 s[24:25], -1
	s_waitcnt lgkmcnt(0)
	v_cndmask_b32_e64 v8, v5, v23, s[16:17]
	v_cndmask_b32_e64 v28, v4, v25, s[16:17]
	;; [unrolled: 1-line block ×4, first 2 shown]
	s_mov_b64 s[22:23], -1
	s_and_saveexec_b64 s[26:27], vcc
	s_cbranch_execz .LBB1143_83
; %bb.74:
	v_cmp_lt_u32_e64 s[22:23], v13, v1
	s_xor_b64 s[28:29], s[0:1], -1
	s_and_b64 s[30:31], s[22:23], s[28:29]
	s_and_saveexec_b64 s[28:29], s[30:31]
	s_cbranch_execz .LBB1143_82
; %bb.75:
	v_mul_lo_u32 v6, v8, s4
	v_mul_lo_u32 v7, v28, s5
	v_mad_u64_u32 v[4:5], s[30:31], v28, s4, 0
	v_add3_u32 v5, v5, v7, v6
	v_mul_lo_u32 v10, v9, s4
	v_mul_lo_u32 v11, v29, s5
	v_mad_u64_u32 v[6:7], s[30:31], v29, s4, 0
	v_add3_u32 v7, v7, v11, v10
	v_lshl_add_u64 v[4:5], v[4:5], 1, s[6:7]
	v_lshl_add_u64 v[6:7], v[6:7], 1, s[6:7]
	s_mov_b64 s[30:31], 0
	s_mov_b64 s[38:39], s[4:5]
                                        ; implicit-def: $sgpr34_sgpr35
                                        ; implicit-def: $sgpr36_sgpr37
                                        ; implicit-def: $sgpr40_sgpr41
	s_branch .LBB1143_77
.LBB1143_76:                            ;   in Loop: Header=BB1143_77 Depth=1
	s_or_b64 exec, exec, s[48:49]
	s_and_b64 s[42:43], exec, s[44:45]
	s_or_b64 s[30:31], s[42:43], s[30:31]
	s_andn2_b64 s[34:35], s[34:35], exec
	s_and_b64 s[42:43], s[36:37], exec
	s_or_b64 s[34:35], s[34:35], s[42:43]
	s_andn2_b64 exec, exec, s[30:31]
	s_cbranch_execz .LBB1143_81
.LBB1143_77:                            ; =>This Inner Loop Header: Depth=1
	global_load_ushort v10, v[4:5], off
	global_load_ushort v11, v[6:7], off
	s_mov_b64 s[46:47], 0
	s_mov_b64 s[42:43], -1
	s_waitcnt vmcnt(1)
	v_lshlrev_b32_e32 v10, 16, v10
	s_waitcnt vmcnt(0)
	v_lshlrev_b32_e32 v11, 16, v11
	v_cmp_nlt_f32_e32 vcc, v10, v11
	s_and_saveexec_b64 s[44:45], vcc
; %bb.78:                               ;   in Loop: Header=BB1143_77 Depth=1
	v_cmp_ngt_f32_e32 vcc, v10, v11
	s_and_b64 s[40:41], vcc, s[40:41]
	s_orn2_b64 s[42:43], s[40:41], exec
	s_and_b64 s[46:47], vcc, exec
; %bb.79:                               ;   in Loop: Header=BB1143_77 Depth=1
	s_or_b64 exec, exec, s[44:45]
	s_andn2_b64 s[36:37], s[36:37], exec
	s_and_b64 s[40:41], s[42:43], exec
	s_mov_b64 s[44:45], -1
	s_or_b64 s[36:37], s[36:37], s[40:41]
                                        ; implicit-def: $sgpr40_sgpr41
	s_and_saveexec_b64 s[48:49], s[46:47]
	s_cbranch_execz .LBB1143_76
; %bb.80:                               ;   in Loop: Header=BB1143_77 Depth=1
	s_add_u32 s38, s38, -1
	s_addc_u32 s39, s39, -1
	s_cmp_eq_u64 s[38:39], 0
	s_cselect_b64 s[44:45], -1, 0
	v_lshl_add_u64 v[4:5], v[4:5], 0, 2
	v_lshl_add_u64 v[6:7], v[6:7], 0, 2
	s_and_b64 s[40:41], s[42:43], exec
	s_andn2_b64 s[36:37], s[36:37], exec
	s_orn2_b64 s[44:45], s[44:45], exec
	s_branch .LBB1143_76
.LBB1143_81:
	s_or_b64 exec, exec, s[30:31]
	s_xor_b64 s[30:31], s[34:35], -1
	s_andn2_b64 s[22:23], s[22:23], exec
	s_and_b64 s[30:31], s[30:31], exec
	s_or_b64 s[22:23], s[22:23], s[30:31]
.LBB1143_82:
	s_or_b64 exec, exec, s[28:29]
	s_orn2_b64 s[22:23], s[22:23], exec
.LBB1143_83:
	s_or_b64 exec, exec, s[26:27]
	v_cndmask_b32_e64 v4, v12, v13, s[22:23]
	v_cndmask_b32_e64 v5, v24, v1, s[22:23]
	v_add_u32_e32 v6, 1, v4
	v_add_u32_e32 v4, -1, v5
	v_min_u32_e32 v4, v6, v4
	v_lshlrev_b32_e32 v4, 3, v4
	ds_read_b64 v[4:5], v4
	v_cndmask_b32_e64 v14, v6, v12, s[22:23]
	v_cndmask_b32_e64 v15, v13, v6, s[22:23]
	v_cmp_lt_u32_e32 vcc, v14, v24
	s_waitcnt lgkmcnt(0)
	v_cndmask_b32_e64 v10, v5, v8, s[22:23]
	v_cndmask_b32_e64 v30, v4, v28, s[22:23]
	;; [unrolled: 1-line block ×4, first 2 shown]
	s_and_saveexec_b64 s[26:27], vcc
	s_cbranch_execz .LBB1143_93
; %bb.84:
	v_cmp_lt_u32_e64 s[24:25], v15, v1
	s_xor_b64 s[28:29], s[0:1], -1
	s_and_b64 s[30:31], s[24:25], s[28:29]
	s_and_saveexec_b64 s[28:29], s[30:31]
	s_cbranch_execz .LBB1143_92
; %bb.85:
	v_mul_lo_u32 v6, v10, s4
	v_mul_lo_u32 v7, v30, s5
	v_mad_u64_u32 v[4:5], s[30:31], v30, s4, 0
	v_add3_u32 v5, v5, v7, v6
	v_mul_lo_u32 v12, v11, s4
	v_mul_lo_u32 v13, v31, s5
	v_mad_u64_u32 v[6:7], s[30:31], v31, s4, 0
	v_add3_u32 v7, v7, v13, v12
	v_lshl_add_u64 v[4:5], v[4:5], 1, s[6:7]
	v_lshl_add_u64 v[6:7], v[6:7], 1, s[6:7]
	s_mov_b64 s[30:31], 0
	s_mov_b64 s[38:39], s[4:5]
                                        ; implicit-def: $sgpr34_sgpr35
                                        ; implicit-def: $sgpr36_sgpr37
                                        ; implicit-def: $sgpr40_sgpr41
	s_branch .LBB1143_87
.LBB1143_86:                            ;   in Loop: Header=BB1143_87 Depth=1
	s_or_b64 exec, exec, s[48:49]
	s_and_b64 s[42:43], exec, s[44:45]
	s_or_b64 s[30:31], s[42:43], s[30:31]
	s_andn2_b64 s[34:35], s[34:35], exec
	s_and_b64 s[42:43], s[36:37], exec
	s_or_b64 s[34:35], s[34:35], s[42:43]
	s_andn2_b64 exec, exec, s[30:31]
	s_cbranch_execz .LBB1143_91
.LBB1143_87:                            ; =>This Inner Loop Header: Depth=1
	global_load_ushort v12, v[4:5], off
	global_load_ushort v13, v[6:7], off
	s_mov_b64 s[46:47], 0
	s_mov_b64 s[42:43], -1
	s_waitcnt vmcnt(1)
	v_lshlrev_b32_e32 v12, 16, v12
	s_waitcnt vmcnt(0)
	v_lshlrev_b32_e32 v13, 16, v13
	v_cmp_nlt_f32_e32 vcc, v12, v13
	s_and_saveexec_b64 s[44:45], vcc
; %bb.88:                               ;   in Loop: Header=BB1143_87 Depth=1
	v_cmp_ngt_f32_e32 vcc, v12, v13
	s_and_b64 s[40:41], vcc, s[40:41]
	s_orn2_b64 s[42:43], s[40:41], exec
	s_and_b64 s[46:47], vcc, exec
; %bb.89:                               ;   in Loop: Header=BB1143_87 Depth=1
	s_or_b64 exec, exec, s[44:45]
	s_andn2_b64 s[36:37], s[36:37], exec
	s_and_b64 s[40:41], s[42:43], exec
	s_mov_b64 s[44:45], -1
	s_or_b64 s[36:37], s[36:37], s[40:41]
                                        ; implicit-def: $sgpr40_sgpr41
	s_and_saveexec_b64 s[48:49], s[46:47]
	s_cbranch_execz .LBB1143_86
; %bb.90:                               ;   in Loop: Header=BB1143_87 Depth=1
	s_add_u32 s38, s38, -1
	s_addc_u32 s39, s39, -1
	s_cmp_eq_u64 s[38:39], 0
	s_cselect_b64 s[44:45], -1, 0
	v_lshl_add_u64 v[4:5], v[4:5], 0, 2
	v_lshl_add_u64 v[6:7], v[6:7], 0, 2
	s_and_b64 s[40:41], s[42:43], exec
	s_andn2_b64 s[36:37], s[36:37], exec
	s_orn2_b64 s[44:45], s[44:45], exec
	s_branch .LBB1143_86
.LBB1143_91:
	s_or_b64 exec, exec, s[30:31]
	s_xor_b64 s[30:31], s[34:35], -1
	s_andn2_b64 s[24:25], s[24:25], exec
	s_and_b64 s[30:31], s[30:31], exec
	s_or_b64 s[24:25], s[24:25], s[30:31]
.LBB1143_92:
	s_or_b64 exec, exec, s[28:29]
	s_orn2_b64 s[24:25], s[24:25], exec
.LBB1143_93:
	s_or_b64 exec, exec, s[26:27]
	v_cndmask_b32_e64 v4, v14, v15, s[24:25]
	v_cndmask_b32_e64 v5, v24, v1, s[24:25]
	v_add_u32_e32 v6, 1, v4
	v_add_u32_e32 v4, -1, v5
	v_min_u32_e32 v4, v6, v4
	v_lshlrev_b32_e32 v4, 3, v4
	ds_read_b64 v[4:5], v4
	v_cndmask_b32_e64 v36, v6, v14, s[24:25]
	v_cndmask_b32_e64 v37, v15, v6, s[24:25]
	v_cmp_lt_u32_e32 vcc, v36, v24
	s_mov_b64 s[28:29], -1
	s_waitcnt lgkmcnt(0)
	v_cndmask_b32_e64 v12, v5, v10, s[24:25]
	v_cndmask_b32_e64 v32, v4, v30, s[24:25]
	;; [unrolled: 1-line block ×4, first 2 shown]
	s_mov_b64 s[26:27], -1
	s_and_saveexec_b64 s[30:31], vcc
	s_cbranch_execz .LBB1143_103
; %bb.94:
	v_cmp_lt_u32_e64 s[26:27], v37, v1
	s_xor_b64 s[34:35], s[0:1], -1
	s_and_b64 s[36:37], s[26:27], s[34:35]
	s_and_saveexec_b64 s[34:35], s[36:37]
	s_cbranch_execz .LBB1143_102
; %bb.95:
	v_mul_lo_u32 v6, v12, s4
	v_mul_lo_u32 v7, v32, s5
	v_mad_u64_u32 v[4:5], s[36:37], v32, s4, 0
	v_add3_u32 v5, v5, v7, v6
	v_mul_lo_u32 v14, v13, s4
	v_mul_lo_u32 v15, v33, s5
	v_mad_u64_u32 v[6:7], s[36:37], v33, s4, 0
	v_add3_u32 v7, v7, v15, v14
	v_lshl_add_u64 v[4:5], v[4:5], 1, s[6:7]
	v_lshl_add_u64 v[6:7], v[6:7], 1, s[6:7]
	s_mov_b64 s[36:37], 0
	s_mov_b64 s[42:43], s[4:5]
                                        ; implicit-def: $sgpr38_sgpr39
                                        ; implicit-def: $sgpr40_sgpr41
                                        ; implicit-def: $sgpr44_sgpr45
	s_branch .LBB1143_97
.LBB1143_96:                            ;   in Loop: Header=BB1143_97 Depth=1
	s_or_b64 exec, exec, s[52:53]
	s_and_b64 s[46:47], exec, s[48:49]
	s_or_b64 s[36:37], s[46:47], s[36:37]
	s_andn2_b64 s[38:39], s[38:39], exec
	s_and_b64 s[46:47], s[40:41], exec
	s_or_b64 s[38:39], s[38:39], s[46:47]
	s_andn2_b64 exec, exec, s[36:37]
	s_cbranch_execz .LBB1143_101
.LBB1143_97:                            ; =>This Inner Loop Header: Depth=1
	global_load_ushort v14, v[4:5], off
	global_load_ushort v15, v[6:7], off
	s_mov_b64 s[50:51], 0
	s_mov_b64 s[46:47], -1
	s_waitcnt vmcnt(1)
	v_lshlrev_b32_e32 v14, 16, v14
	s_waitcnt vmcnt(0)
	v_lshlrev_b32_e32 v15, 16, v15
	v_cmp_nlt_f32_e32 vcc, v14, v15
	s_and_saveexec_b64 s[48:49], vcc
; %bb.98:                               ;   in Loop: Header=BB1143_97 Depth=1
	v_cmp_ngt_f32_e32 vcc, v14, v15
	s_and_b64 s[44:45], vcc, s[44:45]
	s_orn2_b64 s[46:47], s[44:45], exec
	s_and_b64 s[50:51], vcc, exec
; %bb.99:                               ;   in Loop: Header=BB1143_97 Depth=1
	s_or_b64 exec, exec, s[48:49]
	s_andn2_b64 s[40:41], s[40:41], exec
	s_and_b64 s[44:45], s[46:47], exec
	s_mov_b64 s[48:49], -1
	s_or_b64 s[40:41], s[40:41], s[44:45]
                                        ; implicit-def: $sgpr44_sgpr45
	s_and_saveexec_b64 s[52:53], s[50:51]
	s_cbranch_execz .LBB1143_96
; %bb.100:                              ;   in Loop: Header=BB1143_97 Depth=1
	s_add_u32 s42, s42, -1
	s_addc_u32 s43, s43, -1
	s_cmp_eq_u64 s[42:43], 0
	s_cselect_b64 s[48:49], -1, 0
	v_lshl_add_u64 v[4:5], v[4:5], 0, 2
	v_lshl_add_u64 v[6:7], v[6:7], 0, 2
	s_and_b64 s[44:45], s[46:47], exec
	s_andn2_b64 s[40:41], s[40:41], exec
	s_orn2_b64 s[48:49], s[48:49], exec
	s_branch .LBB1143_96
.LBB1143_101:
	s_or_b64 exec, exec, s[36:37]
	s_xor_b64 s[36:37], s[38:39], -1
	s_andn2_b64 s[26:27], s[26:27], exec
	s_and_b64 s[36:37], s[36:37], exec
	s_or_b64 s[26:27], s[26:27], s[36:37]
.LBB1143_102:
	s_or_b64 exec, exec, s[34:35]
	s_orn2_b64 s[26:27], s[26:27], exec
.LBB1143_103:
	s_or_b64 exec, exec, s[30:31]
	v_cndmask_b32_e64 v4, v36, v37, s[26:27]
	v_cndmask_b32_e64 v5, v24, v1, s[26:27]
	v_add_u32_e32 v6, 1, v4
	v_add_u32_e32 v4, -1, v5
	v_min_u32_e32 v4, v6, v4
	v_lshlrev_b32_e32 v4, 3, v4
	ds_read_b64 v[4:5], v4
	v_cndmask_b32_e64 v41, v6, v36, s[26:27]
	v_cndmask_b32_e64 v40, v37, v6, s[26:27]
	v_cmp_lt_u32_e32 vcc, v41, v24
	s_waitcnt lgkmcnt(0)
	v_cndmask_b32_e64 v14, v5, v12, s[26:27]
	v_cndmask_b32_e64 v34, v4, v32, s[26:27]
	;; [unrolled: 1-line block ×4, first 2 shown]
	s_and_saveexec_b64 s[30:31], vcc
	s_cbranch_execz .LBB1143_113
; %bb.104:
	v_cmp_lt_u32_e64 s[28:29], v40, v1
	s_xor_b64 s[34:35], s[0:1], -1
	s_and_b64 s[36:37], s[28:29], s[34:35]
	s_and_saveexec_b64 s[34:35], s[36:37]
	s_cbranch_execz .LBB1143_112
; %bb.105:
	v_mul_lo_u32 v6, v14, s4
	v_mul_lo_u32 v7, v34, s5
	v_mad_u64_u32 v[4:5], s[36:37], v34, s4, 0
	v_add3_u32 v5, v5, v7, v6
	v_mul_lo_u32 v36, v15, s4
	v_mul_lo_u32 v37, v35, s5
	v_mad_u64_u32 v[6:7], s[36:37], v35, s4, 0
	v_add3_u32 v7, v7, v37, v36
	v_lshl_add_u64 v[4:5], v[4:5], 1, s[6:7]
	v_lshl_add_u64 v[6:7], v[6:7], 1, s[6:7]
	s_mov_b64 s[36:37], 0
	s_mov_b64 s[42:43], s[4:5]
                                        ; implicit-def: $sgpr38_sgpr39
                                        ; implicit-def: $sgpr40_sgpr41
                                        ; implicit-def: $sgpr44_sgpr45
	s_branch .LBB1143_107
.LBB1143_106:                           ;   in Loop: Header=BB1143_107 Depth=1
	s_or_b64 exec, exec, s[52:53]
	s_and_b64 s[46:47], exec, s[48:49]
	s_or_b64 s[36:37], s[46:47], s[36:37]
	s_andn2_b64 s[38:39], s[38:39], exec
	s_and_b64 s[46:47], s[40:41], exec
	s_or_b64 s[38:39], s[38:39], s[46:47]
	s_andn2_b64 exec, exec, s[36:37]
	s_cbranch_execz .LBB1143_111
.LBB1143_107:                           ; =>This Inner Loop Header: Depth=1
	global_load_ushort v36, v[4:5], off
	global_load_ushort v37, v[6:7], off
	s_mov_b64 s[50:51], 0
	s_mov_b64 s[46:47], -1
	s_waitcnt vmcnt(1)
	v_lshlrev_b32_e32 v36, 16, v36
	s_waitcnt vmcnt(0)
	v_lshlrev_b32_e32 v37, 16, v37
	v_cmp_nlt_f32_e32 vcc, v36, v37
	s_and_saveexec_b64 s[48:49], vcc
; %bb.108:                              ;   in Loop: Header=BB1143_107 Depth=1
	v_cmp_ngt_f32_e32 vcc, v36, v37
	s_and_b64 s[44:45], vcc, s[44:45]
	s_orn2_b64 s[46:47], s[44:45], exec
	s_and_b64 s[50:51], vcc, exec
; %bb.109:                              ;   in Loop: Header=BB1143_107 Depth=1
	s_or_b64 exec, exec, s[48:49]
	s_andn2_b64 s[40:41], s[40:41], exec
	s_and_b64 s[44:45], s[46:47], exec
	s_mov_b64 s[48:49], -1
	s_or_b64 s[40:41], s[40:41], s[44:45]
                                        ; implicit-def: $sgpr44_sgpr45
	s_and_saveexec_b64 s[52:53], s[50:51]
	s_cbranch_execz .LBB1143_106
; %bb.110:                              ;   in Loop: Header=BB1143_107 Depth=1
	s_add_u32 s42, s42, -1
	s_addc_u32 s43, s43, -1
	s_cmp_eq_u64 s[42:43], 0
	s_cselect_b64 s[48:49], -1, 0
	v_lshl_add_u64 v[4:5], v[4:5], 0, 2
	v_lshl_add_u64 v[6:7], v[6:7], 0, 2
	s_and_b64 s[44:45], s[46:47], exec
	s_andn2_b64 s[40:41], s[40:41], exec
	s_orn2_b64 s[48:49], s[48:49], exec
	s_branch .LBB1143_106
.LBB1143_111:
	s_or_b64 exec, exec, s[36:37]
	s_xor_b64 s[36:37], s[38:39], -1
	s_andn2_b64 s[28:29], s[28:29], exec
	s_and_b64 s[36:37], s[36:37], exec
	s_or_b64 s[28:29], s[28:29], s[36:37]
.LBB1143_112:
	s_or_b64 exec, exec, s[34:35]
	s_orn2_b64 s[28:29], s[28:29], exec
.LBB1143_113:
	s_or_b64 exec, exec, s[30:31]
	v_cndmask_b32_e64 v4, v41, v40, s[28:29]
	v_cndmask_b32_e64 v5, v24, v1, s[28:29]
	v_add_u32_e32 v4, 1, v4
	v_add_u32_e32 v5, -1, v5
	v_min_u32_e32 v5, v4, v5
	v_lshlrev_b32_e32 v5, 3, v5
	ds_read_b64 v[6:7], v5
	v_cndmask_b32_e64 v5, v4, v41, s[28:29]
	v_cmp_lt_u32_e32 vcc, v5, v24
	s_mov_b64 s[34:35], -1
	s_waitcnt lgkmcnt(0)
	v_cndmask_b32_e64 v36, v7, v14, s[28:29]
	v_cndmask_b32_e64 v37, v6, v34, s[28:29]
	;; [unrolled: 1-line block ×4, first 2 shown]
	s_and_saveexec_b64 s[30:31], vcc
	s_cbranch_execz .LBB1143_123
; %bb.114:
	v_cndmask_b32_e64 v4, v40, v4, s[28:29]
	v_cmp_lt_u32_e64 s[34:35], v4, v1
	s_xor_b64 s[0:1], s[0:1], -1
	s_and_b64 s[36:37], s[34:35], s[0:1]
	s_and_saveexec_b64 s[0:1], s[36:37]
	s_cbranch_execz .LBB1143_122
; %bb.115:
	v_mul_lo_u32 v1, v36, s4
	v_mul_lo_u32 v6, v37, s5
	v_mad_u64_u32 v[4:5], s[36:37], v37, s4, 0
	v_add3_u32 v5, v5, v6, v1
	v_mul_lo_u32 v1, v38, s4
	v_mul_lo_u32 v24, v39, s5
	v_mad_u64_u32 v[6:7], s[36:37], v39, s4, 0
	v_add3_u32 v7, v7, v24, v1
	v_lshl_add_u64 v[4:5], v[4:5], 1, s[6:7]
	v_lshl_add_u64 v[6:7], v[6:7], 1, s[6:7]
	s_mov_b64 s[6:7], 0
                                        ; implicit-def: $sgpr36_sgpr37
                                        ; implicit-def: $sgpr38_sgpr39
                                        ; implicit-def: $sgpr40_sgpr41
	s_branch .LBB1143_117
.LBB1143_116:                           ;   in Loop: Header=BB1143_117 Depth=1
	s_or_b64 exec, exec, s[48:49]
	s_and_b64 s[42:43], exec, s[44:45]
	s_or_b64 s[6:7], s[42:43], s[6:7]
	s_andn2_b64 s[36:37], s[36:37], exec
	s_and_b64 s[42:43], s[38:39], exec
	s_or_b64 s[36:37], s[36:37], s[42:43]
	s_andn2_b64 exec, exec, s[6:7]
	s_cbranch_execz .LBB1143_121
.LBB1143_117:                           ; =>This Inner Loop Header: Depth=1
	global_load_ushort v1, v[4:5], off
	global_load_ushort v24, v[6:7], off
	s_mov_b64 s[46:47], 0
	s_mov_b64 s[42:43], -1
	s_waitcnt vmcnt(1)
	v_lshlrev_b32_e32 v1, 16, v1
	s_waitcnt vmcnt(0)
	v_lshlrev_b32_e32 v24, 16, v24
	v_cmp_nlt_f32_e32 vcc, v1, v24
	s_and_saveexec_b64 s[44:45], vcc
; %bb.118:                              ;   in Loop: Header=BB1143_117 Depth=1
	v_cmp_ngt_f32_e32 vcc, v1, v24
	s_and_b64 s[40:41], vcc, s[40:41]
	s_orn2_b64 s[42:43], s[40:41], exec
	s_and_b64 s[46:47], vcc, exec
; %bb.119:                              ;   in Loop: Header=BB1143_117 Depth=1
	s_or_b64 exec, exec, s[44:45]
	s_andn2_b64 s[38:39], s[38:39], exec
	s_and_b64 s[40:41], s[42:43], exec
	s_mov_b64 s[44:45], -1
	s_or_b64 s[38:39], s[38:39], s[40:41]
                                        ; implicit-def: $sgpr40_sgpr41
	s_and_saveexec_b64 s[48:49], s[46:47]
	s_cbranch_execz .LBB1143_116
; %bb.120:                              ;   in Loop: Header=BB1143_117 Depth=1
	s_add_u32 s4, s4, -1
	s_addc_u32 s5, s5, -1
	s_cmp_eq_u64 s[4:5], 0
	s_cselect_b64 s[44:45], -1, 0
	v_lshl_add_u64 v[4:5], v[4:5], 0, 2
	v_lshl_add_u64 v[6:7], v[6:7], 0, 2
	s_and_b64 s[40:41], s[42:43], exec
	s_andn2_b64 s[38:39], s[38:39], exec
	s_orn2_b64 s[44:45], s[44:45], exec
	s_branch .LBB1143_116
.LBB1143_121:
	s_or_b64 exec, exec, s[6:7]
	s_xor_b64 s[4:5], s[36:37], -1
	s_andn2_b64 s[6:7], s[34:35], exec
	s_and_b64 s[4:5], s[4:5], exec
	s_or_b64 s[34:35], s[6:7], s[4:5]
.LBB1143_122:
	s_or_b64 exec, exec, s[0:1]
	s_orn2_b64 s[34:35], s[34:35], exec
.LBB1143_123:
	s_or_b64 exec, exec, s[30:31]
	v_cndmask_b32_e64 v15, v14, v15, s[28:29]
	v_cndmask_b32_e64 v14, v34, v35, s[28:29]
	;; [unrolled: 1-line block ×16, first 2 shown]
.LBB1143_124:
	s_or_b64 exec, exec, s[2:3]
	v_lshrrev_b32_e32 v1, 2, v0
	v_lshlrev_b32_e32 v19, 3, v18
	v_lshl_add_u32 v19, v1, 3, v19
	v_and_b32_e32 v1, 24, v1
	v_or_b32_e32 v25, 0x80, v0
	v_add_u32_e32 v26, v18, v1
	v_lshrrev_b32_e32 v1, 2, v25
	v_and_b32_e32 v1, 56, v1
	v_or_b32_e32 v24, 0x100, v0
	s_barrier
	s_barrier
	ds_write2_b64 v19, v[2:3], v[4:5] offset1:1
	ds_write2_b64 v19, v[6:7], v[8:9] offset0:2 offset1:3
	ds_write2_b64 v19, v[10:11], v[12:13] offset0:4 offset1:5
	;; [unrolled: 1-line block ×3, first 2 shown]
	v_add_u32_e32 v6, v18, v1
	v_lshrrev_b32_e32 v1, 2, v24
	v_and_b32_e32 v1, 0x58, v1
	v_or_b32_e32 v23, 0x180, v0
	v_add_u32_e32 v7, v18, v1
	v_lshrrev_b32_e32 v1, 2, v23
	v_and_b32_e32 v1, 0x78, v1
	v_or_b32_e32 v22, 0x200, v0
	;; [unrolled: 4-line block ×4, first 2 shown]
	v_add_u32_e32 v27, v18, v1
	v_lshrrev_b32_e32 v1, 2, v20
	v_and_b32_e32 v1, 0xd8, v1
	s_lshl_b64 s[0:1], s[20:21], 3
	v_add_u32_e32 v28, v18, v1
	v_or_b32_e32 v1, 0x380, v0
	s_add_u32 s0, s14, s0
	v_lshrrev_b32_e32 v2, 2, v1
	s_addc_u32 s1, s15, s1
	v_and_b32_e32 v2, 0xf8, v2
	v_mov_b32_e32 v19, 0
	v_add_u32_e32 v29, v18, v2
	v_lshl_add_u64 v[2:3], s[0:1], 0, v[18:19]
	s_and_b64 vcc, exec, s[10:11]
	s_waitcnt lgkmcnt(0)
	s_cbranch_vccz .LBB1143_126
; %bb.125:
	s_barrier
	ds_read_b64 v[10:11], v26
	ds_read_b64 v[12:13], v6 offset:1024
	ds_read_b64 v[14:15], v7 offset:2048
	;; [unrolled: 1-line block ×7, first 2 shown]
	s_waitcnt lgkmcnt(7)
	global_store_dwordx2 v[2:3], v[10:11], off
	s_waitcnt lgkmcnt(6)
	global_store_dwordx2 v[2:3], v[12:13], off offset:1024
	s_waitcnt lgkmcnt(5)
	global_store_dwordx2 v[2:3], v[14:15], off offset:2048
	;; [unrolled: 2-line block ×3, first 2 shown]
	v_add_co_u32_e32 v10, vcc, 0x1000, v2
	s_nop 1
	v_addc_co_u32_e32 v11, vcc, 0, v3, vcc
	s_waitcnt lgkmcnt(3)
	global_store_dwordx2 v[10:11], v[18:19], off
	s_waitcnt lgkmcnt(2)
	global_store_dwordx2 v[10:11], v[30:31], off offset:1024
	s_waitcnt lgkmcnt(1)
	global_store_dwordx2 v[10:11], v[32:33], off offset:2048
	s_mov_b64 s[0:1], -1
	s_cbranch_execz .LBB1143_127
	s_branch .LBB1143_136
.LBB1143_126:
	s_mov_b64 s[0:1], 0
                                        ; implicit-def: $vgpr4_vgpr5
.LBB1143_127:
	s_barrier
	s_waitcnt lgkmcnt(0)
	ds_read_b64 v[16:17], v6 offset:1024
	ds_read_b64 v[14:15], v7 offset:2048
	ds_read_b64 v[12:13], v8 offset:3072
	ds_read_b64 v[10:11], v9 offset:4096
	ds_read_b64 v[8:9], v27 offset:5120
	ds_read_b64 v[6:7], v28 offset:6144
	ds_read_b64 v[4:5], v29 offset:7168
	s_sub_i32 s2, s8, s20
	v_cmp_gt_u32_e32 vcc, s2, v0
	s_and_saveexec_b64 s[0:1], vcc
	s_cbranch_execnz .LBB1143_139
; %bb.128:
	s_or_b64 exec, exec, s[0:1]
	v_cmp_gt_u32_e32 vcc, s2, v25
	s_and_saveexec_b64 s[0:1], vcc
	s_cbranch_execnz .LBB1143_140
.LBB1143_129:
	s_or_b64 exec, exec, s[0:1]
	v_cmp_gt_u32_e32 vcc, s2, v24
	s_and_saveexec_b64 s[0:1], vcc
	s_cbranch_execnz .LBB1143_141
.LBB1143_130:
	s_or_b64 exec, exec, s[0:1]
	v_cmp_gt_u32_e32 vcc, s2, v23
	s_and_saveexec_b64 s[0:1], vcc
	s_cbranch_execnz .LBB1143_142
.LBB1143_131:
	s_or_b64 exec, exec, s[0:1]
	v_cmp_gt_u32_e32 vcc, s2, v22
	s_and_saveexec_b64 s[0:1], vcc
	s_cbranch_execnz .LBB1143_143
.LBB1143_132:
	s_or_b64 exec, exec, s[0:1]
	v_cmp_gt_u32_e32 vcc, s2, v21
	s_and_saveexec_b64 s[0:1], vcc
	s_cbranch_execnz .LBB1143_144
.LBB1143_133:
	s_or_b64 exec, exec, s[0:1]
	v_cmp_gt_u32_e32 vcc, s2, v20
	s_and_saveexec_b64 s[0:1], vcc
	s_cbranch_execz .LBB1143_135
.LBB1143_134:
	s_waitcnt lgkmcnt(2)
	v_add_co_u32_e32 v8, vcc, 0x1000, v2
	s_nop 1
	v_addc_co_u32_e32 v9, vcc, 0, v3, vcc
	s_waitcnt lgkmcnt(1)
	global_store_dwordx2 v[8:9], v[6:7], off offset:2048
.LBB1143_135:
	s_or_b64 exec, exec, s[0:1]
	v_cmp_gt_u32_e64 s[0:1], s2, v1
.LBB1143_136:
	s_and_saveexec_b64 s[2:3], s[0:1]
	s_cbranch_execz .LBB1143_138
; %bb.137:
	v_add_co_u32_e32 v0, vcc, 0x1000, v2
	s_nop 1
	v_addc_co_u32_e32 v1, vcc, 0, v3, vcc
	s_waitcnt lgkmcnt(0)
	global_store_dwordx2 v[0:1], v[4:5], off offset:3072
.LBB1143_138:
	s_endpgm
.LBB1143_139:
	ds_read_b64 v[18:19], v26
	s_waitcnt lgkmcnt(0)
	global_store_dwordx2 v[2:3], v[18:19], off
	s_or_b64 exec, exec, s[0:1]
	v_cmp_gt_u32_e32 vcc, s2, v25
	s_and_saveexec_b64 s[0:1], vcc
	s_cbranch_execz .LBB1143_129
.LBB1143_140:
	s_waitcnt lgkmcnt(6)
	global_store_dwordx2 v[2:3], v[16:17], off offset:1024
	s_or_b64 exec, exec, s[0:1]
	v_cmp_gt_u32_e32 vcc, s2, v24
	s_and_saveexec_b64 s[0:1], vcc
	s_cbranch_execz .LBB1143_130
.LBB1143_141:
	s_waitcnt lgkmcnt(5)
	global_store_dwordx2 v[2:3], v[14:15], off offset:2048
	s_or_b64 exec, exec, s[0:1]
	v_cmp_gt_u32_e32 vcc, s2, v23
	s_and_saveexec_b64 s[0:1], vcc
	s_cbranch_execz .LBB1143_131
.LBB1143_142:
	s_waitcnt lgkmcnt(4)
	global_store_dwordx2 v[2:3], v[12:13], off offset:3072
	s_or_b64 exec, exec, s[0:1]
	v_cmp_gt_u32_e32 vcc, s2, v22
	s_and_saveexec_b64 s[0:1], vcc
	s_cbranch_execz .LBB1143_132
.LBB1143_143:
	s_waitcnt lgkmcnt(4)
	v_add_co_u32_e32 v12, vcc, 0x1000, v2
	s_nop 1
	v_addc_co_u32_e32 v13, vcc, 0, v3, vcc
	s_waitcnt lgkmcnt(3)
	global_store_dwordx2 v[12:13], v[10:11], off
	s_or_b64 exec, exec, s[0:1]
	v_cmp_gt_u32_e32 vcc, s2, v21
	s_and_saveexec_b64 s[0:1], vcc
	s_cbranch_execz .LBB1143_133
.LBB1143_144:
	s_waitcnt lgkmcnt(3)
	v_add_co_u32_e32 v10, vcc, 0x1000, v2
	s_nop 1
	v_addc_co_u32_e32 v11, vcc, 0, v3, vcc
	s_waitcnt lgkmcnt(2)
	global_store_dwordx2 v[10:11], v[8:9], off offset:1024
	s_or_b64 exec, exec, s[0:1]
	v_cmp_gt_u32_e32 vcc, s2, v20
	s_and_saveexec_b64 s[0:1], vcc
	s_cbranch_execnz .LBB1143_134
	s_branch .LBB1143_135
	.section	.rodata,"a",@progbits
	.p2align	6, 0x0
	.amdhsa_kernel _ZN7rocprim17ROCPRIM_400000_NS6detail17trampoline_kernelINS0_14default_configENS1_38merge_sort_block_merge_config_selectorIlNS0_10empty_typeEEEZZNS1_27merge_sort_block_merge_implIS3_PlPS5_mZN2at6native12_GLOBAL__N_124unique_dim_cuda_templateIN3c108BFloat16EEESt5tupleIJNSA_6TensorESH_SH_EERKSH_lbbbEUlllE_EE10hipError_tT0_T1_T2_jT3_P12ihipStream_tbPNSt15iterator_traitsISN_E10value_typeEPNST_ISO_E10value_typeEPSP_NS1_7vsmem_tEENKUlT_SN_SO_SP_E_clIS8_S8_S9_S9_EESM_S12_SN_SO_SP_EUlS12_E0_NS1_11comp_targetILNS1_3genE5ELNS1_11target_archE942ELNS1_3gpuE9ELNS1_3repE0EEENS1_38merge_mergepath_config_static_selectorELNS0_4arch9wavefront6targetE1EEEvSO_
		.amdhsa_group_segment_fixed_size 8448
		.amdhsa_private_segment_fixed_size 0
		.amdhsa_kernarg_size 344
		.amdhsa_user_sgpr_count 2
		.amdhsa_user_sgpr_dispatch_ptr 0
		.amdhsa_user_sgpr_queue_ptr 0
		.amdhsa_user_sgpr_kernarg_segment_ptr 1
		.amdhsa_user_sgpr_dispatch_id 0
		.amdhsa_user_sgpr_kernarg_preload_length 0
		.amdhsa_user_sgpr_kernarg_preload_offset 0
		.amdhsa_user_sgpr_private_segment_size 0
		.amdhsa_uses_dynamic_stack 0
		.amdhsa_enable_private_segment 0
		.amdhsa_system_sgpr_workgroup_id_x 1
		.amdhsa_system_sgpr_workgroup_id_y 1
		.amdhsa_system_sgpr_workgroup_id_z 1
		.amdhsa_system_sgpr_workgroup_info 0
		.amdhsa_system_vgpr_workitem_id 0
		.amdhsa_next_free_vgpr 42
		.amdhsa_next_free_sgpr 54
		.amdhsa_accum_offset 44
		.amdhsa_reserve_vcc 1
		.amdhsa_float_round_mode_32 0
		.amdhsa_float_round_mode_16_64 0
		.amdhsa_float_denorm_mode_32 3
		.amdhsa_float_denorm_mode_16_64 3
		.amdhsa_dx10_clamp 1
		.amdhsa_ieee_mode 1
		.amdhsa_fp16_overflow 0
		.amdhsa_tg_split 0
		.amdhsa_exception_fp_ieee_invalid_op 0
		.amdhsa_exception_fp_denorm_src 0
		.amdhsa_exception_fp_ieee_div_zero 0
		.amdhsa_exception_fp_ieee_overflow 0
		.amdhsa_exception_fp_ieee_underflow 0
		.amdhsa_exception_fp_ieee_inexact 0
		.amdhsa_exception_int_div_zero 0
	.end_amdhsa_kernel
	.section	.text._ZN7rocprim17ROCPRIM_400000_NS6detail17trampoline_kernelINS0_14default_configENS1_38merge_sort_block_merge_config_selectorIlNS0_10empty_typeEEEZZNS1_27merge_sort_block_merge_implIS3_PlPS5_mZN2at6native12_GLOBAL__N_124unique_dim_cuda_templateIN3c108BFloat16EEESt5tupleIJNSA_6TensorESH_SH_EERKSH_lbbbEUlllE_EE10hipError_tT0_T1_T2_jT3_P12ihipStream_tbPNSt15iterator_traitsISN_E10value_typeEPNST_ISO_E10value_typeEPSP_NS1_7vsmem_tEENKUlT_SN_SO_SP_E_clIS8_S8_S9_S9_EESM_S12_SN_SO_SP_EUlS12_E0_NS1_11comp_targetILNS1_3genE5ELNS1_11target_archE942ELNS1_3gpuE9ELNS1_3repE0EEENS1_38merge_mergepath_config_static_selectorELNS0_4arch9wavefront6targetE1EEEvSO_,"axG",@progbits,_ZN7rocprim17ROCPRIM_400000_NS6detail17trampoline_kernelINS0_14default_configENS1_38merge_sort_block_merge_config_selectorIlNS0_10empty_typeEEEZZNS1_27merge_sort_block_merge_implIS3_PlPS5_mZN2at6native12_GLOBAL__N_124unique_dim_cuda_templateIN3c108BFloat16EEESt5tupleIJNSA_6TensorESH_SH_EERKSH_lbbbEUlllE_EE10hipError_tT0_T1_T2_jT3_P12ihipStream_tbPNSt15iterator_traitsISN_E10value_typeEPNST_ISO_E10value_typeEPSP_NS1_7vsmem_tEENKUlT_SN_SO_SP_E_clIS8_S8_S9_S9_EESM_S12_SN_SO_SP_EUlS12_E0_NS1_11comp_targetILNS1_3genE5ELNS1_11target_archE942ELNS1_3gpuE9ELNS1_3repE0EEENS1_38merge_mergepath_config_static_selectorELNS0_4arch9wavefront6targetE1EEEvSO_,comdat
.Lfunc_end1143:
	.size	_ZN7rocprim17ROCPRIM_400000_NS6detail17trampoline_kernelINS0_14default_configENS1_38merge_sort_block_merge_config_selectorIlNS0_10empty_typeEEEZZNS1_27merge_sort_block_merge_implIS3_PlPS5_mZN2at6native12_GLOBAL__N_124unique_dim_cuda_templateIN3c108BFloat16EEESt5tupleIJNSA_6TensorESH_SH_EERKSH_lbbbEUlllE_EE10hipError_tT0_T1_T2_jT3_P12ihipStream_tbPNSt15iterator_traitsISN_E10value_typeEPNST_ISO_E10value_typeEPSP_NS1_7vsmem_tEENKUlT_SN_SO_SP_E_clIS8_S8_S9_S9_EESM_S12_SN_SO_SP_EUlS12_E0_NS1_11comp_targetILNS1_3genE5ELNS1_11target_archE942ELNS1_3gpuE9ELNS1_3repE0EEENS1_38merge_mergepath_config_static_selectorELNS0_4arch9wavefront6targetE1EEEvSO_, .Lfunc_end1143-_ZN7rocprim17ROCPRIM_400000_NS6detail17trampoline_kernelINS0_14default_configENS1_38merge_sort_block_merge_config_selectorIlNS0_10empty_typeEEEZZNS1_27merge_sort_block_merge_implIS3_PlPS5_mZN2at6native12_GLOBAL__N_124unique_dim_cuda_templateIN3c108BFloat16EEESt5tupleIJNSA_6TensorESH_SH_EERKSH_lbbbEUlllE_EE10hipError_tT0_T1_T2_jT3_P12ihipStream_tbPNSt15iterator_traitsISN_E10value_typeEPNST_ISO_E10value_typeEPSP_NS1_7vsmem_tEENKUlT_SN_SO_SP_E_clIS8_S8_S9_S9_EESM_S12_SN_SO_SP_EUlS12_E0_NS1_11comp_targetILNS1_3genE5ELNS1_11target_archE942ELNS1_3gpuE9ELNS1_3repE0EEENS1_38merge_mergepath_config_static_selectorELNS0_4arch9wavefront6targetE1EEEvSO_
                                        ; -- End function
	.section	.AMDGPU.csdata,"",@progbits
; Kernel info:
; codeLenInByte = 6496
; NumSgprs: 60
; NumVgprs: 42
; NumAgprs: 0
; TotalNumVgprs: 42
; ScratchSize: 0
; MemoryBound: 0
; FloatMode: 240
; IeeeMode: 1
; LDSByteSize: 8448 bytes/workgroup (compile time only)
; SGPRBlocks: 7
; VGPRBlocks: 5
; NumSGPRsForWavesPerEU: 60
; NumVGPRsForWavesPerEU: 42
; AccumOffset: 44
; Occupancy: 4
; WaveLimiterHint : 1
; COMPUTE_PGM_RSRC2:SCRATCH_EN: 0
; COMPUTE_PGM_RSRC2:USER_SGPR: 2
; COMPUTE_PGM_RSRC2:TRAP_HANDLER: 0
; COMPUTE_PGM_RSRC2:TGID_X_EN: 1
; COMPUTE_PGM_RSRC2:TGID_Y_EN: 1
; COMPUTE_PGM_RSRC2:TGID_Z_EN: 1
; COMPUTE_PGM_RSRC2:TIDIG_COMP_CNT: 0
; COMPUTE_PGM_RSRC3_GFX90A:ACCUM_OFFSET: 10
; COMPUTE_PGM_RSRC3_GFX90A:TG_SPLIT: 0
	.section	.text._ZN7rocprim17ROCPRIM_400000_NS6detail17trampoline_kernelINS0_14default_configENS1_38merge_sort_block_merge_config_selectorIlNS0_10empty_typeEEEZZNS1_27merge_sort_block_merge_implIS3_PlPS5_mZN2at6native12_GLOBAL__N_124unique_dim_cuda_templateIN3c108BFloat16EEESt5tupleIJNSA_6TensorESH_SH_EERKSH_lbbbEUlllE_EE10hipError_tT0_T1_T2_jT3_P12ihipStream_tbPNSt15iterator_traitsISN_E10value_typeEPNST_ISO_E10value_typeEPSP_NS1_7vsmem_tEENKUlT_SN_SO_SP_E_clIS8_S8_S9_S9_EESM_S12_SN_SO_SP_EUlS12_E0_NS1_11comp_targetILNS1_3genE4ELNS1_11target_archE910ELNS1_3gpuE8ELNS1_3repE0EEENS1_38merge_mergepath_config_static_selectorELNS0_4arch9wavefront6targetE1EEEvSO_,"axG",@progbits,_ZN7rocprim17ROCPRIM_400000_NS6detail17trampoline_kernelINS0_14default_configENS1_38merge_sort_block_merge_config_selectorIlNS0_10empty_typeEEEZZNS1_27merge_sort_block_merge_implIS3_PlPS5_mZN2at6native12_GLOBAL__N_124unique_dim_cuda_templateIN3c108BFloat16EEESt5tupleIJNSA_6TensorESH_SH_EERKSH_lbbbEUlllE_EE10hipError_tT0_T1_T2_jT3_P12ihipStream_tbPNSt15iterator_traitsISN_E10value_typeEPNST_ISO_E10value_typeEPSP_NS1_7vsmem_tEENKUlT_SN_SO_SP_E_clIS8_S8_S9_S9_EESM_S12_SN_SO_SP_EUlS12_E0_NS1_11comp_targetILNS1_3genE4ELNS1_11target_archE910ELNS1_3gpuE8ELNS1_3repE0EEENS1_38merge_mergepath_config_static_selectorELNS0_4arch9wavefront6targetE1EEEvSO_,comdat
	.globl	_ZN7rocprim17ROCPRIM_400000_NS6detail17trampoline_kernelINS0_14default_configENS1_38merge_sort_block_merge_config_selectorIlNS0_10empty_typeEEEZZNS1_27merge_sort_block_merge_implIS3_PlPS5_mZN2at6native12_GLOBAL__N_124unique_dim_cuda_templateIN3c108BFloat16EEESt5tupleIJNSA_6TensorESH_SH_EERKSH_lbbbEUlllE_EE10hipError_tT0_T1_T2_jT3_P12ihipStream_tbPNSt15iterator_traitsISN_E10value_typeEPNST_ISO_E10value_typeEPSP_NS1_7vsmem_tEENKUlT_SN_SO_SP_E_clIS8_S8_S9_S9_EESM_S12_SN_SO_SP_EUlS12_E0_NS1_11comp_targetILNS1_3genE4ELNS1_11target_archE910ELNS1_3gpuE8ELNS1_3repE0EEENS1_38merge_mergepath_config_static_selectorELNS0_4arch9wavefront6targetE1EEEvSO_ ; -- Begin function _ZN7rocprim17ROCPRIM_400000_NS6detail17trampoline_kernelINS0_14default_configENS1_38merge_sort_block_merge_config_selectorIlNS0_10empty_typeEEEZZNS1_27merge_sort_block_merge_implIS3_PlPS5_mZN2at6native12_GLOBAL__N_124unique_dim_cuda_templateIN3c108BFloat16EEESt5tupleIJNSA_6TensorESH_SH_EERKSH_lbbbEUlllE_EE10hipError_tT0_T1_T2_jT3_P12ihipStream_tbPNSt15iterator_traitsISN_E10value_typeEPNST_ISO_E10value_typeEPSP_NS1_7vsmem_tEENKUlT_SN_SO_SP_E_clIS8_S8_S9_S9_EESM_S12_SN_SO_SP_EUlS12_E0_NS1_11comp_targetILNS1_3genE4ELNS1_11target_archE910ELNS1_3gpuE8ELNS1_3repE0EEENS1_38merge_mergepath_config_static_selectorELNS0_4arch9wavefront6targetE1EEEvSO_
	.p2align	8
	.type	_ZN7rocprim17ROCPRIM_400000_NS6detail17trampoline_kernelINS0_14default_configENS1_38merge_sort_block_merge_config_selectorIlNS0_10empty_typeEEEZZNS1_27merge_sort_block_merge_implIS3_PlPS5_mZN2at6native12_GLOBAL__N_124unique_dim_cuda_templateIN3c108BFloat16EEESt5tupleIJNSA_6TensorESH_SH_EERKSH_lbbbEUlllE_EE10hipError_tT0_T1_T2_jT3_P12ihipStream_tbPNSt15iterator_traitsISN_E10value_typeEPNST_ISO_E10value_typeEPSP_NS1_7vsmem_tEENKUlT_SN_SO_SP_E_clIS8_S8_S9_S9_EESM_S12_SN_SO_SP_EUlS12_E0_NS1_11comp_targetILNS1_3genE4ELNS1_11target_archE910ELNS1_3gpuE8ELNS1_3repE0EEENS1_38merge_mergepath_config_static_selectorELNS0_4arch9wavefront6targetE1EEEvSO_,@function
_ZN7rocprim17ROCPRIM_400000_NS6detail17trampoline_kernelINS0_14default_configENS1_38merge_sort_block_merge_config_selectorIlNS0_10empty_typeEEEZZNS1_27merge_sort_block_merge_implIS3_PlPS5_mZN2at6native12_GLOBAL__N_124unique_dim_cuda_templateIN3c108BFloat16EEESt5tupleIJNSA_6TensorESH_SH_EERKSH_lbbbEUlllE_EE10hipError_tT0_T1_T2_jT3_P12ihipStream_tbPNSt15iterator_traitsISN_E10value_typeEPNST_ISO_E10value_typeEPSP_NS1_7vsmem_tEENKUlT_SN_SO_SP_E_clIS8_S8_S9_S9_EESM_S12_SN_SO_SP_EUlS12_E0_NS1_11comp_targetILNS1_3genE4ELNS1_11target_archE910ELNS1_3gpuE8ELNS1_3repE0EEENS1_38merge_mergepath_config_static_selectorELNS0_4arch9wavefront6targetE1EEEvSO_: ; @_ZN7rocprim17ROCPRIM_400000_NS6detail17trampoline_kernelINS0_14default_configENS1_38merge_sort_block_merge_config_selectorIlNS0_10empty_typeEEEZZNS1_27merge_sort_block_merge_implIS3_PlPS5_mZN2at6native12_GLOBAL__N_124unique_dim_cuda_templateIN3c108BFloat16EEESt5tupleIJNSA_6TensorESH_SH_EERKSH_lbbbEUlllE_EE10hipError_tT0_T1_T2_jT3_P12ihipStream_tbPNSt15iterator_traitsISN_E10value_typeEPNST_ISO_E10value_typeEPSP_NS1_7vsmem_tEENKUlT_SN_SO_SP_E_clIS8_S8_S9_S9_EESM_S12_SN_SO_SP_EUlS12_E0_NS1_11comp_targetILNS1_3genE4ELNS1_11target_archE910ELNS1_3gpuE8ELNS1_3repE0EEENS1_38merge_mergepath_config_static_selectorELNS0_4arch9wavefront6targetE1EEEvSO_
; %bb.0:
	.section	.rodata,"a",@progbits
	.p2align	6, 0x0
	.amdhsa_kernel _ZN7rocprim17ROCPRIM_400000_NS6detail17trampoline_kernelINS0_14default_configENS1_38merge_sort_block_merge_config_selectorIlNS0_10empty_typeEEEZZNS1_27merge_sort_block_merge_implIS3_PlPS5_mZN2at6native12_GLOBAL__N_124unique_dim_cuda_templateIN3c108BFloat16EEESt5tupleIJNSA_6TensorESH_SH_EERKSH_lbbbEUlllE_EE10hipError_tT0_T1_T2_jT3_P12ihipStream_tbPNSt15iterator_traitsISN_E10value_typeEPNST_ISO_E10value_typeEPSP_NS1_7vsmem_tEENKUlT_SN_SO_SP_E_clIS8_S8_S9_S9_EESM_S12_SN_SO_SP_EUlS12_E0_NS1_11comp_targetILNS1_3genE4ELNS1_11target_archE910ELNS1_3gpuE8ELNS1_3repE0EEENS1_38merge_mergepath_config_static_selectorELNS0_4arch9wavefront6targetE1EEEvSO_
		.amdhsa_group_segment_fixed_size 0
		.amdhsa_private_segment_fixed_size 0
		.amdhsa_kernarg_size 88
		.amdhsa_user_sgpr_count 2
		.amdhsa_user_sgpr_dispatch_ptr 0
		.amdhsa_user_sgpr_queue_ptr 0
		.amdhsa_user_sgpr_kernarg_segment_ptr 1
		.amdhsa_user_sgpr_dispatch_id 0
		.amdhsa_user_sgpr_kernarg_preload_length 0
		.amdhsa_user_sgpr_kernarg_preload_offset 0
		.amdhsa_user_sgpr_private_segment_size 0
		.amdhsa_uses_dynamic_stack 0
		.amdhsa_enable_private_segment 0
		.amdhsa_system_sgpr_workgroup_id_x 1
		.amdhsa_system_sgpr_workgroup_id_y 0
		.amdhsa_system_sgpr_workgroup_id_z 0
		.amdhsa_system_sgpr_workgroup_info 0
		.amdhsa_system_vgpr_workitem_id 0
		.amdhsa_next_free_vgpr 1
		.amdhsa_next_free_sgpr 0
		.amdhsa_accum_offset 4
		.amdhsa_reserve_vcc 0
		.amdhsa_float_round_mode_32 0
		.amdhsa_float_round_mode_16_64 0
		.amdhsa_float_denorm_mode_32 3
		.amdhsa_float_denorm_mode_16_64 3
		.amdhsa_dx10_clamp 1
		.amdhsa_ieee_mode 1
		.amdhsa_fp16_overflow 0
		.amdhsa_tg_split 0
		.amdhsa_exception_fp_ieee_invalid_op 0
		.amdhsa_exception_fp_denorm_src 0
		.amdhsa_exception_fp_ieee_div_zero 0
		.amdhsa_exception_fp_ieee_overflow 0
		.amdhsa_exception_fp_ieee_underflow 0
		.amdhsa_exception_fp_ieee_inexact 0
		.amdhsa_exception_int_div_zero 0
	.end_amdhsa_kernel
	.section	.text._ZN7rocprim17ROCPRIM_400000_NS6detail17trampoline_kernelINS0_14default_configENS1_38merge_sort_block_merge_config_selectorIlNS0_10empty_typeEEEZZNS1_27merge_sort_block_merge_implIS3_PlPS5_mZN2at6native12_GLOBAL__N_124unique_dim_cuda_templateIN3c108BFloat16EEESt5tupleIJNSA_6TensorESH_SH_EERKSH_lbbbEUlllE_EE10hipError_tT0_T1_T2_jT3_P12ihipStream_tbPNSt15iterator_traitsISN_E10value_typeEPNST_ISO_E10value_typeEPSP_NS1_7vsmem_tEENKUlT_SN_SO_SP_E_clIS8_S8_S9_S9_EESM_S12_SN_SO_SP_EUlS12_E0_NS1_11comp_targetILNS1_3genE4ELNS1_11target_archE910ELNS1_3gpuE8ELNS1_3repE0EEENS1_38merge_mergepath_config_static_selectorELNS0_4arch9wavefront6targetE1EEEvSO_,"axG",@progbits,_ZN7rocprim17ROCPRIM_400000_NS6detail17trampoline_kernelINS0_14default_configENS1_38merge_sort_block_merge_config_selectorIlNS0_10empty_typeEEEZZNS1_27merge_sort_block_merge_implIS3_PlPS5_mZN2at6native12_GLOBAL__N_124unique_dim_cuda_templateIN3c108BFloat16EEESt5tupleIJNSA_6TensorESH_SH_EERKSH_lbbbEUlllE_EE10hipError_tT0_T1_T2_jT3_P12ihipStream_tbPNSt15iterator_traitsISN_E10value_typeEPNST_ISO_E10value_typeEPSP_NS1_7vsmem_tEENKUlT_SN_SO_SP_E_clIS8_S8_S9_S9_EESM_S12_SN_SO_SP_EUlS12_E0_NS1_11comp_targetILNS1_3genE4ELNS1_11target_archE910ELNS1_3gpuE8ELNS1_3repE0EEENS1_38merge_mergepath_config_static_selectorELNS0_4arch9wavefront6targetE1EEEvSO_,comdat
.Lfunc_end1144:
	.size	_ZN7rocprim17ROCPRIM_400000_NS6detail17trampoline_kernelINS0_14default_configENS1_38merge_sort_block_merge_config_selectorIlNS0_10empty_typeEEEZZNS1_27merge_sort_block_merge_implIS3_PlPS5_mZN2at6native12_GLOBAL__N_124unique_dim_cuda_templateIN3c108BFloat16EEESt5tupleIJNSA_6TensorESH_SH_EERKSH_lbbbEUlllE_EE10hipError_tT0_T1_T2_jT3_P12ihipStream_tbPNSt15iterator_traitsISN_E10value_typeEPNST_ISO_E10value_typeEPSP_NS1_7vsmem_tEENKUlT_SN_SO_SP_E_clIS8_S8_S9_S9_EESM_S12_SN_SO_SP_EUlS12_E0_NS1_11comp_targetILNS1_3genE4ELNS1_11target_archE910ELNS1_3gpuE8ELNS1_3repE0EEENS1_38merge_mergepath_config_static_selectorELNS0_4arch9wavefront6targetE1EEEvSO_, .Lfunc_end1144-_ZN7rocprim17ROCPRIM_400000_NS6detail17trampoline_kernelINS0_14default_configENS1_38merge_sort_block_merge_config_selectorIlNS0_10empty_typeEEEZZNS1_27merge_sort_block_merge_implIS3_PlPS5_mZN2at6native12_GLOBAL__N_124unique_dim_cuda_templateIN3c108BFloat16EEESt5tupleIJNSA_6TensorESH_SH_EERKSH_lbbbEUlllE_EE10hipError_tT0_T1_T2_jT3_P12ihipStream_tbPNSt15iterator_traitsISN_E10value_typeEPNST_ISO_E10value_typeEPSP_NS1_7vsmem_tEENKUlT_SN_SO_SP_E_clIS8_S8_S9_S9_EESM_S12_SN_SO_SP_EUlS12_E0_NS1_11comp_targetILNS1_3genE4ELNS1_11target_archE910ELNS1_3gpuE8ELNS1_3repE0EEENS1_38merge_mergepath_config_static_selectorELNS0_4arch9wavefront6targetE1EEEvSO_
                                        ; -- End function
	.section	.AMDGPU.csdata,"",@progbits
; Kernel info:
; codeLenInByte = 0
; NumSgprs: 6
; NumVgprs: 0
; NumAgprs: 0
; TotalNumVgprs: 0
; ScratchSize: 0
; MemoryBound: 0
; FloatMode: 240
; IeeeMode: 1
; LDSByteSize: 0 bytes/workgroup (compile time only)
; SGPRBlocks: 0
; VGPRBlocks: 0
; NumSGPRsForWavesPerEU: 6
; NumVGPRsForWavesPerEU: 1
; AccumOffset: 4
; Occupancy: 8
; WaveLimiterHint : 0
; COMPUTE_PGM_RSRC2:SCRATCH_EN: 0
; COMPUTE_PGM_RSRC2:USER_SGPR: 2
; COMPUTE_PGM_RSRC2:TRAP_HANDLER: 0
; COMPUTE_PGM_RSRC2:TGID_X_EN: 1
; COMPUTE_PGM_RSRC2:TGID_Y_EN: 0
; COMPUTE_PGM_RSRC2:TGID_Z_EN: 0
; COMPUTE_PGM_RSRC2:TIDIG_COMP_CNT: 0
; COMPUTE_PGM_RSRC3_GFX90A:ACCUM_OFFSET: 0
; COMPUTE_PGM_RSRC3_GFX90A:TG_SPLIT: 0
	.section	.text._ZN7rocprim17ROCPRIM_400000_NS6detail17trampoline_kernelINS0_14default_configENS1_38merge_sort_block_merge_config_selectorIlNS0_10empty_typeEEEZZNS1_27merge_sort_block_merge_implIS3_PlPS5_mZN2at6native12_GLOBAL__N_124unique_dim_cuda_templateIN3c108BFloat16EEESt5tupleIJNSA_6TensorESH_SH_EERKSH_lbbbEUlllE_EE10hipError_tT0_T1_T2_jT3_P12ihipStream_tbPNSt15iterator_traitsISN_E10value_typeEPNST_ISO_E10value_typeEPSP_NS1_7vsmem_tEENKUlT_SN_SO_SP_E_clIS8_S8_S9_S9_EESM_S12_SN_SO_SP_EUlS12_E0_NS1_11comp_targetILNS1_3genE3ELNS1_11target_archE908ELNS1_3gpuE7ELNS1_3repE0EEENS1_38merge_mergepath_config_static_selectorELNS0_4arch9wavefront6targetE1EEEvSO_,"axG",@progbits,_ZN7rocprim17ROCPRIM_400000_NS6detail17trampoline_kernelINS0_14default_configENS1_38merge_sort_block_merge_config_selectorIlNS0_10empty_typeEEEZZNS1_27merge_sort_block_merge_implIS3_PlPS5_mZN2at6native12_GLOBAL__N_124unique_dim_cuda_templateIN3c108BFloat16EEESt5tupleIJNSA_6TensorESH_SH_EERKSH_lbbbEUlllE_EE10hipError_tT0_T1_T2_jT3_P12ihipStream_tbPNSt15iterator_traitsISN_E10value_typeEPNST_ISO_E10value_typeEPSP_NS1_7vsmem_tEENKUlT_SN_SO_SP_E_clIS8_S8_S9_S9_EESM_S12_SN_SO_SP_EUlS12_E0_NS1_11comp_targetILNS1_3genE3ELNS1_11target_archE908ELNS1_3gpuE7ELNS1_3repE0EEENS1_38merge_mergepath_config_static_selectorELNS0_4arch9wavefront6targetE1EEEvSO_,comdat
	.globl	_ZN7rocprim17ROCPRIM_400000_NS6detail17trampoline_kernelINS0_14default_configENS1_38merge_sort_block_merge_config_selectorIlNS0_10empty_typeEEEZZNS1_27merge_sort_block_merge_implIS3_PlPS5_mZN2at6native12_GLOBAL__N_124unique_dim_cuda_templateIN3c108BFloat16EEESt5tupleIJNSA_6TensorESH_SH_EERKSH_lbbbEUlllE_EE10hipError_tT0_T1_T2_jT3_P12ihipStream_tbPNSt15iterator_traitsISN_E10value_typeEPNST_ISO_E10value_typeEPSP_NS1_7vsmem_tEENKUlT_SN_SO_SP_E_clIS8_S8_S9_S9_EESM_S12_SN_SO_SP_EUlS12_E0_NS1_11comp_targetILNS1_3genE3ELNS1_11target_archE908ELNS1_3gpuE7ELNS1_3repE0EEENS1_38merge_mergepath_config_static_selectorELNS0_4arch9wavefront6targetE1EEEvSO_ ; -- Begin function _ZN7rocprim17ROCPRIM_400000_NS6detail17trampoline_kernelINS0_14default_configENS1_38merge_sort_block_merge_config_selectorIlNS0_10empty_typeEEEZZNS1_27merge_sort_block_merge_implIS3_PlPS5_mZN2at6native12_GLOBAL__N_124unique_dim_cuda_templateIN3c108BFloat16EEESt5tupleIJNSA_6TensorESH_SH_EERKSH_lbbbEUlllE_EE10hipError_tT0_T1_T2_jT3_P12ihipStream_tbPNSt15iterator_traitsISN_E10value_typeEPNST_ISO_E10value_typeEPSP_NS1_7vsmem_tEENKUlT_SN_SO_SP_E_clIS8_S8_S9_S9_EESM_S12_SN_SO_SP_EUlS12_E0_NS1_11comp_targetILNS1_3genE3ELNS1_11target_archE908ELNS1_3gpuE7ELNS1_3repE0EEENS1_38merge_mergepath_config_static_selectorELNS0_4arch9wavefront6targetE1EEEvSO_
	.p2align	8
	.type	_ZN7rocprim17ROCPRIM_400000_NS6detail17trampoline_kernelINS0_14default_configENS1_38merge_sort_block_merge_config_selectorIlNS0_10empty_typeEEEZZNS1_27merge_sort_block_merge_implIS3_PlPS5_mZN2at6native12_GLOBAL__N_124unique_dim_cuda_templateIN3c108BFloat16EEESt5tupleIJNSA_6TensorESH_SH_EERKSH_lbbbEUlllE_EE10hipError_tT0_T1_T2_jT3_P12ihipStream_tbPNSt15iterator_traitsISN_E10value_typeEPNST_ISO_E10value_typeEPSP_NS1_7vsmem_tEENKUlT_SN_SO_SP_E_clIS8_S8_S9_S9_EESM_S12_SN_SO_SP_EUlS12_E0_NS1_11comp_targetILNS1_3genE3ELNS1_11target_archE908ELNS1_3gpuE7ELNS1_3repE0EEENS1_38merge_mergepath_config_static_selectorELNS0_4arch9wavefront6targetE1EEEvSO_,@function
_ZN7rocprim17ROCPRIM_400000_NS6detail17trampoline_kernelINS0_14default_configENS1_38merge_sort_block_merge_config_selectorIlNS0_10empty_typeEEEZZNS1_27merge_sort_block_merge_implIS3_PlPS5_mZN2at6native12_GLOBAL__N_124unique_dim_cuda_templateIN3c108BFloat16EEESt5tupleIJNSA_6TensorESH_SH_EERKSH_lbbbEUlllE_EE10hipError_tT0_T1_T2_jT3_P12ihipStream_tbPNSt15iterator_traitsISN_E10value_typeEPNST_ISO_E10value_typeEPSP_NS1_7vsmem_tEENKUlT_SN_SO_SP_E_clIS8_S8_S9_S9_EESM_S12_SN_SO_SP_EUlS12_E0_NS1_11comp_targetILNS1_3genE3ELNS1_11target_archE908ELNS1_3gpuE7ELNS1_3repE0EEENS1_38merge_mergepath_config_static_selectorELNS0_4arch9wavefront6targetE1EEEvSO_: ; @_ZN7rocprim17ROCPRIM_400000_NS6detail17trampoline_kernelINS0_14default_configENS1_38merge_sort_block_merge_config_selectorIlNS0_10empty_typeEEEZZNS1_27merge_sort_block_merge_implIS3_PlPS5_mZN2at6native12_GLOBAL__N_124unique_dim_cuda_templateIN3c108BFloat16EEESt5tupleIJNSA_6TensorESH_SH_EERKSH_lbbbEUlllE_EE10hipError_tT0_T1_T2_jT3_P12ihipStream_tbPNSt15iterator_traitsISN_E10value_typeEPNST_ISO_E10value_typeEPSP_NS1_7vsmem_tEENKUlT_SN_SO_SP_E_clIS8_S8_S9_S9_EESM_S12_SN_SO_SP_EUlS12_E0_NS1_11comp_targetILNS1_3genE3ELNS1_11target_archE908ELNS1_3gpuE7ELNS1_3repE0EEENS1_38merge_mergepath_config_static_selectorELNS0_4arch9wavefront6targetE1EEEvSO_
; %bb.0:
	.section	.rodata,"a",@progbits
	.p2align	6, 0x0
	.amdhsa_kernel _ZN7rocprim17ROCPRIM_400000_NS6detail17trampoline_kernelINS0_14default_configENS1_38merge_sort_block_merge_config_selectorIlNS0_10empty_typeEEEZZNS1_27merge_sort_block_merge_implIS3_PlPS5_mZN2at6native12_GLOBAL__N_124unique_dim_cuda_templateIN3c108BFloat16EEESt5tupleIJNSA_6TensorESH_SH_EERKSH_lbbbEUlllE_EE10hipError_tT0_T1_T2_jT3_P12ihipStream_tbPNSt15iterator_traitsISN_E10value_typeEPNST_ISO_E10value_typeEPSP_NS1_7vsmem_tEENKUlT_SN_SO_SP_E_clIS8_S8_S9_S9_EESM_S12_SN_SO_SP_EUlS12_E0_NS1_11comp_targetILNS1_3genE3ELNS1_11target_archE908ELNS1_3gpuE7ELNS1_3repE0EEENS1_38merge_mergepath_config_static_selectorELNS0_4arch9wavefront6targetE1EEEvSO_
		.amdhsa_group_segment_fixed_size 0
		.amdhsa_private_segment_fixed_size 0
		.amdhsa_kernarg_size 88
		.amdhsa_user_sgpr_count 2
		.amdhsa_user_sgpr_dispatch_ptr 0
		.amdhsa_user_sgpr_queue_ptr 0
		.amdhsa_user_sgpr_kernarg_segment_ptr 1
		.amdhsa_user_sgpr_dispatch_id 0
		.amdhsa_user_sgpr_kernarg_preload_length 0
		.amdhsa_user_sgpr_kernarg_preload_offset 0
		.amdhsa_user_sgpr_private_segment_size 0
		.amdhsa_uses_dynamic_stack 0
		.amdhsa_enable_private_segment 0
		.amdhsa_system_sgpr_workgroup_id_x 1
		.amdhsa_system_sgpr_workgroup_id_y 0
		.amdhsa_system_sgpr_workgroup_id_z 0
		.amdhsa_system_sgpr_workgroup_info 0
		.amdhsa_system_vgpr_workitem_id 0
		.amdhsa_next_free_vgpr 1
		.amdhsa_next_free_sgpr 0
		.amdhsa_accum_offset 4
		.amdhsa_reserve_vcc 0
		.amdhsa_float_round_mode_32 0
		.amdhsa_float_round_mode_16_64 0
		.amdhsa_float_denorm_mode_32 3
		.amdhsa_float_denorm_mode_16_64 3
		.amdhsa_dx10_clamp 1
		.amdhsa_ieee_mode 1
		.amdhsa_fp16_overflow 0
		.amdhsa_tg_split 0
		.amdhsa_exception_fp_ieee_invalid_op 0
		.amdhsa_exception_fp_denorm_src 0
		.amdhsa_exception_fp_ieee_div_zero 0
		.amdhsa_exception_fp_ieee_overflow 0
		.amdhsa_exception_fp_ieee_underflow 0
		.amdhsa_exception_fp_ieee_inexact 0
		.amdhsa_exception_int_div_zero 0
	.end_amdhsa_kernel
	.section	.text._ZN7rocprim17ROCPRIM_400000_NS6detail17trampoline_kernelINS0_14default_configENS1_38merge_sort_block_merge_config_selectorIlNS0_10empty_typeEEEZZNS1_27merge_sort_block_merge_implIS3_PlPS5_mZN2at6native12_GLOBAL__N_124unique_dim_cuda_templateIN3c108BFloat16EEESt5tupleIJNSA_6TensorESH_SH_EERKSH_lbbbEUlllE_EE10hipError_tT0_T1_T2_jT3_P12ihipStream_tbPNSt15iterator_traitsISN_E10value_typeEPNST_ISO_E10value_typeEPSP_NS1_7vsmem_tEENKUlT_SN_SO_SP_E_clIS8_S8_S9_S9_EESM_S12_SN_SO_SP_EUlS12_E0_NS1_11comp_targetILNS1_3genE3ELNS1_11target_archE908ELNS1_3gpuE7ELNS1_3repE0EEENS1_38merge_mergepath_config_static_selectorELNS0_4arch9wavefront6targetE1EEEvSO_,"axG",@progbits,_ZN7rocprim17ROCPRIM_400000_NS6detail17trampoline_kernelINS0_14default_configENS1_38merge_sort_block_merge_config_selectorIlNS0_10empty_typeEEEZZNS1_27merge_sort_block_merge_implIS3_PlPS5_mZN2at6native12_GLOBAL__N_124unique_dim_cuda_templateIN3c108BFloat16EEESt5tupleIJNSA_6TensorESH_SH_EERKSH_lbbbEUlllE_EE10hipError_tT0_T1_T2_jT3_P12ihipStream_tbPNSt15iterator_traitsISN_E10value_typeEPNST_ISO_E10value_typeEPSP_NS1_7vsmem_tEENKUlT_SN_SO_SP_E_clIS8_S8_S9_S9_EESM_S12_SN_SO_SP_EUlS12_E0_NS1_11comp_targetILNS1_3genE3ELNS1_11target_archE908ELNS1_3gpuE7ELNS1_3repE0EEENS1_38merge_mergepath_config_static_selectorELNS0_4arch9wavefront6targetE1EEEvSO_,comdat
.Lfunc_end1145:
	.size	_ZN7rocprim17ROCPRIM_400000_NS6detail17trampoline_kernelINS0_14default_configENS1_38merge_sort_block_merge_config_selectorIlNS0_10empty_typeEEEZZNS1_27merge_sort_block_merge_implIS3_PlPS5_mZN2at6native12_GLOBAL__N_124unique_dim_cuda_templateIN3c108BFloat16EEESt5tupleIJNSA_6TensorESH_SH_EERKSH_lbbbEUlllE_EE10hipError_tT0_T1_T2_jT3_P12ihipStream_tbPNSt15iterator_traitsISN_E10value_typeEPNST_ISO_E10value_typeEPSP_NS1_7vsmem_tEENKUlT_SN_SO_SP_E_clIS8_S8_S9_S9_EESM_S12_SN_SO_SP_EUlS12_E0_NS1_11comp_targetILNS1_3genE3ELNS1_11target_archE908ELNS1_3gpuE7ELNS1_3repE0EEENS1_38merge_mergepath_config_static_selectorELNS0_4arch9wavefront6targetE1EEEvSO_, .Lfunc_end1145-_ZN7rocprim17ROCPRIM_400000_NS6detail17trampoline_kernelINS0_14default_configENS1_38merge_sort_block_merge_config_selectorIlNS0_10empty_typeEEEZZNS1_27merge_sort_block_merge_implIS3_PlPS5_mZN2at6native12_GLOBAL__N_124unique_dim_cuda_templateIN3c108BFloat16EEESt5tupleIJNSA_6TensorESH_SH_EERKSH_lbbbEUlllE_EE10hipError_tT0_T1_T2_jT3_P12ihipStream_tbPNSt15iterator_traitsISN_E10value_typeEPNST_ISO_E10value_typeEPSP_NS1_7vsmem_tEENKUlT_SN_SO_SP_E_clIS8_S8_S9_S9_EESM_S12_SN_SO_SP_EUlS12_E0_NS1_11comp_targetILNS1_3genE3ELNS1_11target_archE908ELNS1_3gpuE7ELNS1_3repE0EEENS1_38merge_mergepath_config_static_selectorELNS0_4arch9wavefront6targetE1EEEvSO_
                                        ; -- End function
	.section	.AMDGPU.csdata,"",@progbits
; Kernel info:
; codeLenInByte = 0
; NumSgprs: 6
; NumVgprs: 0
; NumAgprs: 0
; TotalNumVgprs: 0
; ScratchSize: 0
; MemoryBound: 0
; FloatMode: 240
; IeeeMode: 1
; LDSByteSize: 0 bytes/workgroup (compile time only)
; SGPRBlocks: 0
; VGPRBlocks: 0
; NumSGPRsForWavesPerEU: 6
; NumVGPRsForWavesPerEU: 1
; AccumOffset: 4
; Occupancy: 8
; WaveLimiterHint : 0
; COMPUTE_PGM_RSRC2:SCRATCH_EN: 0
; COMPUTE_PGM_RSRC2:USER_SGPR: 2
; COMPUTE_PGM_RSRC2:TRAP_HANDLER: 0
; COMPUTE_PGM_RSRC2:TGID_X_EN: 1
; COMPUTE_PGM_RSRC2:TGID_Y_EN: 0
; COMPUTE_PGM_RSRC2:TGID_Z_EN: 0
; COMPUTE_PGM_RSRC2:TIDIG_COMP_CNT: 0
; COMPUTE_PGM_RSRC3_GFX90A:ACCUM_OFFSET: 0
; COMPUTE_PGM_RSRC3_GFX90A:TG_SPLIT: 0
	.section	.text._ZN7rocprim17ROCPRIM_400000_NS6detail17trampoline_kernelINS0_14default_configENS1_38merge_sort_block_merge_config_selectorIlNS0_10empty_typeEEEZZNS1_27merge_sort_block_merge_implIS3_PlPS5_mZN2at6native12_GLOBAL__N_124unique_dim_cuda_templateIN3c108BFloat16EEESt5tupleIJNSA_6TensorESH_SH_EERKSH_lbbbEUlllE_EE10hipError_tT0_T1_T2_jT3_P12ihipStream_tbPNSt15iterator_traitsISN_E10value_typeEPNST_ISO_E10value_typeEPSP_NS1_7vsmem_tEENKUlT_SN_SO_SP_E_clIS8_S8_S9_S9_EESM_S12_SN_SO_SP_EUlS12_E0_NS1_11comp_targetILNS1_3genE2ELNS1_11target_archE906ELNS1_3gpuE6ELNS1_3repE0EEENS1_38merge_mergepath_config_static_selectorELNS0_4arch9wavefront6targetE1EEEvSO_,"axG",@progbits,_ZN7rocprim17ROCPRIM_400000_NS6detail17trampoline_kernelINS0_14default_configENS1_38merge_sort_block_merge_config_selectorIlNS0_10empty_typeEEEZZNS1_27merge_sort_block_merge_implIS3_PlPS5_mZN2at6native12_GLOBAL__N_124unique_dim_cuda_templateIN3c108BFloat16EEESt5tupleIJNSA_6TensorESH_SH_EERKSH_lbbbEUlllE_EE10hipError_tT0_T1_T2_jT3_P12ihipStream_tbPNSt15iterator_traitsISN_E10value_typeEPNST_ISO_E10value_typeEPSP_NS1_7vsmem_tEENKUlT_SN_SO_SP_E_clIS8_S8_S9_S9_EESM_S12_SN_SO_SP_EUlS12_E0_NS1_11comp_targetILNS1_3genE2ELNS1_11target_archE906ELNS1_3gpuE6ELNS1_3repE0EEENS1_38merge_mergepath_config_static_selectorELNS0_4arch9wavefront6targetE1EEEvSO_,comdat
	.globl	_ZN7rocprim17ROCPRIM_400000_NS6detail17trampoline_kernelINS0_14default_configENS1_38merge_sort_block_merge_config_selectorIlNS0_10empty_typeEEEZZNS1_27merge_sort_block_merge_implIS3_PlPS5_mZN2at6native12_GLOBAL__N_124unique_dim_cuda_templateIN3c108BFloat16EEESt5tupleIJNSA_6TensorESH_SH_EERKSH_lbbbEUlllE_EE10hipError_tT0_T1_T2_jT3_P12ihipStream_tbPNSt15iterator_traitsISN_E10value_typeEPNST_ISO_E10value_typeEPSP_NS1_7vsmem_tEENKUlT_SN_SO_SP_E_clIS8_S8_S9_S9_EESM_S12_SN_SO_SP_EUlS12_E0_NS1_11comp_targetILNS1_3genE2ELNS1_11target_archE906ELNS1_3gpuE6ELNS1_3repE0EEENS1_38merge_mergepath_config_static_selectorELNS0_4arch9wavefront6targetE1EEEvSO_ ; -- Begin function _ZN7rocprim17ROCPRIM_400000_NS6detail17trampoline_kernelINS0_14default_configENS1_38merge_sort_block_merge_config_selectorIlNS0_10empty_typeEEEZZNS1_27merge_sort_block_merge_implIS3_PlPS5_mZN2at6native12_GLOBAL__N_124unique_dim_cuda_templateIN3c108BFloat16EEESt5tupleIJNSA_6TensorESH_SH_EERKSH_lbbbEUlllE_EE10hipError_tT0_T1_T2_jT3_P12ihipStream_tbPNSt15iterator_traitsISN_E10value_typeEPNST_ISO_E10value_typeEPSP_NS1_7vsmem_tEENKUlT_SN_SO_SP_E_clIS8_S8_S9_S9_EESM_S12_SN_SO_SP_EUlS12_E0_NS1_11comp_targetILNS1_3genE2ELNS1_11target_archE906ELNS1_3gpuE6ELNS1_3repE0EEENS1_38merge_mergepath_config_static_selectorELNS0_4arch9wavefront6targetE1EEEvSO_
	.p2align	8
	.type	_ZN7rocprim17ROCPRIM_400000_NS6detail17trampoline_kernelINS0_14default_configENS1_38merge_sort_block_merge_config_selectorIlNS0_10empty_typeEEEZZNS1_27merge_sort_block_merge_implIS3_PlPS5_mZN2at6native12_GLOBAL__N_124unique_dim_cuda_templateIN3c108BFloat16EEESt5tupleIJNSA_6TensorESH_SH_EERKSH_lbbbEUlllE_EE10hipError_tT0_T1_T2_jT3_P12ihipStream_tbPNSt15iterator_traitsISN_E10value_typeEPNST_ISO_E10value_typeEPSP_NS1_7vsmem_tEENKUlT_SN_SO_SP_E_clIS8_S8_S9_S9_EESM_S12_SN_SO_SP_EUlS12_E0_NS1_11comp_targetILNS1_3genE2ELNS1_11target_archE906ELNS1_3gpuE6ELNS1_3repE0EEENS1_38merge_mergepath_config_static_selectorELNS0_4arch9wavefront6targetE1EEEvSO_,@function
_ZN7rocprim17ROCPRIM_400000_NS6detail17trampoline_kernelINS0_14default_configENS1_38merge_sort_block_merge_config_selectorIlNS0_10empty_typeEEEZZNS1_27merge_sort_block_merge_implIS3_PlPS5_mZN2at6native12_GLOBAL__N_124unique_dim_cuda_templateIN3c108BFloat16EEESt5tupleIJNSA_6TensorESH_SH_EERKSH_lbbbEUlllE_EE10hipError_tT0_T1_T2_jT3_P12ihipStream_tbPNSt15iterator_traitsISN_E10value_typeEPNST_ISO_E10value_typeEPSP_NS1_7vsmem_tEENKUlT_SN_SO_SP_E_clIS8_S8_S9_S9_EESM_S12_SN_SO_SP_EUlS12_E0_NS1_11comp_targetILNS1_3genE2ELNS1_11target_archE906ELNS1_3gpuE6ELNS1_3repE0EEENS1_38merge_mergepath_config_static_selectorELNS0_4arch9wavefront6targetE1EEEvSO_: ; @_ZN7rocprim17ROCPRIM_400000_NS6detail17trampoline_kernelINS0_14default_configENS1_38merge_sort_block_merge_config_selectorIlNS0_10empty_typeEEEZZNS1_27merge_sort_block_merge_implIS3_PlPS5_mZN2at6native12_GLOBAL__N_124unique_dim_cuda_templateIN3c108BFloat16EEESt5tupleIJNSA_6TensorESH_SH_EERKSH_lbbbEUlllE_EE10hipError_tT0_T1_T2_jT3_P12ihipStream_tbPNSt15iterator_traitsISN_E10value_typeEPNST_ISO_E10value_typeEPSP_NS1_7vsmem_tEENKUlT_SN_SO_SP_E_clIS8_S8_S9_S9_EESM_S12_SN_SO_SP_EUlS12_E0_NS1_11comp_targetILNS1_3genE2ELNS1_11target_archE906ELNS1_3gpuE6ELNS1_3repE0EEENS1_38merge_mergepath_config_static_selectorELNS0_4arch9wavefront6targetE1EEEvSO_
; %bb.0:
	.section	.rodata,"a",@progbits
	.p2align	6, 0x0
	.amdhsa_kernel _ZN7rocprim17ROCPRIM_400000_NS6detail17trampoline_kernelINS0_14default_configENS1_38merge_sort_block_merge_config_selectorIlNS0_10empty_typeEEEZZNS1_27merge_sort_block_merge_implIS3_PlPS5_mZN2at6native12_GLOBAL__N_124unique_dim_cuda_templateIN3c108BFloat16EEESt5tupleIJNSA_6TensorESH_SH_EERKSH_lbbbEUlllE_EE10hipError_tT0_T1_T2_jT3_P12ihipStream_tbPNSt15iterator_traitsISN_E10value_typeEPNST_ISO_E10value_typeEPSP_NS1_7vsmem_tEENKUlT_SN_SO_SP_E_clIS8_S8_S9_S9_EESM_S12_SN_SO_SP_EUlS12_E0_NS1_11comp_targetILNS1_3genE2ELNS1_11target_archE906ELNS1_3gpuE6ELNS1_3repE0EEENS1_38merge_mergepath_config_static_selectorELNS0_4arch9wavefront6targetE1EEEvSO_
		.amdhsa_group_segment_fixed_size 0
		.amdhsa_private_segment_fixed_size 0
		.amdhsa_kernarg_size 88
		.amdhsa_user_sgpr_count 2
		.amdhsa_user_sgpr_dispatch_ptr 0
		.amdhsa_user_sgpr_queue_ptr 0
		.amdhsa_user_sgpr_kernarg_segment_ptr 1
		.amdhsa_user_sgpr_dispatch_id 0
		.amdhsa_user_sgpr_kernarg_preload_length 0
		.amdhsa_user_sgpr_kernarg_preload_offset 0
		.amdhsa_user_sgpr_private_segment_size 0
		.amdhsa_uses_dynamic_stack 0
		.amdhsa_enable_private_segment 0
		.amdhsa_system_sgpr_workgroup_id_x 1
		.amdhsa_system_sgpr_workgroup_id_y 0
		.amdhsa_system_sgpr_workgroup_id_z 0
		.amdhsa_system_sgpr_workgroup_info 0
		.amdhsa_system_vgpr_workitem_id 0
		.amdhsa_next_free_vgpr 1
		.amdhsa_next_free_sgpr 0
		.amdhsa_accum_offset 4
		.amdhsa_reserve_vcc 0
		.amdhsa_float_round_mode_32 0
		.amdhsa_float_round_mode_16_64 0
		.amdhsa_float_denorm_mode_32 3
		.amdhsa_float_denorm_mode_16_64 3
		.amdhsa_dx10_clamp 1
		.amdhsa_ieee_mode 1
		.amdhsa_fp16_overflow 0
		.amdhsa_tg_split 0
		.amdhsa_exception_fp_ieee_invalid_op 0
		.amdhsa_exception_fp_denorm_src 0
		.amdhsa_exception_fp_ieee_div_zero 0
		.amdhsa_exception_fp_ieee_overflow 0
		.amdhsa_exception_fp_ieee_underflow 0
		.amdhsa_exception_fp_ieee_inexact 0
		.amdhsa_exception_int_div_zero 0
	.end_amdhsa_kernel
	.section	.text._ZN7rocprim17ROCPRIM_400000_NS6detail17trampoline_kernelINS0_14default_configENS1_38merge_sort_block_merge_config_selectorIlNS0_10empty_typeEEEZZNS1_27merge_sort_block_merge_implIS3_PlPS5_mZN2at6native12_GLOBAL__N_124unique_dim_cuda_templateIN3c108BFloat16EEESt5tupleIJNSA_6TensorESH_SH_EERKSH_lbbbEUlllE_EE10hipError_tT0_T1_T2_jT3_P12ihipStream_tbPNSt15iterator_traitsISN_E10value_typeEPNST_ISO_E10value_typeEPSP_NS1_7vsmem_tEENKUlT_SN_SO_SP_E_clIS8_S8_S9_S9_EESM_S12_SN_SO_SP_EUlS12_E0_NS1_11comp_targetILNS1_3genE2ELNS1_11target_archE906ELNS1_3gpuE6ELNS1_3repE0EEENS1_38merge_mergepath_config_static_selectorELNS0_4arch9wavefront6targetE1EEEvSO_,"axG",@progbits,_ZN7rocprim17ROCPRIM_400000_NS6detail17trampoline_kernelINS0_14default_configENS1_38merge_sort_block_merge_config_selectorIlNS0_10empty_typeEEEZZNS1_27merge_sort_block_merge_implIS3_PlPS5_mZN2at6native12_GLOBAL__N_124unique_dim_cuda_templateIN3c108BFloat16EEESt5tupleIJNSA_6TensorESH_SH_EERKSH_lbbbEUlllE_EE10hipError_tT0_T1_T2_jT3_P12ihipStream_tbPNSt15iterator_traitsISN_E10value_typeEPNST_ISO_E10value_typeEPSP_NS1_7vsmem_tEENKUlT_SN_SO_SP_E_clIS8_S8_S9_S9_EESM_S12_SN_SO_SP_EUlS12_E0_NS1_11comp_targetILNS1_3genE2ELNS1_11target_archE906ELNS1_3gpuE6ELNS1_3repE0EEENS1_38merge_mergepath_config_static_selectorELNS0_4arch9wavefront6targetE1EEEvSO_,comdat
.Lfunc_end1146:
	.size	_ZN7rocprim17ROCPRIM_400000_NS6detail17trampoline_kernelINS0_14default_configENS1_38merge_sort_block_merge_config_selectorIlNS0_10empty_typeEEEZZNS1_27merge_sort_block_merge_implIS3_PlPS5_mZN2at6native12_GLOBAL__N_124unique_dim_cuda_templateIN3c108BFloat16EEESt5tupleIJNSA_6TensorESH_SH_EERKSH_lbbbEUlllE_EE10hipError_tT0_T1_T2_jT3_P12ihipStream_tbPNSt15iterator_traitsISN_E10value_typeEPNST_ISO_E10value_typeEPSP_NS1_7vsmem_tEENKUlT_SN_SO_SP_E_clIS8_S8_S9_S9_EESM_S12_SN_SO_SP_EUlS12_E0_NS1_11comp_targetILNS1_3genE2ELNS1_11target_archE906ELNS1_3gpuE6ELNS1_3repE0EEENS1_38merge_mergepath_config_static_selectorELNS0_4arch9wavefront6targetE1EEEvSO_, .Lfunc_end1146-_ZN7rocprim17ROCPRIM_400000_NS6detail17trampoline_kernelINS0_14default_configENS1_38merge_sort_block_merge_config_selectorIlNS0_10empty_typeEEEZZNS1_27merge_sort_block_merge_implIS3_PlPS5_mZN2at6native12_GLOBAL__N_124unique_dim_cuda_templateIN3c108BFloat16EEESt5tupleIJNSA_6TensorESH_SH_EERKSH_lbbbEUlllE_EE10hipError_tT0_T1_T2_jT3_P12ihipStream_tbPNSt15iterator_traitsISN_E10value_typeEPNST_ISO_E10value_typeEPSP_NS1_7vsmem_tEENKUlT_SN_SO_SP_E_clIS8_S8_S9_S9_EESM_S12_SN_SO_SP_EUlS12_E0_NS1_11comp_targetILNS1_3genE2ELNS1_11target_archE906ELNS1_3gpuE6ELNS1_3repE0EEENS1_38merge_mergepath_config_static_selectorELNS0_4arch9wavefront6targetE1EEEvSO_
                                        ; -- End function
	.section	.AMDGPU.csdata,"",@progbits
; Kernel info:
; codeLenInByte = 0
; NumSgprs: 6
; NumVgprs: 0
; NumAgprs: 0
; TotalNumVgprs: 0
; ScratchSize: 0
; MemoryBound: 0
; FloatMode: 240
; IeeeMode: 1
; LDSByteSize: 0 bytes/workgroup (compile time only)
; SGPRBlocks: 0
; VGPRBlocks: 0
; NumSGPRsForWavesPerEU: 6
; NumVGPRsForWavesPerEU: 1
; AccumOffset: 4
; Occupancy: 8
; WaveLimiterHint : 0
; COMPUTE_PGM_RSRC2:SCRATCH_EN: 0
; COMPUTE_PGM_RSRC2:USER_SGPR: 2
; COMPUTE_PGM_RSRC2:TRAP_HANDLER: 0
; COMPUTE_PGM_RSRC2:TGID_X_EN: 1
; COMPUTE_PGM_RSRC2:TGID_Y_EN: 0
; COMPUTE_PGM_RSRC2:TGID_Z_EN: 0
; COMPUTE_PGM_RSRC2:TIDIG_COMP_CNT: 0
; COMPUTE_PGM_RSRC3_GFX90A:ACCUM_OFFSET: 0
; COMPUTE_PGM_RSRC3_GFX90A:TG_SPLIT: 0
	.section	.text._ZN7rocprim17ROCPRIM_400000_NS6detail17trampoline_kernelINS0_14default_configENS1_38merge_sort_block_merge_config_selectorIlNS0_10empty_typeEEEZZNS1_27merge_sort_block_merge_implIS3_PlPS5_mZN2at6native12_GLOBAL__N_124unique_dim_cuda_templateIN3c108BFloat16EEESt5tupleIJNSA_6TensorESH_SH_EERKSH_lbbbEUlllE_EE10hipError_tT0_T1_T2_jT3_P12ihipStream_tbPNSt15iterator_traitsISN_E10value_typeEPNST_ISO_E10value_typeEPSP_NS1_7vsmem_tEENKUlT_SN_SO_SP_E_clIS8_S8_S9_S9_EESM_S12_SN_SO_SP_EUlS12_E0_NS1_11comp_targetILNS1_3genE9ELNS1_11target_archE1100ELNS1_3gpuE3ELNS1_3repE0EEENS1_38merge_mergepath_config_static_selectorELNS0_4arch9wavefront6targetE1EEEvSO_,"axG",@progbits,_ZN7rocprim17ROCPRIM_400000_NS6detail17trampoline_kernelINS0_14default_configENS1_38merge_sort_block_merge_config_selectorIlNS0_10empty_typeEEEZZNS1_27merge_sort_block_merge_implIS3_PlPS5_mZN2at6native12_GLOBAL__N_124unique_dim_cuda_templateIN3c108BFloat16EEESt5tupleIJNSA_6TensorESH_SH_EERKSH_lbbbEUlllE_EE10hipError_tT0_T1_T2_jT3_P12ihipStream_tbPNSt15iterator_traitsISN_E10value_typeEPNST_ISO_E10value_typeEPSP_NS1_7vsmem_tEENKUlT_SN_SO_SP_E_clIS8_S8_S9_S9_EESM_S12_SN_SO_SP_EUlS12_E0_NS1_11comp_targetILNS1_3genE9ELNS1_11target_archE1100ELNS1_3gpuE3ELNS1_3repE0EEENS1_38merge_mergepath_config_static_selectorELNS0_4arch9wavefront6targetE1EEEvSO_,comdat
	.globl	_ZN7rocprim17ROCPRIM_400000_NS6detail17trampoline_kernelINS0_14default_configENS1_38merge_sort_block_merge_config_selectorIlNS0_10empty_typeEEEZZNS1_27merge_sort_block_merge_implIS3_PlPS5_mZN2at6native12_GLOBAL__N_124unique_dim_cuda_templateIN3c108BFloat16EEESt5tupleIJNSA_6TensorESH_SH_EERKSH_lbbbEUlllE_EE10hipError_tT0_T1_T2_jT3_P12ihipStream_tbPNSt15iterator_traitsISN_E10value_typeEPNST_ISO_E10value_typeEPSP_NS1_7vsmem_tEENKUlT_SN_SO_SP_E_clIS8_S8_S9_S9_EESM_S12_SN_SO_SP_EUlS12_E0_NS1_11comp_targetILNS1_3genE9ELNS1_11target_archE1100ELNS1_3gpuE3ELNS1_3repE0EEENS1_38merge_mergepath_config_static_selectorELNS0_4arch9wavefront6targetE1EEEvSO_ ; -- Begin function _ZN7rocprim17ROCPRIM_400000_NS6detail17trampoline_kernelINS0_14default_configENS1_38merge_sort_block_merge_config_selectorIlNS0_10empty_typeEEEZZNS1_27merge_sort_block_merge_implIS3_PlPS5_mZN2at6native12_GLOBAL__N_124unique_dim_cuda_templateIN3c108BFloat16EEESt5tupleIJNSA_6TensorESH_SH_EERKSH_lbbbEUlllE_EE10hipError_tT0_T1_T2_jT3_P12ihipStream_tbPNSt15iterator_traitsISN_E10value_typeEPNST_ISO_E10value_typeEPSP_NS1_7vsmem_tEENKUlT_SN_SO_SP_E_clIS8_S8_S9_S9_EESM_S12_SN_SO_SP_EUlS12_E0_NS1_11comp_targetILNS1_3genE9ELNS1_11target_archE1100ELNS1_3gpuE3ELNS1_3repE0EEENS1_38merge_mergepath_config_static_selectorELNS0_4arch9wavefront6targetE1EEEvSO_
	.p2align	8
	.type	_ZN7rocprim17ROCPRIM_400000_NS6detail17trampoline_kernelINS0_14default_configENS1_38merge_sort_block_merge_config_selectorIlNS0_10empty_typeEEEZZNS1_27merge_sort_block_merge_implIS3_PlPS5_mZN2at6native12_GLOBAL__N_124unique_dim_cuda_templateIN3c108BFloat16EEESt5tupleIJNSA_6TensorESH_SH_EERKSH_lbbbEUlllE_EE10hipError_tT0_T1_T2_jT3_P12ihipStream_tbPNSt15iterator_traitsISN_E10value_typeEPNST_ISO_E10value_typeEPSP_NS1_7vsmem_tEENKUlT_SN_SO_SP_E_clIS8_S8_S9_S9_EESM_S12_SN_SO_SP_EUlS12_E0_NS1_11comp_targetILNS1_3genE9ELNS1_11target_archE1100ELNS1_3gpuE3ELNS1_3repE0EEENS1_38merge_mergepath_config_static_selectorELNS0_4arch9wavefront6targetE1EEEvSO_,@function
_ZN7rocprim17ROCPRIM_400000_NS6detail17trampoline_kernelINS0_14default_configENS1_38merge_sort_block_merge_config_selectorIlNS0_10empty_typeEEEZZNS1_27merge_sort_block_merge_implIS3_PlPS5_mZN2at6native12_GLOBAL__N_124unique_dim_cuda_templateIN3c108BFloat16EEESt5tupleIJNSA_6TensorESH_SH_EERKSH_lbbbEUlllE_EE10hipError_tT0_T1_T2_jT3_P12ihipStream_tbPNSt15iterator_traitsISN_E10value_typeEPNST_ISO_E10value_typeEPSP_NS1_7vsmem_tEENKUlT_SN_SO_SP_E_clIS8_S8_S9_S9_EESM_S12_SN_SO_SP_EUlS12_E0_NS1_11comp_targetILNS1_3genE9ELNS1_11target_archE1100ELNS1_3gpuE3ELNS1_3repE0EEENS1_38merge_mergepath_config_static_selectorELNS0_4arch9wavefront6targetE1EEEvSO_: ; @_ZN7rocprim17ROCPRIM_400000_NS6detail17trampoline_kernelINS0_14default_configENS1_38merge_sort_block_merge_config_selectorIlNS0_10empty_typeEEEZZNS1_27merge_sort_block_merge_implIS3_PlPS5_mZN2at6native12_GLOBAL__N_124unique_dim_cuda_templateIN3c108BFloat16EEESt5tupleIJNSA_6TensorESH_SH_EERKSH_lbbbEUlllE_EE10hipError_tT0_T1_T2_jT3_P12ihipStream_tbPNSt15iterator_traitsISN_E10value_typeEPNST_ISO_E10value_typeEPSP_NS1_7vsmem_tEENKUlT_SN_SO_SP_E_clIS8_S8_S9_S9_EESM_S12_SN_SO_SP_EUlS12_E0_NS1_11comp_targetILNS1_3genE9ELNS1_11target_archE1100ELNS1_3gpuE3ELNS1_3repE0EEENS1_38merge_mergepath_config_static_selectorELNS0_4arch9wavefront6targetE1EEEvSO_
; %bb.0:
	.section	.rodata,"a",@progbits
	.p2align	6, 0x0
	.amdhsa_kernel _ZN7rocprim17ROCPRIM_400000_NS6detail17trampoline_kernelINS0_14default_configENS1_38merge_sort_block_merge_config_selectorIlNS0_10empty_typeEEEZZNS1_27merge_sort_block_merge_implIS3_PlPS5_mZN2at6native12_GLOBAL__N_124unique_dim_cuda_templateIN3c108BFloat16EEESt5tupleIJNSA_6TensorESH_SH_EERKSH_lbbbEUlllE_EE10hipError_tT0_T1_T2_jT3_P12ihipStream_tbPNSt15iterator_traitsISN_E10value_typeEPNST_ISO_E10value_typeEPSP_NS1_7vsmem_tEENKUlT_SN_SO_SP_E_clIS8_S8_S9_S9_EESM_S12_SN_SO_SP_EUlS12_E0_NS1_11comp_targetILNS1_3genE9ELNS1_11target_archE1100ELNS1_3gpuE3ELNS1_3repE0EEENS1_38merge_mergepath_config_static_selectorELNS0_4arch9wavefront6targetE1EEEvSO_
		.amdhsa_group_segment_fixed_size 0
		.amdhsa_private_segment_fixed_size 0
		.amdhsa_kernarg_size 88
		.amdhsa_user_sgpr_count 2
		.amdhsa_user_sgpr_dispatch_ptr 0
		.amdhsa_user_sgpr_queue_ptr 0
		.amdhsa_user_sgpr_kernarg_segment_ptr 1
		.amdhsa_user_sgpr_dispatch_id 0
		.amdhsa_user_sgpr_kernarg_preload_length 0
		.amdhsa_user_sgpr_kernarg_preload_offset 0
		.amdhsa_user_sgpr_private_segment_size 0
		.amdhsa_uses_dynamic_stack 0
		.amdhsa_enable_private_segment 0
		.amdhsa_system_sgpr_workgroup_id_x 1
		.amdhsa_system_sgpr_workgroup_id_y 0
		.amdhsa_system_sgpr_workgroup_id_z 0
		.amdhsa_system_sgpr_workgroup_info 0
		.amdhsa_system_vgpr_workitem_id 0
		.amdhsa_next_free_vgpr 1
		.amdhsa_next_free_sgpr 0
		.amdhsa_accum_offset 4
		.amdhsa_reserve_vcc 0
		.amdhsa_float_round_mode_32 0
		.amdhsa_float_round_mode_16_64 0
		.amdhsa_float_denorm_mode_32 3
		.amdhsa_float_denorm_mode_16_64 3
		.amdhsa_dx10_clamp 1
		.amdhsa_ieee_mode 1
		.amdhsa_fp16_overflow 0
		.amdhsa_tg_split 0
		.amdhsa_exception_fp_ieee_invalid_op 0
		.amdhsa_exception_fp_denorm_src 0
		.amdhsa_exception_fp_ieee_div_zero 0
		.amdhsa_exception_fp_ieee_overflow 0
		.amdhsa_exception_fp_ieee_underflow 0
		.amdhsa_exception_fp_ieee_inexact 0
		.amdhsa_exception_int_div_zero 0
	.end_amdhsa_kernel
	.section	.text._ZN7rocprim17ROCPRIM_400000_NS6detail17trampoline_kernelINS0_14default_configENS1_38merge_sort_block_merge_config_selectorIlNS0_10empty_typeEEEZZNS1_27merge_sort_block_merge_implIS3_PlPS5_mZN2at6native12_GLOBAL__N_124unique_dim_cuda_templateIN3c108BFloat16EEESt5tupleIJNSA_6TensorESH_SH_EERKSH_lbbbEUlllE_EE10hipError_tT0_T1_T2_jT3_P12ihipStream_tbPNSt15iterator_traitsISN_E10value_typeEPNST_ISO_E10value_typeEPSP_NS1_7vsmem_tEENKUlT_SN_SO_SP_E_clIS8_S8_S9_S9_EESM_S12_SN_SO_SP_EUlS12_E0_NS1_11comp_targetILNS1_3genE9ELNS1_11target_archE1100ELNS1_3gpuE3ELNS1_3repE0EEENS1_38merge_mergepath_config_static_selectorELNS0_4arch9wavefront6targetE1EEEvSO_,"axG",@progbits,_ZN7rocprim17ROCPRIM_400000_NS6detail17trampoline_kernelINS0_14default_configENS1_38merge_sort_block_merge_config_selectorIlNS0_10empty_typeEEEZZNS1_27merge_sort_block_merge_implIS3_PlPS5_mZN2at6native12_GLOBAL__N_124unique_dim_cuda_templateIN3c108BFloat16EEESt5tupleIJNSA_6TensorESH_SH_EERKSH_lbbbEUlllE_EE10hipError_tT0_T1_T2_jT3_P12ihipStream_tbPNSt15iterator_traitsISN_E10value_typeEPNST_ISO_E10value_typeEPSP_NS1_7vsmem_tEENKUlT_SN_SO_SP_E_clIS8_S8_S9_S9_EESM_S12_SN_SO_SP_EUlS12_E0_NS1_11comp_targetILNS1_3genE9ELNS1_11target_archE1100ELNS1_3gpuE3ELNS1_3repE0EEENS1_38merge_mergepath_config_static_selectorELNS0_4arch9wavefront6targetE1EEEvSO_,comdat
.Lfunc_end1147:
	.size	_ZN7rocprim17ROCPRIM_400000_NS6detail17trampoline_kernelINS0_14default_configENS1_38merge_sort_block_merge_config_selectorIlNS0_10empty_typeEEEZZNS1_27merge_sort_block_merge_implIS3_PlPS5_mZN2at6native12_GLOBAL__N_124unique_dim_cuda_templateIN3c108BFloat16EEESt5tupleIJNSA_6TensorESH_SH_EERKSH_lbbbEUlllE_EE10hipError_tT0_T1_T2_jT3_P12ihipStream_tbPNSt15iterator_traitsISN_E10value_typeEPNST_ISO_E10value_typeEPSP_NS1_7vsmem_tEENKUlT_SN_SO_SP_E_clIS8_S8_S9_S9_EESM_S12_SN_SO_SP_EUlS12_E0_NS1_11comp_targetILNS1_3genE9ELNS1_11target_archE1100ELNS1_3gpuE3ELNS1_3repE0EEENS1_38merge_mergepath_config_static_selectorELNS0_4arch9wavefront6targetE1EEEvSO_, .Lfunc_end1147-_ZN7rocprim17ROCPRIM_400000_NS6detail17trampoline_kernelINS0_14default_configENS1_38merge_sort_block_merge_config_selectorIlNS0_10empty_typeEEEZZNS1_27merge_sort_block_merge_implIS3_PlPS5_mZN2at6native12_GLOBAL__N_124unique_dim_cuda_templateIN3c108BFloat16EEESt5tupleIJNSA_6TensorESH_SH_EERKSH_lbbbEUlllE_EE10hipError_tT0_T1_T2_jT3_P12ihipStream_tbPNSt15iterator_traitsISN_E10value_typeEPNST_ISO_E10value_typeEPSP_NS1_7vsmem_tEENKUlT_SN_SO_SP_E_clIS8_S8_S9_S9_EESM_S12_SN_SO_SP_EUlS12_E0_NS1_11comp_targetILNS1_3genE9ELNS1_11target_archE1100ELNS1_3gpuE3ELNS1_3repE0EEENS1_38merge_mergepath_config_static_selectorELNS0_4arch9wavefront6targetE1EEEvSO_
                                        ; -- End function
	.section	.AMDGPU.csdata,"",@progbits
; Kernel info:
; codeLenInByte = 0
; NumSgprs: 6
; NumVgprs: 0
; NumAgprs: 0
; TotalNumVgprs: 0
; ScratchSize: 0
; MemoryBound: 0
; FloatMode: 240
; IeeeMode: 1
; LDSByteSize: 0 bytes/workgroup (compile time only)
; SGPRBlocks: 0
; VGPRBlocks: 0
; NumSGPRsForWavesPerEU: 6
; NumVGPRsForWavesPerEU: 1
; AccumOffset: 4
; Occupancy: 8
; WaveLimiterHint : 0
; COMPUTE_PGM_RSRC2:SCRATCH_EN: 0
; COMPUTE_PGM_RSRC2:USER_SGPR: 2
; COMPUTE_PGM_RSRC2:TRAP_HANDLER: 0
; COMPUTE_PGM_RSRC2:TGID_X_EN: 1
; COMPUTE_PGM_RSRC2:TGID_Y_EN: 0
; COMPUTE_PGM_RSRC2:TGID_Z_EN: 0
; COMPUTE_PGM_RSRC2:TIDIG_COMP_CNT: 0
; COMPUTE_PGM_RSRC3_GFX90A:ACCUM_OFFSET: 0
; COMPUTE_PGM_RSRC3_GFX90A:TG_SPLIT: 0
	.section	.text._ZN7rocprim17ROCPRIM_400000_NS6detail17trampoline_kernelINS0_14default_configENS1_38merge_sort_block_merge_config_selectorIlNS0_10empty_typeEEEZZNS1_27merge_sort_block_merge_implIS3_PlPS5_mZN2at6native12_GLOBAL__N_124unique_dim_cuda_templateIN3c108BFloat16EEESt5tupleIJNSA_6TensorESH_SH_EERKSH_lbbbEUlllE_EE10hipError_tT0_T1_T2_jT3_P12ihipStream_tbPNSt15iterator_traitsISN_E10value_typeEPNST_ISO_E10value_typeEPSP_NS1_7vsmem_tEENKUlT_SN_SO_SP_E_clIS8_S8_S9_S9_EESM_S12_SN_SO_SP_EUlS12_E0_NS1_11comp_targetILNS1_3genE8ELNS1_11target_archE1030ELNS1_3gpuE2ELNS1_3repE0EEENS1_38merge_mergepath_config_static_selectorELNS0_4arch9wavefront6targetE1EEEvSO_,"axG",@progbits,_ZN7rocprim17ROCPRIM_400000_NS6detail17trampoline_kernelINS0_14default_configENS1_38merge_sort_block_merge_config_selectorIlNS0_10empty_typeEEEZZNS1_27merge_sort_block_merge_implIS3_PlPS5_mZN2at6native12_GLOBAL__N_124unique_dim_cuda_templateIN3c108BFloat16EEESt5tupleIJNSA_6TensorESH_SH_EERKSH_lbbbEUlllE_EE10hipError_tT0_T1_T2_jT3_P12ihipStream_tbPNSt15iterator_traitsISN_E10value_typeEPNST_ISO_E10value_typeEPSP_NS1_7vsmem_tEENKUlT_SN_SO_SP_E_clIS8_S8_S9_S9_EESM_S12_SN_SO_SP_EUlS12_E0_NS1_11comp_targetILNS1_3genE8ELNS1_11target_archE1030ELNS1_3gpuE2ELNS1_3repE0EEENS1_38merge_mergepath_config_static_selectorELNS0_4arch9wavefront6targetE1EEEvSO_,comdat
	.globl	_ZN7rocprim17ROCPRIM_400000_NS6detail17trampoline_kernelINS0_14default_configENS1_38merge_sort_block_merge_config_selectorIlNS0_10empty_typeEEEZZNS1_27merge_sort_block_merge_implIS3_PlPS5_mZN2at6native12_GLOBAL__N_124unique_dim_cuda_templateIN3c108BFloat16EEESt5tupleIJNSA_6TensorESH_SH_EERKSH_lbbbEUlllE_EE10hipError_tT0_T1_T2_jT3_P12ihipStream_tbPNSt15iterator_traitsISN_E10value_typeEPNST_ISO_E10value_typeEPSP_NS1_7vsmem_tEENKUlT_SN_SO_SP_E_clIS8_S8_S9_S9_EESM_S12_SN_SO_SP_EUlS12_E0_NS1_11comp_targetILNS1_3genE8ELNS1_11target_archE1030ELNS1_3gpuE2ELNS1_3repE0EEENS1_38merge_mergepath_config_static_selectorELNS0_4arch9wavefront6targetE1EEEvSO_ ; -- Begin function _ZN7rocprim17ROCPRIM_400000_NS6detail17trampoline_kernelINS0_14default_configENS1_38merge_sort_block_merge_config_selectorIlNS0_10empty_typeEEEZZNS1_27merge_sort_block_merge_implIS3_PlPS5_mZN2at6native12_GLOBAL__N_124unique_dim_cuda_templateIN3c108BFloat16EEESt5tupleIJNSA_6TensorESH_SH_EERKSH_lbbbEUlllE_EE10hipError_tT0_T1_T2_jT3_P12ihipStream_tbPNSt15iterator_traitsISN_E10value_typeEPNST_ISO_E10value_typeEPSP_NS1_7vsmem_tEENKUlT_SN_SO_SP_E_clIS8_S8_S9_S9_EESM_S12_SN_SO_SP_EUlS12_E0_NS1_11comp_targetILNS1_3genE8ELNS1_11target_archE1030ELNS1_3gpuE2ELNS1_3repE0EEENS1_38merge_mergepath_config_static_selectorELNS0_4arch9wavefront6targetE1EEEvSO_
	.p2align	8
	.type	_ZN7rocprim17ROCPRIM_400000_NS6detail17trampoline_kernelINS0_14default_configENS1_38merge_sort_block_merge_config_selectorIlNS0_10empty_typeEEEZZNS1_27merge_sort_block_merge_implIS3_PlPS5_mZN2at6native12_GLOBAL__N_124unique_dim_cuda_templateIN3c108BFloat16EEESt5tupleIJNSA_6TensorESH_SH_EERKSH_lbbbEUlllE_EE10hipError_tT0_T1_T2_jT3_P12ihipStream_tbPNSt15iterator_traitsISN_E10value_typeEPNST_ISO_E10value_typeEPSP_NS1_7vsmem_tEENKUlT_SN_SO_SP_E_clIS8_S8_S9_S9_EESM_S12_SN_SO_SP_EUlS12_E0_NS1_11comp_targetILNS1_3genE8ELNS1_11target_archE1030ELNS1_3gpuE2ELNS1_3repE0EEENS1_38merge_mergepath_config_static_selectorELNS0_4arch9wavefront6targetE1EEEvSO_,@function
_ZN7rocprim17ROCPRIM_400000_NS6detail17trampoline_kernelINS0_14default_configENS1_38merge_sort_block_merge_config_selectorIlNS0_10empty_typeEEEZZNS1_27merge_sort_block_merge_implIS3_PlPS5_mZN2at6native12_GLOBAL__N_124unique_dim_cuda_templateIN3c108BFloat16EEESt5tupleIJNSA_6TensorESH_SH_EERKSH_lbbbEUlllE_EE10hipError_tT0_T1_T2_jT3_P12ihipStream_tbPNSt15iterator_traitsISN_E10value_typeEPNST_ISO_E10value_typeEPSP_NS1_7vsmem_tEENKUlT_SN_SO_SP_E_clIS8_S8_S9_S9_EESM_S12_SN_SO_SP_EUlS12_E0_NS1_11comp_targetILNS1_3genE8ELNS1_11target_archE1030ELNS1_3gpuE2ELNS1_3repE0EEENS1_38merge_mergepath_config_static_selectorELNS0_4arch9wavefront6targetE1EEEvSO_: ; @_ZN7rocprim17ROCPRIM_400000_NS6detail17trampoline_kernelINS0_14default_configENS1_38merge_sort_block_merge_config_selectorIlNS0_10empty_typeEEEZZNS1_27merge_sort_block_merge_implIS3_PlPS5_mZN2at6native12_GLOBAL__N_124unique_dim_cuda_templateIN3c108BFloat16EEESt5tupleIJNSA_6TensorESH_SH_EERKSH_lbbbEUlllE_EE10hipError_tT0_T1_T2_jT3_P12ihipStream_tbPNSt15iterator_traitsISN_E10value_typeEPNST_ISO_E10value_typeEPSP_NS1_7vsmem_tEENKUlT_SN_SO_SP_E_clIS8_S8_S9_S9_EESM_S12_SN_SO_SP_EUlS12_E0_NS1_11comp_targetILNS1_3genE8ELNS1_11target_archE1030ELNS1_3gpuE2ELNS1_3repE0EEENS1_38merge_mergepath_config_static_selectorELNS0_4arch9wavefront6targetE1EEEvSO_
; %bb.0:
	.section	.rodata,"a",@progbits
	.p2align	6, 0x0
	.amdhsa_kernel _ZN7rocprim17ROCPRIM_400000_NS6detail17trampoline_kernelINS0_14default_configENS1_38merge_sort_block_merge_config_selectorIlNS0_10empty_typeEEEZZNS1_27merge_sort_block_merge_implIS3_PlPS5_mZN2at6native12_GLOBAL__N_124unique_dim_cuda_templateIN3c108BFloat16EEESt5tupleIJNSA_6TensorESH_SH_EERKSH_lbbbEUlllE_EE10hipError_tT0_T1_T2_jT3_P12ihipStream_tbPNSt15iterator_traitsISN_E10value_typeEPNST_ISO_E10value_typeEPSP_NS1_7vsmem_tEENKUlT_SN_SO_SP_E_clIS8_S8_S9_S9_EESM_S12_SN_SO_SP_EUlS12_E0_NS1_11comp_targetILNS1_3genE8ELNS1_11target_archE1030ELNS1_3gpuE2ELNS1_3repE0EEENS1_38merge_mergepath_config_static_selectorELNS0_4arch9wavefront6targetE1EEEvSO_
		.amdhsa_group_segment_fixed_size 0
		.amdhsa_private_segment_fixed_size 0
		.amdhsa_kernarg_size 88
		.amdhsa_user_sgpr_count 2
		.amdhsa_user_sgpr_dispatch_ptr 0
		.amdhsa_user_sgpr_queue_ptr 0
		.amdhsa_user_sgpr_kernarg_segment_ptr 1
		.amdhsa_user_sgpr_dispatch_id 0
		.amdhsa_user_sgpr_kernarg_preload_length 0
		.amdhsa_user_sgpr_kernarg_preload_offset 0
		.amdhsa_user_sgpr_private_segment_size 0
		.amdhsa_uses_dynamic_stack 0
		.amdhsa_enable_private_segment 0
		.amdhsa_system_sgpr_workgroup_id_x 1
		.amdhsa_system_sgpr_workgroup_id_y 0
		.amdhsa_system_sgpr_workgroup_id_z 0
		.amdhsa_system_sgpr_workgroup_info 0
		.amdhsa_system_vgpr_workitem_id 0
		.amdhsa_next_free_vgpr 1
		.amdhsa_next_free_sgpr 0
		.amdhsa_accum_offset 4
		.amdhsa_reserve_vcc 0
		.amdhsa_float_round_mode_32 0
		.amdhsa_float_round_mode_16_64 0
		.amdhsa_float_denorm_mode_32 3
		.amdhsa_float_denorm_mode_16_64 3
		.amdhsa_dx10_clamp 1
		.amdhsa_ieee_mode 1
		.amdhsa_fp16_overflow 0
		.amdhsa_tg_split 0
		.amdhsa_exception_fp_ieee_invalid_op 0
		.amdhsa_exception_fp_denorm_src 0
		.amdhsa_exception_fp_ieee_div_zero 0
		.amdhsa_exception_fp_ieee_overflow 0
		.amdhsa_exception_fp_ieee_underflow 0
		.amdhsa_exception_fp_ieee_inexact 0
		.amdhsa_exception_int_div_zero 0
	.end_amdhsa_kernel
	.section	.text._ZN7rocprim17ROCPRIM_400000_NS6detail17trampoline_kernelINS0_14default_configENS1_38merge_sort_block_merge_config_selectorIlNS0_10empty_typeEEEZZNS1_27merge_sort_block_merge_implIS3_PlPS5_mZN2at6native12_GLOBAL__N_124unique_dim_cuda_templateIN3c108BFloat16EEESt5tupleIJNSA_6TensorESH_SH_EERKSH_lbbbEUlllE_EE10hipError_tT0_T1_T2_jT3_P12ihipStream_tbPNSt15iterator_traitsISN_E10value_typeEPNST_ISO_E10value_typeEPSP_NS1_7vsmem_tEENKUlT_SN_SO_SP_E_clIS8_S8_S9_S9_EESM_S12_SN_SO_SP_EUlS12_E0_NS1_11comp_targetILNS1_3genE8ELNS1_11target_archE1030ELNS1_3gpuE2ELNS1_3repE0EEENS1_38merge_mergepath_config_static_selectorELNS0_4arch9wavefront6targetE1EEEvSO_,"axG",@progbits,_ZN7rocprim17ROCPRIM_400000_NS6detail17trampoline_kernelINS0_14default_configENS1_38merge_sort_block_merge_config_selectorIlNS0_10empty_typeEEEZZNS1_27merge_sort_block_merge_implIS3_PlPS5_mZN2at6native12_GLOBAL__N_124unique_dim_cuda_templateIN3c108BFloat16EEESt5tupleIJNSA_6TensorESH_SH_EERKSH_lbbbEUlllE_EE10hipError_tT0_T1_T2_jT3_P12ihipStream_tbPNSt15iterator_traitsISN_E10value_typeEPNST_ISO_E10value_typeEPSP_NS1_7vsmem_tEENKUlT_SN_SO_SP_E_clIS8_S8_S9_S9_EESM_S12_SN_SO_SP_EUlS12_E0_NS1_11comp_targetILNS1_3genE8ELNS1_11target_archE1030ELNS1_3gpuE2ELNS1_3repE0EEENS1_38merge_mergepath_config_static_selectorELNS0_4arch9wavefront6targetE1EEEvSO_,comdat
.Lfunc_end1148:
	.size	_ZN7rocprim17ROCPRIM_400000_NS6detail17trampoline_kernelINS0_14default_configENS1_38merge_sort_block_merge_config_selectorIlNS0_10empty_typeEEEZZNS1_27merge_sort_block_merge_implIS3_PlPS5_mZN2at6native12_GLOBAL__N_124unique_dim_cuda_templateIN3c108BFloat16EEESt5tupleIJNSA_6TensorESH_SH_EERKSH_lbbbEUlllE_EE10hipError_tT0_T1_T2_jT3_P12ihipStream_tbPNSt15iterator_traitsISN_E10value_typeEPNST_ISO_E10value_typeEPSP_NS1_7vsmem_tEENKUlT_SN_SO_SP_E_clIS8_S8_S9_S9_EESM_S12_SN_SO_SP_EUlS12_E0_NS1_11comp_targetILNS1_3genE8ELNS1_11target_archE1030ELNS1_3gpuE2ELNS1_3repE0EEENS1_38merge_mergepath_config_static_selectorELNS0_4arch9wavefront6targetE1EEEvSO_, .Lfunc_end1148-_ZN7rocprim17ROCPRIM_400000_NS6detail17trampoline_kernelINS0_14default_configENS1_38merge_sort_block_merge_config_selectorIlNS0_10empty_typeEEEZZNS1_27merge_sort_block_merge_implIS3_PlPS5_mZN2at6native12_GLOBAL__N_124unique_dim_cuda_templateIN3c108BFloat16EEESt5tupleIJNSA_6TensorESH_SH_EERKSH_lbbbEUlllE_EE10hipError_tT0_T1_T2_jT3_P12ihipStream_tbPNSt15iterator_traitsISN_E10value_typeEPNST_ISO_E10value_typeEPSP_NS1_7vsmem_tEENKUlT_SN_SO_SP_E_clIS8_S8_S9_S9_EESM_S12_SN_SO_SP_EUlS12_E0_NS1_11comp_targetILNS1_3genE8ELNS1_11target_archE1030ELNS1_3gpuE2ELNS1_3repE0EEENS1_38merge_mergepath_config_static_selectorELNS0_4arch9wavefront6targetE1EEEvSO_
                                        ; -- End function
	.section	.AMDGPU.csdata,"",@progbits
; Kernel info:
; codeLenInByte = 0
; NumSgprs: 6
; NumVgprs: 0
; NumAgprs: 0
; TotalNumVgprs: 0
; ScratchSize: 0
; MemoryBound: 0
; FloatMode: 240
; IeeeMode: 1
; LDSByteSize: 0 bytes/workgroup (compile time only)
; SGPRBlocks: 0
; VGPRBlocks: 0
; NumSGPRsForWavesPerEU: 6
; NumVGPRsForWavesPerEU: 1
; AccumOffset: 4
; Occupancy: 8
; WaveLimiterHint : 0
; COMPUTE_PGM_RSRC2:SCRATCH_EN: 0
; COMPUTE_PGM_RSRC2:USER_SGPR: 2
; COMPUTE_PGM_RSRC2:TRAP_HANDLER: 0
; COMPUTE_PGM_RSRC2:TGID_X_EN: 1
; COMPUTE_PGM_RSRC2:TGID_Y_EN: 0
; COMPUTE_PGM_RSRC2:TGID_Z_EN: 0
; COMPUTE_PGM_RSRC2:TIDIG_COMP_CNT: 0
; COMPUTE_PGM_RSRC3_GFX90A:ACCUM_OFFSET: 0
; COMPUTE_PGM_RSRC3_GFX90A:TG_SPLIT: 0
	.section	.text._ZN7rocprim17ROCPRIM_400000_NS6detail17trampoline_kernelINS0_14default_configENS1_38merge_sort_block_merge_config_selectorIlNS0_10empty_typeEEEZZNS1_27merge_sort_block_merge_implIS3_PlPS5_mZN2at6native12_GLOBAL__N_124unique_dim_cuda_templateIN3c108BFloat16EEESt5tupleIJNSA_6TensorESH_SH_EERKSH_lbbbEUlllE_EE10hipError_tT0_T1_T2_jT3_P12ihipStream_tbPNSt15iterator_traitsISN_E10value_typeEPNST_ISO_E10value_typeEPSP_NS1_7vsmem_tEENKUlT_SN_SO_SP_E_clIS8_S8_S9_S9_EESM_S12_SN_SO_SP_EUlS12_E1_NS1_11comp_targetILNS1_3genE0ELNS1_11target_archE4294967295ELNS1_3gpuE0ELNS1_3repE0EEENS1_36merge_oddeven_config_static_selectorELNS0_4arch9wavefront6targetE1EEEvSO_,"axG",@progbits,_ZN7rocprim17ROCPRIM_400000_NS6detail17trampoline_kernelINS0_14default_configENS1_38merge_sort_block_merge_config_selectorIlNS0_10empty_typeEEEZZNS1_27merge_sort_block_merge_implIS3_PlPS5_mZN2at6native12_GLOBAL__N_124unique_dim_cuda_templateIN3c108BFloat16EEESt5tupleIJNSA_6TensorESH_SH_EERKSH_lbbbEUlllE_EE10hipError_tT0_T1_T2_jT3_P12ihipStream_tbPNSt15iterator_traitsISN_E10value_typeEPNST_ISO_E10value_typeEPSP_NS1_7vsmem_tEENKUlT_SN_SO_SP_E_clIS8_S8_S9_S9_EESM_S12_SN_SO_SP_EUlS12_E1_NS1_11comp_targetILNS1_3genE0ELNS1_11target_archE4294967295ELNS1_3gpuE0ELNS1_3repE0EEENS1_36merge_oddeven_config_static_selectorELNS0_4arch9wavefront6targetE1EEEvSO_,comdat
	.globl	_ZN7rocprim17ROCPRIM_400000_NS6detail17trampoline_kernelINS0_14default_configENS1_38merge_sort_block_merge_config_selectorIlNS0_10empty_typeEEEZZNS1_27merge_sort_block_merge_implIS3_PlPS5_mZN2at6native12_GLOBAL__N_124unique_dim_cuda_templateIN3c108BFloat16EEESt5tupleIJNSA_6TensorESH_SH_EERKSH_lbbbEUlllE_EE10hipError_tT0_T1_T2_jT3_P12ihipStream_tbPNSt15iterator_traitsISN_E10value_typeEPNST_ISO_E10value_typeEPSP_NS1_7vsmem_tEENKUlT_SN_SO_SP_E_clIS8_S8_S9_S9_EESM_S12_SN_SO_SP_EUlS12_E1_NS1_11comp_targetILNS1_3genE0ELNS1_11target_archE4294967295ELNS1_3gpuE0ELNS1_3repE0EEENS1_36merge_oddeven_config_static_selectorELNS0_4arch9wavefront6targetE1EEEvSO_ ; -- Begin function _ZN7rocprim17ROCPRIM_400000_NS6detail17trampoline_kernelINS0_14default_configENS1_38merge_sort_block_merge_config_selectorIlNS0_10empty_typeEEEZZNS1_27merge_sort_block_merge_implIS3_PlPS5_mZN2at6native12_GLOBAL__N_124unique_dim_cuda_templateIN3c108BFloat16EEESt5tupleIJNSA_6TensorESH_SH_EERKSH_lbbbEUlllE_EE10hipError_tT0_T1_T2_jT3_P12ihipStream_tbPNSt15iterator_traitsISN_E10value_typeEPNST_ISO_E10value_typeEPSP_NS1_7vsmem_tEENKUlT_SN_SO_SP_E_clIS8_S8_S9_S9_EESM_S12_SN_SO_SP_EUlS12_E1_NS1_11comp_targetILNS1_3genE0ELNS1_11target_archE4294967295ELNS1_3gpuE0ELNS1_3repE0EEENS1_36merge_oddeven_config_static_selectorELNS0_4arch9wavefront6targetE1EEEvSO_
	.p2align	8
	.type	_ZN7rocprim17ROCPRIM_400000_NS6detail17trampoline_kernelINS0_14default_configENS1_38merge_sort_block_merge_config_selectorIlNS0_10empty_typeEEEZZNS1_27merge_sort_block_merge_implIS3_PlPS5_mZN2at6native12_GLOBAL__N_124unique_dim_cuda_templateIN3c108BFloat16EEESt5tupleIJNSA_6TensorESH_SH_EERKSH_lbbbEUlllE_EE10hipError_tT0_T1_T2_jT3_P12ihipStream_tbPNSt15iterator_traitsISN_E10value_typeEPNST_ISO_E10value_typeEPSP_NS1_7vsmem_tEENKUlT_SN_SO_SP_E_clIS8_S8_S9_S9_EESM_S12_SN_SO_SP_EUlS12_E1_NS1_11comp_targetILNS1_3genE0ELNS1_11target_archE4294967295ELNS1_3gpuE0ELNS1_3repE0EEENS1_36merge_oddeven_config_static_selectorELNS0_4arch9wavefront6targetE1EEEvSO_,@function
_ZN7rocprim17ROCPRIM_400000_NS6detail17trampoline_kernelINS0_14default_configENS1_38merge_sort_block_merge_config_selectorIlNS0_10empty_typeEEEZZNS1_27merge_sort_block_merge_implIS3_PlPS5_mZN2at6native12_GLOBAL__N_124unique_dim_cuda_templateIN3c108BFloat16EEESt5tupleIJNSA_6TensorESH_SH_EERKSH_lbbbEUlllE_EE10hipError_tT0_T1_T2_jT3_P12ihipStream_tbPNSt15iterator_traitsISN_E10value_typeEPNST_ISO_E10value_typeEPSP_NS1_7vsmem_tEENKUlT_SN_SO_SP_E_clIS8_S8_S9_S9_EESM_S12_SN_SO_SP_EUlS12_E1_NS1_11comp_targetILNS1_3genE0ELNS1_11target_archE4294967295ELNS1_3gpuE0ELNS1_3repE0EEENS1_36merge_oddeven_config_static_selectorELNS0_4arch9wavefront6targetE1EEEvSO_: ; @_ZN7rocprim17ROCPRIM_400000_NS6detail17trampoline_kernelINS0_14default_configENS1_38merge_sort_block_merge_config_selectorIlNS0_10empty_typeEEEZZNS1_27merge_sort_block_merge_implIS3_PlPS5_mZN2at6native12_GLOBAL__N_124unique_dim_cuda_templateIN3c108BFloat16EEESt5tupleIJNSA_6TensorESH_SH_EERKSH_lbbbEUlllE_EE10hipError_tT0_T1_T2_jT3_P12ihipStream_tbPNSt15iterator_traitsISN_E10value_typeEPNST_ISO_E10value_typeEPSP_NS1_7vsmem_tEENKUlT_SN_SO_SP_E_clIS8_S8_S9_S9_EESM_S12_SN_SO_SP_EUlS12_E1_NS1_11comp_targetILNS1_3genE0ELNS1_11target_archE4294967295ELNS1_3gpuE0ELNS1_3repE0EEENS1_36merge_oddeven_config_static_selectorELNS0_4arch9wavefront6targetE1EEEvSO_
; %bb.0:
	.section	.rodata,"a",@progbits
	.p2align	6, 0x0
	.amdhsa_kernel _ZN7rocprim17ROCPRIM_400000_NS6detail17trampoline_kernelINS0_14default_configENS1_38merge_sort_block_merge_config_selectorIlNS0_10empty_typeEEEZZNS1_27merge_sort_block_merge_implIS3_PlPS5_mZN2at6native12_GLOBAL__N_124unique_dim_cuda_templateIN3c108BFloat16EEESt5tupleIJNSA_6TensorESH_SH_EERKSH_lbbbEUlllE_EE10hipError_tT0_T1_T2_jT3_P12ihipStream_tbPNSt15iterator_traitsISN_E10value_typeEPNST_ISO_E10value_typeEPSP_NS1_7vsmem_tEENKUlT_SN_SO_SP_E_clIS8_S8_S9_S9_EESM_S12_SN_SO_SP_EUlS12_E1_NS1_11comp_targetILNS1_3genE0ELNS1_11target_archE4294967295ELNS1_3gpuE0ELNS1_3repE0EEENS1_36merge_oddeven_config_static_selectorELNS0_4arch9wavefront6targetE1EEEvSO_
		.amdhsa_group_segment_fixed_size 0
		.amdhsa_private_segment_fixed_size 0
		.amdhsa_kernarg_size 64
		.amdhsa_user_sgpr_count 2
		.amdhsa_user_sgpr_dispatch_ptr 0
		.amdhsa_user_sgpr_queue_ptr 0
		.amdhsa_user_sgpr_kernarg_segment_ptr 1
		.amdhsa_user_sgpr_dispatch_id 0
		.amdhsa_user_sgpr_kernarg_preload_length 0
		.amdhsa_user_sgpr_kernarg_preload_offset 0
		.amdhsa_user_sgpr_private_segment_size 0
		.amdhsa_uses_dynamic_stack 0
		.amdhsa_enable_private_segment 0
		.amdhsa_system_sgpr_workgroup_id_x 1
		.amdhsa_system_sgpr_workgroup_id_y 0
		.amdhsa_system_sgpr_workgroup_id_z 0
		.amdhsa_system_sgpr_workgroup_info 0
		.amdhsa_system_vgpr_workitem_id 0
		.amdhsa_next_free_vgpr 1
		.amdhsa_next_free_sgpr 0
		.amdhsa_accum_offset 4
		.amdhsa_reserve_vcc 0
		.amdhsa_float_round_mode_32 0
		.amdhsa_float_round_mode_16_64 0
		.amdhsa_float_denorm_mode_32 3
		.amdhsa_float_denorm_mode_16_64 3
		.amdhsa_dx10_clamp 1
		.amdhsa_ieee_mode 1
		.amdhsa_fp16_overflow 0
		.amdhsa_tg_split 0
		.amdhsa_exception_fp_ieee_invalid_op 0
		.amdhsa_exception_fp_denorm_src 0
		.amdhsa_exception_fp_ieee_div_zero 0
		.amdhsa_exception_fp_ieee_overflow 0
		.amdhsa_exception_fp_ieee_underflow 0
		.amdhsa_exception_fp_ieee_inexact 0
		.amdhsa_exception_int_div_zero 0
	.end_amdhsa_kernel
	.section	.text._ZN7rocprim17ROCPRIM_400000_NS6detail17trampoline_kernelINS0_14default_configENS1_38merge_sort_block_merge_config_selectorIlNS0_10empty_typeEEEZZNS1_27merge_sort_block_merge_implIS3_PlPS5_mZN2at6native12_GLOBAL__N_124unique_dim_cuda_templateIN3c108BFloat16EEESt5tupleIJNSA_6TensorESH_SH_EERKSH_lbbbEUlllE_EE10hipError_tT0_T1_T2_jT3_P12ihipStream_tbPNSt15iterator_traitsISN_E10value_typeEPNST_ISO_E10value_typeEPSP_NS1_7vsmem_tEENKUlT_SN_SO_SP_E_clIS8_S8_S9_S9_EESM_S12_SN_SO_SP_EUlS12_E1_NS1_11comp_targetILNS1_3genE0ELNS1_11target_archE4294967295ELNS1_3gpuE0ELNS1_3repE0EEENS1_36merge_oddeven_config_static_selectorELNS0_4arch9wavefront6targetE1EEEvSO_,"axG",@progbits,_ZN7rocprim17ROCPRIM_400000_NS6detail17trampoline_kernelINS0_14default_configENS1_38merge_sort_block_merge_config_selectorIlNS0_10empty_typeEEEZZNS1_27merge_sort_block_merge_implIS3_PlPS5_mZN2at6native12_GLOBAL__N_124unique_dim_cuda_templateIN3c108BFloat16EEESt5tupleIJNSA_6TensorESH_SH_EERKSH_lbbbEUlllE_EE10hipError_tT0_T1_T2_jT3_P12ihipStream_tbPNSt15iterator_traitsISN_E10value_typeEPNST_ISO_E10value_typeEPSP_NS1_7vsmem_tEENKUlT_SN_SO_SP_E_clIS8_S8_S9_S9_EESM_S12_SN_SO_SP_EUlS12_E1_NS1_11comp_targetILNS1_3genE0ELNS1_11target_archE4294967295ELNS1_3gpuE0ELNS1_3repE0EEENS1_36merge_oddeven_config_static_selectorELNS0_4arch9wavefront6targetE1EEEvSO_,comdat
.Lfunc_end1149:
	.size	_ZN7rocprim17ROCPRIM_400000_NS6detail17trampoline_kernelINS0_14default_configENS1_38merge_sort_block_merge_config_selectorIlNS0_10empty_typeEEEZZNS1_27merge_sort_block_merge_implIS3_PlPS5_mZN2at6native12_GLOBAL__N_124unique_dim_cuda_templateIN3c108BFloat16EEESt5tupleIJNSA_6TensorESH_SH_EERKSH_lbbbEUlllE_EE10hipError_tT0_T1_T2_jT3_P12ihipStream_tbPNSt15iterator_traitsISN_E10value_typeEPNST_ISO_E10value_typeEPSP_NS1_7vsmem_tEENKUlT_SN_SO_SP_E_clIS8_S8_S9_S9_EESM_S12_SN_SO_SP_EUlS12_E1_NS1_11comp_targetILNS1_3genE0ELNS1_11target_archE4294967295ELNS1_3gpuE0ELNS1_3repE0EEENS1_36merge_oddeven_config_static_selectorELNS0_4arch9wavefront6targetE1EEEvSO_, .Lfunc_end1149-_ZN7rocprim17ROCPRIM_400000_NS6detail17trampoline_kernelINS0_14default_configENS1_38merge_sort_block_merge_config_selectorIlNS0_10empty_typeEEEZZNS1_27merge_sort_block_merge_implIS3_PlPS5_mZN2at6native12_GLOBAL__N_124unique_dim_cuda_templateIN3c108BFloat16EEESt5tupleIJNSA_6TensorESH_SH_EERKSH_lbbbEUlllE_EE10hipError_tT0_T1_T2_jT3_P12ihipStream_tbPNSt15iterator_traitsISN_E10value_typeEPNST_ISO_E10value_typeEPSP_NS1_7vsmem_tEENKUlT_SN_SO_SP_E_clIS8_S8_S9_S9_EESM_S12_SN_SO_SP_EUlS12_E1_NS1_11comp_targetILNS1_3genE0ELNS1_11target_archE4294967295ELNS1_3gpuE0ELNS1_3repE0EEENS1_36merge_oddeven_config_static_selectorELNS0_4arch9wavefront6targetE1EEEvSO_
                                        ; -- End function
	.section	.AMDGPU.csdata,"",@progbits
; Kernel info:
; codeLenInByte = 0
; NumSgprs: 6
; NumVgprs: 0
; NumAgprs: 0
; TotalNumVgprs: 0
; ScratchSize: 0
; MemoryBound: 0
; FloatMode: 240
; IeeeMode: 1
; LDSByteSize: 0 bytes/workgroup (compile time only)
; SGPRBlocks: 0
; VGPRBlocks: 0
; NumSGPRsForWavesPerEU: 6
; NumVGPRsForWavesPerEU: 1
; AccumOffset: 4
; Occupancy: 8
; WaveLimiterHint : 0
; COMPUTE_PGM_RSRC2:SCRATCH_EN: 0
; COMPUTE_PGM_RSRC2:USER_SGPR: 2
; COMPUTE_PGM_RSRC2:TRAP_HANDLER: 0
; COMPUTE_PGM_RSRC2:TGID_X_EN: 1
; COMPUTE_PGM_RSRC2:TGID_Y_EN: 0
; COMPUTE_PGM_RSRC2:TGID_Z_EN: 0
; COMPUTE_PGM_RSRC2:TIDIG_COMP_CNT: 0
; COMPUTE_PGM_RSRC3_GFX90A:ACCUM_OFFSET: 0
; COMPUTE_PGM_RSRC3_GFX90A:TG_SPLIT: 0
	.section	.text._ZN7rocprim17ROCPRIM_400000_NS6detail17trampoline_kernelINS0_14default_configENS1_38merge_sort_block_merge_config_selectorIlNS0_10empty_typeEEEZZNS1_27merge_sort_block_merge_implIS3_PlPS5_mZN2at6native12_GLOBAL__N_124unique_dim_cuda_templateIN3c108BFloat16EEESt5tupleIJNSA_6TensorESH_SH_EERKSH_lbbbEUlllE_EE10hipError_tT0_T1_T2_jT3_P12ihipStream_tbPNSt15iterator_traitsISN_E10value_typeEPNST_ISO_E10value_typeEPSP_NS1_7vsmem_tEENKUlT_SN_SO_SP_E_clIS8_S8_S9_S9_EESM_S12_SN_SO_SP_EUlS12_E1_NS1_11comp_targetILNS1_3genE10ELNS1_11target_archE1201ELNS1_3gpuE5ELNS1_3repE0EEENS1_36merge_oddeven_config_static_selectorELNS0_4arch9wavefront6targetE1EEEvSO_,"axG",@progbits,_ZN7rocprim17ROCPRIM_400000_NS6detail17trampoline_kernelINS0_14default_configENS1_38merge_sort_block_merge_config_selectorIlNS0_10empty_typeEEEZZNS1_27merge_sort_block_merge_implIS3_PlPS5_mZN2at6native12_GLOBAL__N_124unique_dim_cuda_templateIN3c108BFloat16EEESt5tupleIJNSA_6TensorESH_SH_EERKSH_lbbbEUlllE_EE10hipError_tT0_T1_T2_jT3_P12ihipStream_tbPNSt15iterator_traitsISN_E10value_typeEPNST_ISO_E10value_typeEPSP_NS1_7vsmem_tEENKUlT_SN_SO_SP_E_clIS8_S8_S9_S9_EESM_S12_SN_SO_SP_EUlS12_E1_NS1_11comp_targetILNS1_3genE10ELNS1_11target_archE1201ELNS1_3gpuE5ELNS1_3repE0EEENS1_36merge_oddeven_config_static_selectorELNS0_4arch9wavefront6targetE1EEEvSO_,comdat
	.globl	_ZN7rocprim17ROCPRIM_400000_NS6detail17trampoline_kernelINS0_14default_configENS1_38merge_sort_block_merge_config_selectorIlNS0_10empty_typeEEEZZNS1_27merge_sort_block_merge_implIS3_PlPS5_mZN2at6native12_GLOBAL__N_124unique_dim_cuda_templateIN3c108BFloat16EEESt5tupleIJNSA_6TensorESH_SH_EERKSH_lbbbEUlllE_EE10hipError_tT0_T1_T2_jT3_P12ihipStream_tbPNSt15iterator_traitsISN_E10value_typeEPNST_ISO_E10value_typeEPSP_NS1_7vsmem_tEENKUlT_SN_SO_SP_E_clIS8_S8_S9_S9_EESM_S12_SN_SO_SP_EUlS12_E1_NS1_11comp_targetILNS1_3genE10ELNS1_11target_archE1201ELNS1_3gpuE5ELNS1_3repE0EEENS1_36merge_oddeven_config_static_selectorELNS0_4arch9wavefront6targetE1EEEvSO_ ; -- Begin function _ZN7rocprim17ROCPRIM_400000_NS6detail17trampoline_kernelINS0_14default_configENS1_38merge_sort_block_merge_config_selectorIlNS0_10empty_typeEEEZZNS1_27merge_sort_block_merge_implIS3_PlPS5_mZN2at6native12_GLOBAL__N_124unique_dim_cuda_templateIN3c108BFloat16EEESt5tupleIJNSA_6TensorESH_SH_EERKSH_lbbbEUlllE_EE10hipError_tT0_T1_T2_jT3_P12ihipStream_tbPNSt15iterator_traitsISN_E10value_typeEPNST_ISO_E10value_typeEPSP_NS1_7vsmem_tEENKUlT_SN_SO_SP_E_clIS8_S8_S9_S9_EESM_S12_SN_SO_SP_EUlS12_E1_NS1_11comp_targetILNS1_3genE10ELNS1_11target_archE1201ELNS1_3gpuE5ELNS1_3repE0EEENS1_36merge_oddeven_config_static_selectorELNS0_4arch9wavefront6targetE1EEEvSO_
	.p2align	8
	.type	_ZN7rocprim17ROCPRIM_400000_NS6detail17trampoline_kernelINS0_14default_configENS1_38merge_sort_block_merge_config_selectorIlNS0_10empty_typeEEEZZNS1_27merge_sort_block_merge_implIS3_PlPS5_mZN2at6native12_GLOBAL__N_124unique_dim_cuda_templateIN3c108BFloat16EEESt5tupleIJNSA_6TensorESH_SH_EERKSH_lbbbEUlllE_EE10hipError_tT0_T1_T2_jT3_P12ihipStream_tbPNSt15iterator_traitsISN_E10value_typeEPNST_ISO_E10value_typeEPSP_NS1_7vsmem_tEENKUlT_SN_SO_SP_E_clIS8_S8_S9_S9_EESM_S12_SN_SO_SP_EUlS12_E1_NS1_11comp_targetILNS1_3genE10ELNS1_11target_archE1201ELNS1_3gpuE5ELNS1_3repE0EEENS1_36merge_oddeven_config_static_selectorELNS0_4arch9wavefront6targetE1EEEvSO_,@function
_ZN7rocprim17ROCPRIM_400000_NS6detail17trampoline_kernelINS0_14default_configENS1_38merge_sort_block_merge_config_selectorIlNS0_10empty_typeEEEZZNS1_27merge_sort_block_merge_implIS3_PlPS5_mZN2at6native12_GLOBAL__N_124unique_dim_cuda_templateIN3c108BFloat16EEESt5tupleIJNSA_6TensorESH_SH_EERKSH_lbbbEUlllE_EE10hipError_tT0_T1_T2_jT3_P12ihipStream_tbPNSt15iterator_traitsISN_E10value_typeEPNST_ISO_E10value_typeEPSP_NS1_7vsmem_tEENKUlT_SN_SO_SP_E_clIS8_S8_S9_S9_EESM_S12_SN_SO_SP_EUlS12_E1_NS1_11comp_targetILNS1_3genE10ELNS1_11target_archE1201ELNS1_3gpuE5ELNS1_3repE0EEENS1_36merge_oddeven_config_static_selectorELNS0_4arch9wavefront6targetE1EEEvSO_: ; @_ZN7rocprim17ROCPRIM_400000_NS6detail17trampoline_kernelINS0_14default_configENS1_38merge_sort_block_merge_config_selectorIlNS0_10empty_typeEEEZZNS1_27merge_sort_block_merge_implIS3_PlPS5_mZN2at6native12_GLOBAL__N_124unique_dim_cuda_templateIN3c108BFloat16EEESt5tupleIJNSA_6TensorESH_SH_EERKSH_lbbbEUlllE_EE10hipError_tT0_T1_T2_jT3_P12ihipStream_tbPNSt15iterator_traitsISN_E10value_typeEPNST_ISO_E10value_typeEPSP_NS1_7vsmem_tEENKUlT_SN_SO_SP_E_clIS8_S8_S9_S9_EESM_S12_SN_SO_SP_EUlS12_E1_NS1_11comp_targetILNS1_3genE10ELNS1_11target_archE1201ELNS1_3gpuE5ELNS1_3repE0EEENS1_36merge_oddeven_config_static_selectorELNS0_4arch9wavefront6targetE1EEEvSO_
; %bb.0:
	.section	.rodata,"a",@progbits
	.p2align	6, 0x0
	.amdhsa_kernel _ZN7rocprim17ROCPRIM_400000_NS6detail17trampoline_kernelINS0_14default_configENS1_38merge_sort_block_merge_config_selectorIlNS0_10empty_typeEEEZZNS1_27merge_sort_block_merge_implIS3_PlPS5_mZN2at6native12_GLOBAL__N_124unique_dim_cuda_templateIN3c108BFloat16EEESt5tupleIJNSA_6TensorESH_SH_EERKSH_lbbbEUlllE_EE10hipError_tT0_T1_T2_jT3_P12ihipStream_tbPNSt15iterator_traitsISN_E10value_typeEPNST_ISO_E10value_typeEPSP_NS1_7vsmem_tEENKUlT_SN_SO_SP_E_clIS8_S8_S9_S9_EESM_S12_SN_SO_SP_EUlS12_E1_NS1_11comp_targetILNS1_3genE10ELNS1_11target_archE1201ELNS1_3gpuE5ELNS1_3repE0EEENS1_36merge_oddeven_config_static_selectorELNS0_4arch9wavefront6targetE1EEEvSO_
		.amdhsa_group_segment_fixed_size 0
		.amdhsa_private_segment_fixed_size 0
		.amdhsa_kernarg_size 64
		.amdhsa_user_sgpr_count 2
		.amdhsa_user_sgpr_dispatch_ptr 0
		.amdhsa_user_sgpr_queue_ptr 0
		.amdhsa_user_sgpr_kernarg_segment_ptr 1
		.amdhsa_user_sgpr_dispatch_id 0
		.amdhsa_user_sgpr_kernarg_preload_length 0
		.amdhsa_user_sgpr_kernarg_preload_offset 0
		.amdhsa_user_sgpr_private_segment_size 0
		.amdhsa_uses_dynamic_stack 0
		.amdhsa_enable_private_segment 0
		.amdhsa_system_sgpr_workgroup_id_x 1
		.amdhsa_system_sgpr_workgroup_id_y 0
		.amdhsa_system_sgpr_workgroup_id_z 0
		.amdhsa_system_sgpr_workgroup_info 0
		.amdhsa_system_vgpr_workitem_id 0
		.amdhsa_next_free_vgpr 1
		.amdhsa_next_free_sgpr 0
		.amdhsa_accum_offset 4
		.amdhsa_reserve_vcc 0
		.amdhsa_float_round_mode_32 0
		.amdhsa_float_round_mode_16_64 0
		.amdhsa_float_denorm_mode_32 3
		.amdhsa_float_denorm_mode_16_64 3
		.amdhsa_dx10_clamp 1
		.amdhsa_ieee_mode 1
		.amdhsa_fp16_overflow 0
		.amdhsa_tg_split 0
		.amdhsa_exception_fp_ieee_invalid_op 0
		.amdhsa_exception_fp_denorm_src 0
		.amdhsa_exception_fp_ieee_div_zero 0
		.amdhsa_exception_fp_ieee_overflow 0
		.amdhsa_exception_fp_ieee_underflow 0
		.amdhsa_exception_fp_ieee_inexact 0
		.amdhsa_exception_int_div_zero 0
	.end_amdhsa_kernel
	.section	.text._ZN7rocprim17ROCPRIM_400000_NS6detail17trampoline_kernelINS0_14default_configENS1_38merge_sort_block_merge_config_selectorIlNS0_10empty_typeEEEZZNS1_27merge_sort_block_merge_implIS3_PlPS5_mZN2at6native12_GLOBAL__N_124unique_dim_cuda_templateIN3c108BFloat16EEESt5tupleIJNSA_6TensorESH_SH_EERKSH_lbbbEUlllE_EE10hipError_tT0_T1_T2_jT3_P12ihipStream_tbPNSt15iterator_traitsISN_E10value_typeEPNST_ISO_E10value_typeEPSP_NS1_7vsmem_tEENKUlT_SN_SO_SP_E_clIS8_S8_S9_S9_EESM_S12_SN_SO_SP_EUlS12_E1_NS1_11comp_targetILNS1_3genE10ELNS1_11target_archE1201ELNS1_3gpuE5ELNS1_3repE0EEENS1_36merge_oddeven_config_static_selectorELNS0_4arch9wavefront6targetE1EEEvSO_,"axG",@progbits,_ZN7rocprim17ROCPRIM_400000_NS6detail17trampoline_kernelINS0_14default_configENS1_38merge_sort_block_merge_config_selectorIlNS0_10empty_typeEEEZZNS1_27merge_sort_block_merge_implIS3_PlPS5_mZN2at6native12_GLOBAL__N_124unique_dim_cuda_templateIN3c108BFloat16EEESt5tupleIJNSA_6TensorESH_SH_EERKSH_lbbbEUlllE_EE10hipError_tT0_T1_T2_jT3_P12ihipStream_tbPNSt15iterator_traitsISN_E10value_typeEPNST_ISO_E10value_typeEPSP_NS1_7vsmem_tEENKUlT_SN_SO_SP_E_clIS8_S8_S9_S9_EESM_S12_SN_SO_SP_EUlS12_E1_NS1_11comp_targetILNS1_3genE10ELNS1_11target_archE1201ELNS1_3gpuE5ELNS1_3repE0EEENS1_36merge_oddeven_config_static_selectorELNS0_4arch9wavefront6targetE1EEEvSO_,comdat
.Lfunc_end1150:
	.size	_ZN7rocprim17ROCPRIM_400000_NS6detail17trampoline_kernelINS0_14default_configENS1_38merge_sort_block_merge_config_selectorIlNS0_10empty_typeEEEZZNS1_27merge_sort_block_merge_implIS3_PlPS5_mZN2at6native12_GLOBAL__N_124unique_dim_cuda_templateIN3c108BFloat16EEESt5tupleIJNSA_6TensorESH_SH_EERKSH_lbbbEUlllE_EE10hipError_tT0_T1_T2_jT3_P12ihipStream_tbPNSt15iterator_traitsISN_E10value_typeEPNST_ISO_E10value_typeEPSP_NS1_7vsmem_tEENKUlT_SN_SO_SP_E_clIS8_S8_S9_S9_EESM_S12_SN_SO_SP_EUlS12_E1_NS1_11comp_targetILNS1_3genE10ELNS1_11target_archE1201ELNS1_3gpuE5ELNS1_3repE0EEENS1_36merge_oddeven_config_static_selectorELNS0_4arch9wavefront6targetE1EEEvSO_, .Lfunc_end1150-_ZN7rocprim17ROCPRIM_400000_NS6detail17trampoline_kernelINS0_14default_configENS1_38merge_sort_block_merge_config_selectorIlNS0_10empty_typeEEEZZNS1_27merge_sort_block_merge_implIS3_PlPS5_mZN2at6native12_GLOBAL__N_124unique_dim_cuda_templateIN3c108BFloat16EEESt5tupleIJNSA_6TensorESH_SH_EERKSH_lbbbEUlllE_EE10hipError_tT0_T1_T2_jT3_P12ihipStream_tbPNSt15iterator_traitsISN_E10value_typeEPNST_ISO_E10value_typeEPSP_NS1_7vsmem_tEENKUlT_SN_SO_SP_E_clIS8_S8_S9_S9_EESM_S12_SN_SO_SP_EUlS12_E1_NS1_11comp_targetILNS1_3genE10ELNS1_11target_archE1201ELNS1_3gpuE5ELNS1_3repE0EEENS1_36merge_oddeven_config_static_selectorELNS0_4arch9wavefront6targetE1EEEvSO_
                                        ; -- End function
	.section	.AMDGPU.csdata,"",@progbits
; Kernel info:
; codeLenInByte = 0
; NumSgprs: 6
; NumVgprs: 0
; NumAgprs: 0
; TotalNumVgprs: 0
; ScratchSize: 0
; MemoryBound: 0
; FloatMode: 240
; IeeeMode: 1
; LDSByteSize: 0 bytes/workgroup (compile time only)
; SGPRBlocks: 0
; VGPRBlocks: 0
; NumSGPRsForWavesPerEU: 6
; NumVGPRsForWavesPerEU: 1
; AccumOffset: 4
; Occupancy: 8
; WaveLimiterHint : 0
; COMPUTE_PGM_RSRC2:SCRATCH_EN: 0
; COMPUTE_PGM_RSRC2:USER_SGPR: 2
; COMPUTE_PGM_RSRC2:TRAP_HANDLER: 0
; COMPUTE_PGM_RSRC2:TGID_X_EN: 1
; COMPUTE_PGM_RSRC2:TGID_Y_EN: 0
; COMPUTE_PGM_RSRC2:TGID_Z_EN: 0
; COMPUTE_PGM_RSRC2:TIDIG_COMP_CNT: 0
; COMPUTE_PGM_RSRC3_GFX90A:ACCUM_OFFSET: 0
; COMPUTE_PGM_RSRC3_GFX90A:TG_SPLIT: 0
	.section	.text._ZN7rocprim17ROCPRIM_400000_NS6detail17trampoline_kernelINS0_14default_configENS1_38merge_sort_block_merge_config_selectorIlNS0_10empty_typeEEEZZNS1_27merge_sort_block_merge_implIS3_PlPS5_mZN2at6native12_GLOBAL__N_124unique_dim_cuda_templateIN3c108BFloat16EEESt5tupleIJNSA_6TensorESH_SH_EERKSH_lbbbEUlllE_EE10hipError_tT0_T1_T2_jT3_P12ihipStream_tbPNSt15iterator_traitsISN_E10value_typeEPNST_ISO_E10value_typeEPSP_NS1_7vsmem_tEENKUlT_SN_SO_SP_E_clIS8_S8_S9_S9_EESM_S12_SN_SO_SP_EUlS12_E1_NS1_11comp_targetILNS1_3genE5ELNS1_11target_archE942ELNS1_3gpuE9ELNS1_3repE0EEENS1_36merge_oddeven_config_static_selectorELNS0_4arch9wavefront6targetE1EEEvSO_,"axG",@progbits,_ZN7rocprim17ROCPRIM_400000_NS6detail17trampoline_kernelINS0_14default_configENS1_38merge_sort_block_merge_config_selectorIlNS0_10empty_typeEEEZZNS1_27merge_sort_block_merge_implIS3_PlPS5_mZN2at6native12_GLOBAL__N_124unique_dim_cuda_templateIN3c108BFloat16EEESt5tupleIJNSA_6TensorESH_SH_EERKSH_lbbbEUlllE_EE10hipError_tT0_T1_T2_jT3_P12ihipStream_tbPNSt15iterator_traitsISN_E10value_typeEPNST_ISO_E10value_typeEPSP_NS1_7vsmem_tEENKUlT_SN_SO_SP_E_clIS8_S8_S9_S9_EESM_S12_SN_SO_SP_EUlS12_E1_NS1_11comp_targetILNS1_3genE5ELNS1_11target_archE942ELNS1_3gpuE9ELNS1_3repE0EEENS1_36merge_oddeven_config_static_selectorELNS0_4arch9wavefront6targetE1EEEvSO_,comdat
	.globl	_ZN7rocprim17ROCPRIM_400000_NS6detail17trampoline_kernelINS0_14default_configENS1_38merge_sort_block_merge_config_selectorIlNS0_10empty_typeEEEZZNS1_27merge_sort_block_merge_implIS3_PlPS5_mZN2at6native12_GLOBAL__N_124unique_dim_cuda_templateIN3c108BFloat16EEESt5tupleIJNSA_6TensorESH_SH_EERKSH_lbbbEUlllE_EE10hipError_tT0_T1_T2_jT3_P12ihipStream_tbPNSt15iterator_traitsISN_E10value_typeEPNST_ISO_E10value_typeEPSP_NS1_7vsmem_tEENKUlT_SN_SO_SP_E_clIS8_S8_S9_S9_EESM_S12_SN_SO_SP_EUlS12_E1_NS1_11comp_targetILNS1_3genE5ELNS1_11target_archE942ELNS1_3gpuE9ELNS1_3repE0EEENS1_36merge_oddeven_config_static_selectorELNS0_4arch9wavefront6targetE1EEEvSO_ ; -- Begin function _ZN7rocprim17ROCPRIM_400000_NS6detail17trampoline_kernelINS0_14default_configENS1_38merge_sort_block_merge_config_selectorIlNS0_10empty_typeEEEZZNS1_27merge_sort_block_merge_implIS3_PlPS5_mZN2at6native12_GLOBAL__N_124unique_dim_cuda_templateIN3c108BFloat16EEESt5tupleIJNSA_6TensorESH_SH_EERKSH_lbbbEUlllE_EE10hipError_tT0_T1_T2_jT3_P12ihipStream_tbPNSt15iterator_traitsISN_E10value_typeEPNST_ISO_E10value_typeEPSP_NS1_7vsmem_tEENKUlT_SN_SO_SP_E_clIS8_S8_S9_S9_EESM_S12_SN_SO_SP_EUlS12_E1_NS1_11comp_targetILNS1_3genE5ELNS1_11target_archE942ELNS1_3gpuE9ELNS1_3repE0EEENS1_36merge_oddeven_config_static_selectorELNS0_4arch9wavefront6targetE1EEEvSO_
	.p2align	8
	.type	_ZN7rocprim17ROCPRIM_400000_NS6detail17trampoline_kernelINS0_14default_configENS1_38merge_sort_block_merge_config_selectorIlNS0_10empty_typeEEEZZNS1_27merge_sort_block_merge_implIS3_PlPS5_mZN2at6native12_GLOBAL__N_124unique_dim_cuda_templateIN3c108BFloat16EEESt5tupleIJNSA_6TensorESH_SH_EERKSH_lbbbEUlllE_EE10hipError_tT0_T1_T2_jT3_P12ihipStream_tbPNSt15iterator_traitsISN_E10value_typeEPNST_ISO_E10value_typeEPSP_NS1_7vsmem_tEENKUlT_SN_SO_SP_E_clIS8_S8_S9_S9_EESM_S12_SN_SO_SP_EUlS12_E1_NS1_11comp_targetILNS1_3genE5ELNS1_11target_archE942ELNS1_3gpuE9ELNS1_3repE0EEENS1_36merge_oddeven_config_static_selectorELNS0_4arch9wavefront6targetE1EEEvSO_,@function
_ZN7rocprim17ROCPRIM_400000_NS6detail17trampoline_kernelINS0_14default_configENS1_38merge_sort_block_merge_config_selectorIlNS0_10empty_typeEEEZZNS1_27merge_sort_block_merge_implIS3_PlPS5_mZN2at6native12_GLOBAL__N_124unique_dim_cuda_templateIN3c108BFloat16EEESt5tupleIJNSA_6TensorESH_SH_EERKSH_lbbbEUlllE_EE10hipError_tT0_T1_T2_jT3_P12ihipStream_tbPNSt15iterator_traitsISN_E10value_typeEPNST_ISO_E10value_typeEPSP_NS1_7vsmem_tEENKUlT_SN_SO_SP_E_clIS8_S8_S9_S9_EESM_S12_SN_SO_SP_EUlS12_E1_NS1_11comp_targetILNS1_3genE5ELNS1_11target_archE942ELNS1_3gpuE9ELNS1_3repE0EEENS1_36merge_oddeven_config_static_selectorELNS0_4arch9wavefront6targetE1EEEvSO_: ; @_ZN7rocprim17ROCPRIM_400000_NS6detail17trampoline_kernelINS0_14default_configENS1_38merge_sort_block_merge_config_selectorIlNS0_10empty_typeEEEZZNS1_27merge_sort_block_merge_implIS3_PlPS5_mZN2at6native12_GLOBAL__N_124unique_dim_cuda_templateIN3c108BFloat16EEESt5tupleIJNSA_6TensorESH_SH_EERKSH_lbbbEUlllE_EE10hipError_tT0_T1_T2_jT3_P12ihipStream_tbPNSt15iterator_traitsISN_E10value_typeEPNST_ISO_E10value_typeEPSP_NS1_7vsmem_tEENKUlT_SN_SO_SP_E_clIS8_S8_S9_S9_EESM_S12_SN_SO_SP_EUlS12_E1_NS1_11comp_targetILNS1_3genE5ELNS1_11target_archE942ELNS1_3gpuE9ELNS1_3repE0EEENS1_36merge_oddeven_config_static_selectorELNS0_4arch9wavefront6targetE1EEEvSO_
; %bb.0:
	s_load_dword s22, s[0:1], 0x20
	s_waitcnt lgkmcnt(0)
	s_lshr_b32 s3, s22, 8
	s_cmp_lg_u32 s2, s3
	s_cselect_b64 s[12:13], -1, 0
	s_cmp_eq_u32 s2, s3
	s_cselect_b64 s[18:19], -1, 0
	s_lshl_b32 s20, s2, 8
	s_sub_i32 s3, s22, s20
	v_cmp_gt_u32_e64 s[4:5], s3, v0
	s_or_b64 s[6:7], s[12:13], s[4:5]
	s_and_saveexec_b64 s[8:9], s[6:7]
	s_cbranch_execz .LBB1151_62
; %bb.1:
	s_load_dwordx4 s[8:11], s[0:1], 0x0
	s_load_dword s23, s[0:1], 0x28
	s_mov_b32 s21, 0
	s_lshl_b64 s[6:7], s[20:21], 3
	v_lshlrev_b32_e32 v1, 3, v0
	s_waitcnt lgkmcnt(0)
	s_add_u32 s6, s8, s6
	s_addc_u32 s7, s9, s7
	global_load_dwordx2 v[2:3], v1, s[6:7]
	s_lshr_b32 s3, s23, 8
	s_sub_i32 s6, 0, s3
	s_and_b32 s2, s2, s6
	s_and_b32 s3, s2, s3
	s_cmp_lg_u32 s3, 0
	s_cselect_b64 s[6:7], -1, 0
	s_lshl_b32 s21, s2, 8
	s_sub_i32 s2, 0, s23
	s_cmp_eq_u32 s3, 0
	s_cselect_b32 s33, s23, s2
	s_add_i32 s33, s33, s21
	s_cmp_lt_u32 s33, s22
	s_cbranch_scc1 .LBB1151_3
; %bb.2:
	v_add_u32_e32 v4, s20, v0
	v_cmp_gt_u32_e32 vcc, s22, v4
	s_or_b64 s[12:13], vcc, s[12:13]
	s_and_b64 s[16:17], s[12:13], exec
	s_cbranch_execz .LBB1151_4
	s_branch .LBB1151_60
.LBB1151_3:
	s_mov_b64 s[16:17], 0
                                        ; implicit-def: $vgpr4
.LBB1151_4:
	s_load_dwordx4 s[12:15], s[0:1], 0x30
	s_min_u32 s42, s33, s22
	s_add_i32 s0, s42, s23
	s_min_u32 s43, s0, s22
	s_min_u32 s0, s21, s42
	v_add_u32_e32 v0, s20, v0
	s_add_i32 s21, s21, s42
	v_subrev_u32_e32 v0, s21, v0
	v_add_u32_e32 v14, s0, v0
	s_and_b64 vcc, exec, s[18:19]
	s_cbranch_vccz .LBB1151_30
; %bb.5:
                                        ; implicit-def: $vgpr4
	s_and_saveexec_b64 s[18:19], s[4:5]
	s_cbranch_execz .LBB1151_33
; %bb.6:
	s_cmp_ge_u32 s33, s43
	v_mov_b32_e32 v15, s42
	s_cbranch_scc1 .LBB1151_32
; %bb.7:
	s_waitcnt vmcnt(0) lgkmcnt(0)
	v_mul_lo_u32 v0, v3, s12
	v_mul_lo_u32 v1, v2, s13
	v_mad_u64_u32 v[4:5], s[0:1], v2, s12, 0
	v_cndmask_b32_e64 v6, 0, 1, s[6:7]
	v_cmp_gt_i64_e64 s[2:3], s[12:13], 0
	v_add3_u32 v5, v5, v1, v0
	v_cmp_ne_u32_e64 s[0:1], 1, v6
	v_cndmask_b32_e64 v6, 0, 1, s[2:3]
	s_mov_b64 s[4:5], 0
	v_mov_b64_e32 v[0:1], s[14:15]
	v_lshl_add_u64 v[4:5], v[4:5], 1, s[14:15]
	s_lshl_b64 s[20:21], s[12:13], 1
	v_mov_b32_e32 v16, s43
	v_mov_b32_e32 v15, s42
	;; [unrolled: 1-line block ×3, first 2 shown]
	v_cmp_ne_u32_e64 s[2:3], 1, v6
	s_branch .LBB1151_10
.LBB1151_8:                             ;   in Loop: Header=BB1151_10 Depth=1
	s_or_b64 exec, exec, s[24:25]
.LBB1151_9:                             ;   in Loop: Header=BB1151_10 Depth=1
	s_waitcnt vmcnt(0)
	v_add_u32_e32 v8, 1, v6
	v_cndmask_b32_e64 v16, v6, v16, s[22:23]
	v_cndmask_b32_e64 v15, v15, v8, s[22:23]
	v_cmp_ge_u32_e32 vcc, v15, v16
	s_or_b64 s[4:5], vcc, s[4:5]
	s_andn2_b64 exec, exec, s[4:5]
	s_cbranch_execz .LBB1151_31
.LBB1151_10:                            ; =>This Loop Header: Depth=1
                                        ;     Child Loop BB1151_14 Depth 2
                                        ;     Child Loop BB1151_25 Depth 2
	v_add_u32_e32 v6, v15, v16
	v_lshrrev_b32_e32 v6, 1, v6
	v_lshl_add_u64 v[8:9], v[6:7], 3, s[8:9]
	global_load_dwordx2 v[8:9], v[8:9], off
	s_and_b64 vcc, exec, s[0:1]
	s_mov_b64 s[24:25], -1
                                        ; implicit-def: $sgpr22_sgpr23
	s_cbranch_vccnz .LBB1151_21
; %bb.11:                               ;   in Loop: Header=BB1151_10 Depth=1
	s_and_b64 vcc, exec, s[2:3]
	s_cbranch_vccnz .LBB1151_19
; %bb.12:                               ;   in Loop: Header=BB1151_10 Depth=1
	s_waitcnt vmcnt(0)
	v_mad_u64_u32 v[10:11], s[22:23], s20, v8, v[0:1]
	v_mul_lo_u32 v12, s20, v9
	v_mul_lo_u32 v13, s21, v8
	v_add3_u32 v11, v13, v11, v12
	s_mov_b64 s[24:25], 0
	s_mov_b64 s[28:29], s[12:13]
	v_mov_b64_e32 v[12:13], v[4:5]
                                        ; implicit-def: $sgpr22_sgpr23
                                        ; implicit-def: $sgpr26_sgpr27
                                        ; implicit-def: $sgpr30_sgpr31
	s_branch .LBB1151_14
.LBB1151_13:                            ;   in Loop: Header=BB1151_14 Depth=2
	s_or_b64 exec, exec, s[40:41]
	s_and_b64 s[34:35], exec, s[34:35]
	s_or_b64 s[24:25], s[34:35], s[24:25]
	s_andn2_b64 s[22:23], s[22:23], exec
	s_and_b64 s[34:35], s[26:27], exec
	s_or_b64 s[22:23], s[22:23], s[34:35]
	s_andn2_b64 exec, exec, s[24:25]
	s_cbranch_execz .LBB1151_18
.LBB1151_14:                            ;   Parent Loop BB1151_10 Depth=1
                                        ; =>  This Inner Loop Header: Depth=2
	global_load_ushort v17, v[12:13], off
	global_load_ushort v18, v[10:11], off
	s_mov_b64 s[34:35], -1
	s_mov_b64 s[38:39], 0
	s_mov_b64 s[36:37], -1
	s_waitcnt vmcnt(1)
	v_lshlrev_b32_e32 v17, 16, v17
	s_waitcnt vmcnt(0)
	v_lshlrev_b32_e32 v18, 16, v18
	v_cmp_nlt_f32_e32 vcc, v17, v18
	s_and_saveexec_b64 s[40:41], vcc
; %bb.15:                               ;   in Loop: Header=BB1151_14 Depth=2
	v_cmp_ngt_f32_e32 vcc, v17, v18
	s_and_b64 s[30:31], vcc, s[30:31]
	s_orn2_b64 s[36:37], s[30:31], exec
	s_and_b64 s[38:39], vcc, exec
; %bb.16:                               ;   in Loop: Header=BB1151_14 Depth=2
	s_or_b64 exec, exec, s[40:41]
	s_andn2_b64 s[26:27], s[26:27], exec
	s_and_b64 s[30:31], s[36:37], exec
	s_or_b64 s[26:27], s[26:27], s[30:31]
                                        ; implicit-def: $sgpr30_sgpr31
	s_and_saveexec_b64 s[40:41], s[38:39]
	s_cbranch_execz .LBB1151_13
; %bb.17:                               ;   in Loop: Header=BB1151_14 Depth=2
	s_add_u32 s28, s28, -1
	s_addc_u32 s29, s29, -1
	s_cmp_eq_u64 s[28:29], 0
	s_cselect_b64 s[34:35], -1, 0
	v_lshl_add_u64 v[12:13], v[12:13], 0, 2
	v_lshl_add_u64 v[10:11], v[10:11], 0, 2
	s_andn2_b64 s[26:27], s[26:27], exec
	s_and_b64 s[30:31], s[36:37], exec
	s_orn2_b64 s[34:35], s[34:35], exec
	s_branch .LBB1151_13
.LBB1151_18:                            ;   in Loop: Header=BB1151_10 Depth=1
	s_or_b64 exec, exec, s[24:25]
	s_branch .LBB1151_20
.LBB1151_19:                            ;   in Loop: Header=BB1151_10 Depth=1
	s_mov_b64 s[22:23], 0
.LBB1151_20:                            ;   in Loop: Header=BB1151_10 Depth=1
	s_xor_b64 s[22:23], s[22:23], -1
	s_mov_b64 s[24:25], 0
.LBB1151_21:                            ;   in Loop: Header=BB1151_10 Depth=1
	s_and_b64 vcc, exec, s[24:25]
	s_cbranch_vccz .LBB1151_9
; %bb.22:                               ;   in Loop: Header=BB1151_10 Depth=1
	s_and_b64 vcc, exec, s[2:3]
	s_cbranch_vccnz .LBB1151_29
; %bb.23:                               ;   in Loop: Header=BB1151_10 Depth=1
	s_waitcnt vmcnt(0)
	v_mad_u64_u32 v[10:11], s[22:23], s20, v8, v[0:1]
	v_mul_lo_u32 v9, s20, v9
	v_mul_lo_u32 v8, s21, v8
	v_add3_u32 v11, v8, v11, v9
	s_mov_b64 s[24:25], 0
	s_mov_b64 s[28:29], s[12:13]
	v_mov_b64_e32 v[8:9], v[4:5]
                                        ; implicit-def: $sgpr22_sgpr23
                                        ; implicit-def: $sgpr26_sgpr27
                                        ; implicit-def: $sgpr30_sgpr31
	s_branch .LBB1151_25
.LBB1151_24:                            ;   in Loop: Header=BB1151_25 Depth=2
	s_or_b64 exec, exec, s[40:41]
	s_and_b64 s[34:35], exec, s[34:35]
	s_or_b64 s[24:25], s[34:35], s[24:25]
	s_andn2_b64 s[22:23], s[22:23], exec
	s_and_b64 s[34:35], s[26:27], exec
	s_or_b64 s[22:23], s[22:23], s[34:35]
	s_andn2_b64 exec, exec, s[24:25]
	s_cbranch_execz .LBB1151_8
.LBB1151_25:                            ;   Parent Loop BB1151_10 Depth=1
                                        ; =>  This Inner Loop Header: Depth=2
	global_load_ushort v12, v[10:11], off
	global_load_ushort v13, v[8:9], off
	s_mov_b64 s[34:35], -1
	s_mov_b64 s[38:39], 0
	s_mov_b64 s[36:37], -1
	s_waitcnt vmcnt(1)
	v_lshlrev_b32_e32 v12, 16, v12
	s_waitcnt vmcnt(0)
	v_lshlrev_b32_e32 v13, 16, v13
	v_cmp_nlt_f32_e32 vcc, v12, v13
	s_and_saveexec_b64 s[40:41], vcc
; %bb.26:                               ;   in Loop: Header=BB1151_25 Depth=2
	v_cmp_ngt_f32_e32 vcc, v12, v13
	s_and_b64 s[30:31], vcc, s[30:31]
	s_orn2_b64 s[36:37], s[30:31], exec
	s_and_b64 s[38:39], vcc, exec
; %bb.27:                               ;   in Loop: Header=BB1151_25 Depth=2
	s_or_b64 exec, exec, s[40:41]
	s_andn2_b64 s[26:27], s[26:27], exec
	s_and_b64 s[30:31], s[36:37], exec
	s_or_b64 s[26:27], s[26:27], s[30:31]
                                        ; implicit-def: $sgpr30_sgpr31
	s_and_saveexec_b64 s[40:41], s[38:39]
	s_cbranch_execz .LBB1151_24
; %bb.28:                               ;   in Loop: Header=BB1151_25 Depth=2
	s_add_u32 s28, s28, -1
	s_addc_u32 s29, s29, -1
	s_cmp_eq_u64 s[28:29], 0
	s_cselect_b64 s[34:35], -1, 0
	v_lshl_add_u64 v[10:11], v[10:11], 0, 2
	v_lshl_add_u64 v[8:9], v[8:9], 0, 2
	s_andn2_b64 s[26:27], s[26:27], exec
	s_and_b64 s[30:31], s[36:37], exec
	s_orn2_b64 s[34:35], s[34:35], exec
	s_branch .LBB1151_24
.LBB1151_29:                            ;   in Loop: Header=BB1151_10 Depth=1
	s_mov_b64 s[22:23], 0
	s_branch .LBB1151_9
.LBB1151_30:
                                        ; implicit-def: $vgpr4
	s_cbranch_execnz .LBB1151_34
	s_branch .LBB1151_60
.LBB1151_31:
	s_or_b64 exec, exec, s[4:5]
.LBB1151_32:
	v_add_u32_e32 v4, v15, v14
	s_or_b64 s[16:17], s[16:17], exec
.LBB1151_33:
	s_or_b64 exec, exec, s[18:19]
	s_branch .LBB1151_60
.LBB1151_34:
	s_cmp_ge_u32 s33, s43
	v_mov_b32_e32 v15, s42
	s_cbranch_scc1 .LBB1151_59
; %bb.35:
	s_waitcnt vmcnt(0) lgkmcnt(0)
	v_mul_lo_u32 v0, v3, s12
	v_mul_lo_u32 v1, v2, s13
	v_mad_u64_u32 v[4:5], s[0:1], v2, s12, 0
	v_cndmask_b32_e64 v6, 0, 1, s[6:7]
	v_cmp_gt_i64_e64 s[2:3], s[12:13], 0
	v_add3_u32 v5, v5, v1, v0
	v_cmp_ne_u32_e64 s[0:1], 1, v6
	v_cndmask_b32_e64 v6, 0, 1, s[2:3]
	s_mov_b64 s[4:5], 0
	v_mov_b64_e32 v[0:1], s[14:15]
	v_lshl_add_u64 v[4:5], v[4:5], 1, s[14:15]
	s_lshl_b64 s[14:15], s[12:13], 1
	v_mov_b32_e32 v16, s43
	v_mov_b32_e32 v15, s42
	;; [unrolled: 1-line block ×3, first 2 shown]
	v_cmp_ne_u32_e64 s[2:3], 1, v6
	s_branch .LBB1151_38
.LBB1151_36:                            ;   in Loop: Header=BB1151_38 Depth=1
	s_or_b64 exec, exec, s[16:17]
.LBB1151_37:                            ;   in Loop: Header=BB1151_38 Depth=1
	s_waitcnt vmcnt(0)
	v_add_u32_e32 v8, 1, v6
	v_cndmask_b32_e64 v16, v6, v16, s[6:7]
	v_cndmask_b32_e64 v15, v15, v8, s[6:7]
	v_cmp_ge_u32_e32 vcc, v15, v16
	s_or_b64 s[4:5], vcc, s[4:5]
	s_andn2_b64 exec, exec, s[4:5]
	s_cbranch_execz .LBB1151_58
.LBB1151_38:                            ; =>This Loop Header: Depth=1
                                        ;     Child Loop BB1151_42 Depth 2
                                        ;     Child Loop BB1151_53 Depth 2
	v_add_u32_e32 v6, v15, v16
	v_lshrrev_b32_e32 v6, 1, v6
	v_lshl_add_u64 v[8:9], v[6:7], 3, s[8:9]
	global_load_dwordx2 v[8:9], v[8:9], off
	s_and_b64 vcc, exec, s[0:1]
	s_mov_b64 s[16:17], -1
                                        ; implicit-def: $sgpr6_sgpr7
	s_cbranch_vccnz .LBB1151_49
; %bb.39:                               ;   in Loop: Header=BB1151_38 Depth=1
	s_and_b64 vcc, exec, s[2:3]
	s_cbranch_vccnz .LBB1151_47
; %bb.40:                               ;   in Loop: Header=BB1151_38 Depth=1
	s_waitcnt vmcnt(0)
	v_mad_u64_u32 v[10:11], s[6:7], s14, v8, v[0:1]
	v_mul_lo_u32 v12, s14, v9
	v_mul_lo_u32 v13, s15, v8
	v_add3_u32 v11, v13, v11, v12
	s_mov_b64 s[16:17], 0
	s_mov_b64 s[20:21], s[12:13]
	v_mov_b64_e32 v[12:13], v[4:5]
                                        ; implicit-def: $sgpr6_sgpr7
                                        ; implicit-def: $sgpr18_sgpr19
                                        ; implicit-def: $sgpr22_sgpr23
	s_branch .LBB1151_42
.LBB1151_41:                            ;   in Loop: Header=BB1151_42 Depth=2
	s_or_b64 exec, exec, s[30:31]
	s_and_b64 s[24:25], exec, s[24:25]
	s_or_b64 s[16:17], s[24:25], s[16:17]
	s_andn2_b64 s[6:7], s[6:7], exec
	s_and_b64 s[24:25], s[18:19], exec
	s_or_b64 s[6:7], s[6:7], s[24:25]
	s_andn2_b64 exec, exec, s[16:17]
	s_cbranch_execz .LBB1151_46
.LBB1151_42:                            ;   Parent Loop BB1151_38 Depth=1
                                        ; =>  This Inner Loop Header: Depth=2
	global_load_ushort v17, v[12:13], off
	global_load_ushort v18, v[10:11], off
	s_mov_b64 s[24:25], -1
	s_mov_b64 s[28:29], 0
	s_mov_b64 s[26:27], -1
	s_waitcnt vmcnt(1)
	v_lshlrev_b32_e32 v17, 16, v17
	s_waitcnt vmcnt(0)
	v_lshlrev_b32_e32 v18, 16, v18
	v_cmp_nlt_f32_e32 vcc, v17, v18
	s_and_saveexec_b64 s[30:31], vcc
; %bb.43:                               ;   in Loop: Header=BB1151_42 Depth=2
	v_cmp_ngt_f32_e32 vcc, v17, v18
	s_and_b64 s[22:23], vcc, s[22:23]
	s_orn2_b64 s[26:27], s[22:23], exec
	s_and_b64 s[28:29], vcc, exec
; %bb.44:                               ;   in Loop: Header=BB1151_42 Depth=2
	s_or_b64 exec, exec, s[30:31]
	s_andn2_b64 s[18:19], s[18:19], exec
	s_and_b64 s[22:23], s[26:27], exec
	s_or_b64 s[18:19], s[18:19], s[22:23]
                                        ; implicit-def: $sgpr22_sgpr23
	s_and_saveexec_b64 s[30:31], s[28:29]
	s_cbranch_execz .LBB1151_41
; %bb.45:                               ;   in Loop: Header=BB1151_42 Depth=2
	s_add_u32 s20, s20, -1
	s_addc_u32 s21, s21, -1
	s_cmp_eq_u64 s[20:21], 0
	s_cselect_b64 s[24:25], -1, 0
	v_lshl_add_u64 v[12:13], v[12:13], 0, 2
	v_lshl_add_u64 v[10:11], v[10:11], 0, 2
	s_andn2_b64 s[18:19], s[18:19], exec
	s_and_b64 s[22:23], s[26:27], exec
	s_orn2_b64 s[24:25], s[24:25], exec
	s_branch .LBB1151_41
.LBB1151_46:                            ;   in Loop: Header=BB1151_38 Depth=1
	s_or_b64 exec, exec, s[16:17]
	s_branch .LBB1151_48
.LBB1151_47:                            ;   in Loop: Header=BB1151_38 Depth=1
	s_mov_b64 s[6:7], 0
.LBB1151_48:                            ;   in Loop: Header=BB1151_38 Depth=1
	s_xor_b64 s[6:7], s[6:7], -1
	s_mov_b64 s[16:17], 0
.LBB1151_49:                            ;   in Loop: Header=BB1151_38 Depth=1
	s_and_b64 vcc, exec, s[16:17]
	s_cbranch_vccz .LBB1151_37
; %bb.50:                               ;   in Loop: Header=BB1151_38 Depth=1
	s_and_b64 vcc, exec, s[2:3]
	s_cbranch_vccnz .LBB1151_57
; %bb.51:                               ;   in Loop: Header=BB1151_38 Depth=1
	s_waitcnt vmcnt(0)
	v_mad_u64_u32 v[10:11], s[6:7], s14, v8, v[0:1]
	v_mul_lo_u32 v9, s14, v9
	v_mul_lo_u32 v8, s15, v8
	v_add3_u32 v11, v8, v11, v9
	s_mov_b64 s[16:17], 0
	s_mov_b64 s[20:21], s[12:13]
	v_mov_b64_e32 v[8:9], v[4:5]
                                        ; implicit-def: $sgpr6_sgpr7
                                        ; implicit-def: $sgpr18_sgpr19
                                        ; implicit-def: $sgpr22_sgpr23
	s_branch .LBB1151_53
.LBB1151_52:                            ;   in Loop: Header=BB1151_53 Depth=2
	s_or_b64 exec, exec, s[30:31]
	s_and_b64 s[24:25], exec, s[24:25]
	s_or_b64 s[16:17], s[24:25], s[16:17]
	s_andn2_b64 s[6:7], s[6:7], exec
	s_and_b64 s[24:25], s[18:19], exec
	s_or_b64 s[6:7], s[6:7], s[24:25]
	s_andn2_b64 exec, exec, s[16:17]
	s_cbranch_execz .LBB1151_36
.LBB1151_53:                            ;   Parent Loop BB1151_38 Depth=1
                                        ; =>  This Inner Loop Header: Depth=2
	global_load_ushort v12, v[10:11], off
	global_load_ushort v13, v[8:9], off
	s_mov_b64 s[24:25], -1
	s_mov_b64 s[28:29], 0
	s_mov_b64 s[26:27], -1
	s_waitcnt vmcnt(1)
	v_lshlrev_b32_e32 v12, 16, v12
	s_waitcnt vmcnt(0)
	v_lshlrev_b32_e32 v13, 16, v13
	v_cmp_nlt_f32_e32 vcc, v12, v13
	s_and_saveexec_b64 s[30:31], vcc
; %bb.54:                               ;   in Loop: Header=BB1151_53 Depth=2
	v_cmp_ngt_f32_e32 vcc, v12, v13
	s_and_b64 s[22:23], vcc, s[22:23]
	s_orn2_b64 s[26:27], s[22:23], exec
	s_and_b64 s[28:29], vcc, exec
; %bb.55:                               ;   in Loop: Header=BB1151_53 Depth=2
	s_or_b64 exec, exec, s[30:31]
	s_andn2_b64 s[18:19], s[18:19], exec
	s_and_b64 s[22:23], s[26:27], exec
	s_or_b64 s[18:19], s[18:19], s[22:23]
                                        ; implicit-def: $sgpr22_sgpr23
	s_and_saveexec_b64 s[30:31], s[28:29]
	s_cbranch_execz .LBB1151_52
; %bb.56:                               ;   in Loop: Header=BB1151_53 Depth=2
	s_add_u32 s20, s20, -1
	s_addc_u32 s21, s21, -1
	s_cmp_eq_u64 s[20:21], 0
	s_cselect_b64 s[24:25], -1, 0
	v_lshl_add_u64 v[10:11], v[10:11], 0, 2
	v_lshl_add_u64 v[8:9], v[8:9], 0, 2
	s_andn2_b64 s[18:19], s[18:19], exec
	s_and_b64 s[22:23], s[26:27], exec
	s_orn2_b64 s[24:25], s[24:25], exec
	s_branch .LBB1151_52
.LBB1151_57:                            ;   in Loop: Header=BB1151_38 Depth=1
	s_mov_b64 s[6:7], 0
	s_branch .LBB1151_37
.LBB1151_58:
	s_or_b64 exec, exec, s[4:5]
.LBB1151_59:
	v_add_u32_e32 v4, v15, v14
	s_mov_b64 s[16:17], -1
.LBB1151_60:
	s_and_b64 exec, exec, s[16:17]
	s_cbranch_execz .LBB1151_62
; %bb.61:
	v_mov_b32_e32 v0, s10
	v_mov_b32_e32 v1, s11
	;; [unrolled: 1-line block ×3, first 2 shown]
	v_lshl_add_u64 v[0:1], v[4:5], 3, v[0:1]
	s_waitcnt vmcnt(0)
	global_store_dwordx2 v[0:1], v[2:3], off
.LBB1151_62:
	s_endpgm
	.section	.rodata,"a",@progbits
	.p2align	6, 0x0
	.amdhsa_kernel _ZN7rocprim17ROCPRIM_400000_NS6detail17trampoline_kernelINS0_14default_configENS1_38merge_sort_block_merge_config_selectorIlNS0_10empty_typeEEEZZNS1_27merge_sort_block_merge_implIS3_PlPS5_mZN2at6native12_GLOBAL__N_124unique_dim_cuda_templateIN3c108BFloat16EEESt5tupleIJNSA_6TensorESH_SH_EERKSH_lbbbEUlllE_EE10hipError_tT0_T1_T2_jT3_P12ihipStream_tbPNSt15iterator_traitsISN_E10value_typeEPNST_ISO_E10value_typeEPSP_NS1_7vsmem_tEENKUlT_SN_SO_SP_E_clIS8_S8_S9_S9_EESM_S12_SN_SO_SP_EUlS12_E1_NS1_11comp_targetILNS1_3genE5ELNS1_11target_archE942ELNS1_3gpuE9ELNS1_3repE0EEENS1_36merge_oddeven_config_static_selectorELNS0_4arch9wavefront6targetE1EEEvSO_
		.amdhsa_group_segment_fixed_size 0
		.amdhsa_private_segment_fixed_size 0
		.amdhsa_kernarg_size 64
		.amdhsa_user_sgpr_count 2
		.amdhsa_user_sgpr_dispatch_ptr 0
		.amdhsa_user_sgpr_queue_ptr 0
		.amdhsa_user_sgpr_kernarg_segment_ptr 1
		.amdhsa_user_sgpr_dispatch_id 0
		.amdhsa_user_sgpr_kernarg_preload_length 0
		.amdhsa_user_sgpr_kernarg_preload_offset 0
		.amdhsa_user_sgpr_private_segment_size 0
		.amdhsa_uses_dynamic_stack 0
		.amdhsa_enable_private_segment 0
		.amdhsa_system_sgpr_workgroup_id_x 1
		.amdhsa_system_sgpr_workgroup_id_y 0
		.amdhsa_system_sgpr_workgroup_id_z 0
		.amdhsa_system_sgpr_workgroup_info 0
		.amdhsa_system_vgpr_workitem_id 0
		.amdhsa_next_free_vgpr 19
		.amdhsa_next_free_sgpr 44
		.amdhsa_accum_offset 20
		.amdhsa_reserve_vcc 1
		.amdhsa_float_round_mode_32 0
		.amdhsa_float_round_mode_16_64 0
		.amdhsa_float_denorm_mode_32 3
		.amdhsa_float_denorm_mode_16_64 3
		.amdhsa_dx10_clamp 1
		.amdhsa_ieee_mode 1
		.amdhsa_fp16_overflow 0
		.amdhsa_tg_split 0
		.amdhsa_exception_fp_ieee_invalid_op 0
		.amdhsa_exception_fp_denorm_src 0
		.amdhsa_exception_fp_ieee_div_zero 0
		.amdhsa_exception_fp_ieee_overflow 0
		.amdhsa_exception_fp_ieee_underflow 0
		.amdhsa_exception_fp_ieee_inexact 0
		.amdhsa_exception_int_div_zero 0
	.end_amdhsa_kernel
	.section	.text._ZN7rocprim17ROCPRIM_400000_NS6detail17trampoline_kernelINS0_14default_configENS1_38merge_sort_block_merge_config_selectorIlNS0_10empty_typeEEEZZNS1_27merge_sort_block_merge_implIS3_PlPS5_mZN2at6native12_GLOBAL__N_124unique_dim_cuda_templateIN3c108BFloat16EEESt5tupleIJNSA_6TensorESH_SH_EERKSH_lbbbEUlllE_EE10hipError_tT0_T1_T2_jT3_P12ihipStream_tbPNSt15iterator_traitsISN_E10value_typeEPNST_ISO_E10value_typeEPSP_NS1_7vsmem_tEENKUlT_SN_SO_SP_E_clIS8_S8_S9_S9_EESM_S12_SN_SO_SP_EUlS12_E1_NS1_11comp_targetILNS1_3genE5ELNS1_11target_archE942ELNS1_3gpuE9ELNS1_3repE0EEENS1_36merge_oddeven_config_static_selectorELNS0_4arch9wavefront6targetE1EEEvSO_,"axG",@progbits,_ZN7rocprim17ROCPRIM_400000_NS6detail17trampoline_kernelINS0_14default_configENS1_38merge_sort_block_merge_config_selectorIlNS0_10empty_typeEEEZZNS1_27merge_sort_block_merge_implIS3_PlPS5_mZN2at6native12_GLOBAL__N_124unique_dim_cuda_templateIN3c108BFloat16EEESt5tupleIJNSA_6TensorESH_SH_EERKSH_lbbbEUlllE_EE10hipError_tT0_T1_T2_jT3_P12ihipStream_tbPNSt15iterator_traitsISN_E10value_typeEPNST_ISO_E10value_typeEPSP_NS1_7vsmem_tEENKUlT_SN_SO_SP_E_clIS8_S8_S9_S9_EESM_S12_SN_SO_SP_EUlS12_E1_NS1_11comp_targetILNS1_3genE5ELNS1_11target_archE942ELNS1_3gpuE9ELNS1_3repE0EEENS1_36merge_oddeven_config_static_selectorELNS0_4arch9wavefront6targetE1EEEvSO_,comdat
.Lfunc_end1151:
	.size	_ZN7rocprim17ROCPRIM_400000_NS6detail17trampoline_kernelINS0_14default_configENS1_38merge_sort_block_merge_config_selectorIlNS0_10empty_typeEEEZZNS1_27merge_sort_block_merge_implIS3_PlPS5_mZN2at6native12_GLOBAL__N_124unique_dim_cuda_templateIN3c108BFloat16EEESt5tupleIJNSA_6TensorESH_SH_EERKSH_lbbbEUlllE_EE10hipError_tT0_T1_T2_jT3_P12ihipStream_tbPNSt15iterator_traitsISN_E10value_typeEPNST_ISO_E10value_typeEPSP_NS1_7vsmem_tEENKUlT_SN_SO_SP_E_clIS8_S8_S9_S9_EESM_S12_SN_SO_SP_EUlS12_E1_NS1_11comp_targetILNS1_3genE5ELNS1_11target_archE942ELNS1_3gpuE9ELNS1_3repE0EEENS1_36merge_oddeven_config_static_selectorELNS0_4arch9wavefront6targetE1EEEvSO_, .Lfunc_end1151-_ZN7rocprim17ROCPRIM_400000_NS6detail17trampoline_kernelINS0_14default_configENS1_38merge_sort_block_merge_config_selectorIlNS0_10empty_typeEEEZZNS1_27merge_sort_block_merge_implIS3_PlPS5_mZN2at6native12_GLOBAL__N_124unique_dim_cuda_templateIN3c108BFloat16EEESt5tupleIJNSA_6TensorESH_SH_EERKSH_lbbbEUlllE_EE10hipError_tT0_T1_T2_jT3_P12ihipStream_tbPNSt15iterator_traitsISN_E10value_typeEPNST_ISO_E10value_typeEPSP_NS1_7vsmem_tEENKUlT_SN_SO_SP_E_clIS8_S8_S9_S9_EESM_S12_SN_SO_SP_EUlS12_E1_NS1_11comp_targetILNS1_3genE5ELNS1_11target_archE942ELNS1_3gpuE9ELNS1_3repE0EEENS1_36merge_oddeven_config_static_selectorELNS0_4arch9wavefront6targetE1EEEvSO_
                                        ; -- End function
	.section	.AMDGPU.csdata,"",@progbits
; Kernel info:
; codeLenInByte = 1736
; NumSgprs: 50
; NumVgprs: 19
; NumAgprs: 0
; TotalNumVgprs: 19
; ScratchSize: 0
; MemoryBound: 0
; FloatMode: 240
; IeeeMode: 1
; LDSByteSize: 0 bytes/workgroup (compile time only)
; SGPRBlocks: 6
; VGPRBlocks: 2
; NumSGPRsForWavesPerEU: 50
; NumVGPRsForWavesPerEU: 19
; AccumOffset: 20
; Occupancy: 8
; WaveLimiterHint : 0
; COMPUTE_PGM_RSRC2:SCRATCH_EN: 0
; COMPUTE_PGM_RSRC2:USER_SGPR: 2
; COMPUTE_PGM_RSRC2:TRAP_HANDLER: 0
; COMPUTE_PGM_RSRC2:TGID_X_EN: 1
; COMPUTE_PGM_RSRC2:TGID_Y_EN: 0
; COMPUTE_PGM_RSRC2:TGID_Z_EN: 0
; COMPUTE_PGM_RSRC2:TIDIG_COMP_CNT: 0
; COMPUTE_PGM_RSRC3_GFX90A:ACCUM_OFFSET: 4
; COMPUTE_PGM_RSRC3_GFX90A:TG_SPLIT: 0
	.section	.text._ZN7rocprim17ROCPRIM_400000_NS6detail17trampoline_kernelINS0_14default_configENS1_38merge_sort_block_merge_config_selectorIlNS0_10empty_typeEEEZZNS1_27merge_sort_block_merge_implIS3_PlPS5_mZN2at6native12_GLOBAL__N_124unique_dim_cuda_templateIN3c108BFloat16EEESt5tupleIJNSA_6TensorESH_SH_EERKSH_lbbbEUlllE_EE10hipError_tT0_T1_T2_jT3_P12ihipStream_tbPNSt15iterator_traitsISN_E10value_typeEPNST_ISO_E10value_typeEPSP_NS1_7vsmem_tEENKUlT_SN_SO_SP_E_clIS8_S8_S9_S9_EESM_S12_SN_SO_SP_EUlS12_E1_NS1_11comp_targetILNS1_3genE4ELNS1_11target_archE910ELNS1_3gpuE8ELNS1_3repE0EEENS1_36merge_oddeven_config_static_selectorELNS0_4arch9wavefront6targetE1EEEvSO_,"axG",@progbits,_ZN7rocprim17ROCPRIM_400000_NS6detail17trampoline_kernelINS0_14default_configENS1_38merge_sort_block_merge_config_selectorIlNS0_10empty_typeEEEZZNS1_27merge_sort_block_merge_implIS3_PlPS5_mZN2at6native12_GLOBAL__N_124unique_dim_cuda_templateIN3c108BFloat16EEESt5tupleIJNSA_6TensorESH_SH_EERKSH_lbbbEUlllE_EE10hipError_tT0_T1_T2_jT3_P12ihipStream_tbPNSt15iterator_traitsISN_E10value_typeEPNST_ISO_E10value_typeEPSP_NS1_7vsmem_tEENKUlT_SN_SO_SP_E_clIS8_S8_S9_S9_EESM_S12_SN_SO_SP_EUlS12_E1_NS1_11comp_targetILNS1_3genE4ELNS1_11target_archE910ELNS1_3gpuE8ELNS1_3repE0EEENS1_36merge_oddeven_config_static_selectorELNS0_4arch9wavefront6targetE1EEEvSO_,comdat
	.globl	_ZN7rocprim17ROCPRIM_400000_NS6detail17trampoline_kernelINS0_14default_configENS1_38merge_sort_block_merge_config_selectorIlNS0_10empty_typeEEEZZNS1_27merge_sort_block_merge_implIS3_PlPS5_mZN2at6native12_GLOBAL__N_124unique_dim_cuda_templateIN3c108BFloat16EEESt5tupleIJNSA_6TensorESH_SH_EERKSH_lbbbEUlllE_EE10hipError_tT0_T1_T2_jT3_P12ihipStream_tbPNSt15iterator_traitsISN_E10value_typeEPNST_ISO_E10value_typeEPSP_NS1_7vsmem_tEENKUlT_SN_SO_SP_E_clIS8_S8_S9_S9_EESM_S12_SN_SO_SP_EUlS12_E1_NS1_11comp_targetILNS1_3genE4ELNS1_11target_archE910ELNS1_3gpuE8ELNS1_3repE0EEENS1_36merge_oddeven_config_static_selectorELNS0_4arch9wavefront6targetE1EEEvSO_ ; -- Begin function _ZN7rocprim17ROCPRIM_400000_NS6detail17trampoline_kernelINS0_14default_configENS1_38merge_sort_block_merge_config_selectorIlNS0_10empty_typeEEEZZNS1_27merge_sort_block_merge_implIS3_PlPS5_mZN2at6native12_GLOBAL__N_124unique_dim_cuda_templateIN3c108BFloat16EEESt5tupleIJNSA_6TensorESH_SH_EERKSH_lbbbEUlllE_EE10hipError_tT0_T1_T2_jT3_P12ihipStream_tbPNSt15iterator_traitsISN_E10value_typeEPNST_ISO_E10value_typeEPSP_NS1_7vsmem_tEENKUlT_SN_SO_SP_E_clIS8_S8_S9_S9_EESM_S12_SN_SO_SP_EUlS12_E1_NS1_11comp_targetILNS1_3genE4ELNS1_11target_archE910ELNS1_3gpuE8ELNS1_3repE0EEENS1_36merge_oddeven_config_static_selectorELNS0_4arch9wavefront6targetE1EEEvSO_
	.p2align	8
	.type	_ZN7rocprim17ROCPRIM_400000_NS6detail17trampoline_kernelINS0_14default_configENS1_38merge_sort_block_merge_config_selectorIlNS0_10empty_typeEEEZZNS1_27merge_sort_block_merge_implIS3_PlPS5_mZN2at6native12_GLOBAL__N_124unique_dim_cuda_templateIN3c108BFloat16EEESt5tupleIJNSA_6TensorESH_SH_EERKSH_lbbbEUlllE_EE10hipError_tT0_T1_T2_jT3_P12ihipStream_tbPNSt15iterator_traitsISN_E10value_typeEPNST_ISO_E10value_typeEPSP_NS1_7vsmem_tEENKUlT_SN_SO_SP_E_clIS8_S8_S9_S9_EESM_S12_SN_SO_SP_EUlS12_E1_NS1_11comp_targetILNS1_3genE4ELNS1_11target_archE910ELNS1_3gpuE8ELNS1_3repE0EEENS1_36merge_oddeven_config_static_selectorELNS0_4arch9wavefront6targetE1EEEvSO_,@function
_ZN7rocprim17ROCPRIM_400000_NS6detail17trampoline_kernelINS0_14default_configENS1_38merge_sort_block_merge_config_selectorIlNS0_10empty_typeEEEZZNS1_27merge_sort_block_merge_implIS3_PlPS5_mZN2at6native12_GLOBAL__N_124unique_dim_cuda_templateIN3c108BFloat16EEESt5tupleIJNSA_6TensorESH_SH_EERKSH_lbbbEUlllE_EE10hipError_tT0_T1_T2_jT3_P12ihipStream_tbPNSt15iterator_traitsISN_E10value_typeEPNST_ISO_E10value_typeEPSP_NS1_7vsmem_tEENKUlT_SN_SO_SP_E_clIS8_S8_S9_S9_EESM_S12_SN_SO_SP_EUlS12_E1_NS1_11comp_targetILNS1_3genE4ELNS1_11target_archE910ELNS1_3gpuE8ELNS1_3repE0EEENS1_36merge_oddeven_config_static_selectorELNS0_4arch9wavefront6targetE1EEEvSO_: ; @_ZN7rocprim17ROCPRIM_400000_NS6detail17trampoline_kernelINS0_14default_configENS1_38merge_sort_block_merge_config_selectorIlNS0_10empty_typeEEEZZNS1_27merge_sort_block_merge_implIS3_PlPS5_mZN2at6native12_GLOBAL__N_124unique_dim_cuda_templateIN3c108BFloat16EEESt5tupleIJNSA_6TensorESH_SH_EERKSH_lbbbEUlllE_EE10hipError_tT0_T1_T2_jT3_P12ihipStream_tbPNSt15iterator_traitsISN_E10value_typeEPNST_ISO_E10value_typeEPSP_NS1_7vsmem_tEENKUlT_SN_SO_SP_E_clIS8_S8_S9_S9_EESM_S12_SN_SO_SP_EUlS12_E1_NS1_11comp_targetILNS1_3genE4ELNS1_11target_archE910ELNS1_3gpuE8ELNS1_3repE0EEENS1_36merge_oddeven_config_static_selectorELNS0_4arch9wavefront6targetE1EEEvSO_
; %bb.0:
	.section	.rodata,"a",@progbits
	.p2align	6, 0x0
	.amdhsa_kernel _ZN7rocprim17ROCPRIM_400000_NS6detail17trampoline_kernelINS0_14default_configENS1_38merge_sort_block_merge_config_selectorIlNS0_10empty_typeEEEZZNS1_27merge_sort_block_merge_implIS3_PlPS5_mZN2at6native12_GLOBAL__N_124unique_dim_cuda_templateIN3c108BFloat16EEESt5tupleIJNSA_6TensorESH_SH_EERKSH_lbbbEUlllE_EE10hipError_tT0_T1_T2_jT3_P12ihipStream_tbPNSt15iterator_traitsISN_E10value_typeEPNST_ISO_E10value_typeEPSP_NS1_7vsmem_tEENKUlT_SN_SO_SP_E_clIS8_S8_S9_S9_EESM_S12_SN_SO_SP_EUlS12_E1_NS1_11comp_targetILNS1_3genE4ELNS1_11target_archE910ELNS1_3gpuE8ELNS1_3repE0EEENS1_36merge_oddeven_config_static_selectorELNS0_4arch9wavefront6targetE1EEEvSO_
		.amdhsa_group_segment_fixed_size 0
		.amdhsa_private_segment_fixed_size 0
		.amdhsa_kernarg_size 64
		.amdhsa_user_sgpr_count 2
		.amdhsa_user_sgpr_dispatch_ptr 0
		.amdhsa_user_sgpr_queue_ptr 0
		.amdhsa_user_sgpr_kernarg_segment_ptr 1
		.amdhsa_user_sgpr_dispatch_id 0
		.amdhsa_user_sgpr_kernarg_preload_length 0
		.amdhsa_user_sgpr_kernarg_preload_offset 0
		.amdhsa_user_sgpr_private_segment_size 0
		.amdhsa_uses_dynamic_stack 0
		.amdhsa_enable_private_segment 0
		.amdhsa_system_sgpr_workgroup_id_x 1
		.amdhsa_system_sgpr_workgroup_id_y 0
		.amdhsa_system_sgpr_workgroup_id_z 0
		.amdhsa_system_sgpr_workgroup_info 0
		.amdhsa_system_vgpr_workitem_id 0
		.amdhsa_next_free_vgpr 1
		.amdhsa_next_free_sgpr 0
		.amdhsa_accum_offset 4
		.amdhsa_reserve_vcc 0
		.amdhsa_float_round_mode_32 0
		.amdhsa_float_round_mode_16_64 0
		.amdhsa_float_denorm_mode_32 3
		.amdhsa_float_denorm_mode_16_64 3
		.amdhsa_dx10_clamp 1
		.amdhsa_ieee_mode 1
		.amdhsa_fp16_overflow 0
		.amdhsa_tg_split 0
		.amdhsa_exception_fp_ieee_invalid_op 0
		.amdhsa_exception_fp_denorm_src 0
		.amdhsa_exception_fp_ieee_div_zero 0
		.amdhsa_exception_fp_ieee_overflow 0
		.amdhsa_exception_fp_ieee_underflow 0
		.amdhsa_exception_fp_ieee_inexact 0
		.amdhsa_exception_int_div_zero 0
	.end_amdhsa_kernel
	.section	.text._ZN7rocprim17ROCPRIM_400000_NS6detail17trampoline_kernelINS0_14default_configENS1_38merge_sort_block_merge_config_selectorIlNS0_10empty_typeEEEZZNS1_27merge_sort_block_merge_implIS3_PlPS5_mZN2at6native12_GLOBAL__N_124unique_dim_cuda_templateIN3c108BFloat16EEESt5tupleIJNSA_6TensorESH_SH_EERKSH_lbbbEUlllE_EE10hipError_tT0_T1_T2_jT3_P12ihipStream_tbPNSt15iterator_traitsISN_E10value_typeEPNST_ISO_E10value_typeEPSP_NS1_7vsmem_tEENKUlT_SN_SO_SP_E_clIS8_S8_S9_S9_EESM_S12_SN_SO_SP_EUlS12_E1_NS1_11comp_targetILNS1_3genE4ELNS1_11target_archE910ELNS1_3gpuE8ELNS1_3repE0EEENS1_36merge_oddeven_config_static_selectorELNS0_4arch9wavefront6targetE1EEEvSO_,"axG",@progbits,_ZN7rocprim17ROCPRIM_400000_NS6detail17trampoline_kernelINS0_14default_configENS1_38merge_sort_block_merge_config_selectorIlNS0_10empty_typeEEEZZNS1_27merge_sort_block_merge_implIS3_PlPS5_mZN2at6native12_GLOBAL__N_124unique_dim_cuda_templateIN3c108BFloat16EEESt5tupleIJNSA_6TensorESH_SH_EERKSH_lbbbEUlllE_EE10hipError_tT0_T1_T2_jT3_P12ihipStream_tbPNSt15iterator_traitsISN_E10value_typeEPNST_ISO_E10value_typeEPSP_NS1_7vsmem_tEENKUlT_SN_SO_SP_E_clIS8_S8_S9_S9_EESM_S12_SN_SO_SP_EUlS12_E1_NS1_11comp_targetILNS1_3genE4ELNS1_11target_archE910ELNS1_3gpuE8ELNS1_3repE0EEENS1_36merge_oddeven_config_static_selectorELNS0_4arch9wavefront6targetE1EEEvSO_,comdat
.Lfunc_end1152:
	.size	_ZN7rocprim17ROCPRIM_400000_NS6detail17trampoline_kernelINS0_14default_configENS1_38merge_sort_block_merge_config_selectorIlNS0_10empty_typeEEEZZNS1_27merge_sort_block_merge_implIS3_PlPS5_mZN2at6native12_GLOBAL__N_124unique_dim_cuda_templateIN3c108BFloat16EEESt5tupleIJNSA_6TensorESH_SH_EERKSH_lbbbEUlllE_EE10hipError_tT0_T1_T2_jT3_P12ihipStream_tbPNSt15iterator_traitsISN_E10value_typeEPNST_ISO_E10value_typeEPSP_NS1_7vsmem_tEENKUlT_SN_SO_SP_E_clIS8_S8_S9_S9_EESM_S12_SN_SO_SP_EUlS12_E1_NS1_11comp_targetILNS1_3genE4ELNS1_11target_archE910ELNS1_3gpuE8ELNS1_3repE0EEENS1_36merge_oddeven_config_static_selectorELNS0_4arch9wavefront6targetE1EEEvSO_, .Lfunc_end1152-_ZN7rocprim17ROCPRIM_400000_NS6detail17trampoline_kernelINS0_14default_configENS1_38merge_sort_block_merge_config_selectorIlNS0_10empty_typeEEEZZNS1_27merge_sort_block_merge_implIS3_PlPS5_mZN2at6native12_GLOBAL__N_124unique_dim_cuda_templateIN3c108BFloat16EEESt5tupleIJNSA_6TensorESH_SH_EERKSH_lbbbEUlllE_EE10hipError_tT0_T1_T2_jT3_P12ihipStream_tbPNSt15iterator_traitsISN_E10value_typeEPNST_ISO_E10value_typeEPSP_NS1_7vsmem_tEENKUlT_SN_SO_SP_E_clIS8_S8_S9_S9_EESM_S12_SN_SO_SP_EUlS12_E1_NS1_11comp_targetILNS1_3genE4ELNS1_11target_archE910ELNS1_3gpuE8ELNS1_3repE0EEENS1_36merge_oddeven_config_static_selectorELNS0_4arch9wavefront6targetE1EEEvSO_
                                        ; -- End function
	.section	.AMDGPU.csdata,"",@progbits
; Kernel info:
; codeLenInByte = 0
; NumSgprs: 6
; NumVgprs: 0
; NumAgprs: 0
; TotalNumVgprs: 0
; ScratchSize: 0
; MemoryBound: 0
; FloatMode: 240
; IeeeMode: 1
; LDSByteSize: 0 bytes/workgroup (compile time only)
; SGPRBlocks: 0
; VGPRBlocks: 0
; NumSGPRsForWavesPerEU: 6
; NumVGPRsForWavesPerEU: 1
; AccumOffset: 4
; Occupancy: 8
; WaveLimiterHint : 0
; COMPUTE_PGM_RSRC2:SCRATCH_EN: 0
; COMPUTE_PGM_RSRC2:USER_SGPR: 2
; COMPUTE_PGM_RSRC2:TRAP_HANDLER: 0
; COMPUTE_PGM_RSRC2:TGID_X_EN: 1
; COMPUTE_PGM_RSRC2:TGID_Y_EN: 0
; COMPUTE_PGM_RSRC2:TGID_Z_EN: 0
; COMPUTE_PGM_RSRC2:TIDIG_COMP_CNT: 0
; COMPUTE_PGM_RSRC3_GFX90A:ACCUM_OFFSET: 0
; COMPUTE_PGM_RSRC3_GFX90A:TG_SPLIT: 0
	.section	.text._ZN7rocprim17ROCPRIM_400000_NS6detail17trampoline_kernelINS0_14default_configENS1_38merge_sort_block_merge_config_selectorIlNS0_10empty_typeEEEZZNS1_27merge_sort_block_merge_implIS3_PlPS5_mZN2at6native12_GLOBAL__N_124unique_dim_cuda_templateIN3c108BFloat16EEESt5tupleIJNSA_6TensorESH_SH_EERKSH_lbbbEUlllE_EE10hipError_tT0_T1_T2_jT3_P12ihipStream_tbPNSt15iterator_traitsISN_E10value_typeEPNST_ISO_E10value_typeEPSP_NS1_7vsmem_tEENKUlT_SN_SO_SP_E_clIS8_S8_S9_S9_EESM_S12_SN_SO_SP_EUlS12_E1_NS1_11comp_targetILNS1_3genE3ELNS1_11target_archE908ELNS1_3gpuE7ELNS1_3repE0EEENS1_36merge_oddeven_config_static_selectorELNS0_4arch9wavefront6targetE1EEEvSO_,"axG",@progbits,_ZN7rocprim17ROCPRIM_400000_NS6detail17trampoline_kernelINS0_14default_configENS1_38merge_sort_block_merge_config_selectorIlNS0_10empty_typeEEEZZNS1_27merge_sort_block_merge_implIS3_PlPS5_mZN2at6native12_GLOBAL__N_124unique_dim_cuda_templateIN3c108BFloat16EEESt5tupleIJNSA_6TensorESH_SH_EERKSH_lbbbEUlllE_EE10hipError_tT0_T1_T2_jT3_P12ihipStream_tbPNSt15iterator_traitsISN_E10value_typeEPNST_ISO_E10value_typeEPSP_NS1_7vsmem_tEENKUlT_SN_SO_SP_E_clIS8_S8_S9_S9_EESM_S12_SN_SO_SP_EUlS12_E1_NS1_11comp_targetILNS1_3genE3ELNS1_11target_archE908ELNS1_3gpuE7ELNS1_3repE0EEENS1_36merge_oddeven_config_static_selectorELNS0_4arch9wavefront6targetE1EEEvSO_,comdat
	.globl	_ZN7rocprim17ROCPRIM_400000_NS6detail17trampoline_kernelINS0_14default_configENS1_38merge_sort_block_merge_config_selectorIlNS0_10empty_typeEEEZZNS1_27merge_sort_block_merge_implIS3_PlPS5_mZN2at6native12_GLOBAL__N_124unique_dim_cuda_templateIN3c108BFloat16EEESt5tupleIJNSA_6TensorESH_SH_EERKSH_lbbbEUlllE_EE10hipError_tT0_T1_T2_jT3_P12ihipStream_tbPNSt15iterator_traitsISN_E10value_typeEPNST_ISO_E10value_typeEPSP_NS1_7vsmem_tEENKUlT_SN_SO_SP_E_clIS8_S8_S9_S9_EESM_S12_SN_SO_SP_EUlS12_E1_NS1_11comp_targetILNS1_3genE3ELNS1_11target_archE908ELNS1_3gpuE7ELNS1_3repE0EEENS1_36merge_oddeven_config_static_selectorELNS0_4arch9wavefront6targetE1EEEvSO_ ; -- Begin function _ZN7rocprim17ROCPRIM_400000_NS6detail17trampoline_kernelINS0_14default_configENS1_38merge_sort_block_merge_config_selectorIlNS0_10empty_typeEEEZZNS1_27merge_sort_block_merge_implIS3_PlPS5_mZN2at6native12_GLOBAL__N_124unique_dim_cuda_templateIN3c108BFloat16EEESt5tupleIJNSA_6TensorESH_SH_EERKSH_lbbbEUlllE_EE10hipError_tT0_T1_T2_jT3_P12ihipStream_tbPNSt15iterator_traitsISN_E10value_typeEPNST_ISO_E10value_typeEPSP_NS1_7vsmem_tEENKUlT_SN_SO_SP_E_clIS8_S8_S9_S9_EESM_S12_SN_SO_SP_EUlS12_E1_NS1_11comp_targetILNS1_3genE3ELNS1_11target_archE908ELNS1_3gpuE7ELNS1_3repE0EEENS1_36merge_oddeven_config_static_selectorELNS0_4arch9wavefront6targetE1EEEvSO_
	.p2align	8
	.type	_ZN7rocprim17ROCPRIM_400000_NS6detail17trampoline_kernelINS0_14default_configENS1_38merge_sort_block_merge_config_selectorIlNS0_10empty_typeEEEZZNS1_27merge_sort_block_merge_implIS3_PlPS5_mZN2at6native12_GLOBAL__N_124unique_dim_cuda_templateIN3c108BFloat16EEESt5tupleIJNSA_6TensorESH_SH_EERKSH_lbbbEUlllE_EE10hipError_tT0_T1_T2_jT3_P12ihipStream_tbPNSt15iterator_traitsISN_E10value_typeEPNST_ISO_E10value_typeEPSP_NS1_7vsmem_tEENKUlT_SN_SO_SP_E_clIS8_S8_S9_S9_EESM_S12_SN_SO_SP_EUlS12_E1_NS1_11comp_targetILNS1_3genE3ELNS1_11target_archE908ELNS1_3gpuE7ELNS1_3repE0EEENS1_36merge_oddeven_config_static_selectorELNS0_4arch9wavefront6targetE1EEEvSO_,@function
_ZN7rocprim17ROCPRIM_400000_NS6detail17trampoline_kernelINS0_14default_configENS1_38merge_sort_block_merge_config_selectorIlNS0_10empty_typeEEEZZNS1_27merge_sort_block_merge_implIS3_PlPS5_mZN2at6native12_GLOBAL__N_124unique_dim_cuda_templateIN3c108BFloat16EEESt5tupleIJNSA_6TensorESH_SH_EERKSH_lbbbEUlllE_EE10hipError_tT0_T1_T2_jT3_P12ihipStream_tbPNSt15iterator_traitsISN_E10value_typeEPNST_ISO_E10value_typeEPSP_NS1_7vsmem_tEENKUlT_SN_SO_SP_E_clIS8_S8_S9_S9_EESM_S12_SN_SO_SP_EUlS12_E1_NS1_11comp_targetILNS1_3genE3ELNS1_11target_archE908ELNS1_3gpuE7ELNS1_3repE0EEENS1_36merge_oddeven_config_static_selectorELNS0_4arch9wavefront6targetE1EEEvSO_: ; @_ZN7rocprim17ROCPRIM_400000_NS6detail17trampoline_kernelINS0_14default_configENS1_38merge_sort_block_merge_config_selectorIlNS0_10empty_typeEEEZZNS1_27merge_sort_block_merge_implIS3_PlPS5_mZN2at6native12_GLOBAL__N_124unique_dim_cuda_templateIN3c108BFloat16EEESt5tupleIJNSA_6TensorESH_SH_EERKSH_lbbbEUlllE_EE10hipError_tT0_T1_T2_jT3_P12ihipStream_tbPNSt15iterator_traitsISN_E10value_typeEPNST_ISO_E10value_typeEPSP_NS1_7vsmem_tEENKUlT_SN_SO_SP_E_clIS8_S8_S9_S9_EESM_S12_SN_SO_SP_EUlS12_E1_NS1_11comp_targetILNS1_3genE3ELNS1_11target_archE908ELNS1_3gpuE7ELNS1_3repE0EEENS1_36merge_oddeven_config_static_selectorELNS0_4arch9wavefront6targetE1EEEvSO_
; %bb.0:
	.section	.rodata,"a",@progbits
	.p2align	6, 0x0
	.amdhsa_kernel _ZN7rocprim17ROCPRIM_400000_NS6detail17trampoline_kernelINS0_14default_configENS1_38merge_sort_block_merge_config_selectorIlNS0_10empty_typeEEEZZNS1_27merge_sort_block_merge_implIS3_PlPS5_mZN2at6native12_GLOBAL__N_124unique_dim_cuda_templateIN3c108BFloat16EEESt5tupleIJNSA_6TensorESH_SH_EERKSH_lbbbEUlllE_EE10hipError_tT0_T1_T2_jT3_P12ihipStream_tbPNSt15iterator_traitsISN_E10value_typeEPNST_ISO_E10value_typeEPSP_NS1_7vsmem_tEENKUlT_SN_SO_SP_E_clIS8_S8_S9_S9_EESM_S12_SN_SO_SP_EUlS12_E1_NS1_11comp_targetILNS1_3genE3ELNS1_11target_archE908ELNS1_3gpuE7ELNS1_3repE0EEENS1_36merge_oddeven_config_static_selectorELNS0_4arch9wavefront6targetE1EEEvSO_
		.amdhsa_group_segment_fixed_size 0
		.amdhsa_private_segment_fixed_size 0
		.amdhsa_kernarg_size 64
		.amdhsa_user_sgpr_count 2
		.amdhsa_user_sgpr_dispatch_ptr 0
		.amdhsa_user_sgpr_queue_ptr 0
		.amdhsa_user_sgpr_kernarg_segment_ptr 1
		.amdhsa_user_sgpr_dispatch_id 0
		.amdhsa_user_sgpr_kernarg_preload_length 0
		.amdhsa_user_sgpr_kernarg_preload_offset 0
		.amdhsa_user_sgpr_private_segment_size 0
		.amdhsa_uses_dynamic_stack 0
		.amdhsa_enable_private_segment 0
		.amdhsa_system_sgpr_workgroup_id_x 1
		.amdhsa_system_sgpr_workgroup_id_y 0
		.amdhsa_system_sgpr_workgroup_id_z 0
		.amdhsa_system_sgpr_workgroup_info 0
		.amdhsa_system_vgpr_workitem_id 0
		.amdhsa_next_free_vgpr 1
		.amdhsa_next_free_sgpr 0
		.amdhsa_accum_offset 4
		.amdhsa_reserve_vcc 0
		.amdhsa_float_round_mode_32 0
		.amdhsa_float_round_mode_16_64 0
		.amdhsa_float_denorm_mode_32 3
		.amdhsa_float_denorm_mode_16_64 3
		.amdhsa_dx10_clamp 1
		.amdhsa_ieee_mode 1
		.amdhsa_fp16_overflow 0
		.amdhsa_tg_split 0
		.amdhsa_exception_fp_ieee_invalid_op 0
		.amdhsa_exception_fp_denorm_src 0
		.amdhsa_exception_fp_ieee_div_zero 0
		.amdhsa_exception_fp_ieee_overflow 0
		.amdhsa_exception_fp_ieee_underflow 0
		.amdhsa_exception_fp_ieee_inexact 0
		.amdhsa_exception_int_div_zero 0
	.end_amdhsa_kernel
	.section	.text._ZN7rocprim17ROCPRIM_400000_NS6detail17trampoline_kernelINS0_14default_configENS1_38merge_sort_block_merge_config_selectorIlNS0_10empty_typeEEEZZNS1_27merge_sort_block_merge_implIS3_PlPS5_mZN2at6native12_GLOBAL__N_124unique_dim_cuda_templateIN3c108BFloat16EEESt5tupleIJNSA_6TensorESH_SH_EERKSH_lbbbEUlllE_EE10hipError_tT0_T1_T2_jT3_P12ihipStream_tbPNSt15iterator_traitsISN_E10value_typeEPNST_ISO_E10value_typeEPSP_NS1_7vsmem_tEENKUlT_SN_SO_SP_E_clIS8_S8_S9_S9_EESM_S12_SN_SO_SP_EUlS12_E1_NS1_11comp_targetILNS1_3genE3ELNS1_11target_archE908ELNS1_3gpuE7ELNS1_3repE0EEENS1_36merge_oddeven_config_static_selectorELNS0_4arch9wavefront6targetE1EEEvSO_,"axG",@progbits,_ZN7rocprim17ROCPRIM_400000_NS6detail17trampoline_kernelINS0_14default_configENS1_38merge_sort_block_merge_config_selectorIlNS0_10empty_typeEEEZZNS1_27merge_sort_block_merge_implIS3_PlPS5_mZN2at6native12_GLOBAL__N_124unique_dim_cuda_templateIN3c108BFloat16EEESt5tupleIJNSA_6TensorESH_SH_EERKSH_lbbbEUlllE_EE10hipError_tT0_T1_T2_jT3_P12ihipStream_tbPNSt15iterator_traitsISN_E10value_typeEPNST_ISO_E10value_typeEPSP_NS1_7vsmem_tEENKUlT_SN_SO_SP_E_clIS8_S8_S9_S9_EESM_S12_SN_SO_SP_EUlS12_E1_NS1_11comp_targetILNS1_3genE3ELNS1_11target_archE908ELNS1_3gpuE7ELNS1_3repE0EEENS1_36merge_oddeven_config_static_selectorELNS0_4arch9wavefront6targetE1EEEvSO_,comdat
.Lfunc_end1153:
	.size	_ZN7rocprim17ROCPRIM_400000_NS6detail17trampoline_kernelINS0_14default_configENS1_38merge_sort_block_merge_config_selectorIlNS0_10empty_typeEEEZZNS1_27merge_sort_block_merge_implIS3_PlPS5_mZN2at6native12_GLOBAL__N_124unique_dim_cuda_templateIN3c108BFloat16EEESt5tupleIJNSA_6TensorESH_SH_EERKSH_lbbbEUlllE_EE10hipError_tT0_T1_T2_jT3_P12ihipStream_tbPNSt15iterator_traitsISN_E10value_typeEPNST_ISO_E10value_typeEPSP_NS1_7vsmem_tEENKUlT_SN_SO_SP_E_clIS8_S8_S9_S9_EESM_S12_SN_SO_SP_EUlS12_E1_NS1_11comp_targetILNS1_3genE3ELNS1_11target_archE908ELNS1_3gpuE7ELNS1_3repE0EEENS1_36merge_oddeven_config_static_selectorELNS0_4arch9wavefront6targetE1EEEvSO_, .Lfunc_end1153-_ZN7rocprim17ROCPRIM_400000_NS6detail17trampoline_kernelINS0_14default_configENS1_38merge_sort_block_merge_config_selectorIlNS0_10empty_typeEEEZZNS1_27merge_sort_block_merge_implIS3_PlPS5_mZN2at6native12_GLOBAL__N_124unique_dim_cuda_templateIN3c108BFloat16EEESt5tupleIJNSA_6TensorESH_SH_EERKSH_lbbbEUlllE_EE10hipError_tT0_T1_T2_jT3_P12ihipStream_tbPNSt15iterator_traitsISN_E10value_typeEPNST_ISO_E10value_typeEPSP_NS1_7vsmem_tEENKUlT_SN_SO_SP_E_clIS8_S8_S9_S9_EESM_S12_SN_SO_SP_EUlS12_E1_NS1_11comp_targetILNS1_3genE3ELNS1_11target_archE908ELNS1_3gpuE7ELNS1_3repE0EEENS1_36merge_oddeven_config_static_selectorELNS0_4arch9wavefront6targetE1EEEvSO_
                                        ; -- End function
	.section	.AMDGPU.csdata,"",@progbits
; Kernel info:
; codeLenInByte = 0
; NumSgprs: 6
; NumVgprs: 0
; NumAgprs: 0
; TotalNumVgprs: 0
; ScratchSize: 0
; MemoryBound: 0
; FloatMode: 240
; IeeeMode: 1
; LDSByteSize: 0 bytes/workgroup (compile time only)
; SGPRBlocks: 0
; VGPRBlocks: 0
; NumSGPRsForWavesPerEU: 6
; NumVGPRsForWavesPerEU: 1
; AccumOffset: 4
; Occupancy: 8
; WaveLimiterHint : 0
; COMPUTE_PGM_RSRC2:SCRATCH_EN: 0
; COMPUTE_PGM_RSRC2:USER_SGPR: 2
; COMPUTE_PGM_RSRC2:TRAP_HANDLER: 0
; COMPUTE_PGM_RSRC2:TGID_X_EN: 1
; COMPUTE_PGM_RSRC2:TGID_Y_EN: 0
; COMPUTE_PGM_RSRC2:TGID_Z_EN: 0
; COMPUTE_PGM_RSRC2:TIDIG_COMP_CNT: 0
; COMPUTE_PGM_RSRC3_GFX90A:ACCUM_OFFSET: 0
; COMPUTE_PGM_RSRC3_GFX90A:TG_SPLIT: 0
	.section	.text._ZN7rocprim17ROCPRIM_400000_NS6detail17trampoline_kernelINS0_14default_configENS1_38merge_sort_block_merge_config_selectorIlNS0_10empty_typeEEEZZNS1_27merge_sort_block_merge_implIS3_PlPS5_mZN2at6native12_GLOBAL__N_124unique_dim_cuda_templateIN3c108BFloat16EEESt5tupleIJNSA_6TensorESH_SH_EERKSH_lbbbEUlllE_EE10hipError_tT0_T1_T2_jT3_P12ihipStream_tbPNSt15iterator_traitsISN_E10value_typeEPNST_ISO_E10value_typeEPSP_NS1_7vsmem_tEENKUlT_SN_SO_SP_E_clIS8_S8_S9_S9_EESM_S12_SN_SO_SP_EUlS12_E1_NS1_11comp_targetILNS1_3genE2ELNS1_11target_archE906ELNS1_3gpuE6ELNS1_3repE0EEENS1_36merge_oddeven_config_static_selectorELNS0_4arch9wavefront6targetE1EEEvSO_,"axG",@progbits,_ZN7rocprim17ROCPRIM_400000_NS6detail17trampoline_kernelINS0_14default_configENS1_38merge_sort_block_merge_config_selectorIlNS0_10empty_typeEEEZZNS1_27merge_sort_block_merge_implIS3_PlPS5_mZN2at6native12_GLOBAL__N_124unique_dim_cuda_templateIN3c108BFloat16EEESt5tupleIJNSA_6TensorESH_SH_EERKSH_lbbbEUlllE_EE10hipError_tT0_T1_T2_jT3_P12ihipStream_tbPNSt15iterator_traitsISN_E10value_typeEPNST_ISO_E10value_typeEPSP_NS1_7vsmem_tEENKUlT_SN_SO_SP_E_clIS8_S8_S9_S9_EESM_S12_SN_SO_SP_EUlS12_E1_NS1_11comp_targetILNS1_3genE2ELNS1_11target_archE906ELNS1_3gpuE6ELNS1_3repE0EEENS1_36merge_oddeven_config_static_selectorELNS0_4arch9wavefront6targetE1EEEvSO_,comdat
	.globl	_ZN7rocprim17ROCPRIM_400000_NS6detail17trampoline_kernelINS0_14default_configENS1_38merge_sort_block_merge_config_selectorIlNS0_10empty_typeEEEZZNS1_27merge_sort_block_merge_implIS3_PlPS5_mZN2at6native12_GLOBAL__N_124unique_dim_cuda_templateIN3c108BFloat16EEESt5tupleIJNSA_6TensorESH_SH_EERKSH_lbbbEUlllE_EE10hipError_tT0_T1_T2_jT3_P12ihipStream_tbPNSt15iterator_traitsISN_E10value_typeEPNST_ISO_E10value_typeEPSP_NS1_7vsmem_tEENKUlT_SN_SO_SP_E_clIS8_S8_S9_S9_EESM_S12_SN_SO_SP_EUlS12_E1_NS1_11comp_targetILNS1_3genE2ELNS1_11target_archE906ELNS1_3gpuE6ELNS1_3repE0EEENS1_36merge_oddeven_config_static_selectorELNS0_4arch9wavefront6targetE1EEEvSO_ ; -- Begin function _ZN7rocprim17ROCPRIM_400000_NS6detail17trampoline_kernelINS0_14default_configENS1_38merge_sort_block_merge_config_selectorIlNS0_10empty_typeEEEZZNS1_27merge_sort_block_merge_implIS3_PlPS5_mZN2at6native12_GLOBAL__N_124unique_dim_cuda_templateIN3c108BFloat16EEESt5tupleIJNSA_6TensorESH_SH_EERKSH_lbbbEUlllE_EE10hipError_tT0_T1_T2_jT3_P12ihipStream_tbPNSt15iterator_traitsISN_E10value_typeEPNST_ISO_E10value_typeEPSP_NS1_7vsmem_tEENKUlT_SN_SO_SP_E_clIS8_S8_S9_S9_EESM_S12_SN_SO_SP_EUlS12_E1_NS1_11comp_targetILNS1_3genE2ELNS1_11target_archE906ELNS1_3gpuE6ELNS1_3repE0EEENS1_36merge_oddeven_config_static_selectorELNS0_4arch9wavefront6targetE1EEEvSO_
	.p2align	8
	.type	_ZN7rocprim17ROCPRIM_400000_NS6detail17trampoline_kernelINS0_14default_configENS1_38merge_sort_block_merge_config_selectorIlNS0_10empty_typeEEEZZNS1_27merge_sort_block_merge_implIS3_PlPS5_mZN2at6native12_GLOBAL__N_124unique_dim_cuda_templateIN3c108BFloat16EEESt5tupleIJNSA_6TensorESH_SH_EERKSH_lbbbEUlllE_EE10hipError_tT0_T1_T2_jT3_P12ihipStream_tbPNSt15iterator_traitsISN_E10value_typeEPNST_ISO_E10value_typeEPSP_NS1_7vsmem_tEENKUlT_SN_SO_SP_E_clIS8_S8_S9_S9_EESM_S12_SN_SO_SP_EUlS12_E1_NS1_11comp_targetILNS1_3genE2ELNS1_11target_archE906ELNS1_3gpuE6ELNS1_3repE0EEENS1_36merge_oddeven_config_static_selectorELNS0_4arch9wavefront6targetE1EEEvSO_,@function
_ZN7rocprim17ROCPRIM_400000_NS6detail17trampoline_kernelINS0_14default_configENS1_38merge_sort_block_merge_config_selectorIlNS0_10empty_typeEEEZZNS1_27merge_sort_block_merge_implIS3_PlPS5_mZN2at6native12_GLOBAL__N_124unique_dim_cuda_templateIN3c108BFloat16EEESt5tupleIJNSA_6TensorESH_SH_EERKSH_lbbbEUlllE_EE10hipError_tT0_T1_T2_jT3_P12ihipStream_tbPNSt15iterator_traitsISN_E10value_typeEPNST_ISO_E10value_typeEPSP_NS1_7vsmem_tEENKUlT_SN_SO_SP_E_clIS8_S8_S9_S9_EESM_S12_SN_SO_SP_EUlS12_E1_NS1_11comp_targetILNS1_3genE2ELNS1_11target_archE906ELNS1_3gpuE6ELNS1_3repE0EEENS1_36merge_oddeven_config_static_selectorELNS0_4arch9wavefront6targetE1EEEvSO_: ; @_ZN7rocprim17ROCPRIM_400000_NS6detail17trampoline_kernelINS0_14default_configENS1_38merge_sort_block_merge_config_selectorIlNS0_10empty_typeEEEZZNS1_27merge_sort_block_merge_implIS3_PlPS5_mZN2at6native12_GLOBAL__N_124unique_dim_cuda_templateIN3c108BFloat16EEESt5tupleIJNSA_6TensorESH_SH_EERKSH_lbbbEUlllE_EE10hipError_tT0_T1_T2_jT3_P12ihipStream_tbPNSt15iterator_traitsISN_E10value_typeEPNST_ISO_E10value_typeEPSP_NS1_7vsmem_tEENKUlT_SN_SO_SP_E_clIS8_S8_S9_S9_EESM_S12_SN_SO_SP_EUlS12_E1_NS1_11comp_targetILNS1_3genE2ELNS1_11target_archE906ELNS1_3gpuE6ELNS1_3repE0EEENS1_36merge_oddeven_config_static_selectorELNS0_4arch9wavefront6targetE1EEEvSO_
; %bb.0:
	.section	.rodata,"a",@progbits
	.p2align	6, 0x0
	.amdhsa_kernel _ZN7rocprim17ROCPRIM_400000_NS6detail17trampoline_kernelINS0_14default_configENS1_38merge_sort_block_merge_config_selectorIlNS0_10empty_typeEEEZZNS1_27merge_sort_block_merge_implIS3_PlPS5_mZN2at6native12_GLOBAL__N_124unique_dim_cuda_templateIN3c108BFloat16EEESt5tupleIJNSA_6TensorESH_SH_EERKSH_lbbbEUlllE_EE10hipError_tT0_T1_T2_jT3_P12ihipStream_tbPNSt15iterator_traitsISN_E10value_typeEPNST_ISO_E10value_typeEPSP_NS1_7vsmem_tEENKUlT_SN_SO_SP_E_clIS8_S8_S9_S9_EESM_S12_SN_SO_SP_EUlS12_E1_NS1_11comp_targetILNS1_3genE2ELNS1_11target_archE906ELNS1_3gpuE6ELNS1_3repE0EEENS1_36merge_oddeven_config_static_selectorELNS0_4arch9wavefront6targetE1EEEvSO_
		.amdhsa_group_segment_fixed_size 0
		.amdhsa_private_segment_fixed_size 0
		.amdhsa_kernarg_size 64
		.amdhsa_user_sgpr_count 2
		.amdhsa_user_sgpr_dispatch_ptr 0
		.amdhsa_user_sgpr_queue_ptr 0
		.amdhsa_user_sgpr_kernarg_segment_ptr 1
		.amdhsa_user_sgpr_dispatch_id 0
		.amdhsa_user_sgpr_kernarg_preload_length 0
		.amdhsa_user_sgpr_kernarg_preload_offset 0
		.amdhsa_user_sgpr_private_segment_size 0
		.amdhsa_uses_dynamic_stack 0
		.amdhsa_enable_private_segment 0
		.amdhsa_system_sgpr_workgroup_id_x 1
		.amdhsa_system_sgpr_workgroup_id_y 0
		.amdhsa_system_sgpr_workgroup_id_z 0
		.amdhsa_system_sgpr_workgroup_info 0
		.amdhsa_system_vgpr_workitem_id 0
		.amdhsa_next_free_vgpr 1
		.amdhsa_next_free_sgpr 0
		.amdhsa_accum_offset 4
		.amdhsa_reserve_vcc 0
		.amdhsa_float_round_mode_32 0
		.amdhsa_float_round_mode_16_64 0
		.amdhsa_float_denorm_mode_32 3
		.amdhsa_float_denorm_mode_16_64 3
		.amdhsa_dx10_clamp 1
		.amdhsa_ieee_mode 1
		.amdhsa_fp16_overflow 0
		.amdhsa_tg_split 0
		.amdhsa_exception_fp_ieee_invalid_op 0
		.amdhsa_exception_fp_denorm_src 0
		.amdhsa_exception_fp_ieee_div_zero 0
		.amdhsa_exception_fp_ieee_overflow 0
		.amdhsa_exception_fp_ieee_underflow 0
		.amdhsa_exception_fp_ieee_inexact 0
		.amdhsa_exception_int_div_zero 0
	.end_amdhsa_kernel
	.section	.text._ZN7rocprim17ROCPRIM_400000_NS6detail17trampoline_kernelINS0_14default_configENS1_38merge_sort_block_merge_config_selectorIlNS0_10empty_typeEEEZZNS1_27merge_sort_block_merge_implIS3_PlPS5_mZN2at6native12_GLOBAL__N_124unique_dim_cuda_templateIN3c108BFloat16EEESt5tupleIJNSA_6TensorESH_SH_EERKSH_lbbbEUlllE_EE10hipError_tT0_T1_T2_jT3_P12ihipStream_tbPNSt15iterator_traitsISN_E10value_typeEPNST_ISO_E10value_typeEPSP_NS1_7vsmem_tEENKUlT_SN_SO_SP_E_clIS8_S8_S9_S9_EESM_S12_SN_SO_SP_EUlS12_E1_NS1_11comp_targetILNS1_3genE2ELNS1_11target_archE906ELNS1_3gpuE6ELNS1_3repE0EEENS1_36merge_oddeven_config_static_selectorELNS0_4arch9wavefront6targetE1EEEvSO_,"axG",@progbits,_ZN7rocprim17ROCPRIM_400000_NS6detail17trampoline_kernelINS0_14default_configENS1_38merge_sort_block_merge_config_selectorIlNS0_10empty_typeEEEZZNS1_27merge_sort_block_merge_implIS3_PlPS5_mZN2at6native12_GLOBAL__N_124unique_dim_cuda_templateIN3c108BFloat16EEESt5tupleIJNSA_6TensorESH_SH_EERKSH_lbbbEUlllE_EE10hipError_tT0_T1_T2_jT3_P12ihipStream_tbPNSt15iterator_traitsISN_E10value_typeEPNST_ISO_E10value_typeEPSP_NS1_7vsmem_tEENKUlT_SN_SO_SP_E_clIS8_S8_S9_S9_EESM_S12_SN_SO_SP_EUlS12_E1_NS1_11comp_targetILNS1_3genE2ELNS1_11target_archE906ELNS1_3gpuE6ELNS1_3repE0EEENS1_36merge_oddeven_config_static_selectorELNS0_4arch9wavefront6targetE1EEEvSO_,comdat
.Lfunc_end1154:
	.size	_ZN7rocprim17ROCPRIM_400000_NS6detail17trampoline_kernelINS0_14default_configENS1_38merge_sort_block_merge_config_selectorIlNS0_10empty_typeEEEZZNS1_27merge_sort_block_merge_implIS3_PlPS5_mZN2at6native12_GLOBAL__N_124unique_dim_cuda_templateIN3c108BFloat16EEESt5tupleIJNSA_6TensorESH_SH_EERKSH_lbbbEUlllE_EE10hipError_tT0_T1_T2_jT3_P12ihipStream_tbPNSt15iterator_traitsISN_E10value_typeEPNST_ISO_E10value_typeEPSP_NS1_7vsmem_tEENKUlT_SN_SO_SP_E_clIS8_S8_S9_S9_EESM_S12_SN_SO_SP_EUlS12_E1_NS1_11comp_targetILNS1_3genE2ELNS1_11target_archE906ELNS1_3gpuE6ELNS1_3repE0EEENS1_36merge_oddeven_config_static_selectorELNS0_4arch9wavefront6targetE1EEEvSO_, .Lfunc_end1154-_ZN7rocprim17ROCPRIM_400000_NS6detail17trampoline_kernelINS0_14default_configENS1_38merge_sort_block_merge_config_selectorIlNS0_10empty_typeEEEZZNS1_27merge_sort_block_merge_implIS3_PlPS5_mZN2at6native12_GLOBAL__N_124unique_dim_cuda_templateIN3c108BFloat16EEESt5tupleIJNSA_6TensorESH_SH_EERKSH_lbbbEUlllE_EE10hipError_tT0_T1_T2_jT3_P12ihipStream_tbPNSt15iterator_traitsISN_E10value_typeEPNST_ISO_E10value_typeEPSP_NS1_7vsmem_tEENKUlT_SN_SO_SP_E_clIS8_S8_S9_S9_EESM_S12_SN_SO_SP_EUlS12_E1_NS1_11comp_targetILNS1_3genE2ELNS1_11target_archE906ELNS1_3gpuE6ELNS1_3repE0EEENS1_36merge_oddeven_config_static_selectorELNS0_4arch9wavefront6targetE1EEEvSO_
                                        ; -- End function
	.section	.AMDGPU.csdata,"",@progbits
; Kernel info:
; codeLenInByte = 0
; NumSgprs: 6
; NumVgprs: 0
; NumAgprs: 0
; TotalNumVgprs: 0
; ScratchSize: 0
; MemoryBound: 0
; FloatMode: 240
; IeeeMode: 1
; LDSByteSize: 0 bytes/workgroup (compile time only)
; SGPRBlocks: 0
; VGPRBlocks: 0
; NumSGPRsForWavesPerEU: 6
; NumVGPRsForWavesPerEU: 1
; AccumOffset: 4
; Occupancy: 8
; WaveLimiterHint : 0
; COMPUTE_PGM_RSRC2:SCRATCH_EN: 0
; COMPUTE_PGM_RSRC2:USER_SGPR: 2
; COMPUTE_PGM_RSRC2:TRAP_HANDLER: 0
; COMPUTE_PGM_RSRC2:TGID_X_EN: 1
; COMPUTE_PGM_RSRC2:TGID_Y_EN: 0
; COMPUTE_PGM_RSRC2:TGID_Z_EN: 0
; COMPUTE_PGM_RSRC2:TIDIG_COMP_CNT: 0
; COMPUTE_PGM_RSRC3_GFX90A:ACCUM_OFFSET: 0
; COMPUTE_PGM_RSRC3_GFX90A:TG_SPLIT: 0
	.section	.text._ZN7rocprim17ROCPRIM_400000_NS6detail17trampoline_kernelINS0_14default_configENS1_38merge_sort_block_merge_config_selectorIlNS0_10empty_typeEEEZZNS1_27merge_sort_block_merge_implIS3_PlPS5_mZN2at6native12_GLOBAL__N_124unique_dim_cuda_templateIN3c108BFloat16EEESt5tupleIJNSA_6TensorESH_SH_EERKSH_lbbbEUlllE_EE10hipError_tT0_T1_T2_jT3_P12ihipStream_tbPNSt15iterator_traitsISN_E10value_typeEPNST_ISO_E10value_typeEPSP_NS1_7vsmem_tEENKUlT_SN_SO_SP_E_clIS8_S8_S9_S9_EESM_S12_SN_SO_SP_EUlS12_E1_NS1_11comp_targetILNS1_3genE9ELNS1_11target_archE1100ELNS1_3gpuE3ELNS1_3repE0EEENS1_36merge_oddeven_config_static_selectorELNS0_4arch9wavefront6targetE1EEEvSO_,"axG",@progbits,_ZN7rocprim17ROCPRIM_400000_NS6detail17trampoline_kernelINS0_14default_configENS1_38merge_sort_block_merge_config_selectorIlNS0_10empty_typeEEEZZNS1_27merge_sort_block_merge_implIS3_PlPS5_mZN2at6native12_GLOBAL__N_124unique_dim_cuda_templateIN3c108BFloat16EEESt5tupleIJNSA_6TensorESH_SH_EERKSH_lbbbEUlllE_EE10hipError_tT0_T1_T2_jT3_P12ihipStream_tbPNSt15iterator_traitsISN_E10value_typeEPNST_ISO_E10value_typeEPSP_NS1_7vsmem_tEENKUlT_SN_SO_SP_E_clIS8_S8_S9_S9_EESM_S12_SN_SO_SP_EUlS12_E1_NS1_11comp_targetILNS1_3genE9ELNS1_11target_archE1100ELNS1_3gpuE3ELNS1_3repE0EEENS1_36merge_oddeven_config_static_selectorELNS0_4arch9wavefront6targetE1EEEvSO_,comdat
	.globl	_ZN7rocprim17ROCPRIM_400000_NS6detail17trampoline_kernelINS0_14default_configENS1_38merge_sort_block_merge_config_selectorIlNS0_10empty_typeEEEZZNS1_27merge_sort_block_merge_implIS3_PlPS5_mZN2at6native12_GLOBAL__N_124unique_dim_cuda_templateIN3c108BFloat16EEESt5tupleIJNSA_6TensorESH_SH_EERKSH_lbbbEUlllE_EE10hipError_tT0_T1_T2_jT3_P12ihipStream_tbPNSt15iterator_traitsISN_E10value_typeEPNST_ISO_E10value_typeEPSP_NS1_7vsmem_tEENKUlT_SN_SO_SP_E_clIS8_S8_S9_S9_EESM_S12_SN_SO_SP_EUlS12_E1_NS1_11comp_targetILNS1_3genE9ELNS1_11target_archE1100ELNS1_3gpuE3ELNS1_3repE0EEENS1_36merge_oddeven_config_static_selectorELNS0_4arch9wavefront6targetE1EEEvSO_ ; -- Begin function _ZN7rocprim17ROCPRIM_400000_NS6detail17trampoline_kernelINS0_14default_configENS1_38merge_sort_block_merge_config_selectorIlNS0_10empty_typeEEEZZNS1_27merge_sort_block_merge_implIS3_PlPS5_mZN2at6native12_GLOBAL__N_124unique_dim_cuda_templateIN3c108BFloat16EEESt5tupleIJNSA_6TensorESH_SH_EERKSH_lbbbEUlllE_EE10hipError_tT0_T1_T2_jT3_P12ihipStream_tbPNSt15iterator_traitsISN_E10value_typeEPNST_ISO_E10value_typeEPSP_NS1_7vsmem_tEENKUlT_SN_SO_SP_E_clIS8_S8_S9_S9_EESM_S12_SN_SO_SP_EUlS12_E1_NS1_11comp_targetILNS1_3genE9ELNS1_11target_archE1100ELNS1_3gpuE3ELNS1_3repE0EEENS1_36merge_oddeven_config_static_selectorELNS0_4arch9wavefront6targetE1EEEvSO_
	.p2align	8
	.type	_ZN7rocprim17ROCPRIM_400000_NS6detail17trampoline_kernelINS0_14default_configENS1_38merge_sort_block_merge_config_selectorIlNS0_10empty_typeEEEZZNS1_27merge_sort_block_merge_implIS3_PlPS5_mZN2at6native12_GLOBAL__N_124unique_dim_cuda_templateIN3c108BFloat16EEESt5tupleIJNSA_6TensorESH_SH_EERKSH_lbbbEUlllE_EE10hipError_tT0_T1_T2_jT3_P12ihipStream_tbPNSt15iterator_traitsISN_E10value_typeEPNST_ISO_E10value_typeEPSP_NS1_7vsmem_tEENKUlT_SN_SO_SP_E_clIS8_S8_S9_S9_EESM_S12_SN_SO_SP_EUlS12_E1_NS1_11comp_targetILNS1_3genE9ELNS1_11target_archE1100ELNS1_3gpuE3ELNS1_3repE0EEENS1_36merge_oddeven_config_static_selectorELNS0_4arch9wavefront6targetE1EEEvSO_,@function
_ZN7rocprim17ROCPRIM_400000_NS6detail17trampoline_kernelINS0_14default_configENS1_38merge_sort_block_merge_config_selectorIlNS0_10empty_typeEEEZZNS1_27merge_sort_block_merge_implIS3_PlPS5_mZN2at6native12_GLOBAL__N_124unique_dim_cuda_templateIN3c108BFloat16EEESt5tupleIJNSA_6TensorESH_SH_EERKSH_lbbbEUlllE_EE10hipError_tT0_T1_T2_jT3_P12ihipStream_tbPNSt15iterator_traitsISN_E10value_typeEPNST_ISO_E10value_typeEPSP_NS1_7vsmem_tEENKUlT_SN_SO_SP_E_clIS8_S8_S9_S9_EESM_S12_SN_SO_SP_EUlS12_E1_NS1_11comp_targetILNS1_3genE9ELNS1_11target_archE1100ELNS1_3gpuE3ELNS1_3repE0EEENS1_36merge_oddeven_config_static_selectorELNS0_4arch9wavefront6targetE1EEEvSO_: ; @_ZN7rocprim17ROCPRIM_400000_NS6detail17trampoline_kernelINS0_14default_configENS1_38merge_sort_block_merge_config_selectorIlNS0_10empty_typeEEEZZNS1_27merge_sort_block_merge_implIS3_PlPS5_mZN2at6native12_GLOBAL__N_124unique_dim_cuda_templateIN3c108BFloat16EEESt5tupleIJNSA_6TensorESH_SH_EERKSH_lbbbEUlllE_EE10hipError_tT0_T1_T2_jT3_P12ihipStream_tbPNSt15iterator_traitsISN_E10value_typeEPNST_ISO_E10value_typeEPSP_NS1_7vsmem_tEENKUlT_SN_SO_SP_E_clIS8_S8_S9_S9_EESM_S12_SN_SO_SP_EUlS12_E1_NS1_11comp_targetILNS1_3genE9ELNS1_11target_archE1100ELNS1_3gpuE3ELNS1_3repE0EEENS1_36merge_oddeven_config_static_selectorELNS0_4arch9wavefront6targetE1EEEvSO_
; %bb.0:
	.section	.rodata,"a",@progbits
	.p2align	6, 0x0
	.amdhsa_kernel _ZN7rocprim17ROCPRIM_400000_NS6detail17trampoline_kernelINS0_14default_configENS1_38merge_sort_block_merge_config_selectorIlNS0_10empty_typeEEEZZNS1_27merge_sort_block_merge_implIS3_PlPS5_mZN2at6native12_GLOBAL__N_124unique_dim_cuda_templateIN3c108BFloat16EEESt5tupleIJNSA_6TensorESH_SH_EERKSH_lbbbEUlllE_EE10hipError_tT0_T1_T2_jT3_P12ihipStream_tbPNSt15iterator_traitsISN_E10value_typeEPNST_ISO_E10value_typeEPSP_NS1_7vsmem_tEENKUlT_SN_SO_SP_E_clIS8_S8_S9_S9_EESM_S12_SN_SO_SP_EUlS12_E1_NS1_11comp_targetILNS1_3genE9ELNS1_11target_archE1100ELNS1_3gpuE3ELNS1_3repE0EEENS1_36merge_oddeven_config_static_selectorELNS0_4arch9wavefront6targetE1EEEvSO_
		.amdhsa_group_segment_fixed_size 0
		.amdhsa_private_segment_fixed_size 0
		.amdhsa_kernarg_size 64
		.amdhsa_user_sgpr_count 2
		.amdhsa_user_sgpr_dispatch_ptr 0
		.amdhsa_user_sgpr_queue_ptr 0
		.amdhsa_user_sgpr_kernarg_segment_ptr 1
		.amdhsa_user_sgpr_dispatch_id 0
		.amdhsa_user_sgpr_kernarg_preload_length 0
		.amdhsa_user_sgpr_kernarg_preload_offset 0
		.amdhsa_user_sgpr_private_segment_size 0
		.amdhsa_uses_dynamic_stack 0
		.amdhsa_enable_private_segment 0
		.amdhsa_system_sgpr_workgroup_id_x 1
		.amdhsa_system_sgpr_workgroup_id_y 0
		.amdhsa_system_sgpr_workgroup_id_z 0
		.amdhsa_system_sgpr_workgroup_info 0
		.amdhsa_system_vgpr_workitem_id 0
		.amdhsa_next_free_vgpr 1
		.amdhsa_next_free_sgpr 0
		.amdhsa_accum_offset 4
		.amdhsa_reserve_vcc 0
		.amdhsa_float_round_mode_32 0
		.amdhsa_float_round_mode_16_64 0
		.amdhsa_float_denorm_mode_32 3
		.amdhsa_float_denorm_mode_16_64 3
		.amdhsa_dx10_clamp 1
		.amdhsa_ieee_mode 1
		.amdhsa_fp16_overflow 0
		.amdhsa_tg_split 0
		.amdhsa_exception_fp_ieee_invalid_op 0
		.amdhsa_exception_fp_denorm_src 0
		.amdhsa_exception_fp_ieee_div_zero 0
		.amdhsa_exception_fp_ieee_overflow 0
		.amdhsa_exception_fp_ieee_underflow 0
		.amdhsa_exception_fp_ieee_inexact 0
		.amdhsa_exception_int_div_zero 0
	.end_amdhsa_kernel
	.section	.text._ZN7rocprim17ROCPRIM_400000_NS6detail17trampoline_kernelINS0_14default_configENS1_38merge_sort_block_merge_config_selectorIlNS0_10empty_typeEEEZZNS1_27merge_sort_block_merge_implIS3_PlPS5_mZN2at6native12_GLOBAL__N_124unique_dim_cuda_templateIN3c108BFloat16EEESt5tupleIJNSA_6TensorESH_SH_EERKSH_lbbbEUlllE_EE10hipError_tT0_T1_T2_jT3_P12ihipStream_tbPNSt15iterator_traitsISN_E10value_typeEPNST_ISO_E10value_typeEPSP_NS1_7vsmem_tEENKUlT_SN_SO_SP_E_clIS8_S8_S9_S9_EESM_S12_SN_SO_SP_EUlS12_E1_NS1_11comp_targetILNS1_3genE9ELNS1_11target_archE1100ELNS1_3gpuE3ELNS1_3repE0EEENS1_36merge_oddeven_config_static_selectorELNS0_4arch9wavefront6targetE1EEEvSO_,"axG",@progbits,_ZN7rocprim17ROCPRIM_400000_NS6detail17trampoline_kernelINS0_14default_configENS1_38merge_sort_block_merge_config_selectorIlNS0_10empty_typeEEEZZNS1_27merge_sort_block_merge_implIS3_PlPS5_mZN2at6native12_GLOBAL__N_124unique_dim_cuda_templateIN3c108BFloat16EEESt5tupleIJNSA_6TensorESH_SH_EERKSH_lbbbEUlllE_EE10hipError_tT0_T1_T2_jT3_P12ihipStream_tbPNSt15iterator_traitsISN_E10value_typeEPNST_ISO_E10value_typeEPSP_NS1_7vsmem_tEENKUlT_SN_SO_SP_E_clIS8_S8_S9_S9_EESM_S12_SN_SO_SP_EUlS12_E1_NS1_11comp_targetILNS1_3genE9ELNS1_11target_archE1100ELNS1_3gpuE3ELNS1_3repE0EEENS1_36merge_oddeven_config_static_selectorELNS0_4arch9wavefront6targetE1EEEvSO_,comdat
.Lfunc_end1155:
	.size	_ZN7rocprim17ROCPRIM_400000_NS6detail17trampoline_kernelINS0_14default_configENS1_38merge_sort_block_merge_config_selectorIlNS0_10empty_typeEEEZZNS1_27merge_sort_block_merge_implIS3_PlPS5_mZN2at6native12_GLOBAL__N_124unique_dim_cuda_templateIN3c108BFloat16EEESt5tupleIJNSA_6TensorESH_SH_EERKSH_lbbbEUlllE_EE10hipError_tT0_T1_T2_jT3_P12ihipStream_tbPNSt15iterator_traitsISN_E10value_typeEPNST_ISO_E10value_typeEPSP_NS1_7vsmem_tEENKUlT_SN_SO_SP_E_clIS8_S8_S9_S9_EESM_S12_SN_SO_SP_EUlS12_E1_NS1_11comp_targetILNS1_3genE9ELNS1_11target_archE1100ELNS1_3gpuE3ELNS1_3repE0EEENS1_36merge_oddeven_config_static_selectorELNS0_4arch9wavefront6targetE1EEEvSO_, .Lfunc_end1155-_ZN7rocprim17ROCPRIM_400000_NS6detail17trampoline_kernelINS0_14default_configENS1_38merge_sort_block_merge_config_selectorIlNS0_10empty_typeEEEZZNS1_27merge_sort_block_merge_implIS3_PlPS5_mZN2at6native12_GLOBAL__N_124unique_dim_cuda_templateIN3c108BFloat16EEESt5tupleIJNSA_6TensorESH_SH_EERKSH_lbbbEUlllE_EE10hipError_tT0_T1_T2_jT3_P12ihipStream_tbPNSt15iterator_traitsISN_E10value_typeEPNST_ISO_E10value_typeEPSP_NS1_7vsmem_tEENKUlT_SN_SO_SP_E_clIS8_S8_S9_S9_EESM_S12_SN_SO_SP_EUlS12_E1_NS1_11comp_targetILNS1_3genE9ELNS1_11target_archE1100ELNS1_3gpuE3ELNS1_3repE0EEENS1_36merge_oddeven_config_static_selectorELNS0_4arch9wavefront6targetE1EEEvSO_
                                        ; -- End function
	.section	.AMDGPU.csdata,"",@progbits
; Kernel info:
; codeLenInByte = 0
; NumSgprs: 6
; NumVgprs: 0
; NumAgprs: 0
; TotalNumVgprs: 0
; ScratchSize: 0
; MemoryBound: 0
; FloatMode: 240
; IeeeMode: 1
; LDSByteSize: 0 bytes/workgroup (compile time only)
; SGPRBlocks: 0
; VGPRBlocks: 0
; NumSGPRsForWavesPerEU: 6
; NumVGPRsForWavesPerEU: 1
; AccumOffset: 4
; Occupancy: 8
; WaveLimiterHint : 0
; COMPUTE_PGM_RSRC2:SCRATCH_EN: 0
; COMPUTE_PGM_RSRC2:USER_SGPR: 2
; COMPUTE_PGM_RSRC2:TRAP_HANDLER: 0
; COMPUTE_PGM_RSRC2:TGID_X_EN: 1
; COMPUTE_PGM_RSRC2:TGID_Y_EN: 0
; COMPUTE_PGM_RSRC2:TGID_Z_EN: 0
; COMPUTE_PGM_RSRC2:TIDIG_COMP_CNT: 0
; COMPUTE_PGM_RSRC3_GFX90A:ACCUM_OFFSET: 0
; COMPUTE_PGM_RSRC3_GFX90A:TG_SPLIT: 0
	.section	.text._ZN7rocprim17ROCPRIM_400000_NS6detail17trampoline_kernelINS0_14default_configENS1_38merge_sort_block_merge_config_selectorIlNS0_10empty_typeEEEZZNS1_27merge_sort_block_merge_implIS3_PlPS5_mZN2at6native12_GLOBAL__N_124unique_dim_cuda_templateIN3c108BFloat16EEESt5tupleIJNSA_6TensorESH_SH_EERKSH_lbbbEUlllE_EE10hipError_tT0_T1_T2_jT3_P12ihipStream_tbPNSt15iterator_traitsISN_E10value_typeEPNST_ISO_E10value_typeEPSP_NS1_7vsmem_tEENKUlT_SN_SO_SP_E_clIS8_S8_S9_S9_EESM_S12_SN_SO_SP_EUlS12_E1_NS1_11comp_targetILNS1_3genE8ELNS1_11target_archE1030ELNS1_3gpuE2ELNS1_3repE0EEENS1_36merge_oddeven_config_static_selectorELNS0_4arch9wavefront6targetE1EEEvSO_,"axG",@progbits,_ZN7rocprim17ROCPRIM_400000_NS6detail17trampoline_kernelINS0_14default_configENS1_38merge_sort_block_merge_config_selectorIlNS0_10empty_typeEEEZZNS1_27merge_sort_block_merge_implIS3_PlPS5_mZN2at6native12_GLOBAL__N_124unique_dim_cuda_templateIN3c108BFloat16EEESt5tupleIJNSA_6TensorESH_SH_EERKSH_lbbbEUlllE_EE10hipError_tT0_T1_T2_jT3_P12ihipStream_tbPNSt15iterator_traitsISN_E10value_typeEPNST_ISO_E10value_typeEPSP_NS1_7vsmem_tEENKUlT_SN_SO_SP_E_clIS8_S8_S9_S9_EESM_S12_SN_SO_SP_EUlS12_E1_NS1_11comp_targetILNS1_3genE8ELNS1_11target_archE1030ELNS1_3gpuE2ELNS1_3repE0EEENS1_36merge_oddeven_config_static_selectorELNS0_4arch9wavefront6targetE1EEEvSO_,comdat
	.globl	_ZN7rocprim17ROCPRIM_400000_NS6detail17trampoline_kernelINS0_14default_configENS1_38merge_sort_block_merge_config_selectorIlNS0_10empty_typeEEEZZNS1_27merge_sort_block_merge_implIS3_PlPS5_mZN2at6native12_GLOBAL__N_124unique_dim_cuda_templateIN3c108BFloat16EEESt5tupleIJNSA_6TensorESH_SH_EERKSH_lbbbEUlllE_EE10hipError_tT0_T1_T2_jT3_P12ihipStream_tbPNSt15iterator_traitsISN_E10value_typeEPNST_ISO_E10value_typeEPSP_NS1_7vsmem_tEENKUlT_SN_SO_SP_E_clIS8_S8_S9_S9_EESM_S12_SN_SO_SP_EUlS12_E1_NS1_11comp_targetILNS1_3genE8ELNS1_11target_archE1030ELNS1_3gpuE2ELNS1_3repE0EEENS1_36merge_oddeven_config_static_selectorELNS0_4arch9wavefront6targetE1EEEvSO_ ; -- Begin function _ZN7rocprim17ROCPRIM_400000_NS6detail17trampoline_kernelINS0_14default_configENS1_38merge_sort_block_merge_config_selectorIlNS0_10empty_typeEEEZZNS1_27merge_sort_block_merge_implIS3_PlPS5_mZN2at6native12_GLOBAL__N_124unique_dim_cuda_templateIN3c108BFloat16EEESt5tupleIJNSA_6TensorESH_SH_EERKSH_lbbbEUlllE_EE10hipError_tT0_T1_T2_jT3_P12ihipStream_tbPNSt15iterator_traitsISN_E10value_typeEPNST_ISO_E10value_typeEPSP_NS1_7vsmem_tEENKUlT_SN_SO_SP_E_clIS8_S8_S9_S9_EESM_S12_SN_SO_SP_EUlS12_E1_NS1_11comp_targetILNS1_3genE8ELNS1_11target_archE1030ELNS1_3gpuE2ELNS1_3repE0EEENS1_36merge_oddeven_config_static_selectorELNS0_4arch9wavefront6targetE1EEEvSO_
	.p2align	8
	.type	_ZN7rocprim17ROCPRIM_400000_NS6detail17trampoline_kernelINS0_14default_configENS1_38merge_sort_block_merge_config_selectorIlNS0_10empty_typeEEEZZNS1_27merge_sort_block_merge_implIS3_PlPS5_mZN2at6native12_GLOBAL__N_124unique_dim_cuda_templateIN3c108BFloat16EEESt5tupleIJNSA_6TensorESH_SH_EERKSH_lbbbEUlllE_EE10hipError_tT0_T1_T2_jT3_P12ihipStream_tbPNSt15iterator_traitsISN_E10value_typeEPNST_ISO_E10value_typeEPSP_NS1_7vsmem_tEENKUlT_SN_SO_SP_E_clIS8_S8_S9_S9_EESM_S12_SN_SO_SP_EUlS12_E1_NS1_11comp_targetILNS1_3genE8ELNS1_11target_archE1030ELNS1_3gpuE2ELNS1_3repE0EEENS1_36merge_oddeven_config_static_selectorELNS0_4arch9wavefront6targetE1EEEvSO_,@function
_ZN7rocprim17ROCPRIM_400000_NS6detail17trampoline_kernelINS0_14default_configENS1_38merge_sort_block_merge_config_selectorIlNS0_10empty_typeEEEZZNS1_27merge_sort_block_merge_implIS3_PlPS5_mZN2at6native12_GLOBAL__N_124unique_dim_cuda_templateIN3c108BFloat16EEESt5tupleIJNSA_6TensorESH_SH_EERKSH_lbbbEUlllE_EE10hipError_tT0_T1_T2_jT3_P12ihipStream_tbPNSt15iterator_traitsISN_E10value_typeEPNST_ISO_E10value_typeEPSP_NS1_7vsmem_tEENKUlT_SN_SO_SP_E_clIS8_S8_S9_S9_EESM_S12_SN_SO_SP_EUlS12_E1_NS1_11comp_targetILNS1_3genE8ELNS1_11target_archE1030ELNS1_3gpuE2ELNS1_3repE0EEENS1_36merge_oddeven_config_static_selectorELNS0_4arch9wavefront6targetE1EEEvSO_: ; @_ZN7rocprim17ROCPRIM_400000_NS6detail17trampoline_kernelINS0_14default_configENS1_38merge_sort_block_merge_config_selectorIlNS0_10empty_typeEEEZZNS1_27merge_sort_block_merge_implIS3_PlPS5_mZN2at6native12_GLOBAL__N_124unique_dim_cuda_templateIN3c108BFloat16EEESt5tupleIJNSA_6TensorESH_SH_EERKSH_lbbbEUlllE_EE10hipError_tT0_T1_T2_jT3_P12ihipStream_tbPNSt15iterator_traitsISN_E10value_typeEPNST_ISO_E10value_typeEPSP_NS1_7vsmem_tEENKUlT_SN_SO_SP_E_clIS8_S8_S9_S9_EESM_S12_SN_SO_SP_EUlS12_E1_NS1_11comp_targetILNS1_3genE8ELNS1_11target_archE1030ELNS1_3gpuE2ELNS1_3repE0EEENS1_36merge_oddeven_config_static_selectorELNS0_4arch9wavefront6targetE1EEEvSO_
; %bb.0:
	.section	.rodata,"a",@progbits
	.p2align	6, 0x0
	.amdhsa_kernel _ZN7rocprim17ROCPRIM_400000_NS6detail17trampoline_kernelINS0_14default_configENS1_38merge_sort_block_merge_config_selectorIlNS0_10empty_typeEEEZZNS1_27merge_sort_block_merge_implIS3_PlPS5_mZN2at6native12_GLOBAL__N_124unique_dim_cuda_templateIN3c108BFloat16EEESt5tupleIJNSA_6TensorESH_SH_EERKSH_lbbbEUlllE_EE10hipError_tT0_T1_T2_jT3_P12ihipStream_tbPNSt15iterator_traitsISN_E10value_typeEPNST_ISO_E10value_typeEPSP_NS1_7vsmem_tEENKUlT_SN_SO_SP_E_clIS8_S8_S9_S9_EESM_S12_SN_SO_SP_EUlS12_E1_NS1_11comp_targetILNS1_3genE8ELNS1_11target_archE1030ELNS1_3gpuE2ELNS1_3repE0EEENS1_36merge_oddeven_config_static_selectorELNS0_4arch9wavefront6targetE1EEEvSO_
		.amdhsa_group_segment_fixed_size 0
		.amdhsa_private_segment_fixed_size 0
		.amdhsa_kernarg_size 64
		.amdhsa_user_sgpr_count 2
		.amdhsa_user_sgpr_dispatch_ptr 0
		.amdhsa_user_sgpr_queue_ptr 0
		.amdhsa_user_sgpr_kernarg_segment_ptr 1
		.amdhsa_user_sgpr_dispatch_id 0
		.amdhsa_user_sgpr_kernarg_preload_length 0
		.amdhsa_user_sgpr_kernarg_preload_offset 0
		.amdhsa_user_sgpr_private_segment_size 0
		.amdhsa_uses_dynamic_stack 0
		.amdhsa_enable_private_segment 0
		.amdhsa_system_sgpr_workgroup_id_x 1
		.amdhsa_system_sgpr_workgroup_id_y 0
		.amdhsa_system_sgpr_workgroup_id_z 0
		.amdhsa_system_sgpr_workgroup_info 0
		.amdhsa_system_vgpr_workitem_id 0
		.amdhsa_next_free_vgpr 1
		.amdhsa_next_free_sgpr 0
		.amdhsa_accum_offset 4
		.amdhsa_reserve_vcc 0
		.amdhsa_float_round_mode_32 0
		.amdhsa_float_round_mode_16_64 0
		.amdhsa_float_denorm_mode_32 3
		.amdhsa_float_denorm_mode_16_64 3
		.amdhsa_dx10_clamp 1
		.amdhsa_ieee_mode 1
		.amdhsa_fp16_overflow 0
		.amdhsa_tg_split 0
		.amdhsa_exception_fp_ieee_invalid_op 0
		.amdhsa_exception_fp_denorm_src 0
		.amdhsa_exception_fp_ieee_div_zero 0
		.amdhsa_exception_fp_ieee_overflow 0
		.amdhsa_exception_fp_ieee_underflow 0
		.amdhsa_exception_fp_ieee_inexact 0
		.amdhsa_exception_int_div_zero 0
	.end_amdhsa_kernel
	.section	.text._ZN7rocprim17ROCPRIM_400000_NS6detail17trampoline_kernelINS0_14default_configENS1_38merge_sort_block_merge_config_selectorIlNS0_10empty_typeEEEZZNS1_27merge_sort_block_merge_implIS3_PlPS5_mZN2at6native12_GLOBAL__N_124unique_dim_cuda_templateIN3c108BFloat16EEESt5tupleIJNSA_6TensorESH_SH_EERKSH_lbbbEUlllE_EE10hipError_tT0_T1_T2_jT3_P12ihipStream_tbPNSt15iterator_traitsISN_E10value_typeEPNST_ISO_E10value_typeEPSP_NS1_7vsmem_tEENKUlT_SN_SO_SP_E_clIS8_S8_S9_S9_EESM_S12_SN_SO_SP_EUlS12_E1_NS1_11comp_targetILNS1_3genE8ELNS1_11target_archE1030ELNS1_3gpuE2ELNS1_3repE0EEENS1_36merge_oddeven_config_static_selectorELNS0_4arch9wavefront6targetE1EEEvSO_,"axG",@progbits,_ZN7rocprim17ROCPRIM_400000_NS6detail17trampoline_kernelINS0_14default_configENS1_38merge_sort_block_merge_config_selectorIlNS0_10empty_typeEEEZZNS1_27merge_sort_block_merge_implIS3_PlPS5_mZN2at6native12_GLOBAL__N_124unique_dim_cuda_templateIN3c108BFloat16EEESt5tupleIJNSA_6TensorESH_SH_EERKSH_lbbbEUlllE_EE10hipError_tT0_T1_T2_jT3_P12ihipStream_tbPNSt15iterator_traitsISN_E10value_typeEPNST_ISO_E10value_typeEPSP_NS1_7vsmem_tEENKUlT_SN_SO_SP_E_clIS8_S8_S9_S9_EESM_S12_SN_SO_SP_EUlS12_E1_NS1_11comp_targetILNS1_3genE8ELNS1_11target_archE1030ELNS1_3gpuE2ELNS1_3repE0EEENS1_36merge_oddeven_config_static_selectorELNS0_4arch9wavefront6targetE1EEEvSO_,comdat
.Lfunc_end1156:
	.size	_ZN7rocprim17ROCPRIM_400000_NS6detail17trampoline_kernelINS0_14default_configENS1_38merge_sort_block_merge_config_selectorIlNS0_10empty_typeEEEZZNS1_27merge_sort_block_merge_implIS3_PlPS5_mZN2at6native12_GLOBAL__N_124unique_dim_cuda_templateIN3c108BFloat16EEESt5tupleIJNSA_6TensorESH_SH_EERKSH_lbbbEUlllE_EE10hipError_tT0_T1_T2_jT3_P12ihipStream_tbPNSt15iterator_traitsISN_E10value_typeEPNST_ISO_E10value_typeEPSP_NS1_7vsmem_tEENKUlT_SN_SO_SP_E_clIS8_S8_S9_S9_EESM_S12_SN_SO_SP_EUlS12_E1_NS1_11comp_targetILNS1_3genE8ELNS1_11target_archE1030ELNS1_3gpuE2ELNS1_3repE0EEENS1_36merge_oddeven_config_static_selectorELNS0_4arch9wavefront6targetE1EEEvSO_, .Lfunc_end1156-_ZN7rocprim17ROCPRIM_400000_NS6detail17trampoline_kernelINS0_14default_configENS1_38merge_sort_block_merge_config_selectorIlNS0_10empty_typeEEEZZNS1_27merge_sort_block_merge_implIS3_PlPS5_mZN2at6native12_GLOBAL__N_124unique_dim_cuda_templateIN3c108BFloat16EEESt5tupleIJNSA_6TensorESH_SH_EERKSH_lbbbEUlllE_EE10hipError_tT0_T1_T2_jT3_P12ihipStream_tbPNSt15iterator_traitsISN_E10value_typeEPNST_ISO_E10value_typeEPSP_NS1_7vsmem_tEENKUlT_SN_SO_SP_E_clIS8_S8_S9_S9_EESM_S12_SN_SO_SP_EUlS12_E1_NS1_11comp_targetILNS1_3genE8ELNS1_11target_archE1030ELNS1_3gpuE2ELNS1_3repE0EEENS1_36merge_oddeven_config_static_selectorELNS0_4arch9wavefront6targetE1EEEvSO_
                                        ; -- End function
	.section	.AMDGPU.csdata,"",@progbits
; Kernel info:
; codeLenInByte = 0
; NumSgprs: 6
; NumVgprs: 0
; NumAgprs: 0
; TotalNumVgprs: 0
; ScratchSize: 0
; MemoryBound: 0
; FloatMode: 240
; IeeeMode: 1
; LDSByteSize: 0 bytes/workgroup (compile time only)
; SGPRBlocks: 0
; VGPRBlocks: 0
; NumSGPRsForWavesPerEU: 6
; NumVGPRsForWavesPerEU: 1
; AccumOffset: 4
; Occupancy: 8
; WaveLimiterHint : 0
; COMPUTE_PGM_RSRC2:SCRATCH_EN: 0
; COMPUTE_PGM_RSRC2:USER_SGPR: 2
; COMPUTE_PGM_RSRC2:TRAP_HANDLER: 0
; COMPUTE_PGM_RSRC2:TGID_X_EN: 1
; COMPUTE_PGM_RSRC2:TGID_Y_EN: 0
; COMPUTE_PGM_RSRC2:TGID_Z_EN: 0
; COMPUTE_PGM_RSRC2:TIDIG_COMP_CNT: 0
; COMPUTE_PGM_RSRC3_GFX90A:ACCUM_OFFSET: 0
; COMPUTE_PGM_RSRC3_GFX90A:TG_SPLIT: 0
	.section	.text._ZN7rocprim17ROCPRIM_400000_NS6detail17trampoline_kernelINS0_14default_configENS1_35adjacent_difference_config_selectorILb0ElEEZNS1_24adjacent_difference_implIS3_Lb0ELb0EPlS7_ZN2at6native12_GLOBAL__N_124unique_dim_cuda_templateIN3c108BFloat16EEESt5tupleIJNS8_6TensorESF_SF_EERKSF_lbbbEUlllE1_EE10hipError_tPvRmT2_T3_mT4_P12ihipStream_tbEUlT_E_NS1_11comp_targetILNS1_3genE0ELNS1_11target_archE4294967295ELNS1_3gpuE0ELNS1_3repE0EEENS1_30default_config_static_selectorELNS0_4arch9wavefront6targetE1EEEvT1_,"axG",@progbits,_ZN7rocprim17ROCPRIM_400000_NS6detail17trampoline_kernelINS0_14default_configENS1_35adjacent_difference_config_selectorILb0ElEEZNS1_24adjacent_difference_implIS3_Lb0ELb0EPlS7_ZN2at6native12_GLOBAL__N_124unique_dim_cuda_templateIN3c108BFloat16EEESt5tupleIJNS8_6TensorESF_SF_EERKSF_lbbbEUlllE1_EE10hipError_tPvRmT2_T3_mT4_P12ihipStream_tbEUlT_E_NS1_11comp_targetILNS1_3genE0ELNS1_11target_archE4294967295ELNS1_3gpuE0ELNS1_3repE0EEENS1_30default_config_static_selectorELNS0_4arch9wavefront6targetE1EEEvT1_,comdat
	.globl	_ZN7rocprim17ROCPRIM_400000_NS6detail17trampoline_kernelINS0_14default_configENS1_35adjacent_difference_config_selectorILb0ElEEZNS1_24adjacent_difference_implIS3_Lb0ELb0EPlS7_ZN2at6native12_GLOBAL__N_124unique_dim_cuda_templateIN3c108BFloat16EEESt5tupleIJNS8_6TensorESF_SF_EERKSF_lbbbEUlllE1_EE10hipError_tPvRmT2_T3_mT4_P12ihipStream_tbEUlT_E_NS1_11comp_targetILNS1_3genE0ELNS1_11target_archE4294967295ELNS1_3gpuE0ELNS1_3repE0EEENS1_30default_config_static_selectorELNS0_4arch9wavefront6targetE1EEEvT1_ ; -- Begin function _ZN7rocprim17ROCPRIM_400000_NS6detail17trampoline_kernelINS0_14default_configENS1_35adjacent_difference_config_selectorILb0ElEEZNS1_24adjacent_difference_implIS3_Lb0ELb0EPlS7_ZN2at6native12_GLOBAL__N_124unique_dim_cuda_templateIN3c108BFloat16EEESt5tupleIJNS8_6TensorESF_SF_EERKSF_lbbbEUlllE1_EE10hipError_tPvRmT2_T3_mT4_P12ihipStream_tbEUlT_E_NS1_11comp_targetILNS1_3genE0ELNS1_11target_archE4294967295ELNS1_3gpuE0ELNS1_3repE0EEENS1_30default_config_static_selectorELNS0_4arch9wavefront6targetE1EEEvT1_
	.p2align	8
	.type	_ZN7rocprim17ROCPRIM_400000_NS6detail17trampoline_kernelINS0_14default_configENS1_35adjacent_difference_config_selectorILb0ElEEZNS1_24adjacent_difference_implIS3_Lb0ELb0EPlS7_ZN2at6native12_GLOBAL__N_124unique_dim_cuda_templateIN3c108BFloat16EEESt5tupleIJNS8_6TensorESF_SF_EERKSF_lbbbEUlllE1_EE10hipError_tPvRmT2_T3_mT4_P12ihipStream_tbEUlT_E_NS1_11comp_targetILNS1_3genE0ELNS1_11target_archE4294967295ELNS1_3gpuE0ELNS1_3repE0EEENS1_30default_config_static_selectorELNS0_4arch9wavefront6targetE1EEEvT1_,@function
_ZN7rocprim17ROCPRIM_400000_NS6detail17trampoline_kernelINS0_14default_configENS1_35adjacent_difference_config_selectorILb0ElEEZNS1_24adjacent_difference_implIS3_Lb0ELb0EPlS7_ZN2at6native12_GLOBAL__N_124unique_dim_cuda_templateIN3c108BFloat16EEESt5tupleIJNS8_6TensorESF_SF_EERKSF_lbbbEUlllE1_EE10hipError_tPvRmT2_T3_mT4_P12ihipStream_tbEUlT_E_NS1_11comp_targetILNS1_3genE0ELNS1_11target_archE4294967295ELNS1_3gpuE0ELNS1_3repE0EEENS1_30default_config_static_selectorELNS0_4arch9wavefront6targetE1EEEvT1_: ; @_ZN7rocprim17ROCPRIM_400000_NS6detail17trampoline_kernelINS0_14default_configENS1_35adjacent_difference_config_selectorILb0ElEEZNS1_24adjacent_difference_implIS3_Lb0ELb0EPlS7_ZN2at6native12_GLOBAL__N_124unique_dim_cuda_templateIN3c108BFloat16EEESt5tupleIJNS8_6TensorESF_SF_EERKSF_lbbbEUlllE1_EE10hipError_tPvRmT2_T3_mT4_P12ihipStream_tbEUlT_E_NS1_11comp_targetILNS1_3genE0ELNS1_11target_archE4294967295ELNS1_3gpuE0ELNS1_3repE0EEENS1_30default_config_static_selectorELNS0_4arch9wavefront6targetE1EEEvT1_
; %bb.0:
	.section	.rodata,"a",@progbits
	.p2align	6, 0x0
	.amdhsa_kernel _ZN7rocprim17ROCPRIM_400000_NS6detail17trampoline_kernelINS0_14default_configENS1_35adjacent_difference_config_selectorILb0ElEEZNS1_24adjacent_difference_implIS3_Lb0ELb0EPlS7_ZN2at6native12_GLOBAL__N_124unique_dim_cuda_templateIN3c108BFloat16EEESt5tupleIJNS8_6TensorESF_SF_EERKSF_lbbbEUlllE1_EE10hipError_tPvRmT2_T3_mT4_P12ihipStream_tbEUlT_E_NS1_11comp_targetILNS1_3genE0ELNS1_11target_archE4294967295ELNS1_3gpuE0ELNS1_3repE0EEENS1_30default_config_static_selectorELNS0_4arch9wavefront6targetE1EEEvT1_
		.amdhsa_group_segment_fixed_size 0
		.amdhsa_private_segment_fixed_size 0
		.amdhsa_kernarg_size 64
		.amdhsa_user_sgpr_count 2
		.amdhsa_user_sgpr_dispatch_ptr 0
		.amdhsa_user_sgpr_queue_ptr 0
		.amdhsa_user_sgpr_kernarg_segment_ptr 1
		.amdhsa_user_sgpr_dispatch_id 0
		.amdhsa_user_sgpr_kernarg_preload_length 0
		.amdhsa_user_sgpr_kernarg_preload_offset 0
		.amdhsa_user_sgpr_private_segment_size 0
		.amdhsa_uses_dynamic_stack 0
		.amdhsa_enable_private_segment 0
		.amdhsa_system_sgpr_workgroup_id_x 1
		.amdhsa_system_sgpr_workgroup_id_y 0
		.amdhsa_system_sgpr_workgroup_id_z 0
		.amdhsa_system_sgpr_workgroup_info 0
		.amdhsa_system_vgpr_workitem_id 0
		.amdhsa_next_free_vgpr 1
		.amdhsa_next_free_sgpr 0
		.amdhsa_accum_offset 4
		.amdhsa_reserve_vcc 0
		.amdhsa_float_round_mode_32 0
		.amdhsa_float_round_mode_16_64 0
		.amdhsa_float_denorm_mode_32 3
		.amdhsa_float_denorm_mode_16_64 3
		.amdhsa_dx10_clamp 1
		.amdhsa_ieee_mode 1
		.amdhsa_fp16_overflow 0
		.amdhsa_tg_split 0
		.amdhsa_exception_fp_ieee_invalid_op 0
		.amdhsa_exception_fp_denorm_src 0
		.amdhsa_exception_fp_ieee_div_zero 0
		.amdhsa_exception_fp_ieee_overflow 0
		.amdhsa_exception_fp_ieee_underflow 0
		.amdhsa_exception_fp_ieee_inexact 0
		.amdhsa_exception_int_div_zero 0
	.end_amdhsa_kernel
	.section	.text._ZN7rocprim17ROCPRIM_400000_NS6detail17trampoline_kernelINS0_14default_configENS1_35adjacent_difference_config_selectorILb0ElEEZNS1_24adjacent_difference_implIS3_Lb0ELb0EPlS7_ZN2at6native12_GLOBAL__N_124unique_dim_cuda_templateIN3c108BFloat16EEESt5tupleIJNS8_6TensorESF_SF_EERKSF_lbbbEUlllE1_EE10hipError_tPvRmT2_T3_mT4_P12ihipStream_tbEUlT_E_NS1_11comp_targetILNS1_3genE0ELNS1_11target_archE4294967295ELNS1_3gpuE0ELNS1_3repE0EEENS1_30default_config_static_selectorELNS0_4arch9wavefront6targetE1EEEvT1_,"axG",@progbits,_ZN7rocprim17ROCPRIM_400000_NS6detail17trampoline_kernelINS0_14default_configENS1_35adjacent_difference_config_selectorILb0ElEEZNS1_24adjacent_difference_implIS3_Lb0ELb0EPlS7_ZN2at6native12_GLOBAL__N_124unique_dim_cuda_templateIN3c108BFloat16EEESt5tupleIJNS8_6TensorESF_SF_EERKSF_lbbbEUlllE1_EE10hipError_tPvRmT2_T3_mT4_P12ihipStream_tbEUlT_E_NS1_11comp_targetILNS1_3genE0ELNS1_11target_archE4294967295ELNS1_3gpuE0ELNS1_3repE0EEENS1_30default_config_static_selectorELNS0_4arch9wavefront6targetE1EEEvT1_,comdat
.Lfunc_end1157:
	.size	_ZN7rocprim17ROCPRIM_400000_NS6detail17trampoline_kernelINS0_14default_configENS1_35adjacent_difference_config_selectorILb0ElEEZNS1_24adjacent_difference_implIS3_Lb0ELb0EPlS7_ZN2at6native12_GLOBAL__N_124unique_dim_cuda_templateIN3c108BFloat16EEESt5tupleIJNS8_6TensorESF_SF_EERKSF_lbbbEUlllE1_EE10hipError_tPvRmT2_T3_mT4_P12ihipStream_tbEUlT_E_NS1_11comp_targetILNS1_3genE0ELNS1_11target_archE4294967295ELNS1_3gpuE0ELNS1_3repE0EEENS1_30default_config_static_selectorELNS0_4arch9wavefront6targetE1EEEvT1_, .Lfunc_end1157-_ZN7rocprim17ROCPRIM_400000_NS6detail17trampoline_kernelINS0_14default_configENS1_35adjacent_difference_config_selectorILb0ElEEZNS1_24adjacent_difference_implIS3_Lb0ELb0EPlS7_ZN2at6native12_GLOBAL__N_124unique_dim_cuda_templateIN3c108BFloat16EEESt5tupleIJNS8_6TensorESF_SF_EERKSF_lbbbEUlllE1_EE10hipError_tPvRmT2_T3_mT4_P12ihipStream_tbEUlT_E_NS1_11comp_targetILNS1_3genE0ELNS1_11target_archE4294967295ELNS1_3gpuE0ELNS1_3repE0EEENS1_30default_config_static_selectorELNS0_4arch9wavefront6targetE1EEEvT1_
                                        ; -- End function
	.section	.AMDGPU.csdata,"",@progbits
; Kernel info:
; codeLenInByte = 0
; NumSgprs: 6
; NumVgprs: 0
; NumAgprs: 0
; TotalNumVgprs: 0
; ScratchSize: 0
; MemoryBound: 0
; FloatMode: 240
; IeeeMode: 1
; LDSByteSize: 0 bytes/workgroup (compile time only)
; SGPRBlocks: 0
; VGPRBlocks: 0
; NumSGPRsForWavesPerEU: 6
; NumVGPRsForWavesPerEU: 1
; AccumOffset: 4
; Occupancy: 8
; WaveLimiterHint : 0
; COMPUTE_PGM_RSRC2:SCRATCH_EN: 0
; COMPUTE_PGM_RSRC2:USER_SGPR: 2
; COMPUTE_PGM_RSRC2:TRAP_HANDLER: 0
; COMPUTE_PGM_RSRC2:TGID_X_EN: 1
; COMPUTE_PGM_RSRC2:TGID_Y_EN: 0
; COMPUTE_PGM_RSRC2:TGID_Z_EN: 0
; COMPUTE_PGM_RSRC2:TIDIG_COMP_CNT: 0
; COMPUTE_PGM_RSRC3_GFX90A:ACCUM_OFFSET: 0
; COMPUTE_PGM_RSRC3_GFX90A:TG_SPLIT: 0
	.section	.text._ZN7rocprim17ROCPRIM_400000_NS6detail17trampoline_kernelINS0_14default_configENS1_35adjacent_difference_config_selectorILb0ElEEZNS1_24adjacent_difference_implIS3_Lb0ELb0EPlS7_ZN2at6native12_GLOBAL__N_124unique_dim_cuda_templateIN3c108BFloat16EEESt5tupleIJNS8_6TensorESF_SF_EERKSF_lbbbEUlllE1_EE10hipError_tPvRmT2_T3_mT4_P12ihipStream_tbEUlT_E_NS1_11comp_targetILNS1_3genE10ELNS1_11target_archE1201ELNS1_3gpuE5ELNS1_3repE0EEENS1_30default_config_static_selectorELNS0_4arch9wavefront6targetE1EEEvT1_,"axG",@progbits,_ZN7rocprim17ROCPRIM_400000_NS6detail17trampoline_kernelINS0_14default_configENS1_35adjacent_difference_config_selectorILb0ElEEZNS1_24adjacent_difference_implIS3_Lb0ELb0EPlS7_ZN2at6native12_GLOBAL__N_124unique_dim_cuda_templateIN3c108BFloat16EEESt5tupleIJNS8_6TensorESF_SF_EERKSF_lbbbEUlllE1_EE10hipError_tPvRmT2_T3_mT4_P12ihipStream_tbEUlT_E_NS1_11comp_targetILNS1_3genE10ELNS1_11target_archE1201ELNS1_3gpuE5ELNS1_3repE0EEENS1_30default_config_static_selectorELNS0_4arch9wavefront6targetE1EEEvT1_,comdat
	.globl	_ZN7rocprim17ROCPRIM_400000_NS6detail17trampoline_kernelINS0_14default_configENS1_35adjacent_difference_config_selectorILb0ElEEZNS1_24adjacent_difference_implIS3_Lb0ELb0EPlS7_ZN2at6native12_GLOBAL__N_124unique_dim_cuda_templateIN3c108BFloat16EEESt5tupleIJNS8_6TensorESF_SF_EERKSF_lbbbEUlllE1_EE10hipError_tPvRmT2_T3_mT4_P12ihipStream_tbEUlT_E_NS1_11comp_targetILNS1_3genE10ELNS1_11target_archE1201ELNS1_3gpuE5ELNS1_3repE0EEENS1_30default_config_static_selectorELNS0_4arch9wavefront6targetE1EEEvT1_ ; -- Begin function _ZN7rocprim17ROCPRIM_400000_NS6detail17trampoline_kernelINS0_14default_configENS1_35adjacent_difference_config_selectorILb0ElEEZNS1_24adjacent_difference_implIS3_Lb0ELb0EPlS7_ZN2at6native12_GLOBAL__N_124unique_dim_cuda_templateIN3c108BFloat16EEESt5tupleIJNS8_6TensorESF_SF_EERKSF_lbbbEUlllE1_EE10hipError_tPvRmT2_T3_mT4_P12ihipStream_tbEUlT_E_NS1_11comp_targetILNS1_3genE10ELNS1_11target_archE1201ELNS1_3gpuE5ELNS1_3repE0EEENS1_30default_config_static_selectorELNS0_4arch9wavefront6targetE1EEEvT1_
	.p2align	8
	.type	_ZN7rocprim17ROCPRIM_400000_NS6detail17trampoline_kernelINS0_14default_configENS1_35adjacent_difference_config_selectorILb0ElEEZNS1_24adjacent_difference_implIS3_Lb0ELb0EPlS7_ZN2at6native12_GLOBAL__N_124unique_dim_cuda_templateIN3c108BFloat16EEESt5tupleIJNS8_6TensorESF_SF_EERKSF_lbbbEUlllE1_EE10hipError_tPvRmT2_T3_mT4_P12ihipStream_tbEUlT_E_NS1_11comp_targetILNS1_3genE10ELNS1_11target_archE1201ELNS1_3gpuE5ELNS1_3repE0EEENS1_30default_config_static_selectorELNS0_4arch9wavefront6targetE1EEEvT1_,@function
_ZN7rocprim17ROCPRIM_400000_NS6detail17trampoline_kernelINS0_14default_configENS1_35adjacent_difference_config_selectorILb0ElEEZNS1_24adjacent_difference_implIS3_Lb0ELb0EPlS7_ZN2at6native12_GLOBAL__N_124unique_dim_cuda_templateIN3c108BFloat16EEESt5tupleIJNS8_6TensorESF_SF_EERKSF_lbbbEUlllE1_EE10hipError_tPvRmT2_T3_mT4_P12ihipStream_tbEUlT_E_NS1_11comp_targetILNS1_3genE10ELNS1_11target_archE1201ELNS1_3gpuE5ELNS1_3repE0EEENS1_30default_config_static_selectorELNS0_4arch9wavefront6targetE1EEEvT1_: ; @_ZN7rocprim17ROCPRIM_400000_NS6detail17trampoline_kernelINS0_14default_configENS1_35adjacent_difference_config_selectorILb0ElEEZNS1_24adjacent_difference_implIS3_Lb0ELb0EPlS7_ZN2at6native12_GLOBAL__N_124unique_dim_cuda_templateIN3c108BFloat16EEESt5tupleIJNS8_6TensorESF_SF_EERKSF_lbbbEUlllE1_EE10hipError_tPvRmT2_T3_mT4_P12ihipStream_tbEUlT_E_NS1_11comp_targetILNS1_3genE10ELNS1_11target_archE1201ELNS1_3gpuE5ELNS1_3repE0EEENS1_30default_config_static_selectorELNS0_4arch9wavefront6targetE1EEEvT1_
; %bb.0:
	.section	.rodata,"a",@progbits
	.p2align	6, 0x0
	.amdhsa_kernel _ZN7rocprim17ROCPRIM_400000_NS6detail17trampoline_kernelINS0_14default_configENS1_35adjacent_difference_config_selectorILb0ElEEZNS1_24adjacent_difference_implIS3_Lb0ELb0EPlS7_ZN2at6native12_GLOBAL__N_124unique_dim_cuda_templateIN3c108BFloat16EEESt5tupleIJNS8_6TensorESF_SF_EERKSF_lbbbEUlllE1_EE10hipError_tPvRmT2_T3_mT4_P12ihipStream_tbEUlT_E_NS1_11comp_targetILNS1_3genE10ELNS1_11target_archE1201ELNS1_3gpuE5ELNS1_3repE0EEENS1_30default_config_static_selectorELNS0_4arch9wavefront6targetE1EEEvT1_
		.amdhsa_group_segment_fixed_size 0
		.amdhsa_private_segment_fixed_size 0
		.amdhsa_kernarg_size 64
		.amdhsa_user_sgpr_count 2
		.amdhsa_user_sgpr_dispatch_ptr 0
		.amdhsa_user_sgpr_queue_ptr 0
		.amdhsa_user_sgpr_kernarg_segment_ptr 1
		.amdhsa_user_sgpr_dispatch_id 0
		.amdhsa_user_sgpr_kernarg_preload_length 0
		.amdhsa_user_sgpr_kernarg_preload_offset 0
		.amdhsa_user_sgpr_private_segment_size 0
		.amdhsa_uses_dynamic_stack 0
		.amdhsa_enable_private_segment 0
		.amdhsa_system_sgpr_workgroup_id_x 1
		.amdhsa_system_sgpr_workgroup_id_y 0
		.amdhsa_system_sgpr_workgroup_id_z 0
		.amdhsa_system_sgpr_workgroup_info 0
		.amdhsa_system_vgpr_workitem_id 0
		.amdhsa_next_free_vgpr 1
		.amdhsa_next_free_sgpr 0
		.amdhsa_accum_offset 4
		.amdhsa_reserve_vcc 0
		.amdhsa_float_round_mode_32 0
		.amdhsa_float_round_mode_16_64 0
		.amdhsa_float_denorm_mode_32 3
		.amdhsa_float_denorm_mode_16_64 3
		.amdhsa_dx10_clamp 1
		.amdhsa_ieee_mode 1
		.amdhsa_fp16_overflow 0
		.amdhsa_tg_split 0
		.amdhsa_exception_fp_ieee_invalid_op 0
		.amdhsa_exception_fp_denorm_src 0
		.amdhsa_exception_fp_ieee_div_zero 0
		.amdhsa_exception_fp_ieee_overflow 0
		.amdhsa_exception_fp_ieee_underflow 0
		.amdhsa_exception_fp_ieee_inexact 0
		.amdhsa_exception_int_div_zero 0
	.end_amdhsa_kernel
	.section	.text._ZN7rocprim17ROCPRIM_400000_NS6detail17trampoline_kernelINS0_14default_configENS1_35adjacent_difference_config_selectorILb0ElEEZNS1_24adjacent_difference_implIS3_Lb0ELb0EPlS7_ZN2at6native12_GLOBAL__N_124unique_dim_cuda_templateIN3c108BFloat16EEESt5tupleIJNS8_6TensorESF_SF_EERKSF_lbbbEUlllE1_EE10hipError_tPvRmT2_T3_mT4_P12ihipStream_tbEUlT_E_NS1_11comp_targetILNS1_3genE10ELNS1_11target_archE1201ELNS1_3gpuE5ELNS1_3repE0EEENS1_30default_config_static_selectorELNS0_4arch9wavefront6targetE1EEEvT1_,"axG",@progbits,_ZN7rocprim17ROCPRIM_400000_NS6detail17trampoline_kernelINS0_14default_configENS1_35adjacent_difference_config_selectorILb0ElEEZNS1_24adjacent_difference_implIS3_Lb0ELb0EPlS7_ZN2at6native12_GLOBAL__N_124unique_dim_cuda_templateIN3c108BFloat16EEESt5tupleIJNS8_6TensorESF_SF_EERKSF_lbbbEUlllE1_EE10hipError_tPvRmT2_T3_mT4_P12ihipStream_tbEUlT_E_NS1_11comp_targetILNS1_3genE10ELNS1_11target_archE1201ELNS1_3gpuE5ELNS1_3repE0EEENS1_30default_config_static_selectorELNS0_4arch9wavefront6targetE1EEEvT1_,comdat
.Lfunc_end1158:
	.size	_ZN7rocprim17ROCPRIM_400000_NS6detail17trampoline_kernelINS0_14default_configENS1_35adjacent_difference_config_selectorILb0ElEEZNS1_24adjacent_difference_implIS3_Lb0ELb0EPlS7_ZN2at6native12_GLOBAL__N_124unique_dim_cuda_templateIN3c108BFloat16EEESt5tupleIJNS8_6TensorESF_SF_EERKSF_lbbbEUlllE1_EE10hipError_tPvRmT2_T3_mT4_P12ihipStream_tbEUlT_E_NS1_11comp_targetILNS1_3genE10ELNS1_11target_archE1201ELNS1_3gpuE5ELNS1_3repE0EEENS1_30default_config_static_selectorELNS0_4arch9wavefront6targetE1EEEvT1_, .Lfunc_end1158-_ZN7rocprim17ROCPRIM_400000_NS6detail17trampoline_kernelINS0_14default_configENS1_35adjacent_difference_config_selectorILb0ElEEZNS1_24adjacent_difference_implIS3_Lb0ELb0EPlS7_ZN2at6native12_GLOBAL__N_124unique_dim_cuda_templateIN3c108BFloat16EEESt5tupleIJNS8_6TensorESF_SF_EERKSF_lbbbEUlllE1_EE10hipError_tPvRmT2_T3_mT4_P12ihipStream_tbEUlT_E_NS1_11comp_targetILNS1_3genE10ELNS1_11target_archE1201ELNS1_3gpuE5ELNS1_3repE0EEENS1_30default_config_static_selectorELNS0_4arch9wavefront6targetE1EEEvT1_
                                        ; -- End function
	.section	.AMDGPU.csdata,"",@progbits
; Kernel info:
; codeLenInByte = 0
; NumSgprs: 6
; NumVgprs: 0
; NumAgprs: 0
; TotalNumVgprs: 0
; ScratchSize: 0
; MemoryBound: 0
; FloatMode: 240
; IeeeMode: 1
; LDSByteSize: 0 bytes/workgroup (compile time only)
; SGPRBlocks: 0
; VGPRBlocks: 0
; NumSGPRsForWavesPerEU: 6
; NumVGPRsForWavesPerEU: 1
; AccumOffset: 4
; Occupancy: 8
; WaveLimiterHint : 0
; COMPUTE_PGM_RSRC2:SCRATCH_EN: 0
; COMPUTE_PGM_RSRC2:USER_SGPR: 2
; COMPUTE_PGM_RSRC2:TRAP_HANDLER: 0
; COMPUTE_PGM_RSRC2:TGID_X_EN: 1
; COMPUTE_PGM_RSRC2:TGID_Y_EN: 0
; COMPUTE_PGM_RSRC2:TGID_Z_EN: 0
; COMPUTE_PGM_RSRC2:TIDIG_COMP_CNT: 0
; COMPUTE_PGM_RSRC3_GFX90A:ACCUM_OFFSET: 0
; COMPUTE_PGM_RSRC3_GFX90A:TG_SPLIT: 0
	.section	.text._ZN7rocprim17ROCPRIM_400000_NS6detail17trampoline_kernelINS0_14default_configENS1_35adjacent_difference_config_selectorILb0ElEEZNS1_24adjacent_difference_implIS3_Lb0ELb0EPlS7_ZN2at6native12_GLOBAL__N_124unique_dim_cuda_templateIN3c108BFloat16EEESt5tupleIJNS8_6TensorESF_SF_EERKSF_lbbbEUlllE1_EE10hipError_tPvRmT2_T3_mT4_P12ihipStream_tbEUlT_E_NS1_11comp_targetILNS1_3genE5ELNS1_11target_archE942ELNS1_3gpuE9ELNS1_3repE0EEENS1_30default_config_static_selectorELNS0_4arch9wavefront6targetE1EEEvT1_,"axG",@progbits,_ZN7rocprim17ROCPRIM_400000_NS6detail17trampoline_kernelINS0_14default_configENS1_35adjacent_difference_config_selectorILb0ElEEZNS1_24adjacent_difference_implIS3_Lb0ELb0EPlS7_ZN2at6native12_GLOBAL__N_124unique_dim_cuda_templateIN3c108BFloat16EEESt5tupleIJNS8_6TensorESF_SF_EERKSF_lbbbEUlllE1_EE10hipError_tPvRmT2_T3_mT4_P12ihipStream_tbEUlT_E_NS1_11comp_targetILNS1_3genE5ELNS1_11target_archE942ELNS1_3gpuE9ELNS1_3repE0EEENS1_30default_config_static_selectorELNS0_4arch9wavefront6targetE1EEEvT1_,comdat
	.globl	_ZN7rocprim17ROCPRIM_400000_NS6detail17trampoline_kernelINS0_14default_configENS1_35adjacent_difference_config_selectorILb0ElEEZNS1_24adjacent_difference_implIS3_Lb0ELb0EPlS7_ZN2at6native12_GLOBAL__N_124unique_dim_cuda_templateIN3c108BFloat16EEESt5tupleIJNS8_6TensorESF_SF_EERKSF_lbbbEUlllE1_EE10hipError_tPvRmT2_T3_mT4_P12ihipStream_tbEUlT_E_NS1_11comp_targetILNS1_3genE5ELNS1_11target_archE942ELNS1_3gpuE9ELNS1_3repE0EEENS1_30default_config_static_selectorELNS0_4arch9wavefront6targetE1EEEvT1_ ; -- Begin function _ZN7rocprim17ROCPRIM_400000_NS6detail17trampoline_kernelINS0_14default_configENS1_35adjacent_difference_config_selectorILb0ElEEZNS1_24adjacent_difference_implIS3_Lb0ELb0EPlS7_ZN2at6native12_GLOBAL__N_124unique_dim_cuda_templateIN3c108BFloat16EEESt5tupleIJNS8_6TensorESF_SF_EERKSF_lbbbEUlllE1_EE10hipError_tPvRmT2_T3_mT4_P12ihipStream_tbEUlT_E_NS1_11comp_targetILNS1_3genE5ELNS1_11target_archE942ELNS1_3gpuE9ELNS1_3repE0EEENS1_30default_config_static_selectorELNS0_4arch9wavefront6targetE1EEEvT1_
	.p2align	8
	.type	_ZN7rocprim17ROCPRIM_400000_NS6detail17trampoline_kernelINS0_14default_configENS1_35adjacent_difference_config_selectorILb0ElEEZNS1_24adjacent_difference_implIS3_Lb0ELb0EPlS7_ZN2at6native12_GLOBAL__N_124unique_dim_cuda_templateIN3c108BFloat16EEESt5tupleIJNS8_6TensorESF_SF_EERKSF_lbbbEUlllE1_EE10hipError_tPvRmT2_T3_mT4_P12ihipStream_tbEUlT_E_NS1_11comp_targetILNS1_3genE5ELNS1_11target_archE942ELNS1_3gpuE9ELNS1_3repE0EEENS1_30default_config_static_selectorELNS0_4arch9wavefront6targetE1EEEvT1_,@function
_ZN7rocprim17ROCPRIM_400000_NS6detail17trampoline_kernelINS0_14default_configENS1_35adjacent_difference_config_selectorILb0ElEEZNS1_24adjacent_difference_implIS3_Lb0ELb0EPlS7_ZN2at6native12_GLOBAL__N_124unique_dim_cuda_templateIN3c108BFloat16EEESt5tupleIJNS8_6TensorESF_SF_EERKSF_lbbbEUlllE1_EE10hipError_tPvRmT2_T3_mT4_P12ihipStream_tbEUlT_E_NS1_11comp_targetILNS1_3genE5ELNS1_11target_archE942ELNS1_3gpuE9ELNS1_3repE0EEENS1_30default_config_static_selectorELNS0_4arch9wavefront6targetE1EEEvT1_: ; @_ZN7rocprim17ROCPRIM_400000_NS6detail17trampoline_kernelINS0_14default_configENS1_35adjacent_difference_config_selectorILb0ElEEZNS1_24adjacent_difference_implIS3_Lb0ELb0EPlS7_ZN2at6native12_GLOBAL__N_124unique_dim_cuda_templateIN3c108BFloat16EEESt5tupleIJNS8_6TensorESF_SF_EERKSF_lbbbEUlllE1_EE10hipError_tPvRmT2_T3_mT4_P12ihipStream_tbEUlT_E_NS1_11comp_targetILNS1_3genE5ELNS1_11target_archE942ELNS1_3gpuE9ELNS1_3repE0EEENS1_30default_config_static_selectorELNS0_4arch9wavefront6targetE1EEEvT1_
; %bb.0:
	s_load_dwordx8 s[4:11], s[0:1], 0x0
	s_load_dwordx4 s[12:15], s[0:1], 0x20
	s_load_dwordx2 s[18:19], s[0:1], 0x38
	s_mov_b32 s1, 0xcec4e8e0
	v_bfrev_b32_e32 v1, 1
	s_waitcnt lgkmcnt(0)
	s_lshl_b64 s[16:17], s[6:7], 3
	s_add_u32 s24, s4, s16
	s_addc_u32 s25, s5, s17
	s_add_u32 s1, 0x150, s1
	s_addc_u32 s3, 0, 0
	v_add_co_u32_e32 v1, vcc, s1, v1
	s_cmp_lg_u64 vcc, 0
	v_readfirstlane_b32 s4, v1
	s_addc_u32 s1, s3, 0x4ec4eb
	s_mul_hi_u32 s5, s4, 0xfffffcc0
	s_mul_i32 s3, s1, 0xfffffcc0
	s_sub_i32 s5, s5, s4
	s_add_i32 s5, s5, s3
	s_mul_i32 s21, s4, 0xfffffcc0
	s_mul_hi_u32 s3, s4, s5
	s_mul_i32 s20, s4, s5
	s_mul_hi_u32 s4, s4, s21
	s_add_u32 s4, s4, s20
	s_addc_u32 s3, 0, s3
	s_mul_hi_u32 s22, s1, s21
	s_mul_i32 s21, s1, s21
	s_add_u32 s4, s4, s21
	s_mul_hi_u32 s20, s1, s5
	s_addc_u32 s3, s3, s22
	s_addc_u32 s4, s20, 0
	s_mul_i32 s5, s1, s5
	s_add_u32 s3, s3, s5
	s_addc_u32 s4, 0, s4
	v_add_co_u32_e32 v1, vcc, s3, v1
	s_cmp_lg_u64 vcc, 0
	s_addc_u32 s1, s1, s4
	v_readfirstlane_b32 s5, v1
	s_mul_i32 s4, s10, s1
	s_mul_hi_u32 s20, s10, s5
	s_mul_hi_u32 s3, s10, s1
	s_add_u32 s4, s20, s4
	s_addc_u32 s3, 0, s3
	s_mul_hi_u32 s21, s11, s5
	s_mul_i32 s5, s11, s5
	s_add_u32 s4, s4, s5
	s_mul_hi_u32 s20, s11, s1
	s_addc_u32 s3, s3, s21
	s_addc_u32 s4, s20, 0
	s_mul_i32 s1, s11, s1
	s_add_u32 s1, s3, s1
	s_addc_u32 s3, 0, s4
	s_add_u32 s4, s1, 1
	s_addc_u32 s5, s3, 0
	s_add_u32 s20, s1, 2
	s_mul_i32 s22, s3, 0x340
	s_mul_hi_u32 s23, s1, 0x340
	s_addc_u32 s21, s3, 0
	s_add_i32 s23, s23, s22
	s_mul_i32 s22, s1, 0x340
	v_mov_b32_e32 v1, s22
	v_sub_co_u32_e32 v1, vcc, s10, v1
	s_movk_i32 s0, 0x340
	s_cmp_lg_u64 vcc, 0
	s_subb_u32 s22, s11, s23
	v_subrev_co_u32_e32 v2, vcc, s0, v1
	s_cmp_lg_u64 vcc, 0
	s_subb_u32 s0, s22, 0
	v_readfirstlane_b32 s23, v2
	s_cmpk_gt_u32 s23, 0x33f
	s_cselect_b32 s23, -1, 0
	s_cmp_eq_u32 s0, 0
	s_cselect_b32 s0, s23, -1
	s_cmp_lg_u32 s0, 0
	s_cselect_b32 s0, s20, s4
	s_cselect_b32 s4, s21, s5
	v_readfirstlane_b32 s5, v1
	s_cmpk_gt_u32 s5, 0x33f
	s_cselect_b32 s5, -1, 0
	s_cmp_eq_u32 s22, 0
	s_cselect_b32 s5, s5, -1
	s_cmp_lg_u32 s5, 0
	s_cselect_b32 s3, s4, s3
	s_cselect_b32 s4, s0, s1
	s_mul_i32 s0, s3, 0x340
	s_mul_hi_u32 s1, s4, 0x340
	s_add_i32 s1, s1, s0
	s_mul_i32 s0, s4, 0x340
	s_sub_u32 s0, s10, s0
	s_subb_u32 s1, s11, s1
	s_cmp_lg_u64 s[0:1], 0
	s_cselect_b64 s[0:1], -1, 0
	v_cndmask_b32_e64 v1, 0, 1, s[0:1]
	s_mul_i32 s6, s2, 0x340
	v_readfirstlane_b32 s0, v1
	s_add_u32 s4, s4, s0
	s_addc_u32 s5, s3, 0
	s_add_u32 s22, s18, s2
	s_addc_u32 s23, s19, 0
	s_add_u32 s2, s4, -1
	s_addc_u32 s3, s5, -1
	v_mov_b64_e32 v[2:3], s[2:3]
	v_cmp_ge_u64_e64 s[0:1], s[22:23], v[2:3]
	s_mov_b32 s7, 0
	s_mov_b64 s[18:19], -1
	s_and_b64 vcc, exec, s[0:1]
	s_mul_i32 s11, s2, 0xfffffcc0
	s_cbranch_vccz .LBB1159_28
; %bb.1:
	s_add_i32 s26, s11, s10
	s_lshl_b64 s[18:19], s[6:7], 3
	s_add_u32 s18, s24, s18
	s_addc_u32 s19, s25, s19
	v_cmp_gt_u32_e32 vcc, s26, v0
                                        ; implicit-def: $vgpr2_vgpr3_vgpr4_vgpr5_vgpr6_vgpr7_vgpr8_vgpr9_vgpr10_vgpr11_vgpr12_vgpr13_vgpr14_vgpr15_vgpr16_vgpr17_vgpr18_vgpr19_vgpr20_vgpr21_vgpr22_vgpr23_vgpr24_vgpr25_vgpr26_vgpr27_vgpr28_vgpr29_vgpr30_vgpr31_vgpr32_vgpr33
	s_and_saveexec_b64 s[20:21], vcc
	s_cbranch_execz .LBB1159_3
; %bb.2:
	v_lshlrev_b32_e32 v1, 3, v0
	global_load_dwordx2 v[2:3], v1, s[18:19]
.LBB1159_3:
	s_or_b64 exec, exec, s[20:21]
	v_or_b32_e32 v1, 64, v0
	v_cmp_gt_u32_e32 vcc, s26, v1
	s_and_saveexec_b64 s[20:21], vcc
	s_cbranch_execz .LBB1159_5
; %bb.4:
	v_lshlrev_b32_e32 v1, 3, v0
	global_load_dwordx2 v[4:5], v1, s[18:19] offset:512
.LBB1159_5:
	s_or_b64 exec, exec, s[20:21]
	v_or_b32_e32 v1, 0x80, v0
	v_cmp_gt_u32_e32 vcc, s26, v1
	s_and_saveexec_b64 s[20:21], vcc
	s_cbranch_execz .LBB1159_7
; %bb.6:
	v_lshlrev_b32_e32 v1, 3, v0
	global_load_dwordx2 v[6:7], v1, s[18:19] offset:1024
.LBB1159_7:
	;; [unrolled: 9-line block ×7, first 2 shown]
	s_or_b64 exec, exec, s[20:21]
	v_or_b32_e32 v1, 0x200, v0
	v_cmp_gt_u32_e32 vcc, s26, v1
	s_and_saveexec_b64 s[20:21], vcc
	s_cbranch_execz .LBB1159_19
; %bb.18:
	v_lshlrev_b32_e32 v1, 3, v1
	global_load_dwordx2 v[18:19], v1, s[18:19]
.LBB1159_19:
	s_or_b64 exec, exec, s[20:21]
	v_or_b32_e32 v1, 0x240, v0
	v_cmp_gt_u32_e32 vcc, s26, v1
	s_and_saveexec_b64 s[20:21], vcc
	s_cbranch_execz .LBB1159_21
; %bb.20:
	v_lshlrev_b32_e32 v1, 3, v1
	global_load_dwordx2 v[20:21], v1, s[18:19]
.LBB1159_21:
	;; [unrolled: 9-line block ×5, first 2 shown]
	s_or_b64 exec, exec, s[20:21]
	v_lshlrev_b32_e32 v1, 3, v0
	s_mov_b64 s[18:19], 0
	s_waitcnt vmcnt(0)
	ds_write2st64_b64 v1, v[2:3], v[4:5] offset1:1
	ds_write2st64_b64 v1, v[6:7], v[8:9] offset0:2 offset1:3
	ds_write2st64_b64 v1, v[10:11], v[12:13] offset0:4 offset1:5
	;; [unrolled: 1-line block ×5, first 2 shown]
	ds_write_b64 v1, v[26:27] offset:6144
	s_waitcnt lgkmcnt(0)
	; wave barrier
.LBB1159_28:
	s_and_b64 vcc, exec, s[18:19]
	v_lshlrev_b32_e32 v48, 3, v0
	s_cbranch_vccz .LBB1159_30
; %bb.29:
	s_lshl_b64 s[18:19], s[6:7], 3
	s_add_u32 s18, s24, s18
	s_addc_u32 s19, s25, s19
	v_mov_b32_e32 v49, 0
	v_lshl_add_u64 v[2:3], s[18:19], 0, v[48:49]
	s_movk_i32 s7, 0x1000
	v_add_co_u32_e32 v2, vcc, s7, v2
	global_load_dwordx2 v[4:5], v48, s[18:19]
	global_load_dwordx2 v[6:7], v48, s[18:19] offset:512
	global_load_dwordx2 v[8:9], v48, s[18:19] offset:1024
	;; [unrolled: 1-line block ×7, first 2 shown]
	v_addc_co_u32_e32 v3, vcc, 0, v3, vcc
	global_load_dwordx2 v[20:21], v[2:3], off
	global_load_dwordx2 v[22:23], v[2:3], off offset:512
	global_load_dwordx2 v[24:25], v[2:3], off offset:1024
	global_load_dwordx2 v[26:27], v[2:3], off offset:1536
	global_load_dwordx2 v[28:29], v[2:3], off offset:2048
	s_waitcnt vmcnt(11)
	ds_write2st64_b64 v48, v[4:5], v[6:7] offset1:1
	s_waitcnt vmcnt(9)
	ds_write2st64_b64 v48, v[8:9], v[10:11] offset0:2 offset1:3
	s_waitcnt vmcnt(7)
	ds_write2st64_b64 v48, v[12:13], v[14:15] offset0:4 offset1:5
	;; [unrolled: 2-line block ×5, first 2 shown]
	s_waitcnt vmcnt(0)
	ds_write_b64 v48, v[28:29] offset:6144
	s_waitcnt lgkmcnt(0)
	; wave barrier
.LBB1159_30:
	v_mul_u32_u24_e32 v1, 13, v0
	v_lshlrev_b32_e32 v1, 3, v1
	s_waitcnt lgkmcnt(0)
	ds_read2_b64 v[2:5], v1 offset1:1
	ds_read2_b64 v[6:9], v1 offset0:2 offset1:3
	ds_read2_b64 v[10:13], v1 offset0:4 offset1:5
	;; [unrolled: 1-line block ×5, first 2 shown]
	ds_read_b64 v[44:45], v1 offset:96
	s_cmp_eq_u64 s[22:23], 0
	s_mov_b64 s[18:19], 0
	s_waitcnt lgkmcnt(0)
	; wave barrier
	s_waitcnt lgkmcnt(0)
	s_cbranch_scc1 .LBB1159_39
; %bb.31:
	s_mov_b32 s7, 0
	s_lshl_b64 s[20:21], s[6:7], 3
	s_add_u32 s7, s24, s20
	s_addc_u32 s21, s25, s21
	s_add_u32 s20, s7, -8
	s_addc_u32 s21, s21, -1
	s_load_dwordx2 s[20:21], s[20:21], 0x0
	s_cmp_lg_u64 s[22:23], s[2:3]
	s_cbranch_scc0 .LBB1159_40
; %bb.32:
	v_mul_lo_u32 v1, v25, s12
	v_mul_lo_u32 v28, v24, s13
	v_mad_u64_u32 v[26:27], s[24:25], v24, s12, 0
	v_mov_b64_e32 v[46:47], 0
	v_cmp_lt_i64_e64 s[2:3], s[12:13], 1
	v_add3_u32 v27, v27, v28, v1
	v_cmp_gt_i64_e64 s[18:19], s[12:13], 0
	s_and_b64 vcc, exec, s[2:3]
	v_lshl_add_u64 v[26:27], v[26:27], 1, s[14:15]
	v_mov_b64_e32 v[50:51], v[46:47]
	ds_write_b64 v48, v[44:45]
	s_cbranch_vccnz .LBB1159_44
; %bb.33:
	v_mul_lo_u32 v1, v45, s12
	v_mul_lo_u32 v30, v44, s13
	v_mad_u64_u32 v[28:29], s[2:3], v44, s12, 0
	v_add3_u32 v29, v29, v30, v1
	v_lshl_add_u64 v[30:31], v[28:29], 1, s[14:15]
	global_load_ushort v1, v[30:31], off
	global_load_ushort v28, v[26:27], off
	v_mov_b64_e32 v[50:51], 1
	s_waitcnt vmcnt(1)
	v_lshlrev_b32_e32 v1, 16, v1
	s_waitcnt vmcnt(0)
	v_lshlrev_b32_e32 v28, 16, v28
	v_cmp_eq_f32_e32 vcc, v1, v28
	s_and_saveexec_b64 s[2:3], vcc
	s_cbranch_execz .LBB1159_43
; %bb.34:
	s_add_u32 s24, s12, -1
	v_lshl_add_u64 v[28:29], v[26:27], 0, 2
	v_lshl_add_u64 v[30:31], v[30:31], 0, 2
	s_addc_u32 s25, s13, -1
	s_mov_b64 s[26:27], 0
	s_mov_b64 s[30:31], 0
                                        ; implicit-def: $sgpr28_sgpr29
	s_branch .LBB1159_37
.LBB1159_35:                            ;   in Loop: Header=BB1159_37 Depth=1
	global_load_ushort v1, v[28:29], off
	global_load_ushort v32, v[30:31], off
	s_add_u32 s30, s30, 1
	s_addc_u32 s31, s31, 0
	s_andn2_b64 s[28:29], s[28:29], exec
	v_lshl_add_u64 v[28:29], v[28:29], 0, 2
	v_lshl_add_u64 v[30:31], v[30:31], 0, 2
	s_waitcnt vmcnt(1)
	v_lshlrev_b32_e32 v1, 16, v1
	s_waitcnt vmcnt(0)
	v_lshlrev_b32_e32 v32, 16, v32
	v_cmp_neq_f32_e32 vcc, v32, v1
	s_and_b64 s[34:35], vcc, exec
	s_or_b64 s[28:29], s[28:29], s[34:35]
.LBB1159_36:                            ;   in Loop: Header=BB1159_37 Depth=1
	s_and_b64 s[34:35], exec, s[28:29]
	s_or_b64 s[26:27], s[34:35], s[26:27]
	v_mov_b64_e32 v[32:33], s[30:31]
	s_andn2_b64 exec, exec, s[26:27]
	s_cbranch_execz .LBB1159_42
.LBB1159_37:                            ; =>This Inner Loop Header: Depth=1
	s_or_b64 s[28:29], s[28:29], exec
	s_cmp_eq_u64 s[24:25], s[30:31]
	s_cbranch_scc0 .LBB1159_35
; %bb.38:                               ;   in Loop: Header=BB1159_37 Depth=1
                                        ; implicit-def: $vgpr28_vgpr29
                                        ; implicit-def: $vgpr30_vgpr31
	s_mov_b64 s[30:31], s[12:13]
	s_branch .LBB1159_36
.LBB1159_39:
                                        ; implicit-def: $vgpr26_vgpr27_vgpr28_vgpr29
                                        ; implicit-def: $sgpr24_sgpr25
                                        ; implicit-def: $vgpr50_vgpr51
                                        ; implicit-def: $vgpr52_vgpr53
                                        ; implicit-def: $vgpr46_vgpr47
                                        ; implicit-def: $vgpr70_vgpr71
                                        ; implicit-def: $vgpr68_vgpr69
                                        ; implicit-def: $vgpr66_vgpr67
                                        ; implicit-def: $vgpr64_vgpr65
                                        ; implicit-def: $vgpr62_vgpr63
                                        ; implicit-def: $vgpr60_vgpr61
                                        ; implicit-def: $vgpr58_vgpr59
                                        ; implicit-def: $vgpr56_vgpr57
                                        ; implicit-def: $vgpr54_vgpr55
                                        ; implicit-def: $vgpr72_vgpr73
                                        ; implicit-def: $vgpr82_vgpr83
                                        ; implicit-def: $vgpr74_vgpr75
                                        ; implicit-def: $vgpr76_vgpr77
                                        ; implicit-def: $vgpr78_vgpr79
                                        ; implicit-def: $vgpr80_vgpr81
                                        ; implicit-def: $vgpr28_vgpr29_vgpr30_vgpr31
                                        ; implicit-def: $vgpr32_vgpr33_vgpr34_vgpr35
                                        ; implicit-def: $vgpr36_vgpr37_vgpr38_vgpr39
                                        ; implicit-def: $vgpr40_vgpr41_vgpr42_vgpr43
	s_cbranch_execnz .LBB1159_303
	s_branch .LBB1159_572
.LBB1159_40:
                                        ; implicit-def: $sgpr24_sgpr25
                                        ; implicit-def: $vgpr50_vgpr51
                                        ; implicit-def: $vgpr52_vgpr53
                                        ; implicit-def: $vgpr46_vgpr47
                                        ; implicit-def: $vgpr70_vgpr71
                                        ; implicit-def: $vgpr68_vgpr69
                                        ; implicit-def: $vgpr66_vgpr67
                                        ; implicit-def: $vgpr64_vgpr65
                                        ; implicit-def: $vgpr62_vgpr63
                                        ; implicit-def: $vgpr60_vgpr61
                                        ; implicit-def: $vgpr58_vgpr59
                                        ; implicit-def: $vgpr56_vgpr57
                                        ; implicit-def: $vgpr54_vgpr55
	s_cbranch_execnz .LBB1159_156
.LBB1159_41:
                                        ; implicit-def: $vgpr26_vgpr27_vgpr28_vgpr29
                                        ; implicit-def: $vgpr72_vgpr73
                                        ; implicit-def: $vgpr82_vgpr83
                                        ; implicit-def: $vgpr74_vgpr75
                                        ; implicit-def: $vgpr76_vgpr77
                                        ; implicit-def: $vgpr78_vgpr79
                                        ; implicit-def: $vgpr80_vgpr81
                                        ; implicit-def: $vgpr32_vgpr33_vgpr34_vgpr35
                                        ; implicit-def: $vgpr36_vgpr37_vgpr38_vgpr39
                                        ; implicit-def: $vgpr40_vgpr41_vgpr42_vgpr43
                                        ; implicit-def: $vgpr28_vgpr29_vgpr30_vgpr31
	s_branch .LBB1159_572
.LBB1159_42:
	s_or_b64 exec, exec, s[26:27]
	v_cmp_gt_i64_e32 vcc, s[12:13], v[32:33]
	s_mov_b32 s7, 0
	v_mov_b32_e32 v51, s7
	v_cndmask_b32_e64 v50, 0, 1, vcc
.LBB1159_43:
	s_or_b64 exec, exec, s[2:3]
.LBB1159_44:
	v_mul_lo_u32 v1, v23, s12
	v_mul_lo_u32 v30, v22, s13
	v_mad_u64_u32 v[28:29], s[2:3], v22, s12, 0
	v_add3_u32 v29, v29, v30, v1
	v_cndmask_b32_e64 v1, 0, 1, s[18:19]
	v_cmp_ne_u32_e64 s[2:3], 1, v1
	s_andn2_b64 vcc, exec, s[18:19]
	v_lshl_add_u64 v[28:29], v[28:29], 1, s[14:15]
	v_mov_b64_e32 v[52:53], v[46:47]
	s_cbranch_vccnz .LBB1159_53
; %bb.45:
	global_load_ushort v1, v[28:29], off
	global_load_ushort v30, v[26:27], off
	v_mov_b64_e32 v[52:53], 1
	s_waitcnt vmcnt(1)
	v_lshlrev_b32_e32 v1, 16, v1
	s_waitcnt vmcnt(0)
	v_lshlrev_b32_e32 v30, 16, v30
	v_cmp_eq_f32_e32 vcc, v30, v1
	s_and_saveexec_b64 s[18:19], vcc
	s_cbranch_execz .LBB1159_52
; %bb.46:
	s_add_u32 s24, s12, -1
	v_lshl_add_u64 v[30:31], v[28:29], 0, 2
	v_lshl_add_u64 v[26:27], v[26:27], 0, 2
	s_addc_u32 s25, s13, -1
	s_mov_b64 s[26:27], 0
	s_mov_b64 s[30:31], 0
                                        ; implicit-def: $sgpr28_sgpr29
	s_branch .LBB1159_49
.LBB1159_47:                            ;   in Loop: Header=BB1159_49 Depth=1
	global_load_ushort v1, v[30:31], off
	global_load_ushort v32, v[26:27], off
	s_add_u32 s30, s30, 1
	s_addc_u32 s31, s31, 0
	s_andn2_b64 s[28:29], s[28:29], exec
	v_lshl_add_u64 v[30:31], v[30:31], 0, 2
	v_lshl_add_u64 v[26:27], v[26:27], 0, 2
	s_waitcnt vmcnt(1)
	v_lshlrev_b32_e32 v1, 16, v1
	s_waitcnt vmcnt(0)
	v_lshlrev_b32_e32 v32, 16, v32
	v_cmp_neq_f32_e32 vcc, v32, v1
	s_and_b64 s[34:35], vcc, exec
	s_or_b64 s[28:29], s[28:29], s[34:35]
.LBB1159_48:                            ;   in Loop: Header=BB1159_49 Depth=1
	s_and_b64 s[34:35], exec, s[28:29]
	s_or_b64 s[26:27], s[34:35], s[26:27]
	v_mov_b64_e32 v[32:33], s[30:31]
	s_andn2_b64 exec, exec, s[26:27]
	s_cbranch_execz .LBB1159_51
.LBB1159_49:                            ; =>This Inner Loop Header: Depth=1
	s_or_b64 s[28:29], s[28:29], exec
	s_cmp_eq_u64 s[24:25], s[30:31]
	s_cbranch_scc0 .LBB1159_47
; %bb.50:                               ;   in Loop: Header=BB1159_49 Depth=1
                                        ; implicit-def: $vgpr30_vgpr31
                                        ; implicit-def: $vgpr26_vgpr27
	s_mov_b64 s[30:31], s[12:13]
	s_branch .LBB1159_48
.LBB1159_51:
	s_or_b64 exec, exec, s[26:27]
	v_cmp_gt_i64_e32 vcc, s[12:13], v[32:33]
	s_mov_b32 s7, 0
	v_mov_b32_e32 v53, s7
	v_cndmask_b32_e64 v52, 0, 1, vcc
.LBB1159_52:
	s_or_b64 exec, exec, s[18:19]
.LBB1159_53:
	v_mul_lo_u32 v1, v21, s12
	v_mul_lo_u32 v30, v20, s13
	v_mad_u64_u32 v[26:27], s[18:19], v20, s12, 0
	v_add3_u32 v27, v27, v30, v1
	s_and_b64 vcc, exec, s[2:3]
	v_lshl_add_u64 v[26:27], v[26:27], 1, s[14:15]
	s_cbranch_vccnz .LBB1159_62
; %bb.54:
	global_load_ushort v1, v[26:27], off
	global_load_ushort v30, v[28:29], off
	v_mov_b64_e32 v[46:47], 1
	s_waitcnt vmcnt(1)
	v_lshlrev_b32_e32 v1, 16, v1
	s_waitcnt vmcnt(0)
	v_lshlrev_b32_e32 v30, 16, v30
	v_cmp_eq_f32_e32 vcc, v30, v1
	s_and_saveexec_b64 s[18:19], vcc
	s_cbranch_execz .LBB1159_61
; %bb.55:
	s_add_u32 s24, s12, -1
	v_lshl_add_u64 v[30:31], v[26:27], 0, 2
	v_lshl_add_u64 v[28:29], v[28:29], 0, 2
	s_addc_u32 s25, s13, -1
	s_mov_b64 s[26:27], 0
	s_mov_b64 s[30:31], 0
                                        ; implicit-def: $sgpr28_sgpr29
	s_branch .LBB1159_58
.LBB1159_56:                            ;   in Loop: Header=BB1159_58 Depth=1
	global_load_ushort v1, v[30:31], off
	global_load_ushort v32, v[28:29], off
	s_add_u32 s30, s30, 1
	s_addc_u32 s31, s31, 0
	s_andn2_b64 s[28:29], s[28:29], exec
	v_lshl_add_u64 v[30:31], v[30:31], 0, 2
	v_lshl_add_u64 v[28:29], v[28:29], 0, 2
	s_waitcnt vmcnt(1)
	v_lshlrev_b32_e32 v1, 16, v1
	s_waitcnt vmcnt(0)
	v_lshlrev_b32_e32 v32, 16, v32
	v_cmp_neq_f32_e32 vcc, v32, v1
	s_and_b64 s[34:35], vcc, exec
	s_or_b64 s[28:29], s[28:29], s[34:35]
.LBB1159_57:                            ;   in Loop: Header=BB1159_58 Depth=1
	s_and_b64 s[34:35], exec, s[28:29]
	s_or_b64 s[26:27], s[34:35], s[26:27]
	v_mov_b64_e32 v[32:33], s[30:31]
	s_andn2_b64 exec, exec, s[26:27]
	s_cbranch_execz .LBB1159_60
.LBB1159_58:                            ; =>This Inner Loop Header: Depth=1
	s_or_b64 s[28:29], s[28:29], exec
	s_cmp_eq_u64 s[24:25], s[30:31]
	s_cbranch_scc0 .LBB1159_56
; %bb.59:                               ;   in Loop: Header=BB1159_58 Depth=1
                                        ; implicit-def: $vgpr30_vgpr31
                                        ; implicit-def: $vgpr28_vgpr29
	s_mov_b64 s[30:31], s[12:13]
	s_branch .LBB1159_57
.LBB1159_60:
	s_or_b64 exec, exec, s[26:27]
	v_cmp_gt_i64_e32 vcc, s[12:13], v[32:33]
	s_mov_b32 s7, 0
	v_mov_b32_e32 v47, s7
	v_cndmask_b32_e64 v46, 0, 1, vcc
.LBB1159_61:
	s_or_b64 exec, exec, s[18:19]
.LBB1159_62:
	v_mul_lo_u32 v1, v19, s12
	v_mul_lo_u32 v30, v18, s13
	v_mad_u64_u32 v[28:29], s[18:19], v18, s12, 0
	v_add3_u32 v29, v29, v30, v1
	v_mov_b64_e32 v[56:57], 0
	s_and_b64 vcc, exec, s[2:3]
	v_lshl_add_u64 v[28:29], v[28:29], 1, s[14:15]
	v_mov_b64_e32 v[54:55], v[56:57]
	s_cbranch_vccnz .LBB1159_71
; %bb.63:
	global_load_ushort v1, v[28:29], off
	global_load_ushort v30, v[26:27], off
	v_mov_b64_e32 v[54:55], 1
	s_waitcnt vmcnt(1)
	v_lshlrev_b32_e32 v1, 16, v1
	s_waitcnt vmcnt(0)
	v_lshlrev_b32_e32 v30, 16, v30
	v_cmp_eq_f32_e32 vcc, v30, v1
	s_and_saveexec_b64 s[18:19], vcc
	s_cbranch_execz .LBB1159_70
; %bb.64:
	s_add_u32 s24, s12, -1
	v_lshl_add_u64 v[30:31], v[28:29], 0, 2
	v_lshl_add_u64 v[26:27], v[26:27], 0, 2
	s_addc_u32 s25, s13, -1
	s_mov_b64 s[26:27], 0
	s_mov_b64 s[30:31], 0
                                        ; implicit-def: $sgpr28_sgpr29
	s_branch .LBB1159_67
.LBB1159_65:                            ;   in Loop: Header=BB1159_67 Depth=1
	global_load_ushort v1, v[30:31], off
	global_load_ushort v32, v[26:27], off
	s_add_u32 s30, s30, 1
	s_addc_u32 s31, s31, 0
	s_andn2_b64 s[28:29], s[28:29], exec
	v_lshl_add_u64 v[30:31], v[30:31], 0, 2
	v_lshl_add_u64 v[26:27], v[26:27], 0, 2
	s_waitcnt vmcnt(1)
	v_lshlrev_b32_e32 v1, 16, v1
	s_waitcnt vmcnt(0)
	v_lshlrev_b32_e32 v32, 16, v32
	v_cmp_neq_f32_e32 vcc, v32, v1
	s_and_b64 s[34:35], vcc, exec
	s_or_b64 s[28:29], s[28:29], s[34:35]
.LBB1159_66:                            ;   in Loop: Header=BB1159_67 Depth=1
	s_and_b64 s[34:35], exec, s[28:29]
	s_or_b64 s[26:27], s[34:35], s[26:27]
	v_mov_b64_e32 v[32:33], s[30:31]
	s_andn2_b64 exec, exec, s[26:27]
	s_cbranch_execz .LBB1159_69
.LBB1159_67:                            ; =>This Inner Loop Header: Depth=1
	s_or_b64 s[28:29], s[28:29], exec
	s_cmp_eq_u64 s[24:25], s[30:31]
	s_cbranch_scc0 .LBB1159_65
; %bb.68:                               ;   in Loop: Header=BB1159_67 Depth=1
                                        ; implicit-def: $vgpr30_vgpr31
                                        ; implicit-def: $vgpr26_vgpr27
	s_mov_b64 s[30:31], s[12:13]
	s_branch .LBB1159_66
.LBB1159_69:
	s_or_b64 exec, exec, s[26:27]
	v_cmp_gt_i64_e32 vcc, s[12:13], v[32:33]
	s_mov_b32 s7, 0
	v_mov_b32_e32 v55, s7
	v_cndmask_b32_e64 v54, 0, 1, vcc
.LBB1159_70:
	s_or_b64 exec, exec, s[18:19]
.LBB1159_71:
	v_mul_lo_u32 v1, v17, s12
	v_mul_lo_u32 v30, v16, s13
	v_mad_u64_u32 v[26:27], s[18:19], v16, s12, 0
	v_add3_u32 v27, v27, v30, v1
	s_and_b64 vcc, exec, s[2:3]
	v_lshl_add_u64 v[26:27], v[26:27], 1, s[14:15]
	s_cbranch_vccnz .LBB1159_80
; %bb.72:
	global_load_ushort v1, v[26:27], off
	global_load_ushort v30, v[28:29], off
	v_mov_b64_e32 v[56:57], 1
	s_waitcnt vmcnt(1)
	v_lshlrev_b32_e32 v1, 16, v1
	s_waitcnt vmcnt(0)
	v_lshlrev_b32_e32 v30, 16, v30
	v_cmp_eq_f32_e32 vcc, v30, v1
	s_and_saveexec_b64 s[18:19], vcc
	s_cbranch_execz .LBB1159_79
; %bb.73:
	s_add_u32 s24, s12, -1
	v_lshl_add_u64 v[30:31], v[26:27], 0, 2
	v_lshl_add_u64 v[28:29], v[28:29], 0, 2
	s_addc_u32 s25, s13, -1
	s_mov_b64 s[26:27], 0
	s_mov_b64 s[30:31], 0
                                        ; implicit-def: $sgpr28_sgpr29
	s_branch .LBB1159_76
.LBB1159_74:                            ;   in Loop: Header=BB1159_76 Depth=1
	global_load_ushort v1, v[30:31], off
	global_load_ushort v32, v[28:29], off
	s_add_u32 s30, s30, 1
	s_addc_u32 s31, s31, 0
	s_andn2_b64 s[28:29], s[28:29], exec
	v_lshl_add_u64 v[30:31], v[30:31], 0, 2
	v_lshl_add_u64 v[28:29], v[28:29], 0, 2
	s_waitcnt vmcnt(1)
	v_lshlrev_b32_e32 v1, 16, v1
	s_waitcnt vmcnt(0)
	v_lshlrev_b32_e32 v32, 16, v32
	v_cmp_neq_f32_e32 vcc, v32, v1
	s_and_b64 s[34:35], vcc, exec
	s_or_b64 s[28:29], s[28:29], s[34:35]
.LBB1159_75:                            ;   in Loop: Header=BB1159_76 Depth=1
	s_and_b64 s[34:35], exec, s[28:29]
	s_or_b64 s[26:27], s[34:35], s[26:27]
	v_mov_b64_e32 v[32:33], s[30:31]
	s_andn2_b64 exec, exec, s[26:27]
	s_cbranch_execz .LBB1159_78
.LBB1159_76:                            ; =>This Inner Loop Header: Depth=1
	s_or_b64 s[28:29], s[28:29], exec
	s_cmp_eq_u64 s[24:25], s[30:31]
	s_cbranch_scc0 .LBB1159_74
; %bb.77:                               ;   in Loop: Header=BB1159_76 Depth=1
                                        ; implicit-def: $vgpr30_vgpr31
                                        ; implicit-def: $vgpr28_vgpr29
	s_mov_b64 s[30:31], s[12:13]
	s_branch .LBB1159_75
.LBB1159_78:
	s_or_b64 exec, exec, s[26:27]
	v_cmp_gt_i64_e32 vcc, s[12:13], v[32:33]
	s_mov_b32 s7, 0
	v_mov_b32_e32 v57, s7
	v_cndmask_b32_e64 v56, 0, 1, vcc
.LBB1159_79:
	s_or_b64 exec, exec, s[18:19]
.LBB1159_80:
	v_mul_lo_u32 v1, v15, s12
	v_mul_lo_u32 v30, v14, s13
	v_mad_u64_u32 v[28:29], s[18:19], v14, s12, 0
	v_add3_u32 v29, v29, v30, v1
	v_mov_b64_e32 v[60:61], 0
	s_and_b64 vcc, exec, s[2:3]
	v_lshl_add_u64 v[28:29], v[28:29], 1, s[14:15]
	v_mov_b64_e32 v[58:59], v[60:61]
	s_cbranch_vccnz .LBB1159_89
; %bb.81:
	global_load_ushort v1, v[28:29], off
	global_load_ushort v30, v[26:27], off
	v_mov_b64_e32 v[58:59], 1
	s_waitcnt vmcnt(1)
	v_lshlrev_b32_e32 v1, 16, v1
	s_waitcnt vmcnt(0)
	v_lshlrev_b32_e32 v30, 16, v30
	v_cmp_eq_f32_e32 vcc, v30, v1
	s_and_saveexec_b64 s[18:19], vcc
	s_cbranch_execz .LBB1159_88
; %bb.82:
	s_add_u32 s24, s12, -1
	v_lshl_add_u64 v[30:31], v[28:29], 0, 2
	v_lshl_add_u64 v[26:27], v[26:27], 0, 2
	s_addc_u32 s25, s13, -1
	s_mov_b64 s[26:27], 0
	s_mov_b64 s[30:31], 0
                                        ; implicit-def: $sgpr28_sgpr29
	s_branch .LBB1159_85
.LBB1159_83:                            ;   in Loop: Header=BB1159_85 Depth=1
	global_load_ushort v1, v[30:31], off
	global_load_ushort v32, v[26:27], off
	s_add_u32 s30, s30, 1
	s_addc_u32 s31, s31, 0
	s_andn2_b64 s[28:29], s[28:29], exec
	v_lshl_add_u64 v[30:31], v[30:31], 0, 2
	v_lshl_add_u64 v[26:27], v[26:27], 0, 2
	s_waitcnt vmcnt(1)
	v_lshlrev_b32_e32 v1, 16, v1
	s_waitcnt vmcnt(0)
	v_lshlrev_b32_e32 v32, 16, v32
	v_cmp_neq_f32_e32 vcc, v32, v1
	s_and_b64 s[34:35], vcc, exec
	s_or_b64 s[28:29], s[28:29], s[34:35]
.LBB1159_84:                            ;   in Loop: Header=BB1159_85 Depth=1
	s_and_b64 s[34:35], exec, s[28:29]
	s_or_b64 s[26:27], s[34:35], s[26:27]
	v_mov_b64_e32 v[32:33], s[30:31]
	s_andn2_b64 exec, exec, s[26:27]
	s_cbranch_execz .LBB1159_87
.LBB1159_85:                            ; =>This Inner Loop Header: Depth=1
	s_or_b64 s[28:29], s[28:29], exec
	s_cmp_eq_u64 s[24:25], s[30:31]
	s_cbranch_scc0 .LBB1159_83
; %bb.86:                               ;   in Loop: Header=BB1159_85 Depth=1
                                        ; implicit-def: $vgpr30_vgpr31
                                        ; implicit-def: $vgpr26_vgpr27
	s_mov_b64 s[30:31], s[12:13]
	s_branch .LBB1159_84
.LBB1159_87:
	s_or_b64 exec, exec, s[26:27]
	v_cmp_gt_i64_e32 vcc, s[12:13], v[32:33]
	s_mov_b32 s7, 0
	v_mov_b32_e32 v59, s7
	v_cndmask_b32_e64 v58, 0, 1, vcc
.LBB1159_88:
	s_or_b64 exec, exec, s[18:19]
.LBB1159_89:
	v_mul_lo_u32 v1, v13, s12
	v_mul_lo_u32 v30, v12, s13
	v_mad_u64_u32 v[26:27], s[18:19], v12, s12, 0
	v_add3_u32 v27, v27, v30, v1
	s_and_b64 vcc, exec, s[2:3]
	v_lshl_add_u64 v[26:27], v[26:27], 1, s[14:15]
	s_cbranch_vccnz .LBB1159_98
; %bb.90:
	global_load_ushort v1, v[26:27], off
	global_load_ushort v30, v[28:29], off
	v_mov_b64_e32 v[60:61], 1
	s_waitcnt vmcnt(1)
	v_lshlrev_b32_e32 v1, 16, v1
	s_waitcnt vmcnt(0)
	v_lshlrev_b32_e32 v30, 16, v30
	v_cmp_eq_f32_e32 vcc, v30, v1
	s_and_saveexec_b64 s[18:19], vcc
	s_cbranch_execz .LBB1159_97
; %bb.91:
	s_add_u32 s24, s12, -1
	v_lshl_add_u64 v[30:31], v[26:27], 0, 2
	v_lshl_add_u64 v[28:29], v[28:29], 0, 2
	s_addc_u32 s25, s13, -1
	s_mov_b64 s[26:27], 0
	s_mov_b64 s[30:31], 0
                                        ; implicit-def: $sgpr28_sgpr29
	s_branch .LBB1159_94
.LBB1159_92:                            ;   in Loop: Header=BB1159_94 Depth=1
	global_load_ushort v1, v[30:31], off
	global_load_ushort v32, v[28:29], off
	s_add_u32 s30, s30, 1
	s_addc_u32 s31, s31, 0
	s_andn2_b64 s[28:29], s[28:29], exec
	v_lshl_add_u64 v[30:31], v[30:31], 0, 2
	v_lshl_add_u64 v[28:29], v[28:29], 0, 2
	s_waitcnt vmcnt(1)
	v_lshlrev_b32_e32 v1, 16, v1
	s_waitcnt vmcnt(0)
	v_lshlrev_b32_e32 v32, 16, v32
	v_cmp_neq_f32_e32 vcc, v32, v1
	s_and_b64 s[34:35], vcc, exec
	s_or_b64 s[28:29], s[28:29], s[34:35]
.LBB1159_93:                            ;   in Loop: Header=BB1159_94 Depth=1
	s_and_b64 s[34:35], exec, s[28:29]
	s_or_b64 s[26:27], s[34:35], s[26:27]
	v_mov_b64_e32 v[32:33], s[30:31]
	s_andn2_b64 exec, exec, s[26:27]
	s_cbranch_execz .LBB1159_96
.LBB1159_94:                            ; =>This Inner Loop Header: Depth=1
	s_or_b64 s[28:29], s[28:29], exec
	s_cmp_eq_u64 s[24:25], s[30:31]
	s_cbranch_scc0 .LBB1159_92
; %bb.95:                               ;   in Loop: Header=BB1159_94 Depth=1
                                        ; implicit-def: $vgpr30_vgpr31
                                        ; implicit-def: $vgpr28_vgpr29
	s_mov_b64 s[30:31], s[12:13]
	s_branch .LBB1159_93
.LBB1159_96:
	s_or_b64 exec, exec, s[26:27]
	v_cmp_gt_i64_e32 vcc, s[12:13], v[32:33]
	s_mov_b32 s7, 0
	v_mov_b32_e32 v61, s7
	v_cndmask_b32_e64 v60, 0, 1, vcc
.LBB1159_97:
	s_or_b64 exec, exec, s[18:19]
.LBB1159_98:
	v_mul_lo_u32 v1, v11, s12
	v_mul_lo_u32 v30, v10, s13
	v_mad_u64_u32 v[28:29], s[18:19], v10, s12, 0
	v_add3_u32 v29, v29, v30, v1
	v_mov_b64_e32 v[64:65], 0
	s_and_b64 vcc, exec, s[2:3]
	v_lshl_add_u64 v[28:29], v[28:29], 1, s[14:15]
	v_mov_b64_e32 v[62:63], v[64:65]
	s_cbranch_vccnz .LBB1159_107
; %bb.99:
	global_load_ushort v1, v[28:29], off
	global_load_ushort v30, v[26:27], off
	v_mov_b64_e32 v[62:63], 1
	s_waitcnt vmcnt(1)
	v_lshlrev_b32_e32 v1, 16, v1
	s_waitcnt vmcnt(0)
	v_lshlrev_b32_e32 v30, 16, v30
	v_cmp_eq_f32_e32 vcc, v30, v1
	s_and_saveexec_b64 s[18:19], vcc
	s_cbranch_execz .LBB1159_106
; %bb.100:
	s_add_u32 s24, s12, -1
	v_lshl_add_u64 v[30:31], v[28:29], 0, 2
	v_lshl_add_u64 v[26:27], v[26:27], 0, 2
	s_addc_u32 s25, s13, -1
	s_mov_b64 s[26:27], 0
	s_mov_b64 s[30:31], 0
                                        ; implicit-def: $sgpr28_sgpr29
	s_branch .LBB1159_103
.LBB1159_101:                           ;   in Loop: Header=BB1159_103 Depth=1
	global_load_ushort v1, v[30:31], off
	global_load_ushort v32, v[26:27], off
	s_add_u32 s30, s30, 1
	s_addc_u32 s31, s31, 0
	s_andn2_b64 s[28:29], s[28:29], exec
	v_lshl_add_u64 v[30:31], v[30:31], 0, 2
	v_lshl_add_u64 v[26:27], v[26:27], 0, 2
	s_waitcnt vmcnt(1)
	v_lshlrev_b32_e32 v1, 16, v1
	s_waitcnt vmcnt(0)
	v_lshlrev_b32_e32 v32, 16, v32
	v_cmp_neq_f32_e32 vcc, v32, v1
	s_and_b64 s[34:35], vcc, exec
	s_or_b64 s[28:29], s[28:29], s[34:35]
.LBB1159_102:                           ;   in Loop: Header=BB1159_103 Depth=1
	s_and_b64 s[34:35], exec, s[28:29]
	s_or_b64 s[26:27], s[34:35], s[26:27]
	v_mov_b64_e32 v[32:33], s[30:31]
	s_andn2_b64 exec, exec, s[26:27]
	s_cbranch_execz .LBB1159_105
.LBB1159_103:                           ; =>This Inner Loop Header: Depth=1
	s_or_b64 s[28:29], s[28:29], exec
	s_cmp_eq_u64 s[24:25], s[30:31]
	s_cbranch_scc0 .LBB1159_101
; %bb.104:                              ;   in Loop: Header=BB1159_103 Depth=1
                                        ; implicit-def: $vgpr30_vgpr31
                                        ; implicit-def: $vgpr26_vgpr27
	s_mov_b64 s[30:31], s[12:13]
	s_branch .LBB1159_102
.LBB1159_105:
	s_or_b64 exec, exec, s[26:27]
	v_cmp_gt_i64_e32 vcc, s[12:13], v[32:33]
	s_mov_b32 s7, 0
	v_mov_b32_e32 v63, s7
	v_cndmask_b32_e64 v62, 0, 1, vcc
.LBB1159_106:
	s_or_b64 exec, exec, s[18:19]
.LBB1159_107:
	v_mul_lo_u32 v1, v9, s12
	v_mul_lo_u32 v30, v8, s13
	v_mad_u64_u32 v[26:27], s[18:19], v8, s12, 0
	v_add3_u32 v27, v27, v30, v1
	s_and_b64 vcc, exec, s[2:3]
	v_lshl_add_u64 v[26:27], v[26:27], 1, s[14:15]
	s_cbranch_vccnz .LBB1159_116
; %bb.108:
	global_load_ushort v1, v[26:27], off
	global_load_ushort v30, v[28:29], off
	v_mov_b64_e32 v[64:65], 1
	s_waitcnt vmcnt(1)
	v_lshlrev_b32_e32 v1, 16, v1
	s_waitcnt vmcnt(0)
	v_lshlrev_b32_e32 v30, 16, v30
	v_cmp_eq_f32_e32 vcc, v30, v1
	s_and_saveexec_b64 s[18:19], vcc
	s_cbranch_execz .LBB1159_115
; %bb.109:
	s_add_u32 s24, s12, -1
	v_lshl_add_u64 v[30:31], v[26:27], 0, 2
	v_lshl_add_u64 v[28:29], v[28:29], 0, 2
	s_addc_u32 s25, s13, -1
	s_mov_b64 s[26:27], 0
	s_mov_b64 s[30:31], 0
                                        ; implicit-def: $sgpr28_sgpr29
	s_branch .LBB1159_112
.LBB1159_110:                           ;   in Loop: Header=BB1159_112 Depth=1
	global_load_ushort v1, v[30:31], off
	global_load_ushort v32, v[28:29], off
	s_add_u32 s30, s30, 1
	s_addc_u32 s31, s31, 0
	s_andn2_b64 s[28:29], s[28:29], exec
	v_lshl_add_u64 v[30:31], v[30:31], 0, 2
	v_lshl_add_u64 v[28:29], v[28:29], 0, 2
	s_waitcnt vmcnt(1)
	v_lshlrev_b32_e32 v1, 16, v1
	s_waitcnt vmcnt(0)
	v_lshlrev_b32_e32 v32, 16, v32
	v_cmp_neq_f32_e32 vcc, v32, v1
	s_and_b64 s[34:35], vcc, exec
	s_or_b64 s[28:29], s[28:29], s[34:35]
.LBB1159_111:                           ;   in Loop: Header=BB1159_112 Depth=1
	s_and_b64 s[34:35], exec, s[28:29]
	s_or_b64 s[26:27], s[34:35], s[26:27]
	v_mov_b64_e32 v[32:33], s[30:31]
	s_andn2_b64 exec, exec, s[26:27]
	s_cbranch_execz .LBB1159_114
.LBB1159_112:                           ; =>This Inner Loop Header: Depth=1
	s_or_b64 s[28:29], s[28:29], exec
	s_cmp_eq_u64 s[24:25], s[30:31]
	s_cbranch_scc0 .LBB1159_110
; %bb.113:                              ;   in Loop: Header=BB1159_112 Depth=1
                                        ; implicit-def: $vgpr30_vgpr31
                                        ; implicit-def: $vgpr28_vgpr29
	s_mov_b64 s[30:31], s[12:13]
	s_branch .LBB1159_111
.LBB1159_114:
	s_or_b64 exec, exec, s[26:27]
	v_cmp_gt_i64_e32 vcc, s[12:13], v[32:33]
	s_mov_b32 s7, 0
	v_mov_b32_e32 v65, s7
	v_cndmask_b32_e64 v64, 0, 1, vcc
.LBB1159_115:
	s_or_b64 exec, exec, s[18:19]
.LBB1159_116:
	v_mul_lo_u32 v1, v7, s12
	v_mul_lo_u32 v30, v6, s13
	v_mad_u64_u32 v[28:29], s[18:19], v6, s12, 0
	v_add3_u32 v29, v29, v30, v1
	v_mov_b64_e32 v[68:69], 0
	s_and_b64 vcc, exec, s[2:3]
	v_lshl_add_u64 v[28:29], v[28:29], 1, s[14:15]
	v_mov_b64_e32 v[66:67], v[68:69]
	s_cbranch_vccnz .LBB1159_125
; %bb.117:
	global_load_ushort v1, v[28:29], off
	global_load_ushort v30, v[26:27], off
	v_mov_b64_e32 v[66:67], 1
	s_waitcnt vmcnt(1)
	v_lshlrev_b32_e32 v1, 16, v1
	s_waitcnt vmcnt(0)
	v_lshlrev_b32_e32 v30, 16, v30
	v_cmp_eq_f32_e32 vcc, v30, v1
	s_and_saveexec_b64 s[18:19], vcc
	s_cbranch_execz .LBB1159_124
; %bb.118:
	s_add_u32 s24, s12, -1
	v_lshl_add_u64 v[30:31], v[28:29], 0, 2
	v_lshl_add_u64 v[26:27], v[26:27], 0, 2
	s_addc_u32 s25, s13, -1
	s_mov_b64 s[26:27], 0
	s_mov_b64 s[30:31], 0
                                        ; implicit-def: $sgpr28_sgpr29
	s_branch .LBB1159_121
.LBB1159_119:                           ;   in Loop: Header=BB1159_121 Depth=1
	global_load_ushort v1, v[30:31], off
	global_load_ushort v32, v[26:27], off
	s_add_u32 s30, s30, 1
	s_addc_u32 s31, s31, 0
	s_andn2_b64 s[28:29], s[28:29], exec
	v_lshl_add_u64 v[30:31], v[30:31], 0, 2
	v_lshl_add_u64 v[26:27], v[26:27], 0, 2
	s_waitcnt vmcnt(1)
	v_lshlrev_b32_e32 v1, 16, v1
	s_waitcnt vmcnt(0)
	v_lshlrev_b32_e32 v32, 16, v32
	v_cmp_neq_f32_e32 vcc, v32, v1
	s_and_b64 s[34:35], vcc, exec
	s_or_b64 s[28:29], s[28:29], s[34:35]
.LBB1159_120:                           ;   in Loop: Header=BB1159_121 Depth=1
	s_and_b64 s[34:35], exec, s[28:29]
	s_or_b64 s[26:27], s[34:35], s[26:27]
	v_mov_b64_e32 v[32:33], s[30:31]
	s_andn2_b64 exec, exec, s[26:27]
	s_cbranch_execz .LBB1159_123
.LBB1159_121:                           ; =>This Inner Loop Header: Depth=1
	s_or_b64 s[28:29], s[28:29], exec
	s_cmp_eq_u64 s[24:25], s[30:31]
	s_cbranch_scc0 .LBB1159_119
; %bb.122:                              ;   in Loop: Header=BB1159_121 Depth=1
                                        ; implicit-def: $vgpr30_vgpr31
                                        ; implicit-def: $vgpr26_vgpr27
	s_mov_b64 s[30:31], s[12:13]
	s_branch .LBB1159_120
.LBB1159_123:
	s_or_b64 exec, exec, s[26:27]
	v_cmp_gt_i64_e32 vcc, s[12:13], v[32:33]
	s_mov_b32 s7, 0
	v_mov_b32_e32 v67, s7
	v_cndmask_b32_e64 v66, 0, 1, vcc
.LBB1159_124:
	s_or_b64 exec, exec, s[18:19]
.LBB1159_125:
	v_mul_lo_u32 v1, v5, s12
	v_mul_lo_u32 v30, v4, s13
	v_mad_u64_u32 v[26:27], s[18:19], v4, s12, 0
	v_add3_u32 v27, v27, v30, v1
	s_and_b64 vcc, exec, s[2:3]
	v_lshl_add_u64 v[26:27], v[26:27], 1, s[14:15]
	s_cbranch_vccnz .LBB1159_134
; %bb.126:
	global_load_ushort v1, v[26:27], off
	global_load_ushort v30, v[28:29], off
	v_mov_b64_e32 v[68:69], 1
	s_waitcnt vmcnt(1)
	v_lshlrev_b32_e32 v1, 16, v1
	s_waitcnt vmcnt(0)
	v_lshlrev_b32_e32 v30, 16, v30
	v_cmp_eq_f32_e32 vcc, v30, v1
	s_and_saveexec_b64 s[18:19], vcc
	s_cbranch_execz .LBB1159_133
; %bb.127:
	s_add_u32 s24, s12, -1
	v_lshl_add_u64 v[30:31], v[26:27], 0, 2
	v_lshl_add_u64 v[28:29], v[28:29], 0, 2
	s_addc_u32 s25, s13, -1
	s_mov_b64 s[26:27], 0
	s_mov_b64 s[30:31], 0
                                        ; implicit-def: $sgpr28_sgpr29
	s_branch .LBB1159_130
.LBB1159_128:                           ;   in Loop: Header=BB1159_130 Depth=1
	global_load_ushort v1, v[30:31], off
	global_load_ushort v32, v[28:29], off
	s_add_u32 s30, s30, 1
	s_addc_u32 s31, s31, 0
	s_andn2_b64 s[28:29], s[28:29], exec
	v_lshl_add_u64 v[30:31], v[30:31], 0, 2
	v_lshl_add_u64 v[28:29], v[28:29], 0, 2
	s_waitcnt vmcnt(1)
	v_lshlrev_b32_e32 v1, 16, v1
	s_waitcnt vmcnt(0)
	v_lshlrev_b32_e32 v32, 16, v32
	v_cmp_neq_f32_e32 vcc, v32, v1
	s_and_b64 s[34:35], vcc, exec
	s_or_b64 s[28:29], s[28:29], s[34:35]
.LBB1159_129:                           ;   in Loop: Header=BB1159_130 Depth=1
	s_and_b64 s[34:35], exec, s[28:29]
	s_or_b64 s[26:27], s[34:35], s[26:27]
	v_mov_b64_e32 v[32:33], s[30:31]
	s_andn2_b64 exec, exec, s[26:27]
	s_cbranch_execz .LBB1159_132
.LBB1159_130:                           ; =>This Inner Loop Header: Depth=1
	s_or_b64 s[28:29], s[28:29], exec
	s_cmp_eq_u64 s[24:25], s[30:31]
	s_cbranch_scc0 .LBB1159_128
; %bb.131:                              ;   in Loop: Header=BB1159_130 Depth=1
                                        ; implicit-def: $vgpr30_vgpr31
                                        ; implicit-def: $vgpr28_vgpr29
	s_mov_b64 s[30:31], s[12:13]
	s_branch .LBB1159_129
.LBB1159_132:
	s_or_b64 exec, exec, s[26:27]
	v_cmp_gt_i64_e32 vcc, s[12:13], v[32:33]
	s_mov_b32 s7, 0
	v_mov_b32_e32 v69, s7
	v_cndmask_b32_e64 v68, 0, 1, vcc
.LBB1159_133:
	s_or_b64 exec, exec, s[18:19]
.LBB1159_134:
	s_and_b64 vcc, exec, s[2:3]
	s_cbranch_vccnz .LBB1159_141
; %bb.135:
	v_mul_lo_u32 v1, v3, s12
	v_mul_lo_u32 v30, v2, s13
	v_mad_u64_u32 v[28:29], s[18:19], v2, s12, 0
	v_add3_u32 v29, v29, v30, v1
	v_lshl_add_u64 v[28:29], v[28:29], 1, s[14:15]
	global_load_ushort v1, v[28:29], off
	global_load_ushort v30, v[26:27], off
	v_mov_b64_e32 v[70:71], 1
	s_waitcnt vmcnt(1)
	v_lshlrev_b32_e32 v1, 16, v1
	s_waitcnt vmcnt(0)
	v_lshlrev_b32_e32 v30, 16, v30
	v_cmp_eq_f32_e32 vcc, v30, v1
	s_and_saveexec_b64 s[18:19], vcc
	s_cbranch_execz .LBB1159_143
; %bb.136:
	s_add_u32 s24, s12, -1
	v_lshl_add_u64 v[28:29], v[28:29], 0, 2
	v_lshl_add_u64 v[26:27], v[26:27], 0, 2
	s_addc_u32 s25, s13, -1
	s_mov_b64 s[26:27], 0
	s_mov_b64 s[30:31], 0
                                        ; implicit-def: $sgpr28_sgpr29
	s_branch .LBB1159_139
.LBB1159_137:                           ;   in Loop: Header=BB1159_139 Depth=1
	global_load_ushort v1, v[28:29], off
	global_load_ushort v30, v[26:27], off
	s_add_u32 s30, s30, 1
	s_addc_u32 s31, s31, 0
	s_andn2_b64 s[28:29], s[28:29], exec
	v_lshl_add_u64 v[28:29], v[28:29], 0, 2
	v_lshl_add_u64 v[26:27], v[26:27], 0, 2
	s_waitcnt vmcnt(1)
	v_lshlrev_b32_e32 v1, 16, v1
	s_waitcnt vmcnt(0)
	v_lshlrev_b32_e32 v30, 16, v30
	v_cmp_neq_f32_e32 vcc, v30, v1
	s_and_b64 s[34:35], vcc, exec
	s_or_b64 s[28:29], s[28:29], s[34:35]
.LBB1159_138:                           ;   in Loop: Header=BB1159_139 Depth=1
	s_and_b64 s[34:35], exec, s[28:29]
	s_or_b64 s[26:27], s[34:35], s[26:27]
	v_mov_b64_e32 v[30:31], s[30:31]
	s_andn2_b64 exec, exec, s[26:27]
	s_cbranch_execz .LBB1159_142
.LBB1159_139:                           ; =>This Inner Loop Header: Depth=1
	s_or_b64 s[28:29], s[28:29], exec
	s_cmp_eq_u64 s[24:25], s[30:31]
	s_cbranch_scc0 .LBB1159_137
; %bb.140:                              ;   in Loop: Header=BB1159_139 Depth=1
                                        ; implicit-def: $vgpr28_vgpr29
                                        ; implicit-def: $vgpr26_vgpr27
	s_mov_b64 s[30:31], s[12:13]
	s_branch .LBB1159_138
.LBB1159_141:
	v_mov_b64_e32 v[70:71], 0
	s_branch .LBB1159_144
.LBB1159_142:
	s_or_b64 exec, exec, s[26:27]
	v_cmp_gt_i64_e32 vcc, s[12:13], v[30:31]
	s_mov_b32 s7, 0
	v_mov_b32_e32 v71, s7
	v_cndmask_b32_e64 v70, 0, 1, vcc
.LBB1159_143:
	s_or_b64 exec, exec, s[18:19]
.LBB1159_144:
	v_cmp_ne_u32_e32 vcc, 0, v0
	s_waitcnt lgkmcnt(0)
	v_mov_b64_e32 v[26:27], s[20:21]
	s_waitcnt lgkmcnt(0)
	; wave barrier
	s_and_saveexec_b64 s[18:19], vcc
	s_cbranch_execz .LBB1159_146
; %bb.145:
	v_add_u32_e32 v1, -8, v48
	ds_read_b64 v[26:27], v1
.LBB1159_146:
	s_or_b64 exec, exec, s[18:19]
	s_mov_b64 s[26:27], 0
	s_and_b64 vcc, exec, s[2:3]
	s_mov_b64 s[24:25], 0
	s_cbranch_vccnz .LBB1159_155
; %bb.147:
	v_mul_lo_u32 v1, v3, s12
	v_mul_lo_u32 v30, v2, s13
	v_mad_u64_u32 v[28:29], s[2:3], v2, s12, 0
	v_add3_u32 v29, v29, v30, v1
	s_waitcnt lgkmcnt(0)
	v_mul_lo_u32 v1, v27, s12
	v_mul_lo_u32 v30, v26, s13
	v_mad_u64_u32 v[26:27], s[2:3], v26, s12, 0
	v_add3_u32 v27, v27, v30, v1
	v_lshl_add_u64 v[26:27], v[26:27], 1, s[14:15]
	v_lshl_add_u64 v[28:29], v[28:29], 1, s[14:15]
	global_load_ushort v1, v[26:27], off
	global_load_ushort v30, v[28:29], off
	s_mov_b64 s[24:25], -1
	s_waitcnt vmcnt(1)
	v_lshlrev_b32_e32 v1, 16, v1
	s_waitcnt vmcnt(0)
	v_lshlrev_b32_e32 v30, 16, v30
	v_cmp_eq_f32_e32 vcc, v30, v1
	s_and_saveexec_b64 s[2:3], vcc
	s_cbranch_execz .LBB1159_154
; %bb.148:
	s_add_u32 s18, s12, -1
	v_lshl_add_u64 v[26:27], v[26:27], 0, 2
	v_lshl_add_u64 v[28:29], v[28:29], 0, 2
	s_addc_u32 s19, s13, -1
	s_mov_b64 s[24:25], 0
	s_mov_b64 s[30:31], 0
                                        ; implicit-def: $sgpr28_sgpr29
	s_branch .LBB1159_151
.LBB1159_149:                           ;   in Loop: Header=BB1159_151 Depth=1
	global_load_ushort v1, v[26:27], off
	global_load_ushort v30, v[28:29], off
	s_add_u32 s30, s30, 1
	s_addc_u32 s31, s31, 0
	s_andn2_b64 s[28:29], s[28:29], exec
	v_lshl_add_u64 v[26:27], v[26:27], 0, 2
	v_lshl_add_u64 v[28:29], v[28:29], 0, 2
	s_waitcnt vmcnt(1)
	v_lshlrev_b32_e32 v1, 16, v1
	s_waitcnt vmcnt(0)
	v_lshlrev_b32_e32 v30, 16, v30
	v_cmp_neq_f32_e32 vcc, v30, v1
	s_and_b64 s[34:35], vcc, exec
	s_or_b64 s[28:29], s[28:29], s[34:35]
.LBB1159_150:                           ;   in Loop: Header=BB1159_151 Depth=1
	s_and_b64 s[34:35], exec, s[28:29]
	s_or_b64 s[24:25], s[34:35], s[24:25]
	v_mov_b64_e32 v[30:31], s[30:31]
	s_andn2_b64 exec, exec, s[24:25]
	s_cbranch_execz .LBB1159_153
.LBB1159_151:                           ; =>This Inner Loop Header: Depth=1
	s_or_b64 s[28:29], s[28:29], exec
	s_cmp_eq_u64 s[18:19], s[30:31]
	s_cbranch_scc0 .LBB1159_149
; %bb.152:                              ;   in Loop: Header=BB1159_151 Depth=1
                                        ; implicit-def: $vgpr26_vgpr27
                                        ; implicit-def: $vgpr28_vgpr29
	s_mov_b64 s[30:31], s[12:13]
	s_branch .LBB1159_150
.LBB1159_153:
	s_or_b64 exec, exec, s[24:25]
	v_cmp_gt_i64_e32 vcc, s[12:13], v[30:31]
	s_orn2_b64 s[24:25], vcc, exec
.LBB1159_154:
	s_or_b64 exec, exec, s[2:3]
.LBB1159_155:
	s_mov_b64 s[18:19], -1
	s_and_b64 vcc, exec, s[26:27]
	s_cbranch_vccz .LBB1159_41
.LBB1159_156:
	s_mul_i32 s7, s22, 0xfffffcc0
	s_add_i32 s7, s7, s10
	s_waitcnt lgkmcnt(0)
	v_mad_u32_u24 v26, v0, 13, 12
	v_cmp_gt_i64_e64 s[2:3], s[12:13], 0
	v_cmp_gt_u32_e32 vcc, s7, v26
	v_mul_u32_u24_e32 v1, 13, v0
	v_cndmask_b32_e64 v26, 0, 1, s[2:3]
	v_cmp_ne_u32_e64 s[2:3], 1, v26
	v_mov_b64_e32 v[50:51], v[44:45]
	ds_write_b64 v48, v[44:45]
	s_and_saveexec_b64 s[22:23], vcc
	s_cbranch_execz .LBB1159_167
; %bb.157:
	s_and_b64 vcc, exec, s[2:3]
	s_cbranch_vccnz .LBB1159_164
; %bb.158:
	v_mul_lo_u32 v28, v45, s12
	v_mul_lo_u32 v29, v44, s13
	v_mad_u64_u32 v[26:27], s[24:25], v44, s12, 0
	v_add3_u32 v27, v27, v29, v28
	v_mul_lo_u32 v28, v25, s12
	v_mul_lo_u32 v29, v24, s13
	v_mad_u64_u32 v[30:31], s[24:25], v24, s12, 0
	v_add3_u32 v31, v31, v29, v28
	v_lshl_add_u64 v[28:29], v[26:27], 1, s[14:15]
	v_lshl_add_u64 v[26:27], v[30:31], 1, s[14:15]
	global_load_ushort v30, v[26:27], off
	global_load_ushort v31, v[28:29], off
	v_mov_b64_e32 v[50:51], 1
	s_waitcnt vmcnt(1)
	v_lshlrev_b32_e32 v30, 16, v30
	s_waitcnt vmcnt(0)
	v_lshlrev_b32_e32 v31, 16, v31
	v_cmp_eq_f32_e32 vcc, v31, v30
	s_and_saveexec_b64 s[24:25], vcc
	s_cbranch_execz .LBB1159_166
; %bb.159:
	s_add_u32 s26, s12, -1
	v_lshl_add_u64 v[26:27], v[26:27], 0, 2
	v_lshl_add_u64 v[28:29], v[28:29], 0, 2
	s_addc_u32 s27, s13, -1
	s_mov_b64 s[28:29], 0
	s_mov_b64 s[34:35], 0
                                        ; implicit-def: $sgpr30_sgpr31
	s_branch .LBB1159_162
.LBB1159_160:                           ;   in Loop: Header=BB1159_162 Depth=1
	global_load_ushort v30, v[26:27], off
	global_load_ushort v31, v[28:29], off
	s_add_u32 s34, s34, 1
	s_addc_u32 s35, s35, 0
	s_andn2_b64 s[30:31], s[30:31], exec
	v_lshl_add_u64 v[26:27], v[26:27], 0, 2
	v_lshl_add_u64 v[28:29], v[28:29], 0, 2
	s_waitcnt vmcnt(1)
	v_lshlrev_b32_e32 v30, 16, v30
	s_waitcnt vmcnt(0)
	v_lshlrev_b32_e32 v31, 16, v31
	v_cmp_neq_f32_e32 vcc, v31, v30
	s_and_b64 s[36:37], vcc, exec
	s_or_b64 s[30:31], s[30:31], s[36:37]
.LBB1159_161:                           ;   in Loop: Header=BB1159_162 Depth=1
	s_and_b64 s[36:37], exec, s[30:31]
	s_or_b64 s[28:29], s[36:37], s[28:29]
	v_mov_b64_e32 v[30:31], s[34:35]
	s_andn2_b64 exec, exec, s[28:29]
	s_cbranch_execz .LBB1159_165
.LBB1159_162:                           ; =>This Inner Loop Header: Depth=1
	s_or_b64 s[30:31], s[30:31], exec
	s_cmp_eq_u64 s[26:27], s[34:35]
	s_cbranch_scc0 .LBB1159_160
; %bb.163:                              ;   in Loop: Header=BB1159_162 Depth=1
                                        ; implicit-def: $vgpr26_vgpr27
                                        ; implicit-def: $vgpr28_vgpr29
	s_mov_b64 s[34:35], s[12:13]
	s_branch .LBB1159_161
.LBB1159_164:
	v_mov_b64_e32 v[50:51], 0
	s_branch .LBB1159_167
.LBB1159_165:
	s_or_b64 exec, exec, s[28:29]
	v_cmp_gt_i64_e32 vcc, s[12:13], v[30:31]
	s_mov_b32 s26, 0
	v_mov_b32_e32 v51, s26
	v_cndmask_b32_e64 v50, 0, 1, vcc
.LBB1159_166:
	s_or_b64 exec, exec, s[24:25]
.LBB1159_167:
	s_or_b64 exec, exec, s[22:23]
	v_add_u32_e32 v26, 11, v1
	v_cmp_gt_u32_e32 vcc, s7, v26
	v_mov_b64_e32 v[52:53], v[24:25]
	s_and_saveexec_b64 s[22:23], vcc
	s_cbranch_execz .LBB1159_178
; %bb.168:
	s_and_b64 vcc, exec, s[2:3]
	s_cbranch_vccnz .LBB1159_175
; %bb.169:
	v_mul_lo_u32 v28, v25, s12
	v_mul_lo_u32 v29, v24, s13
	v_mad_u64_u32 v[26:27], s[24:25], v24, s12, 0
	v_add3_u32 v27, v27, v29, v28
	v_mul_lo_u32 v28, v23, s12
	v_mul_lo_u32 v29, v22, s13
	v_mad_u64_u32 v[30:31], s[24:25], v22, s12, 0
	v_add3_u32 v31, v31, v29, v28
	v_lshl_add_u64 v[28:29], v[26:27], 1, s[14:15]
	v_lshl_add_u64 v[26:27], v[30:31], 1, s[14:15]
	global_load_ushort v30, v[26:27], off
	global_load_ushort v31, v[28:29], off
	v_mov_b64_e32 v[52:53], 1
	s_waitcnt vmcnt(1)
	v_lshlrev_b32_e32 v30, 16, v30
	s_waitcnt vmcnt(0)
	v_lshlrev_b32_e32 v31, 16, v31
	v_cmp_eq_f32_e32 vcc, v31, v30
	s_and_saveexec_b64 s[24:25], vcc
	s_cbranch_execz .LBB1159_177
; %bb.170:
	s_add_u32 s26, s12, -1
	v_lshl_add_u64 v[26:27], v[26:27], 0, 2
	v_lshl_add_u64 v[28:29], v[28:29], 0, 2
	s_addc_u32 s27, s13, -1
	s_mov_b64 s[28:29], 0
	s_mov_b64 s[34:35], 0
                                        ; implicit-def: $sgpr30_sgpr31
	s_branch .LBB1159_173
.LBB1159_171:                           ;   in Loop: Header=BB1159_173 Depth=1
	global_load_ushort v30, v[26:27], off
	global_load_ushort v31, v[28:29], off
	s_add_u32 s34, s34, 1
	s_addc_u32 s35, s35, 0
	s_andn2_b64 s[30:31], s[30:31], exec
	v_lshl_add_u64 v[26:27], v[26:27], 0, 2
	v_lshl_add_u64 v[28:29], v[28:29], 0, 2
	s_waitcnt vmcnt(1)
	v_lshlrev_b32_e32 v30, 16, v30
	s_waitcnt vmcnt(0)
	v_lshlrev_b32_e32 v31, 16, v31
	v_cmp_neq_f32_e32 vcc, v31, v30
	s_and_b64 s[36:37], vcc, exec
	s_or_b64 s[30:31], s[30:31], s[36:37]
.LBB1159_172:                           ;   in Loop: Header=BB1159_173 Depth=1
	s_and_b64 s[36:37], exec, s[30:31]
	s_or_b64 s[28:29], s[36:37], s[28:29]
	v_mov_b64_e32 v[30:31], s[34:35]
	s_andn2_b64 exec, exec, s[28:29]
	s_cbranch_execz .LBB1159_176
.LBB1159_173:                           ; =>This Inner Loop Header: Depth=1
	s_or_b64 s[30:31], s[30:31], exec
	s_cmp_eq_u64 s[26:27], s[34:35]
	s_cbranch_scc0 .LBB1159_171
; %bb.174:                              ;   in Loop: Header=BB1159_173 Depth=1
                                        ; implicit-def: $vgpr26_vgpr27
                                        ; implicit-def: $vgpr28_vgpr29
	s_mov_b64 s[34:35], s[12:13]
	s_branch .LBB1159_172
.LBB1159_175:
	v_mov_b64_e32 v[52:53], 0
	s_branch .LBB1159_178
.LBB1159_176:
	s_or_b64 exec, exec, s[28:29]
	v_cmp_gt_i64_e32 vcc, s[12:13], v[30:31]
	s_mov_b32 s26, 0
	v_mov_b32_e32 v53, s26
	v_cndmask_b32_e64 v52, 0, 1, vcc
.LBB1159_177:
	s_or_b64 exec, exec, s[24:25]
.LBB1159_178:
	s_or_b64 exec, exec, s[22:23]
	v_add_u32_e32 v26, 10, v1
	v_cmp_gt_u32_e32 vcc, s7, v26
	v_mov_b64_e32 v[46:47], v[22:23]
	s_and_saveexec_b64 s[22:23], vcc
	s_cbranch_execz .LBB1159_189
; %bb.179:
	s_and_b64 vcc, exec, s[2:3]
	s_cbranch_vccnz .LBB1159_186
; %bb.180:
	v_mul_lo_u32 v28, v23, s12
	v_mul_lo_u32 v29, v22, s13
	v_mad_u64_u32 v[26:27], s[24:25], v22, s12, 0
	v_add3_u32 v27, v27, v29, v28
	v_mul_lo_u32 v28, v21, s12
	v_mul_lo_u32 v29, v20, s13
	v_mad_u64_u32 v[30:31], s[24:25], v20, s12, 0
	v_add3_u32 v31, v31, v29, v28
	v_lshl_add_u64 v[28:29], v[26:27], 1, s[14:15]
	v_lshl_add_u64 v[26:27], v[30:31], 1, s[14:15]
	global_load_ushort v30, v[26:27], off
	global_load_ushort v31, v[28:29], off
	v_mov_b64_e32 v[46:47], 1
	s_waitcnt vmcnt(1)
	v_lshlrev_b32_e32 v30, 16, v30
	s_waitcnt vmcnt(0)
	v_lshlrev_b32_e32 v31, 16, v31
	v_cmp_eq_f32_e32 vcc, v31, v30
	s_and_saveexec_b64 s[24:25], vcc
	s_cbranch_execz .LBB1159_188
; %bb.181:
	s_add_u32 s26, s12, -1
	v_lshl_add_u64 v[26:27], v[26:27], 0, 2
	v_lshl_add_u64 v[28:29], v[28:29], 0, 2
	s_addc_u32 s27, s13, -1
	s_mov_b64 s[28:29], 0
	s_mov_b64 s[34:35], 0
                                        ; implicit-def: $sgpr30_sgpr31
	s_branch .LBB1159_184
.LBB1159_182:                           ;   in Loop: Header=BB1159_184 Depth=1
	global_load_ushort v30, v[26:27], off
	global_load_ushort v31, v[28:29], off
	s_add_u32 s34, s34, 1
	s_addc_u32 s35, s35, 0
	s_andn2_b64 s[30:31], s[30:31], exec
	v_lshl_add_u64 v[26:27], v[26:27], 0, 2
	v_lshl_add_u64 v[28:29], v[28:29], 0, 2
	s_waitcnt vmcnt(1)
	v_lshlrev_b32_e32 v30, 16, v30
	s_waitcnt vmcnt(0)
	v_lshlrev_b32_e32 v31, 16, v31
	v_cmp_neq_f32_e32 vcc, v31, v30
	s_and_b64 s[36:37], vcc, exec
	s_or_b64 s[30:31], s[30:31], s[36:37]
.LBB1159_183:                           ;   in Loop: Header=BB1159_184 Depth=1
	s_and_b64 s[36:37], exec, s[30:31]
	s_or_b64 s[28:29], s[36:37], s[28:29]
	v_mov_b64_e32 v[30:31], s[34:35]
	s_andn2_b64 exec, exec, s[28:29]
	s_cbranch_execz .LBB1159_187
.LBB1159_184:                           ; =>This Inner Loop Header: Depth=1
	s_or_b64 s[30:31], s[30:31], exec
	s_cmp_eq_u64 s[26:27], s[34:35]
	s_cbranch_scc0 .LBB1159_182
; %bb.185:                              ;   in Loop: Header=BB1159_184 Depth=1
                                        ; implicit-def: $vgpr26_vgpr27
                                        ; implicit-def: $vgpr28_vgpr29
	s_mov_b64 s[34:35], s[12:13]
	s_branch .LBB1159_183
.LBB1159_186:
	v_mov_b64_e32 v[46:47], 0
	s_branch .LBB1159_189
.LBB1159_187:
	s_or_b64 exec, exec, s[28:29]
	v_cmp_gt_i64_e32 vcc, s[12:13], v[30:31]
	s_mov_b32 s26, 0
	v_mov_b32_e32 v47, s26
	v_cndmask_b32_e64 v46, 0, 1, vcc
.LBB1159_188:
	s_or_b64 exec, exec, s[24:25]
.LBB1159_189:
	s_or_b64 exec, exec, s[22:23]
	v_add_u32_e32 v26, 9, v1
	v_cmp_gt_u32_e32 vcc, s7, v26
	v_mov_b64_e32 v[54:55], v[20:21]
	s_and_saveexec_b64 s[22:23], vcc
	s_cbranch_execz .LBB1159_200
; %bb.190:
	s_and_b64 vcc, exec, s[2:3]
	s_cbranch_vccnz .LBB1159_197
; %bb.191:
	v_mul_lo_u32 v28, v21, s12
	v_mul_lo_u32 v29, v20, s13
	v_mad_u64_u32 v[26:27], s[24:25], v20, s12, 0
	v_add3_u32 v27, v27, v29, v28
	v_mul_lo_u32 v28, v19, s12
	v_mul_lo_u32 v29, v18, s13
	v_mad_u64_u32 v[30:31], s[24:25], v18, s12, 0
	v_add3_u32 v31, v31, v29, v28
	v_lshl_add_u64 v[28:29], v[26:27], 1, s[14:15]
	v_lshl_add_u64 v[26:27], v[30:31], 1, s[14:15]
	global_load_ushort v30, v[26:27], off
	global_load_ushort v31, v[28:29], off
	v_mov_b64_e32 v[54:55], 1
	s_waitcnt vmcnt(1)
	v_lshlrev_b32_e32 v30, 16, v30
	s_waitcnt vmcnt(0)
	v_lshlrev_b32_e32 v31, 16, v31
	v_cmp_eq_f32_e32 vcc, v31, v30
	s_and_saveexec_b64 s[24:25], vcc
	s_cbranch_execz .LBB1159_199
; %bb.192:
	s_add_u32 s26, s12, -1
	v_lshl_add_u64 v[26:27], v[26:27], 0, 2
	v_lshl_add_u64 v[28:29], v[28:29], 0, 2
	s_addc_u32 s27, s13, -1
	s_mov_b64 s[28:29], 0
	s_mov_b64 s[34:35], 0
                                        ; implicit-def: $sgpr30_sgpr31
	s_branch .LBB1159_195
.LBB1159_193:                           ;   in Loop: Header=BB1159_195 Depth=1
	global_load_ushort v30, v[26:27], off
	global_load_ushort v31, v[28:29], off
	s_add_u32 s34, s34, 1
	s_addc_u32 s35, s35, 0
	s_andn2_b64 s[30:31], s[30:31], exec
	v_lshl_add_u64 v[26:27], v[26:27], 0, 2
	v_lshl_add_u64 v[28:29], v[28:29], 0, 2
	s_waitcnt vmcnt(1)
	v_lshlrev_b32_e32 v30, 16, v30
	s_waitcnt vmcnt(0)
	v_lshlrev_b32_e32 v31, 16, v31
	v_cmp_neq_f32_e32 vcc, v31, v30
	s_and_b64 s[36:37], vcc, exec
	s_or_b64 s[30:31], s[30:31], s[36:37]
.LBB1159_194:                           ;   in Loop: Header=BB1159_195 Depth=1
	s_and_b64 s[36:37], exec, s[30:31]
	s_or_b64 s[28:29], s[36:37], s[28:29]
	v_mov_b64_e32 v[30:31], s[34:35]
	s_andn2_b64 exec, exec, s[28:29]
	s_cbranch_execz .LBB1159_198
.LBB1159_195:                           ; =>This Inner Loop Header: Depth=1
	s_or_b64 s[30:31], s[30:31], exec
	s_cmp_eq_u64 s[26:27], s[34:35]
	s_cbranch_scc0 .LBB1159_193
; %bb.196:                              ;   in Loop: Header=BB1159_195 Depth=1
                                        ; implicit-def: $vgpr26_vgpr27
                                        ; implicit-def: $vgpr28_vgpr29
	s_mov_b64 s[34:35], s[12:13]
	s_branch .LBB1159_194
.LBB1159_197:
	v_mov_b64_e32 v[54:55], 0
	s_branch .LBB1159_200
.LBB1159_198:
	s_or_b64 exec, exec, s[28:29]
	v_cmp_gt_i64_e32 vcc, s[12:13], v[30:31]
	s_mov_b32 s26, 0
	v_mov_b32_e32 v55, s26
	v_cndmask_b32_e64 v54, 0, 1, vcc
.LBB1159_199:
	s_or_b64 exec, exec, s[24:25]
.LBB1159_200:
	s_or_b64 exec, exec, s[22:23]
	v_add_u32_e32 v26, 8, v1
	v_cmp_gt_u32_e32 vcc, s7, v26
	v_mov_b64_e32 v[56:57], v[18:19]
	s_and_saveexec_b64 s[22:23], vcc
	s_cbranch_execz .LBB1159_211
; %bb.201:
	s_and_b64 vcc, exec, s[2:3]
	s_cbranch_vccnz .LBB1159_208
; %bb.202:
	v_mul_lo_u32 v28, v19, s12
	v_mul_lo_u32 v29, v18, s13
	v_mad_u64_u32 v[26:27], s[24:25], v18, s12, 0
	v_add3_u32 v27, v27, v29, v28
	v_mul_lo_u32 v28, v17, s12
	v_mul_lo_u32 v29, v16, s13
	v_mad_u64_u32 v[30:31], s[24:25], v16, s12, 0
	v_add3_u32 v31, v31, v29, v28
	v_lshl_add_u64 v[28:29], v[26:27], 1, s[14:15]
	v_lshl_add_u64 v[26:27], v[30:31], 1, s[14:15]
	global_load_ushort v30, v[26:27], off
	global_load_ushort v31, v[28:29], off
	v_mov_b64_e32 v[56:57], 1
	s_waitcnt vmcnt(1)
	v_lshlrev_b32_e32 v30, 16, v30
	s_waitcnt vmcnt(0)
	v_lshlrev_b32_e32 v31, 16, v31
	v_cmp_eq_f32_e32 vcc, v31, v30
	s_and_saveexec_b64 s[24:25], vcc
	s_cbranch_execz .LBB1159_210
; %bb.203:
	s_add_u32 s26, s12, -1
	v_lshl_add_u64 v[26:27], v[26:27], 0, 2
	v_lshl_add_u64 v[28:29], v[28:29], 0, 2
	s_addc_u32 s27, s13, -1
	s_mov_b64 s[28:29], 0
	s_mov_b64 s[34:35], 0
                                        ; implicit-def: $sgpr30_sgpr31
	s_branch .LBB1159_206
.LBB1159_204:                           ;   in Loop: Header=BB1159_206 Depth=1
	global_load_ushort v30, v[26:27], off
	global_load_ushort v31, v[28:29], off
	s_add_u32 s34, s34, 1
	s_addc_u32 s35, s35, 0
	s_andn2_b64 s[30:31], s[30:31], exec
	v_lshl_add_u64 v[26:27], v[26:27], 0, 2
	v_lshl_add_u64 v[28:29], v[28:29], 0, 2
	s_waitcnt vmcnt(1)
	v_lshlrev_b32_e32 v30, 16, v30
	s_waitcnt vmcnt(0)
	v_lshlrev_b32_e32 v31, 16, v31
	v_cmp_neq_f32_e32 vcc, v31, v30
	s_and_b64 s[36:37], vcc, exec
	s_or_b64 s[30:31], s[30:31], s[36:37]
.LBB1159_205:                           ;   in Loop: Header=BB1159_206 Depth=1
	s_and_b64 s[36:37], exec, s[30:31]
	s_or_b64 s[28:29], s[36:37], s[28:29]
	v_mov_b64_e32 v[30:31], s[34:35]
	s_andn2_b64 exec, exec, s[28:29]
	s_cbranch_execz .LBB1159_209
.LBB1159_206:                           ; =>This Inner Loop Header: Depth=1
	s_or_b64 s[30:31], s[30:31], exec
	s_cmp_eq_u64 s[26:27], s[34:35]
	s_cbranch_scc0 .LBB1159_204
; %bb.207:                              ;   in Loop: Header=BB1159_206 Depth=1
                                        ; implicit-def: $vgpr26_vgpr27
                                        ; implicit-def: $vgpr28_vgpr29
	s_mov_b64 s[34:35], s[12:13]
	s_branch .LBB1159_205
.LBB1159_208:
	v_mov_b64_e32 v[56:57], 0
	s_branch .LBB1159_211
.LBB1159_209:
	s_or_b64 exec, exec, s[28:29]
	v_cmp_gt_i64_e32 vcc, s[12:13], v[30:31]
	s_mov_b32 s26, 0
	v_mov_b32_e32 v57, s26
	v_cndmask_b32_e64 v56, 0, 1, vcc
.LBB1159_210:
	s_or_b64 exec, exec, s[24:25]
.LBB1159_211:
	s_or_b64 exec, exec, s[22:23]
	v_add_u32_e32 v26, 7, v1
	v_cmp_gt_u32_e32 vcc, s7, v26
	v_mov_b64_e32 v[58:59], v[16:17]
	s_and_saveexec_b64 s[22:23], vcc
	s_cbranch_execz .LBB1159_222
; %bb.212:
	s_and_b64 vcc, exec, s[2:3]
	s_cbranch_vccnz .LBB1159_219
; %bb.213:
	v_mul_lo_u32 v28, v17, s12
	v_mul_lo_u32 v29, v16, s13
	v_mad_u64_u32 v[26:27], s[24:25], v16, s12, 0
	v_add3_u32 v27, v27, v29, v28
	v_mul_lo_u32 v28, v15, s12
	v_mul_lo_u32 v29, v14, s13
	v_mad_u64_u32 v[30:31], s[24:25], v14, s12, 0
	v_add3_u32 v31, v31, v29, v28
	v_lshl_add_u64 v[28:29], v[26:27], 1, s[14:15]
	v_lshl_add_u64 v[26:27], v[30:31], 1, s[14:15]
	global_load_ushort v30, v[26:27], off
	global_load_ushort v31, v[28:29], off
	v_mov_b64_e32 v[58:59], 1
	s_waitcnt vmcnt(1)
	v_lshlrev_b32_e32 v30, 16, v30
	s_waitcnt vmcnt(0)
	v_lshlrev_b32_e32 v31, 16, v31
	v_cmp_eq_f32_e32 vcc, v31, v30
	s_and_saveexec_b64 s[24:25], vcc
	s_cbranch_execz .LBB1159_221
; %bb.214:
	s_add_u32 s26, s12, -1
	v_lshl_add_u64 v[26:27], v[26:27], 0, 2
	v_lshl_add_u64 v[28:29], v[28:29], 0, 2
	s_addc_u32 s27, s13, -1
	s_mov_b64 s[28:29], 0
	s_mov_b64 s[34:35], 0
                                        ; implicit-def: $sgpr30_sgpr31
	s_branch .LBB1159_217
.LBB1159_215:                           ;   in Loop: Header=BB1159_217 Depth=1
	global_load_ushort v30, v[26:27], off
	global_load_ushort v31, v[28:29], off
	s_add_u32 s34, s34, 1
	s_addc_u32 s35, s35, 0
	s_andn2_b64 s[30:31], s[30:31], exec
	v_lshl_add_u64 v[26:27], v[26:27], 0, 2
	v_lshl_add_u64 v[28:29], v[28:29], 0, 2
	s_waitcnt vmcnt(1)
	v_lshlrev_b32_e32 v30, 16, v30
	s_waitcnt vmcnt(0)
	v_lshlrev_b32_e32 v31, 16, v31
	v_cmp_neq_f32_e32 vcc, v31, v30
	s_and_b64 s[36:37], vcc, exec
	s_or_b64 s[30:31], s[30:31], s[36:37]
.LBB1159_216:                           ;   in Loop: Header=BB1159_217 Depth=1
	s_and_b64 s[36:37], exec, s[30:31]
	s_or_b64 s[28:29], s[36:37], s[28:29]
	v_mov_b64_e32 v[30:31], s[34:35]
	s_andn2_b64 exec, exec, s[28:29]
	s_cbranch_execz .LBB1159_220
.LBB1159_217:                           ; =>This Inner Loop Header: Depth=1
	s_or_b64 s[30:31], s[30:31], exec
	s_cmp_eq_u64 s[26:27], s[34:35]
	s_cbranch_scc0 .LBB1159_215
; %bb.218:                              ;   in Loop: Header=BB1159_217 Depth=1
                                        ; implicit-def: $vgpr26_vgpr27
                                        ; implicit-def: $vgpr28_vgpr29
	s_mov_b64 s[34:35], s[12:13]
	s_branch .LBB1159_216
.LBB1159_219:
	v_mov_b64_e32 v[58:59], 0
	s_branch .LBB1159_222
.LBB1159_220:
	s_or_b64 exec, exec, s[28:29]
	v_cmp_gt_i64_e32 vcc, s[12:13], v[30:31]
	s_mov_b32 s26, 0
	v_mov_b32_e32 v59, s26
	v_cndmask_b32_e64 v58, 0, 1, vcc
.LBB1159_221:
	s_or_b64 exec, exec, s[24:25]
.LBB1159_222:
	s_or_b64 exec, exec, s[22:23]
	v_add_u32_e32 v26, 6, v1
	v_cmp_gt_u32_e32 vcc, s7, v26
	v_mov_b64_e32 v[60:61], v[14:15]
	s_and_saveexec_b64 s[22:23], vcc
	s_cbranch_execz .LBB1159_233
; %bb.223:
	s_and_b64 vcc, exec, s[2:3]
	s_cbranch_vccnz .LBB1159_230
; %bb.224:
	v_mul_lo_u32 v28, v15, s12
	v_mul_lo_u32 v29, v14, s13
	v_mad_u64_u32 v[26:27], s[24:25], v14, s12, 0
	v_add3_u32 v27, v27, v29, v28
	v_mul_lo_u32 v28, v13, s12
	v_mul_lo_u32 v29, v12, s13
	v_mad_u64_u32 v[30:31], s[24:25], v12, s12, 0
	v_add3_u32 v31, v31, v29, v28
	v_lshl_add_u64 v[28:29], v[26:27], 1, s[14:15]
	v_lshl_add_u64 v[26:27], v[30:31], 1, s[14:15]
	global_load_ushort v30, v[26:27], off
	global_load_ushort v31, v[28:29], off
	v_mov_b64_e32 v[60:61], 1
	s_waitcnt vmcnt(1)
	v_lshlrev_b32_e32 v30, 16, v30
	s_waitcnt vmcnt(0)
	v_lshlrev_b32_e32 v31, 16, v31
	v_cmp_eq_f32_e32 vcc, v31, v30
	s_and_saveexec_b64 s[24:25], vcc
	s_cbranch_execz .LBB1159_232
; %bb.225:
	s_add_u32 s26, s12, -1
	v_lshl_add_u64 v[26:27], v[26:27], 0, 2
	v_lshl_add_u64 v[28:29], v[28:29], 0, 2
	s_addc_u32 s27, s13, -1
	s_mov_b64 s[28:29], 0
	s_mov_b64 s[34:35], 0
                                        ; implicit-def: $sgpr30_sgpr31
	s_branch .LBB1159_228
.LBB1159_226:                           ;   in Loop: Header=BB1159_228 Depth=1
	global_load_ushort v30, v[26:27], off
	global_load_ushort v31, v[28:29], off
	s_add_u32 s34, s34, 1
	s_addc_u32 s35, s35, 0
	s_andn2_b64 s[30:31], s[30:31], exec
	v_lshl_add_u64 v[26:27], v[26:27], 0, 2
	v_lshl_add_u64 v[28:29], v[28:29], 0, 2
	s_waitcnt vmcnt(1)
	v_lshlrev_b32_e32 v30, 16, v30
	s_waitcnt vmcnt(0)
	v_lshlrev_b32_e32 v31, 16, v31
	v_cmp_neq_f32_e32 vcc, v31, v30
	s_and_b64 s[36:37], vcc, exec
	s_or_b64 s[30:31], s[30:31], s[36:37]
.LBB1159_227:                           ;   in Loop: Header=BB1159_228 Depth=1
	s_and_b64 s[36:37], exec, s[30:31]
	s_or_b64 s[28:29], s[36:37], s[28:29]
	v_mov_b64_e32 v[30:31], s[34:35]
	s_andn2_b64 exec, exec, s[28:29]
	s_cbranch_execz .LBB1159_231
.LBB1159_228:                           ; =>This Inner Loop Header: Depth=1
	s_or_b64 s[30:31], s[30:31], exec
	s_cmp_eq_u64 s[26:27], s[34:35]
	s_cbranch_scc0 .LBB1159_226
; %bb.229:                              ;   in Loop: Header=BB1159_228 Depth=1
                                        ; implicit-def: $vgpr26_vgpr27
                                        ; implicit-def: $vgpr28_vgpr29
	s_mov_b64 s[34:35], s[12:13]
	s_branch .LBB1159_227
.LBB1159_230:
	v_mov_b64_e32 v[60:61], 0
	s_branch .LBB1159_233
.LBB1159_231:
	s_or_b64 exec, exec, s[28:29]
	v_cmp_gt_i64_e32 vcc, s[12:13], v[30:31]
	s_mov_b32 s26, 0
	v_mov_b32_e32 v61, s26
	v_cndmask_b32_e64 v60, 0, 1, vcc
.LBB1159_232:
	s_or_b64 exec, exec, s[24:25]
.LBB1159_233:
	s_or_b64 exec, exec, s[22:23]
	v_add_u32_e32 v26, 5, v1
	v_cmp_gt_u32_e32 vcc, s7, v26
	v_mov_b64_e32 v[62:63], v[12:13]
	s_and_saveexec_b64 s[22:23], vcc
	s_cbranch_execz .LBB1159_244
; %bb.234:
	s_and_b64 vcc, exec, s[2:3]
	s_cbranch_vccnz .LBB1159_241
; %bb.235:
	v_mul_lo_u32 v28, v13, s12
	v_mul_lo_u32 v29, v12, s13
	v_mad_u64_u32 v[26:27], s[24:25], v12, s12, 0
	v_add3_u32 v27, v27, v29, v28
	v_mul_lo_u32 v28, v11, s12
	v_mul_lo_u32 v29, v10, s13
	v_mad_u64_u32 v[30:31], s[24:25], v10, s12, 0
	v_add3_u32 v31, v31, v29, v28
	v_lshl_add_u64 v[28:29], v[26:27], 1, s[14:15]
	v_lshl_add_u64 v[26:27], v[30:31], 1, s[14:15]
	global_load_ushort v30, v[26:27], off
	global_load_ushort v31, v[28:29], off
	v_mov_b64_e32 v[62:63], 1
	s_waitcnt vmcnt(1)
	v_lshlrev_b32_e32 v30, 16, v30
	s_waitcnt vmcnt(0)
	v_lshlrev_b32_e32 v31, 16, v31
	v_cmp_eq_f32_e32 vcc, v31, v30
	s_and_saveexec_b64 s[24:25], vcc
	s_cbranch_execz .LBB1159_243
; %bb.236:
	s_add_u32 s26, s12, -1
	v_lshl_add_u64 v[26:27], v[26:27], 0, 2
	v_lshl_add_u64 v[28:29], v[28:29], 0, 2
	s_addc_u32 s27, s13, -1
	s_mov_b64 s[28:29], 0
	s_mov_b64 s[34:35], 0
                                        ; implicit-def: $sgpr30_sgpr31
	s_branch .LBB1159_239
.LBB1159_237:                           ;   in Loop: Header=BB1159_239 Depth=1
	global_load_ushort v30, v[26:27], off
	global_load_ushort v31, v[28:29], off
	s_add_u32 s34, s34, 1
	s_addc_u32 s35, s35, 0
	s_andn2_b64 s[30:31], s[30:31], exec
	v_lshl_add_u64 v[26:27], v[26:27], 0, 2
	v_lshl_add_u64 v[28:29], v[28:29], 0, 2
	s_waitcnt vmcnt(1)
	v_lshlrev_b32_e32 v30, 16, v30
	s_waitcnt vmcnt(0)
	v_lshlrev_b32_e32 v31, 16, v31
	v_cmp_neq_f32_e32 vcc, v31, v30
	s_and_b64 s[36:37], vcc, exec
	s_or_b64 s[30:31], s[30:31], s[36:37]
.LBB1159_238:                           ;   in Loop: Header=BB1159_239 Depth=1
	s_and_b64 s[36:37], exec, s[30:31]
	s_or_b64 s[28:29], s[36:37], s[28:29]
	v_mov_b64_e32 v[30:31], s[34:35]
	s_andn2_b64 exec, exec, s[28:29]
	s_cbranch_execz .LBB1159_242
.LBB1159_239:                           ; =>This Inner Loop Header: Depth=1
	s_or_b64 s[30:31], s[30:31], exec
	s_cmp_eq_u64 s[26:27], s[34:35]
	s_cbranch_scc0 .LBB1159_237
; %bb.240:                              ;   in Loop: Header=BB1159_239 Depth=1
                                        ; implicit-def: $vgpr26_vgpr27
                                        ; implicit-def: $vgpr28_vgpr29
	s_mov_b64 s[34:35], s[12:13]
	s_branch .LBB1159_238
.LBB1159_241:
	v_mov_b64_e32 v[62:63], 0
	s_branch .LBB1159_244
.LBB1159_242:
	s_or_b64 exec, exec, s[28:29]
	v_cmp_gt_i64_e32 vcc, s[12:13], v[30:31]
	s_mov_b32 s26, 0
	v_mov_b32_e32 v63, s26
	v_cndmask_b32_e64 v62, 0, 1, vcc
.LBB1159_243:
	s_or_b64 exec, exec, s[24:25]
.LBB1159_244:
	s_or_b64 exec, exec, s[22:23]
	v_add_u32_e32 v26, 4, v1
	v_cmp_gt_u32_e32 vcc, s7, v26
	v_mov_b64_e32 v[64:65], v[10:11]
	s_and_saveexec_b64 s[22:23], vcc
	s_cbranch_execz .LBB1159_255
; %bb.245:
	s_and_b64 vcc, exec, s[2:3]
	s_cbranch_vccnz .LBB1159_252
; %bb.246:
	v_mul_lo_u32 v28, v11, s12
	v_mul_lo_u32 v29, v10, s13
	v_mad_u64_u32 v[26:27], s[24:25], v10, s12, 0
	v_add3_u32 v27, v27, v29, v28
	v_mul_lo_u32 v28, v9, s12
	v_mul_lo_u32 v29, v8, s13
	v_mad_u64_u32 v[30:31], s[24:25], v8, s12, 0
	v_add3_u32 v31, v31, v29, v28
	v_lshl_add_u64 v[28:29], v[26:27], 1, s[14:15]
	v_lshl_add_u64 v[26:27], v[30:31], 1, s[14:15]
	global_load_ushort v30, v[26:27], off
	global_load_ushort v31, v[28:29], off
	v_mov_b64_e32 v[64:65], 1
	s_waitcnt vmcnt(1)
	v_lshlrev_b32_e32 v30, 16, v30
	s_waitcnt vmcnt(0)
	v_lshlrev_b32_e32 v31, 16, v31
	v_cmp_eq_f32_e32 vcc, v31, v30
	s_and_saveexec_b64 s[24:25], vcc
	s_cbranch_execz .LBB1159_254
; %bb.247:
	s_add_u32 s26, s12, -1
	v_lshl_add_u64 v[26:27], v[26:27], 0, 2
	v_lshl_add_u64 v[28:29], v[28:29], 0, 2
	s_addc_u32 s27, s13, -1
	s_mov_b64 s[28:29], 0
	s_mov_b64 s[34:35], 0
                                        ; implicit-def: $sgpr30_sgpr31
	s_branch .LBB1159_250
.LBB1159_248:                           ;   in Loop: Header=BB1159_250 Depth=1
	global_load_ushort v30, v[26:27], off
	global_load_ushort v31, v[28:29], off
	s_add_u32 s34, s34, 1
	s_addc_u32 s35, s35, 0
	s_andn2_b64 s[30:31], s[30:31], exec
	v_lshl_add_u64 v[26:27], v[26:27], 0, 2
	v_lshl_add_u64 v[28:29], v[28:29], 0, 2
	s_waitcnt vmcnt(1)
	v_lshlrev_b32_e32 v30, 16, v30
	s_waitcnt vmcnt(0)
	v_lshlrev_b32_e32 v31, 16, v31
	v_cmp_neq_f32_e32 vcc, v31, v30
	s_and_b64 s[36:37], vcc, exec
	s_or_b64 s[30:31], s[30:31], s[36:37]
.LBB1159_249:                           ;   in Loop: Header=BB1159_250 Depth=1
	s_and_b64 s[36:37], exec, s[30:31]
	s_or_b64 s[28:29], s[36:37], s[28:29]
	v_mov_b64_e32 v[30:31], s[34:35]
	s_andn2_b64 exec, exec, s[28:29]
	s_cbranch_execz .LBB1159_253
.LBB1159_250:                           ; =>This Inner Loop Header: Depth=1
	s_or_b64 s[30:31], s[30:31], exec
	s_cmp_eq_u64 s[26:27], s[34:35]
	s_cbranch_scc0 .LBB1159_248
; %bb.251:                              ;   in Loop: Header=BB1159_250 Depth=1
                                        ; implicit-def: $vgpr26_vgpr27
                                        ; implicit-def: $vgpr28_vgpr29
	s_mov_b64 s[34:35], s[12:13]
	s_branch .LBB1159_249
.LBB1159_252:
	v_mov_b64_e32 v[64:65], 0
	s_branch .LBB1159_255
.LBB1159_253:
	s_or_b64 exec, exec, s[28:29]
	v_cmp_gt_i64_e32 vcc, s[12:13], v[30:31]
	s_mov_b32 s26, 0
	v_mov_b32_e32 v65, s26
	v_cndmask_b32_e64 v64, 0, 1, vcc
.LBB1159_254:
	s_or_b64 exec, exec, s[24:25]
.LBB1159_255:
	s_or_b64 exec, exec, s[22:23]
	v_add_u32_e32 v26, 3, v1
	v_cmp_gt_u32_e32 vcc, s7, v26
	v_mov_b64_e32 v[66:67], v[8:9]
	s_and_saveexec_b64 s[22:23], vcc
	s_cbranch_execz .LBB1159_266
; %bb.256:
	s_and_b64 vcc, exec, s[2:3]
	s_cbranch_vccnz .LBB1159_263
; %bb.257:
	v_mul_lo_u32 v28, v9, s12
	v_mul_lo_u32 v29, v8, s13
	v_mad_u64_u32 v[26:27], s[24:25], v8, s12, 0
	v_add3_u32 v27, v27, v29, v28
	v_mul_lo_u32 v28, v7, s12
	v_mul_lo_u32 v29, v6, s13
	v_mad_u64_u32 v[30:31], s[24:25], v6, s12, 0
	v_add3_u32 v31, v31, v29, v28
	v_lshl_add_u64 v[28:29], v[26:27], 1, s[14:15]
	v_lshl_add_u64 v[26:27], v[30:31], 1, s[14:15]
	global_load_ushort v30, v[26:27], off
	global_load_ushort v31, v[28:29], off
	v_mov_b64_e32 v[66:67], 1
	s_waitcnt vmcnt(1)
	v_lshlrev_b32_e32 v30, 16, v30
	s_waitcnt vmcnt(0)
	v_lshlrev_b32_e32 v31, 16, v31
	v_cmp_eq_f32_e32 vcc, v31, v30
	s_and_saveexec_b64 s[24:25], vcc
	s_cbranch_execz .LBB1159_265
; %bb.258:
	s_add_u32 s26, s12, -1
	v_lshl_add_u64 v[26:27], v[26:27], 0, 2
	v_lshl_add_u64 v[28:29], v[28:29], 0, 2
	s_addc_u32 s27, s13, -1
	s_mov_b64 s[28:29], 0
	s_mov_b64 s[34:35], 0
                                        ; implicit-def: $sgpr30_sgpr31
	s_branch .LBB1159_261
.LBB1159_259:                           ;   in Loop: Header=BB1159_261 Depth=1
	global_load_ushort v30, v[26:27], off
	global_load_ushort v31, v[28:29], off
	s_add_u32 s34, s34, 1
	s_addc_u32 s35, s35, 0
	s_andn2_b64 s[30:31], s[30:31], exec
	v_lshl_add_u64 v[26:27], v[26:27], 0, 2
	v_lshl_add_u64 v[28:29], v[28:29], 0, 2
	s_waitcnt vmcnt(1)
	v_lshlrev_b32_e32 v30, 16, v30
	s_waitcnt vmcnt(0)
	v_lshlrev_b32_e32 v31, 16, v31
	v_cmp_neq_f32_e32 vcc, v31, v30
	s_and_b64 s[36:37], vcc, exec
	s_or_b64 s[30:31], s[30:31], s[36:37]
.LBB1159_260:                           ;   in Loop: Header=BB1159_261 Depth=1
	s_and_b64 s[36:37], exec, s[30:31]
	s_or_b64 s[28:29], s[36:37], s[28:29]
	v_mov_b64_e32 v[30:31], s[34:35]
	s_andn2_b64 exec, exec, s[28:29]
	s_cbranch_execz .LBB1159_264
.LBB1159_261:                           ; =>This Inner Loop Header: Depth=1
	s_or_b64 s[30:31], s[30:31], exec
	s_cmp_eq_u64 s[26:27], s[34:35]
	s_cbranch_scc0 .LBB1159_259
; %bb.262:                              ;   in Loop: Header=BB1159_261 Depth=1
                                        ; implicit-def: $vgpr26_vgpr27
                                        ; implicit-def: $vgpr28_vgpr29
	s_mov_b64 s[34:35], s[12:13]
	s_branch .LBB1159_260
.LBB1159_263:
	v_mov_b64_e32 v[66:67], 0
	s_branch .LBB1159_266
.LBB1159_264:
	s_or_b64 exec, exec, s[28:29]
	v_cmp_gt_i64_e32 vcc, s[12:13], v[30:31]
	s_mov_b32 s26, 0
	v_mov_b32_e32 v67, s26
	v_cndmask_b32_e64 v66, 0, 1, vcc
.LBB1159_265:
	s_or_b64 exec, exec, s[24:25]
.LBB1159_266:
	s_or_b64 exec, exec, s[22:23]
	v_add_u32_e32 v26, 2, v1
	v_cmp_gt_u32_e32 vcc, s7, v26
	v_mov_b64_e32 v[68:69], v[6:7]
	s_and_saveexec_b64 s[22:23], vcc
	s_cbranch_execz .LBB1159_277
; %bb.267:
	s_and_b64 vcc, exec, s[2:3]
	s_cbranch_vccnz .LBB1159_274
; %bb.268:
	v_mul_lo_u32 v28, v7, s12
	v_mul_lo_u32 v29, v6, s13
	v_mad_u64_u32 v[26:27], s[24:25], v6, s12, 0
	v_add3_u32 v27, v27, v29, v28
	v_mul_lo_u32 v28, v5, s12
	v_mul_lo_u32 v29, v4, s13
	v_mad_u64_u32 v[30:31], s[24:25], v4, s12, 0
	v_add3_u32 v31, v31, v29, v28
	v_lshl_add_u64 v[28:29], v[26:27], 1, s[14:15]
	v_lshl_add_u64 v[26:27], v[30:31], 1, s[14:15]
	global_load_ushort v30, v[26:27], off
	global_load_ushort v31, v[28:29], off
	v_mov_b64_e32 v[68:69], 1
	s_waitcnt vmcnt(1)
	v_lshlrev_b32_e32 v30, 16, v30
	s_waitcnt vmcnt(0)
	v_lshlrev_b32_e32 v31, 16, v31
	v_cmp_eq_f32_e32 vcc, v31, v30
	s_and_saveexec_b64 s[24:25], vcc
	s_cbranch_execz .LBB1159_276
; %bb.269:
	s_add_u32 s26, s12, -1
	v_lshl_add_u64 v[26:27], v[26:27], 0, 2
	v_lshl_add_u64 v[28:29], v[28:29], 0, 2
	s_addc_u32 s27, s13, -1
	s_mov_b64 s[28:29], 0
	s_mov_b64 s[34:35], 0
                                        ; implicit-def: $sgpr30_sgpr31
	s_branch .LBB1159_272
.LBB1159_270:                           ;   in Loop: Header=BB1159_272 Depth=1
	global_load_ushort v30, v[26:27], off
	global_load_ushort v31, v[28:29], off
	s_add_u32 s34, s34, 1
	s_addc_u32 s35, s35, 0
	s_andn2_b64 s[30:31], s[30:31], exec
	v_lshl_add_u64 v[26:27], v[26:27], 0, 2
	v_lshl_add_u64 v[28:29], v[28:29], 0, 2
	s_waitcnt vmcnt(1)
	v_lshlrev_b32_e32 v30, 16, v30
	s_waitcnt vmcnt(0)
	v_lshlrev_b32_e32 v31, 16, v31
	v_cmp_neq_f32_e32 vcc, v31, v30
	s_and_b64 s[36:37], vcc, exec
	s_or_b64 s[30:31], s[30:31], s[36:37]
.LBB1159_271:                           ;   in Loop: Header=BB1159_272 Depth=1
	s_and_b64 s[36:37], exec, s[30:31]
	s_or_b64 s[28:29], s[36:37], s[28:29]
	v_mov_b64_e32 v[30:31], s[34:35]
	s_andn2_b64 exec, exec, s[28:29]
	s_cbranch_execz .LBB1159_275
.LBB1159_272:                           ; =>This Inner Loop Header: Depth=1
	s_or_b64 s[30:31], s[30:31], exec
	s_cmp_eq_u64 s[26:27], s[34:35]
	s_cbranch_scc0 .LBB1159_270
; %bb.273:                              ;   in Loop: Header=BB1159_272 Depth=1
                                        ; implicit-def: $vgpr26_vgpr27
                                        ; implicit-def: $vgpr28_vgpr29
	s_mov_b64 s[34:35], s[12:13]
	s_branch .LBB1159_271
.LBB1159_274:
	v_mov_b64_e32 v[68:69], 0
	s_branch .LBB1159_277
.LBB1159_275:
	s_or_b64 exec, exec, s[28:29]
	v_cmp_gt_i64_e32 vcc, s[12:13], v[30:31]
	s_mov_b32 s26, 0
	v_mov_b32_e32 v69, s26
	v_cndmask_b32_e64 v68, 0, 1, vcc
.LBB1159_276:
	s_or_b64 exec, exec, s[24:25]
.LBB1159_277:
	s_or_b64 exec, exec, s[22:23]
	v_add_u32_e32 v26, 1, v1
	v_cmp_gt_u32_e32 vcc, s7, v26
	v_mov_b64_e32 v[70:71], v[4:5]
	s_and_saveexec_b64 s[22:23], vcc
	s_cbranch_execz .LBB1159_288
; %bb.278:
	s_and_b64 vcc, exec, s[2:3]
	s_cbranch_vccnz .LBB1159_285
; %bb.279:
	v_mul_lo_u32 v28, v5, s12
	v_mul_lo_u32 v29, v4, s13
	v_mad_u64_u32 v[26:27], s[24:25], v4, s12, 0
	v_add3_u32 v27, v27, v29, v28
	v_mul_lo_u32 v28, v3, s12
	v_mul_lo_u32 v29, v2, s13
	v_mad_u64_u32 v[30:31], s[24:25], v2, s12, 0
	v_add3_u32 v31, v31, v29, v28
	v_lshl_add_u64 v[28:29], v[26:27], 1, s[14:15]
	v_lshl_add_u64 v[26:27], v[30:31], 1, s[14:15]
	global_load_ushort v30, v[26:27], off
	global_load_ushort v31, v[28:29], off
	v_mov_b64_e32 v[70:71], 1
	s_waitcnt vmcnt(1)
	v_lshlrev_b32_e32 v30, 16, v30
	s_waitcnt vmcnt(0)
	v_lshlrev_b32_e32 v31, 16, v31
	v_cmp_eq_f32_e32 vcc, v31, v30
	s_and_saveexec_b64 s[24:25], vcc
	s_cbranch_execz .LBB1159_287
; %bb.280:
	s_add_u32 s26, s12, -1
	v_lshl_add_u64 v[26:27], v[26:27], 0, 2
	v_lshl_add_u64 v[28:29], v[28:29], 0, 2
	s_addc_u32 s27, s13, -1
	s_mov_b64 s[28:29], 0
	s_mov_b64 s[34:35], 0
                                        ; implicit-def: $sgpr30_sgpr31
	s_branch .LBB1159_283
.LBB1159_281:                           ;   in Loop: Header=BB1159_283 Depth=1
	global_load_ushort v30, v[26:27], off
	global_load_ushort v31, v[28:29], off
	s_add_u32 s34, s34, 1
	s_addc_u32 s35, s35, 0
	s_andn2_b64 s[30:31], s[30:31], exec
	v_lshl_add_u64 v[26:27], v[26:27], 0, 2
	v_lshl_add_u64 v[28:29], v[28:29], 0, 2
	s_waitcnt vmcnt(1)
	v_lshlrev_b32_e32 v30, 16, v30
	s_waitcnt vmcnt(0)
	v_lshlrev_b32_e32 v31, 16, v31
	v_cmp_neq_f32_e32 vcc, v31, v30
	s_and_b64 s[36:37], vcc, exec
	s_or_b64 s[30:31], s[30:31], s[36:37]
.LBB1159_282:                           ;   in Loop: Header=BB1159_283 Depth=1
	s_and_b64 s[36:37], exec, s[30:31]
	s_or_b64 s[28:29], s[36:37], s[28:29]
	v_mov_b64_e32 v[30:31], s[34:35]
	s_andn2_b64 exec, exec, s[28:29]
	s_cbranch_execz .LBB1159_286
.LBB1159_283:                           ; =>This Inner Loop Header: Depth=1
	s_or_b64 s[30:31], s[30:31], exec
	s_cmp_eq_u64 s[26:27], s[34:35]
	s_cbranch_scc0 .LBB1159_281
; %bb.284:                              ;   in Loop: Header=BB1159_283 Depth=1
                                        ; implicit-def: $vgpr26_vgpr27
                                        ; implicit-def: $vgpr28_vgpr29
	s_mov_b64 s[34:35], s[12:13]
	s_branch .LBB1159_282
.LBB1159_285:
	v_mov_b64_e32 v[70:71], 0
	s_branch .LBB1159_288
.LBB1159_286:
	s_or_b64 exec, exec, s[28:29]
	v_cmp_gt_i64_e32 vcc, s[12:13], v[30:31]
	s_mov_b32 s26, 0
	v_mov_b32_e32 v71, s26
	v_cndmask_b32_e64 v70, 0, 1, vcc
.LBB1159_287:
	s_or_b64 exec, exec, s[24:25]
.LBB1159_288:
	s_or_b64 exec, exec, s[22:23]
	v_cmp_ne_u32_e32 vcc, 0, v0
	v_mov_b64_e32 v[26:27], s[20:21]
	s_waitcnt lgkmcnt(0)
	; wave barrier
	s_waitcnt lgkmcnt(0)
	s_and_saveexec_b64 s[20:21], vcc
	s_cbranch_execz .LBB1159_290
; %bb.289:
	v_add_u32_e32 v26, -8, v48
	ds_read_b64 v[26:27], v26
.LBB1159_290:
	s_or_b64 exec, exec, s[20:21]
	v_cmp_gt_u32_e32 vcc, s7, v1
                                        ; implicit-def: $sgpr24_sgpr25
	s_and_saveexec_b64 s[20:21], vcc
	s_cbranch_execz .LBB1159_302
; %bb.291:
	s_and_b64 vcc, exec, s[2:3]
	s_cbranch_vccnz .LBB1159_298
; %bb.292:
	v_mul_lo_u32 v1, v3, s12
	v_mul_lo_u32 v30, v2, s13
	v_mad_u64_u32 v[28:29], s[2:3], v2, s12, 0
	v_add3_u32 v29, v29, v30, v1
	s_waitcnt lgkmcnt(0)
	v_mul_lo_u32 v1, v27, s12
	v_mul_lo_u32 v30, v26, s13
	v_mad_u64_u32 v[26:27], s[2:3], v26, s12, 0
	v_add3_u32 v27, v27, v30, v1
	v_lshl_add_u64 v[26:27], v[26:27], 1, s[14:15]
	v_lshl_add_u64 v[28:29], v[28:29], 1, s[14:15]
	global_load_ushort v1, v[26:27], off
	global_load_ushort v30, v[28:29], off
	s_mov_b64 s[22:23], -1
	s_waitcnt vmcnt(1)
	v_lshlrev_b32_e32 v1, 16, v1
	s_waitcnt vmcnt(0)
	v_lshlrev_b32_e32 v30, 16, v30
	v_cmp_eq_f32_e32 vcc, v30, v1
	s_and_saveexec_b64 s[2:3], vcc
	s_cbranch_execz .LBB1159_300
; %bb.293:
	s_add_u32 s22, s12, -1
	v_lshl_add_u64 v[26:27], v[26:27], 0, 2
	v_lshl_add_u64 v[28:29], v[28:29], 0, 2
	s_addc_u32 s23, s13, -1
	s_mov_b64 s[24:25], 0
	s_mov_b64 s[28:29], 0
                                        ; implicit-def: $sgpr26_sgpr27
	s_branch .LBB1159_296
.LBB1159_294:                           ;   in Loop: Header=BB1159_296 Depth=1
	global_load_ushort v1, v[26:27], off
	global_load_ushort v30, v[28:29], off
	s_add_u32 s28, s28, 1
	s_addc_u32 s29, s29, 0
	s_andn2_b64 s[26:27], s[26:27], exec
	v_lshl_add_u64 v[26:27], v[26:27], 0, 2
	v_lshl_add_u64 v[28:29], v[28:29], 0, 2
	s_waitcnt vmcnt(1)
	v_lshlrev_b32_e32 v1, 16, v1
	s_waitcnt vmcnt(0)
	v_lshlrev_b32_e32 v30, 16, v30
	v_cmp_neq_f32_e32 vcc, v30, v1
	s_and_b64 s[30:31], vcc, exec
	s_or_b64 s[26:27], s[26:27], s[30:31]
.LBB1159_295:                           ;   in Loop: Header=BB1159_296 Depth=1
	s_and_b64 s[30:31], exec, s[26:27]
	s_or_b64 s[24:25], s[30:31], s[24:25]
	v_mov_b64_e32 v[30:31], s[28:29]
	s_andn2_b64 exec, exec, s[24:25]
	s_cbranch_execz .LBB1159_299
.LBB1159_296:                           ; =>This Inner Loop Header: Depth=1
	s_or_b64 s[26:27], s[26:27], exec
	s_cmp_eq_u64 s[22:23], s[28:29]
	s_cbranch_scc0 .LBB1159_294
; %bb.297:                              ;   in Loop: Header=BB1159_296 Depth=1
                                        ; implicit-def: $vgpr26_vgpr27
                                        ; implicit-def: $vgpr28_vgpr29
	s_mov_b64 s[28:29], s[12:13]
	s_branch .LBB1159_295
.LBB1159_298:
	s_mov_b64 s[22:23], 0
	s_branch .LBB1159_301
.LBB1159_299:
	s_or_b64 exec, exec, s[24:25]
	v_cmp_gt_i64_e32 vcc, s[12:13], v[30:31]
	s_orn2_b64 s[22:23], vcc, exec
.LBB1159_300:
	s_or_b64 exec, exec, s[2:3]
.LBB1159_301:
	s_and_b64 s[24:25], s[22:23], exec
	s_or_b64 s[18:19], s[18:19], exec
.LBB1159_302:
	s_or_b64 exec, exec, s[20:21]
	v_mov_b64_e32 v[72:73], v[52:53]
	s_waitcnt lgkmcnt(0)
	v_mov_b64_e32 v[26:27], v[46:47]
	v_mov_b64_e32 v[82:83], v[70:71]
	;; [unrolled: 1-line block ×10, first 2 shown]
	s_branch .LBB1159_572
.LBB1159_303:
	s_cmp_lg_u64 s[4:5], 1
	s_cbranch_scc0 .LBB1159_311
; %bb.304:
	v_mul_lo_u32 v1, v25, s12
	v_mul_lo_u32 v28, v24, s13
	s_waitcnt lgkmcnt(0)
	v_mad_u64_u32 v[26:27], s[20:21], v24, s12, 0
	v_mov_b64_e32 v[46:47], 0
	v_cmp_lt_i64_e64 s[2:3], s[12:13], 1
	v_add3_u32 v27, v27, v28, v1
	v_cmp_gt_i64_e64 s[4:5], s[12:13], 0
	s_and_b64 vcc, exec, s[2:3]
	v_lshl_add_u64 v[26:27], v[26:27], 1, s[14:15]
	v_mov_b64_e32 v[50:51], v[46:47]
	ds_write_b64 v48, v[44:45]
	s_cbranch_vccnz .LBB1159_314
; %bb.305:
	v_mul_lo_u32 v1, v45, s12
	v_mul_lo_u32 v30, v44, s13
	v_mad_u64_u32 v[28:29], s[2:3], v44, s12, 0
	v_add3_u32 v29, v29, v30, v1
	v_lshl_add_u64 v[30:31], v[28:29], 1, s[14:15]
	global_load_ushort v1, v[30:31], off
	global_load_ushort v28, v[26:27], off
	v_mov_b64_e32 v[50:51], 1
	s_waitcnt vmcnt(1)
	v_lshlrev_b32_e32 v1, 16, v1
	s_waitcnt vmcnt(0)
	v_lshlrev_b32_e32 v28, 16, v28
	v_cmp_eq_f32_e32 vcc, v1, v28
	s_and_saveexec_b64 s[2:3], vcc
	s_cbranch_execz .LBB1159_313
; %bb.306:
	s_add_u32 s20, s12, -1
	v_lshl_add_u64 v[28:29], v[26:27], 0, 2
	v_lshl_add_u64 v[30:31], v[30:31], 0, 2
	s_addc_u32 s21, s13, -1
	s_mov_b64 s[22:23], 0
	s_mov_b64 s[26:27], 0
                                        ; implicit-def: $sgpr24_sgpr25
	s_branch .LBB1159_309
.LBB1159_307:                           ;   in Loop: Header=BB1159_309 Depth=1
	global_load_ushort v1, v[28:29], off
	global_load_ushort v32, v[30:31], off
	s_add_u32 s26, s26, 1
	s_addc_u32 s27, s27, 0
	s_andn2_b64 s[24:25], s[24:25], exec
	v_lshl_add_u64 v[28:29], v[28:29], 0, 2
	v_lshl_add_u64 v[30:31], v[30:31], 0, 2
	s_waitcnt vmcnt(1)
	v_lshlrev_b32_e32 v1, 16, v1
	s_waitcnt vmcnt(0)
	v_lshlrev_b32_e32 v32, 16, v32
	v_cmp_neq_f32_e32 vcc, v32, v1
	s_and_b64 s[28:29], vcc, exec
	s_or_b64 s[24:25], s[24:25], s[28:29]
.LBB1159_308:                           ;   in Loop: Header=BB1159_309 Depth=1
	s_and_b64 s[28:29], exec, s[24:25]
	s_or_b64 s[22:23], s[28:29], s[22:23]
	v_mov_b64_e32 v[32:33], s[26:27]
	s_andn2_b64 exec, exec, s[22:23]
	s_cbranch_execz .LBB1159_312
.LBB1159_309:                           ; =>This Inner Loop Header: Depth=1
	s_or_b64 s[24:25], s[24:25], exec
	s_cmp_eq_u64 s[20:21], s[26:27]
	s_cbranch_scc0 .LBB1159_307
; %bb.310:                              ;   in Loop: Header=BB1159_309 Depth=1
                                        ; implicit-def: $vgpr28_vgpr29
                                        ; implicit-def: $vgpr30_vgpr31
	s_mov_b64 s[26:27], s[12:13]
	s_branch .LBB1159_308
.LBB1159_311:
                                        ; implicit-def: $vgpr26_vgpr27_vgpr28_vgpr29
                                        ; implicit-def: $sgpr24_sgpr25
                                        ; implicit-def: $vgpr50_vgpr51
                                        ; implicit-def: $vgpr52_vgpr53
                                        ; implicit-def: $vgpr46_vgpr47
                                        ; implicit-def: $vgpr70_vgpr71
                                        ; implicit-def: $vgpr68_vgpr69
                                        ; implicit-def: $vgpr66_vgpr67
                                        ; implicit-def: $vgpr64_vgpr65
                                        ; implicit-def: $vgpr62_vgpr63
                                        ; implicit-def: $vgpr60_vgpr61
                                        ; implicit-def: $vgpr58_vgpr59
                                        ; implicit-def: $vgpr56_vgpr57
                                        ; implicit-def: $vgpr54_vgpr55
                                        ; implicit-def: $vgpr72_vgpr73
                                        ; implicit-def: $vgpr82_vgpr83
                                        ; implicit-def: $vgpr74_vgpr75
                                        ; implicit-def: $vgpr76_vgpr77
                                        ; implicit-def: $vgpr78_vgpr79
                                        ; implicit-def: $vgpr80_vgpr81
                                        ; implicit-def: $vgpr28_vgpr29_vgpr30_vgpr31
                                        ; implicit-def: $vgpr32_vgpr33_vgpr34_vgpr35
                                        ; implicit-def: $vgpr36_vgpr37_vgpr38_vgpr39
                                        ; implicit-def: $vgpr40_vgpr41_vgpr42_vgpr43
	s_cbranch_execnz .LBB1159_427
	s_branch .LBB1159_572
.LBB1159_312:
	s_or_b64 exec, exec, s[22:23]
	v_cmp_gt_i64_e32 vcc, s[12:13], v[32:33]
	s_mov_b32 s7, 0
	v_mov_b32_e32 v51, s7
	v_cndmask_b32_e64 v50, 0, 1, vcc
.LBB1159_313:
	s_or_b64 exec, exec, s[2:3]
.LBB1159_314:
	v_mul_lo_u32 v1, v23, s12
	v_mul_lo_u32 v30, v22, s13
	v_mad_u64_u32 v[28:29], s[2:3], v22, s12, 0
	v_add3_u32 v29, v29, v30, v1
	v_cndmask_b32_e64 v1, 0, 1, s[4:5]
	v_cmp_ne_u32_e64 s[2:3], 1, v1
	s_andn2_b64 vcc, exec, s[4:5]
	v_lshl_add_u64 v[28:29], v[28:29], 1, s[14:15]
	v_mov_b64_e32 v[52:53], v[46:47]
	s_cbranch_vccnz .LBB1159_323
; %bb.315:
	global_load_ushort v1, v[28:29], off
	global_load_ushort v30, v[26:27], off
	v_mov_b64_e32 v[52:53], 1
	s_waitcnt vmcnt(1)
	v_lshlrev_b32_e32 v1, 16, v1
	s_waitcnt vmcnt(0)
	v_lshlrev_b32_e32 v30, 16, v30
	v_cmp_eq_f32_e32 vcc, v30, v1
	s_and_saveexec_b64 s[4:5], vcc
	s_cbranch_execz .LBB1159_322
; %bb.316:
	s_add_u32 s20, s12, -1
	v_lshl_add_u64 v[30:31], v[28:29], 0, 2
	v_lshl_add_u64 v[26:27], v[26:27], 0, 2
	s_addc_u32 s21, s13, -1
	s_mov_b64 s[22:23], 0
	s_mov_b64 s[26:27], 0
                                        ; implicit-def: $sgpr24_sgpr25
	s_branch .LBB1159_319
.LBB1159_317:                           ;   in Loop: Header=BB1159_319 Depth=1
	global_load_ushort v1, v[30:31], off
	global_load_ushort v32, v[26:27], off
	s_add_u32 s26, s26, 1
	s_addc_u32 s27, s27, 0
	s_andn2_b64 s[24:25], s[24:25], exec
	v_lshl_add_u64 v[30:31], v[30:31], 0, 2
	v_lshl_add_u64 v[26:27], v[26:27], 0, 2
	s_waitcnt vmcnt(1)
	v_lshlrev_b32_e32 v1, 16, v1
	s_waitcnt vmcnt(0)
	v_lshlrev_b32_e32 v32, 16, v32
	v_cmp_neq_f32_e32 vcc, v32, v1
	s_and_b64 s[28:29], vcc, exec
	s_or_b64 s[24:25], s[24:25], s[28:29]
.LBB1159_318:                           ;   in Loop: Header=BB1159_319 Depth=1
	s_and_b64 s[28:29], exec, s[24:25]
	s_or_b64 s[22:23], s[28:29], s[22:23]
	v_mov_b64_e32 v[32:33], s[26:27]
	s_andn2_b64 exec, exec, s[22:23]
	s_cbranch_execz .LBB1159_321
.LBB1159_319:                           ; =>This Inner Loop Header: Depth=1
	s_or_b64 s[24:25], s[24:25], exec
	s_cmp_eq_u64 s[20:21], s[26:27]
	s_cbranch_scc0 .LBB1159_317
; %bb.320:                              ;   in Loop: Header=BB1159_319 Depth=1
                                        ; implicit-def: $vgpr30_vgpr31
                                        ; implicit-def: $vgpr26_vgpr27
	s_mov_b64 s[26:27], s[12:13]
	s_branch .LBB1159_318
.LBB1159_321:
	s_or_b64 exec, exec, s[22:23]
	v_cmp_gt_i64_e32 vcc, s[12:13], v[32:33]
	s_mov_b32 s7, 0
	v_mov_b32_e32 v53, s7
	v_cndmask_b32_e64 v52, 0, 1, vcc
.LBB1159_322:
	s_or_b64 exec, exec, s[4:5]
.LBB1159_323:
	v_mul_lo_u32 v1, v21, s12
	v_mul_lo_u32 v30, v20, s13
	v_mad_u64_u32 v[26:27], s[4:5], v20, s12, 0
	v_add3_u32 v27, v27, v30, v1
	s_and_b64 vcc, exec, s[2:3]
	v_lshl_add_u64 v[26:27], v[26:27], 1, s[14:15]
	s_cbranch_vccnz .LBB1159_332
; %bb.324:
	global_load_ushort v1, v[26:27], off
	global_load_ushort v30, v[28:29], off
	v_mov_b64_e32 v[46:47], 1
	s_waitcnt vmcnt(1)
	v_lshlrev_b32_e32 v1, 16, v1
	s_waitcnt vmcnt(0)
	v_lshlrev_b32_e32 v30, 16, v30
	v_cmp_eq_f32_e32 vcc, v30, v1
	s_and_saveexec_b64 s[4:5], vcc
	s_cbranch_execz .LBB1159_331
; %bb.325:
	s_add_u32 s20, s12, -1
	v_lshl_add_u64 v[30:31], v[26:27], 0, 2
	v_lshl_add_u64 v[28:29], v[28:29], 0, 2
	s_addc_u32 s21, s13, -1
	s_mov_b64 s[22:23], 0
	s_mov_b64 s[26:27], 0
                                        ; implicit-def: $sgpr24_sgpr25
	s_branch .LBB1159_328
.LBB1159_326:                           ;   in Loop: Header=BB1159_328 Depth=1
	global_load_ushort v1, v[30:31], off
	global_load_ushort v32, v[28:29], off
	s_add_u32 s26, s26, 1
	s_addc_u32 s27, s27, 0
	s_andn2_b64 s[24:25], s[24:25], exec
	v_lshl_add_u64 v[30:31], v[30:31], 0, 2
	v_lshl_add_u64 v[28:29], v[28:29], 0, 2
	s_waitcnt vmcnt(1)
	v_lshlrev_b32_e32 v1, 16, v1
	s_waitcnt vmcnt(0)
	v_lshlrev_b32_e32 v32, 16, v32
	v_cmp_neq_f32_e32 vcc, v32, v1
	s_and_b64 s[28:29], vcc, exec
	s_or_b64 s[24:25], s[24:25], s[28:29]
.LBB1159_327:                           ;   in Loop: Header=BB1159_328 Depth=1
	s_and_b64 s[28:29], exec, s[24:25]
	s_or_b64 s[22:23], s[28:29], s[22:23]
	v_mov_b64_e32 v[32:33], s[26:27]
	s_andn2_b64 exec, exec, s[22:23]
	s_cbranch_execz .LBB1159_330
.LBB1159_328:                           ; =>This Inner Loop Header: Depth=1
	s_or_b64 s[24:25], s[24:25], exec
	s_cmp_eq_u64 s[20:21], s[26:27]
	s_cbranch_scc0 .LBB1159_326
; %bb.329:                              ;   in Loop: Header=BB1159_328 Depth=1
                                        ; implicit-def: $vgpr30_vgpr31
                                        ; implicit-def: $vgpr28_vgpr29
	s_mov_b64 s[26:27], s[12:13]
	s_branch .LBB1159_327
.LBB1159_330:
	s_or_b64 exec, exec, s[22:23]
	v_cmp_gt_i64_e32 vcc, s[12:13], v[32:33]
	s_mov_b32 s7, 0
	v_mov_b32_e32 v47, s7
	v_cndmask_b32_e64 v46, 0, 1, vcc
.LBB1159_331:
	s_or_b64 exec, exec, s[4:5]
.LBB1159_332:
	v_mul_lo_u32 v1, v19, s12
	v_mul_lo_u32 v30, v18, s13
	v_mad_u64_u32 v[28:29], s[4:5], v18, s12, 0
	v_add3_u32 v29, v29, v30, v1
	v_mov_b64_e32 v[56:57], 0
	s_and_b64 vcc, exec, s[2:3]
	v_lshl_add_u64 v[28:29], v[28:29], 1, s[14:15]
	v_mov_b64_e32 v[54:55], v[56:57]
	s_cbranch_vccnz .LBB1159_341
; %bb.333:
	global_load_ushort v1, v[28:29], off
	global_load_ushort v30, v[26:27], off
	v_mov_b64_e32 v[54:55], 1
	s_waitcnt vmcnt(1)
	v_lshlrev_b32_e32 v1, 16, v1
	s_waitcnt vmcnt(0)
	v_lshlrev_b32_e32 v30, 16, v30
	v_cmp_eq_f32_e32 vcc, v30, v1
	s_and_saveexec_b64 s[4:5], vcc
	s_cbranch_execz .LBB1159_340
; %bb.334:
	s_add_u32 s20, s12, -1
	v_lshl_add_u64 v[30:31], v[28:29], 0, 2
	v_lshl_add_u64 v[26:27], v[26:27], 0, 2
	s_addc_u32 s21, s13, -1
	s_mov_b64 s[22:23], 0
	s_mov_b64 s[26:27], 0
                                        ; implicit-def: $sgpr24_sgpr25
	s_branch .LBB1159_337
.LBB1159_335:                           ;   in Loop: Header=BB1159_337 Depth=1
	global_load_ushort v1, v[30:31], off
	global_load_ushort v32, v[26:27], off
	s_add_u32 s26, s26, 1
	s_addc_u32 s27, s27, 0
	s_andn2_b64 s[24:25], s[24:25], exec
	v_lshl_add_u64 v[30:31], v[30:31], 0, 2
	v_lshl_add_u64 v[26:27], v[26:27], 0, 2
	s_waitcnt vmcnt(1)
	v_lshlrev_b32_e32 v1, 16, v1
	s_waitcnt vmcnt(0)
	v_lshlrev_b32_e32 v32, 16, v32
	v_cmp_neq_f32_e32 vcc, v32, v1
	s_and_b64 s[28:29], vcc, exec
	s_or_b64 s[24:25], s[24:25], s[28:29]
.LBB1159_336:                           ;   in Loop: Header=BB1159_337 Depth=1
	s_and_b64 s[28:29], exec, s[24:25]
	s_or_b64 s[22:23], s[28:29], s[22:23]
	v_mov_b64_e32 v[32:33], s[26:27]
	s_andn2_b64 exec, exec, s[22:23]
	s_cbranch_execz .LBB1159_339
.LBB1159_337:                           ; =>This Inner Loop Header: Depth=1
	s_or_b64 s[24:25], s[24:25], exec
	s_cmp_eq_u64 s[20:21], s[26:27]
	s_cbranch_scc0 .LBB1159_335
; %bb.338:                              ;   in Loop: Header=BB1159_337 Depth=1
                                        ; implicit-def: $vgpr30_vgpr31
                                        ; implicit-def: $vgpr26_vgpr27
	s_mov_b64 s[26:27], s[12:13]
	s_branch .LBB1159_336
.LBB1159_339:
	s_or_b64 exec, exec, s[22:23]
	v_cmp_gt_i64_e32 vcc, s[12:13], v[32:33]
	s_mov_b32 s7, 0
	v_mov_b32_e32 v55, s7
	v_cndmask_b32_e64 v54, 0, 1, vcc
.LBB1159_340:
	s_or_b64 exec, exec, s[4:5]
.LBB1159_341:
	v_mul_lo_u32 v1, v17, s12
	v_mul_lo_u32 v30, v16, s13
	v_mad_u64_u32 v[26:27], s[4:5], v16, s12, 0
	v_add3_u32 v27, v27, v30, v1
	s_and_b64 vcc, exec, s[2:3]
	v_lshl_add_u64 v[26:27], v[26:27], 1, s[14:15]
	s_cbranch_vccnz .LBB1159_350
; %bb.342:
	global_load_ushort v1, v[26:27], off
	global_load_ushort v30, v[28:29], off
	v_mov_b64_e32 v[56:57], 1
	s_waitcnt vmcnt(1)
	v_lshlrev_b32_e32 v1, 16, v1
	s_waitcnt vmcnt(0)
	v_lshlrev_b32_e32 v30, 16, v30
	v_cmp_eq_f32_e32 vcc, v30, v1
	s_and_saveexec_b64 s[4:5], vcc
	s_cbranch_execz .LBB1159_349
; %bb.343:
	s_add_u32 s20, s12, -1
	v_lshl_add_u64 v[30:31], v[26:27], 0, 2
	v_lshl_add_u64 v[28:29], v[28:29], 0, 2
	s_addc_u32 s21, s13, -1
	s_mov_b64 s[22:23], 0
	s_mov_b64 s[26:27], 0
                                        ; implicit-def: $sgpr24_sgpr25
	s_branch .LBB1159_346
.LBB1159_344:                           ;   in Loop: Header=BB1159_346 Depth=1
	global_load_ushort v1, v[30:31], off
	global_load_ushort v32, v[28:29], off
	s_add_u32 s26, s26, 1
	s_addc_u32 s27, s27, 0
	s_andn2_b64 s[24:25], s[24:25], exec
	v_lshl_add_u64 v[30:31], v[30:31], 0, 2
	v_lshl_add_u64 v[28:29], v[28:29], 0, 2
	s_waitcnt vmcnt(1)
	v_lshlrev_b32_e32 v1, 16, v1
	s_waitcnt vmcnt(0)
	v_lshlrev_b32_e32 v32, 16, v32
	v_cmp_neq_f32_e32 vcc, v32, v1
	s_and_b64 s[28:29], vcc, exec
	s_or_b64 s[24:25], s[24:25], s[28:29]
.LBB1159_345:                           ;   in Loop: Header=BB1159_346 Depth=1
	s_and_b64 s[28:29], exec, s[24:25]
	s_or_b64 s[22:23], s[28:29], s[22:23]
	v_mov_b64_e32 v[32:33], s[26:27]
	s_andn2_b64 exec, exec, s[22:23]
	s_cbranch_execz .LBB1159_348
.LBB1159_346:                           ; =>This Inner Loop Header: Depth=1
	s_or_b64 s[24:25], s[24:25], exec
	s_cmp_eq_u64 s[20:21], s[26:27]
	s_cbranch_scc0 .LBB1159_344
; %bb.347:                              ;   in Loop: Header=BB1159_346 Depth=1
                                        ; implicit-def: $vgpr30_vgpr31
                                        ; implicit-def: $vgpr28_vgpr29
	s_mov_b64 s[26:27], s[12:13]
	s_branch .LBB1159_345
.LBB1159_348:
	s_or_b64 exec, exec, s[22:23]
	v_cmp_gt_i64_e32 vcc, s[12:13], v[32:33]
	s_mov_b32 s7, 0
	v_mov_b32_e32 v57, s7
	v_cndmask_b32_e64 v56, 0, 1, vcc
.LBB1159_349:
	s_or_b64 exec, exec, s[4:5]
.LBB1159_350:
	v_mul_lo_u32 v1, v15, s12
	v_mul_lo_u32 v30, v14, s13
	v_mad_u64_u32 v[28:29], s[4:5], v14, s12, 0
	v_add3_u32 v29, v29, v30, v1
	v_mov_b64_e32 v[60:61], 0
	s_and_b64 vcc, exec, s[2:3]
	v_lshl_add_u64 v[28:29], v[28:29], 1, s[14:15]
	v_mov_b64_e32 v[58:59], v[60:61]
	s_cbranch_vccnz .LBB1159_359
; %bb.351:
	global_load_ushort v1, v[28:29], off
	global_load_ushort v30, v[26:27], off
	v_mov_b64_e32 v[58:59], 1
	s_waitcnt vmcnt(1)
	v_lshlrev_b32_e32 v1, 16, v1
	s_waitcnt vmcnt(0)
	v_lshlrev_b32_e32 v30, 16, v30
	v_cmp_eq_f32_e32 vcc, v30, v1
	s_and_saveexec_b64 s[4:5], vcc
	s_cbranch_execz .LBB1159_358
; %bb.352:
	s_add_u32 s20, s12, -1
	v_lshl_add_u64 v[30:31], v[28:29], 0, 2
	v_lshl_add_u64 v[26:27], v[26:27], 0, 2
	s_addc_u32 s21, s13, -1
	s_mov_b64 s[22:23], 0
	s_mov_b64 s[26:27], 0
                                        ; implicit-def: $sgpr24_sgpr25
	s_branch .LBB1159_355
.LBB1159_353:                           ;   in Loop: Header=BB1159_355 Depth=1
	global_load_ushort v1, v[30:31], off
	global_load_ushort v32, v[26:27], off
	s_add_u32 s26, s26, 1
	s_addc_u32 s27, s27, 0
	s_andn2_b64 s[24:25], s[24:25], exec
	v_lshl_add_u64 v[30:31], v[30:31], 0, 2
	v_lshl_add_u64 v[26:27], v[26:27], 0, 2
	s_waitcnt vmcnt(1)
	v_lshlrev_b32_e32 v1, 16, v1
	s_waitcnt vmcnt(0)
	v_lshlrev_b32_e32 v32, 16, v32
	v_cmp_neq_f32_e32 vcc, v32, v1
	s_and_b64 s[28:29], vcc, exec
	s_or_b64 s[24:25], s[24:25], s[28:29]
.LBB1159_354:                           ;   in Loop: Header=BB1159_355 Depth=1
	s_and_b64 s[28:29], exec, s[24:25]
	s_or_b64 s[22:23], s[28:29], s[22:23]
	v_mov_b64_e32 v[32:33], s[26:27]
	s_andn2_b64 exec, exec, s[22:23]
	s_cbranch_execz .LBB1159_357
.LBB1159_355:                           ; =>This Inner Loop Header: Depth=1
	s_or_b64 s[24:25], s[24:25], exec
	s_cmp_eq_u64 s[20:21], s[26:27]
	s_cbranch_scc0 .LBB1159_353
; %bb.356:                              ;   in Loop: Header=BB1159_355 Depth=1
                                        ; implicit-def: $vgpr30_vgpr31
                                        ; implicit-def: $vgpr26_vgpr27
	s_mov_b64 s[26:27], s[12:13]
	s_branch .LBB1159_354
.LBB1159_357:
	s_or_b64 exec, exec, s[22:23]
	v_cmp_gt_i64_e32 vcc, s[12:13], v[32:33]
	s_mov_b32 s7, 0
	v_mov_b32_e32 v59, s7
	v_cndmask_b32_e64 v58, 0, 1, vcc
.LBB1159_358:
	s_or_b64 exec, exec, s[4:5]
.LBB1159_359:
	v_mul_lo_u32 v1, v13, s12
	v_mul_lo_u32 v30, v12, s13
	v_mad_u64_u32 v[26:27], s[4:5], v12, s12, 0
	v_add3_u32 v27, v27, v30, v1
	s_and_b64 vcc, exec, s[2:3]
	v_lshl_add_u64 v[26:27], v[26:27], 1, s[14:15]
	s_cbranch_vccnz .LBB1159_368
; %bb.360:
	global_load_ushort v1, v[26:27], off
	global_load_ushort v30, v[28:29], off
	v_mov_b64_e32 v[60:61], 1
	s_waitcnt vmcnt(1)
	v_lshlrev_b32_e32 v1, 16, v1
	s_waitcnt vmcnt(0)
	v_lshlrev_b32_e32 v30, 16, v30
	v_cmp_eq_f32_e32 vcc, v30, v1
	s_and_saveexec_b64 s[4:5], vcc
	s_cbranch_execz .LBB1159_367
; %bb.361:
	s_add_u32 s20, s12, -1
	v_lshl_add_u64 v[30:31], v[26:27], 0, 2
	v_lshl_add_u64 v[28:29], v[28:29], 0, 2
	s_addc_u32 s21, s13, -1
	s_mov_b64 s[22:23], 0
	s_mov_b64 s[26:27], 0
                                        ; implicit-def: $sgpr24_sgpr25
	s_branch .LBB1159_364
.LBB1159_362:                           ;   in Loop: Header=BB1159_364 Depth=1
	global_load_ushort v1, v[30:31], off
	global_load_ushort v32, v[28:29], off
	s_add_u32 s26, s26, 1
	s_addc_u32 s27, s27, 0
	s_andn2_b64 s[24:25], s[24:25], exec
	v_lshl_add_u64 v[30:31], v[30:31], 0, 2
	v_lshl_add_u64 v[28:29], v[28:29], 0, 2
	s_waitcnt vmcnt(1)
	v_lshlrev_b32_e32 v1, 16, v1
	s_waitcnt vmcnt(0)
	v_lshlrev_b32_e32 v32, 16, v32
	v_cmp_neq_f32_e32 vcc, v32, v1
	s_and_b64 s[28:29], vcc, exec
	s_or_b64 s[24:25], s[24:25], s[28:29]
.LBB1159_363:                           ;   in Loop: Header=BB1159_364 Depth=1
	s_and_b64 s[28:29], exec, s[24:25]
	s_or_b64 s[22:23], s[28:29], s[22:23]
	v_mov_b64_e32 v[32:33], s[26:27]
	s_andn2_b64 exec, exec, s[22:23]
	s_cbranch_execz .LBB1159_366
.LBB1159_364:                           ; =>This Inner Loop Header: Depth=1
	s_or_b64 s[24:25], s[24:25], exec
	s_cmp_eq_u64 s[20:21], s[26:27]
	s_cbranch_scc0 .LBB1159_362
; %bb.365:                              ;   in Loop: Header=BB1159_364 Depth=1
                                        ; implicit-def: $vgpr30_vgpr31
                                        ; implicit-def: $vgpr28_vgpr29
	s_mov_b64 s[26:27], s[12:13]
	s_branch .LBB1159_363
.LBB1159_366:
	s_or_b64 exec, exec, s[22:23]
	v_cmp_gt_i64_e32 vcc, s[12:13], v[32:33]
	s_mov_b32 s7, 0
	v_mov_b32_e32 v61, s7
	v_cndmask_b32_e64 v60, 0, 1, vcc
.LBB1159_367:
	s_or_b64 exec, exec, s[4:5]
.LBB1159_368:
	v_mul_lo_u32 v1, v11, s12
	v_mul_lo_u32 v30, v10, s13
	v_mad_u64_u32 v[28:29], s[4:5], v10, s12, 0
	v_add3_u32 v29, v29, v30, v1
	v_mov_b64_e32 v[64:65], 0
	s_and_b64 vcc, exec, s[2:3]
	v_lshl_add_u64 v[28:29], v[28:29], 1, s[14:15]
	v_mov_b64_e32 v[62:63], v[64:65]
	s_cbranch_vccnz .LBB1159_377
; %bb.369:
	global_load_ushort v1, v[28:29], off
	global_load_ushort v30, v[26:27], off
	v_mov_b64_e32 v[62:63], 1
	s_waitcnt vmcnt(1)
	v_lshlrev_b32_e32 v1, 16, v1
	s_waitcnt vmcnt(0)
	v_lshlrev_b32_e32 v30, 16, v30
	v_cmp_eq_f32_e32 vcc, v30, v1
	s_and_saveexec_b64 s[4:5], vcc
	s_cbranch_execz .LBB1159_376
; %bb.370:
	s_add_u32 s20, s12, -1
	v_lshl_add_u64 v[30:31], v[28:29], 0, 2
	v_lshl_add_u64 v[26:27], v[26:27], 0, 2
	s_addc_u32 s21, s13, -1
	s_mov_b64 s[22:23], 0
	s_mov_b64 s[26:27], 0
                                        ; implicit-def: $sgpr24_sgpr25
	s_branch .LBB1159_373
.LBB1159_371:                           ;   in Loop: Header=BB1159_373 Depth=1
	global_load_ushort v1, v[30:31], off
	global_load_ushort v32, v[26:27], off
	s_add_u32 s26, s26, 1
	s_addc_u32 s27, s27, 0
	s_andn2_b64 s[24:25], s[24:25], exec
	v_lshl_add_u64 v[30:31], v[30:31], 0, 2
	v_lshl_add_u64 v[26:27], v[26:27], 0, 2
	s_waitcnt vmcnt(1)
	v_lshlrev_b32_e32 v1, 16, v1
	s_waitcnt vmcnt(0)
	v_lshlrev_b32_e32 v32, 16, v32
	v_cmp_neq_f32_e32 vcc, v32, v1
	s_and_b64 s[28:29], vcc, exec
	s_or_b64 s[24:25], s[24:25], s[28:29]
.LBB1159_372:                           ;   in Loop: Header=BB1159_373 Depth=1
	s_and_b64 s[28:29], exec, s[24:25]
	s_or_b64 s[22:23], s[28:29], s[22:23]
	v_mov_b64_e32 v[32:33], s[26:27]
	s_andn2_b64 exec, exec, s[22:23]
	s_cbranch_execz .LBB1159_375
.LBB1159_373:                           ; =>This Inner Loop Header: Depth=1
	s_or_b64 s[24:25], s[24:25], exec
	s_cmp_eq_u64 s[20:21], s[26:27]
	s_cbranch_scc0 .LBB1159_371
; %bb.374:                              ;   in Loop: Header=BB1159_373 Depth=1
                                        ; implicit-def: $vgpr30_vgpr31
                                        ; implicit-def: $vgpr26_vgpr27
	s_mov_b64 s[26:27], s[12:13]
	s_branch .LBB1159_372
.LBB1159_375:
	s_or_b64 exec, exec, s[22:23]
	v_cmp_gt_i64_e32 vcc, s[12:13], v[32:33]
	s_mov_b32 s7, 0
	v_mov_b32_e32 v63, s7
	v_cndmask_b32_e64 v62, 0, 1, vcc
.LBB1159_376:
	s_or_b64 exec, exec, s[4:5]
.LBB1159_377:
	v_mul_lo_u32 v1, v9, s12
	v_mul_lo_u32 v30, v8, s13
	v_mad_u64_u32 v[26:27], s[4:5], v8, s12, 0
	v_add3_u32 v27, v27, v30, v1
	s_and_b64 vcc, exec, s[2:3]
	v_lshl_add_u64 v[26:27], v[26:27], 1, s[14:15]
	s_cbranch_vccnz .LBB1159_386
; %bb.378:
	global_load_ushort v1, v[26:27], off
	global_load_ushort v30, v[28:29], off
	v_mov_b64_e32 v[64:65], 1
	s_waitcnt vmcnt(1)
	v_lshlrev_b32_e32 v1, 16, v1
	s_waitcnt vmcnt(0)
	v_lshlrev_b32_e32 v30, 16, v30
	v_cmp_eq_f32_e32 vcc, v30, v1
	s_and_saveexec_b64 s[4:5], vcc
	s_cbranch_execz .LBB1159_385
; %bb.379:
	s_add_u32 s20, s12, -1
	v_lshl_add_u64 v[30:31], v[26:27], 0, 2
	v_lshl_add_u64 v[28:29], v[28:29], 0, 2
	s_addc_u32 s21, s13, -1
	s_mov_b64 s[22:23], 0
	s_mov_b64 s[26:27], 0
                                        ; implicit-def: $sgpr24_sgpr25
	s_branch .LBB1159_382
.LBB1159_380:                           ;   in Loop: Header=BB1159_382 Depth=1
	global_load_ushort v1, v[30:31], off
	global_load_ushort v32, v[28:29], off
	s_add_u32 s26, s26, 1
	s_addc_u32 s27, s27, 0
	s_andn2_b64 s[24:25], s[24:25], exec
	v_lshl_add_u64 v[30:31], v[30:31], 0, 2
	v_lshl_add_u64 v[28:29], v[28:29], 0, 2
	s_waitcnt vmcnt(1)
	v_lshlrev_b32_e32 v1, 16, v1
	s_waitcnt vmcnt(0)
	v_lshlrev_b32_e32 v32, 16, v32
	v_cmp_neq_f32_e32 vcc, v32, v1
	s_and_b64 s[28:29], vcc, exec
	s_or_b64 s[24:25], s[24:25], s[28:29]
.LBB1159_381:                           ;   in Loop: Header=BB1159_382 Depth=1
	s_and_b64 s[28:29], exec, s[24:25]
	s_or_b64 s[22:23], s[28:29], s[22:23]
	v_mov_b64_e32 v[32:33], s[26:27]
	s_andn2_b64 exec, exec, s[22:23]
	s_cbranch_execz .LBB1159_384
.LBB1159_382:                           ; =>This Inner Loop Header: Depth=1
	s_or_b64 s[24:25], s[24:25], exec
	s_cmp_eq_u64 s[20:21], s[26:27]
	s_cbranch_scc0 .LBB1159_380
; %bb.383:                              ;   in Loop: Header=BB1159_382 Depth=1
                                        ; implicit-def: $vgpr30_vgpr31
                                        ; implicit-def: $vgpr28_vgpr29
	s_mov_b64 s[26:27], s[12:13]
	s_branch .LBB1159_381
.LBB1159_384:
	s_or_b64 exec, exec, s[22:23]
	v_cmp_gt_i64_e32 vcc, s[12:13], v[32:33]
	s_mov_b32 s7, 0
	v_mov_b32_e32 v65, s7
	v_cndmask_b32_e64 v64, 0, 1, vcc
.LBB1159_385:
	s_or_b64 exec, exec, s[4:5]
.LBB1159_386:
	v_mul_lo_u32 v1, v7, s12
	v_mul_lo_u32 v30, v6, s13
	v_mad_u64_u32 v[28:29], s[4:5], v6, s12, 0
	v_add3_u32 v29, v29, v30, v1
	v_mov_b64_e32 v[68:69], 0
	s_and_b64 vcc, exec, s[2:3]
	v_lshl_add_u64 v[28:29], v[28:29], 1, s[14:15]
	v_mov_b64_e32 v[66:67], v[68:69]
	s_cbranch_vccnz .LBB1159_395
; %bb.387:
	global_load_ushort v1, v[28:29], off
	global_load_ushort v30, v[26:27], off
	v_mov_b64_e32 v[66:67], 1
	s_waitcnt vmcnt(1)
	v_lshlrev_b32_e32 v1, 16, v1
	s_waitcnt vmcnt(0)
	v_lshlrev_b32_e32 v30, 16, v30
	v_cmp_eq_f32_e32 vcc, v30, v1
	s_and_saveexec_b64 s[4:5], vcc
	s_cbranch_execz .LBB1159_394
; %bb.388:
	s_add_u32 s20, s12, -1
	v_lshl_add_u64 v[30:31], v[28:29], 0, 2
	v_lshl_add_u64 v[26:27], v[26:27], 0, 2
	s_addc_u32 s21, s13, -1
	s_mov_b64 s[22:23], 0
	s_mov_b64 s[26:27], 0
                                        ; implicit-def: $sgpr24_sgpr25
	s_branch .LBB1159_391
.LBB1159_389:                           ;   in Loop: Header=BB1159_391 Depth=1
	global_load_ushort v1, v[30:31], off
	global_load_ushort v32, v[26:27], off
	s_add_u32 s26, s26, 1
	s_addc_u32 s27, s27, 0
	s_andn2_b64 s[24:25], s[24:25], exec
	v_lshl_add_u64 v[30:31], v[30:31], 0, 2
	v_lshl_add_u64 v[26:27], v[26:27], 0, 2
	s_waitcnt vmcnt(1)
	v_lshlrev_b32_e32 v1, 16, v1
	s_waitcnt vmcnt(0)
	v_lshlrev_b32_e32 v32, 16, v32
	v_cmp_neq_f32_e32 vcc, v32, v1
	s_and_b64 s[28:29], vcc, exec
	s_or_b64 s[24:25], s[24:25], s[28:29]
.LBB1159_390:                           ;   in Loop: Header=BB1159_391 Depth=1
	s_and_b64 s[28:29], exec, s[24:25]
	s_or_b64 s[22:23], s[28:29], s[22:23]
	v_mov_b64_e32 v[32:33], s[26:27]
	s_andn2_b64 exec, exec, s[22:23]
	s_cbranch_execz .LBB1159_393
.LBB1159_391:                           ; =>This Inner Loop Header: Depth=1
	s_or_b64 s[24:25], s[24:25], exec
	s_cmp_eq_u64 s[20:21], s[26:27]
	s_cbranch_scc0 .LBB1159_389
; %bb.392:                              ;   in Loop: Header=BB1159_391 Depth=1
                                        ; implicit-def: $vgpr30_vgpr31
                                        ; implicit-def: $vgpr26_vgpr27
	s_mov_b64 s[26:27], s[12:13]
	s_branch .LBB1159_390
.LBB1159_393:
	s_or_b64 exec, exec, s[22:23]
	v_cmp_gt_i64_e32 vcc, s[12:13], v[32:33]
	s_mov_b32 s7, 0
	v_mov_b32_e32 v67, s7
	v_cndmask_b32_e64 v66, 0, 1, vcc
.LBB1159_394:
	s_or_b64 exec, exec, s[4:5]
.LBB1159_395:
	v_mul_lo_u32 v1, v5, s12
	v_mul_lo_u32 v30, v4, s13
	v_mad_u64_u32 v[26:27], s[4:5], v4, s12, 0
	v_add3_u32 v27, v27, v30, v1
	s_and_b64 vcc, exec, s[2:3]
	v_lshl_add_u64 v[26:27], v[26:27], 1, s[14:15]
	s_cbranch_vccnz .LBB1159_404
; %bb.396:
	global_load_ushort v1, v[26:27], off
	global_load_ushort v30, v[28:29], off
	v_mov_b64_e32 v[68:69], 1
	s_waitcnt vmcnt(1)
	v_lshlrev_b32_e32 v1, 16, v1
	s_waitcnt vmcnt(0)
	v_lshlrev_b32_e32 v30, 16, v30
	v_cmp_eq_f32_e32 vcc, v30, v1
	s_and_saveexec_b64 s[4:5], vcc
	s_cbranch_execz .LBB1159_403
; %bb.397:
	s_add_u32 s20, s12, -1
	v_lshl_add_u64 v[30:31], v[26:27], 0, 2
	v_lshl_add_u64 v[28:29], v[28:29], 0, 2
	s_addc_u32 s21, s13, -1
	s_mov_b64 s[22:23], 0
	s_mov_b64 s[26:27], 0
                                        ; implicit-def: $sgpr24_sgpr25
	s_branch .LBB1159_400
.LBB1159_398:                           ;   in Loop: Header=BB1159_400 Depth=1
	global_load_ushort v1, v[30:31], off
	global_load_ushort v32, v[28:29], off
	s_add_u32 s26, s26, 1
	s_addc_u32 s27, s27, 0
	s_andn2_b64 s[24:25], s[24:25], exec
	v_lshl_add_u64 v[30:31], v[30:31], 0, 2
	v_lshl_add_u64 v[28:29], v[28:29], 0, 2
	s_waitcnt vmcnt(1)
	v_lshlrev_b32_e32 v1, 16, v1
	s_waitcnt vmcnt(0)
	v_lshlrev_b32_e32 v32, 16, v32
	v_cmp_neq_f32_e32 vcc, v32, v1
	s_and_b64 s[28:29], vcc, exec
	s_or_b64 s[24:25], s[24:25], s[28:29]
.LBB1159_399:                           ;   in Loop: Header=BB1159_400 Depth=1
	s_and_b64 s[28:29], exec, s[24:25]
	s_or_b64 s[22:23], s[28:29], s[22:23]
	v_mov_b64_e32 v[32:33], s[26:27]
	s_andn2_b64 exec, exec, s[22:23]
	s_cbranch_execz .LBB1159_402
.LBB1159_400:                           ; =>This Inner Loop Header: Depth=1
	s_or_b64 s[24:25], s[24:25], exec
	s_cmp_eq_u64 s[20:21], s[26:27]
	s_cbranch_scc0 .LBB1159_398
; %bb.401:                              ;   in Loop: Header=BB1159_400 Depth=1
                                        ; implicit-def: $vgpr30_vgpr31
                                        ; implicit-def: $vgpr28_vgpr29
	s_mov_b64 s[26:27], s[12:13]
	s_branch .LBB1159_399
.LBB1159_402:
	s_or_b64 exec, exec, s[22:23]
	v_cmp_gt_i64_e32 vcc, s[12:13], v[32:33]
	s_mov_b32 s7, 0
	v_mov_b32_e32 v69, s7
	v_cndmask_b32_e64 v68, 0, 1, vcc
.LBB1159_403:
	s_or_b64 exec, exec, s[4:5]
.LBB1159_404:
	s_and_b64 vcc, exec, s[2:3]
	s_cbranch_vccnz .LBB1159_411
; %bb.405:
	v_mul_lo_u32 v1, v3, s12
	v_mul_lo_u32 v30, v2, s13
	v_mad_u64_u32 v[28:29], s[4:5], v2, s12, 0
	v_add3_u32 v29, v29, v30, v1
	v_lshl_add_u64 v[28:29], v[28:29], 1, s[14:15]
	global_load_ushort v1, v[28:29], off
	global_load_ushort v30, v[26:27], off
	v_mov_b64_e32 v[70:71], 1
	s_waitcnt vmcnt(1)
	v_lshlrev_b32_e32 v1, 16, v1
	s_waitcnt vmcnt(0)
	v_lshlrev_b32_e32 v30, 16, v30
	v_cmp_eq_f32_e32 vcc, v30, v1
	s_and_saveexec_b64 s[4:5], vcc
	s_cbranch_execz .LBB1159_413
; %bb.406:
	s_add_u32 s20, s12, -1
	v_lshl_add_u64 v[28:29], v[28:29], 0, 2
	v_lshl_add_u64 v[26:27], v[26:27], 0, 2
	s_addc_u32 s21, s13, -1
	s_mov_b64 s[22:23], 0
	s_mov_b64 s[26:27], 0
                                        ; implicit-def: $sgpr24_sgpr25
	s_branch .LBB1159_409
.LBB1159_407:                           ;   in Loop: Header=BB1159_409 Depth=1
	global_load_ushort v1, v[28:29], off
	global_load_ushort v30, v[26:27], off
	s_add_u32 s26, s26, 1
	s_addc_u32 s27, s27, 0
	s_andn2_b64 s[24:25], s[24:25], exec
	v_lshl_add_u64 v[28:29], v[28:29], 0, 2
	v_lshl_add_u64 v[26:27], v[26:27], 0, 2
	s_waitcnt vmcnt(1)
	v_lshlrev_b32_e32 v1, 16, v1
	s_waitcnt vmcnt(0)
	v_lshlrev_b32_e32 v30, 16, v30
	v_cmp_neq_f32_e32 vcc, v30, v1
	s_and_b64 s[28:29], vcc, exec
	s_or_b64 s[24:25], s[24:25], s[28:29]
.LBB1159_408:                           ;   in Loop: Header=BB1159_409 Depth=1
	s_and_b64 s[28:29], exec, s[24:25]
	s_or_b64 s[22:23], s[28:29], s[22:23]
	v_mov_b64_e32 v[30:31], s[26:27]
	s_andn2_b64 exec, exec, s[22:23]
	s_cbranch_execz .LBB1159_412
.LBB1159_409:                           ; =>This Inner Loop Header: Depth=1
	s_or_b64 s[24:25], s[24:25], exec
	s_cmp_eq_u64 s[20:21], s[26:27]
	s_cbranch_scc0 .LBB1159_407
; %bb.410:                              ;   in Loop: Header=BB1159_409 Depth=1
                                        ; implicit-def: $vgpr28_vgpr29
                                        ; implicit-def: $vgpr26_vgpr27
	s_mov_b64 s[26:27], s[12:13]
	s_branch .LBB1159_408
.LBB1159_411:
	v_mov_b64_e32 v[70:71], 0
	s_branch .LBB1159_414
.LBB1159_412:
	s_or_b64 exec, exec, s[22:23]
	v_cmp_gt_i64_e32 vcc, s[12:13], v[30:31]
	s_mov_b32 s7, 0
	v_mov_b32_e32 v71, s7
	v_cndmask_b32_e64 v70, 0, 1, vcc
.LBB1159_413:
	s_or_b64 exec, exec, s[4:5]
.LBB1159_414:
	v_cmp_ne_u32_e32 vcc, 0, v0
	s_waitcnt lgkmcnt(0)
	; wave barrier
	s_waitcnt lgkmcnt(0)
                                        ; implicit-def: $sgpr24_sgpr25
	s_and_saveexec_b64 s[4:5], vcc
	s_cbranch_execz .LBB1159_426
; %bb.415:
	s_and_b64 vcc, exec, s[2:3]
	s_cbranch_vccnz .LBB1159_422
; %bb.416:
	v_add_u32_e32 v26, -8, v48
	ds_read_b64 v[26:27], v26
	v_mul_lo_u32 v1, v3, s12
	v_mul_lo_u32 v30, v2, s13
	v_mad_u64_u32 v[28:29], s[2:3], v2, s12, 0
	v_add3_u32 v29, v29, v30, v1
	s_waitcnt lgkmcnt(0)
	v_mul_lo_u32 v1, v27, s12
	v_mul_lo_u32 v30, v26, s13
	v_mad_u64_u32 v[26:27], s[2:3], v26, s12, 0
	v_add3_u32 v27, v27, v30, v1
	v_lshl_add_u64 v[28:29], v[28:29], 1, s[14:15]
	v_lshl_add_u64 v[26:27], v[26:27], 1, s[14:15]
	global_load_ushort v1, v[28:29], off
	global_load_ushort v30, v[26:27], off
	s_mov_b64 s[20:21], -1
	s_waitcnt vmcnt(1)
	v_lshlrev_b32_e32 v1, 16, v1
	s_waitcnt vmcnt(0)
	v_lshlrev_b32_e32 v30, 16, v30
	v_cmp_eq_f32_e32 vcc, v1, v30
	s_and_saveexec_b64 s[2:3], vcc
	s_cbranch_execz .LBB1159_424
; %bb.417:
	s_add_u32 s20, s12, -1
	v_lshl_add_u64 v[26:27], v[26:27], 0, 2
	v_lshl_add_u64 v[28:29], v[28:29], 0, 2
	s_addc_u32 s21, s13, -1
	s_mov_b64 s[22:23], 0
	s_mov_b64 s[26:27], 0
                                        ; implicit-def: $sgpr24_sgpr25
	s_branch .LBB1159_420
.LBB1159_418:                           ;   in Loop: Header=BB1159_420 Depth=1
	global_load_ushort v1, v[26:27], off
	global_load_ushort v30, v[28:29], off
	s_add_u32 s26, s26, 1
	s_addc_u32 s27, s27, 0
	s_andn2_b64 s[24:25], s[24:25], exec
	v_lshl_add_u64 v[26:27], v[26:27], 0, 2
	v_lshl_add_u64 v[28:29], v[28:29], 0, 2
	s_waitcnt vmcnt(1)
	v_lshlrev_b32_e32 v1, 16, v1
	s_waitcnt vmcnt(0)
	v_lshlrev_b32_e32 v30, 16, v30
	v_cmp_neq_f32_e32 vcc, v30, v1
	s_and_b64 s[28:29], vcc, exec
	s_or_b64 s[24:25], s[24:25], s[28:29]
.LBB1159_419:                           ;   in Loop: Header=BB1159_420 Depth=1
	s_and_b64 s[28:29], exec, s[24:25]
	s_or_b64 s[22:23], s[28:29], s[22:23]
	v_mov_b64_e32 v[30:31], s[26:27]
	s_andn2_b64 exec, exec, s[22:23]
	s_cbranch_execz .LBB1159_423
.LBB1159_420:                           ; =>This Inner Loop Header: Depth=1
	s_or_b64 s[24:25], s[24:25], exec
	s_cmp_eq_u64 s[20:21], s[26:27]
	s_cbranch_scc0 .LBB1159_418
; %bb.421:                              ;   in Loop: Header=BB1159_420 Depth=1
                                        ; implicit-def: $vgpr26_vgpr27
                                        ; implicit-def: $vgpr28_vgpr29
	s_mov_b64 s[26:27], s[12:13]
	s_branch .LBB1159_419
.LBB1159_422:
	s_mov_b64 s[20:21], 0
	s_branch .LBB1159_425
.LBB1159_423:
	s_or_b64 exec, exec, s[22:23]
	v_cmp_gt_i64_e32 vcc, s[12:13], v[30:31]
	s_orn2_b64 s[20:21], vcc, exec
.LBB1159_424:
	s_or_b64 exec, exec, s[2:3]
.LBB1159_425:
	s_and_b64 s[24:25], s[20:21], exec
	s_or_b64 s[18:19], s[18:19], exec
.LBB1159_426:
	s_or_b64 exec, exec, s[4:5]
	v_mov_b64_e32 v[72:73], v[52:53]
	v_mov_b64_e32 v[26:27], v[46:47]
	;; [unrolled: 1-line block ×11, first 2 shown]
	s_branch .LBB1159_572
.LBB1159_427:
	s_waitcnt lgkmcnt(0)
	v_mad_u32_u24 v26, v0, 13, 12
	v_cmp_gt_i64_e64 s[2:3], s[12:13], 0
	v_cmp_gt_u32_e32 vcc, s10, v26
	v_mul_u32_u24_e32 v1, 13, v0
	v_cndmask_b32_e64 v26, 0, 1, s[2:3]
	v_cmp_ne_u32_e64 s[2:3], 1, v26
	ds_write_b64 v48, v[44:45]
	s_and_saveexec_b64 s[4:5], vcc
	s_cbranch_execz .LBB1159_438
; %bb.428:
	s_and_b64 vcc, exec, s[2:3]
	s_cbranch_vccnz .LBB1159_435
; %bb.429:
	v_mul_lo_u32 v28, v45, s12
	v_mul_lo_u32 v29, v44, s13
	v_mad_u64_u32 v[26:27], s[20:21], v44, s12, 0
	v_add3_u32 v27, v27, v29, v28
	v_mul_lo_u32 v28, v25, s12
	v_mul_lo_u32 v29, v24, s13
	v_mad_u64_u32 v[30:31], s[20:21], v24, s12, 0
	v_add3_u32 v31, v31, v29, v28
	v_lshl_add_u64 v[28:29], v[26:27], 1, s[14:15]
	v_lshl_add_u64 v[26:27], v[30:31], 1, s[14:15]
	global_load_ushort v30, v[26:27], off
	global_load_ushort v31, v[28:29], off
	v_mov_b64_e32 v[44:45], 1
	s_waitcnt vmcnt(1)
	v_lshlrev_b32_e32 v30, 16, v30
	s_waitcnt vmcnt(0)
	v_lshlrev_b32_e32 v31, 16, v31
	v_cmp_eq_f32_e32 vcc, v31, v30
	s_and_saveexec_b64 s[20:21], vcc
	s_cbranch_execz .LBB1159_437
; %bb.430:
	s_add_u32 s22, s12, -1
	v_lshl_add_u64 v[26:27], v[26:27], 0, 2
	v_lshl_add_u64 v[28:29], v[28:29], 0, 2
	s_addc_u32 s23, s13, -1
	s_mov_b64 s[24:25], 0
	s_mov_b64 s[28:29], 0
                                        ; implicit-def: $sgpr26_sgpr27
	s_branch .LBB1159_433
.LBB1159_431:                           ;   in Loop: Header=BB1159_433 Depth=1
	global_load_ushort v30, v[26:27], off
	global_load_ushort v31, v[28:29], off
	s_add_u32 s28, s28, 1
	s_addc_u32 s29, s29, 0
	s_andn2_b64 s[26:27], s[26:27], exec
	v_lshl_add_u64 v[26:27], v[26:27], 0, 2
	v_lshl_add_u64 v[28:29], v[28:29], 0, 2
	s_waitcnt vmcnt(1)
	v_lshlrev_b32_e32 v30, 16, v30
	s_waitcnt vmcnt(0)
	v_lshlrev_b32_e32 v31, 16, v31
	v_cmp_neq_f32_e32 vcc, v31, v30
	s_and_b64 s[30:31], vcc, exec
	s_or_b64 s[26:27], s[26:27], s[30:31]
.LBB1159_432:                           ;   in Loop: Header=BB1159_433 Depth=1
	s_and_b64 s[30:31], exec, s[26:27]
	s_or_b64 s[24:25], s[30:31], s[24:25]
	v_mov_b64_e32 v[30:31], s[28:29]
	s_andn2_b64 exec, exec, s[24:25]
	s_cbranch_execz .LBB1159_436
.LBB1159_433:                           ; =>This Inner Loop Header: Depth=1
	s_or_b64 s[26:27], s[26:27], exec
	s_cmp_eq_u64 s[22:23], s[28:29]
	s_cbranch_scc0 .LBB1159_431
; %bb.434:                              ;   in Loop: Header=BB1159_433 Depth=1
                                        ; implicit-def: $vgpr26_vgpr27
                                        ; implicit-def: $vgpr28_vgpr29
	s_mov_b64 s[28:29], s[12:13]
	s_branch .LBB1159_432
.LBB1159_435:
	v_mov_b64_e32 v[44:45], 0
	s_branch .LBB1159_438
.LBB1159_436:
	s_or_b64 exec, exec, s[24:25]
	v_cmp_gt_i64_e32 vcc, s[12:13], v[30:31]
	s_mov_b32 s7, 0
	v_mov_b32_e32 v45, s7
	v_cndmask_b32_e64 v44, 0, 1, vcc
.LBB1159_437:
	s_or_b64 exec, exec, s[20:21]
.LBB1159_438:
	s_or_b64 exec, exec, s[4:5]
	v_add_u32_e32 v26, 11, v1
	v_cmp_gt_u32_e32 vcc, s10, v26
	s_and_saveexec_b64 s[4:5], vcc
	s_cbranch_execz .LBB1159_449
; %bb.439:
	s_and_b64 vcc, exec, s[2:3]
	s_cbranch_vccnz .LBB1159_446
; %bb.440:
	v_mul_lo_u32 v26, v25, s12
	v_mul_lo_u32 v27, v24, s13
	v_mad_u64_u32 v[24:25], s[20:21], v24, s12, 0
	v_add3_u32 v25, v25, v27, v26
	v_mul_lo_u32 v26, v23, s12
	v_mul_lo_u32 v27, v22, s13
	v_mad_u64_u32 v[28:29], s[20:21], v22, s12, 0
	v_add3_u32 v29, v29, v27, v26
	v_lshl_add_u64 v[28:29], v[28:29], 1, s[14:15]
	v_lshl_add_u64 v[26:27], v[24:25], 1, s[14:15]
	global_load_ushort v24, v[28:29], off
	global_load_ushort v25, v[26:27], off
	s_waitcnt vmcnt(1)
	v_lshlrev_b32_e32 v24, 16, v24
	s_waitcnt vmcnt(0)
	v_lshlrev_b32_e32 v25, 16, v25
	v_cmp_eq_f32_e32 vcc, v25, v24
	v_mov_b64_e32 v[24:25], 1
	s_and_saveexec_b64 s[20:21], vcc
	s_cbranch_execz .LBB1159_448
; %bb.441:
	s_add_u32 s22, s12, -1
	v_lshl_add_u64 v[24:25], v[28:29], 0, 2
	v_lshl_add_u64 v[26:27], v[26:27], 0, 2
	s_addc_u32 s23, s13, -1
	s_mov_b64 s[24:25], 0
	s_mov_b64 s[28:29], 0
                                        ; implicit-def: $sgpr26_sgpr27
	s_branch .LBB1159_444
.LBB1159_442:                           ;   in Loop: Header=BB1159_444 Depth=1
	global_load_ushort v28, v[24:25], off
	global_load_ushort v29, v[26:27], off
	s_add_u32 s28, s28, 1
	s_addc_u32 s29, s29, 0
	s_andn2_b64 s[26:27], s[26:27], exec
	v_lshl_add_u64 v[24:25], v[24:25], 0, 2
	v_lshl_add_u64 v[26:27], v[26:27], 0, 2
	s_waitcnt vmcnt(1)
	v_lshlrev_b32_e32 v28, 16, v28
	s_waitcnt vmcnt(0)
	v_lshlrev_b32_e32 v29, 16, v29
	v_cmp_neq_f32_e32 vcc, v29, v28
	s_and_b64 s[30:31], vcc, exec
	s_or_b64 s[26:27], s[26:27], s[30:31]
.LBB1159_443:                           ;   in Loop: Header=BB1159_444 Depth=1
	s_and_b64 s[30:31], exec, s[26:27]
	s_or_b64 s[24:25], s[30:31], s[24:25]
	v_mov_b64_e32 v[28:29], s[28:29]
	s_andn2_b64 exec, exec, s[24:25]
	s_cbranch_execz .LBB1159_447
.LBB1159_444:                           ; =>This Inner Loop Header: Depth=1
	s_or_b64 s[26:27], s[26:27], exec
	s_cmp_eq_u64 s[22:23], s[28:29]
	s_cbranch_scc0 .LBB1159_442
; %bb.445:                              ;   in Loop: Header=BB1159_444 Depth=1
                                        ; implicit-def: $vgpr24_vgpr25
                                        ; implicit-def: $vgpr26_vgpr27
	s_mov_b64 s[28:29], s[12:13]
	s_branch .LBB1159_443
.LBB1159_446:
	v_mov_b64_e32 v[24:25], 0
	s_branch .LBB1159_449
.LBB1159_447:
	s_or_b64 exec, exec, s[24:25]
	v_cmp_gt_i64_e32 vcc, s[12:13], v[28:29]
	s_mov_b32 s7, 0
	v_mov_b32_e32 v25, s7
	v_cndmask_b32_e64 v24, 0, 1, vcc
.LBB1159_448:
	s_or_b64 exec, exec, s[20:21]
.LBB1159_449:
	s_or_b64 exec, exec, s[4:5]
	v_add_u32_e32 v26, 10, v1
	v_cmp_gt_u32_e32 vcc, s10, v26
	s_and_saveexec_b64 s[4:5], vcc
	s_cbranch_execz .LBB1159_460
; %bb.450:
	s_and_b64 vcc, exec, s[2:3]
	s_cbranch_vccnz .LBB1159_457
; %bb.451:
	v_mul_lo_u32 v26, v23, s12
	v_mul_lo_u32 v27, v22, s13
	v_mad_u64_u32 v[22:23], s[20:21], v22, s12, 0
	v_add3_u32 v23, v23, v27, v26
	v_mul_lo_u32 v26, v21, s12
	v_mul_lo_u32 v27, v20, s13
	v_mad_u64_u32 v[28:29], s[20:21], v20, s12, 0
	v_add3_u32 v29, v29, v27, v26
	v_lshl_add_u64 v[28:29], v[28:29], 1, s[14:15]
	v_lshl_add_u64 v[26:27], v[22:23], 1, s[14:15]
	global_load_ushort v22, v[28:29], off
	global_load_ushort v23, v[26:27], off
	s_waitcnt vmcnt(1)
	v_lshlrev_b32_e32 v22, 16, v22
	s_waitcnt vmcnt(0)
	v_lshlrev_b32_e32 v23, 16, v23
	v_cmp_eq_f32_e32 vcc, v23, v22
	v_mov_b64_e32 v[22:23], 1
	s_and_saveexec_b64 s[20:21], vcc
	s_cbranch_execz .LBB1159_459
; %bb.452:
	s_add_u32 s22, s12, -1
	v_lshl_add_u64 v[22:23], v[28:29], 0, 2
	v_lshl_add_u64 v[26:27], v[26:27], 0, 2
	s_addc_u32 s23, s13, -1
	s_mov_b64 s[24:25], 0
	s_mov_b64 s[28:29], 0
                                        ; implicit-def: $sgpr26_sgpr27
	s_branch .LBB1159_455
.LBB1159_453:                           ;   in Loop: Header=BB1159_455 Depth=1
	global_load_ushort v28, v[22:23], off
	global_load_ushort v29, v[26:27], off
	s_add_u32 s28, s28, 1
	s_addc_u32 s29, s29, 0
	s_andn2_b64 s[26:27], s[26:27], exec
	v_lshl_add_u64 v[22:23], v[22:23], 0, 2
	v_lshl_add_u64 v[26:27], v[26:27], 0, 2
	s_waitcnt vmcnt(1)
	v_lshlrev_b32_e32 v28, 16, v28
	s_waitcnt vmcnt(0)
	v_lshlrev_b32_e32 v29, 16, v29
	v_cmp_neq_f32_e32 vcc, v29, v28
	s_and_b64 s[30:31], vcc, exec
	s_or_b64 s[26:27], s[26:27], s[30:31]
.LBB1159_454:                           ;   in Loop: Header=BB1159_455 Depth=1
	s_and_b64 s[30:31], exec, s[26:27]
	s_or_b64 s[24:25], s[30:31], s[24:25]
	v_mov_b64_e32 v[28:29], s[28:29]
	s_andn2_b64 exec, exec, s[24:25]
	s_cbranch_execz .LBB1159_458
.LBB1159_455:                           ; =>This Inner Loop Header: Depth=1
	s_or_b64 s[26:27], s[26:27], exec
	s_cmp_eq_u64 s[22:23], s[28:29]
	s_cbranch_scc0 .LBB1159_453
; %bb.456:                              ;   in Loop: Header=BB1159_455 Depth=1
                                        ; implicit-def: $vgpr22_vgpr23
                                        ; implicit-def: $vgpr26_vgpr27
	s_mov_b64 s[28:29], s[12:13]
	s_branch .LBB1159_454
.LBB1159_457:
	v_mov_b64_e32 v[22:23], 0
	s_branch .LBB1159_460
.LBB1159_458:
	s_or_b64 exec, exec, s[24:25]
	v_cmp_gt_i64_e32 vcc, s[12:13], v[28:29]
	s_mov_b32 s7, 0
	v_mov_b32_e32 v23, s7
	v_cndmask_b32_e64 v22, 0, 1, vcc
.LBB1159_459:
	s_or_b64 exec, exec, s[20:21]
.LBB1159_460:
	s_or_b64 exec, exec, s[4:5]
	v_add_u32_e32 v26, 9, v1
	v_cmp_gt_u32_e32 vcc, s10, v26
	s_and_saveexec_b64 s[4:5], vcc
	s_cbranch_execz .LBB1159_471
; %bb.461:
	s_and_b64 vcc, exec, s[2:3]
	s_cbranch_vccnz .LBB1159_468
; %bb.462:
	v_mul_lo_u32 v26, v21, s12
	v_mul_lo_u32 v27, v20, s13
	v_mad_u64_u32 v[20:21], s[20:21], v20, s12, 0
	v_add3_u32 v21, v21, v27, v26
	v_mul_lo_u32 v26, v19, s12
	v_mul_lo_u32 v27, v18, s13
	v_mad_u64_u32 v[28:29], s[20:21], v18, s12, 0
	v_add3_u32 v29, v29, v27, v26
	v_lshl_add_u64 v[28:29], v[28:29], 1, s[14:15]
	v_lshl_add_u64 v[26:27], v[20:21], 1, s[14:15]
	global_load_ushort v20, v[28:29], off
	global_load_ushort v21, v[26:27], off
	s_waitcnt vmcnt(1)
	v_lshlrev_b32_e32 v20, 16, v20
	s_waitcnt vmcnt(0)
	v_lshlrev_b32_e32 v21, 16, v21
	v_cmp_eq_f32_e32 vcc, v21, v20
	v_mov_b64_e32 v[20:21], 1
	s_and_saveexec_b64 s[20:21], vcc
	s_cbranch_execz .LBB1159_470
; %bb.463:
	s_add_u32 s22, s12, -1
	v_lshl_add_u64 v[20:21], v[28:29], 0, 2
	v_lshl_add_u64 v[26:27], v[26:27], 0, 2
	s_addc_u32 s23, s13, -1
	s_mov_b64 s[24:25], 0
	s_mov_b64 s[28:29], 0
                                        ; implicit-def: $sgpr26_sgpr27
	s_branch .LBB1159_466
.LBB1159_464:                           ;   in Loop: Header=BB1159_466 Depth=1
	global_load_ushort v28, v[20:21], off
	global_load_ushort v29, v[26:27], off
	s_add_u32 s28, s28, 1
	s_addc_u32 s29, s29, 0
	s_andn2_b64 s[26:27], s[26:27], exec
	v_lshl_add_u64 v[20:21], v[20:21], 0, 2
	v_lshl_add_u64 v[26:27], v[26:27], 0, 2
	s_waitcnt vmcnt(1)
	v_lshlrev_b32_e32 v28, 16, v28
	s_waitcnt vmcnt(0)
	v_lshlrev_b32_e32 v29, 16, v29
	v_cmp_neq_f32_e32 vcc, v29, v28
	s_and_b64 s[30:31], vcc, exec
	s_or_b64 s[26:27], s[26:27], s[30:31]
.LBB1159_465:                           ;   in Loop: Header=BB1159_466 Depth=1
	s_and_b64 s[30:31], exec, s[26:27]
	s_or_b64 s[24:25], s[30:31], s[24:25]
	v_mov_b64_e32 v[28:29], s[28:29]
	s_andn2_b64 exec, exec, s[24:25]
	s_cbranch_execz .LBB1159_469
.LBB1159_466:                           ; =>This Inner Loop Header: Depth=1
	s_or_b64 s[26:27], s[26:27], exec
	s_cmp_eq_u64 s[22:23], s[28:29]
	s_cbranch_scc0 .LBB1159_464
; %bb.467:                              ;   in Loop: Header=BB1159_466 Depth=1
                                        ; implicit-def: $vgpr20_vgpr21
                                        ; implicit-def: $vgpr26_vgpr27
	s_mov_b64 s[28:29], s[12:13]
	s_branch .LBB1159_465
.LBB1159_468:
	v_mov_b64_e32 v[20:21], 0
	s_branch .LBB1159_471
.LBB1159_469:
	s_or_b64 exec, exec, s[24:25]
	v_cmp_gt_i64_e32 vcc, s[12:13], v[28:29]
	s_mov_b32 s7, 0
	v_mov_b32_e32 v21, s7
	v_cndmask_b32_e64 v20, 0, 1, vcc
.LBB1159_470:
	s_or_b64 exec, exec, s[20:21]
.LBB1159_471:
	s_or_b64 exec, exec, s[4:5]
	v_add_u32_e32 v26, 8, v1
	v_cmp_gt_u32_e32 vcc, s10, v26
	s_and_saveexec_b64 s[4:5], vcc
	s_cbranch_execz .LBB1159_482
; %bb.472:
	s_and_b64 vcc, exec, s[2:3]
	s_cbranch_vccnz .LBB1159_479
; %bb.473:
	v_mul_lo_u32 v26, v19, s12
	v_mul_lo_u32 v27, v18, s13
	v_mad_u64_u32 v[18:19], s[20:21], v18, s12, 0
	v_add3_u32 v19, v19, v27, v26
	v_mul_lo_u32 v26, v17, s12
	v_mul_lo_u32 v27, v16, s13
	v_mad_u64_u32 v[28:29], s[20:21], v16, s12, 0
	v_add3_u32 v29, v29, v27, v26
	v_lshl_add_u64 v[28:29], v[28:29], 1, s[14:15]
	v_lshl_add_u64 v[26:27], v[18:19], 1, s[14:15]
	global_load_ushort v18, v[28:29], off
	global_load_ushort v19, v[26:27], off
	s_waitcnt vmcnt(1)
	v_lshlrev_b32_e32 v18, 16, v18
	s_waitcnt vmcnt(0)
	v_lshlrev_b32_e32 v19, 16, v19
	v_cmp_eq_f32_e32 vcc, v19, v18
	v_mov_b64_e32 v[18:19], 1
	s_and_saveexec_b64 s[20:21], vcc
	s_cbranch_execz .LBB1159_481
; %bb.474:
	s_add_u32 s22, s12, -1
	v_lshl_add_u64 v[18:19], v[28:29], 0, 2
	v_lshl_add_u64 v[26:27], v[26:27], 0, 2
	s_addc_u32 s23, s13, -1
	s_mov_b64 s[24:25], 0
	s_mov_b64 s[28:29], 0
                                        ; implicit-def: $sgpr26_sgpr27
	s_branch .LBB1159_477
.LBB1159_475:                           ;   in Loop: Header=BB1159_477 Depth=1
	global_load_ushort v28, v[18:19], off
	global_load_ushort v29, v[26:27], off
	s_add_u32 s28, s28, 1
	s_addc_u32 s29, s29, 0
	s_andn2_b64 s[26:27], s[26:27], exec
	v_lshl_add_u64 v[18:19], v[18:19], 0, 2
	v_lshl_add_u64 v[26:27], v[26:27], 0, 2
	s_waitcnt vmcnt(1)
	v_lshlrev_b32_e32 v28, 16, v28
	s_waitcnt vmcnt(0)
	v_lshlrev_b32_e32 v29, 16, v29
	v_cmp_neq_f32_e32 vcc, v29, v28
	s_and_b64 s[30:31], vcc, exec
	s_or_b64 s[26:27], s[26:27], s[30:31]
.LBB1159_476:                           ;   in Loop: Header=BB1159_477 Depth=1
	s_and_b64 s[30:31], exec, s[26:27]
	s_or_b64 s[24:25], s[30:31], s[24:25]
	v_mov_b64_e32 v[28:29], s[28:29]
	s_andn2_b64 exec, exec, s[24:25]
	s_cbranch_execz .LBB1159_480
.LBB1159_477:                           ; =>This Inner Loop Header: Depth=1
	s_or_b64 s[26:27], s[26:27], exec
	s_cmp_eq_u64 s[22:23], s[28:29]
	s_cbranch_scc0 .LBB1159_475
; %bb.478:                              ;   in Loop: Header=BB1159_477 Depth=1
                                        ; implicit-def: $vgpr18_vgpr19
                                        ; implicit-def: $vgpr26_vgpr27
	s_mov_b64 s[28:29], s[12:13]
	s_branch .LBB1159_476
.LBB1159_479:
	v_mov_b64_e32 v[18:19], 0
	s_branch .LBB1159_482
.LBB1159_480:
	s_or_b64 exec, exec, s[24:25]
	v_cmp_gt_i64_e32 vcc, s[12:13], v[28:29]
	s_mov_b32 s7, 0
	v_mov_b32_e32 v19, s7
	v_cndmask_b32_e64 v18, 0, 1, vcc
.LBB1159_481:
	s_or_b64 exec, exec, s[20:21]
.LBB1159_482:
	s_or_b64 exec, exec, s[4:5]
	v_add_u32_e32 v26, 7, v1
	v_cmp_gt_u32_e32 vcc, s10, v26
	s_and_saveexec_b64 s[4:5], vcc
	s_cbranch_execz .LBB1159_493
; %bb.483:
	s_and_b64 vcc, exec, s[2:3]
	s_cbranch_vccnz .LBB1159_490
; %bb.484:
	v_mul_lo_u32 v26, v17, s12
	v_mul_lo_u32 v27, v16, s13
	v_mad_u64_u32 v[16:17], s[20:21], v16, s12, 0
	v_add3_u32 v17, v17, v27, v26
	v_mul_lo_u32 v26, v15, s12
	v_mul_lo_u32 v27, v14, s13
	v_mad_u64_u32 v[28:29], s[20:21], v14, s12, 0
	v_add3_u32 v29, v29, v27, v26
	v_lshl_add_u64 v[28:29], v[28:29], 1, s[14:15]
	v_lshl_add_u64 v[26:27], v[16:17], 1, s[14:15]
	global_load_ushort v16, v[28:29], off
	global_load_ushort v17, v[26:27], off
	s_waitcnt vmcnt(1)
	v_lshlrev_b32_e32 v16, 16, v16
	s_waitcnt vmcnt(0)
	v_lshlrev_b32_e32 v17, 16, v17
	v_cmp_eq_f32_e32 vcc, v17, v16
	v_mov_b64_e32 v[16:17], 1
	s_and_saveexec_b64 s[20:21], vcc
	s_cbranch_execz .LBB1159_492
; %bb.485:
	s_add_u32 s22, s12, -1
	v_lshl_add_u64 v[16:17], v[28:29], 0, 2
	v_lshl_add_u64 v[26:27], v[26:27], 0, 2
	s_addc_u32 s23, s13, -1
	s_mov_b64 s[24:25], 0
	s_mov_b64 s[28:29], 0
                                        ; implicit-def: $sgpr26_sgpr27
	s_branch .LBB1159_488
.LBB1159_486:                           ;   in Loop: Header=BB1159_488 Depth=1
	global_load_ushort v28, v[16:17], off
	global_load_ushort v29, v[26:27], off
	s_add_u32 s28, s28, 1
	s_addc_u32 s29, s29, 0
	s_andn2_b64 s[26:27], s[26:27], exec
	v_lshl_add_u64 v[16:17], v[16:17], 0, 2
	v_lshl_add_u64 v[26:27], v[26:27], 0, 2
	s_waitcnt vmcnt(1)
	v_lshlrev_b32_e32 v28, 16, v28
	s_waitcnt vmcnt(0)
	v_lshlrev_b32_e32 v29, 16, v29
	v_cmp_neq_f32_e32 vcc, v29, v28
	s_and_b64 s[30:31], vcc, exec
	s_or_b64 s[26:27], s[26:27], s[30:31]
.LBB1159_487:                           ;   in Loop: Header=BB1159_488 Depth=1
	s_and_b64 s[30:31], exec, s[26:27]
	s_or_b64 s[24:25], s[30:31], s[24:25]
	v_mov_b64_e32 v[28:29], s[28:29]
	s_andn2_b64 exec, exec, s[24:25]
	s_cbranch_execz .LBB1159_491
.LBB1159_488:                           ; =>This Inner Loop Header: Depth=1
	s_or_b64 s[26:27], s[26:27], exec
	s_cmp_eq_u64 s[22:23], s[28:29]
	s_cbranch_scc0 .LBB1159_486
; %bb.489:                              ;   in Loop: Header=BB1159_488 Depth=1
                                        ; implicit-def: $vgpr16_vgpr17
                                        ; implicit-def: $vgpr26_vgpr27
	s_mov_b64 s[28:29], s[12:13]
	s_branch .LBB1159_487
.LBB1159_490:
	v_mov_b64_e32 v[16:17], 0
	s_branch .LBB1159_493
.LBB1159_491:
	s_or_b64 exec, exec, s[24:25]
	v_cmp_gt_i64_e32 vcc, s[12:13], v[28:29]
	s_mov_b32 s7, 0
	v_mov_b32_e32 v17, s7
	v_cndmask_b32_e64 v16, 0, 1, vcc
.LBB1159_492:
	s_or_b64 exec, exec, s[20:21]
.LBB1159_493:
	s_or_b64 exec, exec, s[4:5]
	v_add_u32_e32 v26, 6, v1
	v_cmp_gt_u32_e32 vcc, s10, v26
	s_and_saveexec_b64 s[4:5], vcc
	s_cbranch_execz .LBB1159_504
; %bb.494:
	s_and_b64 vcc, exec, s[2:3]
	s_cbranch_vccnz .LBB1159_501
; %bb.495:
	v_mul_lo_u32 v26, v15, s12
	v_mul_lo_u32 v27, v14, s13
	v_mad_u64_u32 v[14:15], s[20:21], v14, s12, 0
	v_add3_u32 v15, v15, v27, v26
	v_mul_lo_u32 v26, v13, s12
	v_mul_lo_u32 v27, v12, s13
	v_mad_u64_u32 v[28:29], s[20:21], v12, s12, 0
	v_add3_u32 v29, v29, v27, v26
	v_lshl_add_u64 v[28:29], v[28:29], 1, s[14:15]
	v_lshl_add_u64 v[26:27], v[14:15], 1, s[14:15]
	global_load_ushort v14, v[28:29], off
	global_load_ushort v15, v[26:27], off
	s_waitcnt vmcnt(1)
	v_lshlrev_b32_e32 v14, 16, v14
	s_waitcnt vmcnt(0)
	v_lshlrev_b32_e32 v15, 16, v15
	v_cmp_eq_f32_e32 vcc, v15, v14
	v_mov_b64_e32 v[14:15], 1
	s_and_saveexec_b64 s[20:21], vcc
	s_cbranch_execz .LBB1159_503
; %bb.496:
	s_add_u32 s22, s12, -1
	v_lshl_add_u64 v[14:15], v[28:29], 0, 2
	v_lshl_add_u64 v[26:27], v[26:27], 0, 2
	s_addc_u32 s23, s13, -1
	s_mov_b64 s[24:25], 0
	s_mov_b64 s[28:29], 0
                                        ; implicit-def: $sgpr26_sgpr27
	s_branch .LBB1159_499
.LBB1159_497:                           ;   in Loop: Header=BB1159_499 Depth=1
	global_load_ushort v28, v[14:15], off
	global_load_ushort v29, v[26:27], off
	s_add_u32 s28, s28, 1
	s_addc_u32 s29, s29, 0
	s_andn2_b64 s[26:27], s[26:27], exec
	v_lshl_add_u64 v[14:15], v[14:15], 0, 2
	v_lshl_add_u64 v[26:27], v[26:27], 0, 2
	s_waitcnt vmcnt(1)
	v_lshlrev_b32_e32 v28, 16, v28
	s_waitcnt vmcnt(0)
	v_lshlrev_b32_e32 v29, 16, v29
	v_cmp_neq_f32_e32 vcc, v29, v28
	s_and_b64 s[30:31], vcc, exec
	s_or_b64 s[26:27], s[26:27], s[30:31]
.LBB1159_498:                           ;   in Loop: Header=BB1159_499 Depth=1
	s_and_b64 s[30:31], exec, s[26:27]
	s_or_b64 s[24:25], s[30:31], s[24:25]
	v_mov_b64_e32 v[28:29], s[28:29]
	s_andn2_b64 exec, exec, s[24:25]
	s_cbranch_execz .LBB1159_502
.LBB1159_499:                           ; =>This Inner Loop Header: Depth=1
	s_or_b64 s[26:27], s[26:27], exec
	s_cmp_eq_u64 s[22:23], s[28:29]
	s_cbranch_scc0 .LBB1159_497
; %bb.500:                              ;   in Loop: Header=BB1159_499 Depth=1
                                        ; implicit-def: $vgpr14_vgpr15
                                        ; implicit-def: $vgpr26_vgpr27
	s_mov_b64 s[28:29], s[12:13]
	s_branch .LBB1159_498
.LBB1159_501:
	v_mov_b64_e32 v[14:15], 0
	s_branch .LBB1159_504
.LBB1159_502:
	s_or_b64 exec, exec, s[24:25]
	v_cmp_gt_i64_e32 vcc, s[12:13], v[28:29]
	s_mov_b32 s7, 0
	v_mov_b32_e32 v15, s7
	v_cndmask_b32_e64 v14, 0, 1, vcc
.LBB1159_503:
	s_or_b64 exec, exec, s[20:21]
.LBB1159_504:
	s_or_b64 exec, exec, s[4:5]
	v_add_u32_e32 v26, 5, v1
	v_cmp_gt_u32_e32 vcc, s10, v26
	s_and_saveexec_b64 s[4:5], vcc
	s_cbranch_execz .LBB1159_515
; %bb.505:
	s_and_b64 vcc, exec, s[2:3]
	s_cbranch_vccnz .LBB1159_512
; %bb.506:
	v_mul_lo_u32 v26, v13, s12
	v_mul_lo_u32 v27, v12, s13
	v_mad_u64_u32 v[12:13], s[20:21], v12, s12, 0
	v_add3_u32 v13, v13, v27, v26
	v_mul_lo_u32 v26, v11, s12
	v_mul_lo_u32 v27, v10, s13
	v_mad_u64_u32 v[28:29], s[20:21], v10, s12, 0
	v_add3_u32 v29, v29, v27, v26
	v_lshl_add_u64 v[28:29], v[28:29], 1, s[14:15]
	v_lshl_add_u64 v[26:27], v[12:13], 1, s[14:15]
	global_load_ushort v12, v[28:29], off
	global_load_ushort v13, v[26:27], off
	s_waitcnt vmcnt(1)
	v_lshlrev_b32_e32 v12, 16, v12
	s_waitcnt vmcnt(0)
	v_lshlrev_b32_e32 v13, 16, v13
	v_cmp_eq_f32_e32 vcc, v13, v12
	v_mov_b64_e32 v[12:13], 1
	s_and_saveexec_b64 s[20:21], vcc
	s_cbranch_execz .LBB1159_514
; %bb.507:
	s_add_u32 s22, s12, -1
	v_lshl_add_u64 v[12:13], v[28:29], 0, 2
	v_lshl_add_u64 v[26:27], v[26:27], 0, 2
	s_addc_u32 s23, s13, -1
	s_mov_b64 s[24:25], 0
	s_mov_b64 s[28:29], 0
                                        ; implicit-def: $sgpr26_sgpr27
	s_branch .LBB1159_510
.LBB1159_508:                           ;   in Loop: Header=BB1159_510 Depth=1
	global_load_ushort v28, v[12:13], off
	global_load_ushort v29, v[26:27], off
	s_add_u32 s28, s28, 1
	s_addc_u32 s29, s29, 0
	s_andn2_b64 s[26:27], s[26:27], exec
	v_lshl_add_u64 v[12:13], v[12:13], 0, 2
	v_lshl_add_u64 v[26:27], v[26:27], 0, 2
	s_waitcnt vmcnt(1)
	v_lshlrev_b32_e32 v28, 16, v28
	s_waitcnt vmcnt(0)
	v_lshlrev_b32_e32 v29, 16, v29
	v_cmp_neq_f32_e32 vcc, v29, v28
	s_and_b64 s[30:31], vcc, exec
	s_or_b64 s[26:27], s[26:27], s[30:31]
.LBB1159_509:                           ;   in Loop: Header=BB1159_510 Depth=1
	s_and_b64 s[30:31], exec, s[26:27]
	s_or_b64 s[24:25], s[30:31], s[24:25]
	v_mov_b64_e32 v[28:29], s[28:29]
	s_andn2_b64 exec, exec, s[24:25]
	s_cbranch_execz .LBB1159_513
.LBB1159_510:                           ; =>This Inner Loop Header: Depth=1
	s_or_b64 s[26:27], s[26:27], exec
	s_cmp_eq_u64 s[22:23], s[28:29]
	s_cbranch_scc0 .LBB1159_508
; %bb.511:                              ;   in Loop: Header=BB1159_510 Depth=1
                                        ; implicit-def: $vgpr12_vgpr13
                                        ; implicit-def: $vgpr26_vgpr27
	s_mov_b64 s[28:29], s[12:13]
	s_branch .LBB1159_509
.LBB1159_512:
	v_mov_b64_e32 v[12:13], 0
	s_branch .LBB1159_515
.LBB1159_513:
	s_or_b64 exec, exec, s[24:25]
	v_cmp_gt_i64_e32 vcc, s[12:13], v[28:29]
	s_mov_b32 s7, 0
	v_mov_b32_e32 v13, s7
	v_cndmask_b32_e64 v12, 0, 1, vcc
.LBB1159_514:
	s_or_b64 exec, exec, s[20:21]
.LBB1159_515:
	s_or_b64 exec, exec, s[4:5]
	v_add_u32_e32 v26, 4, v1
	v_cmp_gt_u32_e32 vcc, s10, v26
	s_and_saveexec_b64 s[4:5], vcc
	s_cbranch_execz .LBB1159_526
; %bb.516:
	s_and_b64 vcc, exec, s[2:3]
	s_cbranch_vccnz .LBB1159_523
; %bb.517:
	v_mul_lo_u32 v26, v11, s12
	v_mul_lo_u32 v27, v10, s13
	v_mad_u64_u32 v[10:11], s[20:21], v10, s12, 0
	v_add3_u32 v11, v11, v27, v26
	v_mul_lo_u32 v26, v9, s12
	v_mul_lo_u32 v27, v8, s13
	v_mad_u64_u32 v[28:29], s[20:21], v8, s12, 0
	v_add3_u32 v29, v29, v27, v26
	v_lshl_add_u64 v[28:29], v[28:29], 1, s[14:15]
	v_lshl_add_u64 v[26:27], v[10:11], 1, s[14:15]
	global_load_ushort v10, v[28:29], off
	global_load_ushort v11, v[26:27], off
	s_waitcnt vmcnt(1)
	v_lshlrev_b32_e32 v10, 16, v10
	s_waitcnt vmcnt(0)
	v_lshlrev_b32_e32 v11, 16, v11
	v_cmp_eq_f32_e32 vcc, v11, v10
	v_mov_b64_e32 v[10:11], 1
	s_and_saveexec_b64 s[20:21], vcc
	s_cbranch_execz .LBB1159_525
; %bb.518:
	s_add_u32 s22, s12, -1
	v_lshl_add_u64 v[10:11], v[28:29], 0, 2
	v_lshl_add_u64 v[26:27], v[26:27], 0, 2
	s_addc_u32 s23, s13, -1
	s_mov_b64 s[24:25], 0
	s_mov_b64 s[28:29], 0
                                        ; implicit-def: $sgpr26_sgpr27
	s_branch .LBB1159_521
.LBB1159_519:                           ;   in Loop: Header=BB1159_521 Depth=1
	global_load_ushort v28, v[10:11], off
	global_load_ushort v29, v[26:27], off
	s_add_u32 s28, s28, 1
	s_addc_u32 s29, s29, 0
	s_andn2_b64 s[26:27], s[26:27], exec
	v_lshl_add_u64 v[10:11], v[10:11], 0, 2
	v_lshl_add_u64 v[26:27], v[26:27], 0, 2
	s_waitcnt vmcnt(1)
	v_lshlrev_b32_e32 v28, 16, v28
	s_waitcnt vmcnt(0)
	v_lshlrev_b32_e32 v29, 16, v29
	v_cmp_neq_f32_e32 vcc, v29, v28
	s_and_b64 s[30:31], vcc, exec
	s_or_b64 s[26:27], s[26:27], s[30:31]
.LBB1159_520:                           ;   in Loop: Header=BB1159_521 Depth=1
	s_and_b64 s[30:31], exec, s[26:27]
	s_or_b64 s[24:25], s[30:31], s[24:25]
	v_mov_b64_e32 v[28:29], s[28:29]
	s_andn2_b64 exec, exec, s[24:25]
	s_cbranch_execz .LBB1159_524
.LBB1159_521:                           ; =>This Inner Loop Header: Depth=1
	s_or_b64 s[26:27], s[26:27], exec
	s_cmp_eq_u64 s[22:23], s[28:29]
	s_cbranch_scc0 .LBB1159_519
; %bb.522:                              ;   in Loop: Header=BB1159_521 Depth=1
                                        ; implicit-def: $vgpr10_vgpr11
                                        ; implicit-def: $vgpr26_vgpr27
	s_mov_b64 s[28:29], s[12:13]
	s_branch .LBB1159_520
.LBB1159_523:
	v_mov_b64_e32 v[10:11], 0
	s_branch .LBB1159_526
.LBB1159_524:
	s_or_b64 exec, exec, s[24:25]
	v_cmp_gt_i64_e32 vcc, s[12:13], v[28:29]
	s_mov_b32 s7, 0
	v_mov_b32_e32 v11, s7
	v_cndmask_b32_e64 v10, 0, 1, vcc
.LBB1159_525:
	s_or_b64 exec, exec, s[20:21]
.LBB1159_526:
	s_or_b64 exec, exec, s[4:5]
	v_add_u32_e32 v26, 3, v1
	v_cmp_gt_u32_e32 vcc, s10, v26
	s_and_saveexec_b64 s[4:5], vcc
	s_cbranch_execz .LBB1159_537
; %bb.527:
	s_and_b64 vcc, exec, s[2:3]
	s_cbranch_vccnz .LBB1159_534
; %bb.528:
	v_mul_lo_u32 v26, v9, s12
	v_mul_lo_u32 v27, v8, s13
	v_mad_u64_u32 v[8:9], s[20:21], v8, s12, 0
	v_add3_u32 v9, v9, v27, v26
	v_mul_lo_u32 v26, v7, s12
	v_mul_lo_u32 v27, v6, s13
	v_mad_u64_u32 v[28:29], s[20:21], v6, s12, 0
	v_add3_u32 v29, v29, v27, v26
	v_lshl_add_u64 v[28:29], v[28:29], 1, s[14:15]
	v_lshl_add_u64 v[26:27], v[8:9], 1, s[14:15]
	global_load_ushort v8, v[28:29], off
	global_load_ushort v9, v[26:27], off
	s_waitcnt vmcnt(1)
	v_lshlrev_b32_e32 v8, 16, v8
	s_waitcnt vmcnt(0)
	v_lshlrev_b32_e32 v9, 16, v9
	v_cmp_eq_f32_e32 vcc, v9, v8
	v_mov_b64_e32 v[8:9], 1
	s_and_saveexec_b64 s[20:21], vcc
	s_cbranch_execz .LBB1159_536
; %bb.529:
	s_add_u32 s22, s12, -1
	v_lshl_add_u64 v[8:9], v[28:29], 0, 2
	v_lshl_add_u64 v[26:27], v[26:27], 0, 2
	s_addc_u32 s23, s13, -1
	s_mov_b64 s[24:25], 0
	s_mov_b64 s[28:29], 0
                                        ; implicit-def: $sgpr26_sgpr27
	s_branch .LBB1159_532
.LBB1159_530:                           ;   in Loop: Header=BB1159_532 Depth=1
	global_load_ushort v28, v[8:9], off
	global_load_ushort v29, v[26:27], off
	s_add_u32 s28, s28, 1
	s_addc_u32 s29, s29, 0
	s_andn2_b64 s[26:27], s[26:27], exec
	v_lshl_add_u64 v[8:9], v[8:9], 0, 2
	v_lshl_add_u64 v[26:27], v[26:27], 0, 2
	s_waitcnt vmcnt(1)
	v_lshlrev_b32_e32 v28, 16, v28
	s_waitcnt vmcnt(0)
	v_lshlrev_b32_e32 v29, 16, v29
	v_cmp_neq_f32_e32 vcc, v29, v28
	s_and_b64 s[30:31], vcc, exec
	s_or_b64 s[26:27], s[26:27], s[30:31]
.LBB1159_531:                           ;   in Loop: Header=BB1159_532 Depth=1
	s_and_b64 s[30:31], exec, s[26:27]
	s_or_b64 s[24:25], s[30:31], s[24:25]
	v_mov_b64_e32 v[28:29], s[28:29]
	s_andn2_b64 exec, exec, s[24:25]
	s_cbranch_execz .LBB1159_535
.LBB1159_532:                           ; =>This Inner Loop Header: Depth=1
	s_or_b64 s[26:27], s[26:27], exec
	s_cmp_eq_u64 s[22:23], s[28:29]
	s_cbranch_scc0 .LBB1159_530
; %bb.533:                              ;   in Loop: Header=BB1159_532 Depth=1
                                        ; implicit-def: $vgpr8_vgpr9
                                        ; implicit-def: $vgpr26_vgpr27
	s_mov_b64 s[28:29], s[12:13]
	s_branch .LBB1159_531
.LBB1159_534:
	v_mov_b64_e32 v[8:9], 0
	s_branch .LBB1159_537
.LBB1159_535:
	s_or_b64 exec, exec, s[24:25]
	v_cmp_gt_i64_e32 vcc, s[12:13], v[28:29]
	s_mov_b32 s7, 0
	v_mov_b32_e32 v9, s7
	v_cndmask_b32_e64 v8, 0, 1, vcc
.LBB1159_536:
	s_or_b64 exec, exec, s[20:21]
.LBB1159_537:
	s_or_b64 exec, exec, s[4:5]
	v_add_u32_e32 v26, 2, v1
	v_cmp_gt_u32_e32 vcc, s10, v26
	s_and_saveexec_b64 s[4:5], vcc
	s_cbranch_execz .LBB1159_548
; %bb.538:
	s_and_b64 vcc, exec, s[2:3]
	s_cbranch_vccnz .LBB1159_545
; %bb.539:
	v_mul_lo_u32 v26, v7, s12
	v_mul_lo_u32 v27, v6, s13
	v_mad_u64_u32 v[6:7], s[20:21], v6, s12, 0
	v_add3_u32 v7, v7, v27, v26
	v_mul_lo_u32 v26, v5, s12
	v_mul_lo_u32 v27, v4, s13
	v_mad_u64_u32 v[28:29], s[20:21], v4, s12, 0
	v_add3_u32 v29, v29, v27, v26
	v_lshl_add_u64 v[28:29], v[28:29], 1, s[14:15]
	v_lshl_add_u64 v[26:27], v[6:7], 1, s[14:15]
	global_load_ushort v6, v[28:29], off
	global_load_ushort v7, v[26:27], off
	s_waitcnt vmcnt(1)
	v_lshlrev_b32_e32 v6, 16, v6
	s_waitcnt vmcnt(0)
	v_lshlrev_b32_e32 v7, 16, v7
	v_cmp_eq_f32_e32 vcc, v7, v6
	v_mov_b64_e32 v[6:7], 1
	s_and_saveexec_b64 s[20:21], vcc
	s_cbranch_execz .LBB1159_547
; %bb.540:
	s_add_u32 s22, s12, -1
	v_lshl_add_u64 v[6:7], v[28:29], 0, 2
	v_lshl_add_u64 v[26:27], v[26:27], 0, 2
	s_addc_u32 s23, s13, -1
	s_mov_b64 s[24:25], 0
	s_mov_b64 s[28:29], 0
                                        ; implicit-def: $sgpr26_sgpr27
	s_branch .LBB1159_543
.LBB1159_541:                           ;   in Loop: Header=BB1159_543 Depth=1
	global_load_ushort v28, v[6:7], off
	global_load_ushort v29, v[26:27], off
	s_add_u32 s28, s28, 1
	s_addc_u32 s29, s29, 0
	s_andn2_b64 s[26:27], s[26:27], exec
	v_lshl_add_u64 v[6:7], v[6:7], 0, 2
	v_lshl_add_u64 v[26:27], v[26:27], 0, 2
	s_waitcnt vmcnt(1)
	v_lshlrev_b32_e32 v28, 16, v28
	s_waitcnt vmcnt(0)
	v_lshlrev_b32_e32 v29, 16, v29
	v_cmp_neq_f32_e32 vcc, v29, v28
	s_and_b64 s[30:31], vcc, exec
	s_or_b64 s[26:27], s[26:27], s[30:31]
.LBB1159_542:                           ;   in Loop: Header=BB1159_543 Depth=1
	s_and_b64 s[30:31], exec, s[26:27]
	s_or_b64 s[24:25], s[30:31], s[24:25]
	v_mov_b64_e32 v[28:29], s[28:29]
	s_andn2_b64 exec, exec, s[24:25]
	s_cbranch_execz .LBB1159_546
.LBB1159_543:                           ; =>This Inner Loop Header: Depth=1
	s_or_b64 s[26:27], s[26:27], exec
	s_cmp_eq_u64 s[22:23], s[28:29]
	s_cbranch_scc0 .LBB1159_541
; %bb.544:                              ;   in Loop: Header=BB1159_543 Depth=1
                                        ; implicit-def: $vgpr6_vgpr7
                                        ; implicit-def: $vgpr26_vgpr27
	s_mov_b64 s[28:29], s[12:13]
	s_branch .LBB1159_542
.LBB1159_545:
	v_mov_b64_e32 v[6:7], 0
	s_branch .LBB1159_548
.LBB1159_546:
	s_or_b64 exec, exec, s[24:25]
	v_cmp_gt_i64_e32 vcc, s[12:13], v[28:29]
	s_mov_b32 s7, 0
	v_mov_b32_e32 v7, s7
	v_cndmask_b32_e64 v6, 0, 1, vcc
.LBB1159_547:
	s_or_b64 exec, exec, s[20:21]
.LBB1159_548:
	s_or_b64 exec, exec, s[4:5]
	v_add_u32_e32 v26, 1, v1
	v_cmp_gt_u32_e32 vcc, s10, v26
	s_and_saveexec_b64 s[4:5], vcc
	s_cbranch_execz .LBB1159_559
; %bb.549:
	s_and_b64 vcc, exec, s[2:3]
	s_cbranch_vccnz .LBB1159_556
; %bb.550:
	v_mul_lo_u32 v26, v5, s12
	v_mul_lo_u32 v27, v4, s13
	v_mad_u64_u32 v[4:5], s[20:21], v4, s12, 0
	v_add3_u32 v5, v5, v27, v26
	v_mul_lo_u32 v26, v3, s12
	v_mul_lo_u32 v27, v2, s13
	v_mad_u64_u32 v[28:29], s[20:21], v2, s12, 0
	v_add3_u32 v29, v29, v27, v26
	v_lshl_add_u64 v[28:29], v[28:29], 1, s[14:15]
	v_lshl_add_u64 v[26:27], v[4:5], 1, s[14:15]
	global_load_ushort v4, v[28:29], off
	global_load_ushort v5, v[26:27], off
	s_waitcnt vmcnt(1)
	v_lshlrev_b32_e32 v4, 16, v4
	s_waitcnt vmcnt(0)
	v_lshlrev_b32_e32 v5, 16, v5
	v_cmp_eq_f32_e32 vcc, v5, v4
	v_mov_b64_e32 v[4:5], 1
	s_and_saveexec_b64 s[20:21], vcc
	s_cbranch_execz .LBB1159_558
; %bb.551:
	s_add_u32 s22, s12, -1
	v_lshl_add_u64 v[4:5], v[28:29], 0, 2
	v_lshl_add_u64 v[26:27], v[26:27], 0, 2
	s_addc_u32 s23, s13, -1
	s_mov_b64 s[24:25], 0
	s_mov_b64 s[28:29], 0
                                        ; implicit-def: $sgpr26_sgpr27
	s_branch .LBB1159_554
.LBB1159_552:                           ;   in Loop: Header=BB1159_554 Depth=1
	global_load_ushort v28, v[4:5], off
	global_load_ushort v29, v[26:27], off
	s_add_u32 s28, s28, 1
	s_addc_u32 s29, s29, 0
	s_andn2_b64 s[26:27], s[26:27], exec
	v_lshl_add_u64 v[4:5], v[4:5], 0, 2
	v_lshl_add_u64 v[26:27], v[26:27], 0, 2
	s_waitcnt vmcnt(1)
	v_lshlrev_b32_e32 v28, 16, v28
	s_waitcnt vmcnt(0)
	v_lshlrev_b32_e32 v29, 16, v29
	v_cmp_neq_f32_e32 vcc, v29, v28
	s_and_b64 s[30:31], vcc, exec
	s_or_b64 s[26:27], s[26:27], s[30:31]
.LBB1159_553:                           ;   in Loop: Header=BB1159_554 Depth=1
	s_and_b64 s[30:31], exec, s[26:27]
	s_or_b64 s[24:25], s[30:31], s[24:25]
	v_mov_b64_e32 v[28:29], s[28:29]
	s_andn2_b64 exec, exec, s[24:25]
	s_cbranch_execz .LBB1159_557
.LBB1159_554:                           ; =>This Inner Loop Header: Depth=1
	s_or_b64 s[26:27], s[26:27], exec
	s_cmp_eq_u64 s[22:23], s[28:29]
	s_cbranch_scc0 .LBB1159_552
; %bb.555:                              ;   in Loop: Header=BB1159_554 Depth=1
                                        ; implicit-def: $vgpr4_vgpr5
                                        ; implicit-def: $vgpr26_vgpr27
	s_mov_b64 s[28:29], s[12:13]
	s_branch .LBB1159_553
.LBB1159_556:
	v_mov_b64_e32 v[4:5], 0
	s_branch .LBB1159_559
.LBB1159_557:
	s_or_b64 exec, exec, s[24:25]
	v_cmp_gt_i64_e32 vcc, s[12:13], v[28:29]
	s_mov_b32 s7, 0
	v_mov_b32_e32 v5, s7
	v_cndmask_b32_e64 v4, 0, 1, vcc
.LBB1159_558:
	s_or_b64 exec, exec, s[20:21]
.LBB1159_559:
	s_or_b64 exec, exec, s[4:5]
	v_cmp_ne_u32_e32 vcc, 0, v0
	v_cmp_gt_u32_e64 s[4:5], s10, v1
	s_and_b64 s[20:21], vcc, s[4:5]
	s_waitcnt lgkmcnt(0)
	; wave barrier
	s_waitcnt lgkmcnt(0)
                                        ; implicit-def: $sgpr24_sgpr25
	s_and_saveexec_b64 s[4:5], s[20:21]
	s_cbranch_execz .LBB1159_571
; %bb.560:
	s_and_b64 vcc, exec, s[2:3]
	s_cbranch_vccnz .LBB1159_567
; %bb.561:
	v_mul_lo_u32 v1, v3, s12
	v_add_u32_e32 v3, -8, v48
	ds_read_b64 v[26:27], v3
	v_mul_lo_u32 v28, v2, s13
	v_mad_u64_u32 v[2:3], s[2:3], v2, s12, 0
	v_add3_u32 v3, v3, v28, v1
	s_waitcnt lgkmcnt(0)
	v_mul_lo_u32 v1, v27, s12
	v_mul_lo_u32 v27, v26, s13
	v_mad_u64_u32 v[28:29], s[2:3], v26, s12, 0
	v_add3_u32 v29, v29, v27, v1
	v_lshl_add_u64 v[26:27], v[2:3], 1, s[14:15]
	v_lshl_add_u64 v[2:3], v[28:29], 1, s[14:15]
	global_load_ushort v1, v[26:27], off
	global_load_ushort v28, v[2:3], off
	s_mov_b64 s[14:15], -1
	s_waitcnt vmcnt(1)
	v_lshlrev_b32_e32 v1, 16, v1
	s_waitcnt vmcnt(0)
	v_lshlrev_b32_e32 v28, 16, v28
	v_cmp_eq_f32_e32 vcc, v1, v28
	s_and_saveexec_b64 s[2:3], vcc
	s_cbranch_execz .LBB1159_569
; %bb.562:
	s_add_u32 s14, s12, -1
	v_lshl_add_u64 v[2:3], v[2:3], 0, 2
	v_lshl_add_u64 v[26:27], v[26:27], 0, 2
	s_addc_u32 s15, s13, -1
	s_mov_b64 s[20:21], 0
	s_mov_b64 s[24:25], 0
                                        ; implicit-def: $sgpr22_sgpr23
	s_branch .LBB1159_565
.LBB1159_563:                           ;   in Loop: Header=BB1159_565 Depth=1
	global_load_ushort v1, v[2:3], off
	global_load_ushort v28, v[26:27], off
	s_add_u32 s24, s24, 1
	s_addc_u32 s25, s25, 0
	s_andn2_b64 s[22:23], s[22:23], exec
	v_lshl_add_u64 v[2:3], v[2:3], 0, 2
	v_lshl_add_u64 v[26:27], v[26:27], 0, 2
	s_waitcnt vmcnt(1)
	v_lshlrev_b32_e32 v1, 16, v1
	s_waitcnt vmcnt(0)
	v_lshlrev_b32_e32 v28, 16, v28
	v_cmp_neq_f32_e32 vcc, v28, v1
	s_and_b64 s[26:27], vcc, exec
	s_or_b64 s[22:23], s[22:23], s[26:27]
.LBB1159_564:                           ;   in Loop: Header=BB1159_565 Depth=1
	s_and_b64 s[26:27], exec, s[22:23]
	s_or_b64 s[20:21], s[26:27], s[20:21]
	v_mov_b64_e32 v[28:29], s[24:25]
	s_andn2_b64 exec, exec, s[20:21]
	s_cbranch_execz .LBB1159_568
.LBB1159_565:                           ; =>This Inner Loop Header: Depth=1
	s_or_b64 s[22:23], s[22:23], exec
	s_cmp_eq_u64 s[14:15], s[24:25]
	s_cbranch_scc0 .LBB1159_563
; %bb.566:                              ;   in Loop: Header=BB1159_565 Depth=1
                                        ; implicit-def: $vgpr2_vgpr3
                                        ; implicit-def: $vgpr26_vgpr27
	s_mov_b64 s[24:25], s[12:13]
	s_branch .LBB1159_564
.LBB1159_567:
	s_mov_b64 s[14:15], 0
	s_branch .LBB1159_570
.LBB1159_568:
	s_or_b64 exec, exec, s[20:21]
	v_cmp_gt_i64_e32 vcc, s[12:13], v[28:29]
	s_orn2_b64 s[14:15], vcc, exec
.LBB1159_569:
	s_or_b64 exec, exec, s[2:3]
.LBB1159_570:
	s_and_b64 s[24:25], s[14:15], exec
	s_or_b64 s[18:19], s[18:19], exec
.LBB1159_571:
	s_or_b64 exec, exec, s[4:5]
	v_mov_b64_e32 v[50:51], v[44:45]
	v_mov_b64_e32 v[52:53], v[24:25]
	v_mov_b64_e32 v[46:47], v[22:23]
	v_mov_b64_e32 v[70:71], v[4:5]
	v_mov_b64_e32 v[68:69], v[6:7]
	v_mov_b64_e32 v[66:67], v[8:9]
	v_mov_b64_e32 v[64:65], v[10:11]
	v_mov_b64_e32 v[62:63], v[12:13]
	v_mov_b64_e32 v[60:61], v[14:15]
	v_mov_b64_e32 v[58:59], v[16:17]
	v_mov_b64_e32 v[56:57], v[18:19]
	v_mov_b64_e32 v[54:55], v[20:21]
	v_mov_b64_e32 v[72:73], v[24:25]
	v_mov_b64_e32 v[26:27], v[22:23]
	v_mov_b64_e32 v[82:83], v[4:5]
	v_mov_b64_e32 v[74:75], v[6:7]
	v_mov_b64_e32 v[42:43], v[8:9]
	v_mov_b64_e32 v[76:77], v[10:11]
	v_mov_b64_e32 v[38:39], v[12:13]
	v_mov_b64_e32 v[78:79], v[14:15]
	v_mov_b64_e32 v[34:35], v[16:17]
	v_mov_b64_e32 v[80:81], v[18:19]
	v_mov_b64_e32 v[30:31], v[20:21]
.LBB1159_572:
	s_and_saveexec_b64 s[2:3], s[18:19]
	s_cbranch_execz .LBB1159_574
; %bb.573:
	s_mov_b32 s4, 0
	v_cndmask_b32_e64 v2, 0, 1, s[24:25]
	v_mov_b32_e32 v3, s4
	v_mov_b64_e32 v[30:31], v[54:55]
	v_mov_b64_e32 v[80:81], v[56:57]
	;; [unrolled: 1-line block ×9, first 2 shown]
	s_waitcnt lgkmcnt(0)
	v_mov_b64_e32 v[26:27], v[46:47]
	v_mov_b64_e32 v[72:73], v[52:53]
.LBB1159_574:
	s_or_b64 exec, exec, s[2:3]
	s_add_u32 s4, s8, s16
	s_addc_u32 s5, s9, s17
	s_and_b64 vcc, exec, s[0:1]
	s_waitcnt lgkmcnt(0)
	; wave barrier
	s_waitcnt lgkmcnt(0)
	s_cbranch_vccz .LBB1159_600
; %bb.575:
	s_movk_i32 s2, 0x68
	v_mul_u32_u24_e32 v1, 0x68, v0
	v_mov_b32_e32 v4, v82
	v_mov_b32_e32 v5, v83
	v_mul_i32_i24_e32 v28, 0xffffffa0, v0
	ds_write2_b64 v1, v[2:3], v[4:5] offset1:1
	ds_write2_b64 v1, v[74:75], v[42:43] offset0:2 offset1:3
	ds_write2_b64 v1, v[76:77], v[38:39] offset0:4 offset1:5
	;; [unrolled: 1-line block ×5, first 2 shown]
	ds_write_b64 v1, v[50:51] offset:96
	v_mad_u32_u24 v4, v0, s2, v28
	s_waitcnt lgkmcnt(0)
	; wave barrier
	s_waitcnt lgkmcnt(0)
	ds_read2st64_b64 v[44:47], v4 offset0:1 offset1:2
	ds_read2st64_b64 v[20:23], v4 offset0:3 offset1:4
	;; [unrolled: 1-line block ×6, first 2 shown]
	s_mov_b32 s7, 0
	s_add_i32 s11, s11, s10
	s_lshl_b64 s[0:1], s[6:7], 3
	s_add_u32 s0, s4, s0
	s_addc_u32 s1, s5, s1
	v_mov_b32_e32 v49, 0
	v_lshl_add_u64 v[24:25], s[0:1], 0, v[48:49]
	v_cmp_gt_u32_e32 vcc, s11, v0
	s_and_saveexec_b64 s[0:1], vcc
	s_cbranch_execz .LBB1159_577
; %bb.576:
	v_add_u32_e32 v1, v1, v28
	ds_read_b64 v[28:29], v1
	s_waitcnt lgkmcnt(0)
	global_store_dwordx2 v[24:25], v[28:29], off
.LBB1159_577:
	s_or_b64 exec, exec, s[0:1]
	v_or_b32_e32 v1, 64, v0
	v_cmp_gt_u32_e32 vcc, s11, v1
	s_and_saveexec_b64 s[0:1], vcc
	s_cbranch_execz .LBB1159_579
; %bb.578:
	s_waitcnt lgkmcnt(5)
	global_store_dwordx2 v[24:25], v[44:45], off offset:512
.LBB1159_579:
	s_or_b64 exec, exec, s[0:1]
	v_or_b32_e32 v1, 0x80, v0
	v_cmp_gt_u32_e32 vcc, s11, v1
	s_and_saveexec_b64 s[0:1], vcc
	s_cbranch_execz .LBB1159_581
; %bb.580:
	s_waitcnt lgkmcnt(5)
	global_store_dwordx2 v[24:25], v[46:47], off offset:1024
.LBB1159_581:
	;; [unrolled: 9-line block ×7, first 2 shown]
	s_or_b64 exec, exec, s[0:1]
	v_or_b32_e32 v1, 0x200, v0
	v_cmp_gt_u32_e32 vcc, s11, v1
	s_and_saveexec_b64 s[0:1], vcc
	s_cbranch_execz .LBB1159_593
; %bb.592:
	s_waitcnt lgkmcnt(2)
	v_add_co_u32_e32 v12, vcc, 0x1000, v24
	s_nop 1
	v_addc_co_u32_e32 v13, vcc, 0, v25, vcc
	global_store_dwordx2 v[12:13], v[14:15], off
.LBB1159_593:
	s_or_b64 exec, exec, s[0:1]
	v_or_b32_e32 v1, 0x240, v0
	v_cmp_gt_u32_e32 vcc, s11, v1
	s_and_saveexec_b64 s[0:1], vcc
	s_cbranch_execz .LBB1159_595
; %bb.594:
	s_waitcnt lgkmcnt(2)
	v_add_co_u32_e32 v12, vcc, 0x1000, v24
	s_nop 1
	v_addc_co_u32_e32 v13, vcc, 0, v25, vcc
	s_waitcnt lgkmcnt(1)
	global_store_dwordx2 v[12:13], v[8:9], off offset:512
.LBB1159_595:
	s_or_b64 exec, exec, s[0:1]
	v_or_b32_e32 v1, 0x280, v0
	v_cmp_gt_u32_e32 vcc, s11, v1
	s_and_saveexec_b64 s[0:1], vcc
	s_cbranch_execz .LBB1159_597
; %bb.596:
	s_waitcnt lgkmcnt(1)
	v_add_co_u32_e32 v8, vcc, 0x1000, v24
	s_nop 1
	v_addc_co_u32_e32 v9, vcc, 0, v25, vcc
	global_store_dwordx2 v[8:9], v[10:11], off offset:1024
.LBB1159_597:
	s_or_b64 exec, exec, s[0:1]
	v_or_b32_e32 v1, 0x2c0, v0
	v_cmp_gt_u32_e32 vcc, s11, v1
	s_and_saveexec_b64 s[0:1], vcc
	s_cbranch_execz .LBB1159_599
; %bb.598:
	s_waitcnt lgkmcnt(1)
	v_add_co_u32_e32 v8, vcc, 0x1000, v24
	s_nop 1
	v_addc_co_u32_e32 v9, vcc, 0, v25, vcc
	s_waitcnt lgkmcnt(0)
	global_store_dwordx2 v[8:9], v[4:5], off offset:1536
.LBB1159_599:
	s_or_b64 exec, exec, s[0:1]
	v_or_b32_e32 v1, 0x300, v0
	v_cmp_gt_u32_e64 s[0:1], s11, v1
	s_branch .LBB1159_602
.LBB1159_600:
	s_mov_b64 s[0:1], 0
                                        ; implicit-def: $vgpr6_vgpr7
                                        ; implicit-def: $vgpr24_vgpr25
	s_cbranch_execz .LBB1159_602
; %bb.601:
	s_mov_b32 s7, 0
	s_lshl_b64 s[2:3], s[6:7], 3
	v_mul_u32_u24_e32 v1, 0x68, v0
	s_add_u32 s2, s4, s2
	s_movk_i32 s4, 0x68
	ds_write2_b64 v1, v[2:3], v[82:83] offset1:1
	ds_write2_b64 v1, v[74:75], v[42:43] offset0:2 offset1:3
	ds_write2_b64 v1, v[76:77], v[38:39] offset0:4 offset1:5
	;; [unrolled: 1-line block ×5, first 2 shown]
	ds_write_b64 v1, v[50:51] offset:96
	v_mul_i32_i24_e32 v1, 0xffffffa0, v0
	s_waitcnt lgkmcnt(7)
	v_mad_u32_u24 v4, v0, s4, v1
	s_addc_u32 s3, s5, s3
	s_waitcnt lgkmcnt(0)
	; wave barrier
	s_waitcnt lgkmcnt(0)
	ds_read2st64_b64 v[0:3], v4 offset1:1
	ds_read2st64_b64 v[8:11], v4 offset0:2 offset1:3
	ds_read2st64_b64 v[12:15], v4 offset0:4 offset1:5
	;; [unrolled: 1-line block ×5, first 2 shown]
	ds_read_b64 v[6:7], v4 offset:6144
	v_mov_b32_e32 v49, 0
	v_lshl_add_u64 v[24:25], s[2:3], 0, v[48:49]
	s_waitcnt lgkmcnt(6)
	global_store_dwordx2 v48, v[0:1], s[2:3]
	global_store_dwordx2 v48, v[2:3], s[2:3] offset:512
	s_waitcnt lgkmcnt(5)
	global_store_dwordx2 v48, v[8:9], s[2:3] offset:1024
	global_store_dwordx2 v48, v[10:11], s[2:3] offset:1536
	s_waitcnt lgkmcnt(4)
	global_store_dwordx2 v48, v[12:13], s[2:3] offset:2048
	;; [unrolled: 3-line block ×3, first 2 shown]
	global_store_dwordx2 v48, v[18:19], s[2:3] offset:3584
	v_add_co_u32_e32 v0, vcc, 0x1000, v24
	s_or_b64 s[0:1], s[0:1], exec
	s_nop 0
	v_addc_co_u32_e32 v1, vcc, 0, v25, vcc
	s_waitcnt lgkmcnt(2)
	global_store_dwordx2 v[0:1], v[20:21], off
	global_store_dwordx2 v[0:1], v[22:23], off offset:512
	s_waitcnt lgkmcnt(1)
	global_store_dwordx2 v[0:1], v[26:27], off offset:1024
	global_store_dwordx2 v[0:1], v[28:29], off offset:1536
.LBB1159_602:
	s_and_saveexec_b64 s[2:3], s[0:1]
	s_cbranch_execnz .LBB1159_604
; %bb.603:
	s_endpgm
.LBB1159_604:
	v_add_co_u32_e32 v0, vcc, 0x1000, v24
	s_nop 1
	v_addc_co_u32_e32 v1, vcc, 0, v25, vcc
	s_waitcnt lgkmcnt(0)
	global_store_dwordx2 v[0:1], v[6:7], off offset:2048
	s_endpgm
	.section	.rodata,"a",@progbits
	.p2align	6, 0x0
	.amdhsa_kernel _ZN7rocprim17ROCPRIM_400000_NS6detail17trampoline_kernelINS0_14default_configENS1_35adjacent_difference_config_selectorILb0ElEEZNS1_24adjacent_difference_implIS3_Lb0ELb0EPlS7_ZN2at6native12_GLOBAL__N_124unique_dim_cuda_templateIN3c108BFloat16EEESt5tupleIJNS8_6TensorESF_SF_EERKSF_lbbbEUlllE1_EE10hipError_tPvRmT2_T3_mT4_P12ihipStream_tbEUlT_E_NS1_11comp_targetILNS1_3genE5ELNS1_11target_archE942ELNS1_3gpuE9ELNS1_3repE0EEENS1_30default_config_static_selectorELNS0_4arch9wavefront6targetE1EEEvT1_
		.amdhsa_group_segment_fixed_size 6656
		.amdhsa_private_segment_fixed_size 0
		.amdhsa_kernarg_size 64
		.amdhsa_user_sgpr_count 2
		.amdhsa_user_sgpr_dispatch_ptr 0
		.amdhsa_user_sgpr_queue_ptr 0
		.amdhsa_user_sgpr_kernarg_segment_ptr 1
		.amdhsa_user_sgpr_dispatch_id 0
		.amdhsa_user_sgpr_kernarg_preload_length 0
		.amdhsa_user_sgpr_kernarg_preload_offset 0
		.amdhsa_user_sgpr_private_segment_size 0
		.amdhsa_uses_dynamic_stack 0
		.amdhsa_enable_private_segment 0
		.amdhsa_system_sgpr_workgroup_id_x 1
		.amdhsa_system_sgpr_workgroup_id_y 0
		.amdhsa_system_sgpr_workgroup_id_z 0
		.amdhsa_system_sgpr_workgroup_info 0
		.amdhsa_system_vgpr_workitem_id 0
		.amdhsa_next_free_vgpr 84
		.amdhsa_next_free_sgpr 38
		.amdhsa_accum_offset 84
		.amdhsa_reserve_vcc 1
		.amdhsa_float_round_mode_32 0
		.amdhsa_float_round_mode_16_64 0
		.amdhsa_float_denorm_mode_32 3
		.amdhsa_float_denorm_mode_16_64 3
		.amdhsa_dx10_clamp 1
		.amdhsa_ieee_mode 1
		.amdhsa_fp16_overflow 0
		.amdhsa_tg_split 0
		.amdhsa_exception_fp_ieee_invalid_op 0
		.amdhsa_exception_fp_denorm_src 0
		.amdhsa_exception_fp_ieee_div_zero 0
		.amdhsa_exception_fp_ieee_overflow 0
		.amdhsa_exception_fp_ieee_underflow 0
		.amdhsa_exception_fp_ieee_inexact 0
		.amdhsa_exception_int_div_zero 0
	.end_amdhsa_kernel
	.section	.text._ZN7rocprim17ROCPRIM_400000_NS6detail17trampoline_kernelINS0_14default_configENS1_35adjacent_difference_config_selectorILb0ElEEZNS1_24adjacent_difference_implIS3_Lb0ELb0EPlS7_ZN2at6native12_GLOBAL__N_124unique_dim_cuda_templateIN3c108BFloat16EEESt5tupleIJNS8_6TensorESF_SF_EERKSF_lbbbEUlllE1_EE10hipError_tPvRmT2_T3_mT4_P12ihipStream_tbEUlT_E_NS1_11comp_targetILNS1_3genE5ELNS1_11target_archE942ELNS1_3gpuE9ELNS1_3repE0EEENS1_30default_config_static_selectorELNS0_4arch9wavefront6targetE1EEEvT1_,"axG",@progbits,_ZN7rocprim17ROCPRIM_400000_NS6detail17trampoline_kernelINS0_14default_configENS1_35adjacent_difference_config_selectorILb0ElEEZNS1_24adjacent_difference_implIS3_Lb0ELb0EPlS7_ZN2at6native12_GLOBAL__N_124unique_dim_cuda_templateIN3c108BFloat16EEESt5tupleIJNS8_6TensorESF_SF_EERKSF_lbbbEUlllE1_EE10hipError_tPvRmT2_T3_mT4_P12ihipStream_tbEUlT_E_NS1_11comp_targetILNS1_3genE5ELNS1_11target_archE942ELNS1_3gpuE9ELNS1_3repE0EEENS1_30default_config_static_selectorELNS0_4arch9wavefront6targetE1EEEvT1_,comdat
.Lfunc_end1159:
	.size	_ZN7rocprim17ROCPRIM_400000_NS6detail17trampoline_kernelINS0_14default_configENS1_35adjacent_difference_config_selectorILb0ElEEZNS1_24adjacent_difference_implIS3_Lb0ELb0EPlS7_ZN2at6native12_GLOBAL__N_124unique_dim_cuda_templateIN3c108BFloat16EEESt5tupleIJNS8_6TensorESF_SF_EERKSF_lbbbEUlllE1_EE10hipError_tPvRmT2_T3_mT4_P12ihipStream_tbEUlT_E_NS1_11comp_targetILNS1_3genE5ELNS1_11target_archE942ELNS1_3gpuE9ELNS1_3repE0EEENS1_30default_config_static_selectorELNS0_4arch9wavefront6targetE1EEEvT1_, .Lfunc_end1159-_ZN7rocprim17ROCPRIM_400000_NS6detail17trampoline_kernelINS0_14default_configENS1_35adjacent_difference_config_selectorILb0ElEEZNS1_24adjacent_difference_implIS3_Lb0ELb0EPlS7_ZN2at6native12_GLOBAL__N_124unique_dim_cuda_templateIN3c108BFloat16EEESt5tupleIJNS8_6TensorESF_SF_EERKSF_lbbbEUlllE1_EE10hipError_tPvRmT2_T3_mT4_P12ihipStream_tbEUlT_E_NS1_11comp_targetILNS1_3genE5ELNS1_11target_archE942ELNS1_3gpuE9ELNS1_3repE0EEENS1_30default_config_static_selectorELNS0_4arch9wavefront6targetE1EEEvT1_
                                        ; -- End function
	.section	.AMDGPU.csdata,"",@progbits
; Kernel info:
; codeLenInByte = 19388
; NumSgprs: 44
; NumVgprs: 84
; NumAgprs: 0
; TotalNumVgprs: 84
; ScratchSize: 0
; MemoryBound: 0
; FloatMode: 240
; IeeeMode: 1
; LDSByteSize: 6656 bytes/workgroup (compile time only)
; SGPRBlocks: 5
; VGPRBlocks: 10
; NumSGPRsForWavesPerEU: 44
; NumVGPRsForWavesPerEU: 84
; AccumOffset: 84
; Occupancy: 3
; WaveLimiterHint : 1
; COMPUTE_PGM_RSRC2:SCRATCH_EN: 0
; COMPUTE_PGM_RSRC2:USER_SGPR: 2
; COMPUTE_PGM_RSRC2:TRAP_HANDLER: 0
; COMPUTE_PGM_RSRC2:TGID_X_EN: 1
; COMPUTE_PGM_RSRC2:TGID_Y_EN: 0
; COMPUTE_PGM_RSRC2:TGID_Z_EN: 0
; COMPUTE_PGM_RSRC2:TIDIG_COMP_CNT: 0
; COMPUTE_PGM_RSRC3_GFX90A:ACCUM_OFFSET: 20
; COMPUTE_PGM_RSRC3_GFX90A:TG_SPLIT: 0
	.section	.text._ZN7rocprim17ROCPRIM_400000_NS6detail17trampoline_kernelINS0_14default_configENS1_35adjacent_difference_config_selectorILb0ElEEZNS1_24adjacent_difference_implIS3_Lb0ELb0EPlS7_ZN2at6native12_GLOBAL__N_124unique_dim_cuda_templateIN3c108BFloat16EEESt5tupleIJNS8_6TensorESF_SF_EERKSF_lbbbEUlllE1_EE10hipError_tPvRmT2_T3_mT4_P12ihipStream_tbEUlT_E_NS1_11comp_targetILNS1_3genE4ELNS1_11target_archE910ELNS1_3gpuE8ELNS1_3repE0EEENS1_30default_config_static_selectorELNS0_4arch9wavefront6targetE1EEEvT1_,"axG",@progbits,_ZN7rocprim17ROCPRIM_400000_NS6detail17trampoline_kernelINS0_14default_configENS1_35adjacent_difference_config_selectorILb0ElEEZNS1_24adjacent_difference_implIS3_Lb0ELb0EPlS7_ZN2at6native12_GLOBAL__N_124unique_dim_cuda_templateIN3c108BFloat16EEESt5tupleIJNS8_6TensorESF_SF_EERKSF_lbbbEUlllE1_EE10hipError_tPvRmT2_T3_mT4_P12ihipStream_tbEUlT_E_NS1_11comp_targetILNS1_3genE4ELNS1_11target_archE910ELNS1_3gpuE8ELNS1_3repE0EEENS1_30default_config_static_selectorELNS0_4arch9wavefront6targetE1EEEvT1_,comdat
	.globl	_ZN7rocprim17ROCPRIM_400000_NS6detail17trampoline_kernelINS0_14default_configENS1_35adjacent_difference_config_selectorILb0ElEEZNS1_24adjacent_difference_implIS3_Lb0ELb0EPlS7_ZN2at6native12_GLOBAL__N_124unique_dim_cuda_templateIN3c108BFloat16EEESt5tupleIJNS8_6TensorESF_SF_EERKSF_lbbbEUlllE1_EE10hipError_tPvRmT2_T3_mT4_P12ihipStream_tbEUlT_E_NS1_11comp_targetILNS1_3genE4ELNS1_11target_archE910ELNS1_3gpuE8ELNS1_3repE0EEENS1_30default_config_static_selectorELNS0_4arch9wavefront6targetE1EEEvT1_ ; -- Begin function _ZN7rocprim17ROCPRIM_400000_NS6detail17trampoline_kernelINS0_14default_configENS1_35adjacent_difference_config_selectorILb0ElEEZNS1_24adjacent_difference_implIS3_Lb0ELb0EPlS7_ZN2at6native12_GLOBAL__N_124unique_dim_cuda_templateIN3c108BFloat16EEESt5tupleIJNS8_6TensorESF_SF_EERKSF_lbbbEUlllE1_EE10hipError_tPvRmT2_T3_mT4_P12ihipStream_tbEUlT_E_NS1_11comp_targetILNS1_3genE4ELNS1_11target_archE910ELNS1_3gpuE8ELNS1_3repE0EEENS1_30default_config_static_selectorELNS0_4arch9wavefront6targetE1EEEvT1_
	.p2align	8
	.type	_ZN7rocprim17ROCPRIM_400000_NS6detail17trampoline_kernelINS0_14default_configENS1_35adjacent_difference_config_selectorILb0ElEEZNS1_24adjacent_difference_implIS3_Lb0ELb0EPlS7_ZN2at6native12_GLOBAL__N_124unique_dim_cuda_templateIN3c108BFloat16EEESt5tupleIJNS8_6TensorESF_SF_EERKSF_lbbbEUlllE1_EE10hipError_tPvRmT2_T3_mT4_P12ihipStream_tbEUlT_E_NS1_11comp_targetILNS1_3genE4ELNS1_11target_archE910ELNS1_3gpuE8ELNS1_3repE0EEENS1_30default_config_static_selectorELNS0_4arch9wavefront6targetE1EEEvT1_,@function
_ZN7rocprim17ROCPRIM_400000_NS6detail17trampoline_kernelINS0_14default_configENS1_35adjacent_difference_config_selectorILb0ElEEZNS1_24adjacent_difference_implIS3_Lb0ELb0EPlS7_ZN2at6native12_GLOBAL__N_124unique_dim_cuda_templateIN3c108BFloat16EEESt5tupleIJNS8_6TensorESF_SF_EERKSF_lbbbEUlllE1_EE10hipError_tPvRmT2_T3_mT4_P12ihipStream_tbEUlT_E_NS1_11comp_targetILNS1_3genE4ELNS1_11target_archE910ELNS1_3gpuE8ELNS1_3repE0EEENS1_30default_config_static_selectorELNS0_4arch9wavefront6targetE1EEEvT1_: ; @_ZN7rocprim17ROCPRIM_400000_NS6detail17trampoline_kernelINS0_14default_configENS1_35adjacent_difference_config_selectorILb0ElEEZNS1_24adjacent_difference_implIS3_Lb0ELb0EPlS7_ZN2at6native12_GLOBAL__N_124unique_dim_cuda_templateIN3c108BFloat16EEESt5tupleIJNS8_6TensorESF_SF_EERKSF_lbbbEUlllE1_EE10hipError_tPvRmT2_T3_mT4_P12ihipStream_tbEUlT_E_NS1_11comp_targetILNS1_3genE4ELNS1_11target_archE910ELNS1_3gpuE8ELNS1_3repE0EEENS1_30default_config_static_selectorELNS0_4arch9wavefront6targetE1EEEvT1_
; %bb.0:
	.section	.rodata,"a",@progbits
	.p2align	6, 0x0
	.amdhsa_kernel _ZN7rocprim17ROCPRIM_400000_NS6detail17trampoline_kernelINS0_14default_configENS1_35adjacent_difference_config_selectorILb0ElEEZNS1_24adjacent_difference_implIS3_Lb0ELb0EPlS7_ZN2at6native12_GLOBAL__N_124unique_dim_cuda_templateIN3c108BFloat16EEESt5tupleIJNS8_6TensorESF_SF_EERKSF_lbbbEUlllE1_EE10hipError_tPvRmT2_T3_mT4_P12ihipStream_tbEUlT_E_NS1_11comp_targetILNS1_3genE4ELNS1_11target_archE910ELNS1_3gpuE8ELNS1_3repE0EEENS1_30default_config_static_selectorELNS0_4arch9wavefront6targetE1EEEvT1_
		.amdhsa_group_segment_fixed_size 0
		.amdhsa_private_segment_fixed_size 0
		.amdhsa_kernarg_size 64
		.amdhsa_user_sgpr_count 2
		.amdhsa_user_sgpr_dispatch_ptr 0
		.amdhsa_user_sgpr_queue_ptr 0
		.amdhsa_user_sgpr_kernarg_segment_ptr 1
		.amdhsa_user_sgpr_dispatch_id 0
		.amdhsa_user_sgpr_kernarg_preload_length 0
		.amdhsa_user_sgpr_kernarg_preload_offset 0
		.amdhsa_user_sgpr_private_segment_size 0
		.amdhsa_uses_dynamic_stack 0
		.amdhsa_enable_private_segment 0
		.amdhsa_system_sgpr_workgroup_id_x 1
		.amdhsa_system_sgpr_workgroup_id_y 0
		.amdhsa_system_sgpr_workgroup_id_z 0
		.amdhsa_system_sgpr_workgroup_info 0
		.amdhsa_system_vgpr_workitem_id 0
		.amdhsa_next_free_vgpr 1
		.amdhsa_next_free_sgpr 0
		.amdhsa_accum_offset 4
		.amdhsa_reserve_vcc 0
		.amdhsa_float_round_mode_32 0
		.amdhsa_float_round_mode_16_64 0
		.amdhsa_float_denorm_mode_32 3
		.amdhsa_float_denorm_mode_16_64 3
		.amdhsa_dx10_clamp 1
		.amdhsa_ieee_mode 1
		.amdhsa_fp16_overflow 0
		.amdhsa_tg_split 0
		.amdhsa_exception_fp_ieee_invalid_op 0
		.amdhsa_exception_fp_denorm_src 0
		.amdhsa_exception_fp_ieee_div_zero 0
		.amdhsa_exception_fp_ieee_overflow 0
		.amdhsa_exception_fp_ieee_underflow 0
		.amdhsa_exception_fp_ieee_inexact 0
		.amdhsa_exception_int_div_zero 0
	.end_amdhsa_kernel
	.section	.text._ZN7rocprim17ROCPRIM_400000_NS6detail17trampoline_kernelINS0_14default_configENS1_35adjacent_difference_config_selectorILb0ElEEZNS1_24adjacent_difference_implIS3_Lb0ELb0EPlS7_ZN2at6native12_GLOBAL__N_124unique_dim_cuda_templateIN3c108BFloat16EEESt5tupleIJNS8_6TensorESF_SF_EERKSF_lbbbEUlllE1_EE10hipError_tPvRmT2_T3_mT4_P12ihipStream_tbEUlT_E_NS1_11comp_targetILNS1_3genE4ELNS1_11target_archE910ELNS1_3gpuE8ELNS1_3repE0EEENS1_30default_config_static_selectorELNS0_4arch9wavefront6targetE1EEEvT1_,"axG",@progbits,_ZN7rocprim17ROCPRIM_400000_NS6detail17trampoline_kernelINS0_14default_configENS1_35adjacent_difference_config_selectorILb0ElEEZNS1_24adjacent_difference_implIS3_Lb0ELb0EPlS7_ZN2at6native12_GLOBAL__N_124unique_dim_cuda_templateIN3c108BFloat16EEESt5tupleIJNS8_6TensorESF_SF_EERKSF_lbbbEUlllE1_EE10hipError_tPvRmT2_T3_mT4_P12ihipStream_tbEUlT_E_NS1_11comp_targetILNS1_3genE4ELNS1_11target_archE910ELNS1_3gpuE8ELNS1_3repE0EEENS1_30default_config_static_selectorELNS0_4arch9wavefront6targetE1EEEvT1_,comdat
.Lfunc_end1160:
	.size	_ZN7rocprim17ROCPRIM_400000_NS6detail17trampoline_kernelINS0_14default_configENS1_35adjacent_difference_config_selectorILb0ElEEZNS1_24adjacent_difference_implIS3_Lb0ELb0EPlS7_ZN2at6native12_GLOBAL__N_124unique_dim_cuda_templateIN3c108BFloat16EEESt5tupleIJNS8_6TensorESF_SF_EERKSF_lbbbEUlllE1_EE10hipError_tPvRmT2_T3_mT4_P12ihipStream_tbEUlT_E_NS1_11comp_targetILNS1_3genE4ELNS1_11target_archE910ELNS1_3gpuE8ELNS1_3repE0EEENS1_30default_config_static_selectorELNS0_4arch9wavefront6targetE1EEEvT1_, .Lfunc_end1160-_ZN7rocprim17ROCPRIM_400000_NS6detail17trampoline_kernelINS0_14default_configENS1_35adjacent_difference_config_selectorILb0ElEEZNS1_24adjacent_difference_implIS3_Lb0ELb0EPlS7_ZN2at6native12_GLOBAL__N_124unique_dim_cuda_templateIN3c108BFloat16EEESt5tupleIJNS8_6TensorESF_SF_EERKSF_lbbbEUlllE1_EE10hipError_tPvRmT2_T3_mT4_P12ihipStream_tbEUlT_E_NS1_11comp_targetILNS1_3genE4ELNS1_11target_archE910ELNS1_3gpuE8ELNS1_3repE0EEENS1_30default_config_static_selectorELNS0_4arch9wavefront6targetE1EEEvT1_
                                        ; -- End function
	.section	.AMDGPU.csdata,"",@progbits
; Kernel info:
; codeLenInByte = 0
; NumSgprs: 6
; NumVgprs: 0
; NumAgprs: 0
; TotalNumVgprs: 0
; ScratchSize: 0
; MemoryBound: 0
; FloatMode: 240
; IeeeMode: 1
; LDSByteSize: 0 bytes/workgroup (compile time only)
; SGPRBlocks: 0
; VGPRBlocks: 0
; NumSGPRsForWavesPerEU: 6
; NumVGPRsForWavesPerEU: 1
; AccumOffset: 4
; Occupancy: 8
; WaveLimiterHint : 0
; COMPUTE_PGM_RSRC2:SCRATCH_EN: 0
; COMPUTE_PGM_RSRC2:USER_SGPR: 2
; COMPUTE_PGM_RSRC2:TRAP_HANDLER: 0
; COMPUTE_PGM_RSRC2:TGID_X_EN: 1
; COMPUTE_PGM_RSRC2:TGID_Y_EN: 0
; COMPUTE_PGM_RSRC2:TGID_Z_EN: 0
; COMPUTE_PGM_RSRC2:TIDIG_COMP_CNT: 0
; COMPUTE_PGM_RSRC3_GFX90A:ACCUM_OFFSET: 0
; COMPUTE_PGM_RSRC3_GFX90A:TG_SPLIT: 0
	.section	.text._ZN7rocprim17ROCPRIM_400000_NS6detail17trampoline_kernelINS0_14default_configENS1_35adjacent_difference_config_selectorILb0ElEEZNS1_24adjacent_difference_implIS3_Lb0ELb0EPlS7_ZN2at6native12_GLOBAL__N_124unique_dim_cuda_templateIN3c108BFloat16EEESt5tupleIJNS8_6TensorESF_SF_EERKSF_lbbbEUlllE1_EE10hipError_tPvRmT2_T3_mT4_P12ihipStream_tbEUlT_E_NS1_11comp_targetILNS1_3genE3ELNS1_11target_archE908ELNS1_3gpuE7ELNS1_3repE0EEENS1_30default_config_static_selectorELNS0_4arch9wavefront6targetE1EEEvT1_,"axG",@progbits,_ZN7rocprim17ROCPRIM_400000_NS6detail17trampoline_kernelINS0_14default_configENS1_35adjacent_difference_config_selectorILb0ElEEZNS1_24adjacent_difference_implIS3_Lb0ELb0EPlS7_ZN2at6native12_GLOBAL__N_124unique_dim_cuda_templateIN3c108BFloat16EEESt5tupleIJNS8_6TensorESF_SF_EERKSF_lbbbEUlllE1_EE10hipError_tPvRmT2_T3_mT4_P12ihipStream_tbEUlT_E_NS1_11comp_targetILNS1_3genE3ELNS1_11target_archE908ELNS1_3gpuE7ELNS1_3repE0EEENS1_30default_config_static_selectorELNS0_4arch9wavefront6targetE1EEEvT1_,comdat
	.globl	_ZN7rocprim17ROCPRIM_400000_NS6detail17trampoline_kernelINS0_14default_configENS1_35adjacent_difference_config_selectorILb0ElEEZNS1_24adjacent_difference_implIS3_Lb0ELb0EPlS7_ZN2at6native12_GLOBAL__N_124unique_dim_cuda_templateIN3c108BFloat16EEESt5tupleIJNS8_6TensorESF_SF_EERKSF_lbbbEUlllE1_EE10hipError_tPvRmT2_T3_mT4_P12ihipStream_tbEUlT_E_NS1_11comp_targetILNS1_3genE3ELNS1_11target_archE908ELNS1_3gpuE7ELNS1_3repE0EEENS1_30default_config_static_selectorELNS0_4arch9wavefront6targetE1EEEvT1_ ; -- Begin function _ZN7rocprim17ROCPRIM_400000_NS6detail17trampoline_kernelINS0_14default_configENS1_35adjacent_difference_config_selectorILb0ElEEZNS1_24adjacent_difference_implIS3_Lb0ELb0EPlS7_ZN2at6native12_GLOBAL__N_124unique_dim_cuda_templateIN3c108BFloat16EEESt5tupleIJNS8_6TensorESF_SF_EERKSF_lbbbEUlllE1_EE10hipError_tPvRmT2_T3_mT4_P12ihipStream_tbEUlT_E_NS1_11comp_targetILNS1_3genE3ELNS1_11target_archE908ELNS1_3gpuE7ELNS1_3repE0EEENS1_30default_config_static_selectorELNS0_4arch9wavefront6targetE1EEEvT1_
	.p2align	8
	.type	_ZN7rocprim17ROCPRIM_400000_NS6detail17trampoline_kernelINS0_14default_configENS1_35adjacent_difference_config_selectorILb0ElEEZNS1_24adjacent_difference_implIS3_Lb0ELb0EPlS7_ZN2at6native12_GLOBAL__N_124unique_dim_cuda_templateIN3c108BFloat16EEESt5tupleIJNS8_6TensorESF_SF_EERKSF_lbbbEUlllE1_EE10hipError_tPvRmT2_T3_mT4_P12ihipStream_tbEUlT_E_NS1_11comp_targetILNS1_3genE3ELNS1_11target_archE908ELNS1_3gpuE7ELNS1_3repE0EEENS1_30default_config_static_selectorELNS0_4arch9wavefront6targetE1EEEvT1_,@function
_ZN7rocprim17ROCPRIM_400000_NS6detail17trampoline_kernelINS0_14default_configENS1_35adjacent_difference_config_selectorILb0ElEEZNS1_24adjacent_difference_implIS3_Lb0ELb0EPlS7_ZN2at6native12_GLOBAL__N_124unique_dim_cuda_templateIN3c108BFloat16EEESt5tupleIJNS8_6TensorESF_SF_EERKSF_lbbbEUlllE1_EE10hipError_tPvRmT2_T3_mT4_P12ihipStream_tbEUlT_E_NS1_11comp_targetILNS1_3genE3ELNS1_11target_archE908ELNS1_3gpuE7ELNS1_3repE0EEENS1_30default_config_static_selectorELNS0_4arch9wavefront6targetE1EEEvT1_: ; @_ZN7rocprim17ROCPRIM_400000_NS6detail17trampoline_kernelINS0_14default_configENS1_35adjacent_difference_config_selectorILb0ElEEZNS1_24adjacent_difference_implIS3_Lb0ELb0EPlS7_ZN2at6native12_GLOBAL__N_124unique_dim_cuda_templateIN3c108BFloat16EEESt5tupleIJNS8_6TensorESF_SF_EERKSF_lbbbEUlllE1_EE10hipError_tPvRmT2_T3_mT4_P12ihipStream_tbEUlT_E_NS1_11comp_targetILNS1_3genE3ELNS1_11target_archE908ELNS1_3gpuE7ELNS1_3repE0EEENS1_30default_config_static_selectorELNS0_4arch9wavefront6targetE1EEEvT1_
; %bb.0:
	.section	.rodata,"a",@progbits
	.p2align	6, 0x0
	.amdhsa_kernel _ZN7rocprim17ROCPRIM_400000_NS6detail17trampoline_kernelINS0_14default_configENS1_35adjacent_difference_config_selectorILb0ElEEZNS1_24adjacent_difference_implIS3_Lb0ELb0EPlS7_ZN2at6native12_GLOBAL__N_124unique_dim_cuda_templateIN3c108BFloat16EEESt5tupleIJNS8_6TensorESF_SF_EERKSF_lbbbEUlllE1_EE10hipError_tPvRmT2_T3_mT4_P12ihipStream_tbEUlT_E_NS1_11comp_targetILNS1_3genE3ELNS1_11target_archE908ELNS1_3gpuE7ELNS1_3repE0EEENS1_30default_config_static_selectorELNS0_4arch9wavefront6targetE1EEEvT1_
		.amdhsa_group_segment_fixed_size 0
		.amdhsa_private_segment_fixed_size 0
		.amdhsa_kernarg_size 64
		.amdhsa_user_sgpr_count 2
		.amdhsa_user_sgpr_dispatch_ptr 0
		.amdhsa_user_sgpr_queue_ptr 0
		.amdhsa_user_sgpr_kernarg_segment_ptr 1
		.amdhsa_user_sgpr_dispatch_id 0
		.amdhsa_user_sgpr_kernarg_preload_length 0
		.amdhsa_user_sgpr_kernarg_preload_offset 0
		.amdhsa_user_sgpr_private_segment_size 0
		.amdhsa_uses_dynamic_stack 0
		.amdhsa_enable_private_segment 0
		.amdhsa_system_sgpr_workgroup_id_x 1
		.amdhsa_system_sgpr_workgroup_id_y 0
		.amdhsa_system_sgpr_workgroup_id_z 0
		.amdhsa_system_sgpr_workgroup_info 0
		.amdhsa_system_vgpr_workitem_id 0
		.amdhsa_next_free_vgpr 1
		.amdhsa_next_free_sgpr 0
		.amdhsa_accum_offset 4
		.amdhsa_reserve_vcc 0
		.amdhsa_float_round_mode_32 0
		.amdhsa_float_round_mode_16_64 0
		.amdhsa_float_denorm_mode_32 3
		.amdhsa_float_denorm_mode_16_64 3
		.amdhsa_dx10_clamp 1
		.amdhsa_ieee_mode 1
		.amdhsa_fp16_overflow 0
		.amdhsa_tg_split 0
		.amdhsa_exception_fp_ieee_invalid_op 0
		.amdhsa_exception_fp_denorm_src 0
		.amdhsa_exception_fp_ieee_div_zero 0
		.amdhsa_exception_fp_ieee_overflow 0
		.amdhsa_exception_fp_ieee_underflow 0
		.amdhsa_exception_fp_ieee_inexact 0
		.amdhsa_exception_int_div_zero 0
	.end_amdhsa_kernel
	.section	.text._ZN7rocprim17ROCPRIM_400000_NS6detail17trampoline_kernelINS0_14default_configENS1_35adjacent_difference_config_selectorILb0ElEEZNS1_24adjacent_difference_implIS3_Lb0ELb0EPlS7_ZN2at6native12_GLOBAL__N_124unique_dim_cuda_templateIN3c108BFloat16EEESt5tupleIJNS8_6TensorESF_SF_EERKSF_lbbbEUlllE1_EE10hipError_tPvRmT2_T3_mT4_P12ihipStream_tbEUlT_E_NS1_11comp_targetILNS1_3genE3ELNS1_11target_archE908ELNS1_3gpuE7ELNS1_3repE0EEENS1_30default_config_static_selectorELNS0_4arch9wavefront6targetE1EEEvT1_,"axG",@progbits,_ZN7rocprim17ROCPRIM_400000_NS6detail17trampoline_kernelINS0_14default_configENS1_35adjacent_difference_config_selectorILb0ElEEZNS1_24adjacent_difference_implIS3_Lb0ELb0EPlS7_ZN2at6native12_GLOBAL__N_124unique_dim_cuda_templateIN3c108BFloat16EEESt5tupleIJNS8_6TensorESF_SF_EERKSF_lbbbEUlllE1_EE10hipError_tPvRmT2_T3_mT4_P12ihipStream_tbEUlT_E_NS1_11comp_targetILNS1_3genE3ELNS1_11target_archE908ELNS1_3gpuE7ELNS1_3repE0EEENS1_30default_config_static_selectorELNS0_4arch9wavefront6targetE1EEEvT1_,comdat
.Lfunc_end1161:
	.size	_ZN7rocprim17ROCPRIM_400000_NS6detail17trampoline_kernelINS0_14default_configENS1_35adjacent_difference_config_selectorILb0ElEEZNS1_24adjacent_difference_implIS3_Lb0ELb0EPlS7_ZN2at6native12_GLOBAL__N_124unique_dim_cuda_templateIN3c108BFloat16EEESt5tupleIJNS8_6TensorESF_SF_EERKSF_lbbbEUlllE1_EE10hipError_tPvRmT2_T3_mT4_P12ihipStream_tbEUlT_E_NS1_11comp_targetILNS1_3genE3ELNS1_11target_archE908ELNS1_3gpuE7ELNS1_3repE0EEENS1_30default_config_static_selectorELNS0_4arch9wavefront6targetE1EEEvT1_, .Lfunc_end1161-_ZN7rocprim17ROCPRIM_400000_NS6detail17trampoline_kernelINS0_14default_configENS1_35adjacent_difference_config_selectorILb0ElEEZNS1_24adjacent_difference_implIS3_Lb0ELb0EPlS7_ZN2at6native12_GLOBAL__N_124unique_dim_cuda_templateIN3c108BFloat16EEESt5tupleIJNS8_6TensorESF_SF_EERKSF_lbbbEUlllE1_EE10hipError_tPvRmT2_T3_mT4_P12ihipStream_tbEUlT_E_NS1_11comp_targetILNS1_3genE3ELNS1_11target_archE908ELNS1_3gpuE7ELNS1_3repE0EEENS1_30default_config_static_selectorELNS0_4arch9wavefront6targetE1EEEvT1_
                                        ; -- End function
	.section	.AMDGPU.csdata,"",@progbits
; Kernel info:
; codeLenInByte = 0
; NumSgprs: 6
; NumVgprs: 0
; NumAgprs: 0
; TotalNumVgprs: 0
; ScratchSize: 0
; MemoryBound: 0
; FloatMode: 240
; IeeeMode: 1
; LDSByteSize: 0 bytes/workgroup (compile time only)
; SGPRBlocks: 0
; VGPRBlocks: 0
; NumSGPRsForWavesPerEU: 6
; NumVGPRsForWavesPerEU: 1
; AccumOffset: 4
; Occupancy: 8
; WaveLimiterHint : 0
; COMPUTE_PGM_RSRC2:SCRATCH_EN: 0
; COMPUTE_PGM_RSRC2:USER_SGPR: 2
; COMPUTE_PGM_RSRC2:TRAP_HANDLER: 0
; COMPUTE_PGM_RSRC2:TGID_X_EN: 1
; COMPUTE_PGM_RSRC2:TGID_Y_EN: 0
; COMPUTE_PGM_RSRC2:TGID_Z_EN: 0
; COMPUTE_PGM_RSRC2:TIDIG_COMP_CNT: 0
; COMPUTE_PGM_RSRC3_GFX90A:ACCUM_OFFSET: 0
; COMPUTE_PGM_RSRC3_GFX90A:TG_SPLIT: 0
	.section	.text._ZN7rocprim17ROCPRIM_400000_NS6detail17trampoline_kernelINS0_14default_configENS1_35adjacent_difference_config_selectorILb0ElEEZNS1_24adjacent_difference_implIS3_Lb0ELb0EPlS7_ZN2at6native12_GLOBAL__N_124unique_dim_cuda_templateIN3c108BFloat16EEESt5tupleIJNS8_6TensorESF_SF_EERKSF_lbbbEUlllE1_EE10hipError_tPvRmT2_T3_mT4_P12ihipStream_tbEUlT_E_NS1_11comp_targetILNS1_3genE2ELNS1_11target_archE906ELNS1_3gpuE6ELNS1_3repE0EEENS1_30default_config_static_selectorELNS0_4arch9wavefront6targetE1EEEvT1_,"axG",@progbits,_ZN7rocprim17ROCPRIM_400000_NS6detail17trampoline_kernelINS0_14default_configENS1_35adjacent_difference_config_selectorILb0ElEEZNS1_24adjacent_difference_implIS3_Lb0ELb0EPlS7_ZN2at6native12_GLOBAL__N_124unique_dim_cuda_templateIN3c108BFloat16EEESt5tupleIJNS8_6TensorESF_SF_EERKSF_lbbbEUlllE1_EE10hipError_tPvRmT2_T3_mT4_P12ihipStream_tbEUlT_E_NS1_11comp_targetILNS1_3genE2ELNS1_11target_archE906ELNS1_3gpuE6ELNS1_3repE0EEENS1_30default_config_static_selectorELNS0_4arch9wavefront6targetE1EEEvT1_,comdat
	.globl	_ZN7rocprim17ROCPRIM_400000_NS6detail17trampoline_kernelINS0_14default_configENS1_35adjacent_difference_config_selectorILb0ElEEZNS1_24adjacent_difference_implIS3_Lb0ELb0EPlS7_ZN2at6native12_GLOBAL__N_124unique_dim_cuda_templateIN3c108BFloat16EEESt5tupleIJNS8_6TensorESF_SF_EERKSF_lbbbEUlllE1_EE10hipError_tPvRmT2_T3_mT4_P12ihipStream_tbEUlT_E_NS1_11comp_targetILNS1_3genE2ELNS1_11target_archE906ELNS1_3gpuE6ELNS1_3repE0EEENS1_30default_config_static_selectorELNS0_4arch9wavefront6targetE1EEEvT1_ ; -- Begin function _ZN7rocprim17ROCPRIM_400000_NS6detail17trampoline_kernelINS0_14default_configENS1_35adjacent_difference_config_selectorILb0ElEEZNS1_24adjacent_difference_implIS3_Lb0ELb0EPlS7_ZN2at6native12_GLOBAL__N_124unique_dim_cuda_templateIN3c108BFloat16EEESt5tupleIJNS8_6TensorESF_SF_EERKSF_lbbbEUlllE1_EE10hipError_tPvRmT2_T3_mT4_P12ihipStream_tbEUlT_E_NS1_11comp_targetILNS1_3genE2ELNS1_11target_archE906ELNS1_3gpuE6ELNS1_3repE0EEENS1_30default_config_static_selectorELNS0_4arch9wavefront6targetE1EEEvT1_
	.p2align	8
	.type	_ZN7rocprim17ROCPRIM_400000_NS6detail17trampoline_kernelINS0_14default_configENS1_35adjacent_difference_config_selectorILb0ElEEZNS1_24adjacent_difference_implIS3_Lb0ELb0EPlS7_ZN2at6native12_GLOBAL__N_124unique_dim_cuda_templateIN3c108BFloat16EEESt5tupleIJNS8_6TensorESF_SF_EERKSF_lbbbEUlllE1_EE10hipError_tPvRmT2_T3_mT4_P12ihipStream_tbEUlT_E_NS1_11comp_targetILNS1_3genE2ELNS1_11target_archE906ELNS1_3gpuE6ELNS1_3repE0EEENS1_30default_config_static_selectorELNS0_4arch9wavefront6targetE1EEEvT1_,@function
_ZN7rocprim17ROCPRIM_400000_NS6detail17trampoline_kernelINS0_14default_configENS1_35adjacent_difference_config_selectorILb0ElEEZNS1_24adjacent_difference_implIS3_Lb0ELb0EPlS7_ZN2at6native12_GLOBAL__N_124unique_dim_cuda_templateIN3c108BFloat16EEESt5tupleIJNS8_6TensorESF_SF_EERKSF_lbbbEUlllE1_EE10hipError_tPvRmT2_T3_mT4_P12ihipStream_tbEUlT_E_NS1_11comp_targetILNS1_3genE2ELNS1_11target_archE906ELNS1_3gpuE6ELNS1_3repE0EEENS1_30default_config_static_selectorELNS0_4arch9wavefront6targetE1EEEvT1_: ; @_ZN7rocprim17ROCPRIM_400000_NS6detail17trampoline_kernelINS0_14default_configENS1_35adjacent_difference_config_selectorILb0ElEEZNS1_24adjacent_difference_implIS3_Lb0ELb0EPlS7_ZN2at6native12_GLOBAL__N_124unique_dim_cuda_templateIN3c108BFloat16EEESt5tupleIJNS8_6TensorESF_SF_EERKSF_lbbbEUlllE1_EE10hipError_tPvRmT2_T3_mT4_P12ihipStream_tbEUlT_E_NS1_11comp_targetILNS1_3genE2ELNS1_11target_archE906ELNS1_3gpuE6ELNS1_3repE0EEENS1_30default_config_static_selectorELNS0_4arch9wavefront6targetE1EEEvT1_
; %bb.0:
	.section	.rodata,"a",@progbits
	.p2align	6, 0x0
	.amdhsa_kernel _ZN7rocprim17ROCPRIM_400000_NS6detail17trampoline_kernelINS0_14default_configENS1_35adjacent_difference_config_selectorILb0ElEEZNS1_24adjacent_difference_implIS3_Lb0ELb0EPlS7_ZN2at6native12_GLOBAL__N_124unique_dim_cuda_templateIN3c108BFloat16EEESt5tupleIJNS8_6TensorESF_SF_EERKSF_lbbbEUlllE1_EE10hipError_tPvRmT2_T3_mT4_P12ihipStream_tbEUlT_E_NS1_11comp_targetILNS1_3genE2ELNS1_11target_archE906ELNS1_3gpuE6ELNS1_3repE0EEENS1_30default_config_static_selectorELNS0_4arch9wavefront6targetE1EEEvT1_
		.amdhsa_group_segment_fixed_size 0
		.amdhsa_private_segment_fixed_size 0
		.amdhsa_kernarg_size 64
		.amdhsa_user_sgpr_count 2
		.amdhsa_user_sgpr_dispatch_ptr 0
		.amdhsa_user_sgpr_queue_ptr 0
		.amdhsa_user_sgpr_kernarg_segment_ptr 1
		.amdhsa_user_sgpr_dispatch_id 0
		.amdhsa_user_sgpr_kernarg_preload_length 0
		.amdhsa_user_sgpr_kernarg_preload_offset 0
		.amdhsa_user_sgpr_private_segment_size 0
		.amdhsa_uses_dynamic_stack 0
		.amdhsa_enable_private_segment 0
		.amdhsa_system_sgpr_workgroup_id_x 1
		.amdhsa_system_sgpr_workgroup_id_y 0
		.amdhsa_system_sgpr_workgroup_id_z 0
		.amdhsa_system_sgpr_workgroup_info 0
		.amdhsa_system_vgpr_workitem_id 0
		.amdhsa_next_free_vgpr 1
		.amdhsa_next_free_sgpr 0
		.amdhsa_accum_offset 4
		.amdhsa_reserve_vcc 0
		.amdhsa_float_round_mode_32 0
		.amdhsa_float_round_mode_16_64 0
		.amdhsa_float_denorm_mode_32 3
		.amdhsa_float_denorm_mode_16_64 3
		.amdhsa_dx10_clamp 1
		.amdhsa_ieee_mode 1
		.amdhsa_fp16_overflow 0
		.amdhsa_tg_split 0
		.amdhsa_exception_fp_ieee_invalid_op 0
		.amdhsa_exception_fp_denorm_src 0
		.amdhsa_exception_fp_ieee_div_zero 0
		.amdhsa_exception_fp_ieee_overflow 0
		.amdhsa_exception_fp_ieee_underflow 0
		.amdhsa_exception_fp_ieee_inexact 0
		.amdhsa_exception_int_div_zero 0
	.end_amdhsa_kernel
	.section	.text._ZN7rocprim17ROCPRIM_400000_NS6detail17trampoline_kernelINS0_14default_configENS1_35adjacent_difference_config_selectorILb0ElEEZNS1_24adjacent_difference_implIS3_Lb0ELb0EPlS7_ZN2at6native12_GLOBAL__N_124unique_dim_cuda_templateIN3c108BFloat16EEESt5tupleIJNS8_6TensorESF_SF_EERKSF_lbbbEUlllE1_EE10hipError_tPvRmT2_T3_mT4_P12ihipStream_tbEUlT_E_NS1_11comp_targetILNS1_3genE2ELNS1_11target_archE906ELNS1_3gpuE6ELNS1_3repE0EEENS1_30default_config_static_selectorELNS0_4arch9wavefront6targetE1EEEvT1_,"axG",@progbits,_ZN7rocprim17ROCPRIM_400000_NS6detail17trampoline_kernelINS0_14default_configENS1_35adjacent_difference_config_selectorILb0ElEEZNS1_24adjacent_difference_implIS3_Lb0ELb0EPlS7_ZN2at6native12_GLOBAL__N_124unique_dim_cuda_templateIN3c108BFloat16EEESt5tupleIJNS8_6TensorESF_SF_EERKSF_lbbbEUlllE1_EE10hipError_tPvRmT2_T3_mT4_P12ihipStream_tbEUlT_E_NS1_11comp_targetILNS1_3genE2ELNS1_11target_archE906ELNS1_3gpuE6ELNS1_3repE0EEENS1_30default_config_static_selectorELNS0_4arch9wavefront6targetE1EEEvT1_,comdat
.Lfunc_end1162:
	.size	_ZN7rocprim17ROCPRIM_400000_NS6detail17trampoline_kernelINS0_14default_configENS1_35adjacent_difference_config_selectorILb0ElEEZNS1_24adjacent_difference_implIS3_Lb0ELb0EPlS7_ZN2at6native12_GLOBAL__N_124unique_dim_cuda_templateIN3c108BFloat16EEESt5tupleIJNS8_6TensorESF_SF_EERKSF_lbbbEUlllE1_EE10hipError_tPvRmT2_T3_mT4_P12ihipStream_tbEUlT_E_NS1_11comp_targetILNS1_3genE2ELNS1_11target_archE906ELNS1_3gpuE6ELNS1_3repE0EEENS1_30default_config_static_selectorELNS0_4arch9wavefront6targetE1EEEvT1_, .Lfunc_end1162-_ZN7rocprim17ROCPRIM_400000_NS6detail17trampoline_kernelINS0_14default_configENS1_35adjacent_difference_config_selectorILb0ElEEZNS1_24adjacent_difference_implIS3_Lb0ELb0EPlS7_ZN2at6native12_GLOBAL__N_124unique_dim_cuda_templateIN3c108BFloat16EEESt5tupleIJNS8_6TensorESF_SF_EERKSF_lbbbEUlllE1_EE10hipError_tPvRmT2_T3_mT4_P12ihipStream_tbEUlT_E_NS1_11comp_targetILNS1_3genE2ELNS1_11target_archE906ELNS1_3gpuE6ELNS1_3repE0EEENS1_30default_config_static_selectorELNS0_4arch9wavefront6targetE1EEEvT1_
                                        ; -- End function
	.section	.AMDGPU.csdata,"",@progbits
; Kernel info:
; codeLenInByte = 0
; NumSgprs: 6
; NumVgprs: 0
; NumAgprs: 0
; TotalNumVgprs: 0
; ScratchSize: 0
; MemoryBound: 0
; FloatMode: 240
; IeeeMode: 1
; LDSByteSize: 0 bytes/workgroup (compile time only)
; SGPRBlocks: 0
; VGPRBlocks: 0
; NumSGPRsForWavesPerEU: 6
; NumVGPRsForWavesPerEU: 1
; AccumOffset: 4
; Occupancy: 8
; WaveLimiterHint : 0
; COMPUTE_PGM_RSRC2:SCRATCH_EN: 0
; COMPUTE_PGM_RSRC2:USER_SGPR: 2
; COMPUTE_PGM_RSRC2:TRAP_HANDLER: 0
; COMPUTE_PGM_RSRC2:TGID_X_EN: 1
; COMPUTE_PGM_RSRC2:TGID_Y_EN: 0
; COMPUTE_PGM_RSRC2:TGID_Z_EN: 0
; COMPUTE_PGM_RSRC2:TIDIG_COMP_CNT: 0
; COMPUTE_PGM_RSRC3_GFX90A:ACCUM_OFFSET: 0
; COMPUTE_PGM_RSRC3_GFX90A:TG_SPLIT: 0
	.section	.text._ZN7rocprim17ROCPRIM_400000_NS6detail17trampoline_kernelINS0_14default_configENS1_35adjacent_difference_config_selectorILb0ElEEZNS1_24adjacent_difference_implIS3_Lb0ELb0EPlS7_ZN2at6native12_GLOBAL__N_124unique_dim_cuda_templateIN3c108BFloat16EEESt5tupleIJNS8_6TensorESF_SF_EERKSF_lbbbEUlllE1_EE10hipError_tPvRmT2_T3_mT4_P12ihipStream_tbEUlT_E_NS1_11comp_targetILNS1_3genE9ELNS1_11target_archE1100ELNS1_3gpuE3ELNS1_3repE0EEENS1_30default_config_static_selectorELNS0_4arch9wavefront6targetE1EEEvT1_,"axG",@progbits,_ZN7rocprim17ROCPRIM_400000_NS6detail17trampoline_kernelINS0_14default_configENS1_35adjacent_difference_config_selectorILb0ElEEZNS1_24adjacent_difference_implIS3_Lb0ELb0EPlS7_ZN2at6native12_GLOBAL__N_124unique_dim_cuda_templateIN3c108BFloat16EEESt5tupleIJNS8_6TensorESF_SF_EERKSF_lbbbEUlllE1_EE10hipError_tPvRmT2_T3_mT4_P12ihipStream_tbEUlT_E_NS1_11comp_targetILNS1_3genE9ELNS1_11target_archE1100ELNS1_3gpuE3ELNS1_3repE0EEENS1_30default_config_static_selectorELNS0_4arch9wavefront6targetE1EEEvT1_,comdat
	.globl	_ZN7rocprim17ROCPRIM_400000_NS6detail17trampoline_kernelINS0_14default_configENS1_35adjacent_difference_config_selectorILb0ElEEZNS1_24adjacent_difference_implIS3_Lb0ELb0EPlS7_ZN2at6native12_GLOBAL__N_124unique_dim_cuda_templateIN3c108BFloat16EEESt5tupleIJNS8_6TensorESF_SF_EERKSF_lbbbEUlllE1_EE10hipError_tPvRmT2_T3_mT4_P12ihipStream_tbEUlT_E_NS1_11comp_targetILNS1_3genE9ELNS1_11target_archE1100ELNS1_3gpuE3ELNS1_3repE0EEENS1_30default_config_static_selectorELNS0_4arch9wavefront6targetE1EEEvT1_ ; -- Begin function _ZN7rocprim17ROCPRIM_400000_NS6detail17trampoline_kernelINS0_14default_configENS1_35adjacent_difference_config_selectorILb0ElEEZNS1_24adjacent_difference_implIS3_Lb0ELb0EPlS7_ZN2at6native12_GLOBAL__N_124unique_dim_cuda_templateIN3c108BFloat16EEESt5tupleIJNS8_6TensorESF_SF_EERKSF_lbbbEUlllE1_EE10hipError_tPvRmT2_T3_mT4_P12ihipStream_tbEUlT_E_NS1_11comp_targetILNS1_3genE9ELNS1_11target_archE1100ELNS1_3gpuE3ELNS1_3repE0EEENS1_30default_config_static_selectorELNS0_4arch9wavefront6targetE1EEEvT1_
	.p2align	8
	.type	_ZN7rocprim17ROCPRIM_400000_NS6detail17trampoline_kernelINS0_14default_configENS1_35adjacent_difference_config_selectorILb0ElEEZNS1_24adjacent_difference_implIS3_Lb0ELb0EPlS7_ZN2at6native12_GLOBAL__N_124unique_dim_cuda_templateIN3c108BFloat16EEESt5tupleIJNS8_6TensorESF_SF_EERKSF_lbbbEUlllE1_EE10hipError_tPvRmT2_T3_mT4_P12ihipStream_tbEUlT_E_NS1_11comp_targetILNS1_3genE9ELNS1_11target_archE1100ELNS1_3gpuE3ELNS1_3repE0EEENS1_30default_config_static_selectorELNS0_4arch9wavefront6targetE1EEEvT1_,@function
_ZN7rocprim17ROCPRIM_400000_NS6detail17trampoline_kernelINS0_14default_configENS1_35adjacent_difference_config_selectorILb0ElEEZNS1_24adjacent_difference_implIS3_Lb0ELb0EPlS7_ZN2at6native12_GLOBAL__N_124unique_dim_cuda_templateIN3c108BFloat16EEESt5tupleIJNS8_6TensorESF_SF_EERKSF_lbbbEUlllE1_EE10hipError_tPvRmT2_T3_mT4_P12ihipStream_tbEUlT_E_NS1_11comp_targetILNS1_3genE9ELNS1_11target_archE1100ELNS1_3gpuE3ELNS1_3repE0EEENS1_30default_config_static_selectorELNS0_4arch9wavefront6targetE1EEEvT1_: ; @_ZN7rocprim17ROCPRIM_400000_NS6detail17trampoline_kernelINS0_14default_configENS1_35adjacent_difference_config_selectorILb0ElEEZNS1_24adjacent_difference_implIS3_Lb0ELb0EPlS7_ZN2at6native12_GLOBAL__N_124unique_dim_cuda_templateIN3c108BFloat16EEESt5tupleIJNS8_6TensorESF_SF_EERKSF_lbbbEUlllE1_EE10hipError_tPvRmT2_T3_mT4_P12ihipStream_tbEUlT_E_NS1_11comp_targetILNS1_3genE9ELNS1_11target_archE1100ELNS1_3gpuE3ELNS1_3repE0EEENS1_30default_config_static_selectorELNS0_4arch9wavefront6targetE1EEEvT1_
; %bb.0:
	.section	.rodata,"a",@progbits
	.p2align	6, 0x0
	.amdhsa_kernel _ZN7rocprim17ROCPRIM_400000_NS6detail17trampoline_kernelINS0_14default_configENS1_35adjacent_difference_config_selectorILb0ElEEZNS1_24adjacent_difference_implIS3_Lb0ELb0EPlS7_ZN2at6native12_GLOBAL__N_124unique_dim_cuda_templateIN3c108BFloat16EEESt5tupleIJNS8_6TensorESF_SF_EERKSF_lbbbEUlllE1_EE10hipError_tPvRmT2_T3_mT4_P12ihipStream_tbEUlT_E_NS1_11comp_targetILNS1_3genE9ELNS1_11target_archE1100ELNS1_3gpuE3ELNS1_3repE0EEENS1_30default_config_static_selectorELNS0_4arch9wavefront6targetE1EEEvT1_
		.amdhsa_group_segment_fixed_size 0
		.amdhsa_private_segment_fixed_size 0
		.amdhsa_kernarg_size 64
		.amdhsa_user_sgpr_count 2
		.amdhsa_user_sgpr_dispatch_ptr 0
		.amdhsa_user_sgpr_queue_ptr 0
		.amdhsa_user_sgpr_kernarg_segment_ptr 1
		.amdhsa_user_sgpr_dispatch_id 0
		.amdhsa_user_sgpr_kernarg_preload_length 0
		.amdhsa_user_sgpr_kernarg_preload_offset 0
		.amdhsa_user_sgpr_private_segment_size 0
		.amdhsa_uses_dynamic_stack 0
		.amdhsa_enable_private_segment 0
		.amdhsa_system_sgpr_workgroup_id_x 1
		.amdhsa_system_sgpr_workgroup_id_y 0
		.amdhsa_system_sgpr_workgroup_id_z 0
		.amdhsa_system_sgpr_workgroup_info 0
		.amdhsa_system_vgpr_workitem_id 0
		.amdhsa_next_free_vgpr 1
		.amdhsa_next_free_sgpr 0
		.amdhsa_accum_offset 4
		.amdhsa_reserve_vcc 0
		.amdhsa_float_round_mode_32 0
		.amdhsa_float_round_mode_16_64 0
		.amdhsa_float_denorm_mode_32 3
		.amdhsa_float_denorm_mode_16_64 3
		.amdhsa_dx10_clamp 1
		.amdhsa_ieee_mode 1
		.amdhsa_fp16_overflow 0
		.amdhsa_tg_split 0
		.amdhsa_exception_fp_ieee_invalid_op 0
		.amdhsa_exception_fp_denorm_src 0
		.amdhsa_exception_fp_ieee_div_zero 0
		.amdhsa_exception_fp_ieee_overflow 0
		.amdhsa_exception_fp_ieee_underflow 0
		.amdhsa_exception_fp_ieee_inexact 0
		.amdhsa_exception_int_div_zero 0
	.end_amdhsa_kernel
	.section	.text._ZN7rocprim17ROCPRIM_400000_NS6detail17trampoline_kernelINS0_14default_configENS1_35adjacent_difference_config_selectorILb0ElEEZNS1_24adjacent_difference_implIS3_Lb0ELb0EPlS7_ZN2at6native12_GLOBAL__N_124unique_dim_cuda_templateIN3c108BFloat16EEESt5tupleIJNS8_6TensorESF_SF_EERKSF_lbbbEUlllE1_EE10hipError_tPvRmT2_T3_mT4_P12ihipStream_tbEUlT_E_NS1_11comp_targetILNS1_3genE9ELNS1_11target_archE1100ELNS1_3gpuE3ELNS1_3repE0EEENS1_30default_config_static_selectorELNS0_4arch9wavefront6targetE1EEEvT1_,"axG",@progbits,_ZN7rocprim17ROCPRIM_400000_NS6detail17trampoline_kernelINS0_14default_configENS1_35adjacent_difference_config_selectorILb0ElEEZNS1_24adjacent_difference_implIS3_Lb0ELb0EPlS7_ZN2at6native12_GLOBAL__N_124unique_dim_cuda_templateIN3c108BFloat16EEESt5tupleIJNS8_6TensorESF_SF_EERKSF_lbbbEUlllE1_EE10hipError_tPvRmT2_T3_mT4_P12ihipStream_tbEUlT_E_NS1_11comp_targetILNS1_3genE9ELNS1_11target_archE1100ELNS1_3gpuE3ELNS1_3repE0EEENS1_30default_config_static_selectorELNS0_4arch9wavefront6targetE1EEEvT1_,comdat
.Lfunc_end1163:
	.size	_ZN7rocprim17ROCPRIM_400000_NS6detail17trampoline_kernelINS0_14default_configENS1_35adjacent_difference_config_selectorILb0ElEEZNS1_24adjacent_difference_implIS3_Lb0ELb0EPlS7_ZN2at6native12_GLOBAL__N_124unique_dim_cuda_templateIN3c108BFloat16EEESt5tupleIJNS8_6TensorESF_SF_EERKSF_lbbbEUlllE1_EE10hipError_tPvRmT2_T3_mT4_P12ihipStream_tbEUlT_E_NS1_11comp_targetILNS1_3genE9ELNS1_11target_archE1100ELNS1_3gpuE3ELNS1_3repE0EEENS1_30default_config_static_selectorELNS0_4arch9wavefront6targetE1EEEvT1_, .Lfunc_end1163-_ZN7rocprim17ROCPRIM_400000_NS6detail17trampoline_kernelINS0_14default_configENS1_35adjacent_difference_config_selectorILb0ElEEZNS1_24adjacent_difference_implIS3_Lb0ELb0EPlS7_ZN2at6native12_GLOBAL__N_124unique_dim_cuda_templateIN3c108BFloat16EEESt5tupleIJNS8_6TensorESF_SF_EERKSF_lbbbEUlllE1_EE10hipError_tPvRmT2_T3_mT4_P12ihipStream_tbEUlT_E_NS1_11comp_targetILNS1_3genE9ELNS1_11target_archE1100ELNS1_3gpuE3ELNS1_3repE0EEENS1_30default_config_static_selectorELNS0_4arch9wavefront6targetE1EEEvT1_
                                        ; -- End function
	.section	.AMDGPU.csdata,"",@progbits
; Kernel info:
; codeLenInByte = 0
; NumSgprs: 6
; NumVgprs: 0
; NumAgprs: 0
; TotalNumVgprs: 0
; ScratchSize: 0
; MemoryBound: 0
; FloatMode: 240
; IeeeMode: 1
; LDSByteSize: 0 bytes/workgroup (compile time only)
; SGPRBlocks: 0
; VGPRBlocks: 0
; NumSGPRsForWavesPerEU: 6
; NumVGPRsForWavesPerEU: 1
; AccumOffset: 4
; Occupancy: 8
; WaveLimiterHint : 0
; COMPUTE_PGM_RSRC2:SCRATCH_EN: 0
; COMPUTE_PGM_RSRC2:USER_SGPR: 2
; COMPUTE_PGM_RSRC2:TRAP_HANDLER: 0
; COMPUTE_PGM_RSRC2:TGID_X_EN: 1
; COMPUTE_PGM_RSRC2:TGID_Y_EN: 0
; COMPUTE_PGM_RSRC2:TGID_Z_EN: 0
; COMPUTE_PGM_RSRC2:TIDIG_COMP_CNT: 0
; COMPUTE_PGM_RSRC3_GFX90A:ACCUM_OFFSET: 0
; COMPUTE_PGM_RSRC3_GFX90A:TG_SPLIT: 0
	.section	.text._ZN7rocprim17ROCPRIM_400000_NS6detail17trampoline_kernelINS0_14default_configENS1_35adjacent_difference_config_selectorILb0ElEEZNS1_24adjacent_difference_implIS3_Lb0ELb0EPlS7_ZN2at6native12_GLOBAL__N_124unique_dim_cuda_templateIN3c108BFloat16EEESt5tupleIJNS8_6TensorESF_SF_EERKSF_lbbbEUlllE1_EE10hipError_tPvRmT2_T3_mT4_P12ihipStream_tbEUlT_E_NS1_11comp_targetILNS1_3genE8ELNS1_11target_archE1030ELNS1_3gpuE2ELNS1_3repE0EEENS1_30default_config_static_selectorELNS0_4arch9wavefront6targetE1EEEvT1_,"axG",@progbits,_ZN7rocprim17ROCPRIM_400000_NS6detail17trampoline_kernelINS0_14default_configENS1_35adjacent_difference_config_selectorILb0ElEEZNS1_24adjacent_difference_implIS3_Lb0ELb0EPlS7_ZN2at6native12_GLOBAL__N_124unique_dim_cuda_templateIN3c108BFloat16EEESt5tupleIJNS8_6TensorESF_SF_EERKSF_lbbbEUlllE1_EE10hipError_tPvRmT2_T3_mT4_P12ihipStream_tbEUlT_E_NS1_11comp_targetILNS1_3genE8ELNS1_11target_archE1030ELNS1_3gpuE2ELNS1_3repE0EEENS1_30default_config_static_selectorELNS0_4arch9wavefront6targetE1EEEvT1_,comdat
	.globl	_ZN7rocprim17ROCPRIM_400000_NS6detail17trampoline_kernelINS0_14default_configENS1_35adjacent_difference_config_selectorILb0ElEEZNS1_24adjacent_difference_implIS3_Lb0ELb0EPlS7_ZN2at6native12_GLOBAL__N_124unique_dim_cuda_templateIN3c108BFloat16EEESt5tupleIJNS8_6TensorESF_SF_EERKSF_lbbbEUlllE1_EE10hipError_tPvRmT2_T3_mT4_P12ihipStream_tbEUlT_E_NS1_11comp_targetILNS1_3genE8ELNS1_11target_archE1030ELNS1_3gpuE2ELNS1_3repE0EEENS1_30default_config_static_selectorELNS0_4arch9wavefront6targetE1EEEvT1_ ; -- Begin function _ZN7rocprim17ROCPRIM_400000_NS6detail17trampoline_kernelINS0_14default_configENS1_35adjacent_difference_config_selectorILb0ElEEZNS1_24adjacent_difference_implIS3_Lb0ELb0EPlS7_ZN2at6native12_GLOBAL__N_124unique_dim_cuda_templateIN3c108BFloat16EEESt5tupleIJNS8_6TensorESF_SF_EERKSF_lbbbEUlllE1_EE10hipError_tPvRmT2_T3_mT4_P12ihipStream_tbEUlT_E_NS1_11comp_targetILNS1_3genE8ELNS1_11target_archE1030ELNS1_3gpuE2ELNS1_3repE0EEENS1_30default_config_static_selectorELNS0_4arch9wavefront6targetE1EEEvT1_
	.p2align	8
	.type	_ZN7rocprim17ROCPRIM_400000_NS6detail17trampoline_kernelINS0_14default_configENS1_35adjacent_difference_config_selectorILb0ElEEZNS1_24adjacent_difference_implIS3_Lb0ELb0EPlS7_ZN2at6native12_GLOBAL__N_124unique_dim_cuda_templateIN3c108BFloat16EEESt5tupleIJNS8_6TensorESF_SF_EERKSF_lbbbEUlllE1_EE10hipError_tPvRmT2_T3_mT4_P12ihipStream_tbEUlT_E_NS1_11comp_targetILNS1_3genE8ELNS1_11target_archE1030ELNS1_3gpuE2ELNS1_3repE0EEENS1_30default_config_static_selectorELNS0_4arch9wavefront6targetE1EEEvT1_,@function
_ZN7rocprim17ROCPRIM_400000_NS6detail17trampoline_kernelINS0_14default_configENS1_35adjacent_difference_config_selectorILb0ElEEZNS1_24adjacent_difference_implIS3_Lb0ELb0EPlS7_ZN2at6native12_GLOBAL__N_124unique_dim_cuda_templateIN3c108BFloat16EEESt5tupleIJNS8_6TensorESF_SF_EERKSF_lbbbEUlllE1_EE10hipError_tPvRmT2_T3_mT4_P12ihipStream_tbEUlT_E_NS1_11comp_targetILNS1_3genE8ELNS1_11target_archE1030ELNS1_3gpuE2ELNS1_3repE0EEENS1_30default_config_static_selectorELNS0_4arch9wavefront6targetE1EEEvT1_: ; @_ZN7rocprim17ROCPRIM_400000_NS6detail17trampoline_kernelINS0_14default_configENS1_35adjacent_difference_config_selectorILb0ElEEZNS1_24adjacent_difference_implIS3_Lb0ELb0EPlS7_ZN2at6native12_GLOBAL__N_124unique_dim_cuda_templateIN3c108BFloat16EEESt5tupleIJNS8_6TensorESF_SF_EERKSF_lbbbEUlllE1_EE10hipError_tPvRmT2_T3_mT4_P12ihipStream_tbEUlT_E_NS1_11comp_targetILNS1_3genE8ELNS1_11target_archE1030ELNS1_3gpuE2ELNS1_3repE0EEENS1_30default_config_static_selectorELNS0_4arch9wavefront6targetE1EEEvT1_
; %bb.0:
	.section	.rodata,"a",@progbits
	.p2align	6, 0x0
	.amdhsa_kernel _ZN7rocprim17ROCPRIM_400000_NS6detail17trampoline_kernelINS0_14default_configENS1_35adjacent_difference_config_selectorILb0ElEEZNS1_24adjacent_difference_implIS3_Lb0ELb0EPlS7_ZN2at6native12_GLOBAL__N_124unique_dim_cuda_templateIN3c108BFloat16EEESt5tupleIJNS8_6TensorESF_SF_EERKSF_lbbbEUlllE1_EE10hipError_tPvRmT2_T3_mT4_P12ihipStream_tbEUlT_E_NS1_11comp_targetILNS1_3genE8ELNS1_11target_archE1030ELNS1_3gpuE2ELNS1_3repE0EEENS1_30default_config_static_selectorELNS0_4arch9wavefront6targetE1EEEvT1_
		.amdhsa_group_segment_fixed_size 0
		.amdhsa_private_segment_fixed_size 0
		.amdhsa_kernarg_size 64
		.amdhsa_user_sgpr_count 2
		.amdhsa_user_sgpr_dispatch_ptr 0
		.amdhsa_user_sgpr_queue_ptr 0
		.amdhsa_user_sgpr_kernarg_segment_ptr 1
		.amdhsa_user_sgpr_dispatch_id 0
		.amdhsa_user_sgpr_kernarg_preload_length 0
		.amdhsa_user_sgpr_kernarg_preload_offset 0
		.amdhsa_user_sgpr_private_segment_size 0
		.amdhsa_uses_dynamic_stack 0
		.amdhsa_enable_private_segment 0
		.amdhsa_system_sgpr_workgroup_id_x 1
		.amdhsa_system_sgpr_workgroup_id_y 0
		.amdhsa_system_sgpr_workgroup_id_z 0
		.amdhsa_system_sgpr_workgroup_info 0
		.amdhsa_system_vgpr_workitem_id 0
		.amdhsa_next_free_vgpr 1
		.amdhsa_next_free_sgpr 0
		.amdhsa_accum_offset 4
		.amdhsa_reserve_vcc 0
		.amdhsa_float_round_mode_32 0
		.amdhsa_float_round_mode_16_64 0
		.amdhsa_float_denorm_mode_32 3
		.amdhsa_float_denorm_mode_16_64 3
		.amdhsa_dx10_clamp 1
		.amdhsa_ieee_mode 1
		.amdhsa_fp16_overflow 0
		.amdhsa_tg_split 0
		.amdhsa_exception_fp_ieee_invalid_op 0
		.amdhsa_exception_fp_denorm_src 0
		.amdhsa_exception_fp_ieee_div_zero 0
		.amdhsa_exception_fp_ieee_overflow 0
		.amdhsa_exception_fp_ieee_underflow 0
		.amdhsa_exception_fp_ieee_inexact 0
		.amdhsa_exception_int_div_zero 0
	.end_amdhsa_kernel
	.section	.text._ZN7rocprim17ROCPRIM_400000_NS6detail17trampoline_kernelINS0_14default_configENS1_35adjacent_difference_config_selectorILb0ElEEZNS1_24adjacent_difference_implIS3_Lb0ELb0EPlS7_ZN2at6native12_GLOBAL__N_124unique_dim_cuda_templateIN3c108BFloat16EEESt5tupleIJNS8_6TensorESF_SF_EERKSF_lbbbEUlllE1_EE10hipError_tPvRmT2_T3_mT4_P12ihipStream_tbEUlT_E_NS1_11comp_targetILNS1_3genE8ELNS1_11target_archE1030ELNS1_3gpuE2ELNS1_3repE0EEENS1_30default_config_static_selectorELNS0_4arch9wavefront6targetE1EEEvT1_,"axG",@progbits,_ZN7rocprim17ROCPRIM_400000_NS6detail17trampoline_kernelINS0_14default_configENS1_35adjacent_difference_config_selectorILb0ElEEZNS1_24adjacent_difference_implIS3_Lb0ELb0EPlS7_ZN2at6native12_GLOBAL__N_124unique_dim_cuda_templateIN3c108BFloat16EEESt5tupleIJNS8_6TensorESF_SF_EERKSF_lbbbEUlllE1_EE10hipError_tPvRmT2_T3_mT4_P12ihipStream_tbEUlT_E_NS1_11comp_targetILNS1_3genE8ELNS1_11target_archE1030ELNS1_3gpuE2ELNS1_3repE0EEENS1_30default_config_static_selectorELNS0_4arch9wavefront6targetE1EEEvT1_,comdat
.Lfunc_end1164:
	.size	_ZN7rocprim17ROCPRIM_400000_NS6detail17trampoline_kernelINS0_14default_configENS1_35adjacent_difference_config_selectorILb0ElEEZNS1_24adjacent_difference_implIS3_Lb0ELb0EPlS7_ZN2at6native12_GLOBAL__N_124unique_dim_cuda_templateIN3c108BFloat16EEESt5tupleIJNS8_6TensorESF_SF_EERKSF_lbbbEUlllE1_EE10hipError_tPvRmT2_T3_mT4_P12ihipStream_tbEUlT_E_NS1_11comp_targetILNS1_3genE8ELNS1_11target_archE1030ELNS1_3gpuE2ELNS1_3repE0EEENS1_30default_config_static_selectorELNS0_4arch9wavefront6targetE1EEEvT1_, .Lfunc_end1164-_ZN7rocprim17ROCPRIM_400000_NS6detail17trampoline_kernelINS0_14default_configENS1_35adjacent_difference_config_selectorILb0ElEEZNS1_24adjacent_difference_implIS3_Lb0ELb0EPlS7_ZN2at6native12_GLOBAL__N_124unique_dim_cuda_templateIN3c108BFloat16EEESt5tupleIJNS8_6TensorESF_SF_EERKSF_lbbbEUlllE1_EE10hipError_tPvRmT2_T3_mT4_P12ihipStream_tbEUlT_E_NS1_11comp_targetILNS1_3genE8ELNS1_11target_archE1030ELNS1_3gpuE2ELNS1_3repE0EEENS1_30default_config_static_selectorELNS0_4arch9wavefront6targetE1EEEvT1_
                                        ; -- End function
	.section	.AMDGPU.csdata,"",@progbits
; Kernel info:
; codeLenInByte = 0
; NumSgprs: 6
; NumVgprs: 0
; NumAgprs: 0
; TotalNumVgprs: 0
; ScratchSize: 0
; MemoryBound: 0
; FloatMode: 240
; IeeeMode: 1
; LDSByteSize: 0 bytes/workgroup (compile time only)
; SGPRBlocks: 0
; VGPRBlocks: 0
; NumSGPRsForWavesPerEU: 6
; NumVGPRsForWavesPerEU: 1
; AccumOffset: 4
; Occupancy: 8
; WaveLimiterHint : 0
; COMPUTE_PGM_RSRC2:SCRATCH_EN: 0
; COMPUTE_PGM_RSRC2:USER_SGPR: 2
; COMPUTE_PGM_RSRC2:TRAP_HANDLER: 0
; COMPUTE_PGM_RSRC2:TGID_X_EN: 1
; COMPUTE_PGM_RSRC2:TGID_Y_EN: 0
; COMPUTE_PGM_RSRC2:TGID_Z_EN: 0
; COMPUTE_PGM_RSRC2:TIDIG_COMP_CNT: 0
; COMPUTE_PGM_RSRC3_GFX90A:ACCUM_OFFSET: 0
; COMPUTE_PGM_RSRC3_GFX90A:TG_SPLIT: 0
	.section	.text._ZN7rocprim17ROCPRIM_400000_NS6detail17trampoline_kernelINS0_14default_configENS1_25transform_config_selectorIlLb0EEEZNS1_14transform_implILb0ES3_S5_NS0_18transform_iteratorINS0_17counting_iteratorImlEEZNS1_24adjacent_difference_implIS3_Lb1ELb0EPlSB_ZN2at6native12_GLOBAL__N_124unique_dim_cuda_templateIN3c108BFloat16EEESt5tupleIJNSC_6TensorESJ_SJ_EERKSJ_lbbbEUlllE1_EE10hipError_tPvRmT2_T3_mT4_P12ihipStream_tbEUlmE_lEESB_NS0_8identityIvEEEESO_SR_SS_mST_SV_bEUlT_E_NS1_11comp_targetILNS1_3genE0ELNS1_11target_archE4294967295ELNS1_3gpuE0ELNS1_3repE0EEENS1_30default_config_static_selectorELNS0_4arch9wavefront6targetE1EEEvT1_,"axG",@progbits,_ZN7rocprim17ROCPRIM_400000_NS6detail17trampoline_kernelINS0_14default_configENS1_25transform_config_selectorIlLb0EEEZNS1_14transform_implILb0ES3_S5_NS0_18transform_iteratorINS0_17counting_iteratorImlEEZNS1_24adjacent_difference_implIS3_Lb1ELb0EPlSB_ZN2at6native12_GLOBAL__N_124unique_dim_cuda_templateIN3c108BFloat16EEESt5tupleIJNSC_6TensorESJ_SJ_EERKSJ_lbbbEUlllE1_EE10hipError_tPvRmT2_T3_mT4_P12ihipStream_tbEUlmE_lEESB_NS0_8identityIvEEEESO_SR_SS_mST_SV_bEUlT_E_NS1_11comp_targetILNS1_3genE0ELNS1_11target_archE4294967295ELNS1_3gpuE0ELNS1_3repE0EEENS1_30default_config_static_selectorELNS0_4arch9wavefront6targetE1EEEvT1_,comdat
	.globl	_ZN7rocprim17ROCPRIM_400000_NS6detail17trampoline_kernelINS0_14default_configENS1_25transform_config_selectorIlLb0EEEZNS1_14transform_implILb0ES3_S5_NS0_18transform_iteratorINS0_17counting_iteratorImlEEZNS1_24adjacent_difference_implIS3_Lb1ELb0EPlSB_ZN2at6native12_GLOBAL__N_124unique_dim_cuda_templateIN3c108BFloat16EEESt5tupleIJNSC_6TensorESJ_SJ_EERKSJ_lbbbEUlllE1_EE10hipError_tPvRmT2_T3_mT4_P12ihipStream_tbEUlmE_lEESB_NS0_8identityIvEEEESO_SR_SS_mST_SV_bEUlT_E_NS1_11comp_targetILNS1_3genE0ELNS1_11target_archE4294967295ELNS1_3gpuE0ELNS1_3repE0EEENS1_30default_config_static_selectorELNS0_4arch9wavefront6targetE1EEEvT1_ ; -- Begin function _ZN7rocprim17ROCPRIM_400000_NS6detail17trampoline_kernelINS0_14default_configENS1_25transform_config_selectorIlLb0EEEZNS1_14transform_implILb0ES3_S5_NS0_18transform_iteratorINS0_17counting_iteratorImlEEZNS1_24adjacent_difference_implIS3_Lb1ELb0EPlSB_ZN2at6native12_GLOBAL__N_124unique_dim_cuda_templateIN3c108BFloat16EEESt5tupleIJNSC_6TensorESJ_SJ_EERKSJ_lbbbEUlllE1_EE10hipError_tPvRmT2_T3_mT4_P12ihipStream_tbEUlmE_lEESB_NS0_8identityIvEEEESO_SR_SS_mST_SV_bEUlT_E_NS1_11comp_targetILNS1_3genE0ELNS1_11target_archE4294967295ELNS1_3gpuE0ELNS1_3repE0EEENS1_30default_config_static_selectorELNS0_4arch9wavefront6targetE1EEEvT1_
	.p2align	8
	.type	_ZN7rocprim17ROCPRIM_400000_NS6detail17trampoline_kernelINS0_14default_configENS1_25transform_config_selectorIlLb0EEEZNS1_14transform_implILb0ES3_S5_NS0_18transform_iteratorINS0_17counting_iteratorImlEEZNS1_24adjacent_difference_implIS3_Lb1ELb0EPlSB_ZN2at6native12_GLOBAL__N_124unique_dim_cuda_templateIN3c108BFloat16EEESt5tupleIJNSC_6TensorESJ_SJ_EERKSJ_lbbbEUlllE1_EE10hipError_tPvRmT2_T3_mT4_P12ihipStream_tbEUlmE_lEESB_NS0_8identityIvEEEESO_SR_SS_mST_SV_bEUlT_E_NS1_11comp_targetILNS1_3genE0ELNS1_11target_archE4294967295ELNS1_3gpuE0ELNS1_3repE0EEENS1_30default_config_static_selectorELNS0_4arch9wavefront6targetE1EEEvT1_,@function
_ZN7rocprim17ROCPRIM_400000_NS6detail17trampoline_kernelINS0_14default_configENS1_25transform_config_selectorIlLb0EEEZNS1_14transform_implILb0ES3_S5_NS0_18transform_iteratorINS0_17counting_iteratorImlEEZNS1_24adjacent_difference_implIS3_Lb1ELb0EPlSB_ZN2at6native12_GLOBAL__N_124unique_dim_cuda_templateIN3c108BFloat16EEESt5tupleIJNSC_6TensorESJ_SJ_EERKSJ_lbbbEUlllE1_EE10hipError_tPvRmT2_T3_mT4_P12ihipStream_tbEUlmE_lEESB_NS0_8identityIvEEEESO_SR_SS_mST_SV_bEUlT_E_NS1_11comp_targetILNS1_3genE0ELNS1_11target_archE4294967295ELNS1_3gpuE0ELNS1_3repE0EEENS1_30default_config_static_selectorELNS0_4arch9wavefront6targetE1EEEvT1_: ; @_ZN7rocprim17ROCPRIM_400000_NS6detail17trampoline_kernelINS0_14default_configENS1_25transform_config_selectorIlLb0EEEZNS1_14transform_implILb0ES3_S5_NS0_18transform_iteratorINS0_17counting_iteratorImlEEZNS1_24adjacent_difference_implIS3_Lb1ELb0EPlSB_ZN2at6native12_GLOBAL__N_124unique_dim_cuda_templateIN3c108BFloat16EEESt5tupleIJNSC_6TensorESJ_SJ_EERKSJ_lbbbEUlllE1_EE10hipError_tPvRmT2_T3_mT4_P12ihipStream_tbEUlmE_lEESB_NS0_8identityIvEEEESO_SR_SS_mST_SV_bEUlT_E_NS1_11comp_targetILNS1_3genE0ELNS1_11target_archE4294967295ELNS1_3gpuE0ELNS1_3repE0EEENS1_30default_config_static_selectorELNS0_4arch9wavefront6targetE1EEEvT1_
; %bb.0:
	.section	.rodata,"a",@progbits
	.p2align	6, 0x0
	.amdhsa_kernel _ZN7rocprim17ROCPRIM_400000_NS6detail17trampoline_kernelINS0_14default_configENS1_25transform_config_selectorIlLb0EEEZNS1_14transform_implILb0ES3_S5_NS0_18transform_iteratorINS0_17counting_iteratorImlEEZNS1_24adjacent_difference_implIS3_Lb1ELb0EPlSB_ZN2at6native12_GLOBAL__N_124unique_dim_cuda_templateIN3c108BFloat16EEESt5tupleIJNSC_6TensorESJ_SJ_EERKSJ_lbbbEUlllE1_EE10hipError_tPvRmT2_T3_mT4_P12ihipStream_tbEUlmE_lEESB_NS0_8identityIvEEEESO_SR_SS_mST_SV_bEUlT_E_NS1_11comp_targetILNS1_3genE0ELNS1_11target_archE4294967295ELNS1_3gpuE0ELNS1_3repE0EEENS1_30default_config_static_selectorELNS0_4arch9wavefront6targetE1EEEvT1_
		.amdhsa_group_segment_fixed_size 0
		.amdhsa_private_segment_fixed_size 0
		.amdhsa_kernarg_size 56
		.amdhsa_user_sgpr_count 2
		.amdhsa_user_sgpr_dispatch_ptr 0
		.amdhsa_user_sgpr_queue_ptr 0
		.amdhsa_user_sgpr_kernarg_segment_ptr 1
		.amdhsa_user_sgpr_dispatch_id 0
		.amdhsa_user_sgpr_kernarg_preload_length 0
		.amdhsa_user_sgpr_kernarg_preload_offset 0
		.amdhsa_user_sgpr_private_segment_size 0
		.amdhsa_uses_dynamic_stack 0
		.amdhsa_enable_private_segment 0
		.amdhsa_system_sgpr_workgroup_id_x 1
		.amdhsa_system_sgpr_workgroup_id_y 0
		.amdhsa_system_sgpr_workgroup_id_z 0
		.amdhsa_system_sgpr_workgroup_info 0
		.amdhsa_system_vgpr_workitem_id 0
		.amdhsa_next_free_vgpr 1
		.amdhsa_next_free_sgpr 0
		.amdhsa_accum_offset 4
		.amdhsa_reserve_vcc 0
		.amdhsa_float_round_mode_32 0
		.amdhsa_float_round_mode_16_64 0
		.amdhsa_float_denorm_mode_32 3
		.amdhsa_float_denorm_mode_16_64 3
		.amdhsa_dx10_clamp 1
		.amdhsa_ieee_mode 1
		.amdhsa_fp16_overflow 0
		.amdhsa_tg_split 0
		.amdhsa_exception_fp_ieee_invalid_op 0
		.amdhsa_exception_fp_denorm_src 0
		.amdhsa_exception_fp_ieee_div_zero 0
		.amdhsa_exception_fp_ieee_overflow 0
		.amdhsa_exception_fp_ieee_underflow 0
		.amdhsa_exception_fp_ieee_inexact 0
		.amdhsa_exception_int_div_zero 0
	.end_amdhsa_kernel
	.section	.text._ZN7rocprim17ROCPRIM_400000_NS6detail17trampoline_kernelINS0_14default_configENS1_25transform_config_selectorIlLb0EEEZNS1_14transform_implILb0ES3_S5_NS0_18transform_iteratorINS0_17counting_iteratorImlEEZNS1_24adjacent_difference_implIS3_Lb1ELb0EPlSB_ZN2at6native12_GLOBAL__N_124unique_dim_cuda_templateIN3c108BFloat16EEESt5tupleIJNSC_6TensorESJ_SJ_EERKSJ_lbbbEUlllE1_EE10hipError_tPvRmT2_T3_mT4_P12ihipStream_tbEUlmE_lEESB_NS0_8identityIvEEEESO_SR_SS_mST_SV_bEUlT_E_NS1_11comp_targetILNS1_3genE0ELNS1_11target_archE4294967295ELNS1_3gpuE0ELNS1_3repE0EEENS1_30default_config_static_selectorELNS0_4arch9wavefront6targetE1EEEvT1_,"axG",@progbits,_ZN7rocprim17ROCPRIM_400000_NS6detail17trampoline_kernelINS0_14default_configENS1_25transform_config_selectorIlLb0EEEZNS1_14transform_implILb0ES3_S5_NS0_18transform_iteratorINS0_17counting_iteratorImlEEZNS1_24adjacent_difference_implIS3_Lb1ELb0EPlSB_ZN2at6native12_GLOBAL__N_124unique_dim_cuda_templateIN3c108BFloat16EEESt5tupleIJNSC_6TensorESJ_SJ_EERKSJ_lbbbEUlllE1_EE10hipError_tPvRmT2_T3_mT4_P12ihipStream_tbEUlmE_lEESB_NS0_8identityIvEEEESO_SR_SS_mST_SV_bEUlT_E_NS1_11comp_targetILNS1_3genE0ELNS1_11target_archE4294967295ELNS1_3gpuE0ELNS1_3repE0EEENS1_30default_config_static_selectorELNS0_4arch9wavefront6targetE1EEEvT1_,comdat
.Lfunc_end1165:
	.size	_ZN7rocprim17ROCPRIM_400000_NS6detail17trampoline_kernelINS0_14default_configENS1_25transform_config_selectorIlLb0EEEZNS1_14transform_implILb0ES3_S5_NS0_18transform_iteratorINS0_17counting_iteratorImlEEZNS1_24adjacent_difference_implIS3_Lb1ELb0EPlSB_ZN2at6native12_GLOBAL__N_124unique_dim_cuda_templateIN3c108BFloat16EEESt5tupleIJNSC_6TensorESJ_SJ_EERKSJ_lbbbEUlllE1_EE10hipError_tPvRmT2_T3_mT4_P12ihipStream_tbEUlmE_lEESB_NS0_8identityIvEEEESO_SR_SS_mST_SV_bEUlT_E_NS1_11comp_targetILNS1_3genE0ELNS1_11target_archE4294967295ELNS1_3gpuE0ELNS1_3repE0EEENS1_30default_config_static_selectorELNS0_4arch9wavefront6targetE1EEEvT1_, .Lfunc_end1165-_ZN7rocprim17ROCPRIM_400000_NS6detail17trampoline_kernelINS0_14default_configENS1_25transform_config_selectorIlLb0EEEZNS1_14transform_implILb0ES3_S5_NS0_18transform_iteratorINS0_17counting_iteratorImlEEZNS1_24adjacent_difference_implIS3_Lb1ELb0EPlSB_ZN2at6native12_GLOBAL__N_124unique_dim_cuda_templateIN3c108BFloat16EEESt5tupleIJNSC_6TensorESJ_SJ_EERKSJ_lbbbEUlllE1_EE10hipError_tPvRmT2_T3_mT4_P12ihipStream_tbEUlmE_lEESB_NS0_8identityIvEEEESO_SR_SS_mST_SV_bEUlT_E_NS1_11comp_targetILNS1_3genE0ELNS1_11target_archE4294967295ELNS1_3gpuE0ELNS1_3repE0EEENS1_30default_config_static_selectorELNS0_4arch9wavefront6targetE1EEEvT1_
                                        ; -- End function
	.section	.AMDGPU.csdata,"",@progbits
; Kernel info:
; codeLenInByte = 0
; NumSgprs: 6
; NumVgprs: 0
; NumAgprs: 0
; TotalNumVgprs: 0
; ScratchSize: 0
; MemoryBound: 0
; FloatMode: 240
; IeeeMode: 1
; LDSByteSize: 0 bytes/workgroup (compile time only)
; SGPRBlocks: 0
; VGPRBlocks: 0
; NumSGPRsForWavesPerEU: 6
; NumVGPRsForWavesPerEU: 1
; AccumOffset: 4
; Occupancy: 8
; WaveLimiterHint : 0
; COMPUTE_PGM_RSRC2:SCRATCH_EN: 0
; COMPUTE_PGM_RSRC2:USER_SGPR: 2
; COMPUTE_PGM_RSRC2:TRAP_HANDLER: 0
; COMPUTE_PGM_RSRC2:TGID_X_EN: 1
; COMPUTE_PGM_RSRC2:TGID_Y_EN: 0
; COMPUTE_PGM_RSRC2:TGID_Z_EN: 0
; COMPUTE_PGM_RSRC2:TIDIG_COMP_CNT: 0
; COMPUTE_PGM_RSRC3_GFX90A:ACCUM_OFFSET: 0
; COMPUTE_PGM_RSRC3_GFX90A:TG_SPLIT: 0
	.section	.text._ZN7rocprim17ROCPRIM_400000_NS6detail17trampoline_kernelINS0_14default_configENS1_25transform_config_selectorIlLb0EEEZNS1_14transform_implILb0ES3_S5_NS0_18transform_iteratorINS0_17counting_iteratorImlEEZNS1_24adjacent_difference_implIS3_Lb1ELb0EPlSB_ZN2at6native12_GLOBAL__N_124unique_dim_cuda_templateIN3c108BFloat16EEESt5tupleIJNSC_6TensorESJ_SJ_EERKSJ_lbbbEUlllE1_EE10hipError_tPvRmT2_T3_mT4_P12ihipStream_tbEUlmE_lEESB_NS0_8identityIvEEEESO_SR_SS_mST_SV_bEUlT_E_NS1_11comp_targetILNS1_3genE5ELNS1_11target_archE942ELNS1_3gpuE9ELNS1_3repE0EEENS1_30default_config_static_selectorELNS0_4arch9wavefront6targetE1EEEvT1_,"axG",@progbits,_ZN7rocprim17ROCPRIM_400000_NS6detail17trampoline_kernelINS0_14default_configENS1_25transform_config_selectorIlLb0EEEZNS1_14transform_implILb0ES3_S5_NS0_18transform_iteratorINS0_17counting_iteratorImlEEZNS1_24adjacent_difference_implIS3_Lb1ELb0EPlSB_ZN2at6native12_GLOBAL__N_124unique_dim_cuda_templateIN3c108BFloat16EEESt5tupleIJNSC_6TensorESJ_SJ_EERKSJ_lbbbEUlllE1_EE10hipError_tPvRmT2_T3_mT4_P12ihipStream_tbEUlmE_lEESB_NS0_8identityIvEEEESO_SR_SS_mST_SV_bEUlT_E_NS1_11comp_targetILNS1_3genE5ELNS1_11target_archE942ELNS1_3gpuE9ELNS1_3repE0EEENS1_30default_config_static_selectorELNS0_4arch9wavefront6targetE1EEEvT1_,comdat
	.globl	_ZN7rocprim17ROCPRIM_400000_NS6detail17trampoline_kernelINS0_14default_configENS1_25transform_config_selectorIlLb0EEEZNS1_14transform_implILb0ES3_S5_NS0_18transform_iteratorINS0_17counting_iteratorImlEEZNS1_24adjacent_difference_implIS3_Lb1ELb0EPlSB_ZN2at6native12_GLOBAL__N_124unique_dim_cuda_templateIN3c108BFloat16EEESt5tupleIJNSC_6TensorESJ_SJ_EERKSJ_lbbbEUlllE1_EE10hipError_tPvRmT2_T3_mT4_P12ihipStream_tbEUlmE_lEESB_NS0_8identityIvEEEESO_SR_SS_mST_SV_bEUlT_E_NS1_11comp_targetILNS1_3genE5ELNS1_11target_archE942ELNS1_3gpuE9ELNS1_3repE0EEENS1_30default_config_static_selectorELNS0_4arch9wavefront6targetE1EEEvT1_ ; -- Begin function _ZN7rocprim17ROCPRIM_400000_NS6detail17trampoline_kernelINS0_14default_configENS1_25transform_config_selectorIlLb0EEEZNS1_14transform_implILb0ES3_S5_NS0_18transform_iteratorINS0_17counting_iteratorImlEEZNS1_24adjacent_difference_implIS3_Lb1ELb0EPlSB_ZN2at6native12_GLOBAL__N_124unique_dim_cuda_templateIN3c108BFloat16EEESt5tupleIJNSC_6TensorESJ_SJ_EERKSJ_lbbbEUlllE1_EE10hipError_tPvRmT2_T3_mT4_P12ihipStream_tbEUlmE_lEESB_NS0_8identityIvEEEESO_SR_SS_mST_SV_bEUlT_E_NS1_11comp_targetILNS1_3genE5ELNS1_11target_archE942ELNS1_3gpuE9ELNS1_3repE0EEENS1_30default_config_static_selectorELNS0_4arch9wavefront6targetE1EEEvT1_
	.p2align	8
	.type	_ZN7rocprim17ROCPRIM_400000_NS6detail17trampoline_kernelINS0_14default_configENS1_25transform_config_selectorIlLb0EEEZNS1_14transform_implILb0ES3_S5_NS0_18transform_iteratorINS0_17counting_iteratorImlEEZNS1_24adjacent_difference_implIS3_Lb1ELb0EPlSB_ZN2at6native12_GLOBAL__N_124unique_dim_cuda_templateIN3c108BFloat16EEESt5tupleIJNSC_6TensorESJ_SJ_EERKSJ_lbbbEUlllE1_EE10hipError_tPvRmT2_T3_mT4_P12ihipStream_tbEUlmE_lEESB_NS0_8identityIvEEEESO_SR_SS_mST_SV_bEUlT_E_NS1_11comp_targetILNS1_3genE5ELNS1_11target_archE942ELNS1_3gpuE9ELNS1_3repE0EEENS1_30default_config_static_selectorELNS0_4arch9wavefront6targetE1EEEvT1_,@function
_ZN7rocprim17ROCPRIM_400000_NS6detail17trampoline_kernelINS0_14default_configENS1_25transform_config_selectorIlLb0EEEZNS1_14transform_implILb0ES3_S5_NS0_18transform_iteratorINS0_17counting_iteratorImlEEZNS1_24adjacent_difference_implIS3_Lb1ELb0EPlSB_ZN2at6native12_GLOBAL__N_124unique_dim_cuda_templateIN3c108BFloat16EEESt5tupleIJNSC_6TensorESJ_SJ_EERKSJ_lbbbEUlllE1_EE10hipError_tPvRmT2_T3_mT4_P12ihipStream_tbEUlmE_lEESB_NS0_8identityIvEEEESO_SR_SS_mST_SV_bEUlT_E_NS1_11comp_targetILNS1_3genE5ELNS1_11target_archE942ELNS1_3gpuE9ELNS1_3repE0EEENS1_30default_config_static_selectorELNS0_4arch9wavefront6targetE1EEEvT1_: ; @_ZN7rocprim17ROCPRIM_400000_NS6detail17trampoline_kernelINS0_14default_configENS1_25transform_config_selectorIlLb0EEEZNS1_14transform_implILb0ES3_S5_NS0_18transform_iteratorINS0_17counting_iteratorImlEEZNS1_24adjacent_difference_implIS3_Lb1ELb0EPlSB_ZN2at6native12_GLOBAL__N_124unique_dim_cuda_templateIN3c108BFloat16EEESt5tupleIJNSC_6TensorESJ_SJ_EERKSJ_lbbbEUlllE1_EE10hipError_tPvRmT2_T3_mT4_P12ihipStream_tbEUlmE_lEESB_NS0_8identityIvEEEESO_SR_SS_mST_SV_bEUlT_E_NS1_11comp_targetILNS1_3genE5ELNS1_11target_archE942ELNS1_3gpuE9ELNS1_3repE0EEENS1_30default_config_static_selectorELNS0_4arch9wavefront6targetE1EEEvT1_
; %bb.0:
	s_load_dwordx4 s[8:11], s[0:1], 0x18
	s_load_dwordx2 s[12:13], s[0:1], 0x28
	s_load_dwordx4 s[4:7], s[0:1], 0x0
	s_load_dword s14, s[0:1], 0x10
	s_load_dword s3, s[0:1], 0x38
	s_waitcnt lgkmcnt(0)
	s_lshl_b64 s[0:1], s[8:9], 3
	s_add_u32 s11, s12, s0
	s_addc_u32 s16, s13, s1
	s_lshl_b32 s12, s2, 10
	s_add_i32 s3, s3, -1
	s_add_u32 s0, s4, s12
	s_addc_u32 s1, s5, 0
	s_add_u32 s4, s0, s8
	s_addc_u32 s5, s1, s9
	s_mov_b32 s13, 0
	s_cmp_lg_u32 s2, s3
	v_lshlrev_b32_e32 v6, 3, v0
	s_cbranch_scc0 .LBB1166_2
; %bb.1:
	v_mov_b32_e32 v1, 0
	v_lshl_add_u64 v[2:3], s[4:5], 0, v[0:1]
	v_mad_u64_u32 v[4:5], s[0:1], v2, s14, 0
	v_mov_b32_e32 v2, v5
	v_mad_u64_u32 v[2:3], s[0:1], v3, s14, v[2:3]
	s_mov_b32 s15, s13
	v_mov_b32_e32 v5, v2
	v_lshl_add_u64 v[2:3], v[4:5], 3, s[6:7]
	s_lshl_b64 s[0:1], s[14:15], 12
	global_load_dwordx2 v[10:11], v[2:3], off
	v_lshl_add_u64 v[2:3], v[2:3], 0, s[0:1]
	global_load_dwordx2 v[4:5], v[2:3], off
	s_lshl_b64 s[2:3], s[12:13], 3
	s_add_u32 s2, s11, s2
	v_mov_b32_e32 v7, v1
	s_addc_u32 s3, s16, s3
	v_lshl_add_u64 v[8:9], s[2:3], 0, v[6:7]
	s_waitcnt vmcnt(1)
	global_store_dwordx2 v6, v[10:11], s[2:3]
	s_mov_b64 s[2:3], -1
	s_cbranch_execz .LBB1166_3
	s_branch .LBB1166_12
.LBB1166_2:
	s_mov_b64 s[2:3], 0
                                        ; implicit-def: $vgpr4_vgpr5
                                        ; implicit-def: $vgpr8_vgpr9
.LBB1166_3:
	s_sub_i32 s8, s10, s12
	v_cmp_gt_u32_e32 vcc, s8, v0
                                        ; implicit-def: $vgpr2_vgpr3_vgpr4_vgpr5
	s_and_saveexec_b64 s[0:1], vcc
	s_cbranch_execz .LBB1166_5
; %bb.4:
	v_mov_b32_e32 v1, 0
	v_lshl_add_u64 v[2:3], s[4:5], 0, v[0:1]
	s_waitcnt vmcnt(1)
	v_mad_u64_u32 v[4:5], s[18:19], v2, s14, 0
	v_mov_b32_e32 v2, v5
	v_mad_u64_u32 v[2:3], s[18:19], v3, s14, v[2:3]
	v_mov_b32_e32 v5, v2
	v_lshl_add_u64 v[2:3], v[4:5], 3, s[6:7]
	global_load_dwordx2 v[2:3], v[2:3], off
.LBB1166_5:
	s_or_b64 exec, exec, s[0:1]
	v_or_b32_e32 v0, 0x200, v0
	v_cmp_gt_u32_e64 s[0:1], s8, v0
	s_and_saveexec_b64 s[8:9], s[0:1]
	s_cbranch_execz .LBB1166_7
; %bb.6:
	v_mov_b32_e32 v1, 0
	v_lshl_add_u64 v[0:1], s[4:5], 0, v[0:1]
	s_waitcnt vmcnt(1)
	v_mad_u64_u32 v[4:5], s[4:5], v0, s14, 0
	v_mov_b32_e32 v0, v5
	v_mad_u64_u32 v[0:1], s[4:5], v1, s14, v[0:1]
	v_mov_b32_e32 v5, v0
	v_lshl_add_u64 v[0:1], v[4:5], 3, s[6:7]
	global_load_dwordx2 v[4:5], v[0:1], off
.LBB1166_7:
	s_or_b64 exec, exec, s[8:9]
	s_lshl_b64 s[4:5], s[12:13], 3
	s_add_u32 s4, s11, s4
	s_addc_u32 s5, s16, s5
	v_mov_b32_e32 v7, 0
	v_lshl_add_u64 v[8:9], s[4:5], 0, v[6:7]
	s_and_saveexec_b64 s[4:5], vcc
	s_cbranch_execz .LBB1166_9
; %bb.8:
	s_waitcnt vmcnt(0)
	global_store_dwordx2 v[8:9], v[2:3], off
.LBB1166_9:
	s_or_b64 exec, exec, s[4:5]
	s_and_saveexec_b64 s[4:5], s[0:1]
; %bb.10:
	s_or_b64 s[2:3], s[2:3], exec
; %bb.11:
	s_or_b64 exec, exec, s[4:5]
.LBB1166_12:
	s_and_saveexec_b64 s[0:1], s[2:3]
	s_cbranch_execnz .LBB1166_14
; %bb.13:
	s_endpgm
.LBB1166_14:
	v_add_co_u32_e32 v0, vcc, 0x1000, v8
	s_nop 1
	v_addc_co_u32_e32 v1, vcc, 0, v9, vcc
	s_waitcnt vmcnt(0)
	global_store_dwordx2 v[0:1], v[4:5], off
	s_endpgm
	.section	.rodata,"a",@progbits
	.p2align	6, 0x0
	.amdhsa_kernel _ZN7rocprim17ROCPRIM_400000_NS6detail17trampoline_kernelINS0_14default_configENS1_25transform_config_selectorIlLb0EEEZNS1_14transform_implILb0ES3_S5_NS0_18transform_iteratorINS0_17counting_iteratorImlEEZNS1_24adjacent_difference_implIS3_Lb1ELb0EPlSB_ZN2at6native12_GLOBAL__N_124unique_dim_cuda_templateIN3c108BFloat16EEESt5tupleIJNSC_6TensorESJ_SJ_EERKSJ_lbbbEUlllE1_EE10hipError_tPvRmT2_T3_mT4_P12ihipStream_tbEUlmE_lEESB_NS0_8identityIvEEEESO_SR_SS_mST_SV_bEUlT_E_NS1_11comp_targetILNS1_3genE5ELNS1_11target_archE942ELNS1_3gpuE9ELNS1_3repE0EEENS1_30default_config_static_selectorELNS0_4arch9wavefront6targetE1EEEvT1_
		.amdhsa_group_segment_fixed_size 0
		.amdhsa_private_segment_fixed_size 0
		.amdhsa_kernarg_size 312
		.amdhsa_user_sgpr_count 2
		.amdhsa_user_sgpr_dispatch_ptr 0
		.amdhsa_user_sgpr_queue_ptr 0
		.amdhsa_user_sgpr_kernarg_segment_ptr 1
		.amdhsa_user_sgpr_dispatch_id 0
		.amdhsa_user_sgpr_kernarg_preload_length 0
		.amdhsa_user_sgpr_kernarg_preload_offset 0
		.amdhsa_user_sgpr_private_segment_size 0
		.amdhsa_uses_dynamic_stack 0
		.amdhsa_enable_private_segment 0
		.amdhsa_system_sgpr_workgroup_id_x 1
		.amdhsa_system_sgpr_workgroup_id_y 0
		.amdhsa_system_sgpr_workgroup_id_z 0
		.amdhsa_system_sgpr_workgroup_info 0
		.amdhsa_system_vgpr_workitem_id 0
		.amdhsa_next_free_vgpr 12
		.amdhsa_next_free_sgpr 20
		.amdhsa_accum_offset 12
		.amdhsa_reserve_vcc 1
		.amdhsa_float_round_mode_32 0
		.amdhsa_float_round_mode_16_64 0
		.amdhsa_float_denorm_mode_32 3
		.amdhsa_float_denorm_mode_16_64 3
		.amdhsa_dx10_clamp 1
		.amdhsa_ieee_mode 1
		.amdhsa_fp16_overflow 0
		.amdhsa_tg_split 0
		.amdhsa_exception_fp_ieee_invalid_op 0
		.amdhsa_exception_fp_denorm_src 0
		.amdhsa_exception_fp_ieee_div_zero 0
		.amdhsa_exception_fp_ieee_overflow 0
		.amdhsa_exception_fp_ieee_underflow 0
		.amdhsa_exception_fp_ieee_inexact 0
		.amdhsa_exception_int_div_zero 0
	.end_amdhsa_kernel
	.section	.text._ZN7rocprim17ROCPRIM_400000_NS6detail17trampoline_kernelINS0_14default_configENS1_25transform_config_selectorIlLb0EEEZNS1_14transform_implILb0ES3_S5_NS0_18transform_iteratorINS0_17counting_iteratorImlEEZNS1_24adjacent_difference_implIS3_Lb1ELb0EPlSB_ZN2at6native12_GLOBAL__N_124unique_dim_cuda_templateIN3c108BFloat16EEESt5tupleIJNSC_6TensorESJ_SJ_EERKSJ_lbbbEUlllE1_EE10hipError_tPvRmT2_T3_mT4_P12ihipStream_tbEUlmE_lEESB_NS0_8identityIvEEEESO_SR_SS_mST_SV_bEUlT_E_NS1_11comp_targetILNS1_3genE5ELNS1_11target_archE942ELNS1_3gpuE9ELNS1_3repE0EEENS1_30default_config_static_selectorELNS0_4arch9wavefront6targetE1EEEvT1_,"axG",@progbits,_ZN7rocprim17ROCPRIM_400000_NS6detail17trampoline_kernelINS0_14default_configENS1_25transform_config_selectorIlLb0EEEZNS1_14transform_implILb0ES3_S5_NS0_18transform_iteratorINS0_17counting_iteratorImlEEZNS1_24adjacent_difference_implIS3_Lb1ELb0EPlSB_ZN2at6native12_GLOBAL__N_124unique_dim_cuda_templateIN3c108BFloat16EEESt5tupleIJNSC_6TensorESJ_SJ_EERKSJ_lbbbEUlllE1_EE10hipError_tPvRmT2_T3_mT4_P12ihipStream_tbEUlmE_lEESB_NS0_8identityIvEEEESO_SR_SS_mST_SV_bEUlT_E_NS1_11comp_targetILNS1_3genE5ELNS1_11target_archE942ELNS1_3gpuE9ELNS1_3repE0EEENS1_30default_config_static_selectorELNS0_4arch9wavefront6targetE1EEEvT1_,comdat
.Lfunc_end1166:
	.size	_ZN7rocprim17ROCPRIM_400000_NS6detail17trampoline_kernelINS0_14default_configENS1_25transform_config_selectorIlLb0EEEZNS1_14transform_implILb0ES3_S5_NS0_18transform_iteratorINS0_17counting_iteratorImlEEZNS1_24adjacent_difference_implIS3_Lb1ELb0EPlSB_ZN2at6native12_GLOBAL__N_124unique_dim_cuda_templateIN3c108BFloat16EEESt5tupleIJNSC_6TensorESJ_SJ_EERKSJ_lbbbEUlllE1_EE10hipError_tPvRmT2_T3_mT4_P12ihipStream_tbEUlmE_lEESB_NS0_8identityIvEEEESO_SR_SS_mST_SV_bEUlT_E_NS1_11comp_targetILNS1_3genE5ELNS1_11target_archE942ELNS1_3gpuE9ELNS1_3repE0EEENS1_30default_config_static_selectorELNS0_4arch9wavefront6targetE1EEEvT1_, .Lfunc_end1166-_ZN7rocprim17ROCPRIM_400000_NS6detail17trampoline_kernelINS0_14default_configENS1_25transform_config_selectorIlLb0EEEZNS1_14transform_implILb0ES3_S5_NS0_18transform_iteratorINS0_17counting_iteratorImlEEZNS1_24adjacent_difference_implIS3_Lb1ELb0EPlSB_ZN2at6native12_GLOBAL__N_124unique_dim_cuda_templateIN3c108BFloat16EEESt5tupleIJNSC_6TensorESJ_SJ_EERKSJ_lbbbEUlllE1_EE10hipError_tPvRmT2_T3_mT4_P12ihipStream_tbEUlmE_lEESB_NS0_8identityIvEEEESO_SR_SS_mST_SV_bEUlT_E_NS1_11comp_targetILNS1_3genE5ELNS1_11target_archE942ELNS1_3gpuE9ELNS1_3repE0EEENS1_30default_config_static_selectorELNS0_4arch9wavefront6targetE1EEEvT1_
                                        ; -- End function
	.section	.AMDGPU.csdata,"",@progbits
; Kernel info:
; codeLenInByte = 488
; NumSgprs: 26
; NumVgprs: 12
; NumAgprs: 0
; TotalNumVgprs: 12
; ScratchSize: 0
; MemoryBound: 0
; FloatMode: 240
; IeeeMode: 1
; LDSByteSize: 0 bytes/workgroup (compile time only)
; SGPRBlocks: 3
; VGPRBlocks: 1
; NumSGPRsForWavesPerEU: 26
; NumVGPRsForWavesPerEU: 12
; AccumOffset: 12
; Occupancy: 8
; WaveLimiterHint : 0
; COMPUTE_PGM_RSRC2:SCRATCH_EN: 0
; COMPUTE_PGM_RSRC2:USER_SGPR: 2
; COMPUTE_PGM_RSRC2:TRAP_HANDLER: 0
; COMPUTE_PGM_RSRC2:TGID_X_EN: 1
; COMPUTE_PGM_RSRC2:TGID_Y_EN: 0
; COMPUTE_PGM_RSRC2:TGID_Z_EN: 0
; COMPUTE_PGM_RSRC2:TIDIG_COMP_CNT: 0
; COMPUTE_PGM_RSRC3_GFX90A:ACCUM_OFFSET: 2
; COMPUTE_PGM_RSRC3_GFX90A:TG_SPLIT: 0
	.section	.text._ZN7rocprim17ROCPRIM_400000_NS6detail17trampoline_kernelINS0_14default_configENS1_25transform_config_selectorIlLb0EEEZNS1_14transform_implILb0ES3_S5_NS0_18transform_iteratorINS0_17counting_iteratorImlEEZNS1_24adjacent_difference_implIS3_Lb1ELb0EPlSB_ZN2at6native12_GLOBAL__N_124unique_dim_cuda_templateIN3c108BFloat16EEESt5tupleIJNSC_6TensorESJ_SJ_EERKSJ_lbbbEUlllE1_EE10hipError_tPvRmT2_T3_mT4_P12ihipStream_tbEUlmE_lEESB_NS0_8identityIvEEEESO_SR_SS_mST_SV_bEUlT_E_NS1_11comp_targetILNS1_3genE4ELNS1_11target_archE910ELNS1_3gpuE8ELNS1_3repE0EEENS1_30default_config_static_selectorELNS0_4arch9wavefront6targetE1EEEvT1_,"axG",@progbits,_ZN7rocprim17ROCPRIM_400000_NS6detail17trampoline_kernelINS0_14default_configENS1_25transform_config_selectorIlLb0EEEZNS1_14transform_implILb0ES3_S5_NS0_18transform_iteratorINS0_17counting_iteratorImlEEZNS1_24adjacent_difference_implIS3_Lb1ELb0EPlSB_ZN2at6native12_GLOBAL__N_124unique_dim_cuda_templateIN3c108BFloat16EEESt5tupleIJNSC_6TensorESJ_SJ_EERKSJ_lbbbEUlllE1_EE10hipError_tPvRmT2_T3_mT4_P12ihipStream_tbEUlmE_lEESB_NS0_8identityIvEEEESO_SR_SS_mST_SV_bEUlT_E_NS1_11comp_targetILNS1_3genE4ELNS1_11target_archE910ELNS1_3gpuE8ELNS1_3repE0EEENS1_30default_config_static_selectorELNS0_4arch9wavefront6targetE1EEEvT1_,comdat
	.globl	_ZN7rocprim17ROCPRIM_400000_NS6detail17trampoline_kernelINS0_14default_configENS1_25transform_config_selectorIlLb0EEEZNS1_14transform_implILb0ES3_S5_NS0_18transform_iteratorINS0_17counting_iteratorImlEEZNS1_24adjacent_difference_implIS3_Lb1ELb0EPlSB_ZN2at6native12_GLOBAL__N_124unique_dim_cuda_templateIN3c108BFloat16EEESt5tupleIJNSC_6TensorESJ_SJ_EERKSJ_lbbbEUlllE1_EE10hipError_tPvRmT2_T3_mT4_P12ihipStream_tbEUlmE_lEESB_NS0_8identityIvEEEESO_SR_SS_mST_SV_bEUlT_E_NS1_11comp_targetILNS1_3genE4ELNS1_11target_archE910ELNS1_3gpuE8ELNS1_3repE0EEENS1_30default_config_static_selectorELNS0_4arch9wavefront6targetE1EEEvT1_ ; -- Begin function _ZN7rocprim17ROCPRIM_400000_NS6detail17trampoline_kernelINS0_14default_configENS1_25transform_config_selectorIlLb0EEEZNS1_14transform_implILb0ES3_S5_NS0_18transform_iteratorINS0_17counting_iteratorImlEEZNS1_24adjacent_difference_implIS3_Lb1ELb0EPlSB_ZN2at6native12_GLOBAL__N_124unique_dim_cuda_templateIN3c108BFloat16EEESt5tupleIJNSC_6TensorESJ_SJ_EERKSJ_lbbbEUlllE1_EE10hipError_tPvRmT2_T3_mT4_P12ihipStream_tbEUlmE_lEESB_NS0_8identityIvEEEESO_SR_SS_mST_SV_bEUlT_E_NS1_11comp_targetILNS1_3genE4ELNS1_11target_archE910ELNS1_3gpuE8ELNS1_3repE0EEENS1_30default_config_static_selectorELNS0_4arch9wavefront6targetE1EEEvT1_
	.p2align	8
	.type	_ZN7rocprim17ROCPRIM_400000_NS6detail17trampoline_kernelINS0_14default_configENS1_25transform_config_selectorIlLb0EEEZNS1_14transform_implILb0ES3_S5_NS0_18transform_iteratorINS0_17counting_iteratorImlEEZNS1_24adjacent_difference_implIS3_Lb1ELb0EPlSB_ZN2at6native12_GLOBAL__N_124unique_dim_cuda_templateIN3c108BFloat16EEESt5tupleIJNSC_6TensorESJ_SJ_EERKSJ_lbbbEUlllE1_EE10hipError_tPvRmT2_T3_mT4_P12ihipStream_tbEUlmE_lEESB_NS0_8identityIvEEEESO_SR_SS_mST_SV_bEUlT_E_NS1_11comp_targetILNS1_3genE4ELNS1_11target_archE910ELNS1_3gpuE8ELNS1_3repE0EEENS1_30default_config_static_selectorELNS0_4arch9wavefront6targetE1EEEvT1_,@function
_ZN7rocprim17ROCPRIM_400000_NS6detail17trampoline_kernelINS0_14default_configENS1_25transform_config_selectorIlLb0EEEZNS1_14transform_implILb0ES3_S5_NS0_18transform_iteratorINS0_17counting_iteratorImlEEZNS1_24adjacent_difference_implIS3_Lb1ELb0EPlSB_ZN2at6native12_GLOBAL__N_124unique_dim_cuda_templateIN3c108BFloat16EEESt5tupleIJNSC_6TensorESJ_SJ_EERKSJ_lbbbEUlllE1_EE10hipError_tPvRmT2_T3_mT4_P12ihipStream_tbEUlmE_lEESB_NS0_8identityIvEEEESO_SR_SS_mST_SV_bEUlT_E_NS1_11comp_targetILNS1_3genE4ELNS1_11target_archE910ELNS1_3gpuE8ELNS1_3repE0EEENS1_30default_config_static_selectorELNS0_4arch9wavefront6targetE1EEEvT1_: ; @_ZN7rocprim17ROCPRIM_400000_NS6detail17trampoline_kernelINS0_14default_configENS1_25transform_config_selectorIlLb0EEEZNS1_14transform_implILb0ES3_S5_NS0_18transform_iteratorINS0_17counting_iteratorImlEEZNS1_24adjacent_difference_implIS3_Lb1ELb0EPlSB_ZN2at6native12_GLOBAL__N_124unique_dim_cuda_templateIN3c108BFloat16EEESt5tupleIJNSC_6TensorESJ_SJ_EERKSJ_lbbbEUlllE1_EE10hipError_tPvRmT2_T3_mT4_P12ihipStream_tbEUlmE_lEESB_NS0_8identityIvEEEESO_SR_SS_mST_SV_bEUlT_E_NS1_11comp_targetILNS1_3genE4ELNS1_11target_archE910ELNS1_3gpuE8ELNS1_3repE0EEENS1_30default_config_static_selectorELNS0_4arch9wavefront6targetE1EEEvT1_
; %bb.0:
	.section	.rodata,"a",@progbits
	.p2align	6, 0x0
	.amdhsa_kernel _ZN7rocprim17ROCPRIM_400000_NS6detail17trampoline_kernelINS0_14default_configENS1_25transform_config_selectorIlLb0EEEZNS1_14transform_implILb0ES3_S5_NS0_18transform_iteratorINS0_17counting_iteratorImlEEZNS1_24adjacent_difference_implIS3_Lb1ELb0EPlSB_ZN2at6native12_GLOBAL__N_124unique_dim_cuda_templateIN3c108BFloat16EEESt5tupleIJNSC_6TensorESJ_SJ_EERKSJ_lbbbEUlllE1_EE10hipError_tPvRmT2_T3_mT4_P12ihipStream_tbEUlmE_lEESB_NS0_8identityIvEEEESO_SR_SS_mST_SV_bEUlT_E_NS1_11comp_targetILNS1_3genE4ELNS1_11target_archE910ELNS1_3gpuE8ELNS1_3repE0EEENS1_30default_config_static_selectorELNS0_4arch9wavefront6targetE1EEEvT1_
		.amdhsa_group_segment_fixed_size 0
		.amdhsa_private_segment_fixed_size 0
		.amdhsa_kernarg_size 56
		.amdhsa_user_sgpr_count 2
		.amdhsa_user_sgpr_dispatch_ptr 0
		.amdhsa_user_sgpr_queue_ptr 0
		.amdhsa_user_sgpr_kernarg_segment_ptr 1
		.amdhsa_user_sgpr_dispatch_id 0
		.amdhsa_user_sgpr_kernarg_preload_length 0
		.amdhsa_user_sgpr_kernarg_preload_offset 0
		.amdhsa_user_sgpr_private_segment_size 0
		.amdhsa_uses_dynamic_stack 0
		.amdhsa_enable_private_segment 0
		.amdhsa_system_sgpr_workgroup_id_x 1
		.amdhsa_system_sgpr_workgroup_id_y 0
		.amdhsa_system_sgpr_workgroup_id_z 0
		.amdhsa_system_sgpr_workgroup_info 0
		.amdhsa_system_vgpr_workitem_id 0
		.amdhsa_next_free_vgpr 1
		.amdhsa_next_free_sgpr 0
		.amdhsa_accum_offset 4
		.amdhsa_reserve_vcc 0
		.amdhsa_float_round_mode_32 0
		.amdhsa_float_round_mode_16_64 0
		.amdhsa_float_denorm_mode_32 3
		.amdhsa_float_denorm_mode_16_64 3
		.amdhsa_dx10_clamp 1
		.amdhsa_ieee_mode 1
		.amdhsa_fp16_overflow 0
		.amdhsa_tg_split 0
		.amdhsa_exception_fp_ieee_invalid_op 0
		.amdhsa_exception_fp_denorm_src 0
		.amdhsa_exception_fp_ieee_div_zero 0
		.amdhsa_exception_fp_ieee_overflow 0
		.amdhsa_exception_fp_ieee_underflow 0
		.amdhsa_exception_fp_ieee_inexact 0
		.amdhsa_exception_int_div_zero 0
	.end_amdhsa_kernel
	.section	.text._ZN7rocprim17ROCPRIM_400000_NS6detail17trampoline_kernelINS0_14default_configENS1_25transform_config_selectorIlLb0EEEZNS1_14transform_implILb0ES3_S5_NS0_18transform_iteratorINS0_17counting_iteratorImlEEZNS1_24adjacent_difference_implIS3_Lb1ELb0EPlSB_ZN2at6native12_GLOBAL__N_124unique_dim_cuda_templateIN3c108BFloat16EEESt5tupleIJNSC_6TensorESJ_SJ_EERKSJ_lbbbEUlllE1_EE10hipError_tPvRmT2_T3_mT4_P12ihipStream_tbEUlmE_lEESB_NS0_8identityIvEEEESO_SR_SS_mST_SV_bEUlT_E_NS1_11comp_targetILNS1_3genE4ELNS1_11target_archE910ELNS1_3gpuE8ELNS1_3repE0EEENS1_30default_config_static_selectorELNS0_4arch9wavefront6targetE1EEEvT1_,"axG",@progbits,_ZN7rocprim17ROCPRIM_400000_NS6detail17trampoline_kernelINS0_14default_configENS1_25transform_config_selectorIlLb0EEEZNS1_14transform_implILb0ES3_S5_NS0_18transform_iteratorINS0_17counting_iteratorImlEEZNS1_24adjacent_difference_implIS3_Lb1ELb0EPlSB_ZN2at6native12_GLOBAL__N_124unique_dim_cuda_templateIN3c108BFloat16EEESt5tupleIJNSC_6TensorESJ_SJ_EERKSJ_lbbbEUlllE1_EE10hipError_tPvRmT2_T3_mT4_P12ihipStream_tbEUlmE_lEESB_NS0_8identityIvEEEESO_SR_SS_mST_SV_bEUlT_E_NS1_11comp_targetILNS1_3genE4ELNS1_11target_archE910ELNS1_3gpuE8ELNS1_3repE0EEENS1_30default_config_static_selectorELNS0_4arch9wavefront6targetE1EEEvT1_,comdat
.Lfunc_end1167:
	.size	_ZN7rocprim17ROCPRIM_400000_NS6detail17trampoline_kernelINS0_14default_configENS1_25transform_config_selectorIlLb0EEEZNS1_14transform_implILb0ES3_S5_NS0_18transform_iteratorINS0_17counting_iteratorImlEEZNS1_24adjacent_difference_implIS3_Lb1ELb0EPlSB_ZN2at6native12_GLOBAL__N_124unique_dim_cuda_templateIN3c108BFloat16EEESt5tupleIJNSC_6TensorESJ_SJ_EERKSJ_lbbbEUlllE1_EE10hipError_tPvRmT2_T3_mT4_P12ihipStream_tbEUlmE_lEESB_NS0_8identityIvEEEESO_SR_SS_mST_SV_bEUlT_E_NS1_11comp_targetILNS1_3genE4ELNS1_11target_archE910ELNS1_3gpuE8ELNS1_3repE0EEENS1_30default_config_static_selectorELNS0_4arch9wavefront6targetE1EEEvT1_, .Lfunc_end1167-_ZN7rocprim17ROCPRIM_400000_NS6detail17trampoline_kernelINS0_14default_configENS1_25transform_config_selectorIlLb0EEEZNS1_14transform_implILb0ES3_S5_NS0_18transform_iteratorINS0_17counting_iteratorImlEEZNS1_24adjacent_difference_implIS3_Lb1ELb0EPlSB_ZN2at6native12_GLOBAL__N_124unique_dim_cuda_templateIN3c108BFloat16EEESt5tupleIJNSC_6TensorESJ_SJ_EERKSJ_lbbbEUlllE1_EE10hipError_tPvRmT2_T3_mT4_P12ihipStream_tbEUlmE_lEESB_NS0_8identityIvEEEESO_SR_SS_mST_SV_bEUlT_E_NS1_11comp_targetILNS1_3genE4ELNS1_11target_archE910ELNS1_3gpuE8ELNS1_3repE0EEENS1_30default_config_static_selectorELNS0_4arch9wavefront6targetE1EEEvT1_
                                        ; -- End function
	.section	.AMDGPU.csdata,"",@progbits
; Kernel info:
; codeLenInByte = 0
; NumSgprs: 6
; NumVgprs: 0
; NumAgprs: 0
; TotalNumVgprs: 0
; ScratchSize: 0
; MemoryBound: 0
; FloatMode: 240
; IeeeMode: 1
; LDSByteSize: 0 bytes/workgroup (compile time only)
; SGPRBlocks: 0
; VGPRBlocks: 0
; NumSGPRsForWavesPerEU: 6
; NumVGPRsForWavesPerEU: 1
; AccumOffset: 4
; Occupancy: 8
; WaveLimiterHint : 0
; COMPUTE_PGM_RSRC2:SCRATCH_EN: 0
; COMPUTE_PGM_RSRC2:USER_SGPR: 2
; COMPUTE_PGM_RSRC2:TRAP_HANDLER: 0
; COMPUTE_PGM_RSRC2:TGID_X_EN: 1
; COMPUTE_PGM_RSRC2:TGID_Y_EN: 0
; COMPUTE_PGM_RSRC2:TGID_Z_EN: 0
; COMPUTE_PGM_RSRC2:TIDIG_COMP_CNT: 0
; COMPUTE_PGM_RSRC3_GFX90A:ACCUM_OFFSET: 0
; COMPUTE_PGM_RSRC3_GFX90A:TG_SPLIT: 0
	.section	.text._ZN7rocprim17ROCPRIM_400000_NS6detail17trampoline_kernelINS0_14default_configENS1_25transform_config_selectorIlLb0EEEZNS1_14transform_implILb0ES3_S5_NS0_18transform_iteratorINS0_17counting_iteratorImlEEZNS1_24adjacent_difference_implIS3_Lb1ELb0EPlSB_ZN2at6native12_GLOBAL__N_124unique_dim_cuda_templateIN3c108BFloat16EEESt5tupleIJNSC_6TensorESJ_SJ_EERKSJ_lbbbEUlllE1_EE10hipError_tPvRmT2_T3_mT4_P12ihipStream_tbEUlmE_lEESB_NS0_8identityIvEEEESO_SR_SS_mST_SV_bEUlT_E_NS1_11comp_targetILNS1_3genE3ELNS1_11target_archE908ELNS1_3gpuE7ELNS1_3repE0EEENS1_30default_config_static_selectorELNS0_4arch9wavefront6targetE1EEEvT1_,"axG",@progbits,_ZN7rocprim17ROCPRIM_400000_NS6detail17trampoline_kernelINS0_14default_configENS1_25transform_config_selectorIlLb0EEEZNS1_14transform_implILb0ES3_S5_NS0_18transform_iteratorINS0_17counting_iteratorImlEEZNS1_24adjacent_difference_implIS3_Lb1ELb0EPlSB_ZN2at6native12_GLOBAL__N_124unique_dim_cuda_templateIN3c108BFloat16EEESt5tupleIJNSC_6TensorESJ_SJ_EERKSJ_lbbbEUlllE1_EE10hipError_tPvRmT2_T3_mT4_P12ihipStream_tbEUlmE_lEESB_NS0_8identityIvEEEESO_SR_SS_mST_SV_bEUlT_E_NS1_11comp_targetILNS1_3genE3ELNS1_11target_archE908ELNS1_3gpuE7ELNS1_3repE0EEENS1_30default_config_static_selectorELNS0_4arch9wavefront6targetE1EEEvT1_,comdat
	.globl	_ZN7rocprim17ROCPRIM_400000_NS6detail17trampoline_kernelINS0_14default_configENS1_25transform_config_selectorIlLb0EEEZNS1_14transform_implILb0ES3_S5_NS0_18transform_iteratorINS0_17counting_iteratorImlEEZNS1_24adjacent_difference_implIS3_Lb1ELb0EPlSB_ZN2at6native12_GLOBAL__N_124unique_dim_cuda_templateIN3c108BFloat16EEESt5tupleIJNSC_6TensorESJ_SJ_EERKSJ_lbbbEUlllE1_EE10hipError_tPvRmT2_T3_mT4_P12ihipStream_tbEUlmE_lEESB_NS0_8identityIvEEEESO_SR_SS_mST_SV_bEUlT_E_NS1_11comp_targetILNS1_3genE3ELNS1_11target_archE908ELNS1_3gpuE7ELNS1_3repE0EEENS1_30default_config_static_selectorELNS0_4arch9wavefront6targetE1EEEvT1_ ; -- Begin function _ZN7rocprim17ROCPRIM_400000_NS6detail17trampoline_kernelINS0_14default_configENS1_25transform_config_selectorIlLb0EEEZNS1_14transform_implILb0ES3_S5_NS0_18transform_iteratorINS0_17counting_iteratorImlEEZNS1_24adjacent_difference_implIS3_Lb1ELb0EPlSB_ZN2at6native12_GLOBAL__N_124unique_dim_cuda_templateIN3c108BFloat16EEESt5tupleIJNSC_6TensorESJ_SJ_EERKSJ_lbbbEUlllE1_EE10hipError_tPvRmT2_T3_mT4_P12ihipStream_tbEUlmE_lEESB_NS0_8identityIvEEEESO_SR_SS_mST_SV_bEUlT_E_NS1_11comp_targetILNS1_3genE3ELNS1_11target_archE908ELNS1_3gpuE7ELNS1_3repE0EEENS1_30default_config_static_selectorELNS0_4arch9wavefront6targetE1EEEvT1_
	.p2align	8
	.type	_ZN7rocprim17ROCPRIM_400000_NS6detail17trampoline_kernelINS0_14default_configENS1_25transform_config_selectorIlLb0EEEZNS1_14transform_implILb0ES3_S5_NS0_18transform_iteratorINS0_17counting_iteratorImlEEZNS1_24adjacent_difference_implIS3_Lb1ELb0EPlSB_ZN2at6native12_GLOBAL__N_124unique_dim_cuda_templateIN3c108BFloat16EEESt5tupleIJNSC_6TensorESJ_SJ_EERKSJ_lbbbEUlllE1_EE10hipError_tPvRmT2_T3_mT4_P12ihipStream_tbEUlmE_lEESB_NS0_8identityIvEEEESO_SR_SS_mST_SV_bEUlT_E_NS1_11comp_targetILNS1_3genE3ELNS1_11target_archE908ELNS1_3gpuE7ELNS1_3repE0EEENS1_30default_config_static_selectorELNS0_4arch9wavefront6targetE1EEEvT1_,@function
_ZN7rocprim17ROCPRIM_400000_NS6detail17trampoline_kernelINS0_14default_configENS1_25transform_config_selectorIlLb0EEEZNS1_14transform_implILb0ES3_S5_NS0_18transform_iteratorINS0_17counting_iteratorImlEEZNS1_24adjacent_difference_implIS3_Lb1ELb0EPlSB_ZN2at6native12_GLOBAL__N_124unique_dim_cuda_templateIN3c108BFloat16EEESt5tupleIJNSC_6TensorESJ_SJ_EERKSJ_lbbbEUlllE1_EE10hipError_tPvRmT2_T3_mT4_P12ihipStream_tbEUlmE_lEESB_NS0_8identityIvEEEESO_SR_SS_mST_SV_bEUlT_E_NS1_11comp_targetILNS1_3genE3ELNS1_11target_archE908ELNS1_3gpuE7ELNS1_3repE0EEENS1_30default_config_static_selectorELNS0_4arch9wavefront6targetE1EEEvT1_: ; @_ZN7rocprim17ROCPRIM_400000_NS6detail17trampoline_kernelINS0_14default_configENS1_25transform_config_selectorIlLb0EEEZNS1_14transform_implILb0ES3_S5_NS0_18transform_iteratorINS0_17counting_iteratorImlEEZNS1_24adjacent_difference_implIS3_Lb1ELb0EPlSB_ZN2at6native12_GLOBAL__N_124unique_dim_cuda_templateIN3c108BFloat16EEESt5tupleIJNSC_6TensorESJ_SJ_EERKSJ_lbbbEUlllE1_EE10hipError_tPvRmT2_T3_mT4_P12ihipStream_tbEUlmE_lEESB_NS0_8identityIvEEEESO_SR_SS_mST_SV_bEUlT_E_NS1_11comp_targetILNS1_3genE3ELNS1_11target_archE908ELNS1_3gpuE7ELNS1_3repE0EEENS1_30default_config_static_selectorELNS0_4arch9wavefront6targetE1EEEvT1_
; %bb.0:
	.section	.rodata,"a",@progbits
	.p2align	6, 0x0
	.amdhsa_kernel _ZN7rocprim17ROCPRIM_400000_NS6detail17trampoline_kernelINS0_14default_configENS1_25transform_config_selectorIlLb0EEEZNS1_14transform_implILb0ES3_S5_NS0_18transform_iteratorINS0_17counting_iteratorImlEEZNS1_24adjacent_difference_implIS3_Lb1ELb0EPlSB_ZN2at6native12_GLOBAL__N_124unique_dim_cuda_templateIN3c108BFloat16EEESt5tupleIJNSC_6TensorESJ_SJ_EERKSJ_lbbbEUlllE1_EE10hipError_tPvRmT2_T3_mT4_P12ihipStream_tbEUlmE_lEESB_NS0_8identityIvEEEESO_SR_SS_mST_SV_bEUlT_E_NS1_11comp_targetILNS1_3genE3ELNS1_11target_archE908ELNS1_3gpuE7ELNS1_3repE0EEENS1_30default_config_static_selectorELNS0_4arch9wavefront6targetE1EEEvT1_
		.amdhsa_group_segment_fixed_size 0
		.amdhsa_private_segment_fixed_size 0
		.amdhsa_kernarg_size 56
		.amdhsa_user_sgpr_count 2
		.amdhsa_user_sgpr_dispatch_ptr 0
		.amdhsa_user_sgpr_queue_ptr 0
		.amdhsa_user_sgpr_kernarg_segment_ptr 1
		.amdhsa_user_sgpr_dispatch_id 0
		.amdhsa_user_sgpr_kernarg_preload_length 0
		.amdhsa_user_sgpr_kernarg_preload_offset 0
		.amdhsa_user_sgpr_private_segment_size 0
		.amdhsa_uses_dynamic_stack 0
		.amdhsa_enable_private_segment 0
		.amdhsa_system_sgpr_workgroup_id_x 1
		.amdhsa_system_sgpr_workgroup_id_y 0
		.amdhsa_system_sgpr_workgroup_id_z 0
		.amdhsa_system_sgpr_workgroup_info 0
		.amdhsa_system_vgpr_workitem_id 0
		.amdhsa_next_free_vgpr 1
		.amdhsa_next_free_sgpr 0
		.amdhsa_accum_offset 4
		.amdhsa_reserve_vcc 0
		.amdhsa_float_round_mode_32 0
		.amdhsa_float_round_mode_16_64 0
		.amdhsa_float_denorm_mode_32 3
		.amdhsa_float_denorm_mode_16_64 3
		.amdhsa_dx10_clamp 1
		.amdhsa_ieee_mode 1
		.amdhsa_fp16_overflow 0
		.amdhsa_tg_split 0
		.amdhsa_exception_fp_ieee_invalid_op 0
		.amdhsa_exception_fp_denorm_src 0
		.amdhsa_exception_fp_ieee_div_zero 0
		.amdhsa_exception_fp_ieee_overflow 0
		.amdhsa_exception_fp_ieee_underflow 0
		.amdhsa_exception_fp_ieee_inexact 0
		.amdhsa_exception_int_div_zero 0
	.end_amdhsa_kernel
	.section	.text._ZN7rocprim17ROCPRIM_400000_NS6detail17trampoline_kernelINS0_14default_configENS1_25transform_config_selectorIlLb0EEEZNS1_14transform_implILb0ES3_S5_NS0_18transform_iteratorINS0_17counting_iteratorImlEEZNS1_24adjacent_difference_implIS3_Lb1ELb0EPlSB_ZN2at6native12_GLOBAL__N_124unique_dim_cuda_templateIN3c108BFloat16EEESt5tupleIJNSC_6TensorESJ_SJ_EERKSJ_lbbbEUlllE1_EE10hipError_tPvRmT2_T3_mT4_P12ihipStream_tbEUlmE_lEESB_NS0_8identityIvEEEESO_SR_SS_mST_SV_bEUlT_E_NS1_11comp_targetILNS1_3genE3ELNS1_11target_archE908ELNS1_3gpuE7ELNS1_3repE0EEENS1_30default_config_static_selectorELNS0_4arch9wavefront6targetE1EEEvT1_,"axG",@progbits,_ZN7rocprim17ROCPRIM_400000_NS6detail17trampoline_kernelINS0_14default_configENS1_25transform_config_selectorIlLb0EEEZNS1_14transform_implILb0ES3_S5_NS0_18transform_iteratorINS0_17counting_iteratorImlEEZNS1_24adjacent_difference_implIS3_Lb1ELb0EPlSB_ZN2at6native12_GLOBAL__N_124unique_dim_cuda_templateIN3c108BFloat16EEESt5tupleIJNSC_6TensorESJ_SJ_EERKSJ_lbbbEUlllE1_EE10hipError_tPvRmT2_T3_mT4_P12ihipStream_tbEUlmE_lEESB_NS0_8identityIvEEEESO_SR_SS_mST_SV_bEUlT_E_NS1_11comp_targetILNS1_3genE3ELNS1_11target_archE908ELNS1_3gpuE7ELNS1_3repE0EEENS1_30default_config_static_selectorELNS0_4arch9wavefront6targetE1EEEvT1_,comdat
.Lfunc_end1168:
	.size	_ZN7rocprim17ROCPRIM_400000_NS6detail17trampoline_kernelINS0_14default_configENS1_25transform_config_selectorIlLb0EEEZNS1_14transform_implILb0ES3_S5_NS0_18transform_iteratorINS0_17counting_iteratorImlEEZNS1_24adjacent_difference_implIS3_Lb1ELb0EPlSB_ZN2at6native12_GLOBAL__N_124unique_dim_cuda_templateIN3c108BFloat16EEESt5tupleIJNSC_6TensorESJ_SJ_EERKSJ_lbbbEUlllE1_EE10hipError_tPvRmT2_T3_mT4_P12ihipStream_tbEUlmE_lEESB_NS0_8identityIvEEEESO_SR_SS_mST_SV_bEUlT_E_NS1_11comp_targetILNS1_3genE3ELNS1_11target_archE908ELNS1_3gpuE7ELNS1_3repE0EEENS1_30default_config_static_selectorELNS0_4arch9wavefront6targetE1EEEvT1_, .Lfunc_end1168-_ZN7rocprim17ROCPRIM_400000_NS6detail17trampoline_kernelINS0_14default_configENS1_25transform_config_selectorIlLb0EEEZNS1_14transform_implILb0ES3_S5_NS0_18transform_iteratorINS0_17counting_iteratorImlEEZNS1_24adjacent_difference_implIS3_Lb1ELb0EPlSB_ZN2at6native12_GLOBAL__N_124unique_dim_cuda_templateIN3c108BFloat16EEESt5tupleIJNSC_6TensorESJ_SJ_EERKSJ_lbbbEUlllE1_EE10hipError_tPvRmT2_T3_mT4_P12ihipStream_tbEUlmE_lEESB_NS0_8identityIvEEEESO_SR_SS_mST_SV_bEUlT_E_NS1_11comp_targetILNS1_3genE3ELNS1_11target_archE908ELNS1_3gpuE7ELNS1_3repE0EEENS1_30default_config_static_selectorELNS0_4arch9wavefront6targetE1EEEvT1_
                                        ; -- End function
	.section	.AMDGPU.csdata,"",@progbits
; Kernel info:
; codeLenInByte = 0
; NumSgprs: 6
; NumVgprs: 0
; NumAgprs: 0
; TotalNumVgprs: 0
; ScratchSize: 0
; MemoryBound: 0
; FloatMode: 240
; IeeeMode: 1
; LDSByteSize: 0 bytes/workgroup (compile time only)
; SGPRBlocks: 0
; VGPRBlocks: 0
; NumSGPRsForWavesPerEU: 6
; NumVGPRsForWavesPerEU: 1
; AccumOffset: 4
; Occupancy: 8
; WaveLimiterHint : 0
; COMPUTE_PGM_RSRC2:SCRATCH_EN: 0
; COMPUTE_PGM_RSRC2:USER_SGPR: 2
; COMPUTE_PGM_RSRC2:TRAP_HANDLER: 0
; COMPUTE_PGM_RSRC2:TGID_X_EN: 1
; COMPUTE_PGM_RSRC2:TGID_Y_EN: 0
; COMPUTE_PGM_RSRC2:TGID_Z_EN: 0
; COMPUTE_PGM_RSRC2:TIDIG_COMP_CNT: 0
; COMPUTE_PGM_RSRC3_GFX90A:ACCUM_OFFSET: 0
; COMPUTE_PGM_RSRC3_GFX90A:TG_SPLIT: 0
	.section	.text._ZN7rocprim17ROCPRIM_400000_NS6detail17trampoline_kernelINS0_14default_configENS1_25transform_config_selectorIlLb0EEEZNS1_14transform_implILb0ES3_S5_NS0_18transform_iteratorINS0_17counting_iteratorImlEEZNS1_24adjacent_difference_implIS3_Lb1ELb0EPlSB_ZN2at6native12_GLOBAL__N_124unique_dim_cuda_templateIN3c108BFloat16EEESt5tupleIJNSC_6TensorESJ_SJ_EERKSJ_lbbbEUlllE1_EE10hipError_tPvRmT2_T3_mT4_P12ihipStream_tbEUlmE_lEESB_NS0_8identityIvEEEESO_SR_SS_mST_SV_bEUlT_E_NS1_11comp_targetILNS1_3genE2ELNS1_11target_archE906ELNS1_3gpuE6ELNS1_3repE0EEENS1_30default_config_static_selectorELNS0_4arch9wavefront6targetE1EEEvT1_,"axG",@progbits,_ZN7rocprim17ROCPRIM_400000_NS6detail17trampoline_kernelINS0_14default_configENS1_25transform_config_selectorIlLb0EEEZNS1_14transform_implILb0ES3_S5_NS0_18transform_iteratorINS0_17counting_iteratorImlEEZNS1_24adjacent_difference_implIS3_Lb1ELb0EPlSB_ZN2at6native12_GLOBAL__N_124unique_dim_cuda_templateIN3c108BFloat16EEESt5tupleIJNSC_6TensorESJ_SJ_EERKSJ_lbbbEUlllE1_EE10hipError_tPvRmT2_T3_mT4_P12ihipStream_tbEUlmE_lEESB_NS0_8identityIvEEEESO_SR_SS_mST_SV_bEUlT_E_NS1_11comp_targetILNS1_3genE2ELNS1_11target_archE906ELNS1_3gpuE6ELNS1_3repE0EEENS1_30default_config_static_selectorELNS0_4arch9wavefront6targetE1EEEvT1_,comdat
	.globl	_ZN7rocprim17ROCPRIM_400000_NS6detail17trampoline_kernelINS0_14default_configENS1_25transform_config_selectorIlLb0EEEZNS1_14transform_implILb0ES3_S5_NS0_18transform_iteratorINS0_17counting_iteratorImlEEZNS1_24adjacent_difference_implIS3_Lb1ELb0EPlSB_ZN2at6native12_GLOBAL__N_124unique_dim_cuda_templateIN3c108BFloat16EEESt5tupleIJNSC_6TensorESJ_SJ_EERKSJ_lbbbEUlllE1_EE10hipError_tPvRmT2_T3_mT4_P12ihipStream_tbEUlmE_lEESB_NS0_8identityIvEEEESO_SR_SS_mST_SV_bEUlT_E_NS1_11comp_targetILNS1_3genE2ELNS1_11target_archE906ELNS1_3gpuE6ELNS1_3repE0EEENS1_30default_config_static_selectorELNS0_4arch9wavefront6targetE1EEEvT1_ ; -- Begin function _ZN7rocprim17ROCPRIM_400000_NS6detail17trampoline_kernelINS0_14default_configENS1_25transform_config_selectorIlLb0EEEZNS1_14transform_implILb0ES3_S5_NS0_18transform_iteratorINS0_17counting_iteratorImlEEZNS1_24adjacent_difference_implIS3_Lb1ELb0EPlSB_ZN2at6native12_GLOBAL__N_124unique_dim_cuda_templateIN3c108BFloat16EEESt5tupleIJNSC_6TensorESJ_SJ_EERKSJ_lbbbEUlllE1_EE10hipError_tPvRmT2_T3_mT4_P12ihipStream_tbEUlmE_lEESB_NS0_8identityIvEEEESO_SR_SS_mST_SV_bEUlT_E_NS1_11comp_targetILNS1_3genE2ELNS1_11target_archE906ELNS1_3gpuE6ELNS1_3repE0EEENS1_30default_config_static_selectorELNS0_4arch9wavefront6targetE1EEEvT1_
	.p2align	8
	.type	_ZN7rocprim17ROCPRIM_400000_NS6detail17trampoline_kernelINS0_14default_configENS1_25transform_config_selectorIlLb0EEEZNS1_14transform_implILb0ES3_S5_NS0_18transform_iteratorINS0_17counting_iteratorImlEEZNS1_24adjacent_difference_implIS3_Lb1ELb0EPlSB_ZN2at6native12_GLOBAL__N_124unique_dim_cuda_templateIN3c108BFloat16EEESt5tupleIJNSC_6TensorESJ_SJ_EERKSJ_lbbbEUlllE1_EE10hipError_tPvRmT2_T3_mT4_P12ihipStream_tbEUlmE_lEESB_NS0_8identityIvEEEESO_SR_SS_mST_SV_bEUlT_E_NS1_11comp_targetILNS1_3genE2ELNS1_11target_archE906ELNS1_3gpuE6ELNS1_3repE0EEENS1_30default_config_static_selectorELNS0_4arch9wavefront6targetE1EEEvT1_,@function
_ZN7rocprim17ROCPRIM_400000_NS6detail17trampoline_kernelINS0_14default_configENS1_25transform_config_selectorIlLb0EEEZNS1_14transform_implILb0ES3_S5_NS0_18transform_iteratorINS0_17counting_iteratorImlEEZNS1_24adjacent_difference_implIS3_Lb1ELb0EPlSB_ZN2at6native12_GLOBAL__N_124unique_dim_cuda_templateIN3c108BFloat16EEESt5tupleIJNSC_6TensorESJ_SJ_EERKSJ_lbbbEUlllE1_EE10hipError_tPvRmT2_T3_mT4_P12ihipStream_tbEUlmE_lEESB_NS0_8identityIvEEEESO_SR_SS_mST_SV_bEUlT_E_NS1_11comp_targetILNS1_3genE2ELNS1_11target_archE906ELNS1_3gpuE6ELNS1_3repE0EEENS1_30default_config_static_selectorELNS0_4arch9wavefront6targetE1EEEvT1_: ; @_ZN7rocprim17ROCPRIM_400000_NS6detail17trampoline_kernelINS0_14default_configENS1_25transform_config_selectorIlLb0EEEZNS1_14transform_implILb0ES3_S5_NS0_18transform_iteratorINS0_17counting_iteratorImlEEZNS1_24adjacent_difference_implIS3_Lb1ELb0EPlSB_ZN2at6native12_GLOBAL__N_124unique_dim_cuda_templateIN3c108BFloat16EEESt5tupleIJNSC_6TensorESJ_SJ_EERKSJ_lbbbEUlllE1_EE10hipError_tPvRmT2_T3_mT4_P12ihipStream_tbEUlmE_lEESB_NS0_8identityIvEEEESO_SR_SS_mST_SV_bEUlT_E_NS1_11comp_targetILNS1_3genE2ELNS1_11target_archE906ELNS1_3gpuE6ELNS1_3repE0EEENS1_30default_config_static_selectorELNS0_4arch9wavefront6targetE1EEEvT1_
; %bb.0:
	.section	.rodata,"a",@progbits
	.p2align	6, 0x0
	.amdhsa_kernel _ZN7rocprim17ROCPRIM_400000_NS6detail17trampoline_kernelINS0_14default_configENS1_25transform_config_selectorIlLb0EEEZNS1_14transform_implILb0ES3_S5_NS0_18transform_iteratorINS0_17counting_iteratorImlEEZNS1_24adjacent_difference_implIS3_Lb1ELb0EPlSB_ZN2at6native12_GLOBAL__N_124unique_dim_cuda_templateIN3c108BFloat16EEESt5tupleIJNSC_6TensorESJ_SJ_EERKSJ_lbbbEUlllE1_EE10hipError_tPvRmT2_T3_mT4_P12ihipStream_tbEUlmE_lEESB_NS0_8identityIvEEEESO_SR_SS_mST_SV_bEUlT_E_NS1_11comp_targetILNS1_3genE2ELNS1_11target_archE906ELNS1_3gpuE6ELNS1_3repE0EEENS1_30default_config_static_selectorELNS0_4arch9wavefront6targetE1EEEvT1_
		.amdhsa_group_segment_fixed_size 0
		.amdhsa_private_segment_fixed_size 0
		.amdhsa_kernarg_size 56
		.amdhsa_user_sgpr_count 2
		.amdhsa_user_sgpr_dispatch_ptr 0
		.amdhsa_user_sgpr_queue_ptr 0
		.amdhsa_user_sgpr_kernarg_segment_ptr 1
		.amdhsa_user_sgpr_dispatch_id 0
		.amdhsa_user_sgpr_kernarg_preload_length 0
		.amdhsa_user_sgpr_kernarg_preload_offset 0
		.amdhsa_user_sgpr_private_segment_size 0
		.amdhsa_uses_dynamic_stack 0
		.amdhsa_enable_private_segment 0
		.amdhsa_system_sgpr_workgroup_id_x 1
		.amdhsa_system_sgpr_workgroup_id_y 0
		.amdhsa_system_sgpr_workgroup_id_z 0
		.amdhsa_system_sgpr_workgroup_info 0
		.amdhsa_system_vgpr_workitem_id 0
		.amdhsa_next_free_vgpr 1
		.amdhsa_next_free_sgpr 0
		.amdhsa_accum_offset 4
		.amdhsa_reserve_vcc 0
		.amdhsa_float_round_mode_32 0
		.amdhsa_float_round_mode_16_64 0
		.amdhsa_float_denorm_mode_32 3
		.amdhsa_float_denorm_mode_16_64 3
		.amdhsa_dx10_clamp 1
		.amdhsa_ieee_mode 1
		.amdhsa_fp16_overflow 0
		.amdhsa_tg_split 0
		.amdhsa_exception_fp_ieee_invalid_op 0
		.amdhsa_exception_fp_denorm_src 0
		.amdhsa_exception_fp_ieee_div_zero 0
		.amdhsa_exception_fp_ieee_overflow 0
		.amdhsa_exception_fp_ieee_underflow 0
		.amdhsa_exception_fp_ieee_inexact 0
		.amdhsa_exception_int_div_zero 0
	.end_amdhsa_kernel
	.section	.text._ZN7rocprim17ROCPRIM_400000_NS6detail17trampoline_kernelINS0_14default_configENS1_25transform_config_selectorIlLb0EEEZNS1_14transform_implILb0ES3_S5_NS0_18transform_iteratorINS0_17counting_iteratorImlEEZNS1_24adjacent_difference_implIS3_Lb1ELb0EPlSB_ZN2at6native12_GLOBAL__N_124unique_dim_cuda_templateIN3c108BFloat16EEESt5tupleIJNSC_6TensorESJ_SJ_EERKSJ_lbbbEUlllE1_EE10hipError_tPvRmT2_T3_mT4_P12ihipStream_tbEUlmE_lEESB_NS0_8identityIvEEEESO_SR_SS_mST_SV_bEUlT_E_NS1_11comp_targetILNS1_3genE2ELNS1_11target_archE906ELNS1_3gpuE6ELNS1_3repE0EEENS1_30default_config_static_selectorELNS0_4arch9wavefront6targetE1EEEvT1_,"axG",@progbits,_ZN7rocprim17ROCPRIM_400000_NS6detail17trampoline_kernelINS0_14default_configENS1_25transform_config_selectorIlLb0EEEZNS1_14transform_implILb0ES3_S5_NS0_18transform_iteratorINS0_17counting_iteratorImlEEZNS1_24adjacent_difference_implIS3_Lb1ELb0EPlSB_ZN2at6native12_GLOBAL__N_124unique_dim_cuda_templateIN3c108BFloat16EEESt5tupleIJNSC_6TensorESJ_SJ_EERKSJ_lbbbEUlllE1_EE10hipError_tPvRmT2_T3_mT4_P12ihipStream_tbEUlmE_lEESB_NS0_8identityIvEEEESO_SR_SS_mST_SV_bEUlT_E_NS1_11comp_targetILNS1_3genE2ELNS1_11target_archE906ELNS1_3gpuE6ELNS1_3repE0EEENS1_30default_config_static_selectorELNS0_4arch9wavefront6targetE1EEEvT1_,comdat
.Lfunc_end1169:
	.size	_ZN7rocprim17ROCPRIM_400000_NS6detail17trampoline_kernelINS0_14default_configENS1_25transform_config_selectorIlLb0EEEZNS1_14transform_implILb0ES3_S5_NS0_18transform_iteratorINS0_17counting_iteratorImlEEZNS1_24adjacent_difference_implIS3_Lb1ELb0EPlSB_ZN2at6native12_GLOBAL__N_124unique_dim_cuda_templateIN3c108BFloat16EEESt5tupleIJNSC_6TensorESJ_SJ_EERKSJ_lbbbEUlllE1_EE10hipError_tPvRmT2_T3_mT4_P12ihipStream_tbEUlmE_lEESB_NS0_8identityIvEEEESO_SR_SS_mST_SV_bEUlT_E_NS1_11comp_targetILNS1_3genE2ELNS1_11target_archE906ELNS1_3gpuE6ELNS1_3repE0EEENS1_30default_config_static_selectorELNS0_4arch9wavefront6targetE1EEEvT1_, .Lfunc_end1169-_ZN7rocprim17ROCPRIM_400000_NS6detail17trampoline_kernelINS0_14default_configENS1_25transform_config_selectorIlLb0EEEZNS1_14transform_implILb0ES3_S5_NS0_18transform_iteratorINS0_17counting_iteratorImlEEZNS1_24adjacent_difference_implIS3_Lb1ELb0EPlSB_ZN2at6native12_GLOBAL__N_124unique_dim_cuda_templateIN3c108BFloat16EEESt5tupleIJNSC_6TensorESJ_SJ_EERKSJ_lbbbEUlllE1_EE10hipError_tPvRmT2_T3_mT4_P12ihipStream_tbEUlmE_lEESB_NS0_8identityIvEEEESO_SR_SS_mST_SV_bEUlT_E_NS1_11comp_targetILNS1_3genE2ELNS1_11target_archE906ELNS1_3gpuE6ELNS1_3repE0EEENS1_30default_config_static_selectorELNS0_4arch9wavefront6targetE1EEEvT1_
                                        ; -- End function
	.section	.AMDGPU.csdata,"",@progbits
; Kernel info:
; codeLenInByte = 0
; NumSgprs: 6
; NumVgprs: 0
; NumAgprs: 0
; TotalNumVgprs: 0
; ScratchSize: 0
; MemoryBound: 0
; FloatMode: 240
; IeeeMode: 1
; LDSByteSize: 0 bytes/workgroup (compile time only)
; SGPRBlocks: 0
; VGPRBlocks: 0
; NumSGPRsForWavesPerEU: 6
; NumVGPRsForWavesPerEU: 1
; AccumOffset: 4
; Occupancy: 8
; WaveLimiterHint : 0
; COMPUTE_PGM_RSRC2:SCRATCH_EN: 0
; COMPUTE_PGM_RSRC2:USER_SGPR: 2
; COMPUTE_PGM_RSRC2:TRAP_HANDLER: 0
; COMPUTE_PGM_RSRC2:TGID_X_EN: 1
; COMPUTE_PGM_RSRC2:TGID_Y_EN: 0
; COMPUTE_PGM_RSRC2:TGID_Z_EN: 0
; COMPUTE_PGM_RSRC2:TIDIG_COMP_CNT: 0
; COMPUTE_PGM_RSRC3_GFX90A:ACCUM_OFFSET: 0
; COMPUTE_PGM_RSRC3_GFX90A:TG_SPLIT: 0
	.section	.text._ZN7rocprim17ROCPRIM_400000_NS6detail17trampoline_kernelINS0_14default_configENS1_25transform_config_selectorIlLb0EEEZNS1_14transform_implILb0ES3_S5_NS0_18transform_iteratorINS0_17counting_iteratorImlEEZNS1_24adjacent_difference_implIS3_Lb1ELb0EPlSB_ZN2at6native12_GLOBAL__N_124unique_dim_cuda_templateIN3c108BFloat16EEESt5tupleIJNSC_6TensorESJ_SJ_EERKSJ_lbbbEUlllE1_EE10hipError_tPvRmT2_T3_mT4_P12ihipStream_tbEUlmE_lEESB_NS0_8identityIvEEEESO_SR_SS_mST_SV_bEUlT_E_NS1_11comp_targetILNS1_3genE10ELNS1_11target_archE1201ELNS1_3gpuE5ELNS1_3repE0EEENS1_30default_config_static_selectorELNS0_4arch9wavefront6targetE1EEEvT1_,"axG",@progbits,_ZN7rocprim17ROCPRIM_400000_NS6detail17trampoline_kernelINS0_14default_configENS1_25transform_config_selectorIlLb0EEEZNS1_14transform_implILb0ES3_S5_NS0_18transform_iteratorINS0_17counting_iteratorImlEEZNS1_24adjacent_difference_implIS3_Lb1ELb0EPlSB_ZN2at6native12_GLOBAL__N_124unique_dim_cuda_templateIN3c108BFloat16EEESt5tupleIJNSC_6TensorESJ_SJ_EERKSJ_lbbbEUlllE1_EE10hipError_tPvRmT2_T3_mT4_P12ihipStream_tbEUlmE_lEESB_NS0_8identityIvEEEESO_SR_SS_mST_SV_bEUlT_E_NS1_11comp_targetILNS1_3genE10ELNS1_11target_archE1201ELNS1_3gpuE5ELNS1_3repE0EEENS1_30default_config_static_selectorELNS0_4arch9wavefront6targetE1EEEvT1_,comdat
	.globl	_ZN7rocprim17ROCPRIM_400000_NS6detail17trampoline_kernelINS0_14default_configENS1_25transform_config_selectorIlLb0EEEZNS1_14transform_implILb0ES3_S5_NS0_18transform_iteratorINS0_17counting_iteratorImlEEZNS1_24adjacent_difference_implIS3_Lb1ELb0EPlSB_ZN2at6native12_GLOBAL__N_124unique_dim_cuda_templateIN3c108BFloat16EEESt5tupleIJNSC_6TensorESJ_SJ_EERKSJ_lbbbEUlllE1_EE10hipError_tPvRmT2_T3_mT4_P12ihipStream_tbEUlmE_lEESB_NS0_8identityIvEEEESO_SR_SS_mST_SV_bEUlT_E_NS1_11comp_targetILNS1_3genE10ELNS1_11target_archE1201ELNS1_3gpuE5ELNS1_3repE0EEENS1_30default_config_static_selectorELNS0_4arch9wavefront6targetE1EEEvT1_ ; -- Begin function _ZN7rocprim17ROCPRIM_400000_NS6detail17trampoline_kernelINS0_14default_configENS1_25transform_config_selectorIlLb0EEEZNS1_14transform_implILb0ES3_S5_NS0_18transform_iteratorINS0_17counting_iteratorImlEEZNS1_24adjacent_difference_implIS3_Lb1ELb0EPlSB_ZN2at6native12_GLOBAL__N_124unique_dim_cuda_templateIN3c108BFloat16EEESt5tupleIJNSC_6TensorESJ_SJ_EERKSJ_lbbbEUlllE1_EE10hipError_tPvRmT2_T3_mT4_P12ihipStream_tbEUlmE_lEESB_NS0_8identityIvEEEESO_SR_SS_mST_SV_bEUlT_E_NS1_11comp_targetILNS1_3genE10ELNS1_11target_archE1201ELNS1_3gpuE5ELNS1_3repE0EEENS1_30default_config_static_selectorELNS0_4arch9wavefront6targetE1EEEvT1_
	.p2align	8
	.type	_ZN7rocprim17ROCPRIM_400000_NS6detail17trampoline_kernelINS0_14default_configENS1_25transform_config_selectorIlLb0EEEZNS1_14transform_implILb0ES3_S5_NS0_18transform_iteratorINS0_17counting_iteratorImlEEZNS1_24adjacent_difference_implIS3_Lb1ELb0EPlSB_ZN2at6native12_GLOBAL__N_124unique_dim_cuda_templateIN3c108BFloat16EEESt5tupleIJNSC_6TensorESJ_SJ_EERKSJ_lbbbEUlllE1_EE10hipError_tPvRmT2_T3_mT4_P12ihipStream_tbEUlmE_lEESB_NS0_8identityIvEEEESO_SR_SS_mST_SV_bEUlT_E_NS1_11comp_targetILNS1_3genE10ELNS1_11target_archE1201ELNS1_3gpuE5ELNS1_3repE0EEENS1_30default_config_static_selectorELNS0_4arch9wavefront6targetE1EEEvT1_,@function
_ZN7rocprim17ROCPRIM_400000_NS6detail17trampoline_kernelINS0_14default_configENS1_25transform_config_selectorIlLb0EEEZNS1_14transform_implILb0ES3_S5_NS0_18transform_iteratorINS0_17counting_iteratorImlEEZNS1_24adjacent_difference_implIS3_Lb1ELb0EPlSB_ZN2at6native12_GLOBAL__N_124unique_dim_cuda_templateIN3c108BFloat16EEESt5tupleIJNSC_6TensorESJ_SJ_EERKSJ_lbbbEUlllE1_EE10hipError_tPvRmT2_T3_mT4_P12ihipStream_tbEUlmE_lEESB_NS0_8identityIvEEEESO_SR_SS_mST_SV_bEUlT_E_NS1_11comp_targetILNS1_3genE10ELNS1_11target_archE1201ELNS1_3gpuE5ELNS1_3repE0EEENS1_30default_config_static_selectorELNS0_4arch9wavefront6targetE1EEEvT1_: ; @_ZN7rocprim17ROCPRIM_400000_NS6detail17trampoline_kernelINS0_14default_configENS1_25transform_config_selectorIlLb0EEEZNS1_14transform_implILb0ES3_S5_NS0_18transform_iteratorINS0_17counting_iteratorImlEEZNS1_24adjacent_difference_implIS3_Lb1ELb0EPlSB_ZN2at6native12_GLOBAL__N_124unique_dim_cuda_templateIN3c108BFloat16EEESt5tupleIJNSC_6TensorESJ_SJ_EERKSJ_lbbbEUlllE1_EE10hipError_tPvRmT2_T3_mT4_P12ihipStream_tbEUlmE_lEESB_NS0_8identityIvEEEESO_SR_SS_mST_SV_bEUlT_E_NS1_11comp_targetILNS1_3genE10ELNS1_11target_archE1201ELNS1_3gpuE5ELNS1_3repE0EEENS1_30default_config_static_selectorELNS0_4arch9wavefront6targetE1EEEvT1_
; %bb.0:
	.section	.rodata,"a",@progbits
	.p2align	6, 0x0
	.amdhsa_kernel _ZN7rocprim17ROCPRIM_400000_NS6detail17trampoline_kernelINS0_14default_configENS1_25transform_config_selectorIlLb0EEEZNS1_14transform_implILb0ES3_S5_NS0_18transform_iteratorINS0_17counting_iteratorImlEEZNS1_24adjacent_difference_implIS3_Lb1ELb0EPlSB_ZN2at6native12_GLOBAL__N_124unique_dim_cuda_templateIN3c108BFloat16EEESt5tupleIJNSC_6TensorESJ_SJ_EERKSJ_lbbbEUlllE1_EE10hipError_tPvRmT2_T3_mT4_P12ihipStream_tbEUlmE_lEESB_NS0_8identityIvEEEESO_SR_SS_mST_SV_bEUlT_E_NS1_11comp_targetILNS1_3genE10ELNS1_11target_archE1201ELNS1_3gpuE5ELNS1_3repE0EEENS1_30default_config_static_selectorELNS0_4arch9wavefront6targetE1EEEvT1_
		.amdhsa_group_segment_fixed_size 0
		.amdhsa_private_segment_fixed_size 0
		.amdhsa_kernarg_size 56
		.amdhsa_user_sgpr_count 2
		.amdhsa_user_sgpr_dispatch_ptr 0
		.amdhsa_user_sgpr_queue_ptr 0
		.amdhsa_user_sgpr_kernarg_segment_ptr 1
		.amdhsa_user_sgpr_dispatch_id 0
		.amdhsa_user_sgpr_kernarg_preload_length 0
		.amdhsa_user_sgpr_kernarg_preload_offset 0
		.amdhsa_user_sgpr_private_segment_size 0
		.amdhsa_uses_dynamic_stack 0
		.amdhsa_enable_private_segment 0
		.amdhsa_system_sgpr_workgroup_id_x 1
		.amdhsa_system_sgpr_workgroup_id_y 0
		.amdhsa_system_sgpr_workgroup_id_z 0
		.amdhsa_system_sgpr_workgroup_info 0
		.amdhsa_system_vgpr_workitem_id 0
		.amdhsa_next_free_vgpr 1
		.amdhsa_next_free_sgpr 0
		.amdhsa_accum_offset 4
		.amdhsa_reserve_vcc 0
		.amdhsa_float_round_mode_32 0
		.amdhsa_float_round_mode_16_64 0
		.amdhsa_float_denorm_mode_32 3
		.amdhsa_float_denorm_mode_16_64 3
		.amdhsa_dx10_clamp 1
		.amdhsa_ieee_mode 1
		.amdhsa_fp16_overflow 0
		.amdhsa_tg_split 0
		.amdhsa_exception_fp_ieee_invalid_op 0
		.amdhsa_exception_fp_denorm_src 0
		.amdhsa_exception_fp_ieee_div_zero 0
		.amdhsa_exception_fp_ieee_overflow 0
		.amdhsa_exception_fp_ieee_underflow 0
		.amdhsa_exception_fp_ieee_inexact 0
		.amdhsa_exception_int_div_zero 0
	.end_amdhsa_kernel
	.section	.text._ZN7rocprim17ROCPRIM_400000_NS6detail17trampoline_kernelINS0_14default_configENS1_25transform_config_selectorIlLb0EEEZNS1_14transform_implILb0ES3_S5_NS0_18transform_iteratorINS0_17counting_iteratorImlEEZNS1_24adjacent_difference_implIS3_Lb1ELb0EPlSB_ZN2at6native12_GLOBAL__N_124unique_dim_cuda_templateIN3c108BFloat16EEESt5tupleIJNSC_6TensorESJ_SJ_EERKSJ_lbbbEUlllE1_EE10hipError_tPvRmT2_T3_mT4_P12ihipStream_tbEUlmE_lEESB_NS0_8identityIvEEEESO_SR_SS_mST_SV_bEUlT_E_NS1_11comp_targetILNS1_3genE10ELNS1_11target_archE1201ELNS1_3gpuE5ELNS1_3repE0EEENS1_30default_config_static_selectorELNS0_4arch9wavefront6targetE1EEEvT1_,"axG",@progbits,_ZN7rocprim17ROCPRIM_400000_NS6detail17trampoline_kernelINS0_14default_configENS1_25transform_config_selectorIlLb0EEEZNS1_14transform_implILb0ES3_S5_NS0_18transform_iteratorINS0_17counting_iteratorImlEEZNS1_24adjacent_difference_implIS3_Lb1ELb0EPlSB_ZN2at6native12_GLOBAL__N_124unique_dim_cuda_templateIN3c108BFloat16EEESt5tupleIJNSC_6TensorESJ_SJ_EERKSJ_lbbbEUlllE1_EE10hipError_tPvRmT2_T3_mT4_P12ihipStream_tbEUlmE_lEESB_NS0_8identityIvEEEESO_SR_SS_mST_SV_bEUlT_E_NS1_11comp_targetILNS1_3genE10ELNS1_11target_archE1201ELNS1_3gpuE5ELNS1_3repE0EEENS1_30default_config_static_selectorELNS0_4arch9wavefront6targetE1EEEvT1_,comdat
.Lfunc_end1170:
	.size	_ZN7rocprim17ROCPRIM_400000_NS6detail17trampoline_kernelINS0_14default_configENS1_25transform_config_selectorIlLb0EEEZNS1_14transform_implILb0ES3_S5_NS0_18transform_iteratorINS0_17counting_iteratorImlEEZNS1_24adjacent_difference_implIS3_Lb1ELb0EPlSB_ZN2at6native12_GLOBAL__N_124unique_dim_cuda_templateIN3c108BFloat16EEESt5tupleIJNSC_6TensorESJ_SJ_EERKSJ_lbbbEUlllE1_EE10hipError_tPvRmT2_T3_mT4_P12ihipStream_tbEUlmE_lEESB_NS0_8identityIvEEEESO_SR_SS_mST_SV_bEUlT_E_NS1_11comp_targetILNS1_3genE10ELNS1_11target_archE1201ELNS1_3gpuE5ELNS1_3repE0EEENS1_30default_config_static_selectorELNS0_4arch9wavefront6targetE1EEEvT1_, .Lfunc_end1170-_ZN7rocprim17ROCPRIM_400000_NS6detail17trampoline_kernelINS0_14default_configENS1_25transform_config_selectorIlLb0EEEZNS1_14transform_implILb0ES3_S5_NS0_18transform_iteratorINS0_17counting_iteratorImlEEZNS1_24adjacent_difference_implIS3_Lb1ELb0EPlSB_ZN2at6native12_GLOBAL__N_124unique_dim_cuda_templateIN3c108BFloat16EEESt5tupleIJNSC_6TensorESJ_SJ_EERKSJ_lbbbEUlllE1_EE10hipError_tPvRmT2_T3_mT4_P12ihipStream_tbEUlmE_lEESB_NS0_8identityIvEEEESO_SR_SS_mST_SV_bEUlT_E_NS1_11comp_targetILNS1_3genE10ELNS1_11target_archE1201ELNS1_3gpuE5ELNS1_3repE0EEENS1_30default_config_static_selectorELNS0_4arch9wavefront6targetE1EEEvT1_
                                        ; -- End function
	.section	.AMDGPU.csdata,"",@progbits
; Kernel info:
; codeLenInByte = 0
; NumSgprs: 6
; NumVgprs: 0
; NumAgprs: 0
; TotalNumVgprs: 0
; ScratchSize: 0
; MemoryBound: 0
; FloatMode: 240
; IeeeMode: 1
; LDSByteSize: 0 bytes/workgroup (compile time only)
; SGPRBlocks: 0
; VGPRBlocks: 0
; NumSGPRsForWavesPerEU: 6
; NumVGPRsForWavesPerEU: 1
; AccumOffset: 4
; Occupancy: 8
; WaveLimiterHint : 0
; COMPUTE_PGM_RSRC2:SCRATCH_EN: 0
; COMPUTE_PGM_RSRC2:USER_SGPR: 2
; COMPUTE_PGM_RSRC2:TRAP_HANDLER: 0
; COMPUTE_PGM_RSRC2:TGID_X_EN: 1
; COMPUTE_PGM_RSRC2:TGID_Y_EN: 0
; COMPUTE_PGM_RSRC2:TGID_Z_EN: 0
; COMPUTE_PGM_RSRC2:TIDIG_COMP_CNT: 0
; COMPUTE_PGM_RSRC3_GFX90A:ACCUM_OFFSET: 0
; COMPUTE_PGM_RSRC3_GFX90A:TG_SPLIT: 0
	.section	.text._ZN7rocprim17ROCPRIM_400000_NS6detail17trampoline_kernelINS0_14default_configENS1_25transform_config_selectorIlLb0EEEZNS1_14transform_implILb0ES3_S5_NS0_18transform_iteratorINS0_17counting_iteratorImlEEZNS1_24adjacent_difference_implIS3_Lb1ELb0EPlSB_ZN2at6native12_GLOBAL__N_124unique_dim_cuda_templateIN3c108BFloat16EEESt5tupleIJNSC_6TensorESJ_SJ_EERKSJ_lbbbEUlllE1_EE10hipError_tPvRmT2_T3_mT4_P12ihipStream_tbEUlmE_lEESB_NS0_8identityIvEEEESO_SR_SS_mST_SV_bEUlT_E_NS1_11comp_targetILNS1_3genE10ELNS1_11target_archE1200ELNS1_3gpuE4ELNS1_3repE0EEENS1_30default_config_static_selectorELNS0_4arch9wavefront6targetE1EEEvT1_,"axG",@progbits,_ZN7rocprim17ROCPRIM_400000_NS6detail17trampoline_kernelINS0_14default_configENS1_25transform_config_selectorIlLb0EEEZNS1_14transform_implILb0ES3_S5_NS0_18transform_iteratorINS0_17counting_iteratorImlEEZNS1_24adjacent_difference_implIS3_Lb1ELb0EPlSB_ZN2at6native12_GLOBAL__N_124unique_dim_cuda_templateIN3c108BFloat16EEESt5tupleIJNSC_6TensorESJ_SJ_EERKSJ_lbbbEUlllE1_EE10hipError_tPvRmT2_T3_mT4_P12ihipStream_tbEUlmE_lEESB_NS0_8identityIvEEEESO_SR_SS_mST_SV_bEUlT_E_NS1_11comp_targetILNS1_3genE10ELNS1_11target_archE1200ELNS1_3gpuE4ELNS1_3repE0EEENS1_30default_config_static_selectorELNS0_4arch9wavefront6targetE1EEEvT1_,comdat
	.globl	_ZN7rocprim17ROCPRIM_400000_NS6detail17trampoline_kernelINS0_14default_configENS1_25transform_config_selectorIlLb0EEEZNS1_14transform_implILb0ES3_S5_NS0_18transform_iteratorINS0_17counting_iteratorImlEEZNS1_24adjacent_difference_implIS3_Lb1ELb0EPlSB_ZN2at6native12_GLOBAL__N_124unique_dim_cuda_templateIN3c108BFloat16EEESt5tupleIJNSC_6TensorESJ_SJ_EERKSJ_lbbbEUlllE1_EE10hipError_tPvRmT2_T3_mT4_P12ihipStream_tbEUlmE_lEESB_NS0_8identityIvEEEESO_SR_SS_mST_SV_bEUlT_E_NS1_11comp_targetILNS1_3genE10ELNS1_11target_archE1200ELNS1_3gpuE4ELNS1_3repE0EEENS1_30default_config_static_selectorELNS0_4arch9wavefront6targetE1EEEvT1_ ; -- Begin function _ZN7rocprim17ROCPRIM_400000_NS6detail17trampoline_kernelINS0_14default_configENS1_25transform_config_selectorIlLb0EEEZNS1_14transform_implILb0ES3_S5_NS0_18transform_iteratorINS0_17counting_iteratorImlEEZNS1_24adjacent_difference_implIS3_Lb1ELb0EPlSB_ZN2at6native12_GLOBAL__N_124unique_dim_cuda_templateIN3c108BFloat16EEESt5tupleIJNSC_6TensorESJ_SJ_EERKSJ_lbbbEUlllE1_EE10hipError_tPvRmT2_T3_mT4_P12ihipStream_tbEUlmE_lEESB_NS0_8identityIvEEEESO_SR_SS_mST_SV_bEUlT_E_NS1_11comp_targetILNS1_3genE10ELNS1_11target_archE1200ELNS1_3gpuE4ELNS1_3repE0EEENS1_30default_config_static_selectorELNS0_4arch9wavefront6targetE1EEEvT1_
	.p2align	8
	.type	_ZN7rocprim17ROCPRIM_400000_NS6detail17trampoline_kernelINS0_14default_configENS1_25transform_config_selectorIlLb0EEEZNS1_14transform_implILb0ES3_S5_NS0_18transform_iteratorINS0_17counting_iteratorImlEEZNS1_24adjacent_difference_implIS3_Lb1ELb0EPlSB_ZN2at6native12_GLOBAL__N_124unique_dim_cuda_templateIN3c108BFloat16EEESt5tupleIJNSC_6TensorESJ_SJ_EERKSJ_lbbbEUlllE1_EE10hipError_tPvRmT2_T3_mT4_P12ihipStream_tbEUlmE_lEESB_NS0_8identityIvEEEESO_SR_SS_mST_SV_bEUlT_E_NS1_11comp_targetILNS1_3genE10ELNS1_11target_archE1200ELNS1_3gpuE4ELNS1_3repE0EEENS1_30default_config_static_selectorELNS0_4arch9wavefront6targetE1EEEvT1_,@function
_ZN7rocprim17ROCPRIM_400000_NS6detail17trampoline_kernelINS0_14default_configENS1_25transform_config_selectorIlLb0EEEZNS1_14transform_implILb0ES3_S5_NS0_18transform_iteratorINS0_17counting_iteratorImlEEZNS1_24adjacent_difference_implIS3_Lb1ELb0EPlSB_ZN2at6native12_GLOBAL__N_124unique_dim_cuda_templateIN3c108BFloat16EEESt5tupleIJNSC_6TensorESJ_SJ_EERKSJ_lbbbEUlllE1_EE10hipError_tPvRmT2_T3_mT4_P12ihipStream_tbEUlmE_lEESB_NS0_8identityIvEEEESO_SR_SS_mST_SV_bEUlT_E_NS1_11comp_targetILNS1_3genE10ELNS1_11target_archE1200ELNS1_3gpuE4ELNS1_3repE0EEENS1_30default_config_static_selectorELNS0_4arch9wavefront6targetE1EEEvT1_: ; @_ZN7rocprim17ROCPRIM_400000_NS6detail17trampoline_kernelINS0_14default_configENS1_25transform_config_selectorIlLb0EEEZNS1_14transform_implILb0ES3_S5_NS0_18transform_iteratorINS0_17counting_iteratorImlEEZNS1_24adjacent_difference_implIS3_Lb1ELb0EPlSB_ZN2at6native12_GLOBAL__N_124unique_dim_cuda_templateIN3c108BFloat16EEESt5tupleIJNSC_6TensorESJ_SJ_EERKSJ_lbbbEUlllE1_EE10hipError_tPvRmT2_T3_mT4_P12ihipStream_tbEUlmE_lEESB_NS0_8identityIvEEEESO_SR_SS_mST_SV_bEUlT_E_NS1_11comp_targetILNS1_3genE10ELNS1_11target_archE1200ELNS1_3gpuE4ELNS1_3repE0EEENS1_30default_config_static_selectorELNS0_4arch9wavefront6targetE1EEEvT1_
; %bb.0:
	.section	.rodata,"a",@progbits
	.p2align	6, 0x0
	.amdhsa_kernel _ZN7rocprim17ROCPRIM_400000_NS6detail17trampoline_kernelINS0_14default_configENS1_25transform_config_selectorIlLb0EEEZNS1_14transform_implILb0ES3_S5_NS0_18transform_iteratorINS0_17counting_iteratorImlEEZNS1_24adjacent_difference_implIS3_Lb1ELb0EPlSB_ZN2at6native12_GLOBAL__N_124unique_dim_cuda_templateIN3c108BFloat16EEESt5tupleIJNSC_6TensorESJ_SJ_EERKSJ_lbbbEUlllE1_EE10hipError_tPvRmT2_T3_mT4_P12ihipStream_tbEUlmE_lEESB_NS0_8identityIvEEEESO_SR_SS_mST_SV_bEUlT_E_NS1_11comp_targetILNS1_3genE10ELNS1_11target_archE1200ELNS1_3gpuE4ELNS1_3repE0EEENS1_30default_config_static_selectorELNS0_4arch9wavefront6targetE1EEEvT1_
		.amdhsa_group_segment_fixed_size 0
		.amdhsa_private_segment_fixed_size 0
		.amdhsa_kernarg_size 56
		.amdhsa_user_sgpr_count 2
		.amdhsa_user_sgpr_dispatch_ptr 0
		.amdhsa_user_sgpr_queue_ptr 0
		.amdhsa_user_sgpr_kernarg_segment_ptr 1
		.amdhsa_user_sgpr_dispatch_id 0
		.amdhsa_user_sgpr_kernarg_preload_length 0
		.amdhsa_user_sgpr_kernarg_preload_offset 0
		.amdhsa_user_sgpr_private_segment_size 0
		.amdhsa_uses_dynamic_stack 0
		.amdhsa_enable_private_segment 0
		.amdhsa_system_sgpr_workgroup_id_x 1
		.amdhsa_system_sgpr_workgroup_id_y 0
		.amdhsa_system_sgpr_workgroup_id_z 0
		.amdhsa_system_sgpr_workgroup_info 0
		.amdhsa_system_vgpr_workitem_id 0
		.amdhsa_next_free_vgpr 1
		.amdhsa_next_free_sgpr 0
		.amdhsa_accum_offset 4
		.amdhsa_reserve_vcc 0
		.amdhsa_float_round_mode_32 0
		.amdhsa_float_round_mode_16_64 0
		.amdhsa_float_denorm_mode_32 3
		.amdhsa_float_denorm_mode_16_64 3
		.amdhsa_dx10_clamp 1
		.amdhsa_ieee_mode 1
		.amdhsa_fp16_overflow 0
		.amdhsa_tg_split 0
		.amdhsa_exception_fp_ieee_invalid_op 0
		.amdhsa_exception_fp_denorm_src 0
		.amdhsa_exception_fp_ieee_div_zero 0
		.amdhsa_exception_fp_ieee_overflow 0
		.amdhsa_exception_fp_ieee_underflow 0
		.amdhsa_exception_fp_ieee_inexact 0
		.amdhsa_exception_int_div_zero 0
	.end_amdhsa_kernel
	.section	.text._ZN7rocprim17ROCPRIM_400000_NS6detail17trampoline_kernelINS0_14default_configENS1_25transform_config_selectorIlLb0EEEZNS1_14transform_implILb0ES3_S5_NS0_18transform_iteratorINS0_17counting_iteratorImlEEZNS1_24adjacent_difference_implIS3_Lb1ELb0EPlSB_ZN2at6native12_GLOBAL__N_124unique_dim_cuda_templateIN3c108BFloat16EEESt5tupleIJNSC_6TensorESJ_SJ_EERKSJ_lbbbEUlllE1_EE10hipError_tPvRmT2_T3_mT4_P12ihipStream_tbEUlmE_lEESB_NS0_8identityIvEEEESO_SR_SS_mST_SV_bEUlT_E_NS1_11comp_targetILNS1_3genE10ELNS1_11target_archE1200ELNS1_3gpuE4ELNS1_3repE0EEENS1_30default_config_static_selectorELNS0_4arch9wavefront6targetE1EEEvT1_,"axG",@progbits,_ZN7rocprim17ROCPRIM_400000_NS6detail17trampoline_kernelINS0_14default_configENS1_25transform_config_selectorIlLb0EEEZNS1_14transform_implILb0ES3_S5_NS0_18transform_iteratorINS0_17counting_iteratorImlEEZNS1_24adjacent_difference_implIS3_Lb1ELb0EPlSB_ZN2at6native12_GLOBAL__N_124unique_dim_cuda_templateIN3c108BFloat16EEESt5tupleIJNSC_6TensorESJ_SJ_EERKSJ_lbbbEUlllE1_EE10hipError_tPvRmT2_T3_mT4_P12ihipStream_tbEUlmE_lEESB_NS0_8identityIvEEEESO_SR_SS_mST_SV_bEUlT_E_NS1_11comp_targetILNS1_3genE10ELNS1_11target_archE1200ELNS1_3gpuE4ELNS1_3repE0EEENS1_30default_config_static_selectorELNS0_4arch9wavefront6targetE1EEEvT1_,comdat
.Lfunc_end1171:
	.size	_ZN7rocprim17ROCPRIM_400000_NS6detail17trampoline_kernelINS0_14default_configENS1_25transform_config_selectorIlLb0EEEZNS1_14transform_implILb0ES3_S5_NS0_18transform_iteratorINS0_17counting_iteratorImlEEZNS1_24adjacent_difference_implIS3_Lb1ELb0EPlSB_ZN2at6native12_GLOBAL__N_124unique_dim_cuda_templateIN3c108BFloat16EEESt5tupleIJNSC_6TensorESJ_SJ_EERKSJ_lbbbEUlllE1_EE10hipError_tPvRmT2_T3_mT4_P12ihipStream_tbEUlmE_lEESB_NS0_8identityIvEEEESO_SR_SS_mST_SV_bEUlT_E_NS1_11comp_targetILNS1_3genE10ELNS1_11target_archE1200ELNS1_3gpuE4ELNS1_3repE0EEENS1_30default_config_static_selectorELNS0_4arch9wavefront6targetE1EEEvT1_, .Lfunc_end1171-_ZN7rocprim17ROCPRIM_400000_NS6detail17trampoline_kernelINS0_14default_configENS1_25transform_config_selectorIlLb0EEEZNS1_14transform_implILb0ES3_S5_NS0_18transform_iteratorINS0_17counting_iteratorImlEEZNS1_24adjacent_difference_implIS3_Lb1ELb0EPlSB_ZN2at6native12_GLOBAL__N_124unique_dim_cuda_templateIN3c108BFloat16EEESt5tupleIJNSC_6TensorESJ_SJ_EERKSJ_lbbbEUlllE1_EE10hipError_tPvRmT2_T3_mT4_P12ihipStream_tbEUlmE_lEESB_NS0_8identityIvEEEESO_SR_SS_mST_SV_bEUlT_E_NS1_11comp_targetILNS1_3genE10ELNS1_11target_archE1200ELNS1_3gpuE4ELNS1_3repE0EEENS1_30default_config_static_selectorELNS0_4arch9wavefront6targetE1EEEvT1_
                                        ; -- End function
	.section	.AMDGPU.csdata,"",@progbits
; Kernel info:
; codeLenInByte = 0
; NumSgprs: 6
; NumVgprs: 0
; NumAgprs: 0
; TotalNumVgprs: 0
; ScratchSize: 0
; MemoryBound: 0
; FloatMode: 240
; IeeeMode: 1
; LDSByteSize: 0 bytes/workgroup (compile time only)
; SGPRBlocks: 0
; VGPRBlocks: 0
; NumSGPRsForWavesPerEU: 6
; NumVGPRsForWavesPerEU: 1
; AccumOffset: 4
; Occupancy: 8
; WaveLimiterHint : 0
; COMPUTE_PGM_RSRC2:SCRATCH_EN: 0
; COMPUTE_PGM_RSRC2:USER_SGPR: 2
; COMPUTE_PGM_RSRC2:TRAP_HANDLER: 0
; COMPUTE_PGM_RSRC2:TGID_X_EN: 1
; COMPUTE_PGM_RSRC2:TGID_Y_EN: 0
; COMPUTE_PGM_RSRC2:TGID_Z_EN: 0
; COMPUTE_PGM_RSRC2:TIDIG_COMP_CNT: 0
; COMPUTE_PGM_RSRC3_GFX90A:ACCUM_OFFSET: 0
; COMPUTE_PGM_RSRC3_GFX90A:TG_SPLIT: 0
	.section	.text._ZN7rocprim17ROCPRIM_400000_NS6detail17trampoline_kernelINS0_14default_configENS1_25transform_config_selectorIlLb0EEEZNS1_14transform_implILb0ES3_S5_NS0_18transform_iteratorINS0_17counting_iteratorImlEEZNS1_24adjacent_difference_implIS3_Lb1ELb0EPlSB_ZN2at6native12_GLOBAL__N_124unique_dim_cuda_templateIN3c108BFloat16EEESt5tupleIJNSC_6TensorESJ_SJ_EERKSJ_lbbbEUlllE1_EE10hipError_tPvRmT2_T3_mT4_P12ihipStream_tbEUlmE_lEESB_NS0_8identityIvEEEESO_SR_SS_mST_SV_bEUlT_E_NS1_11comp_targetILNS1_3genE9ELNS1_11target_archE1100ELNS1_3gpuE3ELNS1_3repE0EEENS1_30default_config_static_selectorELNS0_4arch9wavefront6targetE1EEEvT1_,"axG",@progbits,_ZN7rocprim17ROCPRIM_400000_NS6detail17trampoline_kernelINS0_14default_configENS1_25transform_config_selectorIlLb0EEEZNS1_14transform_implILb0ES3_S5_NS0_18transform_iteratorINS0_17counting_iteratorImlEEZNS1_24adjacent_difference_implIS3_Lb1ELb0EPlSB_ZN2at6native12_GLOBAL__N_124unique_dim_cuda_templateIN3c108BFloat16EEESt5tupleIJNSC_6TensorESJ_SJ_EERKSJ_lbbbEUlllE1_EE10hipError_tPvRmT2_T3_mT4_P12ihipStream_tbEUlmE_lEESB_NS0_8identityIvEEEESO_SR_SS_mST_SV_bEUlT_E_NS1_11comp_targetILNS1_3genE9ELNS1_11target_archE1100ELNS1_3gpuE3ELNS1_3repE0EEENS1_30default_config_static_selectorELNS0_4arch9wavefront6targetE1EEEvT1_,comdat
	.globl	_ZN7rocprim17ROCPRIM_400000_NS6detail17trampoline_kernelINS0_14default_configENS1_25transform_config_selectorIlLb0EEEZNS1_14transform_implILb0ES3_S5_NS0_18transform_iteratorINS0_17counting_iteratorImlEEZNS1_24adjacent_difference_implIS3_Lb1ELb0EPlSB_ZN2at6native12_GLOBAL__N_124unique_dim_cuda_templateIN3c108BFloat16EEESt5tupleIJNSC_6TensorESJ_SJ_EERKSJ_lbbbEUlllE1_EE10hipError_tPvRmT2_T3_mT4_P12ihipStream_tbEUlmE_lEESB_NS0_8identityIvEEEESO_SR_SS_mST_SV_bEUlT_E_NS1_11comp_targetILNS1_3genE9ELNS1_11target_archE1100ELNS1_3gpuE3ELNS1_3repE0EEENS1_30default_config_static_selectorELNS0_4arch9wavefront6targetE1EEEvT1_ ; -- Begin function _ZN7rocprim17ROCPRIM_400000_NS6detail17trampoline_kernelINS0_14default_configENS1_25transform_config_selectorIlLb0EEEZNS1_14transform_implILb0ES3_S5_NS0_18transform_iteratorINS0_17counting_iteratorImlEEZNS1_24adjacent_difference_implIS3_Lb1ELb0EPlSB_ZN2at6native12_GLOBAL__N_124unique_dim_cuda_templateIN3c108BFloat16EEESt5tupleIJNSC_6TensorESJ_SJ_EERKSJ_lbbbEUlllE1_EE10hipError_tPvRmT2_T3_mT4_P12ihipStream_tbEUlmE_lEESB_NS0_8identityIvEEEESO_SR_SS_mST_SV_bEUlT_E_NS1_11comp_targetILNS1_3genE9ELNS1_11target_archE1100ELNS1_3gpuE3ELNS1_3repE0EEENS1_30default_config_static_selectorELNS0_4arch9wavefront6targetE1EEEvT1_
	.p2align	8
	.type	_ZN7rocprim17ROCPRIM_400000_NS6detail17trampoline_kernelINS0_14default_configENS1_25transform_config_selectorIlLb0EEEZNS1_14transform_implILb0ES3_S5_NS0_18transform_iteratorINS0_17counting_iteratorImlEEZNS1_24adjacent_difference_implIS3_Lb1ELb0EPlSB_ZN2at6native12_GLOBAL__N_124unique_dim_cuda_templateIN3c108BFloat16EEESt5tupleIJNSC_6TensorESJ_SJ_EERKSJ_lbbbEUlllE1_EE10hipError_tPvRmT2_T3_mT4_P12ihipStream_tbEUlmE_lEESB_NS0_8identityIvEEEESO_SR_SS_mST_SV_bEUlT_E_NS1_11comp_targetILNS1_3genE9ELNS1_11target_archE1100ELNS1_3gpuE3ELNS1_3repE0EEENS1_30default_config_static_selectorELNS0_4arch9wavefront6targetE1EEEvT1_,@function
_ZN7rocprim17ROCPRIM_400000_NS6detail17trampoline_kernelINS0_14default_configENS1_25transform_config_selectorIlLb0EEEZNS1_14transform_implILb0ES3_S5_NS0_18transform_iteratorINS0_17counting_iteratorImlEEZNS1_24adjacent_difference_implIS3_Lb1ELb0EPlSB_ZN2at6native12_GLOBAL__N_124unique_dim_cuda_templateIN3c108BFloat16EEESt5tupleIJNSC_6TensorESJ_SJ_EERKSJ_lbbbEUlllE1_EE10hipError_tPvRmT2_T3_mT4_P12ihipStream_tbEUlmE_lEESB_NS0_8identityIvEEEESO_SR_SS_mST_SV_bEUlT_E_NS1_11comp_targetILNS1_3genE9ELNS1_11target_archE1100ELNS1_3gpuE3ELNS1_3repE0EEENS1_30default_config_static_selectorELNS0_4arch9wavefront6targetE1EEEvT1_: ; @_ZN7rocprim17ROCPRIM_400000_NS6detail17trampoline_kernelINS0_14default_configENS1_25transform_config_selectorIlLb0EEEZNS1_14transform_implILb0ES3_S5_NS0_18transform_iteratorINS0_17counting_iteratorImlEEZNS1_24adjacent_difference_implIS3_Lb1ELb0EPlSB_ZN2at6native12_GLOBAL__N_124unique_dim_cuda_templateIN3c108BFloat16EEESt5tupleIJNSC_6TensorESJ_SJ_EERKSJ_lbbbEUlllE1_EE10hipError_tPvRmT2_T3_mT4_P12ihipStream_tbEUlmE_lEESB_NS0_8identityIvEEEESO_SR_SS_mST_SV_bEUlT_E_NS1_11comp_targetILNS1_3genE9ELNS1_11target_archE1100ELNS1_3gpuE3ELNS1_3repE0EEENS1_30default_config_static_selectorELNS0_4arch9wavefront6targetE1EEEvT1_
; %bb.0:
	.section	.rodata,"a",@progbits
	.p2align	6, 0x0
	.amdhsa_kernel _ZN7rocprim17ROCPRIM_400000_NS6detail17trampoline_kernelINS0_14default_configENS1_25transform_config_selectorIlLb0EEEZNS1_14transform_implILb0ES3_S5_NS0_18transform_iteratorINS0_17counting_iteratorImlEEZNS1_24adjacent_difference_implIS3_Lb1ELb0EPlSB_ZN2at6native12_GLOBAL__N_124unique_dim_cuda_templateIN3c108BFloat16EEESt5tupleIJNSC_6TensorESJ_SJ_EERKSJ_lbbbEUlllE1_EE10hipError_tPvRmT2_T3_mT4_P12ihipStream_tbEUlmE_lEESB_NS0_8identityIvEEEESO_SR_SS_mST_SV_bEUlT_E_NS1_11comp_targetILNS1_3genE9ELNS1_11target_archE1100ELNS1_3gpuE3ELNS1_3repE0EEENS1_30default_config_static_selectorELNS0_4arch9wavefront6targetE1EEEvT1_
		.amdhsa_group_segment_fixed_size 0
		.amdhsa_private_segment_fixed_size 0
		.amdhsa_kernarg_size 56
		.amdhsa_user_sgpr_count 2
		.amdhsa_user_sgpr_dispatch_ptr 0
		.amdhsa_user_sgpr_queue_ptr 0
		.amdhsa_user_sgpr_kernarg_segment_ptr 1
		.amdhsa_user_sgpr_dispatch_id 0
		.amdhsa_user_sgpr_kernarg_preload_length 0
		.amdhsa_user_sgpr_kernarg_preload_offset 0
		.amdhsa_user_sgpr_private_segment_size 0
		.amdhsa_uses_dynamic_stack 0
		.amdhsa_enable_private_segment 0
		.amdhsa_system_sgpr_workgroup_id_x 1
		.amdhsa_system_sgpr_workgroup_id_y 0
		.amdhsa_system_sgpr_workgroup_id_z 0
		.amdhsa_system_sgpr_workgroup_info 0
		.amdhsa_system_vgpr_workitem_id 0
		.amdhsa_next_free_vgpr 1
		.amdhsa_next_free_sgpr 0
		.amdhsa_accum_offset 4
		.amdhsa_reserve_vcc 0
		.amdhsa_float_round_mode_32 0
		.amdhsa_float_round_mode_16_64 0
		.amdhsa_float_denorm_mode_32 3
		.amdhsa_float_denorm_mode_16_64 3
		.amdhsa_dx10_clamp 1
		.amdhsa_ieee_mode 1
		.amdhsa_fp16_overflow 0
		.amdhsa_tg_split 0
		.amdhsa_exception_fp_ieee_invalid_op 0
		.amdhsa_exception_fp_denorm_src 0
		.amdhsa_exception_fp_ieee_div_zero 0
		.amdhsa_exception_fp_ieee_overflow 0
		.amdhsa_exception_fp_ieee_underflow 0
		.amdhsa_exception_fp_ieee_inexact 0
		.amdhsa_exception_int_div_zero 0
	.end_amdhsa_kernel
	.section	.text._ZN7rocprim17ROCPRIM_400000_NS6detail17trampoline_kernelINS0_14default_configENS1_25transform_config_selectorIlLb0EEEZNS1_14transform_implILb0ES3_S5_NS0_18transform_iteratorINS0_17counting_iteratorImlEEZNS1_24adjacent_difference_implIS3_Lb1ELb0EPlSB_ZN2at6native12_GLOBAL__N_124unique_dim_cuda_templateIN3c108BFloat16EEESt5tupleIJNSC_6TensorESJ_SJ_EERKSJ_lbbbEUlllE1_EE10hipError_tPvRmT2_T3_mT4_P12ihipStream_tbEUlmE_lEESB_NS0_8identityIvEEEESO_SR_SS_mST_SV_bEUlT_E_NS1_11comp_targetILNS1_3genE9ELNS1_11target_archE1100ELNS1_3gpuE3ELNS1_3repE0EEENS1_30default_config_static_selectorELNS0_4arch9wavefront6targetE1EEEvT1_,"axG",@progbits,_ZN7rocprim17ROCPRIM_400000_NS6detail17trampoline_kernelINS0_14default_configENS1_25transform_config_selectorIlLb0EEEZNS1_14transform_implILb0ES3_S5_NS0_18transform_iteratorINS0_17counting_iteratorImlEEZNS1_24adjacent_difference_implIS3_Lb1ELb0EPlSB_ZN2at6native12_GLOBAL__N_124unique_dim_cuda_templateIN3c108BFloat16EEESt5tupleIJNSC_6TensorESJ_SJ_EERKSJ_lbbbEUlllE1_EE10hipError_tPvRmT2_T3_mT4_P12ihipStream_tbEUlmE_lEESB_NS0_8identityIvEEEESO_SR_SS_mST_SV_bEUlT_E_NS1_11comp_targetILNS1_3genE9ELNS1_11target_archE1100ELNS1_3gpuE3ELNS1_3repE0EEENS1_30default_config_static_selectorELNS0_4arch9wavefront6targetE1EEEvT1_,comdat
.Lfunc_end1172:
	.size	_ZN7rocprim17ROCPRIM_400000_NS6detail17trampoline_kernelINS0_14default_configENS1_25transform_config_selectorIlLb0EEEZNS1_14transform_implILb0ES3_S5_NS0_18transform_iteratorINS0_17counting_iteratorImlEEZNS1_24adjacent_difference_implIS3_Lb1ELb0EPlSB_ZN2at6native12_GLOBAL__N_124unique_dim_cuda_templateIN3c108BFloat16EEESt5tupleIJNSC_6TensorESJ_SJ_EERKSJ_lbbbEUlllE1_EE10hipError_tPvRmT2_T3_mT4_P12ihipStream_tbEUlmE_lEESB_NS0_8identityIvEEEESO_SR_SS_mST_SV_bEUlT_E_NS1_11comp_targetILNS1_3genE9ELNS1_11target_archE1100ELNS1_3gpuE3ELNS1_3repE0EEENS1_30default_config_static_selectorELNS0_4arch9wavefront6targetE1EEEvT1_, .Lfunc_end1172-_ZN7rocprim17ROCPRIM_400000_NS6detail17trampoline_kernelINS0_14default_configENS1_25transform_config_selectorIlLb0EEEZNS1_14transform_implILb0ES3_S5_NS0_18transform_iteratorINS0_17counting_iteratorImlEEZNS1_24adjacent_difference_implIS3_Lb1ELb0EPlSB_ZN2at6native12_GLOBAL__N_124unique_dim_cuda_templateIN3c108BFloat16EEESt5tupleIJNSC_6TensorESJ_SJ_EERKSJ_lbbbEUlllE1_EE10hipError_tPvRmT2_T3_mT4_P12ihipStream_tbEUlmE_lEESB_NS0_8identityIvEEEESO_SR_SS_mST_SV_bEUlT_E_NS1_11comp_targetILNS1_3genE9ELNS1_11target_archE1100ELNS1_3gpuE3ELNS1_3repE0EEENS1_30default_config_static_selectorELNS0_4arch9wavefront6targetE1EEEvT1_
                                        ; -- End function
	.section	.AMDGPU.csdata,"",@progbits
; Kernel info:
; codeLenInByte = 0
; NumSgprs: 6
; NumVgprs: 0
; NumAgprs: 0
; TotalNumVgprs: 0
; ScratchSize: 0
; MemoryBound: 0
; FloatMode: 240
; IeeeMode: 1
; LDSByteSize: 0 bytes/workgroup (compile time only)
; SGPRBlocks: 0
; VGPRBlocks: 0
; NumSGPRsForWavesPerEU: 6
; NumVGPRsForWavesPerEU: 1
; AccumOffset: 4
; Occupancy: 8
; WaveLimiterHint : 0
; COMPUTE_PGM_RSRC2:SCRATCH_EN: 0
; COMPUTE_PGM_RSRC2:USER_SGPR: 2
; COMPUTE_PGM_RSRC2:TRAP_HANDLER: 0
; COMPUTE_PGM_RSRC2:TGID_X_EN: 1
; COMPUTE_PGM_RSRC2:TGID_Y_EN: 0
; COMPUTE_PGM_RSRC2:TGID_Z_EN: 0
; COMPUTE_PGM_RSRC2:TIDIG_COMP_CNT: 0
; COMPUTE_PGM_RSRC3_GFX90A:ACCUM_OFFSET: 0
; COMPUTE_PGM_RSRC3_GFX90A:TG_SPLIT: 0
	.section	.text._ZN7rocprim17ROCPRIM_400000_NS6detail17trampoline_kernelINS0_14default_configENS1_25transform_config_selectorIlLb0EEEZNS1_14transform_implILb0ES3_S5_NS0_18transform_iteratorINS0_17counting_iteratorImlEEZNS1_24adjacent_difference_implIS3_Lb1ELb0EPlSB_ZN2at6native12_GLOBAL__N_124unique_dim_cuda_templateIN3c108BFloat16EEESt5tupleIJNSC_6TensorESJ_SJ_EERKSJ_lbbbEUlllE1_EE10hipError_tPvRmT2_T3_mT4_P12ihipStream_tbEUlmE_lEESB_NS0_8identityIvEEEESO_SR_SS_mST_SV_bEUlT_E_NS1_11comp_targetILNS1_3genE8ELNS1_11target_archE1030ELNS1_3gpuE2ELNS1_3repE0EEENS1_30default_config_static_selectorELNS0_4arch9wavefront6targetE1EEEvT1_,"axG",@progbits,_ZN7rocprim17ROCPRIM_400000_NS6detail17trampoline_kernelINS0_14default_configENS1_25transform_config_selectorIlLb0EEEZNS1_14transform_implILb0ES3_S5_NS0_18transform_iteratorINS0_17counting_iteratorImlEEZNS1_24adjacent_difference_implIS3_Lb1ELb0EPlSB_ZN2at6native12_GLOBAL__N_124unique_dim_cuda_templateIN3c108BFloat16EEESt5tupleIJNSC_6TensorESJ_SJ_EERKSJ_lbbbEUlllE1_EE10hipError_tPvRmT2_T3_mT4_P12ihipStream_tbEUlmE_lEESB_NS0_8identityIvEEEESO_SR_SS_mST_SV_bEUlT_E_NS1_11comp_targetILNS1_3genE8ELNS1_11target_archE1030ELNS1_3gpuE2ELNS1_3repE0EEENS1_30default_config_static_selectorELNS0_4arch9wavefront6targetE1EEEvT1_,comdat
	.globl	_ZN7rocprim17ROCPRIM_400000_NS6detail17trampoline_kernelINS0_14default_configENS1_25transform_config_selectorIlLb0EEEZNS1_14transform_implILb0ES3_S5_NS0_18transform_iteratorINS0_17counting_iteratorImlEEZNS1_24adjacent_difference_implIS3_Lb1ELb0EPlSB_ZN2at6native12_GLOBAL__N_124unique_dim_cuda_templateIN3c108BFloat16EEESt5tupleIJNSC_6TensorESJ_SJ_EERKSJ_lbbbEUlllE1_EE10hipError_tPvRmT2_T3_mT4_P12ihipStream_tbEUlmE_lEESB_NS0_8identityIvEEEESO_SR_SS_mST_SV_bEUlT_E_NS1_11comp_targetILNS1_3genE8ELNS1_11target_archE1030ELNS1_3gpuE2ELNS1_3repE0EEENS1_30default_config_static_selectorELNS0_4arch9wavefront6targetE1EEEvT1_ ; -- Begin function _ZN7rocprim17ROCPRIM_400000_NS6detail17trampoline_kernelINS0_14default_configENS1_25transform_config_selectorIlLb0EEEZNS1_14transform_implILb0ES3_S5_NS0_18transform_iteratorINS0_17counting_iteratorImlEEZNS1_24adjacent_difference_implIS3_Lb1ELb0EPlSB_ZN2at6native12_GLOBAL__N_124unique_dim_cuda_templateIN3c108BFloat16EEESt5tupleIJNSC_6TensorESJ_SJ_EERKSJ_lbbbEUlllE1_EE10hipError_tPvRmT2_T3_mT4_P12ihipStream_tbEUlmE_lEESB_NS0_8identityIvEEEESO_SR_SS_mST_SV_bEUlT_E_NS1_11comp_targetILNS1_3genE8ELNS1_11target_archE1030ELNS1_3gpuE2ELNS1_3repE0EEENS1_30default_config_static_selectorELNS0_4arch9wavefront6targetE1EEEvT1_
	.p2align	8
	.type	_ZN7rocprim17ROCPRIM_400000_NS6detail17trampoline_kernelINS0_14default_configENS1_25transform_config_selectorIlLb0EEEZNS1_14transform_implILb0ES3_S5_NS0_18transform_iteratorINS0_17counting_iteratorImlEEZNS1_24adjacent_difference_implIS3_Lb1ELb0EPlSB_ZN2at6native12_GLOBAL__N_124unique_dim_cuda_templateIN3c108BFloat16EEESt5tupleIJNSC_6TensorESJ_SJ_EERKSJ_lbbbEUlllE1_EE10hipError_tPvRmT2_T3_mT4_P12ihipStream_tbEUlmE_lEESB_NS0_8identityIvEEEESO_SR_SS_mST_SV_bEUlT_E_NS1_11comp_targetILNS1_3genE8ELNS1_11target_archE1030ELNS1_3gpuE2ELNS1_3repE0EEENS1_30default_config_static_selectorELNS0_4arch9wavefront6targetE1EEEvT1_,@function
_ZN7rocprim17ROCPRIM_400000_NS6detail17trampoline_kernelINS0_14default_configENS1_25transform_config_selectorIlLb0EEEZNS1_14transform_implILb0ES3_S5_NS0_18transform_iteratorINS0_17counting_iteratorImlEEZNS1_24adjacent_difference_implIS3_Lb1ELb0EPlSB_ZN2at6native12_GLOBAL__N_124unique_dim_cuda_templateIN3c108BFloat16EEESt5tupleIJNSC_6TensorESJ_SJ_EERKSJ_lbbbEUlllE1_EE10hipError_tPvRmT2_T3_mT4_P12ihipStream_tbEUlmE_lEESB_NS0_8identityIvEEEESO_SR_SS_mST_SV_bEUlT_E_NS1_11comp_targetILNS1_3genE8ELNS1_11target_archE1030ELNS1_3gpuE2ELNS1_3repE0EEENS1_30default_config_static_selectorELNS0_4arch9wavefront6targetE1EEEvT1_: ; @_ZN7rocprim17ROCPRIM_400000_NS6detail17trampoline_kernelINS0_14default_configENS1_25transform_config_selectorIlLb0EEEZNS1_14transform_implILb0ES3_S5_NS0_18transform_iteratorINS0_17counting_iteratorImlEEZNS1_24adjacent_difference_implIS3_Lb1ELb0EPlSB_ZN2at6native12_GLOBAL__N_124unique_dim_cuda_templateIN3c108BFloat16EEESt5tupleIJNSC_6TensorESJ_SJ_EERKSJ_lbbbEUlllE1_EE10hipError_tPvRmT2_T3_mT4_P12ihipStream_tbEUlmE_lEESB_NS0_8identityIvEEEESO_SR_SS_mST_SV_bEUlT_E_NS1_11comp_targetILNS1_3genE8ELNS1_11target_archE1030ELNS1_3gpuE2ELNS1_3repE0EEENS1_30default_config_static_selectorELNS0_4arch9wavefront6targetE1EEEvT1_
; %bb.0:
	.section	.rodata,"a",@progbits
	.p2align	6, 0x0
	.amdhsa_kernel _ZN7rocprim17ROCPRIM_400000_NS6detail17trampoline_kernelINS0_14default_configENS1_25transform_config_selectorIlLb0EEEZNS1_14transform_implILb0ES3_S5_NS0_18transform_iteratorINS0_17counting_iteratorImlEEZNS1_24adjacent_difference_implIS3_Lb1ELb0EPlSB_ZN2at6native12_GLOBAL__N_124unique_dim_cuda_templateIN3c108BFloat16EEESt5tupleIJNSC_6TensorESJ_SJ_EERKSJ_lbbbEUlllE1_EE10hipError_tPvRmT2_T3_mT4_P12ihipStream_tbEUlmE_lEESB_NS0_8identityIvEEEESO_SR_SS_mST_SV_bEUlT_E_NS1_11comp_targetILNS1_3genE8ELNS1_11target_archE1030ELNS1_3gpuE2ELNS1_3repE0EEENS1_30default_config_static_selectorELNS0_4arch9wavefront6targetE1EEEvT1_
		.amdhsa_group_segment_fixed_size 0
		.amdhsa_private_segment_fixed_size 0
		.amdhsa_kernarg_size 56
		.amdhsa_user_sgpr_count 2
		.amdhsa_user_sgpr_dispatch_ptr 0
		.amdhsa_user_sgpr_queue_ptr 0
		.amdhsa_user_sgpr_kernarg_segment_ptr 1
		.amdhsa_user_sgpr_dispatch_id 0
		.amdhsa_user_sgpr_kernarg_preload_length 0
		.amdhsa_user_sgpr_kernarg_preload_offset 0
		.amdhsa_user_sgpr_private_segment_size 0
		.amdhsa_uses_dynamic_stack 0
		.amdhsa_enable_private_segment 0
		.amdhsa_system_sgpr_workgroup_id_x 1
		.amdhsa_system_sgpr_workgroup_id_y 0
		.amdhsa_system_sgpr_workgroup_id_z 0
		.amdhsa_system_sgpr_workgroup_info 0
		.amdhsa_system_vgpr_workitem_id 0
		.amdhsa_next_free_vgpr 1
		.amdhsa_next_free_sgpr 0
		.amdhsa_accum_offset 4
		.amdhsa_reserve_vcc 0
		.amdhsa_float_round_mode_32 0
		.amdhsa_float_round_mode_16_64 0
		.amdhsa_float_denorm_mode_32 3
		.amdhsa_float_denorm_mode_16_64 3
		.amdhsa_dx10_clamp 1
		.amdhsa_ieee_mode 1
		.amdhsa_fp16_overflow 0
		.amdhsa_tg_split 0
		.amdhsa_exception_fp_ieee_invalid_op 0
		.amdhsa_exception_fp_denorm_src 0
		.amdhsa_exception_fp_ieee_div_zero 0
		.amdhsa_exception_fp_ieee_overflow 0
		.amdhsa_exception_fp_ieee_underflow 0
		.amdhsa_exception_fp_ieee_inexact 0
		.amdhsa_exception_int_div_zero 0
	.end_amdhsa_kernel
	.section	.text._ZN7rocprim17ROCPRIM_400000_NS6detail17trampoline_kernelINS0_14default_configENS1_25transform_config_selectorIlLb0EEEZNS1_14transform_implILb0ES3_S5_NS0_18transform_iteratorINS0_17counting_iteratorImlEEZNS1_24adjacent_difference_implIS3_Lb1ELb0EPlSB_ZN2at6native12_GLOBAL__N_124unique_dim_cuda_templateIN3c108BFloat16EEESt5tupleIJNSC_6TensorESJ_SJ_EERKSJ_lbbbEUlllE1_EE10hipError_tPvRmT2_T3_mT4_P12ihipStream_tbEUlmE_lEESB_NS0_8identityIvEEEESO_SR_SS_mST_SV_bEUlT_E_NS1_11comp_targetILNS1_3genE8ELNS1_11target_archE1030ELNS1_3gpuE2ELNS1_3repE0EEENS1_30default_config_static_selectorELNS0_4arch9wavefront6targetE1EEEvT1_,"axG",@progbits,_ZN7rocprim17ROCPRIM_400000_NS6detail17trampoline_kernelINS0_14default_configENS1_25transform_config_selectorIlLb0EEEZNS1_14transform_implILb0ES3_S5_NS0_18transform_iteratorINS0_17counting_iteratorImlEEZNS1_24adjacent_difference_implIS3_Lb1ELb0EPlSB_ZN2at6native12_GLOBAL__N_124unique_dim_cuda_templateIN3c108BFloat16EEESt5tupleIJNSC_6TensorESJ_SJ_EERKSJ_lbbbEUlllE1_EE10hipError_tPvRmT2_T3_mT4_P12ihipStream_tbEUlmE_lEESB_NS0_8identityIvEEEESO_SR_SS_mST_SV_bEUlT_E_NS1_11comp_targetILNS1_3genE8ELNS1_11target_archE1030ELNS1_3gpuE2ELNS1_3repE0EEENS1_30default_config_static_selectorELNS0_4arch9wavefront6targetE1EEEvT1_,comdat
.Lfunc_end1173:
	.size	_ZN7rocprim17ROCPRIM_400000_NS6detail17trampoline_kernelINS0_14default_configENS1_25transform_config_selectorIlLb0EEEZNS1_14transform_implILb0ES3_S5_NS0_18transform_iteratorINS0_17counting_iteratorImlEEZNS1_24adjacent_difference_implIS3_Lb1ELb0EPlSB_ZN2at6native12_GLOBAL__N_124unique_dim_cuda_templateIN3c108BFloat16EEESt5tupleIJNSC_6TensorESJ_SJ_EERKSJ_lbbbEUlllE1_EE10hipError_tPvRmT2_T3_mT4_P12ihipStream_tbEUlmE_lEESB_NS0_8identityIvEEEESO_SR_SS_mST_SV_bEUlT_E_NS1_11comp_targetILNS1_3genE8ELNS1_11target_archE1030ELNS1_3gpuE2ELNS1_3repE0EEENS1_30default_config_static_selectorELNS0_4arch9wavefront6targetE1EEEvT1_, .Lfunc_end1173-_ZN7rocprim17ROCPRIM_400000_NS6detail17trampoline_kernelINS0_14default_configENS1_25transform_config_selectorIlLb0EEEZNS1_14transform_implILb0ES3_S5_NS0_18transform_iteratorINS0_17counting_iteratorImlEEZNS1_24adjacent_difference_implIS3_Lb1ELb0EPlSB_ZN2at6native12_GLOBAL__N_124unique_dim_cuda_templateIN3c108BFloat16EEESt5tupleIJNSC_6TensorESJ_SJ_EERKSJ_lbbbEUlllE1_EE10hipError_tPvRmT2_T3_mT4_P12ihipStream_tbEUlmE_lEESB_NS0_8identityIvEEEESO_SR_SS_mST_SV_bEUlT_E_NS1_11comp_targetILNS1_3genE8ELNS1_11target_archE1030ELNS1_3gpuE2ELNS1_3repE0EEENS1_30default_config_static_selectorELNS0_4arch9wavefront6targetE1EEEvT1_
                                        ; -- End function
	.section	.AMDGPU.csdata,"",@progbits
; Kernel info:
; codeLenInByte = 0
; NumSgprs: 6
; NumVgprs: 0
; NumAgprs: 0
; TotalNumVgprs: 0
; ScratchSize: 0
; MemoryBound: 0
; FloatMode: 240
; IeeeMode: 1
; LDSByteSize: 0 bytes/workgroup (compile time only)
; SGPRBlocks: 0
; VGPRBlocks: 0
; NumSGPRsForWavesPerEU: 6
; NumVGPRsForWavesPerEU: 1
; AccumOffset: 4
; Occupancy: 8
; WaveLimiterHint : 0
; COMPUTE_PGM_RSRC2:SCRATCH_EN: 0
; COMPUTE_PGM_RSRC2:USER_SGPR: 2
; COMPUTE_PGM_RSRC2:TRAP_HANDLER: 0
; COMPUTE_PGM_RSRC2:TGID_X_EN: 1
; COMPUTE_PGM_RSRC2:TGID_Y_EN: 0
; COMPUTE_PGM_RSRC2:TGID_Z_EN: 0
; COMPUTE_PGM_RSRC2:TIDIG_COMP_CNT: 0
; COMPUTE_PGM_RSRC3_GFX90A:ACCUM_OFFSET: 0
; COMPUTE_PGM_RSRC3_GFX90A:TG_SPLIT: 0
	.section	.text._ZN7rocprim17ROCPRIM_400000_NS6detail17trampoline_kernelINS0_14default_configENS1_35adjacent_difference_config_selectorILb1ElEEZNS1_24adjacent_difference_implIS3_Lb1ELb0EPlS7_ZN2at6native12_GLOBAL__N_124unique_dim_cuda_templateIN3c108BFloat16EEESt5tupleIJNS8_6TensorESF_SF_EERKSF_lbbbEUlllE1_EE10hipError_tPvRmT2_T3_mT4_P12ihipStream_tbEUlT_E_NS1_11comp_targetILNS1_3genE0ELNS1_11target_archE4294967295ELNS1_3gpuE0ELNS1_3repE0EEENS1_30default_config_static_selectorELNS0_4arch9wavefront6targetE1EEEvT1_,"axG",@progbits,_ZN7rocprim17ROCPRIM_400000_NS6detail17trampoline_kernelINS0_14default_configENS1_35adjacent_difference_config_selectorILb1ElEEZNS1_24adjacent_difference_implIS3_Lb1ELb0EPlS7_ZN2at6native12_GLOBAL__N_124unique_dim_cuda_templateIN3c108BFloat16EEESt5tupleIJNS8_6TensorESF_SF_EERKSF_lbbbEUlllE1_EE10hipError_tPvRmT2_T3_mT4_P12ihipStream_tbEUlT_E_NS1_11comp_targetILNS1_3genE0ELNS1_11target_archE4294967295ELNS1_3gpuE0ELNS1_3repE0EEENS1_30default_config_static_selectorELNS0_4arch9wavefront6targetE1EEEvT1_,comdat
	.globl	_ZN7rocprim17ROCPRIM_400000_NS6detail17trampoline_kernelINS0_14default_configENS1_35adjacent_difference_config_selectorILb1ElEEZNS1_24adjacent_difference_implIS3_Lb1ELb0EPlS7_ZN2at6native12_GLOBAL__N_124unique_dim_cuda_templateIN3c108BFloat16EEESt5tupleIJNS8_6TensorESF_SF_EERKSF_lbbbEUlllE1_EE10hipError_tPvRmT2_T3_mT4_P12ihipStream_tbEUlT_E_NS1_11comp_targetILNS1_3genE0ELNS1_11target_archE4294967295ELNS1_3gpuE0ELNS1_3repE0EEENS1_30default_config_static_selectorELNS0_4arch9wavefront6targetE1EEEvT1_ ; -- Begin function _ZN7rocprim17ROCPRIM_400000_NS6detail17trampoline_kernelINS0_14default_configENS1_35adjacent_difference_config_selectorILb1ElEEZNS1_24adjacent_difference_implIS3_Lb1ELb0EPlS7_ZN2at6native12_GLOBAL__N_124unique_dim_cuda_templateIN3c108BFloat16EEESt5tupleIJNS8_6TensorESF_SF_EERKSF_lbbbEUlllE1_EE10hipError_tPvRmT2_T3_mT4_P12ihipStream_tbEUlT_E_NS1_11comp_targetILNS1_3genE0ELNS1_11target_archE4294967295ELNS1_3gpuE0ELNS1_3repE0EEENS1_30default_config_static_selectorELNS0_4arch9wavefront6targetE1EEEvT1_
	.p2align	8
	.type	_ZN7rocprim17ROCPRIM_400000_NS6detail17trampoline_kernelINS0_14default_configENS1_35adjacent_difference_config_selectorILb1ElEEZNS1_24adjacent_difference_implIS3_Lb1ELb0EPlS7_ZN2at6native12_GLOBAL__N_124unique_dim_cuda_templateIN3c108BFloat16EEESt5tupleIJNS8_6TensorESF_SF_EERKSF_lbbbEUlllE1_EE10hipError_tPvRmT2_T3_mT4_P12ihipStream_tbEUlT_E_NS1_11comp_targetILNS1_3genE0ELNS1_11target_archE4294967295ELNS1_3gpuE0ELNS1_3repE0EEENS1_30default_config_static_selectorELNS0_4arch9wavefront6targetE1EEEvT1_,@function
_ZN7rocprim17ROCPRIM_400000_NS6detail17trampoline_kernelINS0_14default_configENS1_35adjacent_difference_config_selectorILb1ElEEZNS1_24adjacent_difference_implIS3_Lb1ELb0EPlS7_ZN2at6native12_GLOBAL__N_124unique_dim_cuda_templateIN3c108BFloat16EEESt5tupleIJNS8_6TensorESF_SF_EERKSF_lbbbEUlllE1_EE10hipError_tPvRmT2_T3_mT4_P12ihipStream_tbEUlT_E_NS1_11comp_targetILNS1_3genE0ELNS1_11target_archE4294967295ELNS1_3gpuE0ELNS1_3repE0EEENS1_30default_config_static_selectorELNS0_4arch9wavefront6targetE1EEEvT1_: ; @_ZN7rocprim17ROCPRIM_400000_NS6detail17trampoline_kernelINS0_14default_configENS1_35adjacent_difference_config_selectorILb1ElEEZNS1_24adjacent_difference_implIS3_Lb1ELb0EPlS7_ZN2at6native12_GLOBAL__N_124unique_dim_cuda_templateIN3c108BFloat16EEESt5tupleIJNS8_6TensorESF_SF_EERKSF_lbbbEUlllE1_EE10hipError_tPvRmT2_T3_mT4_P12ihipStream_tbEUlT_E_NS1_11comp_targetILNS1_3genE0ELNS1_11target_archE4294967295ELNS1_3gpuE0ELNS1_3repE0EEENS1_30default_config_static_selectorELNS0_4arch9wavefront6targetE1EEEvT1_
; %bb.0:
	.section	.rodata,"a",@progbits
	.p2align	6, 0x0
	.amdhsa_kernel _ZN7rocprim17ROCPRIM_400000_NS6detail17trampoline_kernelINS0_14default_configENS1_35adjacent_difference_config_selectorILb1ElEEZNS1_24adjacent_difference_implIS3_Lb1ELb0EPlS7_ZN2at6native12_GLOBAL__N_124unique_dim_cuda_templateIN3c108BFloat16EEESt5tupleIJNS8_6TensorESF_SF_EERKSF_lbbbEUlllE1_EE10hipError_tPvRmT2_T3_mT4_P12ihipStream_tbEUlT_E_NS1_11comp_targetILNS1_3genE0ELNS1_11target_archE4294967295ELNS1_3gpuE0ELNS1_3repE0EEENS1_30default_config_static_selectorELNS0_4arch9wavefront6targetE1EEEvT1_
		.amdhsa_group_segment_fixed_size 0
		.amdhsa_private_segment_fixed_size 0
		.amdhsa_kernarg_size 64
		.amdhsa_user_sgpr_count 2
		.amdhsa_user_sgpr_dispatch_ptr 0
		.amdhsa_user_sgpr_queue_ptr 0
		.amdhsa_user_sgpr_kernarg_segment_ptr 1
		.amdhsa_user_sgpr_dispatch_id 0
		.amdhsa_user_sgpr_kernarg_preload_length 0
		.amdhsa_user_sgpr_kernarg_preload_offset 0
		.amdhsa_user_sgpr_private_segment_size 0
		.amdhsa_uses_dynamic_stack 0
		.amdhsa_enable_private_segment 0
		.amdhsa_system_sgpr_workgroup_id_x 1
		.amdhsa_system_sgpr_workgroup_id_y 0
		.amdhsa_system_sgpr_workgroup_id_z 0
		.amdhsa_system_sgpr_workgroup_info 0
		.amdhsa_system_vgpr_workitem_id 0
		.amdhsa_next_free_vgpr 1
		.amdhsa_next_free_sgpr 0
		.amdhsa_accum_offset 4
		.amdhsa_reserve_vcc 0
		.amdhsa_float_round_mode_32 0
		.amdhsa_float_round_mode_16_64 0
		.amdhsa_float_denorm_mode_32 3
		.amdhsa_float_denorm_mode_16_64 3
		.amdhsa_dx10_clamp 1
		.amdhsa_ieee_mode 1
		.amdhsa_fp16_overflow 0
		.amdhsa_tg_split 0
		.amdhsa_exception_fp_ieee_invalid_op 0
		.amdhsa_exception_fp_denorm_src 0
		.amdhsa_exception_fp_ieee_div_zero 0
		.amdhsa_exception_fp_ieee_overflow 0
		.amdhsa_exception_fp_ieee_underflow 0
		.amdhsa_exception_fp_ieee_inexact 0
		.amdhsa_exception_int_div_zero 0
	.end_amdhsa_kernel
	.section	.text._ZN7rocprim17ROCPRIM_400000_NS6detail17trampoline_kernelINS0_14default_configENS1_35adjacent_difference_config_selectorILb1ElEEZNS1_24adjacent_difference_implIS3_Lb1ELb0EPlS7_ZN2at6native12_GLOBAL__N_124unique_dim_cuda_templateIN3c108BFloat16EEESt5tupleIJNS8_6TensorESF_SF_EERKSF_lbbbEUlllE1_EE10hipError_tPvRmT2_T3_mT4_P12ihipStream_tbEUlT_E_NS1_11comp_targetILNS1_3genE0ELNS1_11target_archE4294967295ELNS1_3gpuE0ELNS1_3repE0EEENS1_30default_config_static_selectorELNS0_4arch9wavefront6targetE1EEEvT1_,"axG",@progbits,_ZN7rocprim17ROCPRIM_400000_NS6detail17trampoline_kernelINS0_14default_configENS1_35adjacent_difference_config_selectorILb1ElEEZNS1_24adjacent_difference_implIS3_Lb1ELb0EPlS7_ZN2at6native12_GLOBAL__N_124unique_dim_cuda_templateIN3c108BFloat16EEESt5tupleIJNS8_6TensorESF_SF_EERKSF_lbbbEUlllE1_EE10hipError_tPvRmT2_T3_mT4_P12ihipStream_tbEUlT_E_NS1_11comp_targetILNS1_3genE0ELNS1_11target_archE4294967295ELNS1_3gpuE0ELNS1_3repE0EEENS1_30default_config_static_selectorELNS0_4arch9wavefront6targetE1EEEvT1_,comdat
.Lfunc_end1174:
	.size	_ZN7rocprim17ROCPRIM_400000_NS6detail17trampoline_kernelINS0_14default_configENS1_35adjacent_difference_config_selectorILb1ElEEZNS1_24adjacent_difference_implIS3_Lb1ELb0EPlS7_ZN2at6native12_GLOBAL__N_124unique_dim_cuda_templateIN3c108BFloat16EEESt5tupleIJNS8_6TensorESF_SF_EERKSF_lbbbEUlllE1_EE10hipError_tPvRmT2_T3_mT4_P12ihipStream_tbEUlT_E_NS1_11comp_targetILNS1_3genE0ELNS1_11target_archE4294967295ELNS1_3gpuE0ELNS1_3repE0EEENS1_30default_config_static_selectorELNS0_4arch9wavefront6targetE1EEEvT1_, .Lfunc_end1174-_ZN7rocprim17ROCPRIM_400000_NS6detail17trampoline_kernelINS0_14default_configENS1_35adjacent_difference_config_selectorILb1ElEEZNS1_24adjacent_difference_implIS3_Lb1ELb0EPlS7_ZN2at6native12_GLOBAL__N_124unique_dim_cuda_templateIN3c108BFloat16EEESt5tupleIJNS8_6TensorESF_SF_EERKSF_lbbbEUlllE1_EE10hipError_tPvRmT2_T3_mT4_P12ihipStream_tbEUlT_E_NS1_11comp_targetILNS1_3genE0ELNS1_11target_archE4294967295ELNS1_3gpuE0ELNS1_3repE0EEENS1_30default_config_static_selectorELNS0_4arch9wavefront6targetE1EEEvT1_
                                        ; -- End function
	.section	.AMDGPU.csdata,"",@progbits
; Kernel info:
; codeLenInByte = 0
; NumSgprs: 6
; NumVgprs: 0
; NumAgprs: 0
; TotalNumVgprs: 0
; ScratchSize: 0
; MemoryBound: 0
; FloatMode: 240
; IeeeMode: 1
; LDSByteSize: 0 bytes/workgroup (compile time only)
; SGPRBlocks: 0
; VGPRBlocks: 0
; NumSGPRsForWavesPerEU: 6
; NumVGPRsForWavesPerEU: 1
; AccumOffset: 4
; Occupancy: 8
; WaveLimiterHint : 0
; COMPUTE_PGM_RSRC2:SCRATCH_EN: 0
; COMPUTE_PGM_RSRC2:USER_SGPR: 2
; COMPUTE_PGM_RSRC2:TRAP_HANDLER: 0
; COMPUTE_PGM_RSRC2:TGID_X_EN: 1
; COMPUTE_PGM_RSRC2:TGID_Y_EN: 0
; COMPUTE_PGM_RSRC2:TGID_Z_EN: 0
; COMPUTE_PGM_RSRC2:TIDIG_COMP_CNT: 0
; COMPUTE_PGM_RSRC3_GFX90A:ACCUM_OFFSET: 0
; COMPUTE_PGM_RSRC3_GFX90A:TG_SPLIT: 0
	.section	.text._ZN7rocprim17ROCPRIM_400000_NS6detail17trampoline_kernelINS0_14default_configENS1_35adjacent_difference_config_selectorILb1ElEEZNS1_24adjacent_difference_implIS3_Lb1ELb0EPlS7_ZN2at6native12_GLOBAL__N_124unique_dim_cuda_templateIN3c108BFloat16EEESt5tupleIJNS8_6TensorESF_SF_EERKSF_lbbbEUlllE1_EE10hipError_tPvRmT2_T3_mT4_P12ihipStream_tbEUlT_E_NS1_11comp_targetILNS1_3genE10ELNS1_11target_archE1201ELNS1_3gpuE5ELNS1_3repE0EEENS1_30default_config_static_selectorELNS0_4arch9wavefront6targetE1EEEvT1_,"axG",@progbits,_ZN7rocprim17ROCPRIM_400000_NS6detail17trampoline_kernelINS0_14default_configENS1_35adjacent_difference_config_selectorILb1ElEEZNS1_24adjacent_difference_implIS3_Lb1ELb0EPlS7_ZN2at6native12_GLOBAL__N_124unique_dim_cuda_templateIN3c108BFloat16EEESt5tupleIJNS8_6TensorESF_SF_EERKSF_lbbbEUlllE1_EE10hipError_tPvRmT2_T3_mT4_P12ihipStream_tbEUlT_E_NS1_11comp_targetILNS1_3genE10ELNS1_11target_archE1201ELNS1_3gpuE5ELNS1_3repE0EEENS1_30default_config_static_selectorELNS0_4arch9wavefront6targetE1EEEvT1_,comdat
	.globl	_ZN7rocprim17ROCPRIM_400000_NS6detail17trampoline_kernelINS0_14default_configENS1_35adjacent_difference_config_selectorILb1ElEEZNS1_24adjacent_difference_implIS3_Lb1ELb0EPlS7_ZN2at6native12_GLOBAL__N_124unique_dim_cuda_templateIN3c108BFloat16EEESt5tupleIJNS8_6TensorESF_SF_EERKSF_lbbbEUlllE1_EE10hipError_tPvRmT2_T3_mT4_P12ihipStream_tbEUlT_E_NS1_11comp_targetILNS1_3genE10ELNS1_11target_archE1201ELNS1_3gpuE5ELNS1_3repE0EEENS1_30default_config_static_selectorELNS0_4arch9wavefront6targetE1EEEvT1_ ; -- Begin function _ZN7rocprim17ROCPRIM_400000_NS6detail17trampoline_kernelINS0_14default_configENS1_35adjacent_difference_config_selectorILb1ElEEZNS1_24adjacent_difference_implIS3_Lb1ELb0EPlS7_ZN2at6native12_GLOBAL__N_124unique_dim_cuda_templateIN3c108BFloat16EEESt5tupleIJNS8_6TensorESF_SF_EERKSF_lbbbEUlllE1_EE10hipError_tPvRmT2_T3_mT4_P12ihipStream_tbEUlT_E_NS1_11comp_targetILNS1_3genE10ELNS1_11target_archE1201ELNS1_3gpuE5ELNS1_3repE0EEENS1_30default_config_static_selectorELNS0_4arch9wavefront6targetE1EEEvT1_
	.p2align	8
	.type	_ZN7rocprim17ROCPRIM_400000_NS6detail17trampoline_kernelINS0_14default_configENS1_35adjacent_difference_config_selectorILb1ElEEZNS1_24adjacent_difference_implIS3_Lb1ELb0EPlS7_ZN2at6native12_GLOBAL__N_124unique_dim_cuda_templateIN3c108BFloat16EEESt5tupleIJNS8_6TensorESF_SF_EERKSF_lbbbEUlllE1_EE10hipError_tPvRmT2_T3_mT4_P12ihipStream_tbEUlT_E_NS1_11comp_targetILNS1_3genE10ELNS1_11target_archE1201ELNS1_3gpuE5ELNS1_3repE0EEENS1_30default_config_static_selectorELNS0_4arch9wavefront6targetE1EEEvT1_,@function
_ZN7rocprim17ROCPRIM_400000_NS6detail17trampoline_kernelINS0_14default_configENS1_35adjacent_difference_config_selectorILb1ElEEZNS1_24adjacent_difference_implIS3_Lb1ELb0EPlS7_ZN2at6native12_GLOBAL__N_124unique_dim_cuda_templateIN3c108BFloat16EEESt5tupleIJNS8_6TensorESF_SF_EERKSF_lbbbEUlllE1_EE10hipError_tPvRmT2_T3_mT4_P12ihipStream_tbEUlT_E_NS1_11comp_targetILNS1_3genE10ELNS1_11target_archE1201ELNS1_3gpuE5ELNS1_3repE0EEENS1_30default_config_static_selectorELNS0_4arch9wavefront6targetE1EEEvT1_: ; @_ZN7rocprim17ROCPRIM_400000_NS6detail17trampoline_kernelINS0_14default_configENS1_35adjacent_difference_config_selectorILb1ElEEZNS1_24adjacent_difference_implIS3_Lb1ELb0EPlS7_ZN2at6native12_GLOBAL__N_124unique_dim_cuda_templateIN3c108BFloat16EEESt5tupleIJNS8_6TensorESF_SF_EERKSF_lbbbEUlllE1_EE10hipError_tPvRmT2_T3_mT4_P12ihipStream_tbEUlT_E_NS1_11comp_targetILNS1_3genE10ELNS1_11target_archE1201ELNS1_3gpuE5ELNS1_3repE0EEENS1_30default_config_static_selectorELNS0_4arch9wavefront6targetE1EEEvT1_
; %bb.0:
	.section	.rodata,"a",@progbits
	.p2align	6, 0x0
	.amdhsa_kernel _ZN7rocprim17ROCPRIM_400000_NS6detail17trampoline_kernelINS0_14default_configENS1_35adjacent_difference_config_selectorILb1ElEEZNS1_24adjacent_difference_implIS3_Lb1ELb0EPlS7_ZN2at6native12_GLOBAL__N_124unique_dim_cuda_templateIN3c108BFloat16EEESt5tupleIJNS8_6TensorESF_SF_EERKSF_lbbbEUlllE1_EE10hipError_tPvRmT2_T3_mT4_P12ihipStream_tbEUlT_E_NS1_11comp_targetILNS1_3genE10ELNS1_11target_archE1201ELNS1_3gpuE5ELNS1_3repE0EEENS1_30default_config_static_selectorELNS0_4arch9wavefront6targetE1EEEvT1_
		.amdhsa_group_segment_fixed_size 0
		.amdhsa_private_segment_fixed_size 0
		.amdhsa_kernarg_size 64
		.amdhsa_user_sgpr_count 2
		.amdhsa_user_sgpr_dispatch_ptr 0
		.amdhsa_user_sgpr_queue_ptr 0
		.amdhsa_user_sgpr_kernarg_segment_ptr 1
		.amdhsa_user_sgpr_dispatch_id 0
		.amdhsa_user_sgpr_kernarg_preload_length 0
		.amdhsa_user_sgpr_kernarg_preload_offset 0
		.amdhsa_user_sgpr_private_segment_size 0
		.amdhsa_uses_dynamic_stack 0
		.amdhsa_enable_private_segment 0
		.amdhsa_system_sgpr_workgroup_id_x 1
		.amdhsa_system_sgpr_workgroup_id_y 0
		.amdhsa_system_sgpr_workgroup_id_z 0
		.amdhsa_system_sgpr_workgroup_info 0
		.amdhsa_system_vgpr_workitem_id 0
		.amdhsa_next_free_vgpr 1
		.amdhsa_next_free_sgpr 0
		.amdhsa_accum_offset 4
		.amdhsa_reserve_vcc 0
		.amdhsa_float_round_mode_32 0
		.amdhsa_float_round_mode_16_64 0
		.amdhsa_float_denorm_mode_32 3
		.amdhsa_float_denorm_mode_16_64 3
		.amdhsa_dx10_clamp 1
		.amdhsa_ieee_mode 1
		.amdhsa_fp16_overflow 0
		.amdhsa_tg_split 0
		.amdhsa_exception_fp_ieee_invalid_op 0
		.amdhsa_exception_fp_denorm_src 0
		.amdhsa_exception_fp_ieee_div_zero 0
		.amdhsa_exception_fp_ieee_overflow 0
		.amdhsa_exception_fp_ieee_underflow 0
		.amdhsa_exception_fp_ieee_inexact 0
		.amdhsa_exception_int_div_zero 0
	.end_amdhsa_kernel
	.section	.text._ZN7rocprim17ROCPRIM_400000_NS6detail17trampoline_kernelINS0_14default_configENS1_35adjacent_difference_config_selectorILb1ElEEZNS1_24adjacent_difference_implIS3_Lb1ELb0EPlS7_ZN2at6native12_GLOBAL__N_124unique_dim_cuda_templateIN3c108BFloat16EEESt5tupleIJNS8_6TensorESF_SF_EERKSF_lbbbEUlllE1_EE10hipError_tPvRmT2_T3_mT4_P12ihipStream_tbEUlT_E_NS1_11comp_targetILNS1_3genE10ELNS1_11target_archE1201ELNS1_3gpuE5ELNS1_3repE0EEENS1_30default_config_static_selectorELNS0_4arch9wavefront6targetE1EEEvT1_,"axG",@progbits,_ZN7rocprim17ROCPRIM_400000_NS6detail17trampoline_kernelINS0_14default_configENS1_35adjacent_difference_config_selectorILb1ElEEZNS1_24adjacent_difference_implIS3_Lb1ELb0EPlS7_ZN2at6native12_GLOBAL__N_124unique_dim_cuda_templateIN3c108BFloat16EEESt5tupleIJNS8_6TensorESF_SF_EERKSF_lbbbEUlllE1_EE10hipError_tPvRmT2_T3_mT4_P12ihipStream_tbEUlT_E_NS1_11comp_targetILNS1_3genE10ELNS1_11target_archE1201ELNS1_3gpuE5ELNS1_3repE0EEENS1_30default_config_static_selectorELNS0_4arch9wavefront6targetE1EEEvT1_,comdat
.Lfunc_end1175:
	.size	_ZN7rocprim17ROCPRIM_400000_NS6detail17trampoline_kernelINS0_14default_configENS1_35adjacent_difference_config_selectorILb1ElEEZNS1_24adjacent_difference_implIS3_Lb1ELb0EPlS7_ZN2at6native12_GLOBAL__N_124unique_dim_cuda_templateIN3c108BFloat16EEESt5tupleIJNS8_6TensorESF_SF_EERKSF_lbbbEUlllE1_EE10hipError_tPvRmT2_T3_mT4_P12ihipStream_tbEUlT_E_NS1_11comp_targetILNS1_3genE10ELNS1_11target_archE1201ELNS1_3gpuE5ELNS1_3repE0EEENS1_30default_config_static_selectorELNS0_4arch9wavefront6targetE1EEEvT1_, .Lfunc_end1175-_ZN7rocprim17ROCPRIM_400000_NS6detail17trampoline_kernelINS0_14default_configENS1_35adjacent_difference_config_selectorILb1ElEEZNS1_24adjacent_difference_implIS3_Lb1ELb0EPlS7_ZN2at6native12_GLOBAL__N_124unique_dim_cuda_templateIN3c108BFloat16EEESt5tupleIJNS8_6TensorESF_SF_EERKSF_lbbbEUlllE1_EE10hipError_tPvRmT2_T3_mT4_P12ihipStream_tbEUlT_E_NS1_11comp_targetILNS1_3genE10ELNS1_11target_archE1201ELNS1_3gpuE5ELNS1_3repE0EEENS1_30default_config_static_selectorELNS0_4arch9wavefront6targetE1EEEvT1_
                                        ; -- End function
	.section	.AMDGPU.csdata,"",@progbits
; Kernel info:
; codeLenInByte = 0
; NumSgprs: 6
; NumVgprs: 0
; NumAgprs: 0
; TotalNumVgprs: 0
; ScratchSize: 0
; MemoryBound: 0
; FloatMode: 240
; IeeeMode: 1
; LDSByteSize: 0 bytes/workgroup (compile time only)
; SGPRBlocks: 0
; VGPRBlocks: 0
; NumSGPRsForWavesPerEU: 6
; NumVGPRsForWavesPerEU: 1
; AccumOffset: 4
; Occupancy: 8
; WaveLimiterHint : 0
; COMPUTE_PGM_RSRC2:SCRATCH_EN: 0
; COMPUTE_PGM_RSRC2:USER_SGPR: 2
; COMPUTE_PGM_RSRC2:TRAP_HANDLER: 0
; COMPUTE_PGM_RSRC2:TGID_X_EN: 1
; COMPUTE_PGM_RSRC2:TGID_Y_EN: 0
; COMPUTE_PGM_RSRC2:TGID_Z_EN: 0
; COMPUTE_PGM_RSRC2:TIDIG_COMP_CNT: 0
; COMPUTE_PGM_RSRC3_GFX90A:ACCUM_OFFSET: 0
; COMPUTE_PGM_RSRC3_GFX90A:TG_SPLIT: 0
	.section	.text._ZN7rocprim17ROCPRIM_400000_NS6detail17trampoline_kernelINS0_14default_configENS1_35adjacent_difference_config_selectorILb1ElEEZNS1_24adjacent_difference_implIS3_Lb1ELb0EPlS7_ZN2at6native12_GLOBAL__N_124unique_dim_cuda_templateIN3c108BFloat16EEESt5tupleIJNS8_6TensorESF_SF_EERKSF_lbbbEUlllE1_EE10hipError_tPvRmT2_T3_mT4_P12ihipStream_tbEUlT_E_NS1_11comp_targetILNS1_3genE5ELNS1_11target_archE942ELNS1_3gpuE9ELNS1_3repE0EEENS1_30default_config_static_selectorELNS0_4arch9wavefront6targetE1EEEvT1_,"axG",@progbits,_ZN7rocprim17ROCPRIM_400000_NS6detail17trampoline_kernelINS0_14default_configENS1_35adjacent_difference_config_selectorILb1ElEEZNS1_24adjacent_difference_implIS3_Lb1ELb0EPlS7_ZN2at6native12_GLOBAL__N_124unique_dim_cuda_templateIN3c108BFloat16EEESt5tupleIJNS8_6TensorESF_SF_EERKSF_lbbbEUlllE1_EE10hipError_tPvRmT2_T3_mT4_P12ihipStream_tbEUlT_E_NS1_11comp_targetILNS1_3genE5ELNS1_11target_archE942ELNS1_3gpuE9ELNS1_3repE0EEENS1_30default_config_static_selectorELNS0_4arch9wavefront6targetE1EEEvT1_,comdat
	.globl	_ZN7rocprim17ROCPRIM_400000_NS6detail17trampoline_kernelINS0_14default_configENS1_35adjacent_difference_config_selectorILb1ElEEZNS1_24adjacent_difference_implIS3_Lb1ELb0EPlS7_ZN2at6native12_GLOBAL__N_124unique_dim_cuda_templateIN3c108BFloat16EEESt5tupleIJNS8_6TensorESF_SF_EERKSF_lbbbEUlllE1_EE10hipError_tPvRmT2_T3_mT4_P12ihipStream_tbEUlT_E_NS1_11comp_targetILNS1_3genE5ELNS1_11target_archE942ELNS1_3gpuE9ELNS1_3repE0EEENS1_30default_config_static_selectorELNS0_4arch9wavefront6targetE1EEEvT1_ ; -- Begin function _ZN7rocprim17ROCPRIM_400000_NS6detail17trampoline_kernelINS0_14default_configENS1_35adjacent_difference_config_selectorILb1ElEEZNS1_24adjacent_difference_implIS3_Lb1ELb0EPlS7_ZN2at6native12_GLOBAL__N_124unique_dim_cuda_templateIN3c108BFloat16EEESt5tupleIJNS8_6TensorESF_SF_EERKSF_lbbbEUlllE1_EE10hipError_tPvRmT2_T3_mT4_P12ihipStream_tbEUlT_E_NS1_11comp_targetILNS1_3genE5ELNS1_11target_archE942ELNS1_3gpuE9ELNS1_3repE0EEENS1_30default_config_static_selectorELNS0_4arch9wavefront6targetE1EEEvT1_
	.p2align	8
	.type	_ZN7rocprim17ROCPRIM_400000_NS6detail17trampoline_kernelINS0_14default_configENS1_35adjacent_difference_config_selectorILb1ElEEZNS1_24adjacent_difference_implIS3_Lb1ELb0EPlS7_ZN2at6native12_GLOBAL__N_124unique_dim_cuda_templateIN3c108BFloat16EEESt5tupleIJNS8_6TensorESF_SF_EERKSF_lbbbEUlllE1_EE10hipError_tPvRmT2_T3_mT4_P12ihipStream_tbEUlT_E_NS1_11comp_targetILNS1_3genE5ELNS1_11target_archE942ELNS1_3gpuE9ELNS1_3repE0EEENS1_30default_config_static_selectorELNS0_4arch9wavefront6targetE1EEEvT1_,@function
_ZN7rocprim17ROCPRIM_400000_NS6detail17trampoline_kernelINS0_14default_configENS1_35adjacent_difference_config_selectorILb1ElEEZNS1_24adjacent_difference_implIS3_Lb1ELb0EPlS7_ZN2at6native12_GLOBAL__N_124unique_dim_cuda_templateIN3c108BFloat16EEESt5tupleIJNS8_6TensorESF_SF_EERKSF_lbbbEUlllE1_EE10hipError_tPvRmT2_T3_mT4_P12ihipStream_tbEUlT_E_NS1_11comp_targetILNS1_3genE5ELNS1_11target_archE942ELNS1_3gpuE9ELNS1_3repE0EEENS1_30default_config_static_selectorELNS0_4arch9wavefront6targetE1EEEvT1_: ; @_ZN7rocprim17ROCPRIM_400000_NS6detail17trampoline_kernelINS0_14default_configENS1_35adjacent_difference_config_selectorILb1ElEEZNS1_24adjacent_difference_implIS3_Lb1ELb0EPlS7_ZN2at6native12_GLOBAL__N_124unique_dim_cuda_templateIN3c108BFloat16EEESt5tupleIJNS8_6TensorESF_SF_EERKSF_lbbbEUlllE1_EE10hipError_tPvRmT2_T3_mT4_P12ihipStream_tbEUlT_E_NS1_11comp_targetILNS1_3genE5ELNS1_11target_archE942ELNS1_3gpuE9ELNS1_3repE0EEENS1_30default_config_static_selectorELNS0_4arch9wavefront6targetE1EEEvT1_
; %bb.0:
	s_load_dwordx16 s[4:19], s[0:1], 0x0
	s_mov_b32 s1, 0x545d15a0
	v_bfrev_b32_e32 v1, 4
	s_movk_i32 s0, 0xb00
	s_mul_i32 s20, s2, 0xb00
	s_waitcnt lgkmcnt(0)
	s_lshl_b64 s[6:7], s[6:7], 3
	s_add_u32 s30, s4, s6
	s_addc_u32 s31, s5, s7
	s_add_u32 s1, 0x74, s1
	s_addc_u32 s4, 0, 0
	v_add_co_u32_e32 v1, vcc, s1, v1
	s_cmp_lg_u64 vcc, 0
	v_readfirstlane_b32 s5, v1
	s_addc_u32 s1, s4, 0x1745d1
	s_mul_hi_u32 s21, s5, 0xfffff500
	s_mul_i32 s4, s1, 0xfffff500
	s_sub_i32 s21, s21, s5
	s_add_i32 s21, s21, s4
	s_mul_i32 s23, s5, 0xfffff500
	s_mul_hi_u32 s4, s5, s21
	s_mul_i32 s22, s5, s21
	s_mul_hi_u32 s5, s5, s23
	s_add_u32 s5, s5, s22
	s_addc_u32 s4, 0, s4
	s_mul_hi_u32 s24, s1, s23
	s_mul_i32 s23, s1, s23
	s_add_u32 s5, s5, s23
	s_mul_hi_u32 s22, s1, s21
	s_addc_u32 s4, s4, s24
	s_addc_u32 s5, s22, 0
	s_mul_i32 s21, s1, s21
	s_add_u32 s4, s4, s21
	s_addc_u32 s5, 0, s5
	v_add_co_u32_e32 v1, vcc, s4, v1
	s_cmp_lg_u64 vcc, 0
	s_addc_u32 s1, s1, s5
	v_readfirstlane_b32 s21, v1
	s_mul_i32 s5, s10, s1
	s_mul_hi_u32 s22, s10, s21
	s_mul_hi_u32 s4, s10, s1
	s_add_u32 s5, s22, s5
	s_addc_u32 s4, 0, s4
	s_mul_hi_u32 s23, s11, s21
	s_mul_i32 s21, s11, s21
	s_add_u32 s5, s5, s21
	s_mul_hi_u32 s22, s11, s1
	s_addc_u32 s4, s4, s23
	s_addc_u32 s5, s22, 0
	s_mul_i32 s1, s11, s1
	s_add_u32 s1, s4, s1
	s_addc_u32 s4, 0, s5
	s_add_u32 s5, s1, 1
	s_addc_u32 s21, s4, 0
	s_add_u32 s22, s1, 2
	s_mul_i32 s24, s4, 0xb00
	s_mul_hi_u32 s25, s1, 0xb00
	s_addc_u32 s23, s4, 0
	s_add_i32 s25, s25, s24
	s_mul_i32 s24, s1, 0xb00
	v_mov_b32_e32 v1, s24
	v_sub_co_u32_e32 v1, vcc, s10, v1
	s_cmp_lg_u64 vcc, 0
	s_subb_u32 s24, s11, s25
	v_subrev_co_u32_e32 v2, vcc, s0, v1
	s_cmp_lg_u64 vcc, 0
	s_subb_u32 s0, s24, 0
	v_readfirstlane_b32 s25, v2
	s_cmpk_gt_u32 s25, 0xaff
	s_cselect_b32 s25, -1, 0
	s_cmp_eq_u32 s0, 0
	s_cselect_b32 s0, s25, -1
	s_cmp_lg_u32 s0, 0
	s_cselect_b32 s0, s22, s5
	s_cselect_b32 s5, s23, s21
	v_readfirstlane_b32 s21, v1
	s_cmpk_gt_u32 s21, 0xaff
	s_cselect_b32 s21, -1, 0
	s_cmp_eq_u32 s24, 0
	s_cselect_b32 s21, s21, -1
	s_cmp_lg_u32 s21, 0
	s_cselect_b32 s5, s5, s4
	s_cselect_b32 s4, s0, s1
	s_mul_i32 s0, s5, 0xb00
	s_mul_hi_u32 s1, s4, 0xb00
	s_add_i32 s1, s1, s0
	s_mul_i32 s0, s4, 0xb00
	s_sub_u32 s0, s10, s0
	s_subb_u32 s1, s11, s1
	s_cmp_lg_u64 s[0:1], 0
	s_cselect_b64 s[0:1], -1, 0
	v_cndmask_b32_e64 v1, 0, 1, s[0:1]
	s_mov_b32 s3, 0
	v_readfirstlane_b32 s0, v1
	s_add_u32 s4, s4, s0
	s_addc_u32 s5, s5, 0
	s_add_u32 s24, s18, s2
	s_addc_u32 s25, s19, 0
	s_add_u32 s26, s4, -1
	s_addc_u32 s27, s5, -1
	v_mov_b64_e32 v[2:3], s[26:27]
	v_cmp_ge_u64_e64 s[0:1], s[24:25], v[2:3]
	s_mov_b64 s[22:23], -1
	s_and_b64 vcc, exec, s[0:1]
	s_mul_i32 s11, s26, 0xfffff500
	s_cbranch_vccz .LBB1176_24
; %bb.1:
	s_mov_b32 s21, s3
	s_add_i32 s33, s11, s10
	s_lshl_b64 s[22:23], s[20:21], 3
	s_add_u32 s22, s30, s22
	s_addc_u32 s23, s31, s23
	v_cmp_gt_u32_e32 vcc, s33, v0
                                        ; implicit-def: $vgpr2_vgpr3_vgpr4_vgpr5_vgpr6_vgpr7_vgpr8_vgpr9_vgpr10_vgpr11_vgpr12_vgpr13_vgpr14_vgpr15_vgpr16_vgpr17_vgpr18_vgpr19_vgpr20_vgpr21_vgpr22_vgpr23_vgpr24_vgpr25_vgpr26_vgpr27_vgpr28_vgpr29_vgpr30_vgpr31_vgpr32_vgpr33
	s_and_saveexec_b64 s[28:29], vcc
	s_cbranch_execz .LBB1176_3
; %bb.2:
	v_lshlrev_b32_e32 v1, 3, v0
	global_load_dwordx2 v[2:3], v1, s[22:23]
.LBB1176_3:
	s_or_b64 exec, exec, s[28:29]
	v_or_b32_e32 v1, 0x100, v0
	v_cmp_gt_u32_e32 vcc, s33, v1
	s_and_saveexec_b64 s[28:29], vcc
	s_cbranch_execz .LBB1176_5
; %bb.4:
	v_lshlrev_b32_e32 v1, 3, v0
	global_load_dwordx2 v[4:5], v1, s[22:23] offset:2048
.LBB1176_5:
	s_or_b64 exec, exec, s[28:29]
	v_or_b32_e32 v1, 0x200, v0
	v_cmp_gt_u32_e32 vcc, s33, v1
	s_and_saveexec_b64 s[28:29], vcc
	s_cbranch_execz .LBB1176_7
; %bb.6:
	v_lshlrev_b32_e32 v1, 3, v1
	global_load_dwordx2 v[6:7], v1, s[22:23]
.LBB1176_7:
	s_or_b64 exec, exec, s[28:29]
	v_or_b32_e32 v1, 0x300, v0
	v_cmp_gt_u32_e32 vcc, s33, v1
	s_and_saveexec_b64 s[28:29], vcc
	s_cbranch_execz .LBB1176_9
; %bb.8:
	v_lshlrev_b32_e32 v1, 3, v1
	global_load_dwordx2 v[8:9], v1, s[22:23]
.LBB1176_9:
	;; [unrolled: 9-line block ×9, first 2 shown]
	s_or_b64 exec, exec, s[28:29]
	v_lshlrev_b32_e32 v1, 3, v0
	s_mov_b64 s[22:23], 0
	s_waitcnt vmcnt(0)
	ds_write2st64_b64 v1, v[2:3], v[4:5] offset1:4
	ds_write2st64_b64 v1, v[6:7], v[8:9] offset0:8 offset1:12
	ds_write2st64_b64 v1, v[10:11], v[12:13] offset0:16 offset1:20
	;; [unrolled: 1-line block ×4, first 2 shown]
	ds_write_b64 v1, v[22:23] offset:20480
	s_waitcnt lgkmcnt(0)
	s_barrier
.LBB1176_24:
	s_and_b64 vcc, exec, s[22:23]
	v_lshlrev_b32_e32 v40, 3, v0
	s_cbranch_vccz .LBB1176_26
; %bb.25:
	s_mov_b32 s21, 0
	s_lshl_b64 s[22:23], s[20:21], 3
	s_add_u32 s22, s30, s22
	s_addc_u32 s23, s31, s23
	v_mov_b32_e32 v41, 0
	v_lshl_add_u64 v[2:3], s[22:23], 0, v[40:41]
	v_add_co_u32_e32 v8, vcc, 0x1000, v2
	global_load_dwordx2 v[4:5], v40, s[22:23]
	global_load_dwordx2 v[6:7], v40, s[22:23] offset:2048
	v_addc_co_u32_e32 v9, vcc, 0, v3, vcc
	v_add_co_u32_e32 v10, vcc, 0x2000, v2
	s_nop 1
	v_addc_co_u32_e32 v11, vcc, 0, v3, vcc
	global_load_dwordx2 v[12:13], v[8:9], off
	global_load_dwordx2 v[14:15], v[8:9], off offset:2048
	global_load_dwordx2 v[16:17], v[10:11], off
	global_load_dwordx2 v[18:19], v[10:11], off offset:2048
	v_add_co_u32_e32 v8, vcc, 0x3000, v2
	s_nop 1
	v_addc_co_u32_e32 v9, vcc, 0, v3, vcc
	v_add_co_u32_e32 v10, vcc, 0x4000, v2
	s_nop 1
	v_addc_co_u32_e32 v11, vcc, 0, v3, vcc
	global_load_dwordx2 v[20:21], v[8:9], off
	global_load_dwordx2 v[22:23], v[8:9], off offset:2048
	global_load_dwordx2 v[24:25], v[10:11], off
	global_load_dwordx2 v[26:27], v[10:11], off offset:2048
	v_add_co_u32_e32 v2, vcc, 0x5000, v2
	s_nop 1
	v_addc_co_u32_e32 v3, vcc, 0, v3, vcc
	global_load_dwordx2 v[2:3], v[2:3], off
	s_waitcnt vmcnt(9)
	ds_write2st64_b64 v40, v[4:5], v[6:7] offset1:4
	s_waitcnt vmcnt(7)
	ds_write2st64_b64 v40, v[12:13], v[14:15] offset0:8 offset1:12
	s_waitcnt vmcnt(5)
	ds_write2st64_b64 v40, v[16:17], v[18:19] offset0:16 offset1:20
	;; [unrolled: 2-line block ×4, first 2 shown]
	s_waitcnt vmcnt(0)
	ds_write_b64 v40, v[2:3] offset:20480
	s_waitcnt lgkmcnt(0)
	s_barrier
.LBB1176_26:
	v_mul_u32_u24_e32 v1, 11, v0
	v_lshlrev_b32_e32 v1, 3, v1
	ds_read2_b64 v[2:5], v1 offset1:1
	ds_read2_b64 v[6:9], v1 offset0:2 offset1:3
	ds_read2_b64 v[10:13], v1 offset0:4 offset1:5
	;; [unrolled: 1-line block ×4, first 2 shown]
	ds_read_b64 v[36:37], v1 offset:80
	s_cmp_eq_u64 s[24:25], 0
	s_mov_b64 s[22:23], 0
	s_waitcnt lgkmcnt(0)
	s_barrier
	s_cbranch_scc1 .LBB1176_35
; %bb.27:
	s_lshl_b64 s[18:19], s[18:19], 3
	s_add_u32 s16, s16, s18
	s_addc_u32 s17, s17, s19
	s_lshl_b64 s[2:3], s[2:3], 3
	s_add_u32 s2, s16, s2
	s_addc_u32 s3, s17, s3
	s_add_u32 s2, s2, -8
	s_addc_u32 s3, s3, -1
	s_load_dwordx2 s[16:17], s[2:3], 0x0
	s_cmp_lg_u64 s[24:25], s[26:27]
	s_cbranch_scc0 .LBB1176_36
; %bb.28:
	v_mul_lo_u32 v1, v21, s12
	v_mul_lo_u32 v24, v20, s13
	v_mad_u64_u32 v[22:23], s[22:23], v20, s12, 0
	v_mov_b64_e32 v[38:39], 0
	v_cmp_lt_i64_e64 s[2:3], s[12:13], 1
	v_add3_u32 v23, v23, v24, v1
	v_cmp_gt_i64_e64 s[18:19], s[12:13], 0
	s_and_b64 vcc, exec, s[2:3]
	v_lshl_add_u64 v[22:23], v[22:23], 1, s[14:15]
	v_mov_b64_e32 v[42:43], v[38:39]
	ds_write_b64 v40, v[36:37]
	s_cbranch_vccnz .LBB1176_40
; %bb.29:
	v_mul_lo_u32 v1, v37, s12
	v_mul_lo_u32 v26, v36, s13
	v_mad_u64_u32 v[24:25], s[2:3], v36, s12, 0
	v_add3_u32 v25, v25, v26, v1
	v_lshl_add_u64 v[26:27], v[24:25], 1, s[14:15]
	global_load_ushort v1, v[26:27], off
	global_load_ushort v24, v[22:23], off
	v_mov_b64_e32 v[42:43], 1
	s_waitcnt vmcnt(1)
	v_lshlrev_b32_e32 v1, 16, v1
	s_waitcnt vmcnt(0)
	v_lshlrev_b32_e32 v24, 16, v24
	v_cmp_eq_f32_e32 vcc, v1, v24
	s_and_saveexec_b64 s[2:3], vcc
	s_cbranch_execz .LBB1176_39
; %bb.30:
	s_add_u32 s22, s12, -1
	v_lshl_add_u64 v[24:25], v[22:23], 0, 2
	v_lshl_add_u64 v[26:27], v[26:27], 0, 2
	s_addc_u32 s23, s13, -1
	s_mov_b64 s[26:27], 0
	s_mov_b64 s[30:31], 0
                                        ; implicit-def: $sgpr28_sgpr29
	s_branch .LBB1176_33
.LBB1176_31:                            ;   in Loop: Header=BB1176_33 Depth=1
	global_load_ushort v1, v[24:25], off
	global_load_ushort v28, v[26:27], off
	s_add_u32 s30, s30, 1
	s_addc_u32 s31, s31, 0
	s_andn2_b64 s[28:29], s[28:29], exec
	v_lshl_add_u64 v[24:25], v[24:25], 0, 2
	v_lshl_add_u64 v[26:27], v[26:27], 0, 2
	s_waitcnt vmcnt(1)
	v_lshlrev_b32_e32 v1, 16, v1
	s_waitcnt vmcnt(0)
	v_lshlrev_b32_e32 v28, 16, v28
	v_cmp_neq_f32_e32 vcc, v28, v1
	s_and_b64 s[34:35], vcc, exec
	s_or_b64 s[28:29], s[28:29], s[34:35]
.LBB1176_32:                            ;   in Loop: Header=BB1176_33 Depth=1
	s_and_b64 s[34:35], exec, s[28:29]
	s_or_b64 s[26:27], s[34:35], s[26:27]
	v_mov_b64_e32 v[28:29], s[30:31]
	s_andn2_b64 exec, exec, s[26:27]
	s_cbranch_execz .LBB1176_38
.LBB1176_33:                            ; =>This Inner Loop Header: Depth=1
	s_or_b64 s[28:29], s[28:29], exec
	s_cmp_eq_u64 s[22:23], s[30:31]
	s_cbranch_scc0 .LBB1176_31
; %bb.34:                               ;   in Loop: Header=BB1176_33 Depth=1
                                        ; implicit-def: $vgpr24_vgpr25
                                        ; implicit-def: $vgpr26_vgpr27
	s_mov_b64 s[30:31], s[12:13]
	s_branch .LBB1176_32
.LBB1176_35:
                                        ; implicit-def: $vgpr22_vgpr23_vgpr24_vgpr25
                                        ; implicit-def: $sgpr18_sgpr19
                                        ; implicit-def: $vgpr42_vgpr43
                                        ; implicit-def: $vgpr44_vgpr45
                                        ; implicit-def: $vgpr38_vgpr39
                                        ; implicit-def: $vgpr58_vgpr59
                                        ; implicit-def: $vgpr56_vgpr57
                                        ; implicit-def: $vgpr54_vgpr55
                                        ; implicit-def: $vgpr52_vgpr53
                                        ; implicit-def: $vgpr50_vgpr51
                                        ; implicit-def: $vgpr48_vgpr49
                                        ; implicit-def: $vgpr46_vgpr47
                                        ; implicit-def: $vgpr60_vgpr61
                                        ; implicit-def: $vgpr68_vgpr69
                                        ; implicit-def: $vgpr62_vgpr63
                                        ; implicit-def: $vgpr64_vgpr65
                                        ; implicit-def: $vgpr66_vgpr67
                                        ; implicit-def: $vgpr24_vgpr25_vgpr26_vgpr27
                                        ; implicit-def: $vgpr28_vgpr29_vgpr30_vgpr31
                                        ; implicit-def: $vgpr32_vgpr33_vgpr34_vgpr35
	s_cbranch_execnz .LBB1176_259
	s_branch .LBB1176_488
.LBB1176_36:
                                        ; implicit-def: $sgpr18_sgpr19
                                        ; implicit-def: $vgpr42_vgpr43
                                        ; implicit-def: $vgpr44_vgpr45
                                        ; implicit-def: $vgpr38_vgpr39
                                        ; implicit-def: $vgpr58_vgpr59
                                        ; implicit-def: $vgpr56_vgpr57
                                        ; implicit-def: $vgpr54_vgpr55
                                        ; implicit-def: $vgpr52_vgpr53
                                        ; implicit-def: $vgpr50_vgpr51
                                        ; implicit-def: $vgpr48_vgpr49
                                        ; implicit-def: $vgpr46_vgpr47
	s_cbranch_execnz .LBB1176_134
.LBB1176_37:
                                        ; implicit-def: $vgpr22_vgpr23_vgpr24_vgpr25
                                        ; implicit-def: $vgpr60_vgpr61
                                        ; implicit-def: $vgpr68_vgpr69
                                        ; implicit-def: $vgpr62_vgpr63
                                        ; implicit-def: $vgpr64_vgpr65
                                        ; implicit-def: $vgpr66_vgpr67
                                        ; implicit-def: $vgpr28_vgpr29_vgpr30_vgpr31
                                        ; implicit-def: $vgpr32_vgpr33_vgpr34_vgpr35
                                        ; implicit-def: $vgpr24_vgpr25_vgpr26_vgpr27
	s_branch .LBB1176_488
.LBB1176_38:
	s_or_b64 exec, exec, s[26:27]
	v_cmp_gt_i64_e32 vcc, s[12:13], v[28:29]
	s_mov_b32 s21, 0
	v_mov_b32_e32 v43, s21
	v_cndmask_b32_e64 v42, 0, 1, vcc
.LBB1176_39:
	s_or_b64 exec, exec, s[2:3]
.LBB1176_40:
	v_mul_lo_u32 v1, v19, s12
	v_mul_lo_u32 v26, v18, s13
	v_mad_u64_u32 v[24:25], s[2:3], v18, s12, 0
	v_add3_u32 v25, v25, v26, v1
	v_cndmask_b32_e64 v1, 0, 1, s[18:19]
	v_cmp_ne_u32_e64 s[2:3], 1, v1
	s_andn2_b64 vcc, exec, s[18:19]
	v_lshl_add_u64 v[24:25], v[24:25], 1, s[14:15]
	v_mov_b64_e32 v[44:45], v[38:39]
	s_cbranch_vccnz .LBB1176_49
; %bb.41:
	global_load_ushort v1, v[24:25], off
	global_load_ushort v26, v[22:23], off
	v_mov_b64_e32 v[44:45], 1
	s_waitcnt vmcnt(1)
	v_lshlrev_b32_e32 v1, 16, v1
	s_waitcnt vmcnt(0)
	v_lshlrev_b32_e32 v26, 16, v26
	v_cmp_eq_f32_e32 vcc, v26, v1
	s_and_saveexec_b64 s[18:19], vcc
	s_cbranch_execz .LBB1176_48
; %bb.42:
	s_add_u32 s22, s12, -1
	v_lshl_add_u64 v[26:27], v[24:25], 0, 2
	v_lshl_add_u64 v[22:23], v[22:23], 0, 2
	s_addc_u32 s23, s13, -1
	s_mov_b64 s[26:27], 0
	s_mov_b64 s[30:31], 0
                                        ; implicit-def: $sgpr28_sgpr29
	s_branch .LBB1176_45
.LBB1176_43:                            ;   in Loop: Header=BB1176_45 Depth=1
	global_load_ushort v1, v[26:27], off
	global_load_ushort v28, v[22:23], off
	s_add_u32 s30, s30, 1
	s_addc_u32 s31, s31, 0
	s_andn2_b64 s[28:29], s[28:29], exec
	v_lshl_add_u64 v[26:27], v[26:27], 0, 2
	v_lshl_add_u64 v[22:23], v[22:23], 0, 2
	s_waitcnt vmcnt(1)
	v_lshlrev_b32_e32 v1, 16, v1
	s_waitcnt vmcnt(0)
	v_lshlrev_b32_e32 v28, 16, v28
	v_cmp_neq_f32_e32 vcc, v28, v1
	s_and_b64 s[34:35], vcc, exec
	s_or_b64 s[28:29], s[28:29], s[34:35]
.LBB1176_44:                            ;   in Loop: Header=BB1176_45 Depth=1
	s_and_b64 s[34:35], exec, s[28:29]
	s_or_b64 s[26:27], s[34:35], s[26:27]
	v_mov_b64_e32 v[28:29], s[30:31]
	s_andn2_b64 exec, exec, s[26:27]
	s_cbranch_execz .LBB1176_47
.LBB1176_45:                            ; =>This Inner Loop Header: Depth=1
	s_or_b64 s[28:29], s[28:29], exec
	s_cmp_eq_u64 s[22:23], s[30:31]
	s_cbranch_scc0 .LBB1176_43
; %bb.46:                               ;   in Loop: Header=BB1176_45 Depth=1
                                        ; implicit-def: $vgpr26_vgpr27
                                        ; implicit-def: $vgpr22_vgpr23
	s_mov_b64 s[30:31], s[12:13]
	s_branch .LBB1176_44
.LBB1176_47:
	s_or_b64 exec, exec, s[26:27]
	v_cmp_gt_i64_e32 vcc, s[12:13], v[28:29]
	s_mov_b32 s21, 0
	v_mov_b32_e32 v45, s21
	v_cndmask_b32_e64 v44, 0, 1, vcc
.LBB1176_48:
	s_or_b64 exec, exec, s[18:19]
.LBB1176_49:
	v_mul_lo_u32 v1, v17, s12
	v_mul_lo_u32 v26, v16, s13
	v_mad_u64_u32 v[22:23], s[18:19], v16, s12, 0
	v_add3_u32 v23, v23, v26, v1
	s_and_b64 vcc, exec, s[2:3]
	v_lshl_add_u64 v[22:23], v[22:23], 1, s[14:15]
	s_cbranch_vccnz .LBB1176_58
; %bb.50:
	global_load_ushort v1, v[22:23], off
	global_load_ushort v26, v[24:25], off
	v_mov_b64_e32 v[38:39], 1
	s_waitcnt vmcnt(1)
	v_lshlrev_b32_e32 v1, 16, v1
	s_waitcnt vmcnt(0)
	v_lshlrev_b32_e32 v26, 16, v26
	v_cmp_eq_f32_e32 vcc, v26, v1
	s_and_saveexec_b64 s[18:19], vcc
	s_cbranch_execz .LBB1176_57
; %bb.51:
	s_add_u32 s22, s12, -1
	v_lshl_add_u64 v[26:27], v[22:23], 0, 2
	v_lshl_add_u64 v[24:25], v[24:25], 0, 2
	s_addc_u32 s23, s13, -1
	s_mov_b64 s[26:27], 0
	s_mov_b64 s[30:31], 0
                                        ; implicit-def: $sgpr28_sgpr29
	s_branch .LBB1176_54
.LBB1176_52:                            ;   in Loop: Header=BB1176_54 Depth=1
	global_load_ushort v1, v[26:27], off
	global_load_ushort v28, v[24:25], off
	s_add_u32 s30, s30, 1
	s_addc_u32 s31, s31, 0
	s_andn2_b64 s[28:29], s[28:29], exec
	v_lshl_add_u64 v[26:27], v[26:27], 0, 2
	v_lshl_add_u64 v[24:25], v[24:25], 0, 2
	s_waitcnt vmcnt(1)
	v_lshlrev_b32_e32 v1, 16, v1
	s_waitcnt vmcnt(0)
	v_lshlrev_b32_e32 v28, 16, v28
	v_cmp_neq_f32_e32 vcc, v28, v1
	s_and_b64 s[34:35], vcc, exec
	s_or_b64 s[28:29], s[28:29], s[34:35]
.LBB1176_53:                            ;   in Loop: Header=BB1176_54 Depth=1
	s_and_b64 s[34:35], exec, s[28:29]
	s_or_b64 s[26:27], s[34:35], s[26:27]
	v_mov_b64_e32 v[28:29], s[30:31]
	s_andn2_b64 exec, exec, s[26:27]
	s_cbranch_execz .LBB1176_56
.LBB1176_54:                            ; =>This Inner Loop Header: Depth=1
	s_or_b64 s[28:29], s[28:29], exec
	s_cmp_eq_u64 s[22:23], s[30:31]
	s_cbranch_scc0 .LBB1176_52
; %bb.55:                               ;   in Loop: Header=BB1176_54 Depth=1
                                        ; implicit-def: $vgpr26_vgpr27
                                        ; implicit-def: $vgpr24_vgpr25
	s_mov_b64 s[30:31], s[12:13]
	s_branch .LBB1176_53
.LBB1176_56:
	s_or_b64 exec, exec, s[26:27]
	v_cmp_gt_i64_e32 vcc, s[12:13], v[28:29]
	s_mov_b32 s21, 0
	v_mov_b32_e32 v39, s21
	v_cndmask_b32_e64 v38, 0, 1, vcc
.LBB1176_57:
	s_or_b64 exec, exec, s[18:19]
.LBB1176_58:
	v_mul_lo_u32 v1, v15, s12
	v_mul_lo_u32 v26, v14, s13
	v_mad_u64_u32 v[24:25], s[18:19], v14, s12, 0
	v_add3_u32 v25, v25, v26, v1
	v_mov_b64_e32 v[48:49], 0
	s_and_b64 vcc, exec, s[2:3]
	v_lshl_add_u64 v[24:25], v[24:25], 1, s[14:15]
	v_mov_b64_e32 v[46:47], v[48:49]
	s_cbranch_vccnz .LBB1176_67
; %bb.59:
	global_load_ushort v1, v[24:25], off
	global_load_ushort v26, v[22:23], off
	v_mov_b64_e32 v[46:47], 1
	s_waitcnt vmcnt(1)
	v_lshlrev_b32_e32 v1, 16, v1
	s_waitcnt vmcnt(0)
	v_lshlrev_b32_e32 v26, 16, v26
	v_cmp_eq_f32_e32 vcc, v26, v1
	s_and_saveexec_b64 s[18:19], vcc
	s_cbranch_execz .LBB1176_66
; %bb.60:
	s_add_u32 s22, s12, -1
	v_lshl_add_u64 v[26:27], v[24:25], 0, 2
	v_lshl_add_u64 v[22:23], v[22:23], 0, 2
	s_addc_u32 s23, s13, -1
	s_mov_b64 s[26:27], 0
	s_mov_b64 s[30:31], 0
                                        ; implicit-def: $sgpr28_sgpr29
	s_branch .LBB1176_63
.LBB1176_61:                            ;   in Loop: Header=BB1176_63 Depth=1
	global_load_ushort v1, v[26:27], off
	global_load_ushort v28, v[22:23], off
	s_add_u32 s30, s30, 1
	s_addc_u32 s31, s31, 0
	s_andn2_b64 s[28:29], s[28:29], exec
	v_lshl_add_u64 v[26:27], v[26:27], 0, 2
	v_lshl_add_u64 v[22:23], v[22:23], 0, 2
	s_waitcnt vmcnt(1)
	v_lshlrev_b32_e32 v1, 16, v1
	s_waitcnt vmcnt(0)
	v_lshlrev_b32_e32 v28, 16, v28
	v_cmp_neq_f32_e32 vcc, v28, v1
	s_and_b64 s[34:35], vcc, exec
	s_or_b64 s[28:29], s[28:29], s[34:35]
.LBB1176_62:                            ;   in Loop: Header=BB1176_63 Depth=1
	s_and_b64 s[34:35], exec, s[28:29]
	s_or_b64 s[26:27], s[34:35], s[26:27]
	v_mov_b64_e32 v[28:29], s[30:31]
	s_andn2_b64 exec, exec, s[26:27]
	s_cbranch_execz .LBB1176_65
.LBB1176_63:                            ; =>This Inner Loop Header: Depth=1
	s_or_b64 s[28:29], s[28:29], exec
	s_cmp_eq_u64 s[22:23], s[30:31]
	s_cbranch_scc0 .LBB1176_61
; %bb.64:                               ;   in Loop: Header=BB1176_63 Depth=1
                                        ; implicit-def: $vgpr26_vgpr27
                                        ; implicit-def: $vgpr22_vgpr23
	s_mov_b64 s[30:31], s[12:13]
	s_branch .LBB1176_62
.LBB1176_65:
	s_or_b64 exec, exec, s[26:27]
	v_cmp_gt_i64_e32 vcc, s[12:13], v[28:29]
	s_mov_b32 s21, 0
	v_mov_b32_e32 v47, s21
	v_cndmask_b32_e64 v46, 0, 1, vcc
.LBB1176_66:
	s_or_b64 exec, exec, s[18:19]
.LBB1176_67:
	v_mul_lo_u32 v1, v13, s12
	v_mul_lo_u32 v26, v12, s13
	v_mad_u64_u32 v[22:23], s[18:19], v12, s12, 0
	v_add3_u32 v23, v23, v26, v1
	s_and_b64 vcc, exec, s[2:3]
	v_lshl_add_u64 v[22:23], v[22:23], 1, s[14:15]
	s_cbranch_vccnz .LBB1176_76
; %bb.68:
	global_load_ushort v1, v[22:23], off
	global_load_ushort v26, v[24:25], off
	v_mov_b64_e32 v[48:49], 1
	s_waitcnt vmcnt(1)
	v_lshlrev_b32_e32 v1, 16, v1
	s_waitcnt vmcnt(0)
	v_lshlrev_b32_e32 v26, 16, v26
	v_cmp_eq_f32_e32 vcc, v26, v1
	s_and_saveexec_b64 s[18:19], vcc
	s_cbranch_execz .LBB1176_75
; %bb.69:
	s_add_u32 s22, s12, -1
	v_lshl_add_u64 v[26:27], v[22:23], 0, 2
	v_lshl_add_u64 v[24:25], v[24:25], 0, 2
	s_addc_u32 s23, s13, -1
	s_mov_b64 s[26:27], 0
	s_mov_b64 s[30:31], 0
                                        ; implicit-def: $sgpr28_sgpr29
	s_branch .LBB1176_72
.LBB1176_70:                            ;   in Loop: Header=BB1176_72 Depth=1
	global_load_ushort v1, v[26:27], off
	global_load_ushort v28, v[24:25], off
	s_add_u32 s30, s30, 1
	s_addc_u32 s31, s31, 0
	s_andn2_b64 s[28:29], s[28:29], exec
	v_lshl_add_u64 v[26:27], v[26:27], 0, 2
	v_lshl_add_u64 v[24:25], v[24:25], 0, 2
	s_waitcnt vmcnt(1)
	v_lshlrev_b32_e32 v1, 16, v1
	s_waitcnt vmcnt(0)
	v_lshlrev_b32_e32 v28, 16, v28
	v_cmp_neq_f32_e32 vcc, v28, v1
	s_and_b64 s[34:35], vcc, exec
	s_or_b64 s[28:29], s[28:29], s[34:35]
.LBB1176_71:                            ;   in Loop: Header=BB1176_72 Depth=1
	s_and_b64 s[34:35], exec, s[28:29]
	s_or_b64 s[26:27], s[34:35], s[26:27]
	v_mov_b64_e32 v[28:29], s[30:31]
	s_andn2_b64 exec, exec, s[26:27]
	s_cbranch_execz .LBB1176_74
.LBB1176_72:                            ; =>This Inner Loop Header: Depth=1
	s_or_b64 s[28:29], s[28:29], exec
	s_cmp_eq_u64 s[22:23], s[30:31]
	s_cbranch_scc0 .LBB1176_70
; %bb.73:                               ;   in Loop: Header=BB1176_72 Depth=1
                                        ; implicit-def: $vgpr26_vgpr27
                                        ; implicit-def: $vgpr24_vgpr25
	s_mov_b64 s[30:31], s[12:13]
	s_branch .LBB1176_71
.LBB1176_74:
	s_or_b64 exec, exec, s[26:27]
	v_cmp_gt_i64_e32 vcc, s[12:13], v[28:29]
	s_mov_b32 s21, 0
	v_mov_b32_e32 v49, s21
	v_cndmask_b32_e64 v48, 0, 1, vcc
.LBB1176_75:
	s_or_b64 exec, exec, s[18:19]
.LBB1176_76:
	v_mul_lo_u32 v1, v11, s12
	v_mul_lo_u32 v26, v10, s13
	v_mad_u64_u32 v[24:25], s[18:19], v10, s12, 0
	v_add3_u32 v25, v25, v26, v1
	v_mov_b64_e32 v[52:53], 0
	s_and_b64 vcc, exec, s[2:3]
	v_lshl_add_u64 v[24:25], v[24:25], 1, s[14:15]
	v_mov_b64_e32 v[50:51], v[52:53]
	s_cbranch_vccnz .LBB1176_85
; %bb.77:
	global_load_ushort v1, v[24:25], off
	global_load_ushort v26, v[22:23], off
	v_mov_b64_e32 v[50:51], 1
	s_waitcnt vmcnt(1)
	v_lshlrev_b32_e32 v1, 16, v1
	s_waitcnt vmcnt(0)
	v_lshlrev_b32_e32 v26, 16, v26
	v_cmp_eq_f32_e32 vcc, v26, v1
	s_and_saveexec_b64 s[18:19], vcc
	s_cbranch_execz .LBB1176_84
; %bb.78:
	s_add_u32 s22, s12, -1
	v_lshl_add_u64 v[26:27], v[24:25], 0, 2
	v_lshl_add_u64 v[22:23], v[22:23], 0, 2
	s_addc_u32 s23, s13, -1
	s_mov_b64 s[26:27], 0
	s_mov_b64 s[30:31], 0
                                        ; implicit-def: $sgpr28_sgpr29
	s_branch .LBB1176_81
.LBB1176_79:                            ;   in Loop: Header=BB1176_81 Depth=1
	global_load_ushort v1, v[26:27], off
	global_load_ushort v28, v[22:23], off
	s_add_u32 s30, s30, 1
	s_addc_u32 s31, s31, 0
	s_andn2_b64 s[28:29], s[28:29], exec
	v_lshl_add_u64 v[26:27], v[26:27], 0, 2
	v_lshl_add_u64 v[22:23], v[22:23], 0, 2
	s_waitcnt vmcnt(1)
	v_lshlrev_b32_e32 v1, 16, v1
	s_waitcnt vmcnt(0)
	v_lshlrev_b32_e32 v28, 16, v28
	v_cmp_neq_f32_e32 vcc, v28, v1
	s_and_b64 s[34:35], vcc, exec
	s_or_b64 s[28:29], s[28:29], s[34:35]
.LBB1176_80:                            ;   in Loop: Header=BB1176_81 Depth=1
	s_and_b64 s[34:35], exec, s[28:29]
	s_or_b64 s[26:27], s[34:35], s[26:27]
	v_mov_b64_e32 v[28:29], s[30:31]
	s_andn2_b64 exec, exec, s[26:27]
	s_cbranch_execz .LBB1176_83
.LBB1176_81:                            ; =>This Inner Loop Header: Depth=1
	s_or_b64 s[28:29], s[28:29], exec
	s_cmp_eq_u64 s[22:23], s[30:31]
	s_cbranch_scc0 .LBB1176_79
; %bb.82:                               ;   in Loop: Header=BB1176_81 Depth=1
                                        ; implicit-def: $vgpr26_vgpr27
                                        ; implicit-def: $vgpr22_vgpr23
	s_mov_b64 s[30:31], s[12:13]
	s_branch .LBB1176_80
.LBB1176_83:
	s_or_b64 exec, exec, s[26:27]
	v_cmp_gt_i64_e32 vcc, s[12:13], v[28:29]
	s_mov_b32 s21, 0
	v_mov_b32_e32 v51, s21
	v_cndmask_b32_e64 v50, 0, 1, vcc
.LBB1176_84:
	s_or_b64 exec, exec, s[18:19]
.LBB1176_85:
	v_mul_lo_u32 v1, v9, s12
	v_mul_lo_u32 v26, v8, s13
	v_mad_u64_u32 v[22:23], s[18:19], v8, s12, 0
	v_add3_u32 v23, v23, v26, v1
	s_and_b64 vcc, exec, s[2:3]
	v_lshl_add_u64 v[22:23], v[22:23], 1, s[14:15]
	s_cbranch_vccnz .LBB1176_94
; %bb.86:
	global_load_ushort v1, v[22:23], off
	global_load_ushort v26, v[24:25], off
	v_mov_b64_e32 v[52:53], 1
	s_waitcnt vmcnt(1)
	v_lshlrev_b32_e32 v1, 16, v1
	s_waitcnt vmcnt(0)
	v_lshlrev_b32_e32 v26, 16, v26
	v_cmp_eq_f32_e32 vcc, v26, v1
	s_and_saveexec_b64 s[18:19], vcc
	s_cbranch_execz .LBB1176_93
; %bb.87:
	s_add_u32 s22, s12, -1
	v_lshl_add_u64 v[26:27], v[22:23], 0, 2
	v_lshl_add_u64 v[24:25], v[24:25], 0, 2
	s_addc_u32 s23, s13, -1
	s_mov_b64 s[26:27], 0
	s_mov_b64 s[30:31], 0
                                        ; implicit-def: $sgpr28_sgpr29
	s_branch .LBB1176_90
.LBB1176_88:                            ;   in Loop: Header=BB1176_90 Depth=1
	global_load_ushort v1, v[26:27], off
	global_load_ushort v28, v[24:25], off
	s_add_u32 s30, s30, 1
	s_addc_u32 s31, s31, 0
	s_andn2_b64 s[28:29], s[28:29], exec
	v_lshl_add_u64 v[26:27], v[26:27], 0, 2
	v_lshl_add_u64 v[24:25], v[24:25], 0, 2
	s_waitcnt vmcnt(1)
	v_lshlrev_b32_e32 v1, 16, v1
	s_waitcnt vmcnt(0)
	v_lshlrev_b32_e32 v28, 16, v28
	v_cmp_neq_f32_e32 vcc, v28, v1
	s_and_b64 s[34:35], vcc, exec
	s_or_b64 s[28:29], s[28:29], s[34:35]
.LBB1176_89:                            ;   in Loop: Header=BB1176_90 Depth=1
	s_and_b64 s[34:35], exec, s[28:29]
	s_or_b64 s[26:27], s[34:35], s[26:27]
	v_mov_b64_e32 v[28:29], s[30:31]
	s_andn2_b64 exec, exec, s[26:27]
	s_cbranch_execz .LBB1176_92
.LBB1176_90:                            ; =>This Inner Loop Header: Depth=1
	s_or_b64 s[28:29], s[28:29], exec
	s_cmp_eq_u64 s[22:23], s[30:31]
	s_cbranch_scc0 .LBB1176_88
; %bb.91:                               ;   in Loop: Header=BB1176_90 Depth=1
                                        ; implicit-def: $vgpr26_vgpr27
                                        ; implicit-def: $vgpr24_vgpr25
	s_mov_b64 s[30:31], s[12:13]
	s_branch .LBB1176_89
.LBB1176_92:
	s_or_b64 exec, exec, s[26:27]
	v_cmp_gt_i64_e32 vcc, s[12:13], v[28:29]
	s_mov_b32 s21, 0
	v_mov_b32_e32 v53, s21
	v_cndmask_b32_e64 v52, 0, 1, vcc
.LBB1176_93:
	s_or_b64 exec, exec, s[18:19]
.LBB1176_94:
	v_mul_lo_u32 v1, v7, s12
	v_mul_lo_u32 v26, v6, s13
	v_mad_u64_u32 v[24:25], s[18:19], v6, s12, 0
	v_add3_u32 v25, v25, v26, v1
	v_mov_b64_e32 v[56:57], 0
	s_and_b64 vcc, exec, s[2:3]
	v_lshl_add_u64 v[24:25], v[24:25], 1, s[14:15]
	v_mov_b64_e32 v[54:55], v[56:57]
	s_cbranch_vccnz .LBB1176_103
; %bb.95:
	global_load_ushort v1, v[24:25], off
	global_load_ushort v26, v[22:23], off
	v_mov_b64_e32 v[54:55], 1
	s_waitcnt vmcnt(1)
	v_lshlrev_b32_e32 v1, 16, v1
	s_waitcnt vmcnt(0)
	v_lshlrev_b32_e32 v26, 16, v26
	v_cmp_eq_f32_e32 vcc, v26, v1
	s_and_saveexec_b64 s[18:19], vcc
	s_cbranch_execz .LBB1176_102
; %bb.96:
	s_add_u32 s22, s12, -1
	v_lshl_add_u64 v[26:27], v[24:25], 0, 2
	v_lshl_add_u64 v[22:23], v[22:23], 0, 2
	s_addc_u32 s23, s13, -1
	s_mov_b64 s[26:27], 0
	s_mov_b64 s[30:31], 0
                                        ; implicit-def: $sgpr28_sgpr29
	s_branch .LBB1176_99
.LBB1176_97:                            ;   in Loop: Header=BB1176_99 Depth=1
	global_load_ushort v1, v[26:27], off
	global_load_ushort v28, v[22:23], off
	s_add_u32 s30, s30, 1
	s_addc_u32 s31, s31, 0
	s_andn2_b64 s[28:29], s[28:29], exec
	v_lshl_add_u64 v[26:27], v[26:27], 0, 2
	v_lshl_add_u64 v[22:23], v[22:23], 0, 2
	s_waitcnt vmcnt(1)
	v_lshlrev_b32_e32 v1, 16, v1
	s_waitcnt vmcnt(0)
	v_lshlrev_b32_e32 v28, 16, v28
	v_cmp_neq_f32_e32 vcc, v28, v1
	s_and_b64 s[34:35], vcc, exec
	s_or_b64 s[28:29], s[28:29], s[34:35]
.LBB1176_98:                            ;   in Loop: Header=BB1176_99 Depth=1
	s_and_b64 s[34:35], exec, s[28:29]
	s_or_b64 s[26:27], s[34:35], s[26:27]
	v_mov_b64_e32 v[28:29], s[30:31]
	s_andn2_b64 exec, exec, s[26:27]
	s_cbranch_execz .LBB1176_101
.LBB1176_99:                            ; =>This Inner Loop Header: Depth=1
	s_or_b64 s[28:29], s[28:29], exec
	s_cmp_eq_u64 s[22:23], s[30:31]
	s_cbranch_scc0 .LBB1176_97
; %bb.100:                              ;   in Loop: Header=BB1176_99 Depth=1
                                        ; implicit-def: $vgpr26_vgpr27
                                        ; implicit-def: $vgpr22_vgpr23
	s_mov_b64 s[30:31], s[12:13]
	s_branch .LBB1176_98
.LBB1176_101:
	s_or_b64 exec, exec, s[26:27]
	v_cmp_gt_i64_e32 vcc, s[12:13], v[28:29]
	s_mov_b32 s21, 0
	v_mov_b32_e32 v55, s21
	v_cndmask_b32_e64 v54, 0, 1, vcc
.LBB1176_102:
	s_or_b64 exec, exec, s[18:19]
.LBB1176_103:
	v_mul_lo_u32 v1, v5, s12
	v_mul_lo_u32 v26, v4, s13
	v_mad_u64_u32 v[22:23], s[18:19], v4, s12, 0
	v_add3_u32 v23, v23, v26, v1
	s_and_b64 vcc, exec, s[2:3]
	v_lshl_add_u64 v[22:23], v[22:23], 1, s[14:15]
	s_cbranch_vccnz .LBB1176_112
; %bb.104:
	global_load_ushort v1, v[22:23], off
	global_load_ushort v26, v[24:25], off
	v_mov_b64_e32 v[56:57], 1
	s_waitcnt vmcnt(1)
	v_lshlrev_b32_e32 v1, 16, v1
	s_waitcnt vmcnt(0)
	v_lshlrev_b32_e32 v26, 16, v26
	v_cmp_eq_f32_e32 vcc, v26, v1
	s_and_saveexec_b64 s[18:19], vcc
	s_cbranch_execz .LBB1176_111
; %bb.105:
	s_add_u32 s22, s12, -1
	v_lshl_add_u64 v[26:27], v[22:23], 0, 2
	v_lshl_add_u64 v[24:25], v[24:25], 0, 2
	s_addc_u32 s23, s13, -1
	s_mov_b64 s[26:27], 0
	s_mov_b64 s[30:31], 0
                                        ; implicit-def: $sgpr28_sgpr29
	s_branch .LBB1176_108
.LBB1176_106:                           ;   in Loop: Header=BB1176_108 Depth=1
	global_load_ushort v1, v[26:27], off
	global_load_ushort v28, v[24:25], off
	s_add_u32 s30, s30, 1
	s_addc_u32 s31, s31, 0
	s_andn2_b64 s[28:29], s[28:29], exec
	v_lshl_add_u64 v[26:27], v[26:27], 0, 2
	v_lshl_add_u64 v[24:25], v[24:25], 0, 2
	s_waitcnt vmcnt(1)
	v_lshlrev_b32_e32 v1, 16, v1
	s_waitcnt vmcnt(0)
	v_lshlrev_b32_e32 v28, 16, v28
	v_cmp_neq_f32_e32 vcc, v28, v1
	s_and_b64 s[34:35], vcc, exec
	s_or_b64 s[28:29], s[28:29], s[34:35]
.LBB1176_107:                           ;   in Loop: Header=BB1176_108 Depth=1
	s_and_b64 s[34:35], exec, s[28:29]
	s_or_b64 s[26:27], s[34:35], s[26:27]
	v_mov_b64_e32 v[28:29], s[30:31]
	s_andn2_b64 exec, exec, s[26:27]
	s_cbranch_execz .LBB1176_110
.LBB1176_108:                           ; =>This Inner Loop Header: Depth=1
	s_or_b64 s[28:29], s[28:29], exec
	s_cmp_eq_u64 s[22:23], s[30:31]
	s_cbranch_scc0 .LBB1176_106
; %bb.109:                              ;   in Loop: Header=BB1176_108 Depth=1
                                        ; implicit-def: $vgpr26_vgpr27
                                        ; implicit-def: $vgpr24_vgpr25
	s_mov_b64 s[30:31], s[12:13]
	s_branch .LBB1176_107
.LBB1176_110:
	s_or_b64 exec, exec, s[26:27]
	v_cmp_gt_i64_e32 vcc, s[12:13], v[28:29]
	s_mov_b32 s21, 0
	v_mov_b32_e32 v57, s21
	v_cndmask_b32_e64 v56, 0, 1, vcc
.LBB1176_111:
	s_or_b64 exec, exec, s[18:19]
.LBB1176_112:
	s_and_b64 vcc, exec, s[2:3]
	s_cbranch_vccnz .LBB1176_119
; %bb.113:
	v_mul_lo_u32 v1, v3, s12
	v_mul_lo_u32 v26, v2, s13
	v_mad_u64_u32 v[24:25], s[18:19], v2, s12, 0
	v_add3_u32 v25, v25, v26, v1
	v_lshl_add_u64 v[24:25], v[24:25], 1, s[14:15]
	global_load_ushort v1, v[24:25], off
	global_load_ushort v26, v[22:23], off
	v_mov_b64_e32 v[58:59], 1
	s_waitcnt vmcnt(1)
	v_lshlrev_b32_e32 v1, 16, v1
	s_waitcnt vmcnt(0)
	v_lshlrev_b32_e32 v26, 16, v26
	v_cmp_eq_f32_e32 vcc, v26, v1
	s_and_saveexec_b64 s[18:19], vcc
	s_cbranch_execz .LBB1176_121
; %bb.114:
	s_add_u32 s22, s12, -1
	v_lshl_add_u64 v[24:25], v[24:25], 0, 2
	v_lshl_add_u64 v[22:23], v[22:23], 0, 2
	s_addc_u32 s23, s13, -1
	s_mov_b64 s[26:27], 0
	s_mov_b64 s[30:31], 0
                                        ; implicit-def: $sgpr28_sgpr29
	s_branch .LBB1176_117
.LBB1176_115:                           ;   in Loop: Header=BB1176_117 Depth=1
	global_load_ushort v1, v[24:25], off
	global_load_ushort v26, v[22:23], off
	s_add_u32 s30, s30, 1
	s_addc_u32 s31, s31, 0
	s_andn2_b64 s[28:29], s[28:29], exec
	v_lshl_add_u64 v[24:25], v[24:25], 0, 2
	v_lshl_add_u64 v[22:23], v[22:23], 0, 2
	s_waitcnt vmcnt(1)
	v_lshlrev_b32_e32 v1, 16, v1
	s_waitcnt vmcnt(0)
	v_lshlrev_b32_e32 v26, 16, v26
	v_cmp_neq_f32_e32 vcc, v26, v1
	s_and_b64 s[34:35], vcc, exec
	s_or_b64 s[28:29], s[28:29], s[34:35]
.LBB1176_116:                           ;   in Loop: Header=BB1176_117 Depth=1
	s_and_b64 s[34:35], exec, s[28:29]
	s_or_b64 s[26:27], s[34:35], s[26:27]
	v_mov_b64_e32 v[26:27], s[30:31]
	s_andn2_b64 exec, exec, s[26:27]
	s_cbranch_execz .LBB1176_120
.LBB1176_117:                           ; =>This Inner Loop Header: Depth=1
	s_or_b64 s[28:29], s[28:29], exec
	s_cmp_eq_u64 s[22:23], s[30:31]
	s_cbranch_scc0 .LBB1176_115
; %bb.118:                              ;   in Loop: Header=BB1176_117 Depth=1
                                        ; implicit-def: $vgpr24_vgpr25
                                        ; implicit-def: $vgpr22_vgpr23
	s_mov_b64 s[30:31], s[12:13]
	s_branch .LBB1176_116
.LBB1176_119:
	v_mov_b64_e32 v[58:59], 0
	s_branch .LBB1176_122
.LBB1176_120:
	s_or_b64 exec, exec, s[26:27]
	v_cmp_gt_i64_e32 vcc, s[12:13], v[26:27]
	s_mov_b32 s21, 0
	v_mov_b32_e32 v59, s21
	v_cndmask_b32_e64 v58, 0, 1, vcc
.LBB1176_121:
	s_or_b64 exec, exec, s[18:19]
.LBB1176_122:
	v_cmp_ne_u32_e32 vcc, 0, v0
	s_waitcnt lgkmcnt(0)
	v_mov_b64_e32 v[22:23], s[16:17]
	s_barrier
	s_and_saveexec_b64 s[18:19], vcc
	s_cbranch_execz .LBB1176_124
; %bb.123:
	v_add_u32_e32 v1, -8, v40
	ds_read_b64 v[22:23], v1
.LBB1176_124:
	s_or_b64 exec, exec, s[18:19]
	s_mov_b64 s[26:27], 0
	s_and_b64 vcc, exec, s[2:3]
	s_mov_b64 s[18:19], 0
	s_cbranch_vccnz .LBB1176_133
; %bb.125:
	v_mul_lo_u32 v1, v3, s12
	v_mul_lo_u32 v26, v2, s13
	v_mad_u64_u32 v[24:25], s[2:3], v2, s12, 0
	v_add3_u32 v25, v25, v26, v1
	s_waitcnt lgkmcnt(0)
	v_mul_lo_u32 v1, v23, s12
	v_mul_lo_u32 v26, v22, s13
	v_mad_u64_u32 v[22:23], s[2:3], v22, s12, 0
	v_add3_u32 v23, v23, v26, v1
	v_lshl_add_u64 v[22:23], v[22:23], 1, s[14:15]
	v_lshl_add_u64 v[24:25], v[24:25], 1, s[14:15]
	global_load_ushort v1, v[22:23], off
	global_load_ushort v26, v[24:25], off
	s_mov_b64 s[18:19], -1
	s_waitcnt vmcnt(1)
	v_lshlrev_b32_e32 v1, 16, v1
	s_waitcnt vmcnt(0)
	v_lshlrev_b32_e32 v26, 16, v26
	v_cmp_eq_f32_e32 vcc, v26, v1
	s_and_saveexec_b64 s[2:3], vcc
	s_cbranch_execz .LBB1176_132
; %bb.126:
	s_add_u32 s18, s12, -1
	v_lshl_add_u64 v[22:23], v[22:23], 0, 2
	v_lshl_add_u64 v[24:25], v[24:25], 0, 2
	s_addc_u32 s19, s13, -1
	s_mov_b64 s[22:23], 0
	s_mov_b64 s[30:31], 0
                                        ; implicit-def: $sgpr28_sgpr29
	s_branch .LBB1176_129
.LBB1176_127:                           ;   in Loop: Header=BB1176_129 Depth=1
	global_load_ushort v1, v[22:23], off
	global_load_ushort v26, v[24:25], off
	s_add_u32 s30, s30, 1
	s_addc_u32 s31, s31, 0
	s_andn2_b64 s[28:29], s[28:29], exec
	v_lshl_add_u64 v[22:23], v[22:23], 0, 2
	v_lshl_add_u64 v[24:25], v[24:25], 0, 2
	s_waitcnt vmcnt(1)
	v_lshlrev_b32_e32 v1, 16, v1
	s_waitcnt vmcnt(0)
	v_lshlrev_b32_e32 v26, 16, v26
	v_cmp_neq_f32_e32 vcc, v26, v1
	s_and_b64 s[34:35], vcc, exec
	s_or_b64 s[28:29], s[28:29], s[34:35]
.LBB1176_128:                           ;   in Loop: Header=BB1176_129 Depth=1
	s_and_b64 s[34:35], exec, s[28:29]
	s_or_b64 s[22:23], s[34:35], s[22:23]
	v_mov_b64_e32 v[26:27], s[30:31]
	s_andn2_b64 exec, exec, s[22:23]
	s_cbranch_execz .LBB1176_131
.LBB1176_129:                           ; =>This Inner Loop Header: Depth=1
	s_or_b64 s[28:29], s[28:29], exec
	s_cmp_eq_u64 s[18:19], s[30:31]
	s_cbranch_scc0 .LBB1176_127
; %bb.130:                              ;   in Loop: Header=BB1176_129 Depth=1
                                        ; implicit-def: $vgpr22_vgpr23
                                        ; implicit-def: $vgpr24_vgpr25
	s_mov_b64 s[30:31], s[12:13]
	s_branch .LBB1176_128
.LBB1176_131:
	s_or_b64 exec, exec, s[22:23]
	v_cmp_gt_i64_e32 vcc, s[12:13], v[26:27]
	s_orn2_b64 s[18:19], vcc, exec
.LBB1176_132:
	s_or_b64 exec, exec, s[2:3]
.LBB1176_133:
	s_mov_b64 s[22:23], -1
	s_and_b64 vcc, exec, s[26:27]
	s_cbranch_vccz .LBB1176_37
.LBB1176_134:
	s_mul_i32 s21, s24, 0xfffff500
	s_add_i32 s21, s21, s10
	s_waitcnt lgkmcnt(0)
	v_mad_u32_u24 v22, v0, 11, 10
	v_cmp_gt_i64_e64 s[2:3], s[12:13], 0
	v_cmp_gt_u32_e32 vcc, s21, v22
	v_mul_u32_u24_e32 v1, 11, v0
	v_cndmask_b32_e64 v22, 0, 1, s[2:3]
	v_cmp_ne_u32_e64 s[2:3], 1, v22
	v_mov_b64_e32 v[42:43], v[36:37]
	ds_write_b64 v40, v[36:37]
	s_and_saveexec_b64 s[18:19], vcc
	s_cbranch_execz .LBB1176_145
; %bb.135:
	s_and_b64 vcc, exec, s[2:3]
	s_cbranch_vccnz .LBB1176_142
; %bb.136:
	v_mul_lo_u32 v24, v37, s12
	v_mul_lo_u32 v25, v36, s13
	v_mad_u64_u32 v[22:23], s[24:25], v36, s12, 0
	v_add3_u32 v23, v23, v25, v24
	v_mul_lo_u32 v24, v21, s12
	v_mul_lo_u32 v25, v20, s13
	v_mad_u64_u32 v[26:27], s[24:25], v20, s12, 0
	v_add3_u32 v27, v27, v25, v24
	v_lshl_add_u64 v[24:25], v[22:23], 1, s[14:15]
	v_lshl_add_u64 v[22:23], v[26:27], 1, s[14:15]
	global_load_ushort v26, v[22:23], off
	global_load_ushort v27, v[24:25], off
	v_mov_b64_e32 v[42:43], 1
	s_waitcnt vmcnt(1)
	v_lshlrev_b32_e32 v26, 16, v26
	s_waitcnt vmcnt(0)
	v_lshlrev_b32_e32 v27, 16, v27
	v_cmp_eq_f32_e32 vcc, v27, v26
	s_and_saveexec_b64 s[24:25], vcc
	s_cbranch_execz .LBB1176_144
; %bb.137:
	s_add_u32 s26, s12, -1
	v_lshl_add_u64 v[22:23], v[22:23], 0, 2
	v_lshl_add_u64 v[24:25], v[24:25], 0, 2
	s_addc_u32 s27, s13, -1
	s_mov_b64 s[28:29], 0
	s_mov_b64 s[34:35], 0
                                        ; implicit-def: $sgpr30_sgpr31
	s_branch .LBB1176_140
.LBB1176_138:                           ;   in Loop: Header=BB1176_140 Depth=1
	global_load_ushort v26, v[22:23], off
	global_load_ushort v27, v[24:25], off
	s_add_u32 s34, s34, 1
	s_addc_u32 s35, s35, 0
	s_andn2_b64 s[30:31], s[30:31], exec
	v_lshl_add_u64 v[22:23], v[22:23], 0, 2
	v_lshl_add_u64 v[24:25], v[24:25], 0, 2
	s_waitcnt vmcnt(1)
	v_lshlrev_b32_e32 v26, 16, v26
	s_waitcnt vmcnt(0)
	v_lshlrev_b32_e32 v27, 16, v27
	v_cmp_neq_f32_e32 vcc, v27, v26
	s_and_b64 s[36:37], vcc, exec
	s_or_b64 s[30:31], s[30:31], s[36:37]
.LBB1176_139:                           ;   in Loop: Header=BB1176_140 Depth=1
	s_and_b64 s[36:37], exec, s[30:31]
	s_or_b64 s[28:29], s[36:37], s[28:29]
	v_mov_b64_e32 v[26:27], s[34:35]
	s_andn2_b64 exec, exec, s[28:29]
	s_cbranch_execz .LBB1176_143
.LBB1176_140:                           ; =>This Inner Loop Header: Depth=1
	s_or_b64 s[30:31], s[30:31], exec
	s_cmp_eq_u64 s[26:27], s[34:35]
	s_cbranch_scc0 .LBB1176_138
; %bb.141:                              ;   in Loop: Header=BB1176_140 Depth=1
                                        ; implicit-def: $vgpr22_vgpr23
                                        ; implicit-def: $vgpr24_vgpr25
	s_mov_b64 s[34:35], s[12:13]
	s_branch .LBB1176_139
.LBB1176_142:
	v_mov_b64_e32 v[42:43], 0
	s_branch .LBB1176_145
.LBB1176_143:
	s_or_b64 exec, exec, s[28:29]
	v_cmp_gt_i64_e32 vcc, s[12:13], v[26:27]
	s_mov_b32 s26, 0
	v_mov_b32_e32 v43, s26
	v_cndmask_b32_e64 v42, 0, 1, vcc
.LBB1176_144:
	s_or_b64 exec, exec, s[24:25]
.LBB1176_145:
	s_or_b64 exec, exec, s[18:19]
	v_add_u32_e32 v22, 9, v1
	v_cmp_gt_u32_e32 vcc, s21, v22
	v_mov_b64_e32 v[44:45], v[20:21]
	s_and_saveexec_b64 s[18:19], vcc
	s_cbranch_execz .LBB1176_156
; %bb.146:
	s_and_b64 vcc, exec, s[2:3]
	s_cbranch_vccnz .LBB1176_153
; %bb.147:
	v_mul_lo_u32 v24, v21, s12
	v_mul_lo_u32 v25, v20, s13
	v_mad_u64_u32 v[22:23], s[24:25], v20, s12, 0
	v_add3_u32 v23, v23, v25, v24
	v_mul_lo_u32 v24, v19, s12
	v_mul_lo_u32 v25, v18, s13
	v_mad_u64_u32 v[26:27], s[24:25], v18, s12, 0
	v_add3_u32 v27, v27, v25, v24
	v_lshl_add_u64 v[24:25], v[22:23], 1, s[14:15]
	v_lshl_add_u64 v[22:23], v[26:27], 1, s[14:15]
	global_load_ushort v26, v[22:23], off
	global_load_ushort v27, v[24:25], off
	v_mov_b64_e32 v[44:45], 1
	s_waitcnt vmcnt(1)
	v_lshlrev_b32_e32 v26, 16, v26
	s_waitcnt vmcnt(0)
	v_lshlrev_b32_e32 v27, 16, v27
	v_cmp_eq_f32_e32 vcc, v27, v26
	s_and_saveexec_b64 s[24:25], vcc
	s_cbranch_execz .LBB1176_155
; %bb.148:
	s_add_u32 s26, s12, -1
	v_lshl_add_u64 v[22:23], v[22:23], 0, 2
	v_lshl_add_u64 v[24:25], v[24:25], 0, 2
	s_addc_u32 s27, s13, -1
	s_mov_b64 s[28:29], 0
	s_mov_b64 s[34:35], 0
                                        ; implicit-def: $sgpr30_sgpr31
	s_branch .LBB1176_151
.LBB1176_149:                           ;   in Loop: Header=BB1176_151 Depth=1
	global_load_ushort v26, v[22:23], off
	global_load_ushort v27, v[24:25], off
	s_add_u32 s34, s34, 1
	s_addc_u32 s35, s35, 0
	s_andn2_b64 s[30:31], s[30:31], exec
	v_lshl_add_u64 v[22:23], v[22:23], 0, 2
	v_lshl_add_u64 v[24:25], v[24:25], 0, 2
	s_waitcnt vmcnt(1)
	v_lshlrev_b32_e32 v26, 16, v26
	s_waitcnt vmcnt(0)
	v_lshlrev_b32_e32 v27, 16, v27
	v_cmp_neq_f32_e32 vcc, v27, v26
	s_and_b64 s[36:37], vcc, exec
	s_or_b64 s[30:31], s[30:31], s[36:37]
.LBB1176_150:                           ;   in Loop: Header=BB1176_151 Depth=1
	s_and_b64 s[36:37], exec, s[30:31]
	s_or_b64 s[28:29], s[36:37], s[28:29]
	v_mov_b64_e32 v[26:27], s[34:35]
	s_andn2_b64 exec, exec, s[28:29]
	s_cbranch_execz .LBB1176_154
.LBB1176_151:                           ; =>This Inner Loop Header: Depth=1
	s_or_b64 s[30:31], s[30:31], exec
	s_cmp_eq_u64 s[26:27], s[34:35]
	s_cbranch_scc0 .LBB1176_149
; %bb.152:                              ;   in Loop: Header=BB1176_151 Depth=1
                                        ; implicit-def: $vgpr22_vgpr23
                                        ; implicit-def: $vgpr24_vgpr25
	s_mov_b64 s[34:35], s[12:13]
	s_branch .LBB1176_150
.LBB1176_153:
	v_mov_b64_e32 v[44:45], 0
	s_branch .LBB1176_156
.LBB1176_154:
	s_or_b64 exec, exec, s[28:29]
	v_cmp_gt_i64_e32 vcc, s[12:13], v[26:27]
	s_mov_b32 s26, 0
	v_mov_b32_e32 v45, s26
	v_cndmask_b32_e64 v44, 0, 1, vcc
.LBB1176_155:
	s_or_b64 exec, exec, s[24:25]
.LBB1176_156:
	s_or_b64 exec, exec, s[18:19]
	v_add_u32_e32 v22, 8, v1
	v_cmp_gt_u32_e32 vcc, s21, v22
	v_mov_b64_e32 v[38:39], v[18:19]
	s_and_saveexec_b64 s[18:19], vcc
	s_cbranch_execz .LBB1176_167
; %bb.157:
	s_and_b64 vcc, exec, s[2:3]
	s_cbranch_vccnz .LBB1176_164
; %bb.158:
	v_mul_lo_u32 v24, v19, s12
	v_mul_lo_u32 v25, v18, s13
	v_mad_u64_u32 v[22:23], s[24:25], v18, s12, 0
	v_add3_u32 v23, v23, v25, v24
	v_mul_lo_u32 v24, v17, s12
	v_mul_lo_u32 v25, v16, s13
	v_mad_u64_u32 v[26:27], s[24:25], v16, s12, 0
	v_add3_u32 v27, v27, v25, v24
	v_lshl_add_u64 v[24:25], v[22:23], 1, s[14:15]
	v_lshl_add_u64 v[22:23], v[26:27], 1, s[14:15]
	global_load_ushort v26, v[22:23], off
	global_load_ushort v27, v[24:25], off
	v_mov_b64_e32 v[38:39], 1
	s_waitcnt vmcnt(1)
	v_lshlrev_b32_e32 v26, 16, v26
	s_waitcnt vmcnt(0)
	v_lshlrev_b32_e32 v27, 16, v27
	v_cmp_eq_f32_e32 vcc, v27, v26
	s_and_saveexec_b64 s[24:25], vcc
	s_cbranch_execz .LBB1176_166
; %bb.159:
	s_add_u32 s26, s12, -1
	v_lshl_add_u64 v[22:23], v[22:23], 0, 2
	v_lshl_add_u64 v[24:25], v[24:25], 0, 2
	s_addc_u32 s27, s13, -1
	s_mov_b64 s[28:29], 0
	s_mov_b64 s[34:35], 0
                                        ; implicit-def: $sgpr30_sgpr31
	s_branch .LBB1176_162
.LBB1176_160:                           ;   in Loop: Header=BB1176_162 Depth=1
	global_load_ushort v26, v[22:23], off
	global_load_ushort v27, v[24:25], off
	s_add_u32 s34, s34, 1
	s_addc_u32 s35, s35, 0
	s_andn2_b64 s[30:31], s[30:31], exec
	v_lshl_add_u64 v[22:23], v[22:23], 0, 2
	v_lshl_add_u64 v[24:25], v[24:25], 0, 2
	s_waitcnt vmcnt(1)
	v_lshlrev_b32_e32 v26, 16, v26
	s_waitcnt vmcnt(0)
	v_lshlrev_b32_e32 v27, 16, v27
	v_cmp_neq_f32_e32 vcc, v27, v26
	s_and_b64 s[36:37], vcc, exec
	s_or_b64 s[30:31], s[30:31], s[36:37]
.LBB1176_161:                           ;   in Loop: Header=BB1176_162 Depth=1
	s_and_b64 s[36:37], exec, s[30:31]
	s_or_b64 s[28:29], s[36:37], s[28:29]
	v_mov_b64_e32 v[26:27], s[34:35]
	s_andn2_b64 exec, exec, s[28:29]
	s_cbranch_execz .LBB1176_165
.LBB1176_162:                           ; =>This Inner Loop Header: Depth=1
	s_or_b64 s[30:31], s[30:31], exec
	s_cmp_eq_u64 s[26:27], s[34:35]
	s_cbranch_scc0 .LBB1176_160
; %bb.163:                              ;   in Loop: Header=BB1176_162 Depth=1
                                        ; implicit-def: $vgpr22_vgpr23
                                        ; implicit-def: $vgpr24_vgpr25
	s_mov_b64 s[34:35], s[12:13]
	s_branch .LBB1176_161
.LBB1176_164:
	v_mov_b64_e32 v[38:39], 0
	s_branch .LBB1176_167
.LBB1176_165:
	s_or_b64 exec, exec, s[28:29]
	v_cmp_gt_i64_e32 vcc, s[12:13], v[26:27]
	s_mov_b32 s26, 0
	v_mov_b32_e32 v39, s26
	v_cndmask_b32_e64 v38, 0, 1, vcc
.LBB1176_166:
	s_or_b64 exec, exec, s[24:25]
.LBB1176_167:
	s_or_b64 exec, exec, s[18:19]
	v_add_u32_e32 v22, 7, v1
	v_cmp_gt_u32_e32 vcc, s21, v22
	v_mov_b64_e32 v[46:47], v[16:17]
	s_and_saveexec_b64 s[18:19], vcc
	s_cbranch_execz .LBB1176_178
; %bb.168:
	s_and_b64 vcc, exec, s[2:3]
	s_cbranch_vccnz .LBB1176_175
; %bb.169:
	v_mul_lo_u32 v24, v17, s12
	v_mul_lo_u32 v25, v16, s13
	v_mad_u64_u32 v[22:23], s[24:25], v16, s12, 0
	v_add3_u32 v23, v23, v25, v24
	v_mul_lo_u32 v24, v15, s12
	v_mul_lo_u32 v25, v14, s13
	v_mad_u64_u32 v[26:27], s[24:25], v14, s12, 0
	v_add3_u32 v27, v27, v25, v24
	v_lshl_add_u64 v[24:25], v[22:23], 1, s[14:15]
	v_lshl_add_u64 v[22:23], v[26:27], 1, s[14:15]
	global_load_ushort v26, v[22:23], off
	global_load_ushort v27, v[24:25], off
	v_mov_b64_e32 v[46:47], 1
	s_waitcnt vmcnt(1)
	v_lshlrev_b32_e32 v26, 16, v26
	s_waitcnt vmcnt(0)
	v_lshlrev_b32_e32 v27, 16, v27
	v_cmp_eq_f32_e32 vcc, v27, v26
	s_and_saveexec_b64 s[24:25], vcc
	s_cbranch_execz .LBB1176_177
; %bb.170:
	s_add_u32 s26, s12, -1
	v_lshl_add_u64 v[22:23], v[22:23], 0, 2
	v_lshl_add_u64 v[24:25], v[24:25], 0, 2
	s_addc_u32 s27, s13, -1
	s_mov_b64 s[28:29], 0
	s_mov_b64 s[34:35], 0
                                        ; implicit-def: $sgpr30_sgpr31
	s_branch .LBB1176_173
.LBB1176_171:                           ;   in Loop: Header=BB1176_173 Depth=1
	global_load_ushort v26, v[22:23], off
	global_load_ushort v27, v[24:25], off
	s_add_u32 s34, s34, 1
	s_addc_u32 s35, s35, 0
	s_andn2_b64 s[30:31], s[30:31], exec
	v_lshl_add_u64 v[22:23], v[22:23], 0, 2
	v_lshl_add_u64 v[24:25], v[24:25], 0, 2
	s_waitcnt vmcnt(1)
	v_lshlrev_b32_e32 v26, 16, v26
	s_waitcnt vmcnt(0)
	v_lshlrev_b32_e32 v27, 16, v27
	v_cmp_neq_f32_e32 vcc, v27, v26
	s_and_b64 s[36:37], vcc, exec
	s_or_b64 s[30:31], s[30:31], s[36:37]
.LBB1176_172:                           ;   in Loop: Header=BB1176_173 Depth=1
	s_and_b64 s[36:37], exec, s[30:31]
	s_or_b64 s[28:29], s[36:37], s[28:29]
	v_mov_b64_e32 v[26:27], s[34:35]
	s_andn2_b64 exec, exec, s[28:29]
	s_cbranch_execz .LBB1176_176
.LBB1176_173:                           ; =>This Inner Loop Header: Depth=1
	s_or_b64 s[30:31], s[30:31], exec
	s_cmp_eq_u64 s[26:27], s[34:35]
	s_cbranch_scc0 .LBB1176_171
; %bb.174:                              ;   in Loop: Header=BB1176_173 Depth=1
                                        ; implicit-def: $vgpr22_vgpr23
                                        ; implicit-def: $vgpr24_vgpr25
	s_mov_b64 s[34:35], s[12:13]
	s_branch .LBB1176_172
.LBB1176_175:
	v_mov_b64_e32 v[46:47], 0
	s_branch .LBB1176_178
.LBB1176_176:
	s_or_b64 exec, exec, s[28:29]
	v_cmp_gt_i64_e32 vcc, s[12:13], v[26:27]
	s_mov_b32 s26, 0
	v_mov_b32_e32 v47, s26
	v_cndmask_b32_e64 v46, 0, 1, vcc
.LBB1176_177:
	s_or_b64 exec, exec, s[24:25]
.LBB1176_178:
	s_or_b64 exec, exec, s[18:19]
	v_add_u32_e32 v22, 6, v1
	v_cmp_gt_u32_e32 vcc, s21, v22
	v_mov_b64_e32 v[48:49], v[14:15]
	s_and_saveexec_b64 s[18:19], vcc
	s_cbranch_execz .LBB1176_189
; %bb.179:
	s_and_b64 vcc, exec, s[2:3]
	s_cbranch_vccnz .LBB1176_186
; %bb.180:
	v_mul_lo_u32 v24, v15, s12
	v_mul_lo_u32 v25, v14, s13
	v_mad_u64_u32 v[22:23], s[24:25], v14, s12, 0
	v_add3_u32 v23, v23, v25, v24
	v_mul_lo_u32 v24, v13, s12
	v_mul_lo_u32 v25, v12, s13
	v_mad_u64_u32 v[26:27], s[24:25], v12, s12, 0
	v_add3_u32 v27, v27, v25, v24
	v_lshl_add_u64 v[24:25], v[22:23], 1, s[14:15]
	v_lshl_add_u64 v[22:23], v[26:27], 1, s[14:15]
	global_load_ushort v26, v[22:23], off
	global_load_ushort v27, v[24:25], off
	v_mov_b64_e32 v[48:49], 1
	s_waitcnt vmcnt(1)
	v_lshlrev_b32_e32 v26, 16, v26
	s_waitcnt vmcnt(0)
	v_lshlrev_b32_e32 v27, 16, v27
	v_cmp_eq_f32_e32 vcc, v27, v26
	s_and_saveexec_b64 s[24:25], vcc
	s_cbranch_execz .LBB1176_188
; %bb.181:
	s_add_u32 s26, s12, -1
	v_lshl_add_u64 v[22:23], v[22:23], 0, 2
	v_lshl_add_u64 v[24:25], v[24:25], 0, 2
	s_addc_u32 s27, s13, -1
	s_mov_b64 s[28:29], 0
	s_mov_b64 s[34:35], 0
                                        ; implicit-def: $sgpr30_sgpr31
	s_branch .LBB1176_184
.LBB1176_182:                           ;   in Loop: Header=BB1176_184 Depth=1
	global_load_ushort v26, v[22:23], off
	global_load_ushort v27, v[24:25], off
	s_add_u32 s34, s34, 1
	s_addc_u32 s35, s35, 0
	s_andn2_b64 s[30:31], s[30:31], exec
	v_lshl_add_u64 v[22:23], v[22:23], 0, 2
	v_lshl_add_u64 v[24:25], v[24:25], 0, 2
	s_waitcnt vmcnt(1)
	v_lshlrev_b32_e32 v26, 16, v26
	s_waitcnt vmcnt(0)
	v_lshlrev_b32_e32 v27, 16, v27
	v_cmp_neq_f32_e32 vcc, v27, v26
	s_and_b64 s[36:37], vcc, exec
	s_or_b64 s[30:31], s[30:31], s[36:37]
.LBB1176_183:                           ;   in Loop: Header=BB1176_184 Depth=1
	s_and_b64 s[36:37], exec, s[30:31]
	s_or_b64 s[28:29], s[36:37], s[28:29]
	v_mov_b64_e32 v[26:27], s[34:35]
	s_andn2_b64 exec, exec, s[28:29]
	s_cbranch_execz .LBB1176_187
.LBB1176_184:                           ; =>This Inner Loop Header: Depth=1
	s_or_b64 s[30:31], s[30:31], exec
	s_cmp_eq_u64 s[26:27], s[34:35]
	s_cbranch_scc0 .LBB1176_182
; %bb.185:                              ;   in Loop: Header=BB1176_184 Depth=1
                                        ; implicit-def: $vgpr22_vgpr23
                                        ; implicit-def: $vgpr24_vgpr25
	s_mov_b64 s[34:35], s[12:13]
	s_branch .LBB1176_183
.LBB1176_186:
	v_mov_b64_e32 v[48:49], 0
	s_branch .LBB1176_189
.LBB1176_187:
	s_or_b64 exec, exec, s[28:29]
	v_cmp_gt_i64_e32 vcc, s[12:13], v[26:27]
	s_mov_b32 s26, 0
	v_mov_b32_e32 v49, s26
	v_cndmask_b32_e64 v48, 0, 1, vcc
.LBB1176_188:
	s_or_b64 exec, exec, s[24:25]
.LBB1176_189:
	s_or_b64 exec, exec, s[18:19]
	v_add_u32_e32 v22, 5, v1
	v_cmp_gt_u32_e32 vcc, s21, v22
	v_mov_b64_e32 v[50:51], v[12:13]
	s_and_saveexec_b64 s[18:19], vcc
	s_cbranch_execz .LBB1176_200
; %bb.190:
	s_and_b64 vcc, exec, s[2:3]
	s_cbranch_vccnz .LBB1176_197
; %bb.191:
	v_mul_lo_u32 v24, v13, s12
	v_mul_lo_u32 v25, v12, s13
	v_mad_u64_u32 v[22:23], s[24:25], v12, s12, 0
	v_add3_u32 v23, v23, v25, v24
	v_mul_lo_u32 v24, v11, s12
	v_mul_lo_u32 v25, v10, s13
	v_mad_u64_u32 v[26:27], s[24:25], v10, s12, 0
	v_add3_u32 v27, v27, v25, v24
	v_lshl_add_u64 v[24:25], v[22:23], 1, s[14:15]
	v_lshl_add_u64 v[22:23], v[26:27], 1, s[14:15]
	global_load_ushort v26, v[22:23], off
	global_load_ushort v27, v[24:25], off
	v_mov_b64_e32 v[50:51], 1
	s_waitcnt vmcnt(1)
	v_lshlrev_b32_e32 v26, 16, v26
	s_waitcnt vmcnt(0)
	v_lshlrev_b32_e32 v27, 16, v27
	v_cmp_eq_f32_e32 vcc, v27, v26
	s_and_saveexec_b64 s[24:25], vcc
	s_cbranch_execz .LBB1176_199
; %bb.192:
	s_add_u32 s26, s12, -1
	v_lshl_add_u64 v[22:23], v[22:23], 0, 2
	v_lshl_add_u64 v[24:25], v[24:25], 0, 2
	s_addc_u32 s27, s13, -1
	s_mov_b64 s[28:29], 0
	s_mov_b64 s[34:35], 0
                                        ; implicit-def: $sgpr30_sgpr31
	s_branch .LBB1176_195
.LBB1176_193:                           ;   in Loop: Header=BB1176_195 Depth=1
	global_load_ushort v26, v[22:23], off
	global_load_ushort v27, v[24:25], off
	s_add_u32 s34, s34, 1
	s_addc_u32 s35, s35, 0
	s_andn2_b64 s[30:31], s[30:31], exec
	v_lshl_add_u64 v[22:23], v[22:23], 0, 2
	v_lshl_add_u64 v[24:25], v[24:25], 0, 2
	s_waitcnt vmcnt(1)
	v_lshlrev_b32_e32 v26, 16, v26
	s_waitcnt vmcnt(0)
	v_lshlrev_b32_e32 v27, 16, v27
	v_cmp_neq_f32_e32 vcc, v27, v26
	s_and_b64 s[36:37], vcc, exec
	s_or_b64 s[30:31], s[30:31], s[36:37]
.LBB1176_194:                           ;   in Loop: Header=BB1176_195 Depth=1
	s_and_b64 s[36:37], exec, s[30:31]
	s_or_b64 s[28:29], s[36:37], s[28:29]
	v_mov_b64_e32 v[26:27], s[34:35]
	s_andn2_b64 exec, exec, s[28:29]
	s_cbranch_execz .LBB1176_198
.LBB1176_195:                           ; =>This Inner Loop Header: Depth=1
	s_or_b64 s[30:31], s[30:31], exec
	s_cmp_eq_u64 s[26:27], s[34:35]
	s_cbranch_scc0 .LBB1176_193
; %bb.196:                              ;   in Loop: Header=BB1176_195 Depth=1
                                        ; implicit-def: $vgpr22_vgpr23
                                        ; implicit-def: $vgpr24_vgpr25
	s_mov_b64 s[34:35], s[12:13]
	s_branch .LBB1176_194
.LBB1176_197:
	v_mov_b64_e32 v[50:51], 0
	s_branch .LBB1176_200
.LBB1176_198:
	s_or_b64 exec, exec, s[28:29]
	v_cmp_gt_i64_e32 vcc, s[12:13], v[26:27]
	s_mov_b32 s26, 0
	v_mov_b32_e32 v51, s26
	v_cndmask_b32_e64 v50, 0, 1, vcc
.LBB1176_199:
	s_or_b64 exec, exec, s[24:25]
.LBB1176_200:
	s_or_b64 exec, exec, s[18:19]
	v_add_u32_e32 v22, 4, v1
	v_cmp_gt_u32_e32 vcc, s21, v22
	v_mov_b64_e32 v[52:53], v[10:11]
	s_and_saveexec_b64 s[18:19], vcc
	s_cbranch_execz .LBB1176_211
; %bb.201:
	s_and_b64 vcc, exec, s[2:3]
	s_cbranch_vccnz .LBB1176_208
; %bb.202:
	v_mul_lo_u32 v24, v11, s12
	v_mul_lo_u32 v25, v10, s13
	v_mad_u64_u32 v[22:23], s[24:25], v10, s12, 0
	v_add3_u32 v23, v23, v25, v24
	v_mul_lo_u32 v24, v9, s12
	v_mul_lo_u32 v25, v8, s13
	v_mad_u64_u32 v[26:27], s[24:25], v8, s12, 0
	v_add3_u32 v27, v27, v25, v24
	v_lshl_add_u64 v[24:25], v[22:23], 1, s[14:15]
	v_lshl_add_u64 v[22:23], v[26:27], 1, s[14:15]
	global_load_ushort v26, v[22:23], off
	global_load_ushort v27, v[24:25], off
	v_mov_b64_e32 v[52:53], 1
	s_waitcnt vmcnt(1)
	v_lshlrev_b32_e32 v26, 16, v26
	s_waitcnt vmcnt(0)
	v_lshlrev_b32_e32 v27, 16, v27
	v_cmp_eq_f32_e32 vcc, v27, v26
	s_and_saveexec_b64 s[24:25], vcc
	s_cbranch_execz .LBB1176_210
; %bb.203:
	s_add_u32 s26, s12, -1
	v_lshl_add_u64 v[22:23], v[22:23], 0, 2
	v_lshl_add_u64 v[24:25], v[24:25], 0, 2
	s_addc_u32 s27, s13, -1
	s_mov_b64 s[28:29], 0
	s_mov_b64 s[34:35], 0
                                        ; implicit-def: $sgpr30_sgpr31
	s_branch .LBB1176_206
.LBB1176_204:                           ;   in Loop: Header=BB1176_206 Depth=1
	global_load_ushort v26, v[22:23], off
	global_load_ushort v27, v[24:25], off
	s_add_u32 s34, s34, 1
	s_addc_u32 s35, s35, 0
	s_andn2_b64 s[30:31], s[30:31], exec
	v_lshl_add_u64 v[22:23], v[22:23], 0, 2
	v_lshl_add_u64 v[24:25], v[24:25], 0, 2
	s_waitcnt vmcnt(1)
	v_lshlrev_b32_e32 v26, 16, v26
	s_waitcnt vmcnt(0)
	v_lshlrev_b32_e32 v27, 16, v27
	v_cmp_neq_f32_e32 vcc, v27, v26
	s_and_b64 s[36:37], vcc, exec
	s_or_b64 s[30:31], s[30:31], s[36:37]
.LBB1176_205:                           ;   in Loop: Header=BB1176_206 Depth=1
	s_and_b64 s[36:37], exec, s[30:31]
	s_or_b64 s[28:29], s[36:37], s[28:29]
	v_mov_b64_e32 v[26:27], s[34:35]
	s_andn2_b64 exec, exec, s[28:29]
	s_cbranch_execz .LBB1176_209
.LBB1176_206:                           ; =>This Inner Loop Header: Depth=1
	s_or_b64 s[30:31], s[30:31], exec
	s_cmp_eq_u64 s[26:27], s[34:35]
	s_cbranch_scc0 .LBB1176_204
; %bb.207:                              ;   in Loop: Header=BB1176_206 Depth=1
                                        ; implicit-def: $vgpr22_vgpr23
                                        ; implicit-def: $vgpr24_vgpr25
	s_mov_b64 s[34:35], s[12:13]
	s_branch .LBB1176_205
.LBB1176_208:
	v_mov_b64_e32 v[52:53], 0
	s_branch .LBB1176_211
.LBB1176_209:
	s_or_b64 exec, exec, s[28:29]
	v_cmp_gt_i64_e32 vcc, s[12:13], v[26:27]
	s_mov_b32 s26, 0
	v_mov_b32_e32 v53, s26
	v_cndmask_b32_e64 v52, 0, 1, vcc
.LBB1176_210:
	s_or_b64 exec, exec, s[24:25]
.LBB1176_211:
	s_or_b64 exec, exec, s[18:19]
	v_add_u32_e32 v22, 3, v1
	v_cmp_gt_u32_e32 vcc, s21, v22
	v_mov_b64_e32 v[54:55], v[8:9]
	s_and_saveexec_b64 s[18:19], vcc
	s_cbranch_execz .LBB1176_222
; %bb.212:
	s_and_b64 vcc, exec, s[2:3]
	s_cbranch_vccnz .LBB1176_219
; %bb.213:
	v_mul_lo_u32 v24, v9, s12
	v_mul_lo_u32 v25, v8, s13
	v_mad_u64_u32 v[22:23], s[24:25], v8, s12, 0
	v_add3_u32 v23, v23, v25, v24
	v_mul_lo_u32 v24, v7, s12
	v_mul_lo_u32 v25, v6, s13
	v_mad_u64_u32 v[26:27], s[24:25], v6, s12, 0
	v_add3_u32 v27, v27, v25, v24
	v_lshl_add_u64 v[24:25], v[22:23], 1, s[14:15]
	v_lshl_add_u64 v[22:23], v[26:27], 1, s[14:15]
	global_load_ushort v26, v[22:23], off
	global_load_ushort v27, v[24:25], off
	v_mov_b64_e32 v[54:55], 1
	s_waitcnt vmcnt(1)
	v_lshlrev_b32_e32 v26, 16, v26
	s_waitcnt vmcnt(0)
	v_lshlrev_b32_e32 v27, 16, v27
	v_cmp_eq_f32_e32 vcc, v27, v26
	s_and_saveexec_b64 s[24:25], vcc
	s_cbranch_execz .LBB1176_221
; %bb.214:
	s_add_u32 s26, s12, -1
	v_lshl_add_u64 v[22:23], v[22:23], 0, 2
	v_lshl_add_u64 v[24:25], v[24:25], 0, 2
	s_addc_u32 s27, s13, -1
	s_mov_b64 s[28:29], 0
	s_mov_b64 s[34:35], 0
                                        ; implicit-def: $sgpr30_sgpr31
	s_branch .LBB1176_217
.LBB1176_215:                           ;   in Loop: Header=BB1176_217 Depth=1
	global_load_ushort v26, v[22:23], off
	global_load_ushort v27, v[24:25], off
	s_add_u32 s34, s34, 1
	s_addc_u32 s35, s35, 0
	s_andn2_b64 s[30:31], s[30:31], exec
	v_lshl_add_u64 v[22:23], v[22:23], 0, 2
	v_lshl_add_u64 v[24:25], v[24:25], 0, 2
	s_waitcnt vmcnt(1)
	v_lshlrev_b32_e32 v26, 16, v26
	s_waitcnt vmcnt(0)
	v_lshlrev_b32_e32 v27, 16, v27
	v_cmp_neq_f32_e32 vcc, v27, v26
	s_and_b64 s[36:37], vcc, exec
	s_or_b64 s[30:31], s[30:31], s[36:37]
.LBB1176_216:                           ;   in Loop: Header=BB1176_217 Depth=1
	s_and_b64 s[36:37], exec, s[30:31]
	s_or_b64 s[28:29], s[36:37], s[28:29]
	v_mov_b64_e32 v[26:27], s[34:35]
	s_andn2_b64 exec, exec, s[28:29]
	s_cbranch_execz .LBB1176_220
.LBB1176_217:                           ; =>This Inner Loop Header: Depth=1
	s_or_b64 s[30:31], s[30:31], exec
	s_cmp_eq_u64 s[26:27], s[34:35]
	s_cbranch_scc0 .LBB1176_215
; %bb.218:                              ;   in Loop: Header=BB1176_217 Depth=1
                                        ; implicit-def: $vgpr22_vgpr23
                                        ; implicit-def: $vgpr24_vgpr25
	s_mov_b64 s[34:35], s[12:13]
	s_branch .LBB1176_216
.LBB1176_219:
	v_mov_b64_e32 v[54:55], 0
	s_branch .LBB1176_222
.LBB1176_220:
	s_or_b64 exec, exec, s[28:29]
	v_cmp_gt_i64_e32 vcc, s[12:13], v[26:27]
	s_mov_b32 s26, 0
	v_mov_b32_e32 v55, s26
	v_cndmask_b32_e64 v54, 0, 1, vcc
.LBB1176_221:
	s_or_b64 exec, exec, s[24:25]
.LBB1176_222:
	s_or_b64 exec, exec, s[18:19]
	v_add_u32_e32 v22, 2, v1
	v_cmp_gt_u32_e32 vcc, s21, v22
	v_mov_b64_e32 v[56:57], v[6:7]
	s_and_saveexec_b64 s[18:19], vcc
	s_cbranch_execz .LBB1176_233
; %bb.223:
	s_and_b64 vcc, exec, s[2:3]
	s_cbranch_vccnz .LBB1176_230
; %bb.224:
	v_mul_lo_u32 v24, v7, s12
	v_mul_lo_u32 v25, v6, s13
	v_mad_u64_u32 v[22:23], s[24:25], v6, s12, 0
	v_add3_u32 v23, v23, v25, v24
	v_mul_lo_u32 v24, v5, s12
	v_mul_lo_u32 v25, v4, s13
	v_mad_u64_u32 v[26:27], s[24:25], v4, s12, 0
	v_add3_u32 v27, v27, v25, v24
	v_lshl_add_u64 v[24:25], v[22:23], 1, s[14:15]
	v_lshl_add_u64 v[22:23], v[26:27], 1, s[14:15]
	global_load_ushort v26, v[22:23], off
	global_load_ushort v27, v[24:25], off
	v_mov_b64_e32 v[56:57], 1
	s_waitcnt vmcnt(1)
	v_lshlrev_b32_e32 v26, 16, v26
	s_waitcnt vmcnt(0)
	v_lshlrev_b32_e32 v27, 16, v27
	v_cmp_eq_f32_e32 vcc, v27, v26
	s_and_saveexec_b64 s[24:25], vcc
	s_cbranch_execz .LBB1176_232
; %bb.225:
	s_add_u32 s26, s12, -1
	v_lshl_add_u64 v[22:23], v[22:23], 0, 2
	v_lshl_add_u64 v[24:25], v[24:25], 0, 2
	s_addc_u32 s27, s13, -1
	s_mov_b64 s[28:29], 0
	s_mov_b64 s[34:35], 0
                                        ; implicit-def: $sgpr30_sgpr31
	s_branch .LBB1176_228
.LBB1176_226:                           ;   in Loop: Header=BB1176_228 Depth=1
	global_load_ushort v26, v[22:23], off
	global_load_ushort v27, v[24:25], off
	s_add_u32 s34, s34, 1
	s_addc_u32 s35, s35, 0
	s_andn2_b64 s[30:31], s[30:31], exec
	v_lshl_add_u64 v[22:23], v[22:23], 0, 2
	v_lshl_add_u64 v[24:25], v[24:25], 0, 2
	s_waitcnt vmcnt(1)
	v_lshlrev_b32_e32 v26, 16, v26
	s_waitcnt vmcnt(0)
	v_lshlrev_b32_e32 v27, 16, v27
	v_cmp_neq_f32_e32 vcc, v27, v26
	s_and_b64 s[36:37], vcc, exec
	s_or_b64 s[30:31], s[30:31], s[36:37]
.LBB1176_227:                           ;   in Loop: Header=BB1176_228 Depth=1
	s_and_b64 s[36:37], exec, s[30:31]
	s_or_b64 s[28:29], s[36:37], s[28:29]
	v_mov_b64_e32 v[26:27], s[34:35]
	s_andn2_b64 exec, exec, s[28:29]
	s_cbranch_execz .LBB1176_231
.LBB1176_228:                           ; =>This Inner Loop Header: Depth=1
	s_or_b64 s[30:31], s[30:31], exec
	s_cmp_eq_u64 s[26:27], s[34:35]
	s_cbranch_scc0 .LBB1176_226
; %bb.229:                              ;   in Loop: Header=BB1176_228 Depth=1
                                        ; implicit-def: $vgpr22_vgpr23
                                        ; implicit-def: $vgpr24_vgpr25
	s_mov_b64 s[34:35], s[12:13]
	s_branch .LBB1176_227
.LBB1176_230:
	v_mov_b64_e32 v[56:57], 0
	s_branch .LBB1176_233
.LBB1176_231:
	s_or_b64 exec, exec, s[28:29]
	v_cmp_gt_i64_e32 vcc, s[12:13], v[26:27]
	s_mov_b32 s26, 0
	v_mov_b32_e32 v57, s26
	v_cndmask_b32_e64 v56, 0, 1, vcc
.LBB1176_232:
	s_or_b64 exec, exec, s[24:25]
.LBB1176_233:
	s_or_b64 exec, exec, s[18:19]
	v_add_u32_e32 v22, 1, v1
	v_cmp_gt_u32_e32 vcc, s21, v22
	v_mov_b64_e32 v[58:59], v[4:5]
	s_and_saveexec_b64 s[18:19], vcc
	s_cbranch_execz .LBB1176_244
; %bb.234:
	s_and_b64 vcc, exec, s[2:3]
	s_cbranch_vccnz .LBB1176_241
; %bb.235:
	v_mul_lo_u32 v24, v5, s12
	v_mul_lo_u32 v25, v4, s13
	v_mad_u64_u32 v[22:23], s[24:25], v4, s12, 0
	v_add3_u32 v23, v23, v25, v24
	v_mul_lo_u32 v24, v3, s12
	v_mul_lo_u32 v25, v2, s13
	v_mad_u64_u32 v[26:27], s[24:25], v2, s12, 0
	v_add3_u32 v27, v27, v25, v24
	v_lshl_add_u64 v[24:25], v[22:23], 1, s[14:15]
	v_lshl_add_u64 v[22:23], v[26:27], 1, s[14:15]
	global_load_ushort v26, v[22:23], off
	global_load_ushort v27, v[24:25], off
	v_mov_b64_e32 v[58:59], 1
	s_waitcnt vmcnt(1)
	v_lshlrev_b32_e32 v26, 16, v26
	s_waitcnt vmcnt(0)
	v_lshlrev_b32_e32 v27, 16, v27
	v_cmp_eq_f32_e32 vcc, v27, v26
	s_and_saveexec_b64 s[24:25], vcc
	s_cbranch_execz .LBB1176_243
; %bb.236:
	s_add_u32 s26, s12, -1
	v_lshl_add_u64 v[22:23], v[22:23], 0, 2
	v_lshl_add_u64 v[24:25], v[24:25], 0, 2
	s_addc_u32 s27, s13, -1
	s_mov_b64 s[28:29], 0
	s_mov_b64 s[34:35], 0
                                        ; implicit-def: $sgpr30_sgpr31
	s_branch .LBB1176_239
.LBB1176_237:                           ;   in Loop: Header=BB1176_239 Depth=1
	global_load_ushort v26, v[22:23], off
	global_load_ushort v27, v[24:25], off
	s_add_u32 s34, s34, 1
	s_addc_u32 s35, s35, 0
	s_andn2_b64 s[30:31], s[30:31], exec
	v_lshl_add_u64 v[22:23], v[22:23], 0, 2
	v_lshl_add_u64 v[24:25], v[24:25], 0, 2
	s_waitcnt vmcnt(1)
	v_lshlrev_b32_e32 v26, 16, v26
	s_waitcnt vmcnt(0)
	v_lshlrev_b32_e32 v27, 16, v27
	v_cmp_neq_f32_e32 vcc, v27, v26
	s_and_b64 s[36:37], vcc, exec
	s_or_b64 s[30:31], s[30:31], s[36:37]
.LBB1176_238:                           ;   in Loop: Header=BB1176_239 Depth=1
	s_and_b64 s[36:37], exec, s[30:31]
	s_or_b64 s[28:29], s[36:37], s[28:29]
	v_mov_b64_e32 v[26:27], s[34:35]
	s_andn2_b64 exec, exec, s[28:29]
	s_cbranch_execz .LBB1176_242
.LBB1176_239:                           ; =>This Inner Loop Header: Depth=1
	s_or_b64 s[30:31], s[30:31], exec
	s_cmp_eq_u64 s[26:27], s[34:35]
	s_cbranch_scc0 .LBB1176_237
; %bb.240:                              ;   in Loop: Header=BB1176_239 Depth=1
                                        ; implicit-def: $vgpr22_vgpr23
                                        ; implicit-def: $vgpr24_vgpr25
	s_mov_b64 s[34:35], s[12:13]
	s_branch .LBB1176_238
.LBB1176_241:
	v_mov_b64_e32 v[58:59], 0
	s_branch .LBB1176_244
.LBB1176_242:
	s_or_b64 exec, exec, s[28:29]
	v_cmp_gt_i64_e32 vcc, s[12:13], v[26:27]
	s_mov_b32 s26, 0
	v_mov_b32_e32 v59, s26
	v_cndmask_b32_e64 v58, 0, 1, vcc
.LBB1176_243:
	s_or_b64 exec, exec, s[24:25]
.LBB1176_244:
	s_or_b64 exec, exec, s[18:19]
	v_cmp_ne_u32_e32 vcc, 0, v0
	v_mov_b64_e32 v[22:23], s[16:17]
	s_waitcnt lgkmcnt(0)
	s_barrier
	s_and_saveexec_b64 s[16:17], vcc
	s_cbranch_execz .LBB1176_246
; %bb.245:
	v_add_u32_e32 v22, -8, v40
	ds_read_b64 v[22:23], v22
.LBB1176_246:
	s_or_b64 exec, exec, s[16:17]
	v_cmp_gt_u32_e32 vcc, s21, v1
                                        ; implicit-def: $sgpr18_sgpr19
	s_and_saveexec_b64 s[16:17], vcc
	s_cbranch_execz .LBB1176_258
; %bb.247:
	s_and_b64 vcc, exec, s[2:3]
	s_cbranch_vccnz .LBB1176_254
; %bb.248:
	v_mul_lo_u32 v1, v3, s12
	v_mul_lo_u32 v26, v2, s13
	v_mad_u64_u32 v[24:25], s[2:3], v2, s12, 0
	v_add3_u32 v25, v25, v26, v1
	s_waitcnt lgkmcnt(0)
	v_mul_lo_u32 v1, v23, s12
	v_mul_lo_u32 v26, v22, s13
	v_mad_u64_u32 v[22:23], s[2:3], v22, s12, 0
	v_add3_u32 v23, v23, v26, v1
	v_lshl_add_u64 v[22:23], v[22:23], 1, s[14:15]
	v_lshl_add_u64 v[24:25], v[24:25], 1, s[14:15]
	global_load_ushort v1, v[22:23], off
	global_load_ushort v26, v[24:25], off
	s_mov_b64 s[18:19], -1
	s_waitcnt vmcnt(1)
	v_lshlrev_b32_e32 v1, 16, v1
	s_waitcnt vmcnt(0)
	v_lshlrev_b32_e32 v26, 16, v26
	v_cmp_eq_f32_e32 vcc, v26, v1
	s_and_saveexec_b64 s[2:3], vcc
	s_cbranch_execz .LBB1176_256
; %bb.249:
	s_add_u32 s18, s12, -1
	v_lshl_add_u64 v[22:23], v[22:23], 0, 2
	v_lshl_add_u64 v[24:25], v[24:25], 0, 2
	s_addc_u32 s19, s13, -1
	s_mov_b64 s[24:25], 0
	s_mov_b64 s[28:29], 0
                                        ; implicit-def: $sgpr26_sgpr27
	s_branch .LBB1176_252
.LBB1176_250:                           ;   in Loop: Header=BB1176_252 Depth=1
	global_load_ushort v1, v[22:23], off
	global_load_ushort v26, v[24:25], off
	s_add_u32 s28, s28, 1
	s_addc_u32 s29, s29, 0
	s_andn2_b64 s[26:27], s[26:27], exec
	v_lshl_add_u64 v[22:23], v[22:23], 0, 2
	v_lshl_add_u64 v[24:25], v[24:25], 0, 2
	s_waitcnt vmcnt(1)
	v_lshlrev_b32_e32 v1, 16, v1
	s_waitcnt vmcnt(0)
	v_lshlrev_b32_e32 v26, 16, v26
	v_cmp_neq_f32_e32 vcc, v26, v1
	s_and_b64 s[30:31], vcc, exec
	s_or_b64 s[26:27], s[26:27], s[30:31]
.LBB1176_251:                           ;   in Loop: Header=BB1176_252 Depth=1
	s_and_b64 s[30:31], exec, s[26:27]
	s_or_b64 s[24:25], s[30:31], s[24:25]
	v_mov_b64_e32 v[26:27], s[28:29]
	s_andn2_b64 exec, exec, s[24:25]
	s_cbranch_execz .LBB1176_255
.LBB1176_252:                           ; =>This Inner Loop Header: Depth=1
	s_or_b64 s[26:27], s[26:27], exec
	s_cmp_eq_u64 s[18:19], s[28:29]
	s_cbranch_scc0 .LBB1176_250
; %bb.253:                              ;   in Loop: Header=BB1176_252 Depth=1
                                        ; implicit-def: $vgpr22_vgpr23
                                        ; implicit-def: $vgpr24_vgpr25
	s_mov_b64 s[28:29], s[12:13]
	s_branch .LBB1176_251
.LBB1176_254:
	s_mov_b64 s[18:19], 0
	s_branch .LBB1176_257
.LBB1176_255:
	s_or_b64 exec, exec, s[24:25]
	v_cmp_gt_i64_e32 vcc, s[12:13], v[26:27]
	s_orn2_b64 s[18:19], vcc, exec
.LBB1176_256:
	s_or_b64 exec, exec, s[2:3]
.LBB1176_257:
	s_and_b64 s[18:19], s[18:19], exec
	s_or_b64 s[22:23], s[22:23], exec
.LBB1176_258:
	s_or_b64 exec, exec, s[16:17]
	v_mov_b64_e32 v[60:61], v[44:45]
	s_waitcnt lgkmcnt(0)
	v_mov_b64_e32 v[22:23], v[38:39]
	v_mov_b64_e32 v[68:69], v[58:59]
	;; [unrolled: 1-line block ×8, first 2 shown]
	s_branch .LBB1176_488
.LBB1176_259:
	s_cmp_lg_u64 s[4:5], 1
	s_cbranch_scc0 .LBB1176_267
; %bb.260:
	v_mul_lo_u32 v1, v21, s12
	v_mul_lo_u32 v24, v20, s13
	s_waitcnt lgkmcnt(0)
	v_mad_u64_u32 v[22:23], s[16:17], v20, s12, 0
	v_mov_b64_e32 v[38:39], 0
	v_cmp_lt_i64_e64 s[2:3], s[12:13], 1
	v_add3_u32 v23, v23, v24, v1
	v_cmp_gt_i64_e64 s[4:5], s[12:13], 0
	s_and_b64 vcc, exec, s[2:3]
	v_lshl_add_u64 v[22:23], v[22:23], 1, s[14:15]
	v_mov_b64_e32 v[42:43], v[38:39]
	ds_write_b64 v40, v[36:37]
	s_cbranch_vccnz .LBB1176_270
; %bb.261:
	v_mul_lo_u32 v1, v37, s12
	v_mul_lo_u32 v26, v36, s13
	v_mad_u64_u32 v[24:25], s[2:3], v36, s12, 0
	v_add3_u32 v25, v25, v26, v1
	v_lshl_add_u64 v[26:27], v[24:25], 1, s[14:15]
	global_load_ushort v1, v[26:27], off
	global_load_ushort v24, v[22:23], off
	v_mov_b64_e32 v[42:43], 1
	s_waitcnt vmcnt(1)
	v_lshlrev_b32_e32 v1, 16, v1
	s_waitcnt vmcnt(0)
	v_lshlrev_b32_e32 v24, 16, v24
	v_cmp_eq_f32_e32 vcc, v1, v24
	s_and_saveexec_b64 s[2:3], vcc
	s_cbranch_execz .LBB1176_269
; %bb.262:
	s_add_u32 s16, s12, -1
	v_lshl_add_u64 v[24:25], v[22:23], 0, 2
	v_lshl_add_u64 v[26:27], v[26:27], 0, 2
	s_addc_u32 s17, s13, -1
	s_mov_b64 s[18:19], 0
	s_mov_b64 s[26:27], 0
                                        ; implicit-def: $sgpr24_sgpr25
	s_branch .LBB1176_265
.LBB1176_263:                           ;   in Loop: Header=BB1176_265 Depth=1
	global_load_ushort v1, v[24:25], off
	global_load_ushort v28, v[26:27], off
	s_add_u32 s26, s26, 1
	s_addc_u32 s27, s27, 0
	s_andn2_b64 s[24:25], s[24:25], exec
	v_lshl_add_u64 v[24:25], v[24:25], 0, 2
	v_lshl_add_u64 v[26:27], v[26:27], 0, 2
	s_waitcnt vmcnt(1)
	v_lshlrev_b32_e32 v1, 16, v1
	s_waitcnt vmcnt(0)
	v_lshlrev_b32_e32 v28, 16, v28
	v_cmp_neq_f32_e32 vcc, v28, v1
	s_and_b64 s[28:29], vcc, exec
	s_or_b64 s[24:25], s[24:25], s[28:29]
.LBB1176_264:                           ;   in Loop: Header=BB1176_265 Depth=1
	s_and_b64 s[28:29], exec, s[24:25]
	s_or_b64 s[18:19], s[28:29], s[18:19]
	v_mov_b64_e32 v[28:29], s[26:27]
	s_andn2_b64 exec, exec, s[18:19]
	s_cbranch_execz .LBB1176_268
.LBB1176_265:                           ; =>This Inner Loop Header: Depth=1
	s_or_b64 s[24:25], s[24:25], exec
	s_cmp_eq_u64 s[16:17], s[26:27]
	s_cbranch_scc0 .LBB1176_263
; %bb.266:                              ;   in Loop: Header=BB1176_265 Depth=1
                                        ; implicit-def: $vgpr24_vgpr25
                                        ; implicit-def: $vgpr26_vgpr27
	s_mov_b64 s[26:27], s[12:13]
	s_branch .LBB1176_264
.LBB1176_267:
                                        ; implicit-def: $vgpr22_vgpr23_vgpr24_vgpr25
                                        ; implicit-def: $sgpr18_sgpr19
                                        ; implicit-def: $vgpr42_vgpr43
                                        ; implicit-def: $vgpr44_vgpr45
                                        ; implicit-def: $vgpr38_vgpr39
                                        ; implicit-def: $vgpr58_vgpr59
                                        ; implicit-def: $vgpr56_vgpr57
                                        ; implicit-def: $vgpr54_vgpr55
                                        ; implicit-def: $vgpr52_vgpr53
                                        ; implicit-def: $vgpr50_vgpr51
                                        ; implicit-def: $vgpr48_vgpr49
                                        ; implicit-def: $vgpr46_vgpr47
                                        ; implicit-def: $vgpr60_vgpr61
                                        ; implicit-def: $vgpr68_vgpr69
                                        ; implicit-def: $vgpr62_vgpr63
                                        ; implicit-def: $vgpr64_vgpr65
                                        ; implicit-def: $vgpr66_vgpr67
                                        ; implicit-def: $vgpr24_vgpr25_vgpr26_vgpr27
                                        ; implicit-def: $vgpr28_vgpr29_vgpr30_vgpr31
                                        ; implicit-def: $vgpr32_vgpr33_vgpr34_vgpr35
	s_cbranch_execnz .LBB1176_365
	s_branch .LBB1176_488
.LBB1176_268:
	s_or_b64 exec, exec, s[18:19]
	v_cmp_gt_i64_e32 vcc, s[12:13], v[28:29]
	s_mov_b32 s16, 0
	v_mov_b32_e32 v43, s16
	v_cndmask_b32_e64 v42, 0, 1, vcc
.LBB1176_269:
	s_or_b64 exec, exec, s[2:3]
.LBB1176_270:
	v_mul_lo_u32 v1, v19, s12
	v_mul_lo_u32 v26, v18, s13
	v_mad_u64_u32 v[24:25], s[2:3], v18, s12, 0
	v_add3_u32 v25, v25, v26, v1
	v_cndmask_b32_e64 v1, 0, 1, s[4:5]
	v_cmp_ne_u32_e64 s[2:3], 1, v1
	s_andn2_b64 vcc, exec, s[4:5]
	v_lshl_add_u64 v[24:25], v[24:25], 1, s[14:15]
	v_mov_b64_e32 v[44:45], v[38:39]
	s_cbranch_vccnz .LBB1176_279
; %bb.271:
	global_load_ushort v1, v[24:25], off
	global_load_ushort v26, v[22:23], off
	v_mov_b64_e32 v[44:45], 1
	s_waitcnt vmcnt(1)
	v_lshlrev_b32_e32 v1, 16, v1
	s_waitcnt vmcnt(0)
	v_lshlrev_b32_e32 v26, 16, v26
	v_cmp_eq_f32_e32 vcc, v26, v1
	s_and_saveexec_b64 s[4:5], vcc
	s_cbranch_execz .LBB1176_278
; %bb.272:
	s_add_u32 s16, s12, -1
	v_lshl_add_u64 v[26:27], v[24:25], 0, 2
	v_lshl_add_u64 v[22:23], v[22:23], 0, 2
	s_addc_u32 s17, s13, -1
	s_mov_b64 s[18:19], 0
	s_mov_b64 s[26:27], 0
                                        ; implicit-def: $sgpr24_sgpr25
	s_branch .LBB1176_275
.LBB1176_273:                           ;   in Loop: Header=BB1176_275 Depth=1
	global_load_ushort v1, v[26:27], off
	global_load_ushort v28, v[22:23], off
	s_add_u32 s26, s26, 1
	s_addc_u32 s27, s27, 0
	s_andn2_b64 s[24:25], s[24:25], exec
	v_lshl_add_u64 v[26:27], v[26:27], 0, 2
	v_lshl_add_u64 v[22:23], v[22:23], 0, 2
	s_waitcnt vmcnt(1)
	v_lshlrev_b32_e32 v1, 16, v1
	s_waitcnt vmcnt(0)
	v_lshlrev_b32_e32 v28, 16, v28
	v_cmp_neq_f32_e32 vcc, v28, v1
	s_and_b64 s[28:29], vcc, exec
	s_or_b64 s[24:25], s[24:25], s[28:29]
.LBB1176_274:                           ;   in Loop: Header=BB1176_275 Depth=1
	s_and_b64 s[28:29], exec, s[24:25]
	s_or_b64 s[18:19], s[28:29], s[18:19]
	v_mov_b64_e32 v[28:29], s[26:27]
	s_andn2_b64 exec, exec, s[18:19]
	s_cbranch_execz .LBB1176_277
.LBB1176_275:                           ; =>This Inner Loop Header: Depth=1
	s_or_b64 s[24:25], s[24:25], exec
	s_cmp_eq_u64 s[16:17], s[26:27]
	s_cbranch_scc0 .LBB1176_273
; %bb.276:                              ;   in Loop: Header=BB1176_275 Depth=1
                                        ; implicit-def: $vgpr26_vgpr27
                                        ; implicit-def: $vgpr22_vgpr23
	s_mov_b64 s[26:27], s[12:13]
	s_branch .LBB1176_274
.LBB1176_277:
	s_or_b64 exec, exec, s[18:19]
	v_cmp_gt_i64_e32 vcc, s[12:13], v[28:29]
	s_mov_b32 s16, 0
	v_mov_b32_e32 v45, s16
	v_cndmask_b32_e64 v44, 0, 1, vcc
.LBB1176_278:
	s_or_b64 exec, exec, s[4:5]
.LBB1176_279:
	v_mul_lo_u32 v1, v17, s12
	v_mul_lo_u32 v26, v16, s13
	v_mad_u64_u32 v[22:23], s[4:5], v16, s12, 0
	v_add3_u32 v23, v23, v26, v1
	s_and_b64 vcc, exec, s[2:3]
	v_lshl_add_u64 v[22:23], v[22:23], 1, s[14:15]
	s_cbranch_vccnz .LBB1176_288
; %bb.280:
	global_load_ushort v1, v[22:23], off
	global_load_ushort v26, v[24:25], off
	v_mov_b64_e32 v[38:39], 1
	s_waitcnt vmcnt(1)
	v_lshlrev_b32_e32 v1, 16, v1
	s_waitcnt vmcnt(0)
	v_lshlrev_b32_e32 v26, 16, v26
	v_cmp_eq_f32_e32 vcc, v26, v1
	s_and_saveexec_b64 s[4:5], vcc
	s_cbranch_execz .LBB1176_287
; %bb.281:
	s_add_u32 s16, s12, -1
	v_lshl_add_u64 v[26:27], v[22:23], 0, 2
	v_lshl_add_u64 v[24:25], v[24:25], 0, 2
	s_addc_u32 s17, s13, -1
	s_mov_b64 s[18:19], 0
	s_mov_b64 s[26:27], 0
                                        ; implicit-def: $sgpr24_sgpr25
	s_branch .LBB1176_284
.LBB1176_282:                           ;   in Loop: Header=BB1176_284 Depth=1
	global_load_ushort v1, v[26:27], off
	global_load_ushort v28, v[24:25], off
	s_add_u32 s26, s26, 1
	s_addc_u32 s27, s27, 0
	s_andn2_b64 s[24:25], s[24:25], exec
	v_lshl_add_u64 v[26:27], v[26:27], 0, 2
	v_lshl_add_u64 v[24:25], v[24:25], 0, 2
	s_waitcnt vmcnt(1)
	v_lshlrev_b32_e32 v1, 16, v1
	s_waitcnt vmcnt(0)
	v_lshlrev_b32_e32 v28, 16, v28
	v_cmp_neq_f32_e32 vcc, v28, v1
	s_and_b64 s[28:29], vcc, exec
	s_or_b64 s[24:25], s[24:25], s[28:29]
.LBB1176_283:                           ;   in Loop: Header=BB1176_284 Depth=1
	s_and_b64 s[28:29], exec, s[24:25]
	s_or_b64 s[18:19], s[28:29], s[18:19]
	v_mov_b64_e32 v[28:29], s[26:27]
	s_andn2_b64 exec, exec, s[18:19]
	s_cbranch_execz .LBB1176_286
.LBB1176_284:                           ; =>This Inner Loop Header: Depth=1
	s_or_b64 s[24:25], s[24:25], exec
	s_cmp_eq_u64 s[16:17], s[26:27]
	s_cbranch_scc0 .LBB1176_282
; %bb.285:                              ;   in Loop: Header=BB1176_284 Depth=1
                                        ; implicit-def: $vgpr26_vgpr27
                                        ; implicit-def: $vgpr24_vgpr25
	s_mov_b64 s[26:27], s[12:13]
	s_branch .LBB1176_283
.LBB1176_286:
	s_or_b64 exec, exec, s[18:19]
	v_cmp_gt_i64_e32 vcc, s[12:13], v[28:29]
	s_mov_b32 s16, 0
	v_mov_b32_e32 v39, s16
	v_cndmask_b32_e64 v38, 0, 1, vcc
.LBB1176_287:
	s_or_b64 exec, exec, s[4:5]
.LBB1176_288:
	v_mul_lo_u32 v1, v15, s12
	v_mul_lo_u32 v26, v14, s13
	v_mad_u64_u32 v[24:25], s[4:5], v14, s12, 0
	v_add3_u32 v25, v25, v26, v1
	v_mov_b64_e32 v[48:49], 0
	s_and_b64 vcc, exec, s[2:3]
	v_lshl_add_u64 v[24:25], v[24:25], 1, s[14:15]
	v_mov_b64_e32 v[46:47], v[48:49]
	s_cbranch_vccnz .LBB1176_297
; %bb.289:
	global_load_ushort v1, v[24:25], off
	global_load_ushort v26, v[22:23], off
	v_mov_b64_e32 v[46:47], 1
	s_waitcnt vmcnt(1)
	v_lshlrev_b32_e32 v1, 16, v1
	s_waitcnt vmcnt(0)
	v_lshlrev_b32_e32 v26, 16, v26
	v_cmp_eq_f32_e32 vcc, v26, v1
	s_and_saveexec_b64 s[4:5], vcc
	s_cbranch_execz .LBB1176_296
; %bb.290:
	s_add_u32 s16, s12, -1
	v_lshl_add_u64 v[26:27], v[24:25], 0, 2
	v_lshl_add_u64 v[22:23], v[22:23], 0, 2
	s_addc_u32 s17, s13, -1
	s_mov_b64 s[18:19], 0
	s_mov_b64 s[26:27], 0
                                        ; implicit-def: $sgpr24_sgpr25
	s_branch .LBB1176_293
.LBB1176_291:                           ;   in Loop: Header=BB1176_293 Depth=1
	global_load_ushort v1, v[26:27], off
	global_load_ushort v28, v[22:23], off
	s_add_u32 s26, s26, 1
	s_addc_u32 s27, s27, 0
	s_andn2_b64 s[24:25], s[24:25], exec
	v_lshl_add_u64 v[26:27], v[26:27], 0, 2
	v_lshl_add_u64 v[22:23], v[22:23], 0, 2
	s_waitcnt vmcnt(1)
	v_lshlrev_b32_e32 v1, 16, v1
	s_waitcnt vmcnt(0)
	v_lshlrev_b32_e32 v28, 16, v28
	v_cmp_neq_f32_e32 vcc, v28, v1
	s_and_b64 s[28:29], vcc, exec
	s_or_b64 s[24:25], s[24:25], s[28:29]
.LBB1176_292:                           ;   in Loop: Header=BB1176_293 Depth=1
	s_and_b64 s[28:29], exec, s[24:25]
	s_or_b64 s[18:19], s[28:29], s[18:19]
	v_mov_b64_e32 v[28:29], s[26:27]
	s_andn2_b64 exec, exec, s[18:19]
	s_cbranch_execz .LBB1176_295
.LBB1176_293:                           ; =>This Inner Loop Header: Depth=1
	s_or_b64 s[24:25], s[24:25], exec
	s_cmp_eq_u64 s[16:17], s[26:27]
	s_cbranch_scc0 .LBB1176_291
; %bb.294:                              ;   in Loop: Header=BB1176_293 Depth=1
                                        ; implicit-def: $vgpr26_vgpr27
                                        ; implicit-def: $vgpr22_vgpr23
	s_mov_b64 s[26:27], s[12:13]
	s_branch .LBB1176_292
.LBB1176_295:
	s_or_b64 exec, exec, s[18:19]
	v_cmp_gt_i64_e32 vcc, s[12:13], v[28:29]
	s_mov_b32 s16, 0
	v_mov_b32_e32 v47, s16
	v_cndmask_b32_e64 v46, 0, 1, vcc
.LBB1176_296:
	s_or_b64 exec, exec, s[4:5]
.LBB1176_297:
	v_mul_lo_u32 v1, v13, s12
	v_mul_lo_u32 v26, v12, s13
	v_mad_u64_u32 v[22:23], s[4:5], v12, s12, 0
	v_add3_u32 v23, v23, v26, v1
	s_and_b64 vcc, exec, s[2:3]
	v_lshl_add_u64 v[22:23], v[22:23], 1, s[14:15]
	s_cbranch_vccnz .LBB1176_306
; %bb.298:
	global_load_ushort v1, v[22:23], off
	global_load_ushort v26, v[24:25], off
	v_mov_b64_e32 v[48:49], 1
	s_waitcnt vmcnt(1)
	v_lshlrev_b32_e32 v1, 16, v1
	s_waitcnt vmcnt(0)
	v_lshlrev_b32_e32 v26, 16, v26
	v_cmp_eq_f32_e32 vcc, v26, v1
	s_and_saveexec_b64 s[4:5], vcc
	s_cbranch_execz .LBB1176_305
; %bb.299:
	s_add_u32 s16, s12, -1
	v_lshl_add_u64 v[26:27], v[22:23], 0, 2
	v_lshl_add_u64 v[24:25], v[24:25], 0, 2
	s_addc_u32 s17, s13, -1
	s_mov_b64 s[18:19], 0
	s_mov_b64 s[26:27], 0
                                        ; implicit-def: $sgpr24_sgpr25
	s_branch .LBB1176_302
.LBB1176_300:                           ;   in Loop: Header=BB1176_302 Depth=1
	global_load_ushort v1, v[26:27], off
	global_load_ushort v28, v[24:25], off
	s_add_u32 s26, s26, 1
	s_addc_u32 s27, s27, 0
	s_andn2_b64 s[24:25], s[24:25], exec
	v_lshl_add_u64 v[26:27], v[26:27], 0, 2
	v_lshl_add_u64 v[24:25], v[24:25], 0, 2
	s_waitcnt vmcnt(1)
	v_lshlrev_b32_e32 v1, 16, v1
	s_waitcnt vmcnt(0)
	v_lshlrev_b32_e32 v28, 16, v28
	v_cmp_neq_f32_e32 vcc, v28, v1
	s_and_b64 s[28:29], vcc, exec
	s_or_b64 s[24:25], s[24:25], s[28:29]
.LBB1176_301:                           ;   in Loop: Header=BB1176_302 Depth=1
	s_and_b64 s[28:29], exec, s[24:25]
	s_or_b64 s[18:19], s[28:29], s[18:19]
	v_mov_b64_e32 v[28:29], s[26:27]
	s_andn2_b64 exec, exec, s[18:19]
	s_cbranch_execz .LBB1176_304
.LBB1176_302:                           ; =>This Inner Loop Header: Depth=1
	s_or_b64 s[24:25], s[24:25], exec
	s_cmp_eq_u64 s[16:17], s[26:27]
	s_cbranch_scc0 .LBB1176_300
; %bb.303:                              ;   in Loop: Header=BB1176_302 Depth=1
                                        ; implicit-def: $vgpr26_vgpr27
                                        ; implicit-def: $vgpr24_vgpr25
	s_mov_b64 s[26:27], s[12:13]
	s_branch .LBB1176_301
.LBB1176_304:
	s_or_b64 exec, exec, s[18:19]
	v_cmp_gt_i64_e32 vcc, s[12:13], v[28:29]
	s_mov_b32 s16, 0
	v_mov_b32_e32 v49, s16
	v_cndmask_b32_e64 v48, 0, 1, vcc
.LBB1176_305:
	s_or_b64 exec, exec, s[4:5]
.LBB1176_306:
	v_mul_lo_u32 v1, v11, s12
	v_mul_lo_u32 v26, v10, s13
	v_mad_u64_u32 v[24:25], s[4:5], v10, s12, 0
	v_add3_u32 v25, v25, v26, v1
	v_mov_b64_e32 v[52:53], 0
	s_and_b64 vcc, exec, s[2:3]
	v_lshl_add_u64 v[24:25], v[24:25], 1, s[14:15]
	v_mov_b64_e32 v[50:51], v[52:53]
	s_cbranch_vccnz .LBB1176_315
; %bb.307:
	global_load_ushort v1, v[24:25], off
	global_load_ushort v26, v[22:23], off
	v_mov_b64_e32 v[50:51], 1
	s_waitcnt vmcnt(1)
	v_lshlrev_b32_e32 v1, 16, v1
	s_waitcnt vmcnt(0)
	v_lshlrev_b32_e32 v26, 16, v26
	v_cmp_eq_f32_e32 vcc, v26, v1
	s_and_saveexec_b64 s[4:5], vcc
	s_cbranch_execz .LBB1176_314
; %bb.308:
	s_add_u32 s16, s12, -1
	v_lshl_add_u64 v[26:27], v[24:25], 0, 2
	v_lshl_add_u64 v[22:23], v[22:23], 0, 2
	s_addc_u32 s17, s13, -1
	s_mov_b64 s[18:19], 0
	s_mov_b64 s[26:27], 0
                                        ; implicit-def: $sgpr24_sgpr25
	s_branch .LBB1176_311
.LBB1176_309:                           ;   in Loop: Header=BB1176_311 Depth=1
	global_load_ushort v1, v[26:27], off
	global_load_ushort v28, v[22:23], off
	s_add_u32 s26, s26, 1
	s_addc_u32 s27, s27, 0
	s_andn2_b64 s[24:25], s[24:25], exec
	v_lshl_add_u64 v[26:27], v[26:27], 0, 2
	v_lshl_add_u64 v[22:23], v[22:23], 0, 2
	s_waitcnt vmcnt(1)
	v_lshlrev_b32_e32 v1, 16, v1
	s_waitcnt vmcnt(0)
	v_lshlrev_b32_e32 v28, 16, v28
	v_cmp_neq_f32_e32 vcc, v28, v1
	s_and_b64 s[28:29], vcc, exec
	s_or_b64 s[24:25], s[24:25], s[28:29]
.LBB1176_310:                           ;   in Loop: Header=BB1176_311 Depth=1
	s_and_b64 s[28:29], exec, s[24:25]
	s_or_b64 s[18:19], s[28:29], s[18:19]
	v_mov_b64_e32 v[28:29], s[26:27]
	s_andn2_b64 exec, exec, s[18:19]
	s_cbranch_execz .LBB1176_313
.LBB1176_311:                           ; =>This Inner Loop Header: Depth=1
	s_or_b64 s[24:25], s[24:25], exec
	s_cmp_eq_u64 s[16:17], s[26:27]
	s_cbranch_scc0 .LBB1176_309
; %bb.312:                              ;   in Loop: Header=BB1176_311 Depth=1
                                        ; implicit-def: $vgpr26_vgpr27
                                        ; implicit-def: $vgpr22_vgpr23
	s_mov_b64 s[26:27], s[12:13]
	s_branch .LBB1176_310
.LBB1176_313:
	s_or_b64 exec, exec, s[18:19]
	v_cmp_gt_i64_e32 vcc, s[12:13], v[28:29]
	s_mov_b32 s16, 0
	v_mov_b32_e32 v51, s16
	v_cndmask_b32_e64 v50, 0, 1, vcc
.LBB1176_314:
	s_or_b64 exec, exec, s[4:5]
.LBB1176_315:
	v_mul_lo_u32 v1, v9, s12
	v_mul_lo_u32 v26, v8, s13
	v_mad_u64_u32 v[22:23], s[4:5], v8, s12, 0
	v_add3_u32 v23, v23, v26, v1
	s_and_b64 vcc, exec, s[2:3]
	v_lshl_add_u64 v[22:23], v[22:23], 1, s[14:15]
	s_cbranch_vccnz .LBB1176_324
; %bb.316:
	global_load_ushort v1, v[22:23], off
	global_load_ushort v26, v[24:25], off
	v_mov_b64_e32 v[52:53], 1
	s_waitcnt vmcnt(1)
	v_lshlrev_b32_e32 v1, 16, v1
	s_waitcnt vmcnt(0)
	v_lshlrev_b32_e32 v26, 16, v26
	v_cmp_eq_f32_e32 vcc, v26, v1
	s_and_saveexec_b64 s[4:5], vcc
	s_cbranch_execz .LBB1176_323
; %bb.317:
	s_add_u32 s16, s12, -1
	v_lshl_add_u64 v[26:27], v[22:23], 0, 2
	v_lshl_add_u64 v[24:25], v[24:25], 0, 2
	s_addc_u32 s17, s13, -1
	s_mov_b64 s[18:19], 0
	s_mov_b64 s[26:27], 0
                                        ; implicit-def: $sgpr24_sgpr25
	s_branch .LBB1176_320
.LBB1176_318:                           ;   in Loop: Header=BB1176_320 Depth=1
	global_load_ushort v1, v[26:27], off
	global_load_ushort v28, v[24:25], off
	s_add_u32 s26, s26, 1
	s_addc_u32 s27, s27, 0
	s_andn2_b64 s[24:25], s[24:25], exec
	v_lshl_add_u64 v[26:27], v[26:27], 0, 2
	v_lshl_add_u64 v[24:25], v[24:25], 0, 2
	s_waitcnt vmcnt(1)
	v_lshlrev_b32_e32 v1, 16, v1
	s_waitcnt vmcnt(0)
	v_lshlrev_b32_e32 v28, 16, v28
	v_cmp_neq_f32_e32 vcc, v28, v1
	s_and_b64 s[28:29], vcc, exec
	s_or_b64 s[24:25], s[24:25], s[28:29]
.LBB1176_319:                           ;   in Loop: Header=BB1176_320 Depth=1
	s_and_b64 s[28:29], exec, s[24:25]
	s_or_b64 s[18:19], s[28:29], s[18:19]
	v_mov_b64_e32 v[28:29], s[26:27]
	s_andn2_b64 exec, exec, s[18:19]
	s_cbranch_execz .LBB1176_322
.LBB1176_320:                           ; =>This Inner Loop Header: Depth=1
	s_or_b64 s[24:25], s[24:25], exec
	s_cmp_eq_u64 s[16:17], s[26:27]
	s_cbranch_scc0 .LBB1176_318
; %bb.321:                              ;   in Loop: Header=BB1176_320 Depth=1
                                        ; implicit-def: $vgpr26_vgpr27
                                        ; implicit-def: $vgpr24_vgpr25
	s_mov_b64 s[26:27], s[12:13]
	s_branch .LBB1176_319
.LBB1176_322:
	s_or_b64 exec, exec, s[18:19]
	v_cmp_gt_i64_e32 vcc, s[12:13], v[28:29]
	s_mov_b32 s16, 0
	v_mov_b32_e32 v53, s16
	v_cndmask_b32_e64 v52, 0, 1, vcc
.LBB1176_323:
	s_or_b64 exec, exec, s[4:5]
.LBB1176_324:
	v_mul_lo_u32 v1, v7, s12
	v_mul_lo_u32 v26, v6, s13
	v_mad_u64_u32 v[24:25], s[4:5], v6, s12, 0
	v_add3_u32 v25, v25, v26, v1
	v_mov_b64_e32 v[56:57], 0
	s_and_b64 vcc, exec, s[2:3]
	v_lshl_add_u64 v[24:25], v[24:25], 1, s[14:15]
	v_mov_b64_e32 v[54:55], v[56:57]
	s_cbranch_vccnz .LBB1176_333
; %bb.325:
	global_load_ushort v1, v[24:25], off
	global_load_ushort v26, v[22:23], off
	v_mov_b64_e32 v[54:55], 1
	s_waitcnt vmcnt(1)
	v_lshlrev_b32_e32 v1, 16, v1
	s_waitcnt vmcnt(0)
	v_lshlrev_b32_e32 v26, 16, v26
	v_cmp_eq_f32_e32 vcc, v26, v1
	s_and_saveexec_b64 s[4:5], vcc
	s_cbranch_execz .LBB1176_332
; %bb.326:
	s_add_u32 s16, s12, -1
	v_lshl_add_u64 v[26:27], v[24:25], 0, 2
	v_lshl_add_u64 v[22:23], v[22:23], 0, 2
	s_addc_u32 s17, s13, -1
	s_mov_b64 s[18:19], 0
	s_mov_b64 s[26:27], 0
                                        ; implicit-def: $sgpr24_sgpr25
	s_branch .LBB1176_329
.LBB1176_327:                           ;   in Loop: Header=BB1176_329 Depth=1
	global_load_ushort v1, v[26:27], off
	global_load_ushort v28, v[22:23], off
	s_add_u32 s26, s26, 1
	s_addc_u32 s27, s27, 0
	s_andn2_b64 s[24:25], s[24:25], exec
	v_lshl_add_u64 v[26:27], v[26:27], 0, 2
	v_lshl_add_u64 v[22:23], v[22:23], 0, 2
	s_waitcnt vmcnt(1)
	v_lshlrev_b32_e32 v1, 16, v1
	s_waitcnt vmcnt(0)
	v_lshlrev_b32_e32 v28, 16, v28
	v_cmp_neq_f32_e32 vcc, v28, v1
	s_and_b64 s[28:29], vcc, exec
	s_or_b64 s[24:25], s[24:25], s[28:29]
.LBB1176_328:                           ;   in Loop: Header=BB1176_329 Depth=1
	s_and_b64 s[28:29], exec, s[24:25]
	s_or_b64 s[18:19], s[28:29], s[18:19]
	v_mov_b64_e32 v[28:29], s[26:27]
	s_andn2_b64 exec, exec, s[18:19]
	s_cbranch_execz .LBB1176_331
.LBB1176_329:                           ; =>This Inner Loop Header: Depth=1
	s_or_b64 s[24:25], s[24:25], exec
	s_cmp_eq_u64 s[16:17], s[26:27]
	s_cbranch_scc0 .LBB1176_327
; %bb.330:                              ;   in Loop: Header=BB1176_329 Depth=1
                                        ; implicit-def: $vgpr26_vgpr27
                                        ; implicit-def: $vgpr22_vgpr23
	s_mov_b64 s[26:27], s[12:13]
	s_branch .LBB1176_328
.LBB1176_331:
	s_or_b64 exec, exec, s[18:19]
	v_cmp_gt_i64_e32 vcc, s[12:13], v[28:29]
	s_mov_b32 s16, 0
	v_mov_b32_e32 v55, s16
	v_cndmask_b32_e64 v54, 0, 1, vcc
.LBB1176_332:
	s_or_b64 exec, exec, s[4:5]
.LBB1176_333:
	v_mul_lo_u32 v1, v5, s12
	v_mul_lo_u32 v26, v4, s13
	v_mad_u64_u32 v[22:23], s[4:5], v4, s12, 0
	v_add3_u32 v23, v23, v26, v1
	s_and_b64 vcc, exec, s[2:3]
	v_lshl_add_u64 v[22:23], v[22:23], 1, s[14:15]
	s_cbranch_vccnz .LBB1176_342
; %bb.334:
	global_load_ushort v1, v[22:23], off
	global_load_ushort v26, v[24:25], off
	v_mov_b64_e32 v[56:57], 1
	s_waitcnt vmcnt(1)
	v_lshlrev_b32_e32 v1, 16, v1
	s_waitcnt vmcnt(0)
	v_lshlrev_b32_e32 v26, 16, v26
	v_cmp_eq_f32_e32 vcc, v26, v1
	s_and_saveexec_b64 s[4:5], vcc
	s_cbranch_execz .LBB1176_341
; %bb.335:
	s_add_u32 s16, s12, -1
	v_lshl_add_u64 v[26:27], v[22:23], 0, 2
	v_lshl_add_u64 v[24:25], v[24:25], 0, 2
	s_addc_u32 s17, s13, -1
	s_mov_b64 s[18:19], 0
	s_mov_b64 s[26:27], 0
                                        ; implicit-def: $sgpr24_sgpr25
	s_branch .LBB1176_338
.LBB1176_336:                           ;   in Loop: Header=BB1176_338 Depth=1
	global_load_ushort v1, v[26:27], off
	global_load_ushort v28, v[24:25], off
	s_add_u32 s26, s26, 1
	s_addc_u32 s27, s27, 0
	s_andn2_b64 s[24:25], s[24:25], exec
	v_lshl_add_u64 v[26:27], v[26:27], 0, 2
	v_lshl_add_u64 v[24:25], v[24:25], 0, 2
	s_waitcnt vmcnt(1)
	v_lshlrev_b32_e32 v1, 16, v1
	s_waitcnt vmcnt(0)
	v_lshlrev_b32_e32 v28, 16, v28
	v_cmp_neq_f32_e32 vcc, v28, v1
	s_and_b64 s[28:29], vcc, exec
	s_or_b64 s[24:25], s[24:25], s[28:29]
.LBB1176_337:                           ;   in Loop: Header=BB1176_338 Depth=1
	s_and_b64 s[28:29], exec, s[24:25]
	s_or_b64 s[18:19], s[28:29], s[18:19]
	v_mov_b64_e32 v[28:29], s[26:27]
	s_andn2_b64 exec, exec, s[18:19]
	s_cbranch_execz .LBB1176_340
.LBB1176_338:                           ; =>This Inner Loop Header: Depth=1
	s_or_b64 s[24:25], s[24:25], exec
	s_cmp_eq_u64 s[16:17], s[26:27]
	s_cbranch_scc0 .LBB1176_336
; %bb.339:                              ;   in Loop: Header=BB1176_338 Depth=1
                                        ; implicit-def: $vgpr26_vgpr27
                                        ; implicit-def: $vgpr24_vgpr25
	s_mov_b64 s[26:27], s[12:13]
	s_branch .LBB1176_337
.LBB1176_340:
	s_or_b64 exec, exec, s[18:19]
	v_cmp_gt_i64_e32 vcc, s[12:13], v[28:29]
	s_mov_b32 s16, 0
	v_mov_b32_e32 v57, s16
	v_cndmask_b32_e64 v56, 0, 1, vcc
.LBB1176_341:
	s_or_b64 exec, exec, s[4:5]
.LBB1176_342:
	s_and_b64 vcc, exec, s[2:3]
	s_cbranch_vccnz .LBB1176_349
; %bb.343:
	v_mul_lo_u32 v1, v3, s12
	v_mul_lo_u32 v26, v2, s13
	v_mad_u64_u32 v[24:25], s[4:5], v2, s12, 0
	v_add3_u32 v25, v25, v26, v1
	v_lshl_add_u64 v[24:25], v[24:25], 1, s[14:15]
	global_load_ushort v1, v[24:25], off
	global_load_ushort v26, v[22:23], off
	v_mov_b64_e32 v[58:59], 1
	s_waitcnt vmcnt(1)
	v_lshlrev_b32_e32 v1, 16, v1
	s_waitcnt vmcnt(0)
	v_lshlrev_b32_e32 v26, 16, v26
	v_cmp_eq_f32_e32 vcc, v26, v1
	s_and_saveexec_b64 s[4:5], vcc
	s_cbranch_execz .LBB1176_351
; %bb.344:
	s_add_u32 s16, s12, -1
	v_lshl_add_u64 v[24:25], v[24:25], 0, 2
	v_lshl_add_u64 v[22:23], v[22:23], 0, 2
	s_addc_u32 s17, s13, -1
	s_mov_b64 s[18:19], 0
	s_mov_b64 s[26:27], 0
                                        ; implicit-def: $sgpr24_sgpr25
	s_branch .LBB1176_347
.LBB1176_345:                           ;   in Loop: Header=BB1176_347 Depth=1
	global_load_ushort v1, v[24:25], off
	global_load_ushort v26, v[22:23], off
	s_add_u32 s26, s26, 1
	s_addc_u32 s27, s27, 0
	s_andn2_b64 s[24:25], s[24:25], exec
	v_lshl_add_u64 v[24:25], v[24:25], 0, 2
	v_lshl_add_u64 v[22:23], v[22:23], 0, 2
	s_waitcnt vmcnt(1)
	v_lshlrev_b32_e32 v1, 16, v1
	s_waitcnt vmcnt(0)
	v_lshlrev_b32_e32 v26, 16, v26
	v_cmp_neq_f32_e32 vcc, v26, v1
	s_and_b64 s[28:29], vcc, exec
	s_or_b64 s[24:25], s[24:25], s[28:29]
.LBB1176_346:                           ;   in Loop: Header=BB1176_347 Depth=1
	s_and_b64 s[28:29], exec, s[24:25]
	s_or_b64 s[18:19], s[28:29], s[18:19]
	v_mov_b64_e32 v[26:27], s[26:27]
	s_andn2_b64 exec, exec, s[18:19]
	s_cbranch_execz .LBB1176_350
.LBB1176_347:                           ; =>This Inner Loop Header: Depth=1
	s_or_b64 s[24:25], s[24:25], exec
	s_cmp_eq_u64 s[16:17], s[26:27]
	s_cbranch_scc0 .LBB1176_345
; %bb.348:                              ;   in Loop: Header=BB1176_347 Depth=1
                                        ; implicit-def: $vgpr24_vgpr25
                                        ; implicit-def: $vgpr22_vgpr23
	s_mov_b64 s[26:27], s[12:13]
	s_branch .LBB1176_346
.LBB1176_349:
	v_mov_b64_e32 v[58:59], 0
	s_branch .LBB1176_352
.LBB1176_350:
	s_or_b64 exec, exec, s[18:19]
	v_cmp_gt_i64_e32 vcc, s[12:13], v[26:27]
	s_mov_b32 s16, 0
	v_mov_b32_e32 v59, s16
	v_cndmask_b32_e64 v58, 0, 1, vcc
.LBB1176_351:
	s_or_b64 exec, exec, s[4:5]
.LBB1176_352:
	v_cmp_ne_u32_e32 vcc, 0, v0
	s_waitcnt lgkmcnt(0)
	s_barrier
	s_waitcnt lgkmcnt(0)
                                        ; implicit-def: $sgpr18_sgpr19
	s_and_saveexec_b64 s[4:5], vcc
	s_cbranch_execz .LBB1176_364
; %bb.353:
	s_and_b64 vcc, exec, s[2:3]
	s_cbranch_vccnz .LBB1176_360
; %bb.354:
	v_add_u32_e32 v22, -8, v40
	ds_read_b64 v[22:23], v22
	v_mul_lo_u32 v1, v3, s12
	v_mul_lo_u32 v26, v2, s13
	v_mad_u64_u32 v[24:25], s[2:3], v2, s12, 0
	v_add3_u32 v25, v25, v26, v1
	s_waitcnt lgkmcnt(0)
	v_mul_lo_u32 v1, v23, s12
	v_mul_lo_u32 v26, v22, s13
	v_mad_u64_u32 v[22:23], s[2:3], v22, s12, 0
	v_add3_u32 v23, v23, v26, v1
	v_lshl_add_u64 v[24:25], v[24:25], 1, s[14:15]
	v_lshl_add_u64 v[22:23], v[22:23], 1, s[14:15]
	global_load_ushort v1, v[24:25], off
	global_load_ushort v26, v[22:23], off
	s_mov_b64 s[16:17], -1
	s_waitcnt vmcnt(1)
	v_lshlrev_b32_e32 v1, 16, v1
	s_waitcnt vmcnt(0)
	v_lshlrev_b32_e32 v26, 16, v26
	v_cmp_eq_f32_e32 vcc, v1, v26
	s_and_saveexec_b64 s[2:3], vcc
	s_cbranch_execz .LBB1176_362
; %bb.355:
	s_add_u32 s16, s12, -1
	v_lshl_add_u64 v[22:23], v[22:23], 0, 2
	v_lshl_add_u64 v[24:25], v[24:25], 0, 2
	s_addc_u32 s17, s13, -1
	s_mov_b64 s[18:19], 0
	s_mov_b64 s[26:27], 0
                                        ; implicit-def: $sgpr24_sgpr25
	s_branch .LBB1176_358
.LBB1176_356:                           ;   in Loop: Header=BB1176_358 Depth=1
	global_load_ushort v1, v[22:23], off
	global_load_ushort v26, v[24:25], off
	s_add_u32 s26, s26, 1
	s_addc_u32 s27, s27, 0
	s_andn2_b64 s[24:25], s[24:25], exec
	v_lshl_add_u64 v[22:23], v[22:23], 0, 2
	v_lshl_add_u64 v[24:25], v[24:25], 0, 2
	s_waitcnt vmcnt(1)
	v_lshlrev_b32_e32 v1, 16, v1
	s_waitcnt vmcnt(0)
	v_lshlrev_b32_e32 v26, 16, v26
	v_cmp_neq_f32_e32 vcc, v26, v1
	s_and_b64 s[28:29], vcc, exec
	s_or_b64 s[24:25], s[24:25], s[28:29]
.LBB1176_357:                           ;   in Loop: Header=BB1176_358 Depth=1
	s_and_b64 s[28:29], exec, s[24:25]
	s_or_b64 s[18:19], s[28:29], s[18:19]
	v_mov_b64_e32 v[26:27], s[26:27]
	s_andn2_b64 exec, exec, s[18:19]
	s_cbranch_execz .LBB1176_361
.LBB1176_358:                           ; =>This Inner Loop Header: Depth=1
	s_or_b64 s[24:25], s[24:25], exec
	s_cmp_eq_u64 s[16:17], s[26:27]
	s_cbranch_scc0 .LBB1176_356
; %bb.359:                              ;   in Loop: Header=BB1176_358 Depth=1
                                        ; implicit-def: $vgpr22_vgpr23
                                        ; implicit-def: $vgpr24_vgpr25
	s_mov_b64 s[26:27], s[12:13]
	s_branch .LBB1176_357
.LBB1176_360:
	s_mov_b64 s[16:17], 0
	s_branch .LBB1176_363
.LBB1176_361:
	s_or_b64 exec, exec, s[18:19]
	v_cmp_gt_i64_e32 vcc, s[12:13], v[26:27]
	s_orn2_b64 s[16:17], vcc, exec
.LBB1176_362:
	s_or_b64 exec, exec, s[2:3]
.LBB1176_363:
	s_and_b64 s[18:19], s[16:17], exec
	s_or_b64 s[22:23], s[22:23], exec
.LBB1176_364:
	s_or_b64 exec, exec, s[4:5]
	v_mov_b64_e32 v[60:61], v[44:45]
	v_mov_b64_e32 v[22:23], v[38:39]
	;; [unrolled: 1-line block ×9, first 2 shown]
	s_branch .LBB1176_488
.LBB1176_365:
	s_waitcnt lgkmcnt(0)
	v_mad_u32_u24 v22, v0, 11, 10
	v_cmp_gt_i64_e64 s[2:3], s[12:13], 0
	v_cmp_gt_u32_e32 vcc, s10, v22
	v_mul_u32_u24_e32 v1, 11, v0
	v_cndmask_b32_e64 v22, 0, 1, s[2:3]
	v_cmp_ne_u32_e64 s[2:3], 1, v22
	ds_write_b64 v40, v[36:37]
	s_and_saveexec_b64 s[4:5], vcc
	s_cbranch_execz .LBB1176_376
; %bb.366:
	s_and_b64 vcc, exec, s[2:3]
	s_cbranch_vccnz .LBB1176_373
; %bb.367:
	v_mul_lo_u32 v24, v37, s12
	v_mul_lo_u32 v25, v36, s13
	v_mad_u64_u32 v[22:23], s[16:17], v36, s12, 0
	v_add3_u32 v23, v23, v25, v24
	v_mul_lo_u32 v24, v21, s12
	v_mul_lo_u32 v25, v20, s13
	v_mad_u64_u32 v[26:27], s[16:17], v20, s12, 0
	v_add3_u32 v27, v27, v25, v24
	v_lshl_add_u64 v[24:25], v[22:23], 1, s[14:15]
	v_lshl_add_u64 v[22:23], v[26:27], 1, s[14:15]
	global_load_ushort v26, v[22:23], off
	global_load_ushort v27, v[24:25], off
	v_mov_b64_e32 v[36:37], 1
	s_waitcnt vmcnt(1)
	v_lshlrev_b32_e32 v26, 16, v26
	s_waitcnt vmcnt(0)
	v_lshlrev_b32_e32 v27, 16, v27
	v_cmp_eq_f32_e32 vcc, v27, v26
	s_and_saveexec_b64 s[16:17], vcc
	s_cbranch_execz .LBB1176_375
; %bb.368:
	s_add_u32 s18, s12, -1
	v_lshl_add_u64 v[22:23], v[22:23], 0, 2
	v_lshl_add_u64 v[24:25], v[24:25], 0, 2
	s_addc_u32 s19, s13, -1
	s_mov_b64 s[24:25], 0
	s_mov_b64 s[28:29], 0
                                        ; implicit-def: $sgpr26_sgpr27
	s_branch .LBB1176_371
.LBB1176_369:                           ;   in Loop: Header=BB1176_371 Depth=1
	global_load_ushort v26, v[22:23], off
	global_load_ushort v27, v[24:25], off
	s_add_u32 s28, s28, 1
	s_addc_u32 s29, s29, 0
	s_andn2_b64 s[26:27], s[26:27], exec
	v_lshl_add_u64 v[22:23], v[22:23], 0, 2
	v_lshl_add_u64 v[24:25], v[24:25], 0, 2
	s_waitcnt vmcnt(1)
	v_lshlrev_b32_e32 v26, 16, v26
	s_waitcnt vmcnt(0)
	v_lshlrev_b32_e32 v27, 16, v27
	v_cmp_neq_f32_e32 vcc, v27, v26
	s_and_b64 s[30:31], vcc, exec
	s_or_b64 s[26:27], s[26:27], s[30:31]
.LBB1176_370:                           ;   in Loop: Header=BB1176_371 Depth=1
	s_and_b64 s[30:31], exec, s[26:27]
	s_or_b64 s[24:25], s[30:31], s[24:25]
	v_mov_b64_e32 v[26:27], s[28:29]
	s_andn2_b64 exec, exec, s[24:25]
	s_cbranch_execz .LBB1176_374
.LBB1176_371:                           ; =>This Inner Loop Header: Depth=1
	s_or_b64 s[26:27], s[26:27], exec
	s_cmp_eq_u64 s[18:19], s[28:29]
	s_cbranch_scc0 .LBB1176_369
; %bb.372:                              ;   in Loop: Header=BB1176_371 Depth=1
                                        ; implicit-def: $vgpr22_vgpr23
                                        ; implicit-def: $vgpr24_vgpr25
	s_mov_b64 s[28:29], s[12:13]
	s_branch .LBB1176_370
.LBB1176_373:
	v_mov_b64_e32 v[36:37], 0
	s_branch .LBB1176_376
.LBB1176_374:
	s_or_b64 exec, exec, s[24:25]
	v_cmp_gt_i64_e32 vcc, s[12:13], v[26:27]
	s_mov_b32 s18, 0
	v_mov_b32_e32 v37, s18
	v_cndmask_b32_e64 v36, 0, 1, vcc
.LBB1176_375:
	s_or_b64 exec, exec, s[16:17]
.LBB1176_376:
	s_or_b64 exec, exec, s[4:5]
	v_add_u32_e32 v22, 9, v1
	v_cmp_gt_u32_e32 vcc, s10, v22
	s_and_saveexec_b64 s[4:5], vcc
	s_cbranch_execz .LBB1176_387
; %bb.377:
	s_and_b64 vcc, exec, s[2:3]
	s_cbranch_vccnz .LBB1176_384
; %bb.378:
	v_mul_lo_u32 v22, v21, s12
	v_mul_lo_u32 v23, v20, s13
	v_mad_u64_u32 v[20:21], s[16:17], v20, s12, 0
	v_add3_u32 v21, v21, v23, v22
	v_mul_lo_u32 v22, v19, s12
	v_mul_lo_u32 v23, v18, s13
	v_mad_u64_u32 v[24:25], s[16:17], v18, s12, 0
	v_add3_u32 v25, v25, v23, v22
	v_lshl_add_u64 v[24:25], v[24:25], 1, s[14:15]
	v_lshl_add_u64 v[22:23], v[20:21], 1, s[14:15]
	global_load_ushort v20, v[24:25], off
	global_load_ushort v21, v[22:23], off
	s_waitcnt vmcnt(1)
	v_lshlrev_b32_e32 v20, 16, v20
	s_waitcnt vmcnt(0)
	v_lshlrev_b32_e32 v21, 16, v21
	v_cmp_eq_f32_e32 vcc, v21, v20
	v_mov_b64_e32 v[20:21], 1
	s_and_saveexec_b64 s[16:17], vcc
	s_cbranch_execz .LBB1176_386
; %bb.379:
	s_add_u32 s18, s12, -1
	v_lshl_add_u64 v[20:21], v[24:25], 0, 2
	v_lshl_add_u64 v[22:23], v[22:23], 0, 2
	s_addc_u32 s19, s13, -1
	s_mov_b64 s[24:25], 0
	s_mov_b64 s[28:29], 0
                                        ; implicit-def: $sgpr26_sgpr27
	s_branch .LBB1176_382
.LBB1176_380:                           ;   in Loop: Header=BB1176_382 Depth=1
	global_load_ushort v24, v[20:21], off
	global_load_ushort v25, v[22:23], off
	s_add_u32 s28, s28, 1
	s_addc_u32 s29, s29, 0
	s_andn2_b64 s[26:27], s[26:27], exec
	v_lshl_add_u64 v[20:21], v[20:21], 0, 2
	v_lshl_add_u64 v[22:23], v[22:23], 0, 2
	s_waitcnt vmcnt(1)
	v_lshlrev_b32_e32 v24, 16, v24
	s_waitcnt vmcnt(0)
	v_lshlrev_b32_e32 v25, 16, v25
	v_cmp_neq_f32_e32 vcc, v25, v24
	s_and_b64 s[30:31], vcc, exec
	s_or_b64 s[26:27], s[26:27], s[30:31]
.LBB1176_381:                           ;   in Loop: Header=BB1176_382 Depth=1
	s_and_b64 s[30:31], exec, s[26:27]
	s_or_b64 s[24:25], s[30:31], s[24:25]
	v_mov_b64_e32 v[24:25], s[28:29]
	s_andn2_b64 exec, exec, s[24:25]
	s_cbranch_execz .LBB1176_385
.LBB1176_382:                           ; =>This Inner Loop Header: Depth=1
	s_or_b64 s[26:27], s[26:27], exec
	s_cmp_eq_u64 s[18:19], s[28:29]
	s_cbranch_scc0 .LBB1176_380
; %bb.383:                              ;   in Loop: Header=BB1176_382 Depth=1
                                        ; implicit-def: $vgpr20_vgpr21
                                        ; implicit-def: $vgpr22_vgpr23
	s_mov_b64 s[28:29], s[12:13]
	s_branch .LBB1176_381
.LBB1176_384:
	v_mov_b64_e32 v[20:21], 0
	s_branch .LBB1176_387
.LBB1176_385:
	s_or_b64 exec, exec, s[24:25]
	v_cmp_gt_i64_e32 vcc, s[12:13], v[24:25]
	s_mov_b32 s18, 0
	v_mov_b32_e32 v21, s18
	v_cndmask_b32_e64 v20, 0, 1, vcc
.LBB1176_386:
	s_or_b64 exec, exec, s[16:17]
.LBB1176_387:
	s_or_b64 exec, exec, s[4:5]
	v_add_u32_e32 v22, 8, v1
	v_cmp_gt_u32_e32 vcc, s10, v22
	s_and_saveexec_b64 s[4:5], vcc
	s_cbranch_execz .LBB1176_398
; %bb.388:
	s_and_b64 vcc, exec, s[2:3]
	s_cbranch_vccnz .LBB1176_395
; %bb.389:
	v_mul_lo_u32 v22, v19, s12
	v_mul_lo_u32 v23, v18, s13
	v_mad_u64_u32 v[18:19], s[16:17], v18, s12, 0
	v_add3_u32 v19, v19, v23, v22
	v_mul_lo_u32 v22, v17, s12
	v_mul_lo_u32 v23, v16, s13
	v_mad_u64_u32 v[24:25], s[16:17], v16, s12, 0
	v_add3_u32 v25, v25, v23, v22
	v_lshl_add_u64 v[24:25], v[24:25], 1, s[14:15]
	v_lshl_add_u64 v[22:23], v[18:19], 1, s[14:15]
	global_load_ushort v18, v[24:25], off
	global_load_ushort v19, v[22:23], off
	s_waitcnt vmcnt(1)
	v_lshlrev_b32_e32 v18, 16, v18
	s_waitcnt vmcnt(0)
	v_lshlrev_b32_e32 v19, 16, v19
	v_cmp_eq_f32_e32 vcc, v19, v18
	v_mov_b64_e32 v[18:19], 1
	s_and_saveexec_b64 s[16:17], vcc
	s_cbranch_execz .LBB1176_397
; %bb.390:
	s_add_u32 s18, s12, -1
	v_lshl_add_u64 v[18:19], v[24:25], 0, 2
	v_lshl_add_u64 v[22:23], v[22:23], 0, 2
	s_addc_u32 s19, s13, -1
	s_mov_b64 s[24:25], 0
	s_mov_b64 s[28:29], 0
                                        ; implicit-def: $sgpr26_sgpr27
	s_branch .LBB1176_393
.LBB1176_391:                           ;   in Loop: Header=BB1176_393 Depth=1
	global_load_ushort v24, v[18:19], off
	global_load_ushort v25, v[22:23], off
	s_add_u32 s28, s28, 1
	s_addc_u32 s29, s29, 0
	s_andn2_b64 s[26:27], s[26:27], exec
	v_lshl_add_u64 v[18:19], v[18:19], 0, 2
	v_lshl_add_u64 v[22:23], v[22:23], 0, 2
	s_waitcnt vmcnt(1)
	v_lshlrev_b32_e32 v24, 16, v24
	s_waitcnt vmcnt(0)
	v_lshlrev_b32_e32 v25, 16, v25
	v_cmp_neq_f32_e32 vcc, v25, v24
	s_and_b64 s[30:31], vcc, exec
	s_or_b64 s[26:27], s[26:27], s[30:31]
.LBB1176_392:                           ;   in Loop: Header=BB1176_393 Depth=1
	s_and_b64 s[30:31], exec, s[26:27]
	s_or_b64 s[24:25], s[30:31], s[24:25]
	v_mov_b64_e32 v[24:25], s[28:29]
	s_andn2_b64 exec, exec, s[24:25]
	s_cbranch_execz .LBB1176_396
.LBB1176_393:                           ; =>This Inner Loop Header: Depth=1
	s_or_b64 s[26:27], s[26:27], exec
	s_cmp_eq_u64 s[18:19], s[28:29]
	s_cbranch_scc0 .LBB1176_391
; %bb.394:                              ;   in Loop: Header=BB1176_393 Depth=1
                                        ; implicit-def: $vgpr18_vgpr19
                                        ; implicit-def: $vgpr22_vgpr23
	s_mov_b64 s[28:29], s[12:13]
	s_branch .LBB1176_392
.LBB1176_395:
	v_mov_b64_e32 v[18:19], 0
	s_branch .LBB1176_398
.LBB1176_396:
	s_or_b64 exec, exec, s[24:25]
	v_cmp_gt_i64_e32 vcc, s[12:13], v[24:25]
	s_mov_b32 s18, 0
	v_mov_b32_e32 v19, s18
	v_cndmask_b32_e64 v18, 0, 1, vcc
.LBB1176_397:
	s_or_b64 exec, exec, s[16:17]
.LBB1176_398:
	s_or_b64 exec, exec, s[4:5]
	v_add_u32_e32 v22, 7, v1
	v_cmp_gt_u32_e32 vcc, s10, v22
	s_and_saveexec_b64 s[4:5], vcc
	s_cbranch_execz .LBB1176_409
; %bb.399:
	s_and_b64 vcc, exec, s[2:3]
	s_cbranch_vccnz .LBB1176_406
; %bb.400:
	v_mul_lo_u32 v22, v17, s12
	v_mul_lo_u32 v23, v16, s13
	v_mad_u64_u32 v[16:17], s[16:17], v16, s12, 0
	v_add3_u32 v17, v17, v23, v22
	v_mul_lo_u32 v22, v15, s12
	v_mul_lo_u32 v23, v14, s13
	v_mad_u64_u32 v[24:25], s[16:17], v14, s12, 0
	v_add3_u32 v25, v25, v23, v22
	v_lshl_add_u64 v[24:25], v[24:25], 1, s[14:15]
	v_lshl_add_u64 v[22:23], v[16:17], 1, s[14:15]
	global_load_ushort v16, v[24:25], off
	global_load_ushort v17, v[22:23], off
	s_waitcnt vmcnt(1)
	v_lshlrev_b32_e32 v16, 16, v16
	s_waitcnt vmcnt(0)
	v_lshlrev_b32_e32 v17, 16, v17
	v_cmp_eq_f32_e32 vcc, v17, v16
	v_mov_b64_e32 v[16:17], 1
	s_and_saveexec_b64 s[16:17], vcc
	s_cbranch_execz .LBB1176_408
; %bb.401:
	s_add_u32 s18, s12, -1
	v_lshl_add_u64 v[16:17], v[24:25], 0, 2
	v_lshl_add_u64 v[22:23], v[22:23], 0, 2
	s_addc_u32 s19, s13, -1
	s_mov_b64 s[24:25], 0
	s_mov_b64 s[28:29], 0
                                        ; implicit-def: $sgpr26_sgpr27
	s_branch .LBB1176_404
.LBB1176_402:                           ;   in Loop: Header=BB1176_404 Depth=1
	global_load_ushort v24, v[16:17], off
	global_load_ushort v25, v[22:23], off
	s_add_u32 s28, s28, 1
	s_addc_u32 s29, s29, 0
	s_andn2_b64 s[26:27], s[26:27], exec
	v_lshl_add_u64 v[16:17], v[16:17], 0, 2
	v_lshl_add_u64 v[22:23], v[22:23], 0, 2
	s_waitcnt vmcnt(1)
	v_lshlrev_b32_e32 v24, 16, v24
	s_waitcnt vmcnt(0)
	v_lshlrev_b32_e32 v25, 16, v25
	v_cmp_neq_f32_e32 vcc, v25, v24
	s_and_b64 s[30:31], vcc, exec
	s_or_b64 s[26:27], s[26:27], s[30:31]
.LBB1176_403:                           ;   in Loop: Header=BB1176_404 Depth=1
	s_and_b64 s[30:31], exec, s[26:27]
	s_or_b64 s[24:25], s[30:31], s[24:25]
	v_mov_b64_e32 v[24:25], s[28:29]
	s_andn2_b64 exec, exec, s[24:25]
	s_cbranch_execz .LBB1176_407
.LBB1176_404:                           ; =>This Inner Loop Header: Depth=1
	s_or_b64 s[26:27], s[26:27], exec
	s_cmp_eq_u64 s[18:19], s[28:29]
	s_cbranch_scc0 .LBB1176_402
; %bb.405:                              ;   in Loop: Header=BB1176_404 Depth=1
                                        ; implicit-def: $vgpr16_vgpr17
                                        ; implicit-def: $vgpr22_vgpr23
	s_mov_b64 s[28:29], s[12:13]
	s_branch .LBB1176_403
.LBB1176_406:
	v_mov_b64_e32 v[16:17], 0
	s_branch .LBB1176_409
.LBB1176_407:
	s_or_b64 exec, exec, s[24:25]
	v_cmp_gt_i64_e32 vcc, s[12:13], v[24:25]
	s_mov_b32 s18, 0
	v_mov_b32_e32 v17, s18
	v_cndmask_b32_e64 v16, 0, 1, vcc
.LBB1176_408:
	s_or_b64 exec, exec, s[16:17]
.LBB1176_409:
	s_or_b64 exec, exec, s[4:5]
	v_add_u32_e32 v22, 6, v1
	v_cmp_gt_u32_e32 vcc, s10, v22
	s_and_saveexec_b64 s[4:5], vcc
	s_cbranch_execz .LBB1176_420
; %bb.410:
	s_and_b64 vcc, exec, s[2:3]
	s_cbranch_vccnz .LBB1176_417
; %bb.411:
	v_mul_lo_u32 v22, v15, s12
	v_mul_lo_u32 v23, v14, s13
	v_mad_u64_u32 v[14:15], s[16:17], v14, s12, 0
	v_add3_u32 v15, v15, v23, v22
	v_mul_lo_u32 v22, v13, s12
	v_mul_lo_u32 v23, v12, s13
	v_mad_u64_u32 v[24:25], s[16:17], v12, s12, 0
	v_add3_u32 v25, v25, v23, v22
	v_lshl_add_u64 v[24:25], v[24:25], 1, s[14:15]
	v_lshl_add_u64 v[22:23], v[14:15], 1, s[14:15]
	global_load_ushort v14, v[24:25], off
	global_load_ushort v15, v[22:23], off
	s_waitcnt vmcnt(1)
	v_lshlrev_b32_e32 v14, 16, v14
	s_waitcnt vmcnt(0)
	v_lshlrev_b32_e32 v15, 16, v15
	v_cmp_eq_f32_e32 vcc, v15, v14
	v_mov_b64_e32 v[14:15], 1
	s_and_saveexec_b64 s[16:17], vcc
	s_cbranch_execz .LBB1176_419
; %bb.412:
	s_add_u32 s18, s12, -1
	v_lshl_add_u64 v[14:15], v[24:25], 0, 2
	v_lshl_add_u64 v[22:23], v[22:23], 0, 2
	s_addc_u32 s19, s13, -1
	s_mov_b64 s[24:25], 0
	s_mov_b64 s[28:29], 0
                                        ; implicit-def: $sgpr26_sgpr27
	s_branch .LBB1176_415
.LBB1176_413:                           ;   in Loop: Header=BB1176_415 Depth=1
	global_load_ushort v24, v[14:15], off
	global_load_ushort v25, v[22:23], off
	s_add_u32 s28, s28, 1
	s_addc_u32 s29, s29, 0
	s_andn2_b64 s[26:27], s[26:27], exec
	v_lshl_add_u64 v[14:15], v[14:15], 0, 2
	v_lshl_add_u64 v[22:23], v[22:23], 0, 2
	s_waitcnt vmcnt(1)
	v_lshlrev_b32_e32 v24, 16, v24
	s_waitcnt vmcnt(0)
	v_lshlrev_b32_e32 v25, 16, v25
	v_cmp_neq_f32_e32 vcc, v25, v24
	s_and_b64 s[30:31], vcc, exec
	s_or_b64 s[26:27], s[26:27], s[30:31]
.LBB1176_414:                           ;   in Loop: Header=BB1176_415 Depth=1
	s_and_b64 s[30:31], exec, s[26:27]
	s_or_b64 s[24:25], s[30:31], s[24:25]
	v_mov_b64_e32 v[24:25], s[28:29]
	s_andn2_b64 exec, exec, s[24:25]
	s_cbranch_execz .LBB1176_418
.LBB1176_415:                           ; =>This Inner Loop Header: Depth=1
	s_or_b64 s[26:27], s[26:27], exec
	s_cmp_eq_u64 s[18:19], s[28:29]
	s_cbranch_scc0 .LBB1176_413
; %bb.416:                              ;   in Loop: Header=BB1176_415 Depth=1
                                        ; implicit-def: $vgpr14_vgpr15
                                        ; implicit-def: $vgpr22_vgpr23
	s_mov_b64 s[28:29], s[12:13]
	s_branch .LBB1176_414
.LBB1176_417:
	v_mov_b64_e32 v[14:15], 0
	s_branch .LBB1176_420
.LBB1176_418:
	s_or_b64 exec, exec, s[24:25]
	v_cmp_gt_i64_e32 vcc, s[12:13], v[24:25]
	s_mov_b32 s18, 0
	v_mov_b32_e32 v15, s18
	v_cndmask_b32_e64 v14, 0, 1, vcc
.LBB1176_419:
	s_or_b64 exec, exec, s[16:17]
.LBB1176_420:
	s_or_b64 exec, exec, s[4:5]
	v_add_u32_e32 v22, 5, v1
	v_cmp_gt_u32_e32 vcc, s10, v22
	s_and_saveexec_b64 s[4:5], vcc
	s_cbranch_execz .LBB1176_431
; %bb.421:
	s_and_b64 vcc, exec, s[2:3]
	s_cbranch_vccnz .LBB1176_428
; %bb.422:
	v_mul_lo_u32 v22, v13, s12
	v_mul_lo_u32 v23, v12, s13
	v_mad_u64_u32 v[12:13], s[16:17], v12, s12, 0
	v_add3_u32 v13, v13, v23, v22
	v_mul_lo_u32 v22, v11, s12
	v_mul_lo_u32 v23, v10, s13
	v_mad_u64_u32 v[24:25], s[16:17], v10, s12, 0
	v_add3_u32 v25, v25, v23, v22
	v_lshl_add_u64 v[24:25], v[24:25], 1, s[14:15]
	v_lshl_add_u64 v[22:23], v[12:13], 1, s[14:15]
	global_load_ushort v12, v[24:25], off
	global_load_ushort v13, v[22:23], off
	s_waitcnt vmcnt(1)
	v_lshlrev_b32_e32 v12, 16, v12
	s_waitcnt vmcnt(0)
	v_lshlrev_b32_e32 v13, 16, v13
	v_cmp_eq_f32_e32 vcc, v13, v12
	v_mov_b64_e32 v[12:13], 1
	s_and_saveexec_b64 s[16:17], vcc
	s_cbranch_execz .LBB1176_430
; %bb.423:
	s_add_u32 s18, s12, -1
	v_lshl_add_u64 v[12:13], v[24:25], 0, 2
	v_lshl_add_u64 v[22:23], v[22:23], 0, 2
	s_addc_u32 s19, s13, -1
	s_mov_b64 s[24:25], 0
	s_mov_b64 s[28:29], 0
                                        ; implicit-def: $sgpr26_sgpr27
	s_branch .LBB1176_426
.LBB1176_424:                           ;   in Loop: Header=BB1176_426 Depth=1
	global_load_ushort v24, v[12:13], off
	global_load_ushort v25, v[22:23], off
	s_add_u32 s28, s28, 1
	s_addc_u32 s29, s29, 0
	s_andn2_b64 s[26:27], s[26:27], exec
	v_lshl_add_u64 v[12:13], v[12:13], 0, 2
	v_lshl_add_u64 v[22:23], v[22:23], 0, 2
	s_waitcnt vmcnt(1)
	v_lshlrev_b32_e32 v24, 16, v24
	s_waitcnt vmcnt(0)
	v_lshlrev_b32_e32 v25, 16, v25
	v_cmp_neq_f32_e32 vcc, v25, v24
	s_and_b64 s[30:31], vcc, exec
	s_or_b64 s[26:27], s[26:27], s[30:31]
.LBB1176_425:                           ;   in Loop: Header=BB1176_426 Depth=1
	s_and_b64 s[30:31], exec, s[26:27]
	s_or_b64 s[24:25], s[30:31], s[24:25]
	v_mov_b64_e32 v[24:25], s[28:29]
	s_andn2_b64 exec, exec, s[24:25]
	s_cbranch_execz .LBB1176_429
.LBB1176_426:                           ; =>This Inner Loop Header: Depth=1
	s_or_b64 s[26:27], s[26:27], exec
	s_cmp_eq_u64 s[18:19], s[28:29]
	s_cbranch_scc0 .LBB1176_424
; %bb.427:                              ;   in Loop: Header=BB1176_426 Depth=1
                                        ; implicit-def: $vgpr12_vgpr13
                                        ; implicit-def: $vgpr22_vgpr23
	s_mov_b64 s[28:29], s[12:13]
	s_branch .LBB1176_425
.LBB1176_428:
	v_mov_b64_e32 v[12:13], 0
	s_branch .LBB1176_431
.LBB1176_429:
	s_or_b64 exec, exec, s[24:25]
	v_cmp_gt_i64_e32 vcc, s[12:13], v[24:25]
	s_mov_b32 s18, 0
	v_mov_b32_e32 v13, s18
	v_cndmask_b32_e64 v12, 0, 1, vcc
.LBB1176_430:
	s_or_b64 exec, exec, s[16:17]
.LBB1176_431:
	s_or_b64 exec, exec, s[4:5]
	v_add_u32_e32 v22, 4, v1
	v_cmp_gt_u32_e32 vcc, s10, v22
	s_and_saveexec_b64 s[4:5], vcc
	s_cbranch_execz .LBB1176_442
; %bb.432:
	s_and_b64 vcc, exec, s[2:3]
	s_cbranch_vccnz .LBB1176_439
; %bb.433:
	v_mul_lo_u32 v22, v11, s12
	v_mul_lo_u32 v23, v10, s13
	v_mad_u64_u32 v[10:11], s[16:17], v10, s12, 0
	v_add3_u32 v11, v11, v23, v22
	v_mul_lo_u32 v22, v9, s12
	v_mul_lo_u32 v23, v8, s13
	v_mad_u64_u32 v[24:25], s[16:17], v8, s12, 0
	v_add3_u32 v25, v25, v23, v22
	v_lshl_add_u64 v[24:25], v[24:25], 1, s[14:15]
	v_lshl_add_u64 v[22:23], v[10:11], 1, s[14:15]
	global_load_ushort v10, v[24:25], off
	global_load_ushort v11, v[22:23], off
	s_waitcnt vmcnt(1)
	v_lshlrev_b32_e32 v10, 16, v10
	s_waitcnt vmcnt(0)
	v_lshlrev_b32_e32 v11, 16, v11
	v_cmp_eq_f32_e32 vcc, v11, v10
	v_mov_b64_e32 v[10:11], 1
	s_and_saveexec_b64 s[16:17], vcc
	s_cbranch_execz .LBB1176_441
; %bb.434:
	s_add_u32 s18, s12, -1
	v_lshl_add_u64 v[10:11], v[24:25], 0, 2
	v_lshl_add_u64 v[22:23], v[22:23], 0, 2
	s_addc_u32 s19, s13, -1
	s_mov_b64 s[24:25], 0
	s_mov_b64 s[28:29], 0
                                        ; implicit-def: $sgpr26_sgpr27
	s_branch .LBB1176_437
.LBB1176_435:                           ;   in Loop: Header=BB1176_437 Depth=1
	global_load_ushort v24, v[10:11], off
	global_load_ushort v25, v[22:23], off
	s_add_u32 s28, s28, 1
	s_addc_u32 s29, s29, 0
	s_andn2_b64 s[26:27], s[26:27], exec
	v_lshl_add_u64 v[10:11], v[10:11], 0, 2
	v_lshl_add_u64 v[22:23], v[22:23], 0, 2
	s_waitcnt vmcnt(1)
	v_lshlrev_b32_e32 v24, 16, v24
	s_waitcnt vmcnt(0)
	v_lshlrev_b32_e32 v25, 16, v25
	v_cmp_neq_f32_e32 vcc, v25, v24
	s_and_b64 s[30:31], vcc, exec
	s_or_b64 s[26:27], s[26:27], s[30:31]
.LBB1176_436:                           ;   in Loop: Header=BB1176_437 Depth=1
	s_and_b64 s[30:31], exec, s[26:27]
	s_or_b64 s[24:25], s[30:31], s[24:25]
	v_mov_b64_e32 v[24:25], s[28:29]
	s_andn2_b64 exec, exec, s[24:25]
	s_cbranch_execz .LBB1176_440
.LBB1176_437:                           ; =>This Inner Loop Header: Depth=1
	s_or_b64 s[26:27], s[26:27], exec
	s_cmp_eq_u64 s[18:19], s[28:29]
	s_cbranch_scc0 .LBB1176_435
; %bb.438:                              ;   in Loop: Header=BB1176_437 Depth=1
                                        ; implicit-def: $vgpr10_vgpr11
                                        ; implicit-def: $vgpr22_vgpr23
	s_mov_b64 s[28:29], s[12:13]
	s_branch .LBB1176_436
.LBB1176_439:
	v_mov_b64_e32 v[10:11], 0
	s_branch .LBB1176_442
.LBB1176_440:
	s_or_b64 exec, exec, s[24:25]
	v_cmp_gt_i64_e32 vcc, s[12:13], v[24:25]
	s_mov_b32 s18, 0
	v_mov_b32_e32 v11, s18
	v_cndmask_b32_e64 v10, 0, 1, vcc
.LBB1176_441:
	s_or_b64 exec, exec, s[16:17]
.LBB1176_442:
	s_or_b64 exec, exec, s[4:5]
	v_add_u32_e32 v22, 3, v1
	v_cmp_gt_u32_e32 vcc, s10, v22
	s_and_saveexec_b64 s[4:5], vcc
	s_cbranch_execz .LBB1176_453
; %bb.443:
	s_and_b64 vcc, exec, s[2:3]
	s_cbranch_vccnz .LBB1176_450
; %bb.444:
	v_mul_lo_u32 v22, v9, s12
	v_mul_lo_u32 v23, v8, s13
	v_mad_u64_u32 v[8:9], s[16:17], v8, s12, 0
	v_add3_u32 v9, v9, v23, v22
	v_mul_lo_u32 v22, v7, s12
	v_mul_lo_u32 v23, v6, s13
	v_mad_u64_u32 v[24:25], s[16:17], v6, s12, 0
	v_add3_u32 v25, v25, v23, v22
	v_lshl_add_u64 v[24:25], v[24:25], 1, s[14:15]
	v_lshl_add_u64 v[22:23], v[8:9], 1, s[14:15]
	global_load_ushort v8, v[24:25], off
	global_load_ushort v9, v[22:23], off
	s_waitcnt vmcnt(1)
	v_lshlrev_b32_e32 v8, 16, v8
	s_waitcnt vmcnt(0)
	v_lshlrev_b32_e32 v9, 16, v9
	v_cmp_eq_f32_e32 vcc, v9, v8
	v_mov_b64_e32 v[8:9], 1
	s_and_saveexec_b64 s[16:17], vcc
	s_cbranch_execz .LBB1176_452
; %bb.445:
	s_add_u32 s18, s12, -1
	v_lshl_add_u64 v[8:9], v[24:25], 0, 2
	v_lshl_add_u64 v[22:23], v[22:23], 0, 2
	s_addc_u32 s19, s13, -1
	s_mov_b64 s[24:25], 0
	s_mov_b64 s[28:29], 0
                                        ; implicit-def: $sgpr26_sgpr27
	s_branch .LBB1176_448
.LBB1176_446:                           ;   in Loop: Header=BB1176_448 Depth=1
	global_load_ushort v24, v[8:9], off
	global_load_ushort v25, v[22:23], off
	s_add_u32 s28, s28, 1
	s_addc_u32 s29, s29, 0
	s_andn2_b64 s[26:27], s[26:27], exec
	v_lshl_add_u64 v[8:9], v[8:9], 0, 2
	v_lshl_add_u64 v[22:23], v[22:23], 0, 2
	s_waitcnt vmcnt(1)
	v_lshlrev_b32_e32 v24, 16, v24
	s_waitcnt vmcnt(0)
	v_lshlrev_b32_e32 v25, 16, v25
	v_cmp_neq_f32_e32 vcc, v25, v24
	s_and_b64 s[30:31], vcc, exec
	s_or_b64 s[26:27], s[26:27], s[30:31]
.LBB1176_447:                           ;   in Loop: Header=BB1176_448 Depth=1
	s_and_b64 s[30:31], exec, s[26:27]
	s_or_b64 s[24:25], s[30:31], s[24:25]
	v_mov_b64_e32 v[24:25], s[28:29]
	s_andn2_b64 exec, exec, s[24:25]
	s_cbranch_execz .LBB1176_451
.LBB1176_448:                           ; =>This Inner Loop Header: Depth=1
	s_or_b64 s[26:27], s[26:27], exec
	s_cmp_eq_u64 s[18:19], s[28:29]
	s_cbranch_scc0 .LBB1176_446
; %bb.449:                              ;   in Loop: Header=BB1176_448 Depth=1
                                        ; implicit-def: $vgpr8_vgpr9
                                        ; implicit-def: $vgpr22_vgpr23
	s_mov_b64 s[28:29], s[12:13]
	s_branch .LBB1176_447
.LBB1176_450:
	v_mov_b64_e32 v[8:9], 0
	s_branch .LBB1176_453
.LBB1176_451:
	s_or_b64 exec, exec, s[24:25]
	v_cmp_gt_i64_e32 vcc, s[12:13], v[24:25]
	s_mov_b32 s18, 0
	v_mov_b32_e32 v9, s18
	v_cndmask_b32_e64 v8, 0, 1, vcc
.LBB1176_452:
	s_or_b64 exec, exec, s[16:17]
.LBB1176_453:
	s_or_b64 exec, exec, s[4:5]
	v_add_u32_e32 v22, 2, v1
	v_cmp_gt_u32_e32 vcc, s10, v22
	s_and_saveexec_b64 s[4:5], vcc
	s_cbranch_execz .LBB1176_464
; %bb.454:
	s_and_b64 vcc, exec, s[2:3]
	s_cbranch_vccnz .LBB1176_461
; %bb.455:
	v_mul_lo_u32 v22, v7, s12
	v_mul_lo_u32 v23, v6, s13
	v_mad_u64_u32 v[6:7], s[16:17], v6, s12, 0
	v_add3_u32 v7, v7, v23, v22
	v_mul_lo_u32 v22, v5, s12
	v_mul_lo_u32 v23, v4, s13
	v_mad_u64_u32 v[24:25], s[16:17], v4, s12, 0
	v_add3_u32 v25, v25, v23, v22
	v_lshl_add_u64 v[24:25], v[24:25], 1, s[14:15]
	v_lshl_add_u64 v[22:23], v[6:7], 1, s[14:15]
	global_load_ushort v6, v[24:25], off
	global_load_ushort v7, v[22:23], off
	s_waitcnt vmcnt(1)
	v_lshlrev_b32_e32 v6, 16, v6
	s_waitcnt vmcnt(0)
	v_lshlrev_b32_e32 v7, 16, v7
	v_cmp_eq_f32_e32 vcc, v7, v6
	v_mov_b64_e32 v[6:7], 1
	s_and_saveexec_b64 s[16:17], vcc
	s_cbranch_execz .LBB1176_463
; %bb.456:
	s_add_u32 s18, s12, -1
	v_lshl_add_u64 v[6:7], v[24:25], 0, 2
	v_lshl_add_u64 v[22:23], v[22:23], 0, 2
	s_addc_u32 s19, s13, -1
	s_mov_b64 s[24:25], 0
	s_mov_b64 s[28:29], 0
                                        ; implicit-def: $sgpr26_sgpr27
	s_branch .LBB1176_459
.LBB1176_457:                           ;   in Loop: Header=BB1176_459 Depth=1
	global_load_ushort v24, v[6:7], off
	global_load_ushort v25, v[22:23], off
	s_add_u32 s28, s28, 1
	s_addc_u32 s29, s29, 0
	s_andn2_b64 s[26:27], s[26:27], exec
	v_lshl_add_u64 v[6:7], v[6:7], 0, 2
	v_lshl_add_u64 v[22:23], v[22:23], 0, 2
	s_waitcnt vmcnt(1)
	v_lshlrev_b32_e32 v24, 16, v24
	s_waitcnt vmcnt(0)
	v_lshlrev_b32_e32 v25, 16, v25
	v_cmp_neq_f32_e32 vcc, v25, v24
	s_and_b64 s[30:31], vcc, exec
	s_or_b64 s[26:27], s[26:27], s[30:31]
.LBB1176_458:                           ;   in Loop: Header=BB1176_459 Depth=1
	s_and_b64 s[30:31], exec, s[26:27]
	s_or_b64 s[24:25], s[30:31], s[24:25]
	v_mov_b64_e32 v[24:25], s[28:29]
	s_andn2_b64 exec, exec, s[24:25]
	s_cbranch_execz .LBB1176_462
.LBB1176_459:                           ; =>This Inner Loop Header: Depth=1
	s_or_b64 s[26:27], s[26:27], exec
	s_cmp_eq_u64 s[18:19], s[28:29]
	s_cbranch_scc0 .LBB1176_457
; %bb.460:                              ;   in Loop: Header=BB1176_459 Depth=1
                                        ; implicit-def: $vgpr6_vgpr7
                                        ; implicit-def: $vgpr22_vgpr23
	s_mov_b64 s[28:29], s[12:13]
	s_branch .LBB1176_458
.LBB1176_461:
	v_mov_b64_e32 v[6:7], 0
	s_branch .LBB1176_464
.LBB1176_462:
	s_or_b64 exec, exec, s[24:25]
	v_cmp_gt_i64_e32 vcc, s[12:13], v[24:25]
	s_mov_b32 s18, 0
	v_mov_b32_e32 v7, s18
	v_cndmask_b32_e64 v6, 0, 1, vcc
.LBB1176_463:
	s_or_b64 exec, exec, s[16:17]
.LBB1176_464:
	s_or_b64 exec, exec, s[4:5]
	v_add_u32_e32 v22, 1, v1
	v_cmp_gt_u32_e32 vcc, s10, v22
	s_and_saveexec_b64 s[4:5], vcc
	s_cbranch_execz .LBB1176_475
; %bb.465:
	s_and_b64 vcc, exec, s[2:3]
	s_cbranch_vccnz .LBB1176_472
; %bb.466:
	v_mul_lo_u32 v22, v5, s12
	v_mul_lo_u32 v23, v4, s13
	v_mad_u64_u32 v[4:5], s[16:17], v4, s12, 0
	v_add3_u32 v5, v5, v23, v22
	v_mul_lo_u32 v22, v3, s12
	v_mul_lo_u32 v23, v2, s13
	v_mad_u64_u32 v[24:25], s[16:17], v2, s12, 0
	v_add3_u32 v25, v25, v23, v22
	v_lshl_add_u64 v[24:25], v[24:25], 1, s[14:15]
	v_lshl_add_u64 v[22:23], v[4:5], 1, s[14:15]
	global_load_ushort v4, v[24:25], off
	global_load_ushort v5, v[22:23], off
	s_waitcnt vmcnt(1)
	v_lshlrev_b32_e32 v4, 16, v4
	s_waitcnt vmcnt(0)
	v_lshlrev_b32_e32 v5, 16, v5
	v_cmp_eq_f32_e32 vcc, v5, v4
	v_mov_b64_e32 v[4:5], 1
	s_and_saveexec_b64 s[16:17], vcc
	s_cbranch_execz .LBB1176_474
; %bb.467:
	s_add_u32 s18, s12, -1
	v_lshl_add_u64 v[4:5], v[24:25], 0, 2
	v_lshl_add_u64 v[22:23], v[22:23], 0, 2
	s_addc_u32 s19, s13, -1
	s_mov_b64 s[24:25], 0
	s_mov_b64 s[28:29], 0
                                        ; implicit-def: $sgpr26_sgpr27
	s_branch .LBB1176_470
.LBB1176_468:                           ;   in Loop: Header=BB1176_470 Depth=1
	global_load_ushort v24, v[4:5], off
	global_load_ushort v25, v[22:23], off
	s_add_u32 s28, s28, 1
	s_addc_u32 s29, s29, 0
	s_andn2_b64 s[26:27], s[26:27], exec
	v_lshl_add_u64 v[4:5], v[4:5], 0, 2
	v_lshl_add_u64 v[22:23], v[22:23], 0, 2
	s_waitcnt vmcnt(1)
	v_lshlrev_b32_e32 v24, 16, v24
	s_waitcnt vmcnt(0)
	v_lshlrev_b32_e32 v25, 16, v25
	v_cmp_neq_f32_e32 vcc, v25, v24
	s_and_b64 s[30:31], vcc, exec
	s_or_b64 s[26:27], s[26:27], s[30:31]
.LBB1176_469:                           ;   in Loop: Header=BB1176_470 Depth=1
	s_and_b64 s[30:31], exec, s[26:27]
	s_or_b64 s[24:25], s[30:31], s[24:25]
	v_mov_b64_e32 v[24:25], s[28:29]
	s_andn2_b64 exec, exec, s[24:25]
	s_cbranch_execz .LBB1176_473
.LBB1176_470:                           ; =>This Inner Loop Header: Depth=1
	s_or_b64 s[26:27], s[26:27], exec
	s_cmp_eq_u64 s[18:19], s[28:29]
	s_cbranch_scc0 .LBB1176_468
; %bb.471:                              ;   in Loop: Header=BB1176_470 Depth=1
                                        ; implicit-def: $vgpr4_vgpr5
                                        ; implicit-def: $vgpr22_vgpr23
	s_mov_b64 s[28:29], s[12:13]
	s_branch .LBB1176_469
.LBB1176_472:
	v_mov_b64_e32 v[4:5], 0
	s_branch .LBB1176_475
.LBB1176_473:
	s_or_b64 exec, exec, s[24:25]
	v_cmp_gt_i64_e32 vcc, s[12:13], v[24:25]
	s_mov_b32 s18, 0
	v_mov_b32_e32 v5, s18
	v_cndmask_b32_e64 v4, 0, 1, vcc
.LBB1176_474:
	s_or_b64 exec, exec, s[16:17]
.LBB1176_475:
	s_or_b64 exec, exec, s[4:5]
	v_cmp_ne_u32_e32 vcc, 0, v0
	v_cmp_gt_u32_e64 s[4:5], s10, v1
	s_and_b64 s[16:17], vcc, s[4:5]
	s_waitcnt lgkmcnt(0)
	s_barrier
	s_waitcnt lgkmcnt(0)
                                        ; implicit-def: $sgpr18_sgpr19
	s_and_saveexec_b64 s[4:5], s[16:17]
	s_cbranch_execz .LBB1176_487
; %bb.476:
	s_and_b64 vcc, exec, s[2:3]
	s_cbranch_vccnz .LBB1176_483
; %bb.477:
	v_mul_lo_u32 v1, v3, s12
	v_add_u32_e32 v3, -8, v40
	ds_read_b64 v[22:23], v3
	v_mul_lo_u32 v24, v2, s13
	v_mad_u64_u32 v[2:3], s[2:3], v2, s12, 0
	v_add3_u32 v3, v3, v24, v1
	s_waitcnt lgkmcnt(0)
	v_mul_lo_u32 v1, v23, s12
	v_mul_lo_u32 v23, v22, s13
	v_mad_u64_u32 v[24:25], s[2:3], v22, s12, 0
	v_add3_u32 v25, v25, v23, v1
	v_lshl_add_u64 v[22:23], v[2:3], 1, s[14:15]
	v_lshl_add_u64 v[2:3], v[24:25], 1, s[14:15]
	global_load_ushort v1, v[22:23], off
	global_load_ushort v24, v[2:3], off
	s_mov_b64 s[14:15], -1
	s_waitcnt vmcnt(1)
	v_lshlrev_b32_e32 v1, 16, v1
	s_waitcnt vmcnt(0)
	v_lshlrev_b32_e32 v24, 16, v24
	v_cmp_eq_f32_e32 vcc, v1, v24
	s_and_saveexec_b64 s[2:3], vcc
	s_cbranch_execz .LBB1176_485
; %bb.478:
	s_add_u32 s14, s12, -1
	v_lshl_add_u64 v[2:3], v[2:3], 0, 2
	v_lshl_add_u64 v[22:23], v[22:23], 0, 2
	s_addc_u32 s15, s13, -1
	s_mov_b64 s[16:17], 0
	s_mov_b64 s[24:25], 0
                                        ; implicit-def: $sgpr18_sgpr19
	s_branch .LBB1176_481
.LBB1176_479:                           ;   in Loop: Header=BB1176_481 Depth=1
	global_load_ushort v1, v[2:3], off
	global_load_ushort v24, v[22:23], off
	s_add_u32 s24, s24, 1
	s_addc_u32 s25, s25, 0
	s_andn2_b64 s[18:19], s[18:19], exec
	v_lshl_add_u64 v[2:3], v[2:3], 0, 2
	v_lshl_add_u64 v[22:23], v[22:23], 0, 2
	s_waitcnt vmcnt(1)
	v_lshlrev_b32_e32 v1, 16, v1
	s_waitcnt vmcnt(0)
	v_lshlrev_b32_e32 v24, 16, v24
	v_cmp_neq_f32_e32 vcc, v24, v1
	s_and_b64 s[26:27], vcc, exec
	s_or_b64 s[18:19], s[18:19], s[26:27]
.LBB1176_480:                           ;   in Loop: Header=BB1176_481 Depth=1
	s_and_b64 s[26:27], exec, s[18:19]
	s_or_b64 s[16:17], s[26:27], s[16:17]
	v_mov_b64_e32 v[24:25], s[24:25]
	s_andn2_b64 exec, exec, s[16:17]
	s_cbranch_execz .LBB1176_484
.LBB1176_481:                           ; =>This Inner Loop Header: Depth=1
	s_or_b64 s[18:19], s[18:19], exec
	s_cmp_eq_u64 s[14:15], s[24:25]
	s_cbranch_scc0 .LBB1176_479
; %bb.482:                              ;   in Loop: Header=BB1176_481 Depth=1
                                        ; implicit-def: $vgpr2_vgpr3
                                        ; implicit-def: $vgpr22_vgpr23
	s_mov_b64 s[24:25], s[12:13]
	s_branch .LBB1176_480
.LBB1176_483:
	s_mov_b64 s[14:15], 0
	s_branch .LBB1176_486
.LBB1176_484:
	s_or_b64 exec, exec, s[16:17]
	v_cmp_gt_i64_e32 vcc, s[12:13], v[24:25]
	s_orn2_b64 s[14:15], vcc, exec
.LBB1176_485:
	s_or_b64 exec, exec, s[2:3]
.LBB1176_486:
	s_and_b64 s[18:19], s[14:15], exec
	s_or_b64 s[22:23], s[22:23], exec
.LBB1176_487:
	s_or_b64 exec, exec, s[4:5]
	v_mov_b64_e32 v[42:43], v[36:37]
	v_mov_b64_e32 v[44:45], v[20:21]
	;; [unrolled: 1-line block ×19, first 2 shown]
.LBB1176_488:
	s_and_saveexec_b64 s[2:3], s[22:23]
	s_cbranch_execz .LBB1176_490
; %bb.489:
	s_mov_b32 s4, 0
	v_cndmask_b32_e64 v2, 0, 1, s[18:19]
	v_mov_b32_e32 v3, s4
	v_mov_b64_e32 v[26:27], v[46:47]
	v_mov_b64_e32 v[66:67], v[48:49]
	v_mov_b64_e32 v[30:31], v[50:51]
	v_mov_b64_e32 v[64:65], v[52:53]
	v_mov_b64_e32 v[34:35], v[54:55]
	v_mov_b64_e32 v[62:63], v[56:57]
	v_mov_b64_e32 v[68:69], v[58:59]
	s_waitcnt lgkmcnt(0)
	v_mov_b64_e32 v[22:23], v[38:39]
	v_mov_b64_e32 v[60:61], v[44:45]
.LBB1176_490:
	s_or_b64 exec, exec, s[2:3]
	s_add_u32 s4, s8, s6
	s_addc_u32 s5, s9, s7
	s_and_b64 vcc, exec, s[0:1]
	s_waitcnt lgkmcnt(0)
	s_barrier
	s_cbranch_vccz .LBB1176_512
; %bb.491:
	s_movk_i32 s2, 0x58
	v_mul_u32_u24_e32 v1, 0x58, v0
	v_mov_b32_e32 v4, v68
	v_mov_b32_e32 v5, v69
	v_mul_i32_i24_e32 v24, 0xffffffb0, v0
	ds_write2_b64 v1, v[2:3], v[4:5] offset1:1
	ds_write2_b64 v1, v[62:63], v[34:35] offset0:2 offset1:3
	ds_write2_b64 v1, v[64:65], v[30:31] offset0:4 offset1:5
	;; [unrolled: 1-line block ×4, first 2 shown]
	ds_write_b64 v1, v[42:43] offset:80
	v_mad_u32_u24 v4, v0, s2, v24
	s_waitcnt lgkmcnt(0)
	s_barrier
	ds_read2st64_b64 v[36:39], v4 offset0:4 offset1:8
	ds_read2st64_b64 v[16:19], v4 offset0:12 offset1:16
	ds_read2st64_b64 v[12:15], v4 offset0:20 offset1:24
	ds_read2st64_b64 v[8:11], v4 offset0:28 offset1:32
	ds_read2st64_b64 v[4:7], v4 offset0:36 offset1:40
	s_mov_b32 s21, 0
	s_add_i32 s11, s11, s10
	s_lshl_b64 s[0:1], s[20:21], 3
	s_add_u32 s0, s4, s0
	s_addc_u32 s1, s5, s1
	v_mov_b32_e32 v41, 0
	v_lshl_add_u64 v[20:21], s[0:1], 0, v[40:41]
	v_cmp_gt_u32_e32 vcc, s11, v0
	s_and_saveexec_b64 s[0:1], vcc
	s_cbranch_execz .LBB1176_493
; %bb.492:
	v_add_u32_e32 v1, v1, v24
	ds_read_b64 v[24:25], v1
	s_waitcnt lgkmcnt(0)
	global_store_dwordx2 v[20:21], v[24:25], off
.LBB1176_493:
	s_or_b64 exec, exec, s[0:1]
	v_or_b32_e32 v1, 0x100, v0
	v_cmp_gt_u32_e32 vcc, s11, v1
	s_and_saveexec_b64 s[0:1], vcc
	s_cbranch_execz .LBB1176_495
; %bb.494:
	s_waitcnt lgkmcnt(4)
	global_store_dwordx2 v[20:21], v[36:37], off offset:2048
.LBB1176_495:
	s_or_b64 exec, exec, s[0:1]
	v_or_b32_e32 v1, 0x200, v0
	v_cmp_gt_u32_e32 vcc, s11, v1
	s_and_saveexec_b64 s[0:1], vcc
	s_cbranch_execz .LBB1176_497
; %bb.496:
	v_add_co_u32_e32 v24, vcc, 0x1000, v20
	s_nop 1
	v_addc_co_u32_e32 v25, vcc, 0, v21, vcc
	s_waitcnt lgkmcnt(4)
	global_store_dwordx2 v[24:25], v[38:39], off
.LBB1176_497:
	s_or_b64 exec, exec, s[0:1]
	v_or_b32_e32 v1, 0x300, v0
	v_cmp_gt_u32_e32 vcc, s11, v1
	s_and_saveexec_b64 s[0:1], vcc
	s_cbranch_execz .LBB1176_499
; %bb.498:
	v_add_co_u32_e32 v24, vcc, 0x1000, v20
	s_nop 1
	v_addc_co_u32_e32 v25, vcc, 0, v21, vcc
	s_waitcnt lgkmcnt(3)
	global_store_dwordx2 v[24:25], v[16:17], off offset:2048
.LBB1176_499:
	s_or_b64 exec, exec, s[0:1]
	v_or_b32_e32 v1, 0x400, v0
	v_cmp_gt_u32_e32 vcc, s11, v1
	s_and_saveexec_b64 s[0:1], vcc
	s_cbranch_execz .LBB1176_501
; %bb.500:
	s_waitcnt lgkmcnt(3)
	v_add_co_u32_e32 v16, vcc, 0x2000, v20
	s_nop 1
	v_addc_co_u32_e32 v17, vcc, 0, v21, vcc
	global_store_dwordx2 v[16:17], v[18:19], off
.LBB1176_501:
	s_or_b64 exec, exec, s[0:1]
	v_or_b32_e32 v1, 0x500, v0
	v_cmp_gt_u32_e32 vcc, s11, v1
	s_and_saveexec_b64 s[0:1], vcc
	s_cbranch_execz .LBB1176_503
; %bb.502:
	s_waitcnt lgkmcnt(3)
	v_add_co_u32_e32 v16, vcc, 0x2000, v20
	s_nop 1
	v_addc_co_u32_e32 v17, vcc, 0, v21, vcc
	s_waitcnt lgkmcnt(2)
	global_store_dwordx2 v[16:17], v[12:13], off offset:2048
.LBB1176_503:
	s_or_b64 exec, exec, s[0:1]
	v_or_b32_e32 v1, 0x600, v0
	v_cmp_gt_u32_e32 vcc, s11, v1
	s_and_saveexec_b64 s[0:1], vcc
	s_cbranch_execz .LBB1176_505
; %bb.504:
	s_waitcnt lgkmcnt(2)
	v_add_co_u32_e32 v12, vcc, 0x3000, v20
	s_nop 1
	v_addc_co_u32_e32 v13, vcc, 0, v21, vcc
	global_store_dwordx2 v[12:13], v[14:15], off
.LBB1176_505:
	s_or_b64 exec, exec, s[0:1]
	v_or_b32_e32 v1, 0x700, v0
	v_cmp_gt_u32_e32 vcc, s11, v1
	s_and_saveexec_b64 s[0:1], vcc
	s_cbranch_execz .LBB1176_507
; %bb.506:
	s_waitcnt lgkmcnt(2)
	v_add_co_u32_e32 v12, vcc, 0x3000, v20
	s_nop 1
	v_addc_co_u32_e32 v13, vcc, 0, v21, vcc
	s_waitcnt lgkmcnt(1)
	global_store_dwordx2 v[12:13], v[8:9], off offset:2048
.LBB1176_507:
	;; [unrolled: 25-line block ×3, first 2 shown]
	s_or_b64 exec, exec, s[0:1]
	v_or_b32_e32 v1, 0xa00, v0
	v_cmp_gt_u32_e64 s[0:1], s11, v1
	s_branch .LBB1176_514
.LBB1176_512:
	s_mov_b64 s[0:1], 0
                                        ; implicit-def: $vgpr6_vgpr7
                                        ; implicit-def: $vgpr20_vgpr21
	s_cbranch_execz .LBB1176_514
; %bb.513:
	s_mov_b32 s21, 0
	s_lshl_b64 s[2:3], s[20:21], 3
	v_mul_u32_u24_e32 v1, 0x58, v0
	s_add_u32 s2, s4, s2
	s_movk_i32 s4, 0x58
	ds_write2_b64 v1, v[2:3], v[68:69] offset1:1
	ds_write2_b64 v1, v[62:63], v[34:35] offset0:2 offset1:3
	ds_write2_b64 v1, v[64:65], v[30:31] offset0:4 offset1:5
	;; [unrolled: 1-line block ×4, first 2 shown]
	ds_write_b64 v1, v[42:43] offset:80
	v_mul_i32_i24_e32 v1, 0xffffffb0, v0
	s_addc_u32 s3, s5, s3
	s_waitcnt lgkmcnt(6)
	v_mad_u32_u24 v4, v0, s4, v1
	v_mov_b32_e32 v41, 0
	s_waitcnt lgkmcnt(0)
	s_barrier
	ds_read2st64_b64 v[0:3], v4 offset1:4
	ds_read2st64_b64 v[8:11], v4 offset0:8 offset1:12
	ds_read2st64_b64 v[12:15], v4 offset0:16 offset1:20
	;; [unrolled: 1-line block ×4, first 2 shown]
	ds_read_b64 v[6:7], v4 offset:20480
	v_lshl_add_u64 v[20:21], s[2:3], 0, v[40:41]
	s_waitcnt lgkmcnt(5)
	global_store_dwordx2 v40, v[0:1], s[2:3]
	global_store_dwordx2 v40, v[2:3], s[2:3] offset:2048
	s_movk_i32 s2, 0x1000
	v_add_co_u32_e32 v0, vcc, s2, v20
	s_movk_i32 s2, 0x2000
	s_nop 0
	v_addc_co_u32_e32 v1, vcc, 0, v21, vcc
	v_add_co_u32_e32 v2, vcc, s2, v20
	s_or_b64 s[0:1], s[0:1], exec
	s_nop 0
	v_addc_co_u32_e32 v3, vcc, 0, v21, vcc
	s_waitcnt lgkmcnt(4)
	global_store_dwordx2 v[2:3], v[8:9], off offset:-4096
	global_store_dwordx2 v[0:1], v[10:11], off offset:2048
	s_waitcnt lgkmcnt(3)
	global_store_dwordx2 v[2:3], v[12:13], off
	global_store_dwordx2 v[2:3], v[14:15], off offset:2048
	v_add_co_u32_e32 v0, vcc, 0x3000, v20
	s_nop 1
	v_addc_co_u32_e32 v1, vcc, 0, v21, vcc
	s_waitcnt lgkmcnt(2)
	global_store_dwordx2 v[0:1], v[16:17], off
	global_store_dwordx2 v[0:1], v[18:19], off offset:2048
	v_add_co_u32_e32 v0, vcc, 0x4000, v20
	s_nop 1
	v_addc_co_u32_e32 v1, vcc, 0, v21, vcc
	s_waitcnt lgkmcnt(1)
	global_store_dwordx2 v[0:1], v[22:23], off
	global_store_dwordx2 v[0:1], v[24:25], off offset:2048
.LBB1176_514:
	s_and_saveexec_b64 s[2:3], s[0:1]
	s_cbranch_execnz .LBB1176_516
; %bb.515:
	s_endpgm
.LBB1176_516:
	v_add_co_u32_e32 v0, vcc, 0x5000, v20
	s_nop 1
	v_addc_co_u32_e32 v1, vcc, 0, v21, vcc
	s_waitcnt lgkmcnt(0)
	global_store_dwordx2 v[0:1], v[6:7], off
	s_endpgm
	.section	.rodata,"a",@progbits
	.p2align	6, 0x0
	.amdhsa_kernel _ZN7rocprim17ROCPRIM_400000_NS6detail17trampoline_kernelINS0_14default_configENS1_35adjacent_difference_config_selectorILb1ElEEZNS1_24adjacent_difference_implIS3_Lb1ELb0EPlS7_ZN2at6native12_GLOBAL__N_124unique_dim_cuda_templateIN3c108BFloat16EEESt5tupleIJNS8_6TensorESF_SF_EERKSF_lbbbEUlllE1_EE10hipError_tPvRmT2_T3_mT4_P12ihipStream_tbEUlT_E_NS1_11comp_targetILNS1_3genE5ELNS1_11target_archE942ELNS1_3gpuE9ELNS1_3repE0EEENS1_30default_config_static_selectorELNS0_4arch9wavefront6targetE1EEEvT1_
		.amdhsa_group_segment_fixed_size 22528
		.amdhsa_private_segment_fixed_size 0
		.amdhsa_kernarg_size 64
		.amdhsa_user_sgpr_count 2
		.amdhsa_user_sgpr_dispatch_ptr 0
		.amdhsa_user_sgpr_queue_ptr 0
		.amdhsa_user_sgpr_kernarg_segment_ptr 1
		.amdhsa_user_sgpr_dispatch_id 0
		.amdhsa_user_sgpr_kernarg_preload_length 0
		.amdhsa_user_sgpr_kernarg_preload_offset 0
		.amdhsa_user_sgpr_private_segment_size 0
		.amdhsa_uses_dynamic_stack 0
		.amdhsa_enable_private_segment 0
		.amdhsa_system_sgpr_workgroup_id_x 1
		.amdhsa_system_sgpr_workgroup_id_y 0
		.amdhsa_system_sgpr_workgroup_id_z 0
		.amdhsa_system_sgpr_workgroup_info 0
		.amdhsa_system_vgpr_workitem_id 0
		.amdhsa_next_free_vgpr 70
		.amdhsa_next_free_sgpr 38
		.amdhsa_accum_offset 72
		.amdhsa_reserve_vcc 1
		.amdhsa_float_round_mode_32 0
		.amdhsa_float_round_mode_16_64 0
		.amdhsa_float_denorm_mode_32 3
		.amdhsa_float_denorm_mode_16_64 3
		.amdhsa_dx10_clamp 1
		.amdhsa_ieee_mode 1
		.amdhsa_fp16_overflow 0
		.amdhsa_tg_split 0
		.amdhsa_exception_fp_ieee_invalid_op 0
		.amdhsa_exception_fp_denorm_src 0
		.amdhsa_exception_fp_ieee_div_zero 0
		.amdhsa_exception_fp_ieee_overflow 0
		.amdhsa_exception_fp_ieee_underflow 0
		.amdhsa_exception_fp_ieee_inexact 0
		.amdhsa_exception_int_div_zero 0
	.end_amdhsa_kernel
	.section	.text._ZN7rocprim17ROCPRIM_400000_NS6detail17trampoline_kernelINS0_14default_configENS1_35adjacent_difference_config_selectorILb1ElEEZNS1_24adjacent_difference_implIS3_Lb1ELb0EPlS7_ZN2at6native12_GLOBAL__N_124unique_dim_cuda_templateIN3c108BFloat16EEESt5tupleIJNS8_6TensorESF_SF_EERKSF_lbbbEUlllE1_EE10hipError_tPvRmT2_T3_mT4_P12ihipStream_tbEUlT_E_NS1_11comp_targetILNS1_3genE5ELNS1_11target_archE942ELNS1_3gpuE9ELNS1_3repE0EEENS1_30default_config_static_selectorELNS0_4arch9wavefront6targetE1EEEvT1_,"axG",@progbits,_ZN7rocprim17ROCPRIM_400000_NS6detail17trampoline_kernelINS0_14default_configENS1_35adjacent_difference_config_selectorILb1ElEEZNS1_24adjacent_difference_implIS3_Lb1ELb0EPlS7_ZN2at6native12_GLOBAL__N_124unique_dim_cuda_templateIN3c108BFloat16EEESt5tupleIJNS8_6TensorESF_SF_EERKSF_lbbbEUlllE1_EE10hipError_tPvRmT2_T3_mT4_P12ihipStream_tbEUlT_E_NS1_11comp_targetILNS1_3genE5ELNS1_11target_archE942ELNS1_3gpuE9ELNS1_3repE0EEENS1_30default_config_static_selectorELNS0_4arch9wavefront6targetE1EEEvT1_,comdat
.Lfunc_end1176:
	.size	_ZN7rocprim17ROCPRIM_400000_NS6detail17trampoline_kernelINS0_14default_configENS1_35adjacent_difference_config_selectorILb1ElEEZNS1_24adjacent_difference_implIS3_Lb1ELb0EPlS7_ZN2at6native12_GLOBAL__N_124unique_dim_cuda_templateIN3c108BFloat16EEESt5tupleIJNS8_6TensorESF_SF_EERKSF_lbbbEUlllE1_EE10hipError_tPvRmT2_T3_mT4_P12ihipStream_tbEUlT_E_NS1_11comp_targetILNS1_3genE5ELNS1_11target_archE942ELNS1_3gpuE9ELNS1_3repE0EEENS1_30default_config_static_selectorELNS0_4arch9wavefront6targetE1EEEvT1_, .Lfunc_end1176-_ZN7rocprim17ROCPRIM_400000_NS6detail17trampoline_kernelINS0_14default_configENS1_35adjacent_difference_config_selectorILb1ElEEZNS1_24adjacent_difference_implIS3_Lb1ELb0EPlS7_ZN2at6native12_GLOBAL__N_124unique_dim_cuda_templateIN3c108BFloat16EEESt5tupleIJNS8_6TensorESF_SF_EERKSF_lbbbEUlllE1_EE10hipError_tPvRmT2_T3_mT4_P12ihipStream_tbEUlT_E_NS1_11comp_targetILNS1_3genE5ELNS1_11target_archE942ELNS1_3gpuE9ELNS1_3repE0EEENS1_30default_config_static_selectorELNS0_4arch9wavefront6targetE1EEEvT1_
                                        ; -- End function
	.section	.AMDGPU.csdata,"",@progbits
; Kernel info:
; codeLenInByte = 16836
; NumSgprs: 44
; NumVgprs: 70
; NumAgprs: 0
; TotalNumVgprs: 70
; ScratchSize: 0
; MemoryBound: 0
; FloatMode: 240
; IeeeMode: 1
; LDSByteSize: 22528 bytes/workgroup (compile time only)
; SGPRBlocks: 5
; VGPRBlocks: 8
; NumSGPRsForWavesPerEU: 44
; NumVGPRsForWavesPerEU: 70
; AccumOffset: 72
; Occupancy: 2
; WaveLimiterHint : 1
; COMPUTE_PGM_RSRC2:SCRATCH_EN: 0
; COMPUTE_PGM_RSRC2:USER_SGPR: 2
; COMPUTE_PGM_RSRC2:TRAP_HANDLER: 0
; COMPUTE_PGM_RSRC2:TGID_X_EN: 1
; COMPUTE_PGM_RSRC2:TGID_Y_EN: 0
; COMPUTE_PGM_RSRC2:TGID_Z_EN: 0
; COMPUTE_PGM_RSRC2:TIDIG_COMP_CNT: 0
; COMPUTE_PGM_RSRC3_GFX90A:ACCUM_OFFSET: 17
; COMPUTE_PGM_RSRC3_GFX90A:TG_SPLIT: 0
	.section	.text._ZN7rocprim17ROCPRIM_400000_NS6detail17trampoline_kernelINS0_14default_configENS1_35adjacent_difference_config_selectorILb1ElEEZNS1_24adjacent_difference_implIS3_Lb1ELb0EPlS7_ZN2at6native12_GLOBAL__N_124unique_dim_cuda_templateIN3c108BFloat16EEESt5tupleIJNS8_6TensorESF_SF_EERKSF_lbbbEUlllE1_EE10hipError_tPvRmT2_T3_mT4_P12ihipStream_tbEUlT_E_NS1_11comp_targetILNS1_3genE4ELNS1_11target_archE910ELNS1_3gpuE8ELNS1_3repE0EEENS1_30default_config_static_selectorELNS0_4arch9wavefront6targetE1EEEvT1_,"axG",@progbits,_ZN7rocprim17ROCPRIM_400000_NS6detail17trampoline_kernelINS0_14default_configENS1_35adjacent_difference_config_selectorILb1ElEEZNS1_24adjacent_difference_implIS3_Lb1ELb0EPlS7_ZN2at6native12_GLOBAL__N_124unique_dim_cuda_templateIN3c108BFloat16EEESt5tupleIJNS8_6TensorESF_SF_EERKSF_lbbbEUlllE1_EE10hipError_tPvRmT2_T3_mT4_P12ihipStream_tbEUlT_E_NS1_11comp_targetILNS1_3genE4ELNS1_11target_archE910ELNS1_3gpuE8ELNS1_3repE0EEENS1_30default_config_static_selectorELNS0_4arch9wavefront6targetE1EEEvT1_,comdat
	.globl	_ZN7rocprim17ROCPRIM_400000_NS6detail17trampoline_kernelINS0_14default_configENS1_35adjacent_difference_config_selectorILb1ElEEZNS1_24adjacent_difference_implIS3_Lb1ELb0EPlS7_ZN2at6native12_GLOBAL__N_124unique_dim_cuda_templateIN3c108BFloat16EEESt5tupleIJNS8_6TensorESF_SF_EERKSF_lbbbEUlllE1_EE10hipError_tPvRmT2_T3_mT4_P12ihipStream_tbEUlT_E_NS1_11comp_targetILNS1_3genE4ELNS1_11target_archE910ELNS1_3gpuE8ELNS1_3repE0EEENS1_30default_config_static_selectorELNS0_4arch9wavefront6targetE1EEEvT1_ ; -- Begin function _ZN7rocprim17ROCPRIM_400000_NS6detail17trampoline_kernelINS0_14default_configENS1_35adjacent_difference_config_selectorILb1ElEEZNS1_24adjacent_difference_implIS3_Lb1ELb0EPlS7_ZN2at6native12_GLOBAL__N_124unique_dim_cuda_templateIN3c108BFloat16EEESt5tupleIJNS8_6TensorESF_SF_EERKSF_lbbbEUlllE1_EE10hipError_tPvRmT2_T3_mT4_P12ihipStream_tbEUlT_E_NS1_11comp_targetILNS1_3genE4ELNS1_11target_archE910ELNS1_3gpuE8ELNS1_3repE0EEENS1_30default_config_static_selectorELNS0_4arch9wavefront6targetE1EEEvT1_
	.p2align	8
	.type	_ZN7rocprim17ROCPRIM_400000_NS6detail17trampoline_kernelINS0_14default_configENS1_35adjacent_difference_config_selectorILb1ElEEZNS1_24adjacent_difference_implIS3_Lb1ELb0EPlS7_ZN2at6native12_GLOBAL__N_124unique_dim_cuda_templateIN3c108BFloat16EEESt5tupleIJNS8_6TensorESF_SF_EERKSF_lbbbEUlllE1_EE10hipError_tPvRmT2_T3_mT4_P12ihipStream_tbEUlT_E_NS1_11comp_targetILNS1_3genE4ELNS1_11target_archE910ELNS1_3gpuE8ELNS1_3repE0EEENS1_30default_config_static_selectorELNS0_4arch9wavefront6targetE1EEEvT1_,@function
_ZN7rocprim17ROCPRIM_400000_NS6detail17trampoline_kernelINS0_14default_configENS1_35adjacent_difference_config_selectorILb1ElEEZNS1_24adjacent_difference_implIS3_Lb1ELb0EPlS7_ZN2at6native12_GLOBAL__N_124unique_dim_cuda_templateIN3c108BFloat16EEESt5tupleIJNS8_6TensorESF_SF_EERKSF_lbbbEUlllE1_EE10hipError_tPvRmT2_T3_mT4_P12ihipStream_tbEUlT_E_NS1_11comp_targetILNS1_3genE4ELNS1_11target_archE910ELNS1_3gpuE8ELNS1_3repE0EEENS1_30default_config_static_selectorELNS0_4arch9wavefront6targetE1EEEvT1_: ; @_ZN7rocprim17ROCPRIM_400000_NS6detail17trampoline_kernelINS0_14default_configENS1_35adjacent_difference_config_selectorILb1ElEEZNS1_24adjacent_difference_implIS3_Lb1ELb0EPlS7_ZN2at6native12_GLOBAL__N_124unique_dim_cuda_templateIN3c108BFloat16EEESt5tupleIJNS8_6TensorESF_SF_EERKSF_lbbbEUlllE1_EE10hipError_tPvRmT2_T3_mT4_P12ihipStream_tbEUlT_E_NS1_11comp_targetILNS1_3genE4ELNS1_11target_archE910ELNS1_3gpuE8ELNS1_3repE0EEENS1_30default_config_static_selectorELNS0_4arch9wavefront6targetE1EEEvT1_
; %bb.0:
	.section	.rodata,"a",@progbits
	.p2align	6, 0x0
	.amdhsa_kernel _ZN7rocprim17ROCPRIM_400000_NS6detail17trampoline_kernelINS0_14default_configENS1_35adjacent_difference_config_selectorILb1ElEEZNS1_24adjacent_difference_implIS3_Lb1ELb0EPlS7_ZN2at6native12_GLOBAL__N_124unique_dim_cuda_templateIN3c108BFloat16EEESt5tupleIJNS8_6TensorESF_SF_EERKSF_lbbbEUlllE1_EE10hipError_tPvRmT2_T3_mT4_P12ihipStream_tbEUlT_E_NS1_11comp_targetILNS1_3genE4ELNS1_11target_archE910ELNS1_3gpuE8ELNS1_3repE0EEENS1_30default_config_static_selectorELNS0_4arch9wavefront6targetE1EEEvT1_
		.amdhsa_group_segment_fixed_size 0
		.amdhsa_private_segment_fixed_size 0
		.amdhsa_kernarg_size 64
		.amdhsa_user_sgpr_count 2
		.amdhsa_user_sgpr_dispatch_ptr 0
		.amdhsa_user_sgpr_queue_ptr 0
		.amdhsa_user_sgpr_kernarg_segment_ptr 1
		.amdhsa_user_sgpr_dispatch_id 0
		.amdhsa_user_sgpr_kernarg_preload_length 0
		.amdhsa_user_sgpr_kernarg_preload_offset 0
		.amdhsa_user_sgpr_private_segment_size 0
		.amdhsa_uses_dynamic_stack 0
		.amdhsa_enable_private_segment 0
		.amdhsa_system_sgpr_workgroup_id_x 1
		.amdhsa_system_sgpr_workgroup_id_y 0
		.amdhsa_system_sgpr_workgroup_id_z 0
		.amdhsa_system_sgpr_workgroup_info 0
		.amdhsa_system_vgpr_workitem_id 0
		.amdhsa_next_free_vgpr 1
		.amdhsa_next_free_sgpr 0
		.amdhsa_accum_offset 4
		.amdhsa_reserve_vcc 0
		.amdhsa_float_round_mode_32 0
		.amdhsa_float_round_mode_16_64 0
		.amdhsa_float_denorm_mode_32 3
		.amdhsa_float_denorm_mode_16_64 3
		.amdhsa_dx10_clamp 1
		.amdhsa_ieee_mode 1
		.amdhsa_fp16_overflow 0
		.amdhsa_tg_split 0
		.amdhsa_exception_fp_ieee_invalid_op 0
		.amdhsa_exception_fp_denorm_src 0
		.amdhsa_exception_fp_ieee_div_zero 0
		.amdhsa_exception_fp_ieee_overflow 0
		.amdhsa_exception_fp_ieee_underflow 0
		.amdhsa_exception_fp_ieee_inexact 0
		.amdhsa_exception_int_div_zero 0
	.end_amdhsa_kernel
	.section	.text._ZN7rocprim17ROCPRIM_400000_NS6detail17trampoline_kernelINS0_14default_configENS1_35adjacent_difference_config_selectorILb1ElEEZNS1_24adjacent_difference_implIS3_Lb1ELb0EPlS7_ZN2at6native12_GLOBAL__N_124unique_dim_cuda_templateIN3c108BFloat16EEESt5tupleIJNS8_6TensorESF_SF_EERKSF_lbbbEUlllE1_EE10hipError_tPvRmT2_T3_mT4_P12ihipStream_tbEUlT_E_NS1_11comp_targetILNS1_3genE4ELNS1_11target_archE910ELNS1_3gpuE8ELNS1_3repE0EEENS1_30default_config_static_selectorELNS0_4arch9wavefront6targetE1EEEvT1_,"axG",@progbits,_ZN7rocprim17ROCPRIM_400000_NS6detail17trampoline_kernelINS0_14default_configENS1_35adjacent_difference_config_selectorILb1ElEEZNS1_24adjacent_difference_implIS3_Lb1ELb0EPlS7_ZN2at6native12_GLOBAL__N_124unique_dim_cuda_templateIN3c108BFloat16EEESt5tupleIJNS8_6TensorESF_SF_EERKSF_lbbbEUlllE1_EE10hipError_tPvRmT2_T3_mT4_P12ihipStream_tbEUlT_E_NS1_11comp_targetILNS1_3genE4ELNS1_11target_archE910ELNS1_3gpuE8ELNS1_3repE0EEENS1_30default_config_static_selectorELNS0_4arch9wavefront6targetE1EEEvT1_,comdat
.Lfunc_end1177:
	.size	_ZN7rocprim17ROCPRIM_400000_NS6detail17trampoline_kernelINS0_14default_configENS1_35adjacent_difference_config_selectorILb1ElEEZNS1_24adjacent_difference_implIS3_Lb1ELb0EPlS7_ZN2at6native12_GLOBAL__N_124unique_dim_cuda_templateIN3c108BFloat16EEESt5tupleIJNS8_6TensorESF_SF_EERKSF_lbbbEUlllE1_EE10hipError_tPvRmT2_T3_mT4_P12ihipStream_tbEUlT_E_NS1_11comp_targetILNS1_3genE4ELNS1_11target_archE910ELNS1_3gpuE8ELNS1_3repE0EEENS1_30default_config_static_selectorELNS0_4arch9wavefront6targetE1EEEvT1_, .Lfunc_end1177-_ZN7rocprim17ROCPRIM_400000_NS6detail17trampoline_kernelINS0_14default_configENS1_35adjacent_difference_config_selectorILb1ElEEZNS1_24adjacent_difference_implIS3_Lb1ELb0EPlS7_ZN2at6native12_GLOBAL__N_124unique_dim_cuda_templateIN3c108BFloat16EEESt5tupleIJNS8_6TensorESF_SF_EERKSF_lbbbEUlllE1_EE10hipError_tPvRmT2_T3_mT4_P12ihipStream_tbEUlT_E_NS1_11comp_targetILNS1_3genE4ELNS1_11target_archE910ELNS1_3gpuE8ELNS1_3repE0EEENS1_30default_config_static_selectorELNS0_4arch9wavefront6targetE1EEEvT1_
                                        ; -- End function
	.section	.AMDGPU.csdata,"",@progbits
; Kernel info:
; codeLenInByte = 0
; NumSgprs: 6
; NumVgprs: 0
; NumAgprs: 0
; TotalNumVgprs: 0
; ScratchSize: 0
; MemoryBound: 0
; FloatMode: 240
; IeeeMode: 1
; LDSByteSize: 0 bytes/workgroup (compile time only)
; SGPRBlocks: 0
; VGPRBlocks: 0
; NumSGPRsForWavesPerEU: 6
; NumVGPRsForWavesPerEU: 1
; AccumOffset: 4
; Occupancy: 8
; WaveLimiterHint : 0
; COMPUTE_PGM_RSRC2:SCRATCH_EN: 0
; COMPUTE_PGM_RSRC2:USER_SGPR: 2
; COMPUTE_PGM_RSRC2:TRAP_HANDLER: 0
; COMPUTE_PGM_RSRC2:TGID_X_EN: 1
; COMPUTE_PGM_RSRC2:TGID_Y_EN: 0
; COMPUTE_PGM_RSRC2:TGID_Z_EN: 0
; COMPUTE_PGM_RSRC2:TIDIG_COMP_CNT: 0
; COMPUTE_PGM_RSRC3_GFX90A:ACCUM_OFFSET: 0
; COMPUTE_PGM_RSRC3_GFX90A:TG_SPLIT: 0
	.section	.text._ZN7rocprim17ROCPRIM_400000_NS6detail17trampoline_kernelINS0_14default_configENS1_35adjacent_difference_config_selectorILb1ElEEZNS1_24adjacent_difference_implIS3_Lb1ELb0EPlS7_ZN2at6native12_GLOBAL__N_124unique_dim_cuda_templateIN3c108BFloat16EEESt5tupleIJNS8_6TensorESF_SF_EERKSF_lbbbEUlllE1_EE10hipError_tPvRmT2_T3_mT4_P12ihipStream_tbEUlT_E_NS1_11comp_targetILNS1_3genE3ELNS1_11target_archE908ELNS1_3gpuE7ELNS1_3repE0EEENS1_30default_config_static_selectorELNS0_4arch9wavefront6targetE1EEEvT1_,"axG",@progbits,_ZN7rocprim17ROCPRIM_400000_NS6detail17trampoline_kernelINS0_14default_configENS1_35adjacent_difference_config_selectorILb1ElEEZNS1_24adjacent_difference_implIS3_Lb1ELb0EPlS7_ZN2at6native12_GLOBAL__N_124unique_dim_cuda_templateIN3c108BFloat16EEESt5tupleIJNS8_6TensorESF_SF_EERKSF_lbbbEUlllE1_EE10hipError_tPvRmT2_T3_mT4_P12ihipStream_tbEUlT_E_NS1_11comp_targetILNS1_3genE3ELNS1_11target_archE908ELNS1_3gpuE7ELNS1_3repE0EEENS1_30default_config_static_selectorELNS0_4arch9wavefront6targetE1EEEvT1_,comdat
	.globl	_ZN7rocprim17ROCPRIM_400000_NS6detail17trampoline_kernelINS0_14default_configENS1_35adjacent_difference_config_selectorILb1ElEEZNS1_24adjacent_difference_implIS3_Lb1ELb0EPlS7_ZN2at6native12_GLOBAL__N_124unique_dim_cuda_templateIN3c108BFloat16EEESt5tupleIJNS8_6TensorESF_SF_EERKSF_lbbbEUlllE1_EE10hipError_tPvRmT2_T3_mT4_P12ihipStream_tbEUlT_E_NS1_11comp_targetILNS1_3genE3ELNS1_11target_archE908ELNS1_3gpuE7ELNS1_3repE0EEENS1_30default_config_static_selectorELNS0_4arch9wavefront6targetE1EEEvT1_ ; -- Begin function _ZN7rocprim17ROCPRIM_400000_NS6detail17trampoline_kernelINS0_14default_configENS1_35adjacent_difference_config_selectorILb1ElEEZNS1_24adjacent_difference_implIS3_Lb1ELb0EPlS7_ZN2at6native12_GLOBAL__N_124unique_dim_cuda_templateIN3c108BFloat16EEESt5tupleIJNS8_6TensorESF_SF_EERKSF_lbbbEUlllE1_EE10hipError_tPvRmT2_T3_mT4_P12ihipStream_tbEUlT_E_NS1_11comp_targetILNS1_3genE3ELNS1_11target_archE908ELNS1_3gpuE7ELNS1_3repE0EEENS1_30default_config_static_selectorELNS0_4arch9wavefront6targetE1EEEvT1_
	.p2align	8
	.type	_ZN7rocprim17ROCPRIM_400000_NS6detail17trampoline_kernelINS0_14default_configENS1_35adjacent_difference_config_selectorILb1ElEEZNS1_24adjacent_difference_implIS3_Lb1ELb0EPlS7_ZN2at6native12_GLOBAL__N_124unique_dim_cuda_templateIN3c108BFloat16EEESt5tupleIJNS8_6TensorESF_SF_EERKSF_lbbbEUlllE1_EE10hipError_tPvRmT2_T3_mT4_P12ihipStream_tbEUlT_E_NS1_11comp_targetILNS1_3genE3ELNS1_11target_archE908ELNS1_3gpuE7ELNS1_3repE0EEENS1_30default_config_static_selectorELNS0_4arch9wavefront6targetE1EEEvT1_,@function
_ZN7rocprim17ROCPRIM_400000_NS6detail17trampoline_kernelINS0_14default_configENS1_35adjacent_difference_config_selectorILb1ElEEZNS1_24adjacent_difference_implIS3_Lb1ELb0EPlS7_ZN2at6native12_GLOBAL__N_124unique_dim_cuda_templateIN3c108BFloat16EEESt5tupleIJNS8_6TensorESF_SF_EERKSF_lbbbEUlllE1_EE10hipError_tPvRmT2_T3_mT4_P12ihipStream_tbEUlT_E_NS1_11comp_targetILNS1_3genE3ELNS1_11target_archE908ELNS1_3gpuE7ELNS1_3repE0EEENS1_30default_config_static_selectorELNS0_4arch9wavefront6targetE1EEEvT1_: ; @_ZN7rocprim17ROCPRIM_400000_NS6detail17trampoline_kernelINS0_14default_configENS1_35adjacent_difference_config_selectorILb1ElEEZNS1_24adjacent_difference_implIS3_Lb1ELb0EPlS7_ZN2at6native12_GLOBAL__N_124unique_dim_cuda_templateIN3c108BFloat16EEESt5tupleIJNS8_6TensorESF_SF_EERKSF_lbbbEUlllE1_EE10hipError_tPvRmT2_T3_mT4_P12ihipStream_tbEUlT_E_NS1_11comp_targetILNS1_3genE3ELNS1_11target_archE908ELNS1_3gpuE7ELNS1_3repE0EEENS1_30default_config_static_selectorELNS0_4arch9wavefront6targetE1EEEvT1_
; %bb.0:
	.section	.rodata,"a",@progbits
	.p2align	6, 0x0
	.amdhsa_kernel _ZN7rocprim17ROCPRIM_400000_NS6detail17trampoline_kernelINS0_14default_configENS1_35adjacent_difference_config_selectorILb1ElEEZNS1_24adjacent_difference_implIS3_Lb1ELb0EPlS7_ZN2at6native12_GLOBAL__N_124unique_dim_cuda_templateIN3c108BFloat16EEESt5tupleIJNS8_6TensorESF_SF_EERKSF_lbbbEUlllE1_EE10hipError_tPvRmT2_T3_mT4_P12ihipStream_tbEUlT_E_NS1_11comp_targetILNS1_3genE3ELNS1_11target_archE908ELNS1_3gpuE7ELNS1_3repE0EEENS1_30default_config_static_selectorELNS0_4arch9wavefront6targetE1EEEvT1_
		.amdhsa_group_segment_fixed_size 0
		.amdhsa_private_segment_fixed_size 0
		.amdhsa_kernarg_size 64
		.amdhsa_user_sgpr_count 2
		.amdhsa_user_sgpr_dispatch_ptr 0
		.amdhsa_user_sgpr_queue_ptr 0
		.amdhsa_user_sgpr_kernarg_segment_ptr 1
		.amdhsa_user_sgpr_dispatch_id 0
		.amdhsa_user_sgpr_kernarg_preload_length 0
		.amdhsa_user_sgpr_kernarg_preload_offset 0
		.amdhsa_user_sgpr_private_segment_size 0
		.amdhsa_uses_dynamic_stack 0
		.amdhsa_enable_private_segment 0
		.amdhsa_system_sgpr_workgroup_id_x 1
		.amdhsa_system_sgpr_workgroup_id_y 0
		.amdhsa_system_sgpr_workgroup_id_z 0
		.amdhsa_system_sgpr_workgroup_info 0
		.amdhsa_system_vgpr_workitem_id 0
		.amdhsa_next_free_vgpr 1
		.amdhsa_next_free_sgpr 0
		.amdhsa_accum_offset 4
		.amdhsa_reserve_vcc 0
		.amdhsa_float_round_mode_32 0
		.amdhsa_float_round_mode_16_64 0
		.amdhsa_float_denorm_mode_32 3
		.amdhsa_float_denorm_mode_16_64 3
		.amdhsa_dx10_clamp 1
		.amdhsa_ieee_mode 1
		.amdhsa_fp16_overflow 0
		.amdhsa_tg_split 0
		.amdhsa_exception_fp_ieee_invalid_op 0
		.amdhsa_exception_fp_denorm_src 0
		.amdhsa_exception_fp_ieee_div_zero 0
		.amdhsa_exception_fp_ieee_overflow 0
		.amdhsa_exception_fp_ieee_underflow 0
		.amdhsa_exception_fp_ieee_inexact 0
		.amdhsa_exception_int_div_zero 0
	.end_amdhsa_kernel
	.section	.text._ZN7rocprim17ROCPRIM_400000_NS6detail17trampoline_kernelINS0_14default_configENS1_35adjacent_difference_config_selectorILb1ElEEZNS1_24adjacent_difference_implIS3_Lb1ELb0EPlS7_ZN2at6native12_GLOBAL__N_124unique_dim_cuda_templateIN3c108BFloat16EEESt5tupleIJNS8_6TensorESF_SF_EERKSF_lbbbEUlllE1_EE10hipError_tPvRmT2_T3_mT4_P12ihipStream_tbEUlT_E_NS1_11comp_targetILNS1_3genE3ELNS1_11target_archE908ELNS1_3gpuE7ELNS1_3repE0EEENS1_30default_config_static_selectorELNS0_4arch9wavefront6targetE1EEEvT1_,"axG",@progbits,_ZN7rocprim17ROCPRIM_400000_NS6detail17trampoline_kernelINS0_14default_configENS1_35adjacent_difference_config_selectorILb1ElEEZNS1_24adjacent_difference_implIS3_Lb1ELb0EPlS7_ZN2at6native12_GLOBAL__N_124unique_dim_cuda_templateIN3c108BFloat16EEESt5tupleIJNS8_6TensorESF_SF_EERKSF_lbbbEUlllE1_EE10hipError_tPvRmT2_T3_mT4_P12ihipStream_tbEUlT_E_NS1_11comp_targetILNS1_3genE3ELNS1_11target_archE908ELNS1_3gpuE7ELNS1_3repE0EEENS1_30default_config_static_selectorELNS0_4arch9wavefront6targetE1EEEvT1_,comdat
.Lfunc_end1178:
	.size	_ZN7rocprim17ROCPRIM_400000_NS6detail17trampoline_kernelINS0_14default_configENS1_35adjacent_difference_config_selectorILb1ElEEZNS1_24adjacent_difference_implIS3_Lb1ELb0EPlS7_ZN2at6native12_GLOBAL__N_124unique_dim_cuda_templateIN3c108BFloat16EEESt5tupleIJNS8_6TensorESF_SF_EERKSF_lbbbEUlllE1_EE10hipError_tPvRmT2_T3_mT4_P12ihipStream_tbEUlT_E_NS1_11comp_targetILNS1_3genE3ELNS1_11target_archE908ELNS1_3gpuE7ELNS1_3repE0EEENS1_30default_config_static_selectorELNS0_4arch9wavefront6targetE1EEEvT1_, .Lfunc_end1178-_ZN7rocprim17ROCPRIM_400000_NS6detail17trampoline_kernelINS0_14default_configENS1_35adjacent_difference_config_selectorILb1ElEEZNS1_24adjacent_difference_implIS3_Lb1ELb0EPlS7_ZN2at6native12_GLOBAL__N_124unique_dim_cuda_templateIN3c108BFloat16EEESt5tupleIJNS8_6TensorESF_SF_EERKSF_lbbbEUlllE1_EE10hipError_tPvRmT2_T3_mT4_P12ihipStream_tbEUlT_E_NS1_11comp_targetILNS1_3genE3ELNS1_11target_archE908ELNS1_3gpuE7ELNS1_3repE0EEENS1_30default_config_static_selectorELNS0_4arch9wavefront6targetE1EEEvT1_
                                        ; -- End function
	.section	.AMDGPU.csdata,"",@progbits
; Kernel info:
; codeLenInByte = 0
; NumSgprs: 6
; NumVgprs: 0
; NumAgprs: 0
; TotalNumVgprs: 0
; ScratchSize: 0
; MemoryBound: 0
; FloatMode: 240
; IeeeMode: 1
; LDSByteSize: 0 bytes/workgroup (compile time only)
; SGPRBlocks: 0
; VGPRBlocks: 0
; NumSGPRsForWavesPerEU: 6
; NumVGPRsForWavesPerEU: 1
; AccumOffset: 4
; Occupancy: 8
; WaveLimiterHint : 0
; COMPUTE_PGM_RSRC2:SCRATCH_EN: 0
; COMPUTE_PGM_RSRC2:USER_SGPR: 2
; COMPUTE_PGM_RSRC2:TRAP_HANDLER: 0
; COMPUTE_PGM_RSRC2:TGID_X_EN: 1
; COMPUTE_PGM_RSRC2:TGID_Y_EN: 0
; COMPUTE_PGM_RSRC2:TGID_Z_EN: 0
; COMPUTE_PGM_RSRC2:TIDIG_COMP_CNT: 0
; COMPUTE_PGM_RSRC3_GFX90A:ACCUM_OFFSET: 0
; COMPUTE_PGM_RSRC3_GFX90A:TG_SPLIT: 0
	.section	.text._ZN7rocprim17ROCPRIM_400000_NS6detail17trampoline_kernelINS0_14default_configENS1_35adjacent_difference_config_selectorILb1ElEEZNS1_24adjacent_difference_implIS3_Lb1ELb0EPlS7_ZN2at6native12_GLOBAL__N_124unique_dim_cuda_templateIN3c108BFloat16EEESt5tupleIJNS8_6TensorESF_SF_EERKSF_lbbbEUlllE1_EE10hipError_tPvRmT2_T3_mT4_P12ihipStream_tbEUlT_E_NS1_11comp_targetILNS1_3genE2ELNS1_11target_archE906ELNS1_3gpuE6ELNS1_3repE0EEENS1_30default_config_static_selectorELNS0_4arch9wavefront6targetE1EEEvT1_,"axG",@progbits,_ZN7rocprim17ROCPRIM_400000_NS6detail17trampoline_kernelINS0_14default_configENS1_35adjacent_difference_config_selectorILb1ElEEZNS1_24adjacent_difference_implIS3_Lb1ELb0EPlS7_ZN2at6native12_GLOBAL__N_124unique_dim_cuda_templateIN3c108BFloat16EEESt5tupleIJNS8_6TensorESF_SF_EERKSF_lbbbEUlllE1_EE10hipError_tPvRmT2_T3_mT4_P12ihipStream_tbEUlT_E_NS1_11comp_targetILNS1_3genE2ELNS1_11target_archE906ELNS1_3gpuE6ELNS1_3repE0EEENS1_30default_config_static_selectorELNS0_4arch9wavefront6targetE1EEEvT1_,comdat
	.globl	_ZN7rocprim17ROCPRIM_400000_NS6detail17trampoline_kernelINS0_14default_configENS1_35adjacent_difference_config_selectorILb1ElEEZNS1_24adjacent_difference_implIS3_Lb1ELb0EPlS7_ZN2at6native12_GLOBAL__N_124unique_dim_cuda_templateIN3c108BFloat16EEESt5tupleIJNS8_6TensorESF_SF_EERKSF_lbbbEUlllE1_EE10hipError_tPvRmT2_T3_mT4_P12ihipStream_tbEUlT_E_NS1_11comp_targetILNS1_3genE2ELNS1_11target_archE906ELNS1_3gpuE6ELNS1_3repE0EEENS1_30default_config_static_selectorELNS0_4arch9wavefront6targetE1EEEvT1_ ; -- Begin function _ZN7rocprim17ROCPRIM_400000_NS6detail17trampoline_kernelINS0_14default_configENS1_35adjacent_difference_config_selectorILb1ElEEZNS1_24adjacent_difference_implIS3_Lb1ELb0EPlS7_ZN2at6native12_GLOBAL__N_124unique_dim_cuda_templateIN3c108BFloat16EEESt5tupleIJNS8_6TensorESF_SF_EERKSF_lbbbEUlllE1_EE10hipError_tPvRmT2_T3_mT4_P12ihipStream_tbEUlT_E_NS1_11comp_targetILNS1_3genE2ELNS1_11target_archE906ELNS1_3gpuE6ELNS1_3repE0EEENS1_30default_config_static_selectorELNS0_4arch9wavefront6targetE1EEEvT1_
	.p2align	8
	.type	_ZN7rocprim17ROCPRIM_400000_NS6detail17trampoline_kernelINS0_14default_configENS1_35adjacent_difference_config_selectorILb1ElEEZNS1_24adjacent_difference_implIS3_Lb1ELb0EPlS7_ZN2at6native12_GLOBAL__N_124unique_dim_cuda_templateIN3c108BFloat16EEESt5tupleIJNS8_6TensorESF_SF_EERKSF_lbbbEUlllE1_EE10hipError_tPvRmT2_T3_mT4_P12ihipStream_tbEUlT_E_NS1_11comp_targetILNS1_3genE2ELNS1_11target_archE906ELNS1_3gpuE6ELNS1_3repE0EEENS1_30default_config_static_selectorELNS0_4arch9wavefront6targetE1EEEvT1_,@function
_ZN7rocprim17ROCPRIM_400000_NS6detail17trampoline_kernelINS0_14default_configENS1_35adjacent_difference_config_selectorILb1ElEEZNS1_24adjacent_difference_implIS3_Lb1ELb0EPlS7_ZN2at6native12_GLOBAL__N_124unique_dim_cuda_templateIN3c108BFloat16EEESt5tupleIJNS8_6TensorESF_SF_EERKSF_lbbbEUlllE1_EE10hipError_tPvRmT2_T3_mT4_P12ihipStream_tbEUlT_E_NS1_11comp_targetILNS1_3genE2ELNS1_11target_archE906ELNS1_3gpuE6ELNS1_3repE0EEENS1_30default_config_static_selectorELNS0_4arch9wavefront6targetE1EEEvT1_: ; @_ZN7rocprim17ROCPRIM_400000_NS6detail17trampoline_kernelINS0_14default_configENS1_35adjacent_difference_config_selectorILb1ElEEZNS1_24adjacent_difference_implIS3_Lb1ELb0EPlS7_ZN2at6native12_GLOBAL__N_124unique_dim_cuda_templateIN3c108BFloat16EEESt5tupleIJNS8_6TensorESF_SF_EERKSF_lbbbEUlllE1_EE10hipError_tPvRmT2_T3_mT4_P12ihipStream_tbEUlT_E_NS1_11comp_targetILNS1_3genE2ELNS1_11target_archE906ELNS1_3gpuE6ELNS1_3repE0EEENS1_30default_config_static_selectorELNS0_4arch9wavefront6targetE1EEEvT1_
; %bb.0:
	.section	.rodata,"a",@progbits
	.p2align	6, 0x0
	.amdhsa_kernel _ZN7rocprim17ROCPRIM_400000_NS6detail17trampoline_kernelINS0_14default_configENS1_35adjacent_difference_config_selectorILb1ElEEZNS1_24adjacent_difference_implIS3_Lb1ELb0EPlS7_ZN2at6native12_GLOBAL__N_124unique_dim_cuda_templateIN3c108BFloat16EEESt5tupleIJNS8_6TensorESF_SF_EERKSF_lbbbEUlllE1_EE10hipError_tPvRmT2_T3_mT4_P12ihipStream_tbEUlT_E_NS1_11comp_targetILNS1_3genE2ELNS1_11target_archE906ELNS1_3gpuE6ELNS1_3repE0EEENS1_30default_config_static_selectorELNS0_4arch9wavefront6targetE1EEEvT1_
		.amdhsa_group_segment_fixed_size 0
		.amdhsa_private_segment_fixed_size 0
		.amdhsa_kernarg_size 64
		.amdhsa_user_sgpr_count 2
		.amdhsa_user_sgpr_dispatch_ptr 0
		.amdhsa_user_sgpr_queue_ptr 0
		.amdhsa_user_sgpr_kernarg_segment_ptr 1
		.amdhsa_user_sgpr_dispatch_id 0
		.amdhsa_user_sgpr_kernarg_preload_length 0
		.amdhsa_user_sgpr_kernarg_preload_offset 0
		.amdhsa_user_sgpr_private_segment_size 0
		.amdhsa_uses_dynamic_stack 0
		.amdhsa_enable_private_segment 0
		.amdhsa_system_sgpr_workgroup_id_x 1
		.amdhsa_system_sgpr_workgroup_id_y 0
		.amdhsa_system_sgpr_workgroup_id_z 0
		.amdhsa_system_sgpr_workgroup_info 0
		.amdhsa_system_vgpr_workitem_id 0
		.amdhsa_next_free_vgpr 1
		.amdhsa_next_free_sgpr 0
		.amdhsa_accum_offset 4
		.amdhsa_reserve_vcc 0
		.amdhsa_float_round_mode_32 0
		.amdhsa_float_round_mode_16_64 0
		.amdhsa_float_denorm_mode_32 3
		.amdhsa_float_denorm_mode_16_64 3
		.amdhsa_dx10_clamp 1
		.amdhsa_ieee_mode 1
		.amdhsa_fp16_overflow 0
		.amdhsa_tg_split 0
		.amdhsa_exception_fp_ieee_invalid_op 0
		.amdhsa_exception_fp_denorm_src 0
		.amdhsa_exception_fp_ieee_div_zero 0
		.amdhsa_exception_fp_ieee_overflow 0
		.amdhsa_exception_fp_ieee_underflow 0
		.amdhsa_exception_fp_ieee_inexact 0
		.amdhsa_exception_int_div_zero 0
	.end_amdhsa_kernel
	.section	.text._ZN7rocprim17ROCPRIM_400000_NS6detail17trampoline_kernelINS0_14default_configENS1_35adjacent_difference_config_selectorILb1ElEEZNS1_24adjacent_difference_implIS3_Lb1ELb0EPlS7_ZN2at6native12_GLOBAL__N_124unique_dim_cuda_templateIN3c108BFloat16EEESt5tupleIJNS8_6TensorESF_SF_EERKSF_lbbbEUlllE1_EE10hipError_tPvRmT2_T3_mT4_P12ihipStream_tbEUlT_E_NS1_11comp_targetILNS1_3genE2ELNS1_11target_archE906ELNS1_3gpuE6ELNS1_3repE0EEENS1_30default_config_static_selectorELNS0_4arch9wavefront6targetE1EEEvT1_,"axG",@progbits,_ZN7rocprim17ROCPRIM_400000_NS6detail17trampoline_kernelINS0_14default_configENS1_35adjacent_difference_config_selectorILb1ElEEZNS1_24adjacent_difference_implIS3_Lb1ELb0EPlS7_ZN2at6native12_GLOBAL__N_124unique_dim_cuda_templateIN3c108BFloat16EEESt5tupleIJNS8_6TensorESF_SF_EERKSF_lbbbEUlllE1_EE10hipError_tPvRmT2_T3_mT4_P12ihipStream_tbEUlT_E_NS1_11comp_targetILNS1_3genE2ELNS1_11target_archE906ELNS1_3gpuE6ELNS1_3repE0EEENS1_30default_config_static_selectorELNS0_4arch9wavefront6targetE1EEEvT1_,comdat
.Lfunc_end1179:
	.size	_ZN7rocprim17ROCPRIM_400000_NS6detail17trampoline_kernelINS0_14default_configENS1_35adjacent_difference_config_selectorILb1ElEEZNS1_24adjacent_difference_implIS3_Lb1ELb0EPlS7_ZN2at6native12_GLOBAL__N_124unique_dim_cuda_templateIN3c108BFloat16EEESt5tupleIJNS8_6TensorESF_SF_EERKSF_lbbbEUlllE1_EE10hipError_tPvRmT2_T3_mT4_P12ihipStream_tbEUlT_E_NS1_11comp_targetILNS1_3genE2ELNS1_11target_archE906ELNS1_3gpuE6ELNS1_3repE0EEENS1_30default_config_static_selectorELNS0_4arch9wavefront6targetE1EEEvT1_, .Lfunc_end1179-_ZN7rocprim17ROCPRIM_400000_NS6detail17trampoline_kernelINS0_14default_configENS1_35adjacent_difference_config_selectorILb1ElEEZNS1_24adjacent_difference_implIS3_Lb1ELb0EPlS7_ZN2at6native12_GLOBAL__N_124unique_dim_cuda_templateIN3c108BFloat16EEESt5tupleIJNS8_6TensorESF_SF_EERKSF_lbbbEUlllE1_EE10hipError_tPvRmT2_T3_mT4_P12ihipStream_tbEUlT_E_NS1_11comp_targetILNS1_3genE2ELNS1_11target_archE906ELNS1_3gpuE6ELNS1_3repE0EEENS1_30default_config_static_selectorELNS0_4arch9wavefront6targetE1EEEvT1_
                                        ; -- End function
	.section	.AMDGPU.csdata,"",@progbits
; Kernel info:
; codeLenInByte = 0
; NumSgprs: 6
; NumVgprs: 0
; NumAgprs: 0
; TotalNumVgprs: 0
; ScratchSize: 0
; MemoryBound: 0
; FloatMode: 240
; IeeeMode: 1
; LDSByteSize: 0 bytes/workgroup (compile time only)
; SGPRBlocks: 0
; VGPRBlocks: 0
; NumSGPRsForWavesPerEU: 6
; NumVGPRsForWavesPerEU: 1
; AccumOffset: 4
; Occupancy: 8
; WaveLimiterHint : 0
; COMPUTE_PGM_RSRC2:SCRATCH_EN: 0
; COMPUTE_PGM_RSRC2:USER_SGPR: 2
; COMPUTE_PGM_RSRC2:TRAP_HANDLER: 0
; COMPUTE_PGM_RSRC2:TGID_X_EN: 1
; COMPUTE_PGM_RSRC2:TGID_Y_EN: 0
; COMPUTE_PGM_RSRC2:TGID_Z_EN: 0
; COMPUTE_PGM_RSRC2:TIDIG_COMP_CNT: 0
; COMPUTE_PGM_RSRC3_GFX90A:ACCUM_OFFSET: 0
; COMPUTE_PGM_RSRC3_GFX90A:TG_SPLIT: 0
	.section	.text._ZN7rocprim17ROCPRIM_400000_NS6detail17trampoline_kernelINS0_14default_configENS1_35adjacent_difference_config_selectorILb1ElEEZNS1_24adjacent_difference_implIS3_Lb1ELb0EPlS7_ZN2at6native12_GLOBAL__N_124unique_dim_cuda_templateIN3c108BFloat16EEESt5tupleIJNS8_6TensorESF_SF_EERKSF_lbbbEUlllE1_EE10hipError_tPvRmT2_T3_mT4_P12ihipStream_tbEUlT_E_NS1_11comp_targetILNS1_3genE9ELNS1_11target_archE1100ELNS1_3gpuE3ELNS1_3repE0EEENS1_30default_config_static_selectorELNS0_4arch9wavefront6targetE1EEEvT1_,"axG",@progbits,_ZN7rocprim17ROCPRIM_400000_NS6detail17trampoline_kernelINS0_14default_configENS1_35adjacent_difference_config_selectorILb1ElEEZNS1_24adjacent_difference_implIS3_Lb1ELb0EPlS7_ZN2at6native12_GLOBAL__N_124unique_dim_cuda_templateIN3c108BFloat16EEESt5tupleIJNS8_6TensorESF_SF_EERKSF_lbbbEUlllE1_EE10hipError_tPvRmT2_T3_mT4_P12ihipStream_tbEUlT_E_NS1_11comp_targetILNS1_3genE9ELNS1_11target_archE1100ELNS1_3gpuE3ELNS1_3repE0EEENS1_30default_config_static_selectorELNS0_4arch9wavefront6targetE1EEEvT1_,comdat
	.globl	_ZN7rocprim17ROCPRIM_400000_NS6detail17trampoline_kernelINS0_14default_configENS1_35adjacent_difference_config_selectorILb1ElEEZNS1_24adjacent_difference_implIS3_Lb1ELb0EPlS7_ZN2at6native12_GLOBAL__N_124unique_dim_cuda_templateIN3c108BFloat16EEESt5tupleIJNS8_6TensorESF_SF_EERKSF_lbbbEUlllE1_EE10hipError_tPvRmT2_T3_mT4_P12ihipStream_tbEUlT_E_NS1_11comp_targetILNS1_3genE9ELNS1_11target_archE1100ELNS1_3gpuE3ELNS1_3repE0EEENS1_30default_config_static_selectorELNS0_4arch9wavefront6targetE1EEEvT1_ ; -- Begin function _ZN7rocprim17ROCPRIM_400000_NS6detail17trampoline_kernelINS0_14default_configENS1_35adjacent_difference_config_selectorILb1ElEEZNS1_24adjacent_difference_implIS3_Lb1ELb0EPlS7_ZN2at6native12_GLOBAL__N_124unique_dim_cuda_templateIN3c108BFloat16EEESt5tupleIJNS8_6TensorESF_SF_EERKSF_lbbbEUlllE1_EE10hipError_tPvRmT2_T3_mT4_P12ihipStream_tbEUlT_E_NS1_11comp_targetILNS1_3genE9ELNS1_11target_archE1100ELNS1_3gpuE3ELNS1_3repE0EEENS1_30default_config_static_selectorELNS0_4arch9wavefront6targetE1EEEvT1_
	.p2align	8
	.type	_ZN7rocprim17ROCPRIM_400000_NS6detail17trampoline_kernelINS0_14default_configENS1_35adjacent_difference_config_selectorILb1ElEEZNS1_24adjacent_difference_implIS3_Lb1ELb0EPlS7_ZN2at6native12_GLOBAL__N_124unique_dim_cuda_templateIN3c108BFloat16EEESt5tupleIJNS8_6TensorESF_SF_EERKSF_lbbbEUlllE1_EE10hipError_tPvRmT2_T3_mT4_P12ihipStream_tbEUlT_E_NS1_11comp_targetILNS1_3genE9ELNS1_11target_archE1100ELNS1_3gpuE3ELNS1_3repE0EEENS1_30default_config_static_selectorELNS0_4arch9wavefront6targetE1EEEvT1_,@function
_ZN7rocprim17ROCPRIM_400000_NS6detail17trampoline_kernelINS0_14default_configENS1_35adjacent_difference_config_selectorILb1ElEEZNS1_24adjacent_difference_implIS3_Lb1ELb0EPlS7_ZN2at6native12_GLOBAL__N_124unique_dim_cuda_templateIN3c108BFloat16EEESt5tupleIJNS8_6TensorESF_SF_EERKSF_lbbbEUlllE1_EE10hipError_tPvRmT2_T3_mT4_P12ihipStream_tbEUlT_E_NS1_11comp_targetILNS1_3genE9ELNS1_11target_archE1100ELNS1_3gpuE3ELNS1_3repE0EEENS1_30default_config_static_selectorELNS0_4arch9wavefront6targetE1EEEvT1_: ; @_ZN7rocprim17ROCPRIM_400000_NS6detail17trampoline_kernelINS0_14default_configENS1_35adjacent_difference_config_selectorILb1ElEEZNS1_24adjacent_difference_implIS3_Lb1ELb0EPlS7_ZN2at6native12_GLOBAL__N_124unique_dim_cuda_templateIN3c108BFloat16EEESt5tupleIJNS8_6TensorESF_SF_EERKSF_lbbbEUlllE1_EE10hipError_tPvRmT2_T3_mT4_P12ihipStream_tbEUlT_E_NS1_11comp_targetILNS1_3genE9ELNS1_11target_archE1100ELNS1_3gpuE3ELNS1_3repE0EEENS1_30default_config_static_selectorELNS0_4arch9wavefront6targetE1EEEvT1_
; %bb.0:
	.section	.rodata,"a",@progbits
	.p2align	6, 0x0
	.amdhsa_kernel _ZN7rocprim17ROCPRIM_400000_NS6detail17trampoline_kernelINS0_14default_configENS1_35adjacent_difference_config_selectorILb1ElEEZNS1_24adjacent_difference_implIS3_Lb1ELb0EPlS7_ZN2at6native12_GLOBAL__N_124unique_dim_cuda_templateIN3c108BFloat16EEESt5tupleIJNS8_6TensorESF_SF_EERKSF_lbbbEUlllE1_EE10hipError_tPvRmT2_T3_mT4_P12ihipStream_tbEUlT_E_NS1_11comp_targetILNS1_3genE9ELNS1_11target_archE1100ELNS1_3gpuE3ELNS1_3repE0EEENS1_30default_config_static_selectorELNS0_4arch9wavefront6targetE1EEEvT1_
		.amdhsa_group_segment_fixed_size 0
		.amdhsa_private_segment_fixed_size 0
		.amdhsa_kernarg_size 64
		.amdhsa_user_sgpr_count 2
		.amdhsa_user_sgpr_dispatch_ptr 0
		.amdhsa_user_sgpr_queue_ptr 0
		.amdhsa_user_sgpr_kernarg_segment_ptr 1
		.amdhsa_user_sgpr_dispatch_id 0
		.amdhsa_user_sgpr_kernarg_preload_length 0
		.amdhsa_user_sgpr_kernarg_preload_offset 0
		.amdhsa_user_sgpr_private_segment_size 0
		.amdhsa_uses_dynamic_stack 0
		.amdhsa_enable_private_segment 0
		.amdhsa_system_sgpr_workgroup_id_x 1
		.amdhsa_system_sgpr_workgroup_id_y 0
		.amdhsa_system_sgpr_workgroup_id_z 0
		.amdhsa_system_sgpr_workgroup_info 0
		.amdhsa_system_vgpr_workitem_id 0
		.amdhsa_next_free_vgpr 1
		.amdhsa_next_free_sgpr 0
		.amdhsa_accum_offset 4
		.amdhsa_reserve_vcc 0
		.amdhsa_float_round_mode_32 0
		.amdhsa_float_round_mode_16_64 0
		.amdhsa_float_denorm_mode_32 3
		.amdhsa_float_denorm_mode_16_64 3
		.amdhsa_dx10_clamp 1
		.amdhsa_ieee_mode 1
		.amdhsa_fp16_overflow 0
		.amdhsa_tg_split 0
		.amdhsa_exception_fp_ieee_invalid_op 0
		.amdhsa_exception_fp_denorm_src 0
		.amdhsa_exception_fp_ieee_div_zero 0
		.amdhsa_exception_fp_ieee_overflow 0
		.amdhsa_exception_fp_ieee_underflow 0
		.amdhsa_exception_fp_ieee_inexact 0
		.amdhsa_exception_int_div_zero 0
	.end_amdhsa_kernel
	.section	.text._ZN7rocprim17ROCPRIM_400000_NS6detail17trampoline_kernelINS0_14default_configENS1_35adjacent_difference_config_selectorILb1ElEEZNS1_24adjacent_difference_implIS3_Lb1ELb0EPlS7_ZN2at6native12_GLOBAL__N_124unique_dim_cuda_templateIN3c108BFloat16EEESt5tupleIJNS8_6TensorESF_SF_EERKSF_lbbbEUlllE1_EE10hipError_tPvRmT2_T3_mT4_P12ihipStream_tbEUlT_E_NS1_11comp_targetILNS1_3genE9ELNS1_11target_archE1100ELNS1_3gpuE3ELNS1_3repE0EEENS1_30default_config_static_selectorELNS0_4arch9wavefront6targetE1EEEvT1_,"axG",@progbits,_ZN7rocprim17ROCPRIM_400000_NS6detail17trampoline_kernelINS0_14default_configENS1_35adjacent_difference_config_selectorILb1ElEEZNS1_24adjacent_difference_implIS3_Lb1ELb0EPlS7_ZN2at6native12_GLOBAL__N_124unique_dim_cuda_templateIN3c108BFloat16EEESt5tupleIJNS8_6TensorESF_SF_EERKSF_lbbbEUlllE1_EE10hipError_tPvRmT2_T3_mT4_P12ihipStream_tbEUlT_E_NS1_11comp_targetILNS1_3genE9ELNS1_11target_archE1100ELNS1_3gpuE3ELNS1_3repE0EEENS1_30default_config_static_selectorELNS0_4arch9wavefront6targetE1EEEvT1_,comdat
.Lfunc_end1180:
	.size	_ZN7rocprim17ROCPRIM_400000_NS6detail17trampoline_kernelINS0_14default_configENS1_35adjacent_difference_config_selectorILb1ElEEZNS1_24adjacent_difference_implIS3_Lb1ELb0EPlS7_ZN2at6native12_GLOBAL__N_124unique_dim_cuda_templateIN3c108BFloat16EEESt5tupleIJNS8_6TensorESF_SF_EERKSF_lbbbEUlllE1_EE10hipError_tPvRmT2_T3_mT4_P12ihipStream_tbEUlT_E_NS1_11comp_targetILNS1_3genE9ELNS1_11target_archE1100ELNS1_3gpuE3ELNS1_3repE0EEENS1_30default_config_static_selectorELNS0_4arch9wavefront6targetE1EEEvT1_, .Lfunc_end1180-_ZN7rocprim17ROCPRIM_400000_NS6detail17trampoline_kernelINS0_14default_configENS1_35adjacent_difference_config_selectorILb1ElEEZNS1_24adjacent_difference_implIS3_Lb1ELb0EPlS7_ZN2at6native12_GLOBAL__N_124unique_dim_cuda_templateIN3c108BFloat16EEESt5tupleIJNS8_6TensorESF_SF_EERKSF_lbbbEUlllE1_EE10hipError_tPvRmT2_T3_mT4_P12ihipStream_tbEUlT_E_NS1_11comp_targetILNS1_3genE9ELNS1_11target_archE1100ELNS1_3gpuE3ELNS1_3repE0EEENS1_30default_config_static_selectorELNS0_4arch9wavefront6targetE1EEEvT1_
                                        ; -- End function
	.section	.AMDGPU.csdata,"",@progbits
; Kernel info:
; codeLenInByte = 0
; NumSgprs: 6
; NumVgprs: 0
; NumAgprs: 0
; TotalNumVgprs: 0
; ScratchSize: 0
; MemoryBound: 0
; FloatMode: 240
; IeeeMode: 1
; LDSByteSize: 0 bytes/workgroup (compile time only)
; SGPRBlocks: 0
; VGPRBlocks: 0
; NumSGPRsForWavesPerEU: 6
; NumVGPRsForWavesPerEU: 1
; AccumOffset: 4
; Occupancy: 8
; WaveLimiterHint : 0
; COMPUTE_PGM_RSRC2:SCRATCH_EN: 0
; COMPUTE_PGM_RSRC2:USER_SGPR: 2
; COMPUTE_PGM_RSRC2:TRAP_HANDLER: 0
; COMPUTE_PGM_RSRC2:TGID_X_EN: 1
; COMPUTE_PGM_RSRC2:TGID_Y_EN: 0
; COMPUTE_PGM_RSRC2:TGID_Z_EN: 0
; COMPUTE_PGM_RSRC2:TIDIG_COMP_CNT: 0
; COMPUTE_PGM_RSRC3_GFX90A:ACCUM_OFFSET: 0
; COMPUTE_PGM_RSRC3_GFX90A:TG_SPLIT: 0
	.section	.text._ZN7rocprim17ROCPRIM_400000_NS6detail17trampoline_kernelINS0_14default_configENS1_35adjacent_difference_config_selectorILb1ElEEZNS1_24adjacent_difference_implIS3_Lb1ELb0EPlS7_ZN2at6native12_GLOBAL__N_124unique_dim_cuda_templateIN3c108BFloat16EEESt5tupleIJNS8_6TensorESF_SF_EERKSF_lbbbEUlllE1_EE10hipError_tPvRmT2_T3_mT4_P12ihipStream_tbEUlT_E_NS1_11comp_targetILNS1_3genE8ELNS1_11target_archE1030ELNS1_3gpuE2ELNS1_3repE0EEENS1_30default_config_static_selectorELNS0_4arch9wavefront6targetE1EEEvT1_,"axG",@progbits,_ZN7rocprim17ROCPRIM_400000_NS6detail17trampoline_kernelINS0_14default_configENS1_35adjacent_difference_config_selectorILb1ElEEZNS1_24adjacent_difference_implIS3_Lb1ELb0EPlS7_ZN2at6native12_GLOBAL__N_124unique_dim_cuda_templateIN3c108BFloat16EEESt5tupleIJNS8_6TensorESF_SF_EERKSF_lbbbEUlllE1_EE10hipError_tPvRmT2_T3_mT4_P12ihipStream_tbEUlT_E_NS1_11comp_targetILNS1_3genE8ELNS1_11target_archE1030ELNS1_3gpuE2ELNS1_3repE0EEENS1_30default_config_static_selectorELNS0_4arch9wavefront6targetE1EEEvT1_,comdat
	.globl	_ZN7rocprim17ROCPRIM_400000_NS6detail17trampoline_kernelINS0_14default_configENS1_35adjacent_difference_config_selectorILb1ElEEZNS1_24adjacent_difference_implIS3_Lb1ELb0EPlS7_ZN2at6native12_GLOBAL__N_124unique_dim_cuda_templateIN3c108BFloat16EEESt5tupleIJNS8_6TensorESF_SF_EERKSF_lbbbEUlllE1_EE10hipError_tPvRmT2_T3_mT4_P12ihipStream_tbEUlT_E_NS1_11comp_targetILNS1_3genE8ELNS1_11target_archE1030ELNS1_3gpuE2ELNS1_3repE0EEENS1_30default_config_static_selectorELNS0_4arch9wavefront6targetE1EEEvT1_ ; -- Begin function _ZN7rocprim17ROCPRIM_400000_NS6detail17trampoline_kernelINS0_14default_configENS1_35adjacent_difference_config_selectorILb1ElEEZNS1_24adjacent_difference_implIS3_Lb1ELb0EPlS7_ZN2at6native12_GLOBAL__N_124unique_dim_cuda_templateIN3c108BFloat16EEESt5tupleIJNS8_6TensorESF_SF_EERKSF_lbbbEUlllE1_EE10hipError_tPvRmT2_T3_mT4_P12ihipStream_tbEUlT_E_NS1_11comp_targetILNS1_3genE8ELNS1_11target_archE1030ELNS1_3gpuE2ELNS1_3repE0EEENS1_30default_config_static_selectorELNS0_4arch9wavefront6targetE1EEEvT1_
	.p2align	8
	.type	_ZN7rocprim17ROCPRIM_400000_NS6detail17trampoline_kernelINS0_14default_configENS1_35adjacent_difference_config_selectorILb1ElEEZNS1_24adjacent_difference_implIS3_Lb1ELb0EPlS7_ZN2at6native12_GLOBAL__N_124unique_dim_cuda_templateIN3c108BFloat16EEESt5tupleIJNS8_6TensorESF_SF_EERKSF_lbbbEUlllE1_EE10hipError_tPvRmT2_T3_mT4_P12ihipStream_tbEUlT_E_NS1_11comp_targetILNS1_3genE8ELNS1_11target_archE1030ELNS1_3gpuE2ELNS1_3repE0EEENS1_30default_config_static_selectorELNS0_4arch9wavefront6targetE1EEEvT1_,@function
_ZN7rocprim17ROCPRIM_400000_NS6detail17trampoline_kernelINS0_14default_configENS1_35adjacent_difference_config_selectorILb1ElEEZNS1_24adjacent_difference_implIS3_Lb1ELb0EPlS7_ZN2at6native12_GLOBAL__N_124unique_dim_cuda_templateIN3c108BFloat16EEESt5tupleIJNS8_6TensorESF_SF_EERKSF_lbbbEUlllE1_EE10hipError_tPvRmT2_T3_mT4_P12ihipStream_tbEUlT_E_NS1_11comp_targetILNS1_3genE8ELNS1_11target_archE1030ELNS1_3gpuE2ELNS1_3repE0EEENS1_30default_config_static_selectorELNS0_4arch9wavefront6targetE1EEEvT1_: ; @_ZN7rocprim17ROCPRIM_400000_NS6detail17trampoline_kernelINS0_14default_configENS1_35adjacent_difference_config_selectorILb1ElEEZNS1_24adjacent_difference_implIS3_Lb1ELb0EPlS7_ZN2at6native12_GLOBAL__N_124unique_dim_cuda_templateIN3c108BFloat16EEESt5tupleIJNS8_6TensorESF_SF_EERKSF_lbbbEUlllE1_EE10hipError_tPvRmT2_T3_mT4_P12ihipStream_tbEUlT_E_NS1_11comp_targetILNS1_3genE8ELNS1_11target_archE1030ELNS1_3gpuE2ELNS1_3repE0EEENS1_30default_config_static_selectorELNS0_4arch9wavefront6targetE1EEEvT1_
; %bb.0:
	.section	.rodata,"a",@progbits
	.p2align	6, 0x0
	.amdhsa_kernel _ZN7rocprim17ROCPRIM_400000_NS6detail17trampoline_kernelINS0_14default_configENS1_35adjacent_difference_config_selectorILb1ElEEZNS1_24adjacent_difference_implIS3_Lb1ELb0EPlS7_ZN2at6native12_GLOBAL__N_124unique_dim_cuda_templateIN3c108BFloat16EEESt5tupleIJNS8_6TensorESF_SF_EERKSF_lbbbEUlllE1_EE10hipError_tPvRmT2_T3_mT4_P12ihipStream_tbEUlT_E_NS1_11comp_targetILNS1_3genE8ELNS1_11target_archE1030ELNS1_3gpuE2ELNS1_3repE0EEENS1_30default_config_static_selectorELNS0_4arch9wavefront6targetE1EEEvT1_
		.amdhsa_group_segment_fixed_size 0
		.amdhsa_private_segment_fixed_size 0
		.amdhsa_kernarg_size 64
		.amdhsa_user_sgpr_count 2
		.amdhsa_user_sgpr_dispatch_ptr 0
		.amdhsa_user_sgpr_queue_ptr 0
		.amdhsa_user_sgpr_kernarg_segment_ptr 1
		.amdhsa_user_sgpr_dispatch_id 0
		.amdhsa_user_sgpr_kernarg_preload_length 0
		.amdhsa_user_sgpr_kernarg_preload_offset 0
		.amdhsa_user_sgpr_private_segment_size 0
		.amdhsa_uses_dynamic_stack 0
		.amdhsa_enable_private_segment 0
		.amdhsa_system_sgpr_workgroup_id_x 1
		.amdhsa_system_sgpr_workgroup_id_y 0
		.amdhsa_system_sgpr_workgroup_id_z 0
		.amdhsa_system_sgpr_workgroup_info 0
		.amdhsa_system_vgpr_workitem_id 0
		.amdhsa_next_free_vgpr 1
		.amdhsa_next_free_sgpr 0
		.amdhsa_accum_offset 4
		.amdhsa_reserve_vcc 0
		.amdhsa_float_round_mode_32 0
		.amdhsa_float_round_mode_16_64 0
		.amdhsa_float_denorm_mode_32 3
		.amdhsa_float_denorm_mode_16_64 3
		.amdhsa_dx10_clamp 1
		.amdhsa_ieee_mode 1
		.amdhsa_fp16_overflow 0
		.amdhsa_tg_split 0
		.amdhsa_exception_fp_ieee_invalid_op 0
		.amdhsa_exception_fp_denorm_src 0
		.amdhsa_exception_fp_ieee_div_zero 0
		.amdhsa_exception_fp_ieee_overflow 0
		.amdhsa_exception_fp_ieee_underflow 0
		.amdhsa_exception_fp_ieee_inexact 0
		.amdhsa_exception_int_div_zero 0
	.end_amdhsa_kernel
	.section	.text._ZN7rocprim17ROCPRIM_400000_NS6detail17trampoline_kernelINS0_14default_configENS1_35adjacent_difference_config_selectorILb1ElEEZNS1_24adjacent_difference_implIS3_Lb1ELb0EPlS7_ZN2at6native12_GLOBAL__N_124unique_dim_cuda_templateIN3c108BFloat16EEESt5tupleIJNS8_6TensorESF_SF_EERKSF_lbbbEUlllE1_EE10hipError_tPvRmT2_T3_mT4_P12ihipStream_tbEUlT_E_NS1_11comp_targetILNS1_3genE8ELNS1_11target_archE1030ELNS1_3gpuE2ELNS1_3repE0EEENS1_30default_config_static_selectorELNS0_4arch9wavefront6targetE1EEEvT1_,"axG",@progbits,_ZN7rocprim17ROCPRIM_400000_NS6detail17trampoline_kernelINS0_14default_configENS1_35adjacent_difference_config_selectorILb1ElEEZNS1_24adjacent_difference_implIS3_Lb1ELb0EPlS7_ZN2at6native12_GLOBAL__N_124unique_dim_cuda_templateIN3c108BFloat16EEESt5tupleIJNS8_6TensorESF_SF_EERKSF_lbbbEUlllE1_EE10hipError_tPvRmT2_T3_mT4_P12ihipStream_tbEUlT_E_NS1_11comp_targetILNS1_3genE8ELNS1_11target_archE1030ELNS1_3gpuE2ELNS1_3repE0EEENS1_30default_config_static_selectorELNS0_4arch9wavefront6targetE1EEEvT1_,comdat
.Lfunc_end1181:
	.size	_ZN7rocprim17ROCPRIM_400000_NS6detail17trampoline_kernelINS0_14default_configENS1_35adjacent_difference_config_selectorILb1ElEEZNS1_24adjacent_difference_implIS3_Lb1ELb0EPlS7_ZN2at6native12_GLOBAL__N_124unique_dim_cuda_templateIN3c108BFloat16EEESt5tupleIJNS8_6TensorESF_SF_EERKSF_lbbbEUlllE1_EE10hipError_tPvRmT2_T3_mT4_P12ihipStream_tbEUlT_E_NS1_11comp_targetILNS1_3genE8ELNS1_11target_archE1030ELNS1_3gpuE2ELNS1_3repE0EEENS1_30default_config_static_selectorELNS0_4arch9wavefront6targetE1EEEvT1_, .Lfunc_end1181-_ZN7rocprim17ROCPRIM_400000_NS6detail17trampoline_kernelINS0_14default_configENS1_35adjacent_difference_config_selectorILb1ElEEZNS1_24adjacent_difference_implIS3_Lb1ELb0EPlS7_ZN2at6native12_GLOBAL__N_124unique_dim_cuda_templateIN3c108BFloat16EEESt5tupleIJNS8_6TensorESF_SF_EERKSF_lbbbEUlllE1_EE10hipError_tPvRmT2_T3_mT4_P12ihipStream_tbEUlT_E_NS1_11comp_targetILNS1_3genE8ELNS1_11target_archE1030ELNS1_3gpuE2ELNS1_3repE0EEENS1_30default_config_static_selectorELNS0_4arch9wavefront6targetE1EEEvT1_
                                        ; -- End function
	.section	.AMDGPU.csdata,"",@progbits
; Kernel info:
; codeLenInByte = 0
; NumSgprs: 6
; NumVgprs: 0
; NumAgprs: 0
; TotalNumVgprs: 0
; ScratchSize: 0
; MemoryBound: 0
; FloatMode: 240
; IeeeMode: 1
; LDSByteSize: 0 bytes/workgroup (compile time only)
; SGPRBlocks: 0
; VGPRBlocks: 0
; NumSGPRsForWavesPerEU: 6
; NumVGPRsForWavesPerEU: 1
; AccumOffset: 4
; Occupancy: 8
; WaveLimiterHint : 0
; COMPUTE_PGM_RSRC2:SCRATCH_EN: 0
; COMPUTE_PGM_RSRC2:USER_SGPR: 2
; COMPUTE_PGM_RSRC2:TRAP_HANDLER: 0
; COMPUTE_PGM_RSRC2:TGID_X_EN: 1
; COMPUTE_PGM_RSRC2:TGID_Y_EN: 0
; COMPUTE_PGM_RSRC2:TGID_Z_EN: 0
; COMPUTE_PGM_RSRC2:TIDIG_COMP_CNT: 0
; COMPUTE_PGM_RSRC3_GFX90A:ACCUM_OFFSET: 0
; COMPUTE_PGM_RSRC3_GFX90A:TG_SPLIT: 0
	.section	.text._ZN7rocprim17ROCPRIM_400000_NS6detail17trampoline_kernelINS0_14default_configENS1_25partition_config_selectorILNS1_17partition_subalgoE8ElNS0_10empty_typeEbEEZZNS1_14partition_implILS5_8ELb0ES3_jPlPS6_PKS6_NS0_5tupleIJS9_S6_EEENSD_IJSA_SA_EEENS0_18inequality_wrapperIZN2at6native12_GLOBAL__N_124unique_dim_cuda_templateIN3c108BFloat16EEESt5tupleIJNSH_6TensorESO_SO_EERKSO_lbbbEUlllE0_EEPmJS6_EEE10hipError_tPvRmT3_T4_T5_T6_T7_T9_mT8_P12ihipStream_tbDpT10_ENKUlT_T0_E_clISt17integral_constantIbLb0EES1E_EEDaS19_S1A_EUlS19_E_NS1_11comp_targetILNS1_3genE0ELNS1_11target_archE4294967295ELNS1_3gpuE0ELNS1_3repE0EEENS1_30default_config_static_selectorELNS0_4arch9wavefront6targetE1EEEvT1_,"axG",@progbits,_ZN7rocprim17ROCPRIM_400000_NS6detail17trampoline_kernelINS0_14default_configENS1_25partition_config_selectorILNS1_17partition_subalgoE8ElNS0_10empty_typeEbEEZZNS1_14partition_implILS5_8ELb0ES3_jPlPS6_PKS6_NS0_5tupleIJS9_S6_EEENSD_IJSA_SA_EEENS0_18inequality_wrapperIZN2at6native12_GLOBAL__N_124unique_dim_cuda_templateIN3c108BFloat16EEESt5tupleIJNSH_6TensorESO_SO_EERKSO_lbbbEUlllE0_EEPmJS6_EEE10hipError_tPvRmT3_T4_T5_T6_T7_T9_mT8_P12ihipStream_tbDpT10_ENKUlT_T0_E_clISt17integral_constantIbLb0EES1E_EEDaS19_S1A_EUlS19_E_NS1_11comp_targetILNS1_3genE0ELNS1_11target_archE4294967295ELNS1_3gpuE0ELNS1_3repE0EEENS1_30default_config_static_selectorELNS0_4arch9wavefront6targetE1EEEvT1_,comdat
	.globl	_ZN7rocprim17ROCPRIM_400000_NS6detail17trampoline_kernelINS0_14default_configENS1_25partition_config_selectorILNS1_17partition_subalgoE8ElNS0_10empty_typeEbEEZZNS1_14partition_implILS5_8ELb0ES3_jPlPS6_PKS6_NS0_5tupleIJS9_S6_EEENSD_IJSA_SA_EEENS0_18inequality_wrapperIZN2at6native12_GLOBAL__N_124unique_dim_cuda_templateIN3c108BFloat16EEESt5tupleIJNSH_6TensorESO_SO_EERKSO_lbbbEUlllE0_EEPmJS6_EEE10hipError_tPvRmT3_T4_T5_T6_T7_T9_mT8_P12ihipStream_tbDpT10_ENKUlT_T0_E_clISt17integral_constantIbLb0EES1E_EEDaS19_S1A_EUlS19_E_NS1_11comp_targetILNS1_3genE0ELNS1_11target_archE4294967295ELNS1_3gpuE0ELNS1_3repE0EEENS1_30default_config_static_selectorELNS0_4arch9wavefront6targetE1EEEvT1_ ; -- Begin function _ZN7rocprim17ROCPRIM_400000_NS6detail17trampoline_kernelINS0_14default_configENS1_25partition_config_selectorILNS1_17partition_subalgoE8ElNS0_10empty_typeEbEEZZNS1_14partition_implILS5_8ELb0ES3_jPlPS6_PKS6_NS0_5tupleIJS9_S6_EEENSD_IJSA_SA_EEENS0_18inequality_wrapperIZN2at6native12_GLOBAL__N_124unique_dim_cuda_templateIN3c108BFloat16EEESt5tupleIJNSH_6TensorESO_SO_EERKSO_lbbbEUlllE0_EEPmJS6_EEE10hipError_tPvRmT3_T4_T5_T6_T7_T9_mT8_P12ihipStream_tbDpT10_ENKUlT_T0_E_clISt17integral_constantIbLb0EES1E_EEDaS19_S1A_EUlS19_E_NS1_11comp_targetILNS1_3genE0ELNS1_11target_archE4294967295ELNS1_3gpuE0ELNS1_3repE0EEENS1_30default_config_static_selectorELNS0_4arch9wavefront6targetE1EEEvT1_
	.p2align	8
	.type	_ZN7rocprim17ROCPRIM_400000_NS6detail17trampoline_kernelINS0_14default_configENS1_25partition_config_selectorILNS1_17partition_subalgoE8ElNS0_10empty_typeEbEEZZNS1_14partition_implILS5_8ELb0ES3_jPlPS6_PKS6_NS0_5tupleIJS9_S6_EEENSD_IJSA_SA_EEENS0_18inequality_wrapperIZN2at6native12_GLOBAL__N_124unique_dim_cuda_templateIN3c108BFloat16EEESt5tupleIJNSH_6TensorESO_SO_EERKSO_lbbbEUlllE0_EEPmJS6_EEE10hipError_tPvRmT3_T4_T5_T6_T7_T9_mT8_P12ihipStream_tbDpT10_ENKUlT_T0_E_clISt17integral_constantIbLb0EES1E_EEDaS19_S1A_EUlS19_E_NS1_11comp_targetILNS1_3genE0ELNS1_11target_archE4294967295ELNS1_3gpuE0ELNS1_3repE0EEENS1_30default_config_static_selectorELNS0_4arch9wavefront6targetE1EEEvT1_,@function
_ZN7rocprim17ROCPRIM_400000_NS6detail17trampoline_kernelINS0_14default_configENS1_25partition_config_selectorILNS1_17partition_subalgoE8ElNS0_10empty_typeEbEEZZNS1_14partition_implILS5_8ELb0ES3_jPlPS6_PKS6_NS0_5tupleIJS9_S6_EEENSD_IJSA_SA_EEENS0_18inequality_wrapperIZN2at6native12_GLOBAL__N_124unique_dim_cuda_templateIN3c108BFloat16EEESt5tupleIJNSH_6TensorESO_SO_EERKSO_lbbbEUlllE0_EEPmJS6_EEE10hipError_tPvRmT3_T4_T5_T6_T7_T9_mT8_P12ihipStream_tbDpT10_ENKUlT_T0_E_clISt17integral_constantIbLb0EES1E_EEDaS19_S1A_EUlS19_E_NS1_11comp_targetILNS1_3genE0ELNS1_11target_archE4294967295ELNS1_3gpuE0ELNS1_3repE0EEENS1_30default_config_static_selectorELNS0_4arch9wavefront6targetE1EEEvT1_: ; @_ZN7rocprim17ROCPRIM_400000_NS6detail17trampoline_kernelINS0_14default_configENS1_25partition_config_selectorILNS1_17partition_subalgoE8ElNS0_10empty_typeEbEEZZNS1_14partition_implILS5_8ELb0ES3_jPlPS6_PKS6_NS0_5tupleIJS9_S6_EEENSD_IJSA_SA_EEENS0_18inequality_wrapperIZN2at6native12_GLOBAL__N_124unique_dim_cuda_templateIN3c108BFloat16EEESt5tupleIJNSH_6TensorESO_SO_EERKSO_lbbbEUlllE0_EEPmJS6_EEE10hipError_tPvRmT3_T4_T5_T6_T7_T9_mT8_P12ihipStream_tbDpT10_ENKUlT_T0_E_clISt17integral_constantIbLb0EES1E_EEDaS19_S1A_EUlS19_E_NS1_11comp_targetILNS1_3genE0ELNS1_11target_archE4294967295ELNS1_3gpuE0ELNS1_3repE0EEENS1_30default_config_static_selectorELNS0_4arch9wavefront6targetE1EEEvT1_
; %bb.0:
	.section	.rodata,"a",@progbits
	.p2align	6, 0x0
	.amdhsa_kernel _ZN7rocprim17ROCPRIM_400000_NS6detail17trampoline_kernelINS0_14default_configENS1_25partition_config_selectorILNS1_17partition_subalgoE8ElNS0_10empty_typeEbEEZZNS1_14partition_implILS5_8ELb0ES3_jPlPS6_PKS6_NS0_5tupleIJS9_S6_EEENSD_IJSA_SA_EEENS0_18inequality_wrapperIZN2at6native12_GLOBAL__N_124unique_dim_cuda_templateIN3c108BFloat16EEESt5tupleIJNSH_6TensorESO_SO_EERKSO_lbbbEUlllE0_EEPmJS6_EEE10hipError_tPvRmT3_T4_T5_T6_T7_T9_mT8_P12ihipStream_tbDpT10_ENKUlT_T0_E_clISt17integral_constantIbLb0EES1E_EEDaS19_S1A_EUlS19_E_NS1_11comp_targetILNS1_3genE0ELNS1_11target_archE4294967295ELNS1_3gpuE0ELNS1_3repE0EEENS1_30default_config_static_selectorELNS0_4arch9wavefront6targetE1EEEvT1_
		.amdhsa_group_segment_fixed_size 0
		.amdhsa_private_segment_fixed_size 0
		.amdhsa_kernarg_size 120
		.amdhsa_user_sgpr_count 2
		.amdhsa_user_sgpr_dispatch_ptr 0
		.amdhsa_user_sgpr_queue_ptr 0
		.amdhsa_user_sgpr_kernarg_segment_ptr 1
		.amdhsa_user_sgpr_dispatch_id 0
		.amdhsa_user_sgpr_kernarg_preload_length 0
		.amdhsa_user_sgpr_kernarg_preload_offset 0
		.amdhsa_user_sgpr_private_segment_size 0
		.amdhsa_uses_dynamic_stack 0
		.amdhsa_enable_private_segment 0
		.amdhsa_system_sgpr_workgroup_id_x 1
		.amdhsa_system_sgpr_workgroup_id_y 0
		.amdhsa_system_sgpr_workgroup_id_z 0
		.amdhsa_system_sgpr_workgroup_info 0
		.amdhsa_system_vgpr_workitem_id 0
		.amdhsa_next_free_vgpr 1
		.amdhsa_next_free_sgpr 0
		.amdhsa_accum_offset 4
		.amdhsa_reserve_vcc 0
		.amdhsa_float_round_mode_32 0
		.amdhsa_float_round_mode_16_64 0
		.amdhsa_float_denorm_mode_32 3
		.amdhsa_float_denorm_mode_16_64 3
		.amdhsa_dx10_clamp 1
		.amdhsa_ieee_mode 1
		.amdhsa_fp16_overflow 0
		.amdhsa_tg_split 0
		.amdhsa_exception_fp_ieee_invalid_op 0
		.amdhsa_exception_fp_denorm_src 0
		.amdhsa_exception_fp_ieee_div_zero 0
		.amdhsa_exception_fp_ieee_overflow 0
		.amdhsa_exception_fp_ieee_underflow 0
		.amdhsa_exception_fp_ieee_inexact 0
		.amdhsa_exception_int_div_zero 0
	.end_amdhsa_kernel
	.section	.text._ZN7rocprim17ROCPRIM_400000_NS6detail17trampoline_kernelINS0_14default_configENS1_25partition_config_selectorILNS1_17partition_subalgoE8ElNS0_10empty_typeEbEEZZNS1_14partition_implILS5_8ELb0ES3_jPlPS6_PKS6_NS0_5tupleIJS9_S6_EEENSD_IJSA_SA_EEENS0_18inequality_wrapperIZN2at6native12_GLOBAL__N_124unique_dim_cuda_templateIN3c108BFloat16EEESt5tupleIJNSH_6TensorESO_SO_EERKSO_lbbbEUlllE0_EEPmJS6_EEE10hipError_tPvRmT3_T4_T5_T6_T7_T9_mT8_P12ihipStream_tbDpT10_ENKUlT_T0_E_clISt17integral_constantIbLb0EES1E_EEDaS19_S1A_EUlS19_E_NS1_11comp_targetILNS1_3genE0ELNS1_11target_archE4294967295ELNS1_3gpuE0ELNS1_3repE0EEENS1_30default_config_static_selectorELNS0_4arch9wavefront6targetE1EEEvT1_,"axG",@progbits,_ZN7rocprim17ROCPRIM_400000_NS6detail17trampoline_kernelINS0_14default_configENS1_25partition_config_selectorILNS1_17partition_subalgoE8ElNS0_10empty_typeEbEEZZNS1_14partition_implILS5_8ELb0ES3_jPlPS6_PKS6_NS0_5tupleIJS9_S6_EEENSD_IJSA_SA_EEENS0_18inequality_wrapperIZN2at6native12_GLOBAL__N_124unique_dim_cuda_templateIN3c108BFloat16EEESt5tupleIJNSH_6TensorESO_SO_EERKSO_lbbbEUlllE0_EEPmJS6_EEE10hipError_tPvRmT3_T4_T5_T6_T7_T9_mT8_P12ihipStream_tbDpT10_ENKUlT_T0_E_clISt17integral_constantIbLb0EES1E_EEDaS19_S1A_EUlS19_E_NS1_11comp_targetILNS1_3genE0ELNS1_11target_archE4294967295ELNS1_3gpuE0ELNS1_3repE0EEENS1_30default_config_static_selectorELNS0_4arch9wavefront6targetE1EEEvT1_,comdat
.Lfunc_end1182:
	.size	_ZN7rocprim17ROCPRIM_400000_NS6detail17trampoline_kernelINS0_14default_configENS1_25partition_config_selectorILNS1_17partition_subalgoE8ElNS0_10empty_typeEbEEZZNS1_14partition_implILS5_8ELb0ES3_jPlPS6_PKS6_NS0_5tupleIJS9_S6_EEENSD_IJSA_SA_EEENS0_18inequality_wrapperIZN2at6native12_GLOBAL__N_124unique_dim_cuda_templateIN3c108BFloat16EEESt5tupleIJNSH_6TensorESO_SO_EERKSO_lbbbEUlllE0_EEPmJS6_EEE10hipError_tPvRmT3_T4_T5_T6_T7_T9_mT8_P12ihipStream_tbDpT10_ENKUlT_T0_E_clISt17integral_constantIbLb0EES1E_EEDaS19_S1A_EUlS19_E_NS1_11comp_targetILNS1_3genE0ELNS1_11target_archE4294967295ELNS1_3gpuE0ELNS1_3repE0EEENS1_30default_config_static_selectorELNS0_4arch9wavefront6targetE1EEEvT1_, .Lfunc_end1182-_ZN7rocprim17ROCPRIM_400000_NS6detail17trampoline_kernelINS0_14default_configENS1_25partition_config_selectorILNS1_17partition_subalgoE8ElNS0_10empty_typeEbEEZZNS1_14partition_implILS5_8ELb0ES3_jPlPS6_PKS6_NS0_5tupleIJS9_S6_EEENSD_IJSA_SA_EEENS0_18inequality_wrapperIZN2at6native12_GLOBAL__N_124unique_dim_cuda_templateIN3c108BFloat16EEESt5tupleIJNSH_6TensorESO_SO_EERKSO_lbbbEUlllE0_EEPmJS6_EEE10hipError_tPvRmT3_T4_T5_T6_T7_T9_mT8_P12ihipStream_tbDpT10_ENKUlT_T0_E_clISt17integral_constantIbLb0EES1E_EEDaS19_S1A_EUlS19_E_NS1_11comp_targetILNS1_3genE0ELNS1_11target_archE4294967295ELNS1_3gpuE0ELNS1_3repE0EEENS1_30default_config_static_selectorELNS0_4arch9wavefront6targetE1EEEvT1_
                                        ; -- End function
	.section	.AMDGPU.csdata,"",@progbits
; Kernel info:
; codeLenInByte = 0
; NumSgprs: 6
; NumVgprs: 0
; NumAgprs: 0
; TotalNumVgprs: 0
; ScratchSize: 0
; MemoryBound: 0
; FloatMode: 240
; IeeeMode: 1
; LDSByteSize: 0 bytes/workgroup (compile time only)
; SGPRBlocks: 0
; VGPRBlocks: 0
; NumSGPRsForWavesPerEU: 6
; NumVGPRsForWavesPerEU: 1
; AccumOffset: 4
; Occupancy: 8
; WaveLimiterHint : 0
; COMPUTE_PGM_RSRC2:SCRATCH_EN: 0
; COMPUTE_PGM_RSRC2:USER_SGPR: 2
; COMPUTE_PGM_RSRC2:TRAP_HANDLER: 0
; COMPUTE_PGM_RSRC2:TGID_X_EN: 1
; COMPUTE_PGM_RSRC2:TGID_Y_EN: 0
; COMPUTE_PGM_RSRC2:TGID_Z_EN: 0
; COMPUTE_PGM_RSRC2:TIDIG_COMP_CNT: 0
; COMPUTE_PGM_RSRC3_GFX90A:ACCUM_OFFSET: 0
; COMPUTE_PGM_RSRC3_GFX90A:TG_SPLIT: 0
	.section	.text._ZN7rocprim17ROCPRIM_400000_NS6detail17trampoline_kernelINS0_14default_configENS1_25partition_config_selectorILNS1_17partition_subalgoE8ElNS0_10empty_typeEbEEZZNS1_14partition_implILS5_8ELb0ES3_jPlPS6_PKS6_NS0_5tupleIJS9_S6_EEENSD_IJSA_SA_EEENS0_18inequality_wrapperIZN2at6native12_GLOBAL__N_124unique_dim_cuda_templateIN3c108BFloat16EEESt5tupleIJNSH_6TensorESO_SO_EERKSO_lbbbEUlllE0_EEPmJS6_EEE10hipError_tPvRmT3_T4_T5_T6_T7_T9_mT8_P12ihipStream_tbDpT10_ENKUlT_T0_E_clISt17integral_constantIbLb0EES1E_EEDaS19_S1A_EUlS19_E_NS1_11comp_targetILNS1_3genE5ELNS1_11target_archE942ELNS1_3gpuE9ELNS1_3repE0EEENS1_30default_config_static_selectorELNS0_4arch9wavefront6targetE1EEEvT1_,"axG",@progbits,_ZN7rocprim17ROCPRIM_400000_NS6detail17trampoline_kernelINS0_14default_configENS1_25partition_config_selectorILNS1_17partition_subalgoE8ElNS0_10empty_typeEbEEZZNS1_14partition_implILS5_8ELb0ES3_jPlPS6_PKS6_NS0_5tupleIJS9_S6_EEENSD_IJSA_SA_EEENS0_18inequality_wrapperIZN2at6native12_GLOBAL__N_124unique_dim_cuda_templateIN3c108BFloat16EEESt5tupleIJNSH_6TensorESO_SO_EERKSO_lbbbEUlllE0_EEPmJS6_EEE10hipError_tPvRmT3_T4_T5_T6_T7_T9_mT8_P12ihipStream_tbDpT10_ENKUlT_T0_E_clISt17integral_constantIbLb0EES1E_EEDaS19_S1A_EUlS19_E_NS1_11comp_targetILNS1_3genE5ELNS1_11target_archE942ELNS1_3gpuE9ELNS1_3repE0EEENS1_30default_config_static_selectorELNS0_4arch9wavefront6targetE1EEEvT1_,comdat
	.globl	_ZN7rocprim17ROCPRIM_400000_NS6detail17trampoline_kernelINS0_14default_configENS1_25partition_config_selectorILNS1_17partition_subalgoE8ElNS0_10empty_typeEbEEZZNS1_14partition_implILS5_8ELb0ES3_jPlPS6_PKS6_NS0_5tupleIJS9_S6_EEENSD_IJSA_SA_EEENS0_18inequality_wrapperIZN2at6native12_GLOBAL__N_124unique_dim_cuda_templateIN3c108BFloat16EEESt5tupleIJNSH_6TensorESO_SO_EERKSO_lbbbEUlllE0_EEPmJS6_EEE10hipError_tPvRmT3_T4_T5_T6_T7_T9_mT8_P12ihipStream_tbDpT10_ENKUlT_T0_E_clISt17integral_constantIbLb0EES1E_EEDaS19_S1A_EUlS19_E_NS1_11comp_targetILNS1_3genE5ELNS1_11target_archE942ELNS1_3gpuE9ELNS1_3repE0EEENS1_30default_config_static_selectorELNS0_4arch9wavefront6targetE1EEEvT1_ ; -- Begin function _ZN7rocprim17ROCPRIM_400000_NS6detail17trampoline_kernelINS0_14default_configENS1_25partition_config_selectorILNS1_17partition_subalgoE8ElNS0_10empty_typeEbEEZZNS1_14partition_implILS5_8ELb0ES3_jPlPS6_PKS6_NS0_5tupleIJS9_S6_EEENSD_IJSA_SA_EEENS0_18inequality_wrapperIZN2at6native12_GLOBAL__N_124unique_dim_cuda_templateIN3c108BFloat16EEESt5tupleIJNSH_6TensorESO_SO_EERKSO_lbbbEUlllE0_EEPmJS6_EEE10hipError_tPvRmT3_T4_T5_T6_T7_T9_mT8_P12ihipStream_tbDpT10_ENKUlT_T0_E_clISt17integral_constantIbLb0EES1E_EEDaS19_S1A_EUlS19_E_NS1_11comp_targetILNS1_3genE5ELNS1_11target_archE942ELNS1_3gpuE9ELNS1_3repE0EEENS1_30default_config_static_selectorELNS0_4arch9wavefront6targetE1EEEvT1_
	.p2align	8
	.type	_ZN7rocprim17ROCPRIM_400000_NS6detail17trampoline_kernelINS0_14default_configENS1_25partition_config_selectorILNS1_17partition_subalgoE8ElNS0_10empty_typeEbEEZZNS1_14partition_implILS5_8ELb0ES3_jPlPS6_PKS6_NS0_5tupleIJS9_S6_EEENSD_IJSA_SA_EEENS0_18inequality_wrapperIZN2at6native12_GLOBAL__N_124unique_dim_cuda_templateIN3c108BFloat16EEESt5tupleIJNSH_6TensorESO_SO_EERKSO_lbbbEUlllE0_EEPmJS6_EEE10hipError_tPvRmT3_T4_T5_T6_T7_T9_mT8_P12ihipStream_tbDpT10_ENKUlT_T0_E_clISt17integral_constantIbLb0EES1E_EEDaS19_S1A_EUlS19_E_NS1_11comp_targetILNS1_3genE5ELNS1_11target_archE942ELNS1_3gpuE9ELNS1_3repE0EEENS1_30default_config_static_selectorELNS0_4arch9wavefront6targetE1EEEvT1_,@function
_ZN7rocprim17ROCPRIM_400000_NS6detail17trampoline_kernelINS0_14default_configENS1_25partition_config_selectorILNS1_17partition_subalgoE8ElNS0_10empty_typeEbEEZZNS1_14partition_implILS5_8ELb0ES3_jPlPS6_PKS6_NS0_5tupleIJS9_S6_EEENSD_IJSA_SA_EEENS0_18inequality_wrapperIZN2at6native12_GLOBAL__N_124unique_dim_cuda_templateIN3c108BFloat16EEESt5tupleIJNSH_6TensorESO_SO_EERKSO_lbbbEUlllE0_EEPmJS6_EEE10hipError_tPvRmT3_T4_T5_T6_T7_T9_mT8_P12ihipStream_tbDpT10_ENKUlT_T0_E_clISt17integral_constantIbLb0EES1E_EEDaS19_S1A_EUlS19_E_NS1_11comp_targetILNS1_3genE5ELNS1_11target_archE942ELNS1_3gpuE9ELNS1_3repE0EEENS1_30default_config_static_selectorELNS0_4arch9wavefront6targetE1EEEvT1_: ; @_ZN7rocprim17ROCPRIM_400000_NS6detail17trampoline_kernelINS0_14default_configENS1_25partition_config_selectorILNS1_17partition_subalgoE8ElNS0_10empty_typeEbEEZZNS1_14partition_implILS5_8ELb0ES3_jPlPS6_PKS6_NS0_5tupleIJS9_S6_EEENSD_IJSA_SA_EEENS0_18inequality_wrapperIZN2at6native12_GLOBAL__N_124unique_dim_cuda_templateIN3c108BFloat16EEESt5tupleIJNSH_6TensorESO_SO_EERKSO_lbbbEUlllE0_EEPmJS6_EEE10hipError_tPvRmT3_T4_T5_T6_T7_T9_mT8_P12ihipStream_tbDpT10_ENKUlT_T0_E_clISt17integral_constantIbLb0EES1E_EEDaS19_S1A_EUlS19_E_NS1_11comp_targetILNS1_3genE5ELNS1_11target_archE942ELNS1_3gpuE9ELNS1_3repE0EEENS1_30default_config_static_selectorELNS0_4arch9wavefront6targetE1EEEvT1_
; %bb.0:
	s_load_dwordx8 s[20:27], s[0:1], 0x40
	s_load_dwordx4 s[4:7], s[0:1], 0x8
	s_load_dwordx4 s[28:31], s[0:1], 0x60
	s_load_dword s3, s[0:1], 0x70
	s_waitcnt lgkmcnt(0)
	v_mov_b32_e32 v2, s24
	s_lshl_b64 s[8:9], s[6:7], 3
	s_add_u32 s12, s4, s8
	s_mul_i32 s8, s3, 0xe00
	s_addc_u32 s13, s5, s9
	s_add_i32 s10, s3, -1
	s_add_i32 s3, s8, s6
	s_sub_i32 s3, s24, s3
	s_add_u32 s8, s6, s8
	s_addc_u32 s9, s7, 0
	v_mov_b32_e32 v3, s25
	s_cmp_eq_u32 s2, s10
	s_load_dwordx2 s[22:23], s[22:23], 0x0
	v_cmp_ge_u64_e32 vcc, s[8:9], v[2:3]
	s_cselect_b64 s[24:25], -1, 0
	s_mul_i32 s4, s2, 0xe00
	s_mov_b32 s5, 0
	s_and_b64 s[8:9], s[24:25], vcc
	s_xor_b64 s[34:35], s[8:9], -1
	s_lshl_b64 s[4:5], s[4:5], 3
	s_add_u32 s4, s12, s4
	s_mov_b64 s[10:11], -1
	s_addc_u32 s5, s13, s5
	s_and_b64 vcc, exec, s[34:35]
	s_cbranch_vccz .LBB1183_2
; %bb.1:
	v_lshlrev_b32_e32 v2, 3, v0
	v_mov_b32_e32 v3, 0
	v_lshl_add_u64 v[4:5], s[4:5], 0, v[2:3]
	v_add_co_u32_e32 v8, vcc, 0x1000, v4
	global_load_dwordx2 v[6:7], v2, s[4:5]
	s_nop 0
	v_addc_co_u32_e32 v9, vcc, 0, v5, vcc
	v_add_co_u32_e32 v10, vcc, 0x2000, v4
	s_mov_b64 s[10:11], 0
	s_nop 0
	v_addc_co_u32_e32 v11, vcc, 0, v5, vcc
	v_add_co_u32_e32 v12, vcc, 0x3000, v4
	s_nop 1
	v_addc_co_u32_e32 v13, vcc, 0, v5, vcc
	v_add_co_u32_e32 v14, vcc, 0x4000, v4
	s_nop 1
	v_addc_co_u32_e32 v15, vcc, 0, v5, vcc
	global_load_dwordx2 v[16:17], v[8:9], off
	global_load_dwordx2 v[18:19], v[10:11], off
	;; [unrolled: 1-line block ×4, first 2 shown]
	v_add_co_u32_e32 v8, vcc, 0x5000, v4
	s_nop 1
	v_addc_co_u32_e32 v9, vcc, 0, v5, vcc
	v_add_co_u32_e32 v4, vcc, 0x6000, v4
	global_load_dwordx2 v[8:9], v[8:9], off
	s_nop 0
	v_addc_co_u32_e32 v5, vcc, 0, v5, vcc
	global_load_dwordx2 v[4:5], v[4:5], off
	s_waitcnt vmcnt(5)
	ds_write2st64_b64 v2, v[6:7], v[16:17] offset1:8
	s_waitcnt vmcnt(3)
	ds_write2st64_b64 v2, v[18:19], v[20:21] offset0:16 offset1:24
	s_waitcnt vmcnt(1)
	ds_write2st64_b64 v2, v[22:23], v[8:9] offset0:32 offset1:40
	s_waitcnt vmcnt(0)
	ds_write_b64 v2, v[4:5] offset:24576
	s_waitcnt lgkmcnt(0)
	s_barrier
.LBB1183_2:
	s_andn2_b64 vcc, exec, s[10:11]
	s_addk_i32 s3, 0xe00
	s_cbranch_vccnz .LBB1183_18
; %bb.3:
	v_cmp_gt_u32_e32 vcc, s3, v0
                                        ; implicit-def: $vgpr2_vgpr3_vgpr4_vgpr5_vgpr6_vgpr7_vgpr8_vgpr9_vgpr10_vgpr11_vgpr12_vgpr13_vgpr14_vgpr15_vgpr16_vgpr17
	s_and_saveexec_b64 s[10:11], vcc
	s_cbranch_execz .LBB1183_5
; %bb.4:
	v_lshlrev_b32_e32 v1, 3, v0
	global_load_dwordx2 v[2:3], v1, s[4:5]
.LBB1183_5:
	s_or_b64 exec, exec, s[10:11]
	v_or_b32_e32 v1, 0x200, v0
	v_cmp_gt_u32_e32 vcc, s3, v1
	s_and_saveexec_b64 s[10:11], vcc
	s_cbranch_execz .LBB1183_7
; %bb.6:
	v_lshlrev_b32_e32 v1, 3, v1
	global_load_dwordx2 v[4:5], v1, s[4:5]
.LBB1183_7:
	s_or_b64 exec, exec, s[10:11]
	v_or_b32_e32 v1, 0x400, v0
	v_cmp_gt_u32_e32 vcc, s3, v1
	;; [unrolled: 9-line block ×6, first 2 shown]
	s_and_saveexec_b64 s[10:11], vcc
	s_cbranch_execz .LBB1183_17
; %bb.16:
	v_lshlrev_b32_e32 v1, 3, v1
	global_load_dwordx2 v[14:15], v1, s[4:5]
.LBB1183_17:
	s_or_b64 exec, exec, s[10:11]
	v_lshlrev_b32_e32 v1, 3, v0
	s_waitcnt vmcnt(0)
	ds_write2st64_b64 v1, v[2:3], v[4:5] offset1:8
	ds_write2st64_b64 v1, v[6:7], v[8:9] offset0:16 offset1:24
	ds_write2st64_b64 v1, v[10:11], v[12:13] offset0:32 offset1:40
	ds_write_b64 v1, v[14:15] offset:24576
	s_waitcnt lgkmcnt(0)
	s_barrier
.LBB1183_18:
	v_mul_u32_u24_e32 v1, 7, v0
	v_lshlrev_b32_e32 v30, 3, v1
	s_waitcnt lgkmcnt(0)
	ds_read2_b64 v[10:13], v30 offset1:1
	ds_read2_b64 v[6:9], v30 offset0:2 offset1:3
	ds_read2_b64 v[2:5], v30 offset0:4 offset1:5
	ds_read_b64 v[14:15], v30 offset:48
	s_cmp_lg_u32 s2, 0
	s_cselect_b64 s[16:17], -1, 0
	s_cmp_lg_u64 s[6:7], 0
	s_cselect_b64 s[6:7], -1, 0
	s_or_b64 s[6:7], s[16:17], s[6:7]
	v_mad_u32_u24 v25, v0, 7, 1
	v_mad_u32_u24 v24, v0, 7, 2
	;; [unrolled: 1-line block ×6, first 2 shown]
	s_mov_b64 s[10:11], 0
	s_and_b64 vcc, exec, s[6:7]
	v_cmp_gt_i64_e64 s[12:13], s[26:27], 0
	s_waitcnt lgkmcnt(0)
	s_barrier
	s_cbranch_vccz .LBB1183_27
; %bb.19:
	s_add_u32 s4, s4, -8
	s_addc_u32 s5, s5, -1
	s_load_dwordx2 s[6:7], s[4:5], 0x0
	v_cndmask_b32_e64 v16, 0, 1, s[12:13]
	v_lshlrev_b32_e32 v31, 3, v0
	s_and_b64 vcc, exec, s[34:35]
	v_cmp_ne_u32_e64 s[4:5], 1, v16
	ds_write_b64 v31, v[14:15]
	s_cbranch_vccz .LBB1183_29
; %bb.20:
	v_mul_lo_u32 v18, v5, s26
	v_mul_lo_u32 v19, v4, s27
	v_mad_u64_u32 v[16:17], s[12:13], v4, s26, 0
	v_add3_u32 v17, v17, v19, v18
	s_and_b64 vcc, exec, s[4:5]
	v_lshl_add_u64 v[16:17], v[16:17], 1, s[28:29]
	s_cbranch_vccnz .LBB1183_32
; %bb.21:
	v_mul_lo_u32 v20, v15, s26
	v_mul_lo_u32 v21, v14, s27
	v_mad_u64_u32 v[18:19], s[10:11], v14, s26, 0
	v_add3_u32 v19, v19, v21, v20
	v_lshl_add_u64 v[18:19], v[18:19], 1, s[28:29]
	global_load_ushort v20, v[18:19], off
	global_load_ushort v21, v[16:17], off
	s_mov_b64 s[10:11], -1
	s_waitcnt vmcnt(1)
	v_lshlrev_b32_e32 v20, 16, v20
	s_waitcnt vmcnt(0)
	v_lshlrev_b32_e32 v21, 16, v21
	v_cmp_eq_f32_e32 vcc, v21, v20
	s_and_saveexec_b64 s[12:13], vcc
	s_cbranch_execz .LBB1183_31
; %bb.22:
	s_add_u32 s10, s26, -1
	v_lshl_add_u64 v[18:19], v[18:19], 0, 2
	v_lshl_add_u64 v[20:21], v[16:17], 0, 2
	s_addc_u32 s11, s27, -1
	s_mov_b64 s[14:15], 0
	s_mov_b64 s[36:37], 0
                                        ; implicit-def: $sgpr18_sgpr19
	s_branch .LBB1183_25
.LBB1183_23:                            ;   in Loop: Header=BB1183_25 Depth=1
	global_load_ushort v22, v[18:19], off
	global_load_ushort v23, v[20:21], off
	s_add_u32 s36, s36, 1
	s_addc_u32 s37, s37, 0
	s_andn2_b64 s[18:19], s[18:19], exec
	v_lshl_add_u64 v[18:19], v[18:19], 0, 2
	v_lshl_add_u64 v[20:21], v[20:21], 0, 2
	s_waitcnt vmcnt(1)
	v_lshlrev_b32_e32 v22, 16, v22
	s_waitcnt vmcnt(0)
	v_lshlrev_b32_e32 v23, 16, v23
	v_cmp_neq_f32_e32 vcc, v23, v22
	s_and_b64 s[38:39], vcc, exec
	s_or_b64 s[18:19], s[18:19], s[38:39]
.LBB1183_24:                            ;   in Loop: Header=BB1183_25 Depth=1
	s_and_b64 s[38:39], exec, s[18:19]
	s_or_b64 s[14:15], s[38:39], s[14:15]
	v_mov_b64_e32 v[22:23], s[36:37]
	s_andn2_b64 exec, exec, s[14:15]
	s_cbranch_execz .LBB1183_30
.LBB1183_25:                            ; =>This Inner Loop Header: Depth=1
	s_or_b64 s[18:19], s[18:19], exec
	s_cmp_eq_u64 s[10:11], s[36:37]
	s_cbranch_scc0 .LBB1183_23
; %bb.26:                               ;   in Loop: Header=BB1183_25 Depth=1
                                        ; implicit-def: $vgpr18_vgpr19
                                        ; implicit-def: $vgpr20_vgpr21
	s_mov_b64 s[36:37], s[26:27]
	s_branch .LBB1183_24
.LBB1183_27:
                                        ; implicit-def: $sgpr18_sgpr19
                                        ; implicit-def: $vgpr34
                                        ; implicit-def: $vgpr33
                                        ; implicit-def: $vgpr32
                                        ; implicit-def: $vgpr20
	s_branch .LBB1183_170
.LBB1183_28:
                                        ; implicit-def: $vgpr16_vgpr17
	s_branch .LBB1183_318
.LBB1183_29:
                                        ; implicit-def: $sgpr18_sgpr19
                                        ; implicit-def: $vgpr34
                                        ; implicit-def: $vgpr33
                                        ; implicit-def: $vgpr32
                                        ; implicit-def: $vgpr20
	s_cbranch_execnz .LBB1183_89
	s_branch .LBB1183_169
.LBB1183_30:
	s_or_b64 exec, exec, s[14:15]
	v_cmp_gt_i64_e32 vcc, s[26:27], v[22:23]
	s_orn2_b64 s[10:11], vcc, exec
.LBB1183_31:
	s_or_b64 exec, exec, s[12:13]
.LBB1183_32:
	v_mul_lo_u32 v20, v3, s26
	v_mul_lo_u32 v21, v2, s27
	v_mad_u64_u32 v[18:19], s[12:13], v2, s26, 0
	v_add3_u32 v19, v19, v21, v20
	s_mov_b64 s[12:13], 0
	s_and_b64 vcc, exec, s[4:5]
	v_lshl_add_u64 v[18:19], v[18:19], 1, s[28:29]
	s_mov_b64 s[14:15], 0
	s_cbranch_vccnz .LBB1183_41
; %bb.33:
	global_load_ushort v20, v[16:17], off
	global_load_ushort v21, v[18:19], off
	s_mov_b64 s[14:15], -1
	s_waitcnt vmcnt(1)
	v_lshlrev_b32_e32 v20, 16, v20
	s_waitcnt vmcnt(0)
	v_lshlrev_b32_e32 v21, 16, v21
	v_cmp_eq_f32_e32 vcc, v21, v20
	s_and_saveexec_b64 s[18:19], vcc
	s_cbranch_execz .LBB1183_40
; %bb.34:
	s_add_u32 s14, s26, -1
	v_lshl_add_u64 v[16:17], v[16:17], 0, 2
	v_lshl_add_u64 v[20:21], v[18:19], 0, 2
	s_addc_u32 s15, s27, -1
	s_mov_b64 s[36:37], 0
	s_mov_b64 s[40:41], 0
                                        ; implicit-def: $sgpr38_sgpr39
	s_branch .LBB1183_37
.LBB1183_35:                            ;   in Loop: Header=BB1183_37 Depth=1
	global_load_ushort v22, v[16:17], off
	global_load_ushort v23, v[20:21], off
	s_add_u32 s40, s40, 1
	s_addc_u32 s41, s41, 0
	s_andn2_b64 s[38:39], s[38:39], exec
	v_lshl_add_u64 v[16:17], v[16:17], 0, 2
	v_lshl_add_u64 v[20:21], v[20:21], 0, 2
	s_waitcnt vmcnt(1)
	v_lshlrev_b32_e32 v22, 16, v22
	s_waitcnt vmcnt(0)
	v_lshlrev_b32_e32 v23, 16, v23
	v_cmp_neq_f32_e32 vcc, v23, v22
	s_and_b64 s[42:43], vcc, exec
	s_or_b64 s[38:39], s[38:39], s[42:43]
.LBB1183_36:                            ;   in Loop: Header=BB1183_37 Depth=1
	s_and_b64 s[42:43], exec, s[38:39]
	s_or_b64 s[36:37], s[42:43], s[36:37]
	v_mov_b64_e32 v[22:23], s[40:41]
	s_andn2_b64 exec, exec, s[36:37]
	s_cbranch_execz .LBB1183_39
.LBB1183_37:                            ; =>This Inner Loop Header: Depth=1
	s_or_b64 s[38:39], s[38:39], exec
	s_cmp_eq_u64 s[14:15], s[40:41]
	s_cbranch_scc0 .LBB1183_35
; %bb.38:                               ;   in Loop: Header=BB1183_37 Depth=1
                                        ; implicit-def: $vgpr16_vgpr17
                                        ; implicit-def: $vgpr20_vgpr21
	s_mov_b64 s[40:41], s[26:27]
	s_branch .LBB1183_36
.LBB1183_39:
	s_or_b64 exec, exec, s[36:37]
	v_cmp_gt_i64_e32 vcc, s[26:27], v[22:23]
	s_orn2_b64 s[14:15], vcc, exec
.LBB1183_40:
	s_or_b64 exec, exec, s[18:19]
.LBB1183_41:
	v_mul_lo_u32 v20, v9, s26
	v_mul_lo_u32 v21, v8, s27
	v_mad_u64_u32 v[16:17], s[18:19], v8, s26, 0
	v_add3_u32 v17, v17, v21, v20
	s_and_b64 vcc, exec, s[4:5]
	v_lshl_add_u64 v[16:17], v[16:17], 1, s[28:29]
	s_cbranch_vccnz .LBB1183_50
; %bb.42:
	global_load_ushort v20, v[18:19], off
	global_load_ushort v21, v[16:17], off
	s_mov_b64 s[12:13], -1
	s_waitcnt vmcnt(1)
	v_lshlrev_b32_e32 v20, 16, v20
	s_waitcnt vmcnt(0)
	v_lshlrev_b32_e32 v21, 16, v21
	v_cmp_eq_f32_e32 vcc, v21, v20
	s_and_saveexec_b64 s[18:19], vcc
	s_cbranch_execz .LBB1183_49
; %bb.43:
	s_add_u32 s12, s26, -1
	v_lshl_add_u64 v[18:19], v[18:19], 0, 2
	v_lshl_add_u64 v[20:21], v[16:17], 0, 2
	s_addc_u32 s13, s27, -1
	s_mov_b64 s[36:37], 0
	s_mov_b64 s[40:41], 0
                                        ; implicit-def: $sgpr38_sgpr39
	s_branch .LBB1183_46
.LBB1183_44:                            ;   in Loop: Header=BB1183_46 Depth=1
	global_load_ushort v22, v[18:19], off
	global_load_ushort v23, v[20:21], off
	s_add_u32 s40, s40, 1
	s_addc_u32 s41, s41, 0
	s_andn2_b64 s[38:39], s[38:39], exec
	v_lshl_add_u64 v[18:19], v[18:19], 0, 2
	v_lshl_add_u64 v[20:21], v[20:21], 0, 2
	s_waitcnt vmcnt(1)
	v_lshlrev_b32_e32 v22, 16, v22
	s_waitcnt vmcnt(0)
	v_lshlrev_b32_e32 v23, 16, v23
	v_cmp_neq_f32_e32 vcc, v23, v22
	s_and_b64 s[42:43], vcc, exec
	s_or_b64 s[38:39], s[38:39], s[42:43]
.LBB1183_45:                            ;   in Loop: Header=BB1183_46 Depth=1
	s_and_b64 s[42:43], exec, s[38:39]
	s_or_b64 s[36:37], s[42:43], s[36:37]
	v_mov_b64_e32 v[22:23], s[40:41]
	s_andn2_b64 exec, exec, s[36:37]
	s_cbranch_execz .LBB1183_48
.LBB1183_46:                            ; =>This Inner Loop Header: Depth=1
	s_or_b64 s[38:39], s[38:39], exec
	s_cmp_eq_u64 s[12:13], s[40:41]
	s_cbranch_scc0 .LBB1183_44
; %bb.47:                               ;   in Loop: Header=BB1183_46 Depth=1
                                        ; implicit-def: $vgpr18_vgpr19
                                        ; implicit-def: $vgpr20_vgpr21
	s_mov_b64 s[40:41], s[26:27]
	s_branch .LBB1183_45
.LBB1183_48:
	s_or_b64 exec, exec, s[36:37]
	v_cmp_gt_i64_e32 vcc, s[26:27], v[22:23]
	s_orn2_b64 s[12:13], vcc, exec
.LBB1183_49:
	s_or_b64 exec, exec, s[18:19]
.LBB1183_50:
	v_mul_lo_u32 v20, v7, s26
	v_mul_lo_u32 v21, v6, s27
	v_mad_u64_u32 v[18:19], s[18:19], v6, s26, 0
	v_add3_u32 v19, v19, v21, v20
	s_mov_b64 s[18:19], 0
	s_and_b64 vcc, exec, s[4:5]
	v_lshl_add_u64 v[20:21], v[18:19], 1, s[28:29]
	s_mov_b64 s[36:37], 0
	s_cbranch_vccnz .LBB1183_59
; %bb.51:
	global_load_ushort v18, v[16:17], off
	global_load_ushort v19, v[20:21], off
	s_mov_b64 s[36:37], -1
	s_waitcnt vmcnt(1)
	v_lshlrev_b32_e32 v18, 16, v18
	s_waitcnt vmcnt(0)
	v_lshlrev_b32_e32 v19, 16, v19
	v_cmp_eq_f32_e32 vcc, v19, v18
	s_and_saveexec_b64 s[38:39], vcc
	s_cbranch_execz .LBB1183_58
; %bb.52:
	s_add_u32 s36, s26, -1
	v_lshl_add_u64 v[16:17], v[16:17], 0, 2
	v_lshl_add_u64 v[18:19], v[20:21], 0, 2
	s_addc_u32 s37, s27, -1
	s_mov_b64 s[40:41], 0
	s_mov_b64 s[44:45], 0
                                        ; implicit-def: $sgpr42_sgpr43
	s_branch .LBB1183_55
.LBB1183_53:                            ;   in Loop: Header=BB1183_55 Depth=1
	global_load_ushort v22, v[16:17], off
	global_load_ushort v23, v[18:19], off
	s_add_u32 s44, s44, 1
	s_addc_u32 s45, s45, 0
	s_andn2_b64 s[42:43], s[42:43], exec
	v_lshl_add_u64 v[16:17], v[16:17], 0, 2
	v_lshl_add_u64 v[18:19], v[18:19], 0, 2
	s_waitcnt vmcnt(1)
	v_lshlrev_b32_e32 v22, 16, v22
	s_waitcnt vmcnt(0)
	v_lshlrev_b32_e32 v23, 16, v23
	v_cmp_neq_f32_e32 vcc, v23, v22
	s_and_b64 s[46:47], vcc, exec
	s_or_b64 s[42:43], s[42:43], s[46:47]
.LBB1183_54:                            ;   in Loop: Header=BB1183_55 Depth=1
	s_and_b64 s[46:47], exec, s[42:43]
	s_or_b64 s[40:41], s[46:47], s[40:41]
	v_mov_b64_e32 v[22:23], s[44:45]
	s_andn2_b64 exec, exec, s[40:41]
	s_cbranch_execz .LBB1183_57
.LBB1183_55:                            ; =>This Inner Loop Header: Depth=1
	s_or_b64 s[42:43], s[42:43], exec
	s_cmp_eq_u64 s[36:37], s[44:45]
	s_cbranch_scc0 .LBB1183_53
; %bb.56:                               ;   in Loop: Header=BB1183_55 Depth=1
                                        ; implicit-def: $vgpr16_vgpr17
                                        ; implicit-def: $vgpr18_vgpr19
	s_mov_b64 s[44:45], s[26:27]
	s_branch .LBB1183_54
.LBB1183_57:
	s_or_b64 exec, exec, s[40:41]
	v_cmp_gt_i64_e32 vcc, s[26:27], v[22:23]
	s_orn2_b64 s[36:37], vcc, exec
.LBB1183_58:
	s_or_b64 exec, exec, s[38:39]
.LBB1183_59:
	v_mul_lo_u32 v18, v13, s26
	v_mul_lo_u32 v19, v12, s27
	v_mad_u64_u32 v[16:17], s[38:39], v12, s26, 0
	v_add3_u32 v17, v17, v19, v18
	s_and_b64 vcc, exec, s[4:5]
	v_lshl_add_u64 v[18:19], v[16:17], 1, s[28:29]
	s_cbranch_vccnz .LBB1183_68
; %bb.60:
	global_load_ushort v16, v[20:21], off
	global_load_ushort v17, v[18:19], off
	s_mov_b64 s[18:19], -1
	s_waitcnt vmcnt(1)
	v_lshlrev_b32_e32 v16, 16, v16
	s_waitcnt vmcnt(0)
	v_lshlrev_b32_e32 v17, 16, v17
	v_cmp_eq_f32_e32 vcc, v17, v16
	s_and_saveexec_b64 s[38:39], vcc
	s_cbranch_execz .LBB1183_67
; %bb.61:
	s_add_u32 s18, s26, -1
	v_lshl_add_u64 v[16:17], v[20:21], 0, 2
	v_lshl_add_u64 v[20:21], v[18:19], 0, 2
	s_addc_u32 s19, s27, -1
	s_mov_b64 s[40:41], 0
	s_mov_b64 s[44:45], 0
                                        ; implicit-def: $sgpr42_sgpr43
	s_branch .LBB1183_64
.LBB1183_62:                            ;   in Loop: Header=BB1183_64 Depth=1
	global_load_ushort v22, v[16:17], off
	global_load_ushort v23, v[20:21], off
	s_add_u32 s44, s44, 1
	s_addc_u32 s45, s45, 0
	s_andn2_b64 s[42:43], s[42:43], exec
	v_lshl_add_u64 v[16:17], v[16:17], 0, 2
	v_lshl_add_u64 v[20:21], v[20:21], 0, 2
	s_waitcnt vmcnt(1)
	v_lshlrev_b32_e32 v22, 16, v22
	s_waitcnt vmcnt(0)
	v_lshlrev_b32_e32 v23, 16, v23
	v_cmp_neq_f32_e32 vcc, v23, v22
	s_and_b64 s[46:47], vcc, exec
	s_or_b64 s[42:43], s[42:43], s[46:47]
.LBB1183_63:                            ;   in Loop: Header=BB1183_64 Depth=1
	s_and_b64 s[46:47], exec, s[42:43]
	s_or_b64 s[40:41], s[46:47], s[40:41]
	v_mov_b64_e32 v[22:23], s[44:45]
	s_andn2_b64 exec, exec, s[40:41]
	s_cbranch_execz .LBB1183_66
.LBB1183_64:                            ; =>This Inner Loop Header: Depth=1
	s_or_b64 s[42:43], s[42:43], exec
	s_cmp_eq_u64 s[18:19], s[44:45]
	s_cbranch_scc0 .LBB1183_62
; %bb.65:                               ;   in Loop: Header=BB1183_64 Depth=1
                                        ; implicit-def: $vgpr16_vgpr17
                                        ; implicit-def: $vgpr20_vgpr21
	s_mov_b64 s[44:45], s[26:27]
	s_branch .LBB1183_63
.LBB1183_66:
	s_or_b64 exec, exec, s[40:41]
	v_cmp_gt_i64_e32 vcc, s[26:27], v[22:23]
	s_orn2_b64 s[18:19], vcc, exec
.LBB1183_67:
	s_or_b64 exec, exec, s[38:39]
.LBB1183_68:
	v_mul_lo_u32 v20, v11, s26
	v_mul_lo_u32 v21, v10, s27
	v_mad_u64_u32 v[16:17], s[38:39], v10, s26, 0
	v_add3_u32 v17, v17, v21, v20
	s_mov_b64 s[40:41], 0
	s_and_b64 vcc, exec, s[4:5]
	v_lshl_add_u64 v[16:17], v[16:17], 1, s[28:29]
	s_cbranch_vccnz .LBB1183_77
; %bb.69:
	global_load_ushort v20, v[18:19], off
	global_load_ushort v21, v[16:17], off
	s_mov_b64 s[40:41], -1
	s_waitcnt vmcnt(1)
	v_lshlrev_b32_e32 v20, 16, v20
	s_waitcnt vmcnt(0)
	v_lshlrev_b32_e32 v21, 16, v21
	v_cmp_eq_f32_e32 vcc, v21, v20
	s_and_saveexec_b64 s[38:39], vcc
	s_cbranch_execz .LBB1183_76
; %bb.70:
	s_add_u32 s40, s26, -1
	v_lshl_add_u64 v[18:19], v[18:19], 0, 2
	v_lshl_add_u64 v[20:21], v[16:17], 0, 2
	s_addc_u32 s41, s27, -1
	s_mov_b64 s[42:43], 0
	s_mov_b64 s[46:47], 0
                                        ; implicit-def: $sgpr44_sgpr45
	s_branch .LBB1183_73
.LBB1183_71:                            ;   in Loop: Header=BB1183_73 Depth=1
	global_load_ushort v22, v[18:19], off
	global_load_ushort v23, v[20:21], off
	s_add_u32 s46, s46, 1
	s_addc_u32 s47, s47, 0
	s_andn2_b64 s[44:45], s[44:45], exec
	v_lshl_add_u64 v[18:19], v[18:19], 0, 2
	v_lshl_add_u64 v[20:21], v[20:21], 0, 2
	s_waitcnt vmcnt(1)
	v_lshlrev_b32_e32 v22, 16, v22
	s_waitcnt vmcnt(0)
	v_lshlrev_b32_e32 v23, 16, v23
	v_cmp_neq_f32_e32 vcc, v23, v22
	s_and_b64 s[48:49], vcc, exec
	s_or_b64 s[44:45], s[44:45], s[48:49]
.LBB1183_72:                            ;   in Loop: Header=BB1183_73 Depth=1
	s_and_b64 s[48:49], exec, s[44:45]
	s_or_b64 s[42:43], s[48:49], s[42:43]
	v_mov_b64_e32 v[22:23], s[46:47]
	s_andn2_b64 exec, exec, s[42:43]
	s_cbranch_execz .LBB1183_75
.LBB1183_73:                            ; =>This Inner Loop Header: Depth=1
	s_or_b64 s[44:45], s[44:45], exec
	s_cmp_eq_u64 s[40:41], s[46:47]
	s_cbranch_scc0 .LBB1183_71
; %bb.74:                               ;   in Loop: Header=BB1183_73 Depth=1
                                        ; implicit-def: $vgpr18_vgpr19
                                        ; implicit-def: $vgpr20_vgpr21
	s_mov_b64 s[46:47], s[26:27]
	s_branch .LBB1183_72
.LBB1183_75:
	s_or_b64 exec, exec, s[42:43]
	v_cmp_gt_i64_e32 vcc, s[26:27], v[22:23]
	s_orn2_b64 s[40:41], vcc, exec
.LBB1183_76:
	s_or_b64 exec, exec, s[38:39]
.LBB1183_77:
	v_cmp_ne_u32_e32 vcc, 0, v0
	s_waitcnt lgkmcnt(0)
	v_mov_b64_e32 v[18:19], s[6:7]
	s_barrier
	s_and_saveexec_b64 s[38:39], vcc
	s_cbranch_execz .LBB1183_79
; %bb.78:
	v_add_u32_e32 v18, -8, v31
	ds_read_b64 v[18:19], v18
.LBB1183_79:
	s_or_b64 exec, exec, s[38:39]
	v_cndmask_b32_e64 v21, 0, 1, s[36:37]
	v_cndmask_b32_e64 v20, 0, 1, s[18:19]
	v_cndmask_b32_e64 v22, 0, 1, s[40:41]
	v_lshlrev_b16_e32 v21, 8, v21
	v_lshlrev_b16_e32 v22, 8, v22
	v_or_b32_sdwa v23, v20, v21 dst_sel:WORD_1 dst_unused:UNUSED_PAD src0_sel:DWORD src1_sel:DWORD
	s_mov_b64 s[36:37], 0
	s_and_b64 vcc, exec, s[4:5]
	s_mov_b64 s[18:19], 0
	s_cbranch_vccnz .LBB1183_88
; %bb.80:
	s_waitcnt lgkmcnt(0)
	v_mul_lo_u32 v20, v19, s26
	v_mul_lo_u32 v21, v18, s27
	v_mad_u64_u32 v[18:19], s[18:19], v18, s26, 0
	v_add3_u32 v19, v19, v21, v20
	v_lshl_add_u64 v[18:19], v[18:19], 1, s[28:29]
	global_load_ushort v20, v[18:19], off
	global_load_ushort v21, v[16:17], off
	s_mov_b64 s[18:19], -1
	s_waitcnt vmcnt(1)
	v_lshlrev_b32_e32 v20, 16, v20
	s_waitcnt vmcnt(0)
	v_lshlrev_b32_e32 v21, 16, v21
	v_cmp_eq_f32_e32 vcc, v20, v21
	s_and_saveexec_b64 s[38:39], vcc
	s_cbranch_execz .LBB1183_87
; %bb.81:
	s_add_u32 s18, s26, -1
	v_lshl_add_u64 v[16:17], v[16:17], 0, 2
	v_lshl_add_u64 v[18:19], v[18:19], 0, 2
	s_addc_u32 s19, s27, -1
	s_mov_b64 s[40:41], 0
	s_mov_b64 s[44:45], 0
                                        ; implicit-def: $sgpr42_sgpr43
	s_branch .LBB1183_84
.LBB1183_82:                            ;   in Loop: Header=BB1183_84 Depth=1
	global_load_ushort v20, v[16:17], off
	global_load_ushort v21, v[18:19], off
	s_add_u32 s44, s44, 1
	s_addc_u32 s45, s45, 0
	s_andn2_b64 s[42:43], s[42:43], exec
	v_lshl_add_u64 v[16:17], v[16:17], 0, 2
	v_lshl_add_u64 v[18:19], v[18:19], 0, 2
	s_waitcnt vmcnt(1)
	v_lshlrev_b32_e32 v20, 16, v20
	s_waitcnt vmcnt(0)
	v_lshlrev_b32_e32 v21, 16, v21
	v_cmp_neq_f32_e32 vcc, v21, v20
	s_and_b64 s[46:47], vcc, exec
	s_or_b64 s[42:43], s[42:43], s[46:47]
.LBB1183_83:                            ;   in Loop: Header=BB1183_84 Depth=1
	s_and_b64 s[46:47], exec, s[42:43]
	s_or_b64 s[40:41], s[46:47], s[40:41]
	v_mov_b64_e32 v[20:21], s[44:45]
	s_andn2_b64 exec, exec, s[40:41]
	s_cbranch_execz .LBB1183_86
.LBB1183_84:                            ; =>This Inner Loop Header: Depth=1
	s_or_b64 s[42:43], s[42:43], exec
	s_cmp_eq_u64 s[18:19], s[44:45]
	s_cbranch_scc0 .LBB1183_82
; %bb.85:                               ;   in Loop: Header=BB1183_84 Depth=1
                                        ; implicit-def: $vgpr16_vgpr17
                                        ; implicit-def: $vgpr18_vgpr19
	s_mov_b64 s[44:45], s[26:27]
	s_branch .LBB1183_83
.LBB1183_86:
	s_or_b64 exec, exec, s[40:41]
	v_cmp_gt_i64_e32 vcc, s[26:27], v[20:21]
	s_orn2_b64 s[18:19], vcc, exec
.LBB1183_87:
	s_or_b64 exec, exec, s[38:39]
.LBB1183_88:
	v_cndmask_b32_e64 v32, 0, 1, s[12:13]
	v_cndmask_b32_e64 v33, 0, 1, s[14:15]
	v_cndmask_b32_e64 v34, 0, 1, s[10:11]
	v_or_b32_e32 v20, v22, v23
	s_and_b64 vcc, exec, s[36:37]
	s_cbranch_vccz .LBB1183_169
.LBB1183_89:
	v_cmp_gt_u32_e32 vcc, s3, v27
	s_mov_b64 s[12:13], 0
	s_mov_b64 s[10:11], 0
	s_and_saveexec_b64 s[14:15], vcc
	s_cbranch_execz .LBB1183_100
; %bb.90:
	s_and_b64 vcc, exec, s[4:5]
	s_mov_b64 s[18:19], 0
	s_cbranch_vccnz .LBB1183_99
; %bb.91:
	s_waitcnt lgkmcnt(0)
	v_mul_lo_u32 v18, v5, s26
	v_mul_lo_u32 v19, v4, s27
	v_mad_u64_u32 v[16:17], s[10:11], v4, s26, 0
	v_add3_u32 v17, v17, v19, v18
	v_mul_lo_u32 v18, v15, s26
	v_mul_lo_u32 v19, v14, s27
	v_mad_u64_u32 v[20:21], s[10:11], v14, s26, 0
	v_add3_u32 v21, v21, v19, v18
	v_lshl_add_u64 v[18:19], v[16:17], 1, s[28:29]
	v_lshl_add_u64 v[16:17], v[20:21], 1, s[28:29]
	global_load_ushort v20, v[16:17], off
	global_load_ushort v21, v[18:19], off
	s_mov_b64 s[18:19], -1
	s_waitcnt vmcnt(1)
	v_lshlrev_b32_e32 v20, 16, v20
	s_waitcnt vmcnt(0)
	v_lshlrev_b32_e32 v21, 16, v21
	v_cmp_eq_f32_e32 vcc, v21, v20
	s_and_saveexec_b64 s[10:11], vcc
	s_cbranch_execz .LBB1183_98
; %bb.92:
	s_add_u32 s18, s26, -1
	v_lshl_add_u64 v[16:17], v[16:17], 0, 2
	v_lshl_add_u64 v[18:19], v[18:19], 0, 2
	s_addc_u32 s19, s27, -1
	s_mov_b64 s[36:37], 0
	s_mov_b64 s[40:41], 0
                                        ; implicit-def: $sgpr38_sgpr39
	s_branch .LBB1183_95
.LBB1183_93:                            ;   in Loop: Header=BB1183_95 Depth=1
	global_load_ushort v20, v[16:17], off
	global_load_ushort v21, v[18:19], off
	s_add_u32 s40, s40, 1
	s_addc_u32 s41, s41, 0
	s_andn2_b64 s[38:39], s[38:39], exec
	v_lshl_add_u64 v[16:17], v[16:17], 0, 2
	v_lshl_add_u64 v[18:19], v[18:19], 0, 2
	s_waitcnt vmcnt(1)
	v_lshlrev_b32_e32 v20, 16, v20
	s_waitcnt vmcnt(0)
	v_lshlrev_b32_e32 v21, 16, v21
	v_cmp_neq_f32_e32 vcc, v21, v20
	s_and_b64 s[42:43], vcc, exec
	s_or_b64 s[38:39], s[38:39], s[42:43]
.LBB1183_94:                            ;   in Loop: Header=BB1183_95 Depth=1
	s_and_b64 s[42:43], exec, s[38:39]
	s_or_b64 s[36:37], s[42:43], s[36:37]
	v_mov_b64_e32 v[20:21], s[40:41]
	s_andn2_b64 exec, exec, s[36:37]
	s_cbranch_execz .LBB1183_97
.LBB1183_95:                            ; =>This Inner Loop Header: Depth=1
	s_or_b64 s[38:39], s[38:39], exec
	s_cmp_eq_u64 s[18:19], s[40:41]
	s_cbranch_scc0 .LBB1183_93
; %bb.96:                               ;   in Loop: Header=BB1183_95 Depth=1
                                        ; implicit-def: $vgpr16_vgpr17
                                        ; implicit-def: $vgpr18_vgpr19
	s_mov_b64 s[40:41], s[26:27]
	s_branch .LBB1183_94
.LBB1183_97:
	s_or_b64 exec, exec, s[36:37]
	v_cmp_gt_i64_e32 vcc, s[26:27], v[20:21]
	s_orn2_b64 s[18:19], vcc, exec
.LBB1183_98:
	s_or_b64 exec, exec, s[10:11]
.LBB1183_99:
	s_and_b64 s[10:11], s[18:19], exec
.LBB1183_100:
	s_or_b64 exec, exec, s[14:15]
	v_cmp_gt_u32_e32 vcc, s3, v29
	s_and_saveexec_b64 s[14:15], vcc
	s_cbranch_execz .LBB1183_111
; %bb.101:
	s_and_b64 vcc, exec, s[4:5]
	s_mov_b64 s[18:19], 0
	s_cbranch_vccnz .LBB1183_110
; %bb.102:
	s_waitcnt lgkmcnt(0)
	v_mul_lo_u32 v18, v3, s26
	v_mul_lo_u32 v19, v2, s27
	v_mad_u64_u32 v[16:17], s[12:13], v2, s26, 0
	v_add3_u32 v17, v17, v19, v18
	v_mul_lo_u32 v18, v5, s26
	v_mul_lo_u32 v19, v4, s27
	v_mad_u64_u32 v[20:21], s[12:13], v4, s26, 0
	v_add3_u32 v21, v21, v19, v18
	v_lshl_add_u64 v[18:19], v[16:17], 1, s[28:29]
	v_lshl_add_u64 v[16:17], v[20:21], 1, s[28:29]
	global_load_ushort v20, v[16:17], off
	global_load_ushort v21, v[18:19], off
	s_mov_b64 s[18:19], -1
	s_waitcnt vmcnt(1)
	v_lshlrev_b32_e32 v20, 16, v20
	s_waitcnt vmcnt(0)
	v_lshlrev_b32_e32 v21, 16, v21
	v_cmp_eq_f32_e32 vcc, v21, v20
	s_and_saveexec_b64 s[12:13], vcc
	s_cbranch_execz .LBB1183_109
; %bb.103:
	s_add_u32 s18, s26, -1
	v_lshl_add_u64 v[16:17], v[16:17], 0, 2
	v_lshl_add_u64 v[18:19], v[18:19], 0, 2
	s_addc_u32 s19, s27, -1
	s_mov_b64 s[36:37], 0
	s_mov_b64 s[40:41], 0
                                        ; implicit-def: $sgpr38_sgpr39
	s_branch .LBB1183_106
.LBB1183_104:                           ;   in Loop: Header=BB1183_106 Depth=1
	global_load_ushort v20, v[16:17], off
	global_load_ushort v21, v[18:19], off
	s_add_u32 s40, s40, 1
	s_addc_u32 s41, s41, 0
	s_andn2_b64 s[38:39], s[38:39], exec
	v_lshl_add_u64 v[16:17], v[16:17], 0, 2
	v_lshl_add_u64 v[18:19], v[18:19], 0, 2
	s_waitcnt vmcnt(1)
	v_lshlrev_b32_e32 v20, 16, v20
	s_waitcnt vmcnt(0)
	v_lshlrev_b32_e32 v21, 16, v21
	v_cmp_neq_f32_e32 vcc, v21, v20
	s_and_b64 s[42:43], vcc, exec
	s_or_b64 s[38:39], s[38:39], s[42:43]
.LBB1183_105:                           ;   in Loop: Header=BB1183_106 Depth=1
	s_and_b64 s[42:43], exec, s[38:39]
	s_or_b64 s[36:37], s[42:43], s[36:37]
	v_mov_b64_e32 v[20:21], s[40:41]
	s_andn2_b64 exec, exec, s[36:37]
	s_cbranch_execz .LBB1183_108
.LBB1183_106:                           ; =>This Inner Loop Header: Depth=1
	s_or_b64 s[38:39], s[38:39], exec
	s_cmp_eq_u64 s[18:19], s[40:41]
	s_cbranch_scc0 .LBB1183_104
; %bb.107:                              ;   in Loop: Header=BB1183_106 Depth=1
                                        ; implicit-def: $vgpr16_vgpr17
                                        ; implicit-def: $vgpr18_vgpr19
	s_mov_b64 s[40:41], s[26:27]
	s_branch .LBB1183_105
.LBB1183_108:
	s_or_b64 exec, exec, s[36:37]
	v_cmp_gt_i64_e32 vcc, s[26:27], v[20:21]
	s_orn2_b64 s[18:19], vcc, exec
.LBB1183_109:
	s_or_b64 exec, exec, s[12:13]
.LBB1183_110:
	s_and_b64 s[12:13], s[18:19], exec
.LBB1183_111:
	s_or_b64 exec, exec, s[14:15]
	v_cmp_gt_u32_e32 vcc, s3, v26
	s_mov_b64 s[18:19], 0
	s_mov_b64 s[14:15], 0
	s_and_saveexec_b64 s[36:37], vcc
	s_cbranch_execz .LBB1183_122
; %bb.112:
	s_and_b64 vcc, exec, s[4:5]
	s_mov_b64 s[38:39], 0
	s_cbranch_vccnz .LBB1183_121
; %bb.113:
	s_waitcnt lgkmcnt(0)
	v_mul_lo_u32 v18, v9, s26
	v_mul_lo_u32 v19, v8, s27
	v_mad_u64_u32 v[16:17], s[14:15], v8, s26, 0
	v_add3_u32 v17, v17, v19, v18
	v_mul_lo_u32 v18, v3, s26
	v_mul_lo_u32 v19, v2, s27
	v_mad_u64_u32 v[20:21], s[14:15], v2, s26, 0
	v_add3_u32 v21, v21, v19, v18
	v_lshl_add_u64 v[18:19], v[16:17], 1, s[28:29]
	v_lshl_add_u64 v[16:17], v[20:21], 1, s[28:29]
	global_load_ushort v20, v[16:17], off
	global_load_ushort v21, v[18:19], off
	s_mov_b64 s[38:39], -1
	s_waitcnt vmcnt(1)
	v_lshlrev_b32_e32 v20, 16, v20
	s_waitcnt vmcnt(0)
	v_lshlrev_b32_e32 v21, 16, v21
	v_cmp_eq_f32_e32 vcc, v21, v20
	s_and_saveexec_b64 s[14:15], vcc
	s_cbranch_execz .LBB1183_120
; %bb.114:
	s_add_u32 s38, s26, -1
	v_lshl_add_u64 v[16:17], v[16:17], 0, 2
	v_lshl_add_u64 v[18:19], v[18:19], 0, 2
	s_addc_u32 s39, s27, -1
	s_mov_b64 s[40:41], 0
	s_mov_b64 s[44:45], 0
                                        ; implicit-def: $sgpr42_sgpr43
	s_branch .LBB1183_117
.LBB1183_115:                           ;   in Loop: Header=BB1183_117 Depth=1
	global_load_ushort v20, v[16:17], off
	global_load_ushort v21, v[18:19], off
	s_add_u32 s44, s44, 1
	s_addc_u32 s45, s45, 0
	s_andn2_b64 s[42:43], s[42:43], exec
	v_lshl_add_u64 v[16:17], v[16:17], 0, 2
	v_lshl_add_u64 v[18:19], v[18:19], 0, 2
	s_waitcnt vmcnt(1)
	v_lshlrev_b32_e32 v20, 16, v20
	s_waitcnt vmcnt(0)
	v_lshlrev_b32_e32 v21, 16, v21
	v_cmp_neq_f32_e32 vcc, v21, v20
	s_and_b64 s[46:47], vcc, exec
	s_or_b64 s[42:43], s[42:43], s[46:47]
.LBB1183_116:                           ;   in Loop: Header=BB1183_117 Depth=1
	s_and_b64 s[46:47], exec, s[42:43]
	s_or_b64 s[40:41], s[46:47], s[40:41]
	v_mov_b64_e32 v[20:21], s[44:45]
	s_andn2_b64 exec, exec, s[40:41]
	s_cbranch_execz .LBB1183_119
.LBB1183_117:                           ; =>This Inner Loop Header: Depth=1
	s_or_b64 s[42:43], s[42:43], exec
	s_cmp_eq_u64 s[38:39], s[44:45]
	s_cbranch_scc0 .LBB1183_115
; %bb.118:                              ;   in Loop: Header=BB1183_117 Depth=1
                                        ; implicit-def: $vgpr16_vgpr17
                                        ; implicit-def: $vgpr18_vgpr19
	s_mov_b64 s[44:45], s[26:27]
	s_branch .LBB1183_116
.LBB1183_119:
	s_or_b64 exec, exec, s[40:41]
	v_cmp_gt_i64_e32 vcc, s[26:27], v[20:21]
	s_orn2_b64 s[38:39], vcc, exec
.LBB1183_120:
	s_or_b64 exec, exec, s[14:15]
.LBB1183_121:
	s_and_b64 s[14:15], s[38:39], exec
.LBB1183_122:
	s_or_b64 exec, exec, s[36:37]
	v_cmp_gt_u32_e32 vcc, s3, v28
	s_and_saveexec_b64 s[36:37], vcc
	s_cbranch_execz .LBB1183_133
; %bb.123:
	s_and_b64 vcc, exec, s[4:5]
	s_mov_b64 s[38:39], 0
	s_cbranch_vccnz .LBB1183_132
; %bb.124:
	s_waitcnt lgkmcnt(0)
	v_mul_lo_u32 v18, v7, s26
	v_mul_lo_u32 v19, v6, s27
	v_mad_u64_u32 v[16:17], s[18:19], v6, s26, 0
	v_add3_u32 v17, v17, v19, v18
	v_mul_lo_u32 v18, v9, s26
	v_mul_lo_u32 v19, v8, s27
	v_mad_u64_u32 v[20:21], s[18:19], v8, s26, 0
	v_add3_u32 v21, v21, v19, v18
	v_lshl_add_u64 v[18:19], v[16:17], 1, s[28:29]
	v_lshl_add_u64 v[16:17], v[20:21], 1, s[28:29]
	global_load_ushort v20, v[16:17], off
	global_load_ushort v21, v[18:19], off
	s_mov_b64 s[38:39], -1
	s_waitcnt vmcnt(1)
	v_lshlrev_b32_e32 v20, 16, v20
	s_waitcnt vmcnt(0)
	v_lshlrev_b32_e32 v21, 16, v21
	v_cmp_eq_f32_e32 vcc, v21, v20
	s_and_saveexec_b64 s[18:19], vcc
	s_cbranch_execz .LBB1183_131
; %bb.125:
	s_add_u32 s38, s26, -1
	v_lshl_add_u64 v[16:17], v[16:17], 0, 2
	v_lshl_add_u64 v[18:19], v[18:19], 0, 2
	s_addc_u32 s39, s27, -1
	s_mov_b64 s[40:41], 0
	s_mov_b64 s[44:45], 0
                                        ; implicit-def: $sgpr42_sgpr43
	s_branch .LBB1183_128
.LBB1183_126:                           ;   in Loop: Header=BB1183_128 Depth=1
	global_load_ushort v20, v[16:17], off
	global_load_ushort v21, v[18:19], off
	s_add_u32 s44, s44, 1
	s_addc_u32 s45, s45, 0
	s_andn2_b64 s[42:43], s[42:43], exec
	v_lshl_add_u64 v[16:17], v[16:17], 0, 2
	v_lshl_add_u64 v[18:19], v[18:19], 0, 2
	s_waitcnt vmcnt(1)
	v_lshlrev_b32_e32 v20, 16, v20
	s_waitcnt vmcnt(0)
	v_lshlrev_b32_e32 v21, 16, v21
	v_cmp_neq_f32_e32 vcc, v21, v20
	s_and_b64 s[46:47], vcc, exec
	s_or_b64 s[42:43], s[42:43], s[46:47]
.LBB1183_127:                           ;   in Loop: Header=BB1183_128 Depth=1
	s_and_b64 s[46:47], exec, s[42:43]
	s_or_b64 s[40:41], s[46:47], s[40:41]
	v_mov_b64_e32 v[20:21], s[44:45]
	s_andn2_b64 exec, exec, s[40:41]
	s_cbranch_execz .LBB1183_130
.LBB1183_128:                           ; =>This Inner Loop Header: Depth=1
	s_or_b64 s[42:43], s[42:43], exec
	s_cmp_eq_u64 s[38:39], s[44:45]
	s_cbranch_scc0 .LBB1183_126
; %bb.129:                              ;   in Loop: Header=BB1183_128 Depth=1
                                        ; implicit-def: $vgpr16_vgpr17
                                        ; implicit-def: $vgpr18_vgpr19
	s_mov_b64 s[44:45], s[26:27]
	s_branch .LBB1183_127
.LBB1183_130:
	s_or_b64 exec, exec, s[40:41]
	v_cmp_gt_i64_e32 vcc, s[26:27], v[20:21]
	s_orn2_b64 s[38:39], vcc, exec
.LBB1183_131:
	s_or_b64 exec, exec, s[18:19]
.LBB1183_132:
	s_and_b64 s[18:19], s[38:39], exec
.LBB1183_133:
	s_or_b64 exec, exec, s[36:37]
	v_cmp_gt_u32_e32 vcc, s3, v24
	s_mov_b64 s[36:37], 0
	s_mov_b64 s[38:39], 0
	s_and_saveexec_b64 s[40:41], vcc
	s_cbranch_execz .LBB1183_144
; %bb.134:
	s_and_b64 vcc, exec, s[4:5]
	s_mov_b64 s[42:43], 0
	s_cbranch_vccnz .LBB1183_143
; %bb.135:
	s_waitcnt lgkmcnt(0)
	v_mul_lo_u32 v18, v13, s26
	v_mul_lo_u32 v19, v12, s27
	v_mad_u64_u32 v[16:17], s[38:39], v12, s26, 0
	v_add3_u32 v17, v17, v19, v18
	v_mul_lo_u32 v18, v7, s26
	v_mul_lo_u32 v19, v6, s27
	v_mad_u64_u32 v[20:21], s[38:39], v6, s26, 0
	v_add3_u32 v21, v21, v19, v18
	v_lshl_add_u64 v[18:19], v[16:17], 1, s[28:29]
	v_lshl_add_u64 v[16:17], v[20:21], 1, s[28:29]
	global_load_ushort v20, v[16:17], off
	global_load_ushort v21, v[18:19], off
	s_mov_b64 s[42:43], -1
	s_waitcnt vmcnt(1)
	v_lshlrev_b32_e32 v20, 16, v20
	s_waitcnt vmcnt(0)
	v_lshlrev_b32_e32 v21, 16, v21
	v_cmp_eq_f32_e32 vcc, v21, v20
	s_and_saveexec_b64 s[38:39], vcc
	s_cbranch_execz .LBB1183_142
; %bb.136:
	s_add_u32 s42, s26, -1
	v_lshl_add_u64 v[16:17], v[16:17], 0, 2
	v_lshl_add_u64 v[18:19], v[18:19], 0, 2
	s_addc_u32 s43, s27, -1
	s_mov_b64 s[44:45], 0
	s_mov_b64 s[48:49], 0
                                        ; implicit-def: $sgpr46_sgpr47
	s_branch .LBB1183_139
.LBB1183_137:                           ;   in Loop: Header=BB1183_139 Depth=1
	global_load_ushort v20, v[16:17], off
	global_load_ushort v21, v[18:19], off
	s_add_u32 s48, s48, 1
	s_addc_u32 s49, s49, 0
	s_andn2_b64 s[46:47], s[46:47], exec
	v_lshl_add_u64 v[16:17], v[16:17], 0, 2
	v_lshl_add_u64 v[18:19], v[18:19], 0, 2
	s_waitcnt vmcnt(1)
	v_lshlrev_b32_e32 v20, 16, v20
	s_waitcnt vmcnt(0)
	v_lshlrev_b32_e32 v21, 16, v21
	v_cmp_neq_f32_e32 vcc, v21, v20
	s_and_b64 s[50:51], vcc, exec
	s_or_b64 s[46:47], s[46:47], s[50:51]
.LBB1183_138:                           ;   in Loop: Header=BB1183_139 Depth=1
	s_and_b64 s[50:51], exec, s[46:47]
	s_or_b64 s[44:45], s[50:51], s[44:45]
	v_mov_b64_e32 v[20:21], s[48:49]
	s_andn2_b64 exec, exec, s[44:45]
	s_cbranch_execz .LBB1183_141
.LBB1183_139:                           ; =>This Inner Loop Header: Depth=1
	s_or_b64 s[46:47], s[46:47], exec
	s_cmp_eq_u64 s[42:43], s[48:49]
	s_cbranch_scc0 .LBB1183_137
; %bb.140:                              ;   in Loop: Header=BB1183_139 Depth=1
                                        ; implicit-def: $vgpr16_vgpr17
                                        ; implicit-def: $vgpr18_vgpr19
	s_mov_b64 s[48:49], s[26:27]
	s_branch .LBB1183_138
.LBB1183_141:
	s_or_b64 exec, exec, s[44:45]
	v_cmp_gt_i64_e32 vcc, s[26:27], v[20:21]
	s_orn2_b64 s[42:43], vcc, exec
.LBB1183_142:
	s_or_b64 exec, exec, s[38:39]
.LBB1183_143:
	s_and_b64 s[38:39], s[42:43], exec
.LBB1183_144:
	s_or_b64 exec, exec, s[40:41]
	v_cmp_gt_u32_e32 vcc, s3, v25
	s_and_saveexec_b64 s[40:41], vcc
	s_cbranch_execz .LBB1183_155
; %bb.145:
	s_and_b64 vcc, exec, s[4:5]
	s_mov_b64 s[42:43], 0
	s_cbranch_vccnz .LBB1183_154
; %bb.146:
	s_waitcnt lgkmcnt(0)
	v_mul_lo_u32 v18, v11, s26
	v_mul_lo_u32 v19, v10, s27
	v_mad_u64_u32 v[16:17], s[36:37], v10, s26, 0
	v_add3_u32 v17, v17, v19, v18
	v_mul_lo_u32 v18, v13, s26
	v_mul_lo_u32 v19, v12, s27
	v_mad_u64_u32 v[20:21], s[36:37], v12, s26, 0
	v_add3_u32 v21, v21, v19, v18
	v_lshl_add_u64 v[18:19], v[16:17], 1, s[28:29]
	v_lshl_add_u64 v[16:17], v[20:21], 1, s[28:29]
	global_load_ushort v20, v[16:17], off
	global_load_ushort v21, v[18:19], off
	s_mov_b64 s[42:43], -1
	s_waitcnt vmcnt(1)
	v_lshlrev_b32_e32 v20, 16, v20
	s_waitcnt vmcnt(0)
	v_lshlrev_b32_e32 v21, 16, v21
	v_cmp_eq_f32_e32 vcc, v21, v20
	s_and_saveexec_b64 s[36:37], vcc
	s_cbranch_execz .LBB1183_153
; %bb.147:
	s_add_u32 s42, s26, -1
	v_lshl_add_u64 v[16:17], v[16:17], 0, 2
	v_lshl_add_u64 v[18:19], v[18:19], 0, 2
	s_addc_u32 s43, s27, -1
	s_mov_b64 s[44:45], 0
	s_mov_b64 s[48:49], 0
                                        ; implicit-def: $sgpr46_sgpr47
	s_branch .LBB1183_150
.LBB1183_148:                           ;   in Loop: Header=BB1183_150 Depth=1
	global_load_ushort v20, v[16:17], off
	global_load_ushort v21, v[18:19], off
	s_add_u32 s48, s48, 1
	s_addc_u32 s49, s49, 0
	s_andn2_b64 s[46:47], s[46:47], exec
	v_lshl_add_u64 v[16:17], v[16:17], 0, 2
	v_lshl_add_u64 v[18:19], v[18:19], 0, 2
	s_waitcnt vmcnt(1)
	v_lshlrev_b32_e32 v20, 16, v20
	s_waitcnt vmcnt(0)
	v_lshlrev_b32_e32 v21, 16, v21
	v_cmp_neq_f32_e32 vcc, v21, v20
	s_and_b64 s[50:51], vcc, exec
	s_or_b64 s[46:47], s[46:47], s[50:51]
.LBB1183_149:                           ;   in Loop: Header=BB1183_150 Depth=1
	s_and_b64 s[50:51], exec, s[46:47]
	s_or_b64 s[44:45], s[50:51], s[44:45]
	v_mov_b64_e32 v[20:21], s[48:49]
	s_andn2_b64 exec, exec, s[44:45]
	s_cbranch_execz .LBB1183_152
.LBB1183_150:                           ; =>This Inner Loop Header: Depth=1
	s_or_b64 s[46:47], s[46:47], exec
	s_cmp_eq_u64 s[42:43], s[48:49]
	s_cbranch_scc0 .LBB1183_148
; %bb.151:                              ;   in Loop: Header=BB1183_150 Depth=1
                                        ; implicit-def: $vgpr16_vgpr17
                                        ; implicit-def: $vgpr18_vgpr19
	s_mov_b64 s[48:49], s[26:27]
	s_branch .LBB1183_149
.LBB1183_152:
	s_or_b64 exec, exec, s[44:45]
	v_cmp_gt_i64_e32 vcc, s[26:27], v[20:21]
	s_orn2_b64 s[42:43], vcc, exec
.LBB1183_153:
	s_or_b64 exec, exec, s[36:37]
.LBB1183_154:
	s_and_b64 s[36:37], s[42:43], exec
.LBB1183_155:
	s_or_b64 exec, exec, s[40:41]
	v_cmp_ne_u32_e32 vcc, 0, v0
	s_waitcnt lgkmcnt(0)
	v_mov_b64_e32 v[16:17], s[6:7]
	s_barrier
	s_and_saveexec_b64 s[6:7], vcc
	s_cbranch_execz .LBB1183_157
; %bb.156:
	v_add_u32_e32 v16, -8, v31
	ds_read_b64 v[16:17], v16
.LBB1183_157:
	s_or_b64 exec, exec, s[6:7]
	v_cndmask_b32_e64 v19, 0, 1, s[18:19]
	v_cndmask_b32_e64 v18, 0, 1, s[38:39]
	;; [unrolled: 1-line block ×3, first 2 shown]
	v_lshlrev_b16_e32 v19, 8, v19
	v_cmp_gt_u32_e32 vcc, s3, v1
	v_lshlrev_b16_e32 v22, 8, v20
	v_or_b32_sdwa v23, v18, v19 dst_sel:WORD_1 dst_unused:UNUSED_PAD src0_sel:DWORD src1_sel:DWORD
	s_mov_b64 s[18:19], 0
	s_and_saveexec_b64 s[6:7], vcc
	s_cbranch_execz .LBB1183_168
; %bb.158:
	s_and_b64 vcc, exec, s[4:5]
	s_cbranch_vccnz .LBB1183_167
; %bb.159:
	s_waitcnt lgkmcnt(0)
	v_mul_lo_u32 v18, v17, s26
	v_mul_lo_u32 v19, v16, s27
	v_mad_u64_u32 v[16:17], s[4:5], v16, s26, 0
	v_add3_u32 v17, v17, v19, v18
	v_mul_lo_u32 v18, v11, s26
	v_mul_lo_u32 v19, v10, s27
	v_mad_u64_u32 v[20:21], s[4:5], v10, s26, 0
	v_add3_u32 v21, v21, v19, v18
	v_lshl_add_u64 v[18:19], v[16:17], 1, s[28:29]
	v_lshl_add_u64 v[16:17], v[20:21], 1, s[28:29]
	global_load_ushort v20, v[16:17], off
	global_load_ushort v21, v[18:19], off
	s_mov_b64 s[18:19], -1
	s_waitcnt vmcnt(1)
	v_lshlrev_b32_e32 v20, 16, v20
	s_waitcnt vmcnt(0)
	v_lshlrev_b32_e32 v21, 16, v21
	v_cmp_eq_f32_e32 vcc, v21, v20
	s_and_saveexec_b64 s[4:5], vcc
	s_cbranch_execz .LBB1183_166
; %bb.160:
	s_add_u32 s18, s26, -1
	v_lshl_add_u64 v[16:17], v[16:17], 0, 2
	v_lshl_add_u64 v[18:19], v[18:19], 0, 2
	s_addc_u32 s19, s27, -1
	s_mov_b64 s[36:37], 0
	s_mov_b64 s[40:41], 0
                                        ; implicit-def: $sgpr38_sgpr39
	s_branch .LBB1183_163
.LBB1183_161:                           ;   in Loop: Header=BB1183_163 Depth=1
	global_load_ushort v20, v[16:17], off
	global_load_ushort v21, v[18:19], off
	s_add_u32 s40, s40, 1
	s_addc_u32 s41, s41, 0
	s_andn2_b64 s[38:39], s[38:39], exec
	v_lshl_add_u64 v[16:17], v[16:17], 0, 2
	v_lshl_add_u64 v[18:19], v[18:19], 0, 2
	s_waitcnt vmcnt(1)
	v_lshlrev_b32_e32 v20, 16, v20
	s_waitcnt vmcnt(0)
	v_lshlrev_b32_e32 v21, 16, v21
	v_cmp_neq_f32_e32 vcc, v21, v20
	s_and_b64 s[42:43], vcc, exec
	s_or_b64 s[38:39], s[38:39], s[42:43]
.LBB1183_162:                           ;   in Loop: Header=BB1183_163 Depth=1
	s_and_b64 s[42:43], exec, s[38:39]
	s_or_b64 s[36:37], s[42:43], s[36:37]
	v_mov_b64_e32 v[20:21], s[40:41]
	s_andn2_b64 exec, exec, s[36:37]
	s_cbranch_execz .LBB1183_165
.LBB1183_163:                           ; =>This Inner Loop Header: Depth=1
	s_or_b64 s[38:39], s[38:39], exec
	s_cmp_eq_u64 s[18:19], s[40:41]
	s_cbranch_scc0 .LBB1183_161
; %bb.164:                              ;   in Loop: Header=BB1183_163 Depth=1
                                        ; implicit-def: $vgpr16_vgpr17
                                        ; implicit-def: $vgpr18_vgpr19
	s_mov_b64 s[40:41], s[26:27]
	s_branch .LBB1183_162
.LBB1183_165:
	s_or_b64 exec, exec, s[36:37]
	v_cmp_gt_i64_e32 vcc, s[26:27], v[20:21]
	s_orn2_b64 s[18:19], vcc, exec
.LBB1183_166:
	s_or_b64 exec, exec, s[4:5]
.LBB1183_167:
	s_and_b64 s[18:19], s[18:19], exec
.LBB1183_168:
	s_or_b64 exec, exec, s[6:7]
	v_cndmask_b32_e64 v32, 0, 1, s[14:15]
	v_cndmask_b32_e64 v33, 0, 1, s[12:13]
	;; [unrolled: 1-line block ×3, first 2 shown]
	v_or_b32_e32 v20, v22, v23
.LBB1183_169:
	s_mov_b64 s[10:11], -1
	s_cbranch_execnz .LBB1183_28
.LBB1183_170:
	s_movk_i32 s4, 0xffd0
	v_mad_i32_i24 v30, v0, s4, v30
	s_mov_b64 s[12:13], 0
	s_waitcnt lgkmcnt(0)
	v_cmp_gt_i64_e64 s[6:7], s[26:27], 0
	s_and_b64 vcc, exec, s[34:35]
	ds_write_b64 v30, v[14:15]
	s_cbranch_vccz .LBB1183_178
; %bb.171:
	v_mul_lo_u32 v18, v5, s26
	v_mul_lo_u32 v19, v4, s27
	v_mad_u64_u32 v[16:17], s[4:5], v4, s26, 0
	v_add3_u32 v17, v17, v19, v18
	v_cndmask_b32_e64 v18, 0, 1, s[6:7]
	v_cmp_ne_u32_e64 s[4:5], 1, v18
	s_andn2_b64 vcc, exec, s[6:7]
	v_lshl_add_u64 v[16:17], v[16:17], 1, s[28:29]
	s_cbranch_vccnz .LBB1183_181
; %bb.172:
	v_mul_lo_u32 v20, v15, s26
	v_mul_lo_u32 v21, v14, s27
	v_mad_u64_u32 v[18:19], s[12:13], v14, s26, 0
	v_add3_u32 v19, v19, v21, v20
	v_lshl_add_u64 v[18:19], v[18:19], 1, s[28:29]
	global_load_ushort v20, v[18:19], off
	global_load_ushort v21, v[16:17], off
	s_mov_b64 s[12:13], -1
	s_waitcnt vmcnt(1)
	v_lshlrev_b32_e32 v20, 16, v20
	s_waitcnt vmcnt(0)
	v_lshlrev_b32_e32 v21, 16, v21
	v_cmp_eq_f32_e32 vcc, v21, v20
	s_and_saveexec_b64 s[14:15], vcc
	s_cbranch_execz .LBB1183_180
; %bb.173:
	s_add_u32 s12, s26, -1
	v_lshl_add_u64 v[18:19], v[18:19], 0, 2
	v_lshl_add_u64 v[20:21], v[16:17], 0, 2
	s_addc_u32 s13, s27, -1
	s_mov_b64 s[18:19], 0
	s_mov_b64 s[38:39], 0
                                        ; implicit-def: $sgpr36_sgpr37
	s_branch .LBB1183_176
.LBB1183_174:                           ;   in Loop: Header=BB1183_176 Depth=1
	global_load_ushort v22, v[18:19], off
	global_load_ushort v23, v[20:21], off
	s_add_u32 s38, s38, 1
	s_addc_u32 s39, s39, 0
	s_andn2_b64 s[36:37], s[36:37], exec
	v_lshl_add_u64 v[18:19], v[18:19], 0, 2
	v_lshl_add_u64 v[20:21], v[20:21], 0, 2
	s_waitcnt vmcnt(1)
	v_lshlrev_b32_e32 v22, 16, v22
	s_waitcnt vmcnt(0)
	v_lshlrev_b32_e32 v23, 16, v23
	v_cmp_neq_f32_e32 vcc, v23, v22
	s_and_b64 s[40:41], vcc, exec
	s_or_b64 s[36:37], s[36:37], s[40:41]
.LBB1183_175:                           ;   in Loop: Header=BB1183_176 Depth=1
	s_and_b64 s[40:41], exec, s[36:37]
	s_or_b64 s[18:19], s[40:41], s[18:19]
	v_mov_b64_e32 v[22:23], s[38:39]
	s_andn2_b64 exec, exec, s[18:19]
	s_cbranch_execz .LBB1183_179
.LBB1183_176:                           ; =>This Inner Loop Header: Depth=1
	s_or_b64 s[36:37], s[36:37], exec
	s_cmp_eq_u64 s[12:13], s[38:39]
	s_cbranch_scc0 .LBB1183_174
; %bb.177:                              ;   in Loop: Header=BB1183_176 Depth=1
                                        ; implicit-def: $vgpr18_vgpr19
                                        ; implicit-def: $vgpr20_vgpr21
	s_mov_b64 s[38:39], s[26:27]
	s_branch .LBB1183_175
.LBB1183_178:
                                        ; implicit-def: $sgpr18_sgpr19
                                        ; implicit-def: $vgpr34
                                        ; implicit-def: $vgpr33
                                        ; implicit-def: $vgpr32
                                        ; implicit-def: $vgpr20
                                        ; implicit-def: $vgpr16_vgpr17
	s_cbranch_execnz .LBB1183_238
	s_branch .LBB1183_318
.LBB1183_179:
	s_or_b64 exec, exec, s[18:19]
	v_cmp_gt_i64_e32 vcc, s[26:27], v[22:23]
	s_orn2_b64 s[12:13], vcc, exec
.LBB1183_180:
	s_or_b64 exec, exec, s[14:15]
.LBB1183_181:
	v_mul_lo_u32 v20, v3, s26
	v_mul_lo_u32 v21, v2, s27
	v_mad_u64_u32 v[18:19], s[14:15], v2, s26, 0
	v_add3_u32 v19, v19, v21, v20
	s_mov_b64 s[14:15], 0
	s_and_b64 vcc, exec, s[4:5]
	v_lshl_add_u64 v[18:19], v[18:19], 1, s[28:29]
	s_mov_b64 s[18:19], 0
	s_cbranch_vccnz .LBB1183_190
; %bb.182:
	global_load_ushort v20, v[16:17], off
	global_load_ushort v21, v[18:19], off
	s_mov_b64 s[18:19], -1
	s_waitcnt vmcnt(1)
	v_lshlrev_b32_e32 v20, 16, v20
	s_waitcnt vmcnt(0)
	v_lshlrev_b32_e32 v21, 16, v21
	v_cmp_eq_f32_e32 vcc, v21, v20
	s_and_saveexec_b64 s[36:37], vcc
	s_cbranch_execz .LBB1183_189
; %bb.183:
	s_add_u32 s18, s26, -1
	v_lshl_add_u64 v[16:17], v[16:17], 0, 2
	v_lshl_add_u64 v[20:21], v[18:19], 0, 2
	s_addc_u32 s19, s27, -1
	s_mov_b64 s[38:39], 0
	s_mov_b64 s[42:43], 0
                                        ; implicit-def: $sgpr40_sgpr41
	s_branch .LBB1183_186
.LBB1183_184:                           ;   in Loop: Header=BB1183_186 Depth=1
	global_load_ushort v22, v[16:17], off
	global_load_ushort v23, v[20:21], off
	s_add_u32 s42, s42, 1
	s_addc_u32 s43, s43, 0
	s_andn2_b64 s[40:41], s[40:41], exec
	v_lshl_add_u64 v[16:17], v[16:17], 0, 2
	v_lshl_add_u64 v[20:21], v[20:21], 0, 2
	s_waitcnt vmcnt(1)
	v_lshlrev_b32_e32 v22, 16, v22
	s_waitcnt vmcnt(0)
	v_lshlrev_b32_e32 v23, 16, v23
	v_cmp_neq_f32_e32 vcc, v23, v22
	s_and_b64 s[44:45], vcc, exec
	s_or_b64 s[40:41], s[40:41], s[44:45]
.LBB1183_185:                           ;   in Loop: Header=BB1183_186 Depth=1
	s_and_b64 s[44:45], exec, s[40:41]
	s_or_b64 s[38:39], s[44:45], s[38:39]
	v_mov_b64_e32 v[22:23], s[42:43]
	s_andn2_b64 exec, exec, s[38:39]
	s_cbranch_execz .LBB1183_188
.LBB1183_186:                           ; =>This Inner Loop Header: Depth=1
	s_or_b64 s[40:41], s[40:41], exec
	s_cmp_eq_u64 s[18:19], s[42:43]
	s_cbranch_scc0 .LBB1183_184
; %bb.187:                              ;   in Loop: Header=BB1183_186 Depth=1
                                        ; implicit-def: $vgpr16_vgpr17
                                        ; implicit-def: $vgpr20_vgpr21
	s_mov_b64 s[42:43], s[26:27]
	s_branch .LBB1183_185
.LBB1183_188:
	s_or_b64 exec, exec, s[38:39]
	v_cmp_gt_i64_e32 vcc, s[26:27], v[22:23]
	s_orn2_b64 s[18:19], vcc, exec
.LBB1183_189:
	s_or_b64 exec, exec, s[36:37]
.LBB1183_190:
	v_mul_lo_u32 v20, v9, s26
	v_mul_lo_u32 v21, v8, s27
	v_mad_u64_u32 v[16:17], s[36:37], v8, s26, 0
	v_add3_u32 v17, v17, v21, v20
	s_and_b64 vcc, exec, s[4:5]
	v_lshl_add_u64 v[16:17], v[16:17], 1, s[28:29]
	s_cbranch_vccnz .LBB1183_199
; %bb.191:
	global_load_ushort v20, v[18:19], off
	global_load_ushort v21, v[16:17], off
	s_mov_b64 s[14:15], -1
	s_waitcnt vmcnt(1)
	v_lshlrev_b32_e32 v20, 16, v20
	s_waitcnt vmcnt(0)
	v_lshlrev_b32_e32 v21, 16, v21
	v_cmp_eq_f32_e32 vcc, v21, v20
	s_and_saveexec_b64 s[36:37], vcc
	s_cbranch_execz .LBB1183_198
; %bb.192:
	s_add_u32 s14, s26, -1
	v_lshl_add_u64 v[18:19], v[18:19], 0, 2
	v_lshl_add_u64 v[20:21], v[16:17], 0, 2
	s_addc_u32 s15, s27, -1
	s_mov_b64 s[38:39], 0
	s_mov_b64 s[42:43], 0
                                        ; implicit-def: $sgpr40_sgpr41
	s_branch .LBB1183_195
.LBB1183_193:                           ;   in Loop: Header=BB1183_195 Depth=1
	global_load_ushort v22, v[18:19], off
	global_load_ushort v23, v[20:21], off
	s_add_u32 s42, s42, 1
	s_addc_u32 s43, s43, 0
	s_andn2_b64 s[40:41], s[40:41], exec
	v_lshl_add_u64 v[18:19], v[18:19], 0, 2
	v_lshl_add_u64 v[20:21], v[20:21], 0, 2
	s_waitcnt vmcnt(1)
	v_lshlrev_b32_e32 v22, 16, v22
	s_waitcnt vmcnt(0)
	v_lshlrev_b32_e32 v23, 16, v23
	v_cmp_neq_f32_e32 vcc, v23, v22
	s_and_b64 s[44:45], vcc, exec
	s_or_b64 s[40:41], s[40:41], s[44:45]
.LBB1183_194:                           ;   in Loop: Header=BB1183_195 Depth=1
	s_and_b64 s[44:45], exec, s[40:41]
	s_or_b64 s[38:39], s[44:45], s[38:39]
	v_mov_b64_e32 v[22:23], s[42:43]
	s_andn2_b64 exec, exec, s[38:39]
	s_cbranch_execz .LBB1183_197
.LBB1183_195:                           ; =>This Inner Loop Header: Depth=1
	s_or_b64 s[40:41], s[40:41], exec
	s_cmp_eq_u64 s[14:15], s[42:43]
	s_cbranch_scc0 .LBB1183_193
; %bb.196:                              ;   in Loop: Header=BB1183_195 Depth=1
                                        ; implicit-def: $vgpr18_vgpr19
                                        ; implicit-def: $vgpr20_vgpr21
	s_mov_b64 s[42:43], s[26:27]
	s_branch .LBB1183_194
.LBB1183_197:
	s_or_b64 exec, exec, s[38:39]
	v_cmp_gt_i64_e32 vcc, s[26:27], v[22:23]
	s_orn2_b64 s[14:15], vcc, exec
.LBB1183_198:
	s_or_b64 exec, exec, s[36:37]
.LBB1183_199:
	v_mul_lo_u32 v20, v7, s26
	v_mul_lo_u32 v21, v6, s27
	v_mad_u64_u32 v[18:19], s[36:37], v6, s26, 0
	v_add3_u32 v19, v19, v21, v20
	s_mov_b64 s[36:37], 0
	s_and_b64 vcc, exec, s[4:5]
	v_lshl_add_u64 v[18:19], v[18:19], 1, s[28:29]
	s_mov_b64 s[38:39], 0
	s_cbranch_vccnz .LBB1183_208
; %bb.200:
	global_load_ushort v20, v[16:17], off
	global_load_ushort v21, v[18:19], off
	s_mov_b64 s[38:39], -1
	s_waitcnt vmcnt(1)
	v_lshlrev_b32_e32 v20, 16, v20
	s_waitcnt vmcnt(0)
	v_lshlrev_b32_e32 v21, 16, v21
	v_cmp_eq_f32_e32 vcc, v21, v20
	s_and_saveexec_b64 s[40:41], vcc
	s_cbranch_execz .LBB1183_207
; %bb.201:
	s_add_u32 s38, s26, -1
	v_lshl_add_u64 v[16:17], v[16:17], 0, 2
	v_lshl_add_u64 v[20:21], v[18:19], 0, 2
	s_addc_u32 s39, s27, -1
	s_mov_b64 s[42:43], 0
	s_mov_b64 s[46:47], 0
                                        ; implicit-def: $sgpr44_sgpr45
	s_branch .LBB1183_204
.LBB1183_202:                           ;   in Loop: Header=BB1183_204 Depth=1
	global_load_ushort v22, v[16:17], off
	global_load_ushort v23, v[20:21], off
	s_add_u32 s46, s46, 1
	s_addc_u32 s47, s47, 0
	s_andn2_b64 s[44:45], s[44:45], exec
	v_lshl_add_u64 v[16:17], v[16:17], 0, 2
	v_lshl_add_u64 v[20:21], v[20:21], 0, 2
	s_waitcnt vmcnt(1)
	v_lshlrev_b32_e32 v22, 16, v22
	s_waitcnt vmcnt(0)
	v_lshlrev_b32_e32 v23, 16, v23
	v_cmp_neq_f32_e32 vcc, v23, v22
	s_and_b64 s[48:49], vcc, exec
	s_or_b64 s[44:45], s[44:45], s[48:49]
.LBB1183_203:                           ;   in Loop: Header=BB1183_204 Depth=1
	s_and_b64 s[48:49], exec, s[44:45]
	s_or_b64 s[42:43], s[48:49], s[42:43]
	v_mov_b64_e32 v[22:23], s[46:47]
	s_andn2_b64 exec, exec, s[42:43]
	s_cbranch_execz .LBB1183_206
.LBB1183_204:                           ; =>This Inner Loop Header: Depth=1
	s_or_b64 s[44:45], s[44:45], exec
	s_cmp_eq_u64 s[38:39], s[46:47]
	s_cbranch_scc0 .LBB1183_202
; %bb.205:                              ;   in Loop: Header=BB1183_204 Depth=1
                                        ; implicit-def: $vgpr16_vgpr17
                                        ; implicit-def: $vgpr20_vgpr21
	s_mov_b64 s[46:47], s[26:27]
	s_branch .LBB1183_203
.LBB1183_206:
	s_or_b64 exec, exec, s[42:43]
	v_cmp_gt_i64_e32 vcc, s[26:27], v[22:23]
	s_orn2_b64 s[38:39], vcc, exec
.LBB1183_207:
	s_or_b64 exec, exec, s[40:41]
.LBB1183_208:
	v_mul_lo_u32 v20, v13, s26
	v_mul_lo_u32 v21, v12, s27
	v_mad_u64_u32 v[16:17], s[40:41], v12, s26, 0
	v_add3_u32 v17, v17, v21, v20
	s_and_b64 vcc, exec, s[4:5]
	v_lshl_add_u64 v[16:17], v[16:17], 1, s[28:29]
	s_cbranch_vccnz .LBB1183_217
; %bb.209:
	global_load_ushort v20, v[18:19], off
	global_load_ushort v21, v[16:17], off
	s_mov_b64 s[36:37], -1
	s_waitcnt vmcnt(1)
	v_lshlrev_b32_e32 v20, 16, v20
	s_waitcnt vmcnt(0)
	v_lshlrev_b32_e32 v21, 16, v21
	v_cmp_eq_f32_e32 vcc, v21, v20
	s_and_saveexec_b64 s[40:41], vcc
	s_cbranch_execz .LBB1183_216
; %bb.210:
	s_add_u32 s36, s26, -1
	v_lshl_add_u64 v[18:19], v[18:19], 0, 2
	v_lshl_add_u64 v[20:21], v[16:17], 0, 2
	s_addc_u32 s37, s27, -1
	s_mov_b64 s[42:43], 0
	s_mov_b64 s[46:47], 0
                                        ; implicit-def: $sgpr44_sgpr45
	s_branch .LBB1183_213
.LBB1183_211:                           ;   in Loop: Header=BB1183_213 Depth=1
	global_load_ushort v22, v[18:19], off
	global_load_ushort v23, v[20:21], off
	s_add_u32 s46, s46, 1
	s_addc_u32 s47, s47, 0
	s_andn2_b64 s[44:45], s[44:45], exec
	v_lshl_add_u64 v[18:19], v[18:19], 0, 2
	v_lshl_add_u64 v[20:21], v[20:21], 0, 2
	s_waitcnt vmcnt(1)
	v_lshlrev_b32_e32 v22, 16, v22
	s_waitcnt vmcnt(0)
	v_lshlrev_b32_e32 v23, 16, v23
	v_cmp_neq_f32_e32 vcc, v23, v22
	s_and_b64 s[48:49], vcc, exec
	s_or_b64 s[44:45], s[44:45], s[48:49]
.LBB1183_212:                           ;   in Loop: Header=BB1183_213 Depth=1
	s_and_b64 s[48:49], exec, s[44:45]
	s_or_b64 s[42:43], s[48:49], s[42:43]
	v_mov_b64_e32 v[22:23], s[46:47]
	s_andn2_b64 exec, exec, s[42:43]
	s_cbranch_execz .LBB1183_215
.LBB1183_213:                           ; =>This Inner Loop Header: Depth=1
	s_or_b64 s[44:45], s[44:45], exec
	s_cmp_eq_u64 s[36:37], s[46:47]
	s_cbranch_scc0 .LBB1183_211
; %bb.214:                              ;   in Loop: Header=BB1183_213 Depth=1
                                        ; implicit-def: $vgpr18_vgpr19
                                        ; implicit-def: $vgpr20_vgpr21
	s_mov_b64 s[46:47], s[26:27]
	s_branch .LBB1183_212
.LBB1183_215:
	s_or_b64 exec, exec, s[42:43]
	v_cmp_gt_i64_e32 vcc, s[26:27], v[22:23]
	s_orn2_b64 s[36:37], vcc, exec
.LBB1183_216:
	s_or_b64 exec, exec, s[40:41]
.LBB1183_217:
	v_mul_lo_u32 v20, v11, s26
	v_mul_lo_u32 v21, v10, s27
	v_mad_u64_u32 v[18:19], s[40:41], v10, s26, 0
	v_add3_u32 v19, v19, v21, v20
	s_and_b64 vcc, exec, s[4:5]
	s_mov_b64 s[42:43], 0
	s_cbranch_vccnz .LBB1183_226
; %bb.218:
	v_lshl_add_u64 v[20:21], v[18:19], 1, s[28:29]
	global_load_ushort v22, v[16:17], off
	global_load_ushort v23, v[20:21], off
	s_mov_b64 s[42:43], -1
	s_waitcnt vmcnt(1)
	v_lshlrev_b32_e32 v22, 16, v22
	s_waitcnt vmcnt(0)
	v_lshlrev_b32_e32 v23, 16, v23
	v_cmp_eq_f32_e32 vcc, v23, v22
	s_and_saveexec_b64 s[40:41], vcc
	s_cbranch_execz .LBB1183_225
; %bb.219:
	s_add_u32 s42, s26, -1
	v_lshl_add_u64 v[16:17], v[16:17], 0, 2
	v_lshl_add_u64 v[20:21], v[20:21], 0, 2
	s_addc_u32 s43, s27, -1
	s_mov_b64 s[44:45], 0
	s_mov_b64 s[48:49], 0
                                        ; implicit-def: $sgpr46_sgpr47
	s_branch .LBB1183_222
.LBB1183_220:                           ;   in Loop: Header=BB1183_222 Depth=1
	global_load_ushort v22, v[16:17], off
	global_load_ushort v23, v[20:21], off
	s_add_u32 s48, s48, 1
	s_addc_u32 s49, s49, 0
	s_andn2_b64 s[46:47], s[46:47], exec
	v_lshl_add_u64 v[16:17], v[16:17], 0, 2
	v_lshl_add_u64 v[20:21], v[20:21], 0, 2
	s_waitcnt vmcnt(1)
	v_lshlrev_b32_e32 v22, 16, v22
	s_waitcnt vmcnt(0)
	v_lshlrev_b32_e32 v23, 16, v23
	v_cmp_neq_f32_e32 vcc, v23, v22
	s_and_b64 s[50:51], vcc, exec
	s_or_b64 s[46:47], s[46:47], s[50:51]
.LBB1183_221:                           ;   in Loop: Header=BB1183_222 Depth=1
	s_and_b64 s[50:51], exec, s[46:47]
	s_or_b64 s[44:45], s[50:51], s[44:45]
	v_mov_b64_e32 v[22:23], s[48:49]
	s_andn2_b64 exec, exec, s[44:45]
	s_cbranch_execz .LBB1183_224
.LBB1183_222:                           ; =>This Inner Loop Header: Depth=1
	s_or_b64 s[46:47], s[46:47], exec
	s_cmp_eq_u64 s[42:43], s[48:49]
	s_cbranch_scc0 .LBB1183_220
; %bb.223:                              ;   in Loop: Header=BB1183_222 Depth=1
                                        ; implicit-def: $vgpr16_vgpr17
                                        ; implicit-def: $vgpr20_vgpr21
	s_mov_b64 s[48:49], s[26:27]
	s_branch .LBB1183_221
.LBB1183_224:
	s_or_b64 exec, exec, s[44:45]
	v_cmp_gt_i64_e32 vcc, s[26:27], v[22:23]
	s_orn2_b64 s[42:43], vcc, exec
.LBB1183_225:
	s_or_b64 exec, exec, s[40:41]
.LBB1183_226:
	v_cndmask_b32_e64 v17, 0, 1, s[38:39]
	v_cndmask_b32_e64 v16, 0, 1, s[36:37]
	;; [unrolled: 1-line block ×3, first 2 shown]
	v_lshlrev_b16_e32 v17, 8, v17
	v_cndmask_b32_e64 v32, 0, 1, s[14:15]
	v_cndmask_b32_e64 v20, 0, 1, s[42:43]
	v_or_b32_sdwa v16, v16, v17 dst_sel:WORD_1 dst_unused:UNUSED_PAD src0_sel:DWORD src1_sel:DWORD
	v_lshlrev_b16_e32 v17, 8, v33
	v_lshlrev_b16_e32 v20, 8, v20
	v_or_b32_e32 v17, v32, v17
	v_or_b32_e32 v20, 1, v20
	v_and_b32_e32 v17, 0xffff, v17
	v_cndmask_b32_e64 v34, 0, 1, s[12:13]
	v_or_b32_sdwa v16, v20, v16 dst_sel:DWORD dst_unused:UNUSED_PAD src0_sel:WORD_0 src1_sel:DWORD
	v_lshl_or_b32 v17, v34, 16, v17
	v_cmp_ne_u32_e32 vcc, 0, v0
	s_waitcnt lgkmcnt(0)
	s_barrier
	s_waitcnt lgkmcnt(0)
                                        ; implicit-def: $sgpr18_sgpr19
                                        ; implicit-def: $vgpr20
	s_and_saveexec_b64 s[12:13], vcc
	s_xor_b64 s[12:13], exec, s[12:13]
	s_cbranch_execz .LBB1183_237
; %bb.227:
	s_mov_b32 s33, 0x3020104
	s_and_b64 vcc, exec, s[4:5]
	s_mov_b64 s[14:15], 0
	s_cbranch_vccnz .LBB1183_236
; %bb.228:
	v_add_u32_e32 v17, -8, v30
	ds_read_b64 v[20:21], v17
	v_lshl_add_u64 v[18:19], v[18:19], 1, s[28:29]
	s_mov_b64 s[14:15], -1
	s_waitcnt lgkmcnt(0)
	v_mul_lo_u32 v17, v21, s26
	v_mul_lo_u32 v22, v20, s27
	v_mad_u64_u32 v[20:21], s[4:5], v20, s26, 0
	v_add3_u32 v21, v21, v22, v17
	v_lshl_add_u64 v[20:21], v[20:21], 1, s[28:29]
	global_load_ushort v17, v[20:21], off
	global_load_ushort v22, v[18:19], off
	s_waitcnt vmcnt(1)
	v_lshlrev_b32_e32 v17, 16, v17
	s_waitcnt vmcnt(0)
	v_lshlrev_b32_e32 v22, 16, v22
	v_cmp_eq_f32_e32 vcc, v17, v22
	s_and_saveexec_b64 s[4:5], vcc
	s_cbranch_execz .LBB1183_235
; %bb.229:
	s_add_u32 s14, s26, -1
	v_lshl_add_u64 v[18:19], v[18:19], 0, 2
	v_lshl_add_u64 v[20:21], v[20:21], 0, 2
	s_addc_u32 s15, s27, -1
	s_mov_b64 s[18:19], 0
	s_mov_b64 s[38:39], 0
                                        ; implicit-def: $sgpr36_sgpr37
	s_branch .LBB1183_232
.LBB1183_230:                           ;   in Loop: Header=BB1183_232 Depth=1
	global_load_ushort v17, v[18:19], off
	global_load_ushort v22, v[20:21], off
	s_add_u32 s38, s38, 1
	s_addc_u32 s39, s39, 0
	s_andn2_b64 s[36:37], s[36:37], exec
	v_lshl_add_u64 v[18:19], v[18:19], 0, 2
	v_lshl_add_u64 v[20:21], v[20:21], 0, 2
	s_waitcnt vmcnt(1)
	v_lshlrev_b32_e32 v17, 16, v17
	s_waitcnt vmcnt(0)
	v_lshlrev_b32_e32 v22, 16, v22
	v_cmp_neq_f32_e32 vcc, v22, v17
	s_and_b64 s[40:41], vcc, exec
	s_or_b64 s[36:37], s[36:37], s[40:41]
.LBB1183_231:                           ;   in Loop: Header=BB1183_232 Depth=1
	s_and_b64 s[40:41], exec, s[36:37]
	s_or_b64 s[18:19], s[40:41], s[18:19]
	v_mov_b64_e32 v[22:23], s[38:39]
	s_andn2_b64 exec, exec, s[18:19]
	s_cbranch_execz .LBB1183_234
.LBB1183_232:                           ; =>This Inner Loop Header: Depth=1
	s_or_b64 s[36:37], s[36:37], exec
	s_cmp_eq_u64 s[14:15], s[38:39]
	s_cbranch_scc0 .LBB1183_230
; %bb.233:                              ;   in Loop: Header=BB1183_232 Depth=1
                                        ; implicit-def: $vgpr18_vgpr19
                                        ; implicit-def: $vgpr20_vgpr21
	s_mov_b64 s[38:39], s[26:27]
	s_branch .LBB1183_231
.LBB1183_234:
	s_or_b64 exec, exec, s[18:19]
	v_cmp_gt_i64_e32 vcc, s[26:27], v[22:23]
	s_orn2_b64 s[14:15], vcc, exec
.LBB1183_235:
	s_or_b64 exec, exec, s[4:5]
.LBB1183_236:
	v_perm_b32 v20, v16, v16, s33
	s_and_b64 s[18:19], s[14:15], exec
	s_or_b64 s[10:11], s[10:11], exec
                                        ; implicit-def: $vgpr16_vgpr17
.LBB1183_237:
	s_or_b64 exec, exec, s[12:13]
	s_branch .LBB1183_318
.LBB1183_238:
	v_cmp_gt_u32_e32 vcc, s3, v27
	s_mov_b64 s[12:13], 0
	s_mov_b64 s[4:5], 0
	s_and_saveexec_b64 s[14:15], vcc
	s_cbranch_execz .LBB1183_249
; %bb.239:
	s_andn2_b64 vcc, exec, s[6:7]
	s_mov_b64 s[18:19], 0
	s_cbranch_vccnz .LBB1183_248
; %bb.240:
	v_mul_lo_u32 v18, v5, s26
	v_mul_lo_u32 v19, v4, s27
	v_mad_u64_u32 v[16:17], s[4:5], v4, s26, 0
	v_add3_u32 v17, v17, v19, v18
	v_mul_lo_u32 v18, v15, s26
	v_mul_lo_u32 v19, v14, s27
	v_mad_u64_u32 v[20:21], s[4:5], v14, s26, 0
	v_add3_u32 v21, v21, v19, v18
	v_lshl_add_u64 v[18:19], v[16:17], 1, s[28:29]
	v_lshl_add_u64 v[16:17], v[20:21], 1, s[28:29]
	global_load_ushort v20, v[16:17], off
	global_load_ushort v21, v[18:19], off
	s_mov_b64 s[18:19], -1
	s_waitcnt vmcnt(1)
	v_lshlrev_b32_e32 v20, 16, v20
	s_waitcnt vmcnt(0)
	v_lshlrev_b32_e32 v21, 16, v21
	v_cmp_eq_f32_e32 vcc, v21, v20
	s_and_saveexec_b64 s[4:5], vcc
	s_cbranch_execz .LBB1183_247
; %bb.241:
	s_add_u32 s18, s26, -1
	v_lshl_add_u64 v[16:17], v[16:17], 0, 2
	v_lshl_add_u64 v[18:19], v[18:19], 0, 2
	s_addc_u32 s19, s27, -1
	s_mov_b64 s[36:37], 0
	s_mov_b64 s[40:41], 0
                                        ; implicit-def: $sgpr38_sgpr39
	s_branch .LBB1183_244
.LBB1183_242:                           ;   in Loop: Header=BB1183_244 Depth=1
	global_load_ushort v20, v[16:17], off
	global_load_ushort v21, v[18:19], off
	s_add_u32 s40, s40, 1
	s_addc_u32 s41, s41, 0
	s_andn2_b64 s[38:39], s[38:39], exec
	v_lshl_add_u64 v[16:17], v[16:17], 0, 2
	v_lshl_add_u64 v[18:19], v[18:19], 0, 2
	s_waitcnt vmcnt(1)
	v_lshlrev_b32_e32 v20, 16, v20
	s_waitcnt vmcnt(0)
	v_lshlrev_b32_e32 v21, 16, v21
	v_cmp_neq_f32_e32 vcc, v21, v20
	s_and_b64 s[42:43], vcc, exec
	s_or_b64 s[38:39], s[38:39], s[42:43]
.LBB1183_243:                           ;   in Loop: Header=BB1183_244 Depth=1
	s_and_b64 s[42:43], exec, s[38:39]
	s_or_b64 s[36:37], s[42:43], s[36:37]
	v_mov_b64_e32 v[20:21], s[40:41]
	s_andn2_b64 exec, exec, s[36:37]
	s_cbranch_execz .LBB1183_246
.LBB1183_244:                           ; =>This Inner Loop Header: Depth=1
	s_or_b64 s[38:39], s[38:39], exec
	s_cmp_eq_u64 s[18:19], s[40:41]
	s_cbranch_scc0 .LBB1183_242
; %bb.245:                              ;   in Loop: Header=BB1183_244 Depth=1
                                        ; implicit-def: $vgpr16_vgpr17
                                        ; implicit-def: $vgpr18_vgpr19
	s_mov_b64 s[40:41], s[26:27]
	s_branch .LBB1183_243
.LBB1183_246:
	s_or_b64 exec, exec, s[36:37]
	v_cmp_gt_i64_e32 vcc, s[26:27], v[20:21]
	s_orn2_b64 s[18:19], vcc, exec
.LBB1183_247:
	s_or_b64 exec, exec, s[4:5]
.LBB1183_248:
	s_and_b64 s[4:5], s[18:19], exec
.LBB1183_249:
	s_or_b64 exec, exec, s[14:15]
	v_cmp_gt_u32_e32 vcc, s3, v29
	s_and_saveexec_b64 s[14:15], vcc
	s_cbranch_execz .LBB1183_260
; %bb.250:
	s_andn2_b64 vcc, exec, s[6:7]
	s_mov_b64 s[18:19], 0
	s_cbranch_vccnz .LBB1183_259
; %bb.251:
	v_mul_lo_u32 v18, v3, s26
	v_mul_lo_u32 v19, v2, s27
	v_mad_u64_u32 v[16:17], s[12:13], v2, s26, 0
	v_add3_u32 v17, v17, v19, v18
	v_mul_lo_u32 v18, v5, s26
	v_mul_lo_u32 v19, v4, s27
	v_mad_u64_u32 v[20:21], s[12:13], v4, s26, 0
	v_add3_u32 v21, v21, v19, v18
	v_lshl_add_u64 v[18:19], v[16:17], 1, s[28:29]
	v_lshl_add_u64 v[16:17], v[20:21], 1, s[28:29]
	global_load_ushort v20, v[16:17], off
	global_load_ushort v21, v[18:19], off
	s_mov_b64 s[18:19], -1
	s_waitcnt vmcnt(1)
	v_lshlrev_b32_e32 v20, 16, v20
	s_waitcnt vmcnt(0)
	v_lshlrev_b32_e32 v21, 16, v21
	v_cmp_eq_f32_e32 vcc, v21, v20
	s_and_saveexec_b64 s[12:13], vcc
	s_cbranch_execz .LBB1183_258
; %bb.252:
	s_add_u32 s18, s26, -1
	v_lshl_add_u64 v[16:17], v[16:17], 0, 2
	v_lshl_add_u64 v[18:19], v[18:19], 0, 2
	s_addc_u32 s19, s27, -1
	s_mov_b64 s[36:37], 0
	s_mov_b64 s[40:41], 0
                                        ; implicit-def: $sgpr38_sgpr39
	s_branch .LBB1183_255
.LBB1183_253:                           ;   in Loop: Header=BB1183_255 Depth=1
	global_load_ushort v20, v[16:17], off
	global_load_ushort v21, v[18:19], off
	s_add_u32 s40, s40, 1
	s_addc_u32 s41, s41, 0
	s_andn2_b64 s[38:39], s[38:39], exec
	v_lshl_add_u64 v[16:17], v[16:17], 0, 2
	v_lshl_add_u64 v[18:19], v[18:19], 0, 2
	s_waitcnt vmcnt(1)
	v_lshlrev_b32_e32 v20, 16, v20
	s_waitcnt vmcnt(0)
	v_lshlrev_b32_e32 v21, 16, v21
	v_cmp_neq_f32_e32 vcc, v21, v20
	s_and_b64 s[42:43], vcc, exec
	s_or_b64 s[38:39], s[38:39], s[42:43]
.LBB1183_254:                           ;   in Loop: Header=BB1183_255 Depth=1
	s_and_b64 s[42:43], exec, s[38:39]
	s_or_b64 s[36:37], s[42:43], s[36:37]
	v_mov_b64_e32 v[20:21], s[40:41]
	s_andn2_b64 exec, exec, s[36:37]
	s_cbranch_execz .LBB1183_257
.LBB1183_255:                           ; =>This Inner Loop Header: Depth=1
	s_or_b64 s[38:39], s[38:39], exec
	s_cmp_eq_u64 s[18:19], s[40:41]
	s_cbranch_scc0 .LBB1183_253
; %bb.256:                              ;   in Loop: Header=BB1183_255 Depth=1
                                        ; implicit-def: $vgpr16_vgpr17
                                        ; implicit-def: $vgpr18_vgpr19
	s_mov_b64 s[40:41], s[26:27]
	s_branch .LBB1183_254
.LBB1183_257:
	s_or_b64 exec, exec, s[36:37]
	v_cmp_gt_i64_e32 vcc, s[26:27], v[20:21]
	s_orn2_b64 s[18:19], vcc, exec
.LBB1183_258:
	s_or_b64 exec, exec, s[12:13]
.LBB1183_259:
	s_and_b64 s[12:13], s[18:19], exec
.LBB1183_260:
	s_or_b64 exec, exec, s[14:15]
	v_cmp_gt_u32_e32 vcc, s3, v26
	s_mov_b64 s[18:19], 0
	s_mov_b64 s[14:15], 0
	s_and_saveexec_b64 s[36:37], vcc
	s_cbranch_execz .LBB1183_271
; %bb.261:
	s_andn2_b64 vcc, exec, s[6:7]
	s_mov_b64 s[38:39], 0
	s_cbranch_vccnz .LBB1183_270
; %bb.262:
	v_mul_lo_u32 v18, v9, s26
	v_mul_lo_u32 v19, v8, s27
	v_mad_u64_u32 v[16:17], s[14:15], v8, s26, 0
	v_add3_u32 v17, v17, v19, v18
	v_mul_lo_u32 v18, v3, s26
	v_mul_lo_u32 v19, v2, s27
	v_mad_u64_u32 v[20:21], s[14:15], v2, s26, 0
	v_add3_u32 v21, v21, v19, v18
	v_lshl_add_u64 v[18:19], v[16:17], 1, s[28:29]
	v_lshl_add_u64 v[16:17], v[20:21], 1, s[28:29]
	global_load_ushort v20, v[16:17], off
	global_load_ushort v21, v[18:19], off
	s_mov_b64 s[38:39], -1
	s_waitcnt vmcnt(1)
	v_lshlrev_b32_e32 v20, 16, v20
	s_waitcnt vmcnt(0)
	v_lshlrev_b32_e32 v21, 16, v21
	v_cmp_eq_f32_e32 vcc, v21, v20
	s_and_saveexec_b64 s[14:15], vcc
	s_cbranch_execz .LBB1183_269
; %bb.263:
	s_add_u32 s38, s26, -1
	v_lshl_add_u64 v[16:17], v[16:17], 0, 2
	v_lshl_add_u64 v[18:19], v[18:19], 0, 2
	s_addc_u32 s39, s27, -1
	s_mov_b64 s[40:41], 0
	s_mov_b64 s[44:45], 0
                                        ; implicit-def: $sgpr42_sgpr43
	s_branch .LBB1183_266
.LBB1183_264:                           ;   in Loop: Header=BB1183_266 Depth=1
	global_load_ushort v20, v[16:17], off
	global_load_ushort v21, v[18:19], off
	s_add_u32 s44, s44, 1
	s_addc_u32 s45, s45, 0
	s_andn2_b64 s[42:43], s[42:43], exec
	v_lshl_add_u64 v[16:17], v[16:17], 0, 2
	v_lshl_add_u64 v[18:19], v[18:19], 0, 2
	s_waitcnt vmcnt(1)
	v_lshlrev_b32_e32 v20, 16, v20
	s_waitcnt vmcnt(0)
	v_lshlrev_b32_e32 v21, 16, v21
	v_cmp_neq_f32_e32 vcc, v21, v20
	s_and_b64 s[46:47], vcc, exec
	s_or_b64 s[42:43], s[42:43], s[46:47]
.LBB1183_265:                           ;   in Loop: Header=BB1183_266 Depth=1
	s_and_b64 s[46:47], exec, s[42:43]
	s_or_b64 s[40:41], s[46:47], s[40:41]
	v_mov_b64_e32 v[20:21], s[44:45]
	s_andn2_b64 exec, exec, s[40:41]
	s_cbranch_execz .LBB1183_268
.LBB1183_266:                           ; =>This Inner Loop Header: Depth=1
	s_or_b64 s[42:43], s[42:43], exec
	s_cmp_eq_u64 s[38:39], s[44:45]
	s_cbranch_scc0 .LBB1183_264
; %bb.267:                              ;   in Loop: Header=BB1183_266 Depth=1
                                        ; implicit-def: $vgpr16_vgpr17
                                        ; implicit-def: $vgpr18_vgpr19
	s_mov_b64 s[44:45], s[26:27]
	s_branch .LBB1183_265
.LBB1183_268:
	s_or_b64 exec, exec, s[40:41]
	v_cmp_gt_i64_e32 vcc, s[26:27], v[20:21]
	s_orn2_b64 s[38:39], vcc, exec
.LBB1183_269:
	s_or_b64 exec, exec, s[14:15]
.LBB1183_270:
	s_and_b64 s[14:15], s[38:39], exec
.LBB1183_271:
	s_or_b64 exec, exec, s[36:37]
	v_cmp_gt_u32_e32 vcc, s3, v28
	s_and_saveexec_b64 s[36:37], vcc
	s_cbranch_execz .LBB1183_282
; %bb.272:
	s_andn2_b64 vcc, exec, s[6:7]
	s_mov_b64 s[38:39], 0
	s_cbranch_vccnz .LBB1183_281
; %bb.273:
	v_mul_lo_u32 v18, v7, s26
	v_mul_lo_u32 v19, v6, s27
	v_mad_u64_u32 v[16:17], s[18:19], v6, s26, 0
	v_add3_u32 v17, v17, v19, v18
	v_mul_lo_u32 v18, v9, s26
	v_mul_lo_u32 v19, v8, s27
	v_mad_u64_u32 v[20:21], s[18:19], v8, s26, 0
	v_add3_u32 v21, v21, v19, v18
	v_lshl_add_u64 v[18:19], v[16:17], 1, s[28:29]
	v_lshl_add_u64 v[16:17], v[20:21], 1, s[28:29]
	global_load_ushort v20, v[16:17], off
	global_load_ushort v21, v[18:19], off
	s_mov_b64 s[38:39], -1
	s_waitcnt vmcnt(1)
	v_lshlrev_b32_e32 v20, 16, v20
	s_waitcnt vmcnt(0)
	v_lshlrev_b32_e32 v21, 16, v21
	v_cmp_eq_f32_e32 vcc, v21, v20
	s_and_saveexec_b64 s[18:19], vcc
	s_cbranch_execz .LBB1183_280
; %bb.274:
	s_add_u32 s38, s26, -1
	v_lshl_add_u64 v[16:17], v[16:17], 0, 2
	v_lshl_add_u64 v[18:19], v[18:19], 0, 2
	s_addc_u32 s39, s27, -1
	s_mov_b64 s[40:41], 0
	s_mov_b64 s[44:45], 0
                                        ; implicit-def: $sgpr42_sgpr43
	s_branch .LBB1183_277
.LBB1183_275:                           ;   in Loop: Header=BB1183_277 Depth=1
	global_load_ushort v20, v[16:17], off
	global_load_ushort v21, v[18:19], off
	s_add_u32 s44, s44, 1
	s_addc_u32 s45, s45, 0
	s_andn2_b64 s[42:43], s[42:43], exec
	v_lshl_add_u64 v[16:17], v[16:17], 0, 2
	v_lshl_add_u64 v[18:19], v[18:19], 0, 2
	s_waitcnt vmcnt(1)
	v_lshlrev_b32_e32 v20, 16, v20
	s_waitcnt vmcnt(0)
	v_lshlrev_b32_e32 v21, 16, v21
	v_cmp_neq_f32_e32 vcc, v21, v20
	s_and_b64 s[46:47], vcc, exec
	s_or_b64 s[42:43], s[42:43], s[46:47]
.LBB1183_276:                           ;   in Loop: Header=BB1183_277 Depth=1
	s_and_b64 s[46:47], exec, s[42:43]
	s_or_b64 s[40:41], s[46:47], s[40:41]
	v_mov_b64_e32 v[20:21], s[44:45]
	s_andn2_b64 exec, exec, s[40:41]
	s_cbranch_execz .LBB1183_279
.LBB1183_277:                           ; =>This Inner Loop Header: Depth=1
	s_or_b64 s[42:43], s[42:43], exec
	s_cmp_eq_u64 s[38:39], s[44:45]
	s_cbranch_scc0 .LBB1183_275
; %bb.278:                              ;   in Loop: Header=BB1183_277 Depth=1
                                        ; implicit-def: $vgpr16_vgpr17
                                        ; implicit-def: $vgpr18_vgpr19
	s_mov_b64 s[44:45], s[26:27]
	s_branch .LBB1183_276
.LBB1183_279:
	s_or_b64 exec, exec, s[40:41]
	v_cmp_gt_i64_e32 vcc, s[26:27], v[20:21]
	s_orn2_b64 s[38:39], vcc, exec
.LBB1183_280:
	s_or_b64 exec, exec, s[18:19]
.LBB1183_281:
	s_and_b64 s[18:19], s[38:39], exec
.LBB1183_282:
	s_or_b64 exec, exec, s[36:37]
	v_cmp_gt_u32_e32 vcc, s3, v24
	s_mov_b64 s[36:37], 0
	s_mov_b64 s[38:39], 0
	s_and_saveexec_b64 s[40:41], vcc
	s_cbranch_execz .LBB1183_293
; %bb.283:
	s_andn2_b64 vcc, exec, s[6:7]
	s_mov_b64 s[42:43], 0
	s_cbranch_vccnz .LBB1183_292
; %bb.284:
	v_mul_lo_u32 v18, v13, s26
	v_mul_lo_u32 v19, v12, s27
	v_mad_u64_u32 v[16:17], s[38:39], v12, s26, 0
	v_add3_u32 v17, v17, v19, v18
	v_mul_lo_u32 v18, v7, s26
	v_mul_lo_u32 v19, v6, s27
	v_mad_u64_u32 v[20:21], s[38:39], v6, s26, 0
	v_add3_u32 v21, v21, v19, v18
	v_lshl_add_u64 v[18:19], v[16:17], 1, s[28:29]
	v_lshl_add_u64 v[16:17], v[20:21], 1, s[28:29]
	global_load_ushort v20, v[16:17], off
	global_load_ushort v21, v[18:19], off
	s_mov_b64 s[42:43], -1
	s_waitcnt vmcnt(1)
	v_lshlrev_b32_e32 v20, 16, v20
	s_waitcnt vmcnt(0)
	v_lshlrev_b32_e32 v21, 16, v21
	v_cmp_eq_f32_e32 vcc, v21, v20
	s_and_saveexec_b64 s[38:39], vcc
	s_cbranch_execz .LBB1183_291
; %bb.285:
	s_add_u32 s42, s26, -1
	v_lshl_add_u64 v[16:17], v[16:17], 0, 2
	v_lshl_add_u64 v[18:19], v[18:19], 0, 2
	s_addc_u32 s43, s27, -1
	s_mov_b64 s[44:45], 0
	s_mov_b64 s[48:49], 0
                                        ; implicit-def: $sgpr46_sgpr47
	s_branch .LBB1183_288
.LBB1183_286:                           ;   in Loop: Header=BB1183_288 Depth=1
	global_load_ushort v20, v[16:17], off
	global_load_ushort v21, v[18:19], off
	s_add_u32 s48, s48, 1
	s_addc_u32 s49, s49, 0
	s_andn2_b64 s[46:47], s[46:47], exec
	v_lshl_add_u64 v[16:17], v[16:17], 0, 2
	v_lshl_add_u64 v[18:19], v[18:19], 0, 2
	s_waitcnt vmcnt(1)
	v_lshlrev_b32_e32 v20, 16, v20
	s_waitcnt vmcnt(0)
	v_lshlrev_b32_e32 v21, 16, v21
	v_cmp_neq_f32_e32 vcc, v21, v20
	s_and_b64 s[50:51], vcc, exec
	s_or_b64 s[46:47], s[46:47], s[50:51]
.LBB1183_287:                           ;   in Loop: Header=BB1183_288 Depth=1
	s_and_b64 s[50:51], exec, s[46:47]
	s_or_b64 s[44:45], s[50:51], s[44:45]
	v_mov_b64_e32 v[20:21], s[48:49]
	s_andn2_b64 exec, exec, s[44:45]
	s_cbranch_execz .LBB1183_290
.LBB1183_288:                           ; =>This Inner Loop Header: Depth=1
	s_or_b64 s[46:47], s[46:47], exec
	s_cmp_eq_u64 s[42:43], s[48:49]
	s_cbranch_scc0 .LBB1183_286
; %bb.289:                              ;   in Loop: Header=BB1183_288 Depth=1
                                        ; implicit-def: $vgpr16_vgpr17
                                        ; implicit-def: $vgpr18_vgpr19
	s_mov_b64 s[48:49], s[26:27]
	s_branch .LBB1183_287
.LBB1183_290:
	s_or_b64 exec, exec, s[44:45]
	v_cmp_gt_i64_e32 vcc, s[26:27], v[20:21]
	s_orn2_b64 s[42:43], vcc, exec
.LBB1183_291:
	s_or_b64 exec, exec, s[38:39]
.LBB1183_292:
	s_and_b64 s[38:39], s[42:43], exec
.LBB1183_293:
	s_or_b64 exec, exec, s[40:41]
	v_cmp_gt_u32_e32 vcc, s3, v25
	s_and_saveexec_b64 s[40:41], vcc
	s_cbranch_execz .LBB1183_304
; %bb.294:
	s_andn2_b64 vcc, exec, s[6:7]
	s_mov_b64 s[42:43], 0
	s_cbranch_vccnz .LBB1183_303
; %bb.295:
	v_mul_lo_u32 v18, v11, s26
	v_mul_lo_u32 v19, v10, s27
	v_mad_u64_u32 v[16:17], s[36:37], v10, s26, 0
	v_add3_u32 v17, v17, v19, v18
	v_mul_lo_u32 v18, v13, s26
	v_mul_lo_u32 v19, v12, s27
	v_mad_u64_u32 v[20:21], s[36:37], v12, s26, 0
	v_add3_u32 v21, v21, v19, v18
	v_lshl_add_u64 v[18:19], v[16:17], 1, s[28:29]
	v_lshl_add_u64 v[16:17], v[20:21], 1, s[28:29]
	global_load_ushort v20, v[16:17], off
	global_load_ushort v21, v[18:19], off
	s_mov_b64 s[42:43], -1
	s_waitcnt vmcnt(1)
	v_lshlrev_b32_e32 v20, 16, v20
	s_waitcnt vmcnt(0)
	v_lshlrev_b32_e32 v21, 16, v21
	v_cmp_eq_f32_e32 vcc, v21, v20
	s_and_saveexec_b64 s[36:37], vcc
	s_cbranch_execz .LBB1183_302
; %bb.296:
	s_add_u32 s42, s26, -1
	v_lshl_add_u64 v[16:17], v[16:17], 0, 2
	v_lshl_add_u64 v[18:19], v[18:19], 0, 2
	s_addc_u32 s43, s27, -1
	s_mov_b64 s[44:45], 0
	s_mov_b64 s[48:49], 0
                                        ; implicit-def: $sgpr46_sgpr47
	s_branch .LBB1183_299
.LBB1183_297:                           ;   in Loop: Header=BB1183_299 Depth=1
	global_load_ushort v20, v[16:17], off
	global_load_ushort v21, v[18:19], off
	s_add_u32 s48, s48, 1
	s_addc_u32 s49, s49, 0
	s_andn2_b64 s[46:47], s[46:47], exec
	v_lshl_add_u64 v[16:17], v[16:17], 0, 2
	v_lshl_add_u64 v[18:19], v[18:19], 0, 2
	s_waitcnt vmcnt(1)
	v_lshlrev_b32_e32 v20, 16, v20
	s_waitcnt vmcnt(0)
	v_lshlrev_b32_e32 v21, 16, v21
	v_cmp_neq_f32_e32 vcc, v21, v20
	s_and_b64 s[50:51], vcc, exec
	s_or_b64 s[46:47], s[46:47], s[50:51]
.LBB1183_298:                           ;   in Loop: Header=BB1183_299 Depth=1
	s_and_b64 s[50:51], exec, s[46:47]
	s_or_b64 s[44:45], s[50:51], s[44:45]
	v_mov_b64_e32 v[20:21], s[48:49]
	s_andn2_b64 exec, exec, s[44:45]
	s_cbranch_execz .LBB1183_301
.LBB1183_299:                           ; =>This Inner Loop Header: Depth=1
	s_or_b64 s[46:47], s[46:47], exec
	s_cmp_eq_u64 s[42:43], s[48:49]
	s_cbranch_scc0 .LBB1183_297
; %bb.300:                              ;   in Loop: Header=BB1183_299 Depth=1
                                        ; implicit-def: $vgpr16_vgpr17
                                        ; implicit-def: $vgpr18_vgpr19
	s_mov_b64 s[48:49], s[26:27]
	s_branch .LBB1183_298
.LBB1183_301:
	s_or_b64 exec, exec, s[44:45]
	v_cmp_gt_i64_e32 vcc, s[26:27], v[20:21]
	s_orn2_b64 s[42:43], vcc, exec
.LBB1183_302:
	s_or_b64 exec, exec, s[36:37]
.LBB1183_303:
	s_and_b64 s[36:37], s[42:43], exec
.LBB1183_304:
	s_or_b64 exec, exec, s[40:41]
	v_cndmask_b32_e64 v17, 0, 1, s[18:19]
	v_cndmask_b32_e64 v16, 0, 1, s[38:39]
	;; [unrolled: 1-line block ×3, first 2 shown]
	v_lshlrev_b16_e32 v17, 8, v17
	v_cndmask_b32_e64 v32, 0, 1, s[14:15]
	v_cndmask_b32_e64 v18, 0, 1, s[36:37]
	v_or_b32_sdwa v16, v16, v17 dst_sel:WORD_1 dst_unused:UNUSED_PAD src0_sel:DWORD src1_sel:DWORD
	v_lshlrev_b16_e32 v17, 8, v33
	v_lshlrev_b16_e32 v18, 8, v18
	v_or_b32_e32 v17, v32, v17
	v_or_b32_e32 v18, 1, v18
	v_and_b32_e32 v17, 0xffff, v17
	v_cndmask_b32_e64 v34, 0, 1, s[4:5]
	v_or_b32_sdwa v16, v18, v16 dst_sel:DWORD dst_unused:UNUSED_PAD src0_sel:WORD_0 src1_sel:DWORD
	v_lshl_or_b32 v17, v34, 16, v17
	v_cmp_ne_u32_e32 vcc, 0, v0
	s_waitcnt lgkmcnt(0)
	s_barrier
	s_waitcnt lgkmcnt(0)
                                        ; implicit-def: $sgpr18_sgpr19
                                        ; implicit-def: $vgpr20
	s_and_saveexec_b64 s[4:5], vcc
	s_cbranch_execz .LBB1183_317
; %bb.305:
	v_cmp_gt_u32_e32 vcc, s3, v1
	s_mov_b32 s33, 0x3020104
	s_mov_b64 s[14:15], 0
	s_and_saveexec_b64 s[12:13], vcc
	s_cbranch_execz .LBB1183_316
; %bb.306:
	s_andn2_b64 vcc, exec, s[6:7]
	s_cbranch_vccnz .LBB1183_315
; %bb.307:
	v_add_u32_e32 v17, -8, v30
	ds_read_b64 v[18:19], v17
	v_mul_lo_u32 v17, v11, s26
	v_mad_u64_u32 v[22:23], s[6:7], v10, s26, 0
	s_mov_b64 s[14:15], -1
	s_waitcnt lgkmcnt(0)
	v_mul_lo_u32 v20, v19, s26
	v_mul_lo_u32 v21, v18, s27
	v_mad_u64_u32 v[18:19], s[6:7], v18, s26, 0
	v_add3_u32 v19, v19, v21, v20
	v_mul_lo_u32 v20, v10, s27
	v_add3_u32 v23, v23, v20, v17
	v_lshl_add_u64 v[20:21], v[18:19], 1, s[28:29]
	v_lshl_add_u64 v[18:19], v[22:23], 1, s[28:29]
	global_load_ushort v17, v[18:19], off
	global_load_ushort v22, v[20:21], off
	s_waitcnt vmcnt(1)
	v_lshlrev_b32_e32 v17, 16, v17
	s_waitcnt vmcnt(0)
	v_lshlrev_b32_e32 v22, 16, v22
	v_cmp_eq_f32_e32 vcc, v22, v17
	s_and_saveexec_b64 s[6:7], vcc
	s_cbranch_execz .LBB1183_314
; %bb.308:
	s_add_u32 s14, s26, -1
	v_lshl_add_u64 v[18:19], v[18:19], 0, 2
	v_lshl_add_u64 v[20:21], v[20:21], 0, 2
	s_addc_u32 s15, s27, -1
	s_mov_b64 s[18:19], 0
	s_mov_b64 s[36:37], 0
                                        ; implicit-def: $sgpr28_sgpr29
	s_branch .LBB1183_311
.LBB1183_309:                           ;   in Loop: Header=BB1183_311 Depth=1
	global_load_ushort v17, v[18:19], off
	global_load_ushort v22, v[20:21], off
	s_add_u32 s36, s36, 1
	s_addc_u32 s37, s37, 0
	s_andn2_b64 s[28:29], s[28:29], exec
	v_lshl_add_u64 v[18:19], v[18:19], 0, 2
	v_lshl_add_u64 v[20:21], v[20:21], 0, 2
	s_waitcnt vmcnt(1)
	v_lshlrev_b32_e32 v17, 16, v17
	s_waitcnt vmcnt(0)
	v_lshlrev_b32_e32 v22, 16, v22
	v_cmp_neq_f32_e32 vcc, v22, v17
	s_and_b64 s[38:39], vcc, exec
	s_or_b64 s[28:29], s[28:29], s[38:39]
.LBB1183_310:                           ;   in Loop: Header=BB1183_311 Depth=1
	s_and_b64 s[38:39], exec, s[28:29]
	s_or_b64 s[18:19], s[38:39], s[18:19]
	v_mov_b64_e32 v[22:23], s[36:37]
	s_andn2_b64 exec, exec, s[18:19]
	s_cbranch_execz .LBB1183_313
.LBB1183_311:                           ; =>This Inner Loop Header: Depth=1
	s_or_b64 s[28:29], s[28:29], exec
	s_cmp_eq_u64 s[14:15], s[36:37]
	s_cbranch_scc0 .LBB1183_309
; %bb.312:                              ;   in Loop: Header=BB1183_311 Depth=1
                                        ; implicit-def: $vgpr18_vgpr19
                                        ; implicit-def: $vgpr20_vgpr21
	s_mov_b64 s[36:37], s[26:27]
	s_branch .LBB1183_310
.LBB1183_313:
	s_or_b64 exec, exec, s[18:19]
	v_cmp_gt_i64_e32 vcc, s[26:27], v[22:23]
	s_orn2_b64 s[14:15], vcc, exec
.LBB1183_314:
	s_or_b64 exec, exec, s[6:7]
.LBB1183_315:
	s_and_b64 s[14:15], s[14:15], exec
.LBB1183_316:
	s_or_b64 exec, exec, s[12:13]
	v_perm_b32 v20, v16, v16, s33
	s_and_b64 s[18:19], s[14:15], exec
	s_or_b64 s[10:11], s[10:11], exec
                                        ; implicit-def: $vgpr16_vgpr17
.LBB1183_317:
	s_or_b64 exec, exec, s[4:5]
.LBB1183_318:
	s_and_saveexec_b64 s[4:5], s[10:11]
	s_cbranch_execz .LBB1183_320
; %bb.319:
	s_waitcnt lgkmcnt(0)
	v_lshlrev_b16_e32 v17, 8, v33
	v_and_b32_e32 v18, 0xff, v34
	v_or_b32_sdwa v17, v32, v17 dst_sel:DWORD dst_unused:UNUSED_PAD src0_sel:BYTE_0 src1_sel:DWORD
	v_lshlrev_b32_e32 v18, 16, v18
	s_movk_i32 s6, 0xff
	v_or_b32_sdwa v17, v17, v18 dst_sel:DWORD dst_unused:UNUSED_PAD src0_sel:WORD_0 src1_sel:DWORD
	v_lshrrev_b32_e32 v18, 24, v20
	v_lshlrev_b16_e32 v18, 8, v18
	v_and_b32_sdwa v19, v20, s6 dst_sel:DWORD dst_unused:UNUSED_PAD src0_sel:WORD_1 src1_sel:DWORD
	v_or_b32_sdwa v18, v19, v18 dst_sel:WORD_1 dst_unused:UNUSED_PAD src0_sel:DWORD src1_sel:DWORD
	v_mov_b32_e32 v19, 8
	v_cndmask_b32_e64 v16, 0, 1, s[18:19]
	v_lshrrev_b32_sdwa v19, v19, v20 dst_sel:BYTE_1 dst_unused:UNUSED_PAD src0_sel:DWORD src1_sel:DWORD
	s_nop 0
	v_or_b32_e32 v16, v16, v19
	v_or_b32_sdwa v16, v16, v18 dst_sel:DWORD dst_unused:UNUSED_PAD src0_sel:WORD_0 src1_sel:DWORD
.LBB1183_320:
	s_or_b64 exec, exec, s[4:5]
	s_andn2_b64 vcc, exec, s[8:9]
	s_cbranch_vccnz .LBB1183_322
; %bb.321:
	s_waitcnt lgkmcnt(0)
	v_and_b32_e32 v18, 0xffff0000, v16
	v_cmp_gt_u32_e32 vcc, s3, v1
	s_mov_b32 s4, 0x40c0100
	s_nop 0
	v_cndmask_b32_e32 v1, v18, v16, vcc
	v_and_b32_e32 v1, 0xffff00ff, v1
	v_cmp_gt_u32_e32 vcc, s3, v25
	s_nop 1
	v_cndmask_b32_e32 v1, v1, v16, vcc
	v_lshrrev_b32_e32 v18, 24, v1
	v_perm_b32 v1, v18, v1, s4
	v_cmp_gt_u32_e32 vcc, s3, v24
	v_and_b32_e32 v18, 0xffffff00, v17
	s_nop 0
	v_cndmask_b32_e32 v1, v1, v16, vcc
	v_and_b32_e32 v1, 0xffffff, v1
	v_cmp_gt_u32_e32 vcc, s3, v28
	s_nop 1
	v_cndmask_b32_e32 v1, v1, v16, vcc
	v_cmp_gt_u32_e32 vcc, s3, v26
	s_nop 1
	v_cndmask_b32_e32 v18, v18, v17, vcc
	v_and_b32_e32 v18, 0xffff00ff, v18
	v_cndmask_b32_e32 v1, v1, v16, vcc
	v_cmp_gt_u32_e32 vcc, s3, v29
	s_nop 1
	v_cndmask_b32_e32 v18, v18, v17, vcc
	v_lshrrev_b32_e32 v19, 24, v18
	v_cndmask_b32_e32 v1, v1, v16, vcc
	v_perm_b32 v18, v19, v18, s4
	v_cmp_gt_u32_e32 vcc, s3, v27
	s_mov_b32 s3, 0x3020104
	s_nop 0
	v_cndmask_b32_e32 v1, v1, v16, vcc
	v_cndmask_b32_e32 v16, v18, v17, vcc
	v_mov_b32_e32 v17, 8
	v_lshrrev_b32_sdwa v17, v17, v16 dst_sel:BYTE_1 dst_unused:UNUSED_PAD src0_sel:DWORD src1_sel:DWORD
	s_nop 0
	v_or_b32_sdwa v17, v16, v17 dst_sel:DWORD dst_unused:UNUSED_PAD src0_sel:BYTE_0 src1_sel:DWORD
	v_and_b32_e32 v17, 0xffff, v17
	v_bfe_u32 v16, v16, 16, 8
	v_lshl_or_b32 v17, v16, 16, v17
	v_perm_b32 v16, v1, v1, s3
.LBB1183_322:
	s_waitcnt lgkmcnt(0)
	v_and_b32_e32 v1, 0xff, v16
	v_bfe_u32 v29, v16, 8, 8
	v_bfe_u32 v31, v16, 16, 8
	v_alignbit_b32 v18, v17, v16, 24
	v_and_b32_e32 v33, 0xff, v18
	v_and_b32_e32 v35, 0xff, v17
	v_add3_u32 v19, v29, v1, v31
	v_bfe_u32 v36, v17, 8, 8
	v_bfe_u32 v18, v17, 16, 8
	v_add3_u32 v19, v19, v33, v35
	v_add3_u32 v39, v19, v36, v18
	v_mbcnt_lo_u32_b32 v18, -1, 0
	v_mbcnt_hi_u32_b32 v37, -1, v18
	v_and_b32_e32 v18, 15, v37
	v_cmp_eq_u32_e64 s[14:15], 0, v18
	v_cmp_lt_u32_e64 s[12:13], 1, v18
	v_cmp_lt_u32_e64 s[10:11], 3, v18
	;; [unrolled: 1-line block ×3, first 2 shown]
	v_and_b32_e32 v18, 16, v37
	v_cmp_eq_u32_e64 s[6:7], 0, v18
	v_or_b32_e32 v18, 63, v0
	v_cmp_lt_u32_e64 s[18:19], 31, v37
	v_lshrrev_b32_e32 v38, 6, v0
	v_cmp_eq_u32_e64 s[4:5], v18, v0
	s_and_b64 vcc, exec, s[16:17]
	s_barrier
	s_cbranch_vccz .LBB1183_349
; %bb.323:
	v_mov_b32_dpp v18, v39 row_shr:1 row_mask:0xf bank_mask:0xf
	v_cndmask_b32_e64 v18, v18, 0, s[14:15]
	v_add_u32_e32 v18, v18, v39
	s_nop 1
	v_mov_b32_dpp v19, v18 row_shr:2 row_mask:0xf bank_mask:0xf
	v_cndmask_b32_e64 v19, 0, v19, s[12:13]
	v_add_u32_e32 v18, v18, v19
	s_nop 1
	;; [unrolled: 4-line block ×4, first 2 shown]
	v_mov_b32_dpp v19, v18 row_bcast:15 row_mask:0xf bank_mask:0xf
	v_cndmask_b32_e64 v19, v19, 0, s[6:7]
	v_add_u32_e32 v18, v18, v19
	s_nop 1
	v_mov_b32_dpp v19, v18 row_bcast:31 row_mask:0xf bank_mask:0xf
	v_cndmask_b32_e64 v19, 0, v19, s[18:19]
	v_add_u32_e32 v18, v18, v19
	s_and_saveexec_b64 s[16:17], s[4:5]
	s_cbranch_execz .LBB1183_325
; %bb.324:
	v_lshlrev_b32_e32 v19, 2, v38
	ds_write_b32 v19, v18
.LBB1183_325:
	s_or_b64 exec, exec, s[16:17]
	v_cmp_gt_u32_e32 vcc, 8, v0
	s_waitcnt lgkmcnt(0)
	s_barrier
	s_and_saveexec_b64 s[16:17], vcc
	s_cbranch_execz .LBB1183_327
; %bb.326:
	v_lshlrev_b32_e32 v19, 2, v0
	ds_read_b32 v20, v19
	v_and_b32_e32 v21, 7, v37
	v_cmp_ne_u32_e32 vcc, 0, v21
	s_waitcnt lgkmcnt(0)
	v_mov_b32_dpp v22, v20 row_shr:1 row_mask:0xf bank_mask:0xf
	v_cndmask_b32_e32 v22, 0, v22, vcc
	v_add_u32_e32 v20, v22, v20
	v_cmp_lt_u32_e32 vcc, 1, v21
	s_nop 0
	v_mov_b32_dpp v22, v20 row_shr:2 row_mask:0xf bank_mask:0xf
	v_cndmask_b32_e32 v22, 0, v22, vcc
	v_add_u32_e32 v20, v20, v22
	v_cmp_lt_u32_e32 vcc, 3, v21
	s_nop 0
	v_mov_b32_dpp v22, v20 row_shr:4 row_mask:0xf bank_mask:0xf
	v_cndmask_b32_e32 v21, 0, v22, vcc
	v_add_u32_e32 v20, v20, v21
	ds_write_b32 v19, v20
.LBB1183_327:
	s_or_b64 exec, exec, s[16:17]
	v_cmp_gt_u32_e32 vcc, 64, v0
	v_cmp_lt_u32_e64 s[16:17], 63, v0
	s_waitcnt lgkmcnt(0)
	s_barrier
	s_waitcnt lgkmcnt(0)
                                        ; implicit-def: $vgpr28
	s_and_saveexec_b64 s[26:27], s[16:17]
	s_cbranch_execz .LBB1183_329
; %bb.328:
	v_lshl_add_u32 v19, v38, 2, -4
	ds_read_b32 v28, v19
	s_waitcnt lgkmcnt(0)
	v_add_u32_e32 v18, v28, v18
.LBB1183_329:
	s_or_b64 exec, exec, s[26:27]
	v_add_u32_e32 v19, -1, v37
	v_and_b32_e32 v20, 64, v37
	v_cmp_lt_i32_e64 s[16:17], v19, v20
	s_nop 1
	v_cndmask_b32_e64 v19, v19, v37, s[16:17]
	v_lshlrev_b32_e32 v19, 2, v19
	ds_bpermute_b32 v30, v19, v18
	v_cmp_eq_u32_e64 s[16:17], 0, v37
	s_and_saveexec_b64 s[26:27], vcc
	s_cbranch_execz .LBB1183_348
; %bb.330:
	v_mov_b32_e32 v25, 0
	ds_read_b32 v18, v25 offset:28
	s_and_saveexec_b64 s[28:29], s[16:17]
	s_cbranch_execz .LBB1183_332
; %bb.331:
	s_add_i32 s36, s2, 64
	s_mov_b32 s37, 0
	s_lshl_b64 s[36:37], s[36:37], 3
	s_add_u32 s36, s30, s36
	v_mov_b32_e32 v19, 1
	s_addc_u32 s37, s31, s37
	s_waitcnt lgkmcnt(0)
	global_store_dwordx2 v25, v[18:19], s[36:37] sc1
.LBB1183_332:
	s_or_b64 exec, exec, s[28:29]
	v_xad_u32 v20, v37, -1, s2
	v_add_u32_e32 v24, 64, v20
	v_lshl_add_u64 v[26:27], v[24:25], 3, s[30:31]
	global_load_dwordx2 v[22:23], v[26:27], off sc1
	s_waitcnt vmcnt(0)
	v_cmp_eq_u16_sdwa s[36:37], v23, v25 src0_sel:BYTE_0 src1_sel:DWORD
	s_and_saveexec_b64 s[28:29], s[36:37]
	s_cbranch_execz .LBB1183_336
; %bb.333:
	s_mov_b64 s[36:37], 0
	v_mov_b32_e32 v19, 0
.LBB1183_334:                           ; =>This Inner Loop Header: Depth=1
	global_load_dwordx2 v[22:23], v[26:27], off sc1
	s_waitcnt vmcnt(0)
	v_cmp_ne_u16_sdwa s[38:39], v23, v19 src0_sel:BYTE_0 src1_sel:DWORD
	s_or_b64 s[36:37], s[38:39], s[36:37]
	s_andn2_b64 exec, exec, s[36:37]
	s_cbranch_execnz .LBB1183_334
; %bb.335:
	s_or_b64 exec, exec, s[36:37]
.LBB1183_336:
	s_or_b64 exec, exec, s[28:29]
	v_and_b32_e32 v32, 63, v37
	v_mov_b32_e32 v19, 2
	v_cmp_ne_u32_e32 vcc, 63, v32
	v_cmp_eq_u16_sdwa s[28:29], v23, v19 src0_sel:BYTE_0 src1_sel:DWORD
	v_lshlrev_b64 v[24:25], v37, -1
	v_addc_co_u32_e32 v27, vcc, 0, v37, vcc
	v_and_b32_e32 v21, s29, v25
	v_lshlrev_b32_e32 v34, 2, v27
	v_or_b32_e32 v21, 0x80000000, v21
	ds_bpermute_b32 v27, v34, v22
	v_and_b32_e32 v26, s28, v24
	v_ffbl_b32_e32 v21, v21
	v_add_u32_e32 v21, 32, v21
	v_ffbl_b32_e32 v26, v26
	v_min_u32_e32 v21, v26, v21
	v_cmp_lt_u32_e32 vcc, v32, v21
	v_add_u32_e32 v41, 2, v32
	v_add_u32_e32 v43, 4, v32
	s_waitcnt lgkmcnt(0)
	v_cndmask_b32_e32 v26, 0, v27, vcc
	v_cmp_gt_u32_e32 vcc, 62, v32
	v_add_u32_e32 v22, v26, v22
	v_add_u32_e32 v45, 8, v32
	v_cndmask_b32_e64 v26, 0, 1, vcc
	v_lshlrev_b32_e32 v26, 1, v26
	v_add_lshl_u32 v40, v26, v37, 2
	ds_bpermute_b32 v26, v40, v22
	v_cmp_le_u32_e32 vcc, v41, v21
	v_add_u32_e32 v48, 16, v32
	v_add_u32_e32 v50, 32, v32
	s_waitcnt lgkmcnt(0)
	v_cndmask_b32_e32 v26, 0, v26, vcc
	v_cmp_gt_u32_e32 vcc, 60, v32
	v_add_u32_e32 v22, v22, v26
	s_nop 0
	v_cndmask_b32_e64 v26, 0, 1, vcc
	v_lshlrev_b32_e32 v26, 2, v26
	v_add_lshl_u32 v42, v26, v37, 2
	ds_bpermute_b32 v26, v42, v22
	v_cmp_le_u32_e32 vcc, v43, v21
	s_waitcnt lgkmcnt(0)
	s_nop 0
	v_cndmask_b32_e32 v26, 0, v26, vcc
	v_cmp_gt_u32_e32 vcc, 56, v32
	v_add_u32_e32 v22, v22, v26
	s_nop 0
	v_cndmask_b32_e64 v26, 0, 1, vcc
	v_lshlrev_b32_e32 v26, 3, v26
	v_add_lshl_u32 v44, v26, v37, 2
	ds_bpermute_b32 v26, v44, v22
	v_cmp_le_u32_e32 vcc, v45, v21
	s_waitcnt lgkmcnt(0)
	s_nop 0
	;; [unrolled: 11-line block ×4, first 2 shown]
	v_cndmask_b32_e32 v21, 0, v26, vcc
	v_add_u32_e32 v22, v22, v21
	v_mov_b32_e32 v21, 0
	s_branch .LBB1183_338
.LBB1183_337:                           ;   in Loop: Header=BB1183_338 Depth=1
	s_or_b64 exec, exec, s[28:29]
	v_cmp_eq_u16_sdwa s[28:29], v23, v19 src0_sel:BYTE_0 src1_sel:DWORD
	ds_bpermute_b32 v51, v34, v22
	v_subrev_u32_e32 v20, 64, v20
	v_and_b32_e32 v26, s29, v25
	v_or_b32_e32 v26, 0x80000000, v26
	v_and_b32_e32 v27, s28, v24
	v_ffbl_b32_e32 v26, v26
	v_add_u32_e32 v26, 32, v26
	v_ffbl_b32_e32 v27, v27
	v_min_u32_e32 v26, v27, v26
	v_cmp_lt_u32_e32 vcc, v32, v26
	s_waitcnt lgkmcnt(0)
	s_nop 0
	v_cndmask_b32_e32 v27, 0, v51, vcc
	v_add_u32_e32 v22, v27, v22
	ds_bpermute_b32 v27, v40, v22
	v_cmp_le_u32_e32 vcc, v41, v26
	s_waitcnt lgkmcnt(0)
	s_nop 0
	v_cndmask_b32_e32 v27, 0, v27, vcc
	v_add_u32_e32 v22, v22, v27
	ds_bpermute_b32 v27, v42, v22
	v_cmp_le_u32_e32 vcc, v43, v26
	s_waitcnt lgkmcnt(0)
	s_nop 0
	v_cndmask_b32_e32 v27, 0, v27, vcc
	v_add_u32_e32 v22, v22, v27
	ds_bpermute_b32 v27, v44, v22
	v_cmp_le_u32_e32 vcc, v45, v26
	s_waitcnt lgkmcnt(0)
	s_nop 0
	v_cndmask_b32_e32 v27, 0, v27, vcc
	v_add_u32_e32 v22, v22, v27
	ds_bpermute_b32 v27, v47, v22
	v_cmp_le_u32_e32 vcc, v48, v26
	s_waitcnt lgkmcnt(0)
	s_nop 0
	v_cndmask_b32_e32 v27, 0, v27, vcc
	v_add_u32_e32 v22, v22, v27
	ds_bpermute_b32 v27, v49, v22
	v_cmp_le_u32_e32 vcc, v50, v26
	s_waitcnt lgkmcnt(0)
	s_nop 0
	v_cndmask_b32_e32 v26, 0, v27, vcc
	v_add3_u32 v22, v26, v46, v22
.LBB1183_338:                           ; =>This Loop Header: Depth=1
                                        ;     Child Loop BB1183_341 Depth 2
	v_cmp_ne_u16_sdwa s[28:29], v23, v19 src0_sel:BYTE_0 src1_sel:DWORD
	v_mov_b32_e32 v46, v22
	s_nop 0
	v_cndmask_b32_e64 v23, 0, 1, s[28:29]
	;;#ASMSTART
	;;#ASMEND
	s_nop 0
	v_cmp_ne_u32_e32 vcc, 0, v23
	s_cmp_lg_u64 vcc, exec
	s_cbranch_scc1 .LBB1183_343
; %bb.339:                              ;   in Loop: Header=BB1183_338 Depth=1
	v_lshl_add_u64 v[26:27], v[20:21], 3, s[30:31]
	global_load_dwordx2 v[22:23], v[26:27], off sc1
	s_waitcnt vmcnt(0)
	v_cmp_eq_u16_sdwa s[36:37], v23, v21 src0_sel:BYTE_0 src1_sel:DWORD
	s_and_saveexec_b64 s[28:29], s[36:37]
	s_cbranch_execz .LBB1183_337
; %bb.340:                              ;   in Loop: Header=BB1183_338 Depth=1
	s_mov_b64 s[36:37], 0
.LBB1183_341:                           ;   Parent Loop BB1183_338 Depth=1
                                        ; =>  This Inner Loop Header: Depth=2
	global_load_dwordx2 v[22:23], v[26:27], off sc1
	s_waitcnt vmcnt(0)
	v_cmp_ne_u16_sdwa s[38:39], v23, v21 src0_sel:BYTE_0 src1_sel:DWORD
	s_or_b64 s[36:37], s[38:39], s[36:37]
	s_andn2_b64 exec, exec, s[36:37]
	s_cbranch_execnz .LBB1183_341
; %bb.342:                              ;   in Loop: Header=BB1183_338 Depth=1
	s_or_b64 exec, exec, s[36:37]
	s_branch .LBB1183_337
.LBB1183_343:                           ;   in Loop: Header=BB1183_338 Depth=1
                                        ; implicit-def: $vgpr22
                                        ; implicit-def: $vgpr23
	s_cbranch_execz .LBB1183_338
; %bb.344:
	s_and_saveexec_b64 s[28:29], s[16:17]
	s_cbranch_execz .LBB1183_346
; %bb.345:
	s_add_i32 s2, s2, 64
	s_mov_b32 s3, 0
	s_lshl_b64 s[2:3], s[2:3], 3
	s_add_u32 s2, s30, s2
	v_add_u32_e32 v20, v46, v18
	v_mov_b32_e32 v21, 2
	s_addc_u32 s3, s31, s3
	v_mov_b32_e32 v19, 0
	global_store_dwordx2 v19, v[20:21], s[2:3] sc1
	s_movk_i32 s2, 0x7000
	v_add_u32_e64 v19, s2, 0
	ds_write2_b32 v19, v18, v46 offset1:2
.LBB1183_346:
	s_or_b64 exec, exec, s[28:29]
	v_cmp_eq_u32_e32 vcc, 0, v0
	s_and_b64 exec, exec, vcc
	s_cbranch_execz .LBB1183_348
; %bb.347:
	v_mov_b32_e32 v18, 0
	ds_write_b32 v18, v46 offset:28
.LBB1183_348:
	s_or_b64 exec, exec, s[26:27]
	v_mov_b32_e32 v18, 0
	s_waitcnt lgkmcnt(0)
	s_barrier
	ds_read_b32 v18, v18 offset:28
	v_cndmask_b32_e64 v19, v30, v28, s[16:17]
	v_cmp_ne_u32_e32 vcc, 0, v0
	s_movk_i32 s2, 0x7000
	s_waitcnt lgkmcnt(0)
	v_cndmask_b32_e32 v19, 0, v19, vcc
	v_add_u32_e32 v34, v18, v19
	v_add_u32_e32 v32, v34, v1
	v_add_u32_e64 v18, s2, 0
	v_add_u32_e32 v30, v32, v29
	s_barrier
	ds_read2_b32 v[18:19], v18 offset1:2
	v_add_u32_e32 v28, v30, v31
	v_add_u32_e32 v26, v28, v33
	;; [unrolled: 1-line block ×4, first 2 shown]
	s_load_dwordx2 s[2:3], s[0:1], 0x28
	v_lshrrev_b64 v[20:21], 24, v[16:17]
	s_branch .LBB1183_359
.LBB1183_349:
                                        ; implicit-def: $vgpr22
                                        ; implicit-def: $vgpr24
                                        ; implicit-def: $vgpr26
                                        ; implicit-def: $vgpr28
                                        ; implicit-def: $vgpr30
                                        ; implicit-def: $vgpr32
                                        ; implicit-def: $vgpr34
                                        ; implicit-def: $vgpr19
	s_load_dwordx2 s[2:3], s[0:1], 0x28
	v_lshrrev_b64 v[20:21], 24, v[16:17]
	s_cbranch_execz .LBB1183_359
; %bb.350:
	s_waitcnt lgkmcnt(0)
	v_mov_b32_dpp v18, v39 row_shr:1 row_mask:0xf bank_mask:0xf
	v_cndmask_b32_e64 v18, v18, 0, s[14:15]
	v_add_u32_e32 v18, v18, v39
	s_nop 1
	v_mov_b32_dpp v19, v18 row_shr:2 row_mask:0xf bank_mask:0xf
	v_cndmask_b32_e64 v19, 0, v19, s[12:13]
	v_add_u32_e32 v18, v18, v19
	s_nop 1
	;; [unrolled: 4-line block ×4, first 2 shown]
	v_mov_b32_dpp v19, v18 row_bcast:15 row_mask:0xf bank_mask:0xf
	v_cndmask_b32_e64 v19, v19, 0, s[6:7]
	v_add_u32_e32 v18, v18, v19
	s_nop 1
	v_mov_b32_dpp v19, v18 row_bcast:31 row_mask:0xf bank_mask:0xf
	v_cndmask_b32_e64 v19, 0, v19, s[18:19]
	v_add_u32_e32 v18, v18, v19
	s_and_saveexec_b64 s[0:1], s[4:5]
	s_cbranch_execz .LBB1183_352
; %bb.351:
	v_lshlrev_b32_e32 v19, 2, v38
	ds_write_b32 v19, v18
.LBB1183_352:
	s_or_b64 exec, exec, s[0:1]
	v_cmp_gt_u32_e32 vcc, 8, v0
	s_waitcnt lgkmcnt(0)
	s_barrier
	s_and_saveexec_b64 s[0:1], vcc
	s_cbranch_execz .LBB1183_354
; %bb.353:
	v_lshlrev_b32_e32 v19, 2, v0
	ds_read_b32 v21, v19
	v_and_b32_e32 v22, 7, v37
	v_cmp_ne_u32_e32 vcc, 0, v22
	s_waitcnt lgkmcnt(0)
	v_mov_b32_dpp v23, v21 row_shr:1 row_mask:0xf bank_mask:0xf
	v_cndmask_b32_e32 v23, 0, v23, vcc
	v_add_u32_e32 v21, v23, v21
	v_cmp_lt_u32_e32 vcc, 1, v22
	s_nop 0
	v_mov_b32_dpp v23, v21 row_shr:2 row_mask:0xf bank_mask:0xf
	v_cndmask_b32_e32 v23, 0, v23, vcc
	v_add_u32_e32 v21, v21, v23
	v_cmp_lt_u32_e32 vcc, 3, v22
	s_nop 0
	v_mov_b32_dpp v23, v21 row_shr:4 row_mask:0xf bank_mask:0xf
	v_cndmask_b32_e32 v22, 0, v23, vcc
	v_add_u32_e32 v21, v21, v22
	ds_write_b32 v19, v21
.LBB1183_354:
	s_or_b64 exec, exec, s[0:1]
	v_cmp_lt_u32_e32 vcc, 63, v0
	v_mov_b32_e32 v19, 0
	v_mov_b32_e32 v21, 0
	s_waitcnt lgkmcnt(0)
	s_barrier
	s_and_saveexec_b64 s[0:1], vcc
	s_cbranch_execz .LBB1183_356
; %bb.355:
	v_lshl_add_u32 v21, v38, 2, -4
	ds_read_b32 v21, v21
.LBB1183_356:
	s_or_b64 exec, exec, s[0:1]
	v_add_u32_e32 v22, -1, v37
	v_and_b32_e32 v23, 64, v37
	v_cmp_lt_i32_e32 vcc, v22, v23
	s_waitcnt lgkmcnt(0)
	v_add_u32_e32 v18, v21, v18
	v_cndmask_b32_e32 v22, v22, v37, vcc
	v_lshlrev_b32_e32 v22, 2, v22
	ds_bpermute_b32 v22, v22, v18
	ds_read_b32 v18, v19 offset:28
	v_cmp_eq_u32_e32 vcc, 0, v0
	s_and_saveexec_b64 s[0:1], vcc
	s_cbranch_execz .LBB1183_358
; %bb.357:
	v_mov_b32_e32 v23, 0
	v_mov_b32_e32 v19, 2
	s_waitcnt lgkmcnt(0)
	global_store_dwordx2 v23, v[18:19], s[30:31] offset:512 sc1
.LBB1183_358:
	s_or_b64 exec, exec, s[0:1]
	v_cmp_eq_u32_e64 s[0:1], 0, v37
	v_mov_b32_e32 v19, 0
	s_waitcnt lgkmcnt(0)
	v_cndmask_b32_e64 v21, v22, v21, s[0:1]
	v_cndmask_b32_e64 v34, v21, 0, vcc
	v_add_u32_e32 v32, v34, v1
	v_add_u32_e32 v30, v32, v29
	;; [unrolled: 1-line block ×6, first 2 shown]
	s_barrier
.LBB1183_359:
	s_movk_i32 s0, 0x201
	s_waitcnt lgkmcnt(0)
	v_cmp_gt_u32_e32 vcc, s0, v18
	v_lshrrev_b32_e32 v21, 8, v16
	v_lshrrev_b32_e32 v1, 8, v17
	s_mov_b64 s[0:1], -1
	s_cbranch_vccnz .LBB1183_363
; %bb.360:
	s_and_b64 vcc, exec, s[0:1]
	s_cbranch_vccnz .LBB1183_385
.LBB1183_361:
	v_cmp_eq_u32_e32 vcc, 0, v0
	s_and_b64 s[0:1], vcc, s[24:25]
	s_and_saveexec_b64 s[2:3], s[0:1]
	s_cbranch_execnz .LBB1183_403
.LBB1183_362:
	s_endpgm
.LBB1183_363:
	v_add_u32_e32 v23, v19, v18
	v_cmp_lt_u32_e32 vcc, v34, v23
	s_or_b64 s[4:5], s[34:35], vcc
	s_and_saveexec_b64 s[0:1], s[4:5]
	s_cbranch_execz .LBB1183_366
; %bb.364:
	v_and_b32_e32 v25, 1, v16
	v_cmp_eq_u32_e32 vcc, 1, v25
	s_and_b64 exec, exec, vcc
	s_cbranch_execz .LBB1183_366
; %bb.365:
	s_lshl_b64 s[4:5], s[22:23], 3
	s_add_u32 s4, s2, s4
	s_addc_u32 s5, s3, s5
	v_mov_b32_e32 v35, 0
	v_lshl_add_u64 v[36:37], v[34:35], 3, s[4:5]
	global_store_dwordx2 v[36:37], v[10:11], off
.LBB1183_366:
	s_or_b64 exec, exec, s[0:1]
	v_cmp_lt_u32_e32 vcc, v32, v23
	s_or_b64 s[4:5], s[34:35], vcc
	s_and_saveexec_b64 s[0:1], s[4:5]
	s_cbranch_execz .LBB1183_369
; %bb.367:
	v_and_b32_e32 v25, 1, v21
	v_cmp_eq_u32_e32 vcc, 1, v25
	s_and_b64 exec, exec, vcc
	s_cbranch_execz .LBB1183_369
; %bb.368:
	s_lshl_b64 s[4:5], s[22:23], 3
	s_add_u32 s4, s2, s4
	s_addc_u32 s5, s3, s5
	v_mov_b32_e32 v33, 0
	v_lshl_add_u64 v[36:37], v[32:33], 3, s[4:5]
	global_store_dwordx2 v[36:37], v[12:13], off
.LBB1183_369:
	s_or_b64 exec, exec, s[0:1]
	v_cmp_lt_u32_e32 vcc, v30, v23
	s_or_b64 s[4:5], s[34:35], vcc
	s_and_saveexec_b64 s[0:1], s[4:5]
	s_cbranch_execz .LBB1183_372
; %bb.370:
	v_mov_b32_e32 v25, 1
	v_and_b32_sdwa v25, v25, v16 dst_sel:DWORD dst_unused:UNUSED_PAD src0_sel:DWORD src1_sel:WORD_1
	v_cmp_eq_u32_e32 vcc, 1, v25
	s_and_b64 exec, exec, vcc
	s_cbranch_execz .LBB1183_372
; %bb.371:
	s_lshl_b64 s[4:5], s[22:23], 3
	s_add_u32 s4, s2, s4
	s_addc_u32 s5, s3, s5
	v_mov_b32_e32 v31, 0
	v_lshl_add_u64 v[36:37], v[30:31], 3, s[4:5]
	global_store_dwordx2 v[36:37], v[6:7], off
.LBB1183_372:
	s_or_b64 exec, exec, s[0:1]
	v_cmp_lt_u32_e32 vcc, v28, v23
	s_or_b64 s[4:5], s[34:35], vcc
	s_and_saveexec_b64 s[0:1], s[4:5]
	s_cbranch_execz .LBB1183_375
; %bb.373:
	v_and_b32_e32 v25, 1, v20
	v_cmp_eq_u32_e32 vcc, 1, v25
	s_and_b64 exec, exec, vcc
	s_cbranch_execz .LBB1183_375
; %bb.374:
	s_lshl_b64 s[4:5], s[22:23], 3
	s_add_u32 s4, s2, s4
	s_addc_u32 s5, s3, s5
	v_mov_b32_e32 v29, 0
	v_lshl_add_u64 v[36:37], v[28:29], 3, s[4:5]
	global_store_dwordx2 v[36:37], v[8:9], off
.LBB1183_375:
	s_or_b64 exec, exec, s[0:1]
	v_cmp_lt_u32_e32 vcc, v26, v23
	s_or_b64 s[4:5], s[34:35], vcc
	s_and_saveexec_b64 s[0:1], s[4:5]
	s_cbranch_execz .LBB1183_378
; %bb.376:
	v_and_b32_e32 v25, 1, v17
	v_cmp_eq_u32_e32 vcc, 1, v25
	s_and_b64 exec, exec, vcc
	s_cbranch_execz .LBB1183_378
; %bb.377:
	s_lshl_b64 s[4:5], s[22:23], 3
	s_add_u32 s4, s2, s4
	s_addc_u32 s5, s3, s5
	v_mov_b32_e32 v27, 0
	v_lshl_add_u64 v[36:37], v[26:27], 3, s[4:5]
	global_store_dwordx2 v[36:37], v[2:3], off
.LBB1183_378:
	;; [unrolled: 18-line block ×3, first 2 shown]
	s_or_b64 exec, exec, s[0:1]
	v_cmp_lt_u32_e32 vcc, v22, v23
	s_or_b64 s[4:5], s[34:35], vcc
	s_and_saveexec_b64 s[0:1], s[4:5]
	s_cbranch_execz .LBB1183_384
; %bb.382:
	v_mov_b32_e32 v23, 1
	v_and_b32_sdwa v23, v23, v17 dst_sel:DWORD dst_unused:UNUSED_PAD src0_sel:DWORD src1_sel:WORD_1
	v_cmp_eq_u32_e32 vcc, 1, v23
	s_and_b64 exec, exec, vcc
	s_cbranch_execz .LBB1183_384
; %bb.383:
	s_lshl_b64 s[4:5], s[22:23], 3
	s_add_u32 s4, s2, s4
	s_addc_u32 s5, s3, s5
	v_mov_b32_e32 v23, 0
	v_lshl_add_u64 v[36:37], v[22:23], 3, s[4:5]
	global_store_dwordx2 v[36:37], v[14:15], off
.LBB1183_384:
	s_or_b64 exec, exec, s[0:1]
	s_branch .LBB1183_361
.LBB1183_385:
	v_and_b32_e32 v23, 1, v16
	v_cmp_eq_u32_e32 vcc, 1, v23
	s_and_saveexec_b64 s[0:1], vcc
	s_cbranch_execz .LBB1183_387
; %bb.386:
	v_sub_u32_e32 v23, v34, v19
	v_lshlrev_b32_e32 v23, 3, v23
	ds_write_b64 v23, v[10:11]
.LBB1183_387:
	s_or_b64 exec, exec, s[0:1]
	v_and_b32_e32 v10, 1, v21
	v_cmp_eq_u32_e32 vcc, 1, v10
	s_and_saveexec_b64 s[0:1], vcc
	s_cbranch_execz .LBB1183_389
; %bb.388:
	v_sub_u32_e32 v10, v32, v19
	v_lshlrev_b32_e32 v10, 3, v10
	ds_write_b64 v10, v[12:13]
.LBB1183_389:
	s_or_b64 exec, exec, s[0:1]
	v_mov_b32_e32 v10, 1
	v_and_b32_sdwa v10, v10, v16 dst_sel:DWORD dst_unused:UNUSED_PAD src0_sel:DWORD src1_sel:WORD_1
	v_cmp_eq_u32_e32 vcc, 1, v10
	s_and_saveexec_b64 s[0:1], vcc
	s_cbranch_execz .LBB1183_391
; %bb.390:
	v_sub_u32_e32 v10, v30, v19
	v_lshlrev_b32_e32 v10, 3, v10
	ds_write_b64 v10, v[6:7]
.LBB1183_391:
	s_or_b64 exec, exec, s[0:1]
	v_and_b32_e32 v6, 1, v20
	v_cmp_eq_u32_e32 vcc, 1, v6
	s_and_saveexec_b64 s[0:1], vcc
	s_cbranch_execz .LBB1183_393
; %bb.392:
	v_sub_u32_e32 v6, v28, v19
	v_lshlrev_b32_e32 v6, 3, v6
	ds_write_b64 v6, v[8:9]
.LBB1183_393:
	s_or_b64 exec, exec, s[0:1]
	v_and_b32_e32 v6, 1, v17
	;; [unrolled: 10-line block ×3, first 2 shown]
	v_cmp_eq_u32_e32 vcc, 1, v1
	s_and_saveexec_b64 s[0:1], vcc
	s_cbranch_execz .LBB1183_397
; %bb.396:
	v_sub_u32_e32 v1, v24, v19
	v_lshlrev_b32_e32 v1, 3, v1
	ds_write_b64 v1, v[4:5]
.LBB1183_397:
	s_or_b64 exec, exec, s[0:1]
	v_mov_b32_e32 v1, 1
	v_and_b32_sdwa v1, v1, v17 dst_sel:DWORD dst_unused:UNUSED_PAD src0_sel:DWORD src1_sel:WORD_1
	v_cmp_eq_u32_e32 vcc, 1, v1
	s_and_saveexec_b64 s[0:1], vcc
	s_cbranch_execz .LBB1183_399
; %bb.398:
	v_sub_u32_e32 v1, v22, v19
	v_lshlrev_b32_e32 v1, 3, v1
	ds_write_b64 v1, v[14:15]
.LBB1183_399:
	s_or_b64 exec, exec, s[0:1]
	v_cmp_lt_u32_e32 vcc, v0, v18
	s_waitcnt lgkmcnt(0)
	s_barrier
	s_and_saveexec_b64 s[0:1], vcc
	s_cbranch_execz .LBB1183_402
; %bb.400:
	v_mov_b32_e32 v5, 0
	v_mov_b32_e32 v4, v19
	s_lshl_b64 s[4:5], s[22:23], 3
	v_lshlrev_b64 v[6:7], 3, v[4:5]
	v_lshl_add_u64 v[6:7], s[4:5], 0, v[6:7]
	v_lshlrev_b32_e32 v2, 3, v0
	v_mov_b32_e32 v3, v5
	v_lshl_add_u64 v[4:5], s[2:3], 0, v[6:7]
	v_lshl_add_u64 v[4:5], v[4:5], 0, v[2:3]
	s_mov_b64 s[2:3], 0
	s_mov_b64 s[4:5], 0x1000
	v_mov_b32_e32 v1, v0
.LBB1183_401:                           ; =>This Inner Loop Header: Depth=1
	ds_read_b64 v[6:7], v2
	v_add_u32_e32 v1, 0x200, v1
	v_cmp_ge_u32_e32 vcc, v1, v18
	v_add_u32_e32 v2, 0x1000, v2
	s_or_b64 s[2:3], vcc, s[2:3]
	s_waitcnt lgkmcnt(0)
	global_store_dwordx2 v[4:5], v[6:7], off
	v_lshl_add_u64 v[4:5], v[4:5], 0, s[4:5]
	s_andn2_b64 exec, exec, s[2:3]
	s_cbranch_execnz .LBB1183_401
.LBB1183_402:
	s_or_b64 exec, exec, s[0:1]
	v_cmp_eq_u32_e32 vcc, 0, v0
	s_and_b64 s[0:1], vcc, s[24:25]
	s_and_saveexec_b64 s[2:3], s[0:1]
	s_cbranch_execz .LBB1183_362
.LBB1183_403:
	v_mov_b32_e32 v1, 0
	v_mov_b32_e32 v0, v18
	v_lshl_add_u64 v[2:3], s[22:23], 0, v[0:1]
	v_mov_b32_e32 v0, v19
	v_lshl_add_u64 v[2:3], v[2:3], 0, v[0:1]
	global_store_dwordx2 v1, v[2:3], s[20:21]
	s_endpgm
	.section	.rodata,"a",@progbits
	.p2align	6, 0x0
	.amdhsa_kernel _ZN7rocprim17ROCPRIM_400000_NS6detail17trampoline_kernelINS0_14default_configENS1_25partition_config_selectorILNS1_17partition_subalgoE8ElNS0_10empty_typeEbEEZZNS1_14partition_implILS5_8ELb0ES3_jPlPS6_PKS6_NS0_5tupleIJS9_S6_EEENSD_IJSA_SA_EEENS0_18inequality_wrapperIZN2at6native12_GLOBAL__N_124unique_dim_cuda_templateIN3c108BFloat16EEESt5tupleIJNSH_6TensorESO_SO_EERKSO_lbbbEUlllE0_EEPmJS6_EEE10hipError_tPvRmT3_T4_T5_T6_T7_T9_mT8_P12ihipStream_tbDpT10_ENKUlT_T0_E_clISt17integral_constantIbLb0EES1E_EEDaS19_S1A_EUlS19_E_NS1_11comp_targetILNS1_3genE5ELNS1_11target_archE942ELNS1_3gpuE9ELNS1_3repE0EEENS1_30default_config_static_selectorELNS0_4arch9wavefront6targetE1EEEvT1_
		.amdhsa_group_segment_fixed_size 28684
		.amdhsa_private_segment_fixed_size 0
		.amdhsa_kernarg_size 120
		.amdhsa_user_sgpr_count 2
		.amdhsa_user_sgpr_dispatch_ptr 0
		.amdhsa_user_sgpr_queue_ptr 0
		.amdhsa_user_sgpr_kernarg_segment_ptr 1
		.amdhsa_user_sgpr_dispatch_id 0
		.amdhsa_user_sgpr_kernarg_preload_length 0
		.amdhsa_user_sgpr_kernarg_preload_offset 0
		.amdhsa_user_sgpr_private_segment_size 0
		.amdhsa_uses_dynamic_stack 0
		.amdhsa_enable_private_segment 0
		.amdhsa_system_sgpr_workgroup_id_x 1
		.amdhsa_system_sgpr_workgroup_id_y 0
		.amdhsa_system_sgpr_workgroup_id_z 0
		.amdhsa_system_sgpr_workgroup_info 0
		.amdhsa_system_vgpr_workitem_id 0
		.amdhsa_next_free_vgpr 52
		.amdhsa_next_free_sgpr 52
		.amdhsa_accum_offset 52
		.amdhsa_reserve_vcc 1
		.amdhsa_float_round_mode_32 0
		.amdhsa_float_round_mode_16_64 0
		.amdhsa_float_denorm_mode_32 3
		.amdhsa_float_denorm_mode_16_64 3
		.amdhsa_dx10_clamp 1
		.amdhsa_ieee_mode 1
		.amdhsa_fp16_overflow 0
		.amdhsa_tg_split 0
		.amdhsa_exception_fp_ieee_invalid_op 0
		.amdhsa_exception_fp_denorm_src 0
		.amdhsa_exception_fp_ieee_div_zero 0
		.amdhsa_exception_fp_ieee_overflow 0
		.amdhsa_exception_fp_ieee_underflow 0
		.amdhsa_exception_fp_ieee_inexact 0
		.amdhsa_exception_int_div_zero 0
	.end_amdhsa_kernel
	.section	.text._ZN7rocprim17ROCPRIM_400000_NS6detail17trampoline_kernelINS0_14default_configENS1_25partition_config_selectorILNS1_17partition_subalgoE8ElNS0_10empty_typeEbEEZZNS1_14partition_implILS5_8ELb0ES3_jPlPS6_PKS6_NS0_5tupleIJS9_S6_EEENSD_IJSA_SA_EEENS0_18inequality_wrapperIZN2at6native12_GLOBAL__N_124unique_dim_cuda_templateIN3c108BFloat16EEESt5tupleIJNSH_6TensorESO_SO_EERKSO_lbbbEUlllE0_EEPmJS6_EEE10hipError_tPvRmT3_T4_T5_T6_T7_T9_mT8_P12ihipStream_tbDpT10_ENKUlT_T0_E_clISt17integral_constantIbLb0EES1E_EEDaS19_S1A_EUlS19_E_NS1_11comp_targetILNS1_3genE5ELNS1_11target_archE942ELNS1_3gpuE9ELNS1_3repE0EEENS1_30default_config_static_selectorELNS0_4arch9wavefront6targetE1EEEvT1_,"axG",@progbits,_ZN7rocprim17ROCPRIM_400000_NS6detail17trampoline_kernelINS0_14default_configENS1_25partition_config_selectorILNS1_17partition_subalgoE8ElNS0_10empty_typeEbEEZZNS1_14partition_implILS5_8ELb0ES3_jPlPS6_PKS6_NS0_5tupleIJS9_S6_EEENSD_IJSA_SA_EEENS0_18inequality_wrapperIZN2at6native12_GLOBAL__N_124unique_dim_cuda_templateIN3c108BFloat16EEESt5tupleIJNSH_6TensorESO_SO_EERKSO_lbbbEUlllE0_EEPmJS6_EEE10hipError_tPvRmT3_T4_T5_T6_T7_T9_mT8_P12ihipStream_tbDpT10_ENKUlT_T0_E_clISt17integral_constantIbLb0EES1E_EEDaS19_S1A_EUlS19_E_NS1_11comp_targetILNS1_3genE5ELNS1_11target_archE942ELNS1_3gpuE9ELNS1_3repE0EEENS1_30default_config_static_selectorELNS0_4arch9wavefront6targetE1EEEvT1_,comdat
.Lfunc_end1183:
	.size	_ZN7rocprim17ROCPRIM_400000_NS6detail17trampoline_kernelINS0_14default_configENS1_25partition_config_selectorILNS1_17partition_subalgoE8ElNS0_10empty_typeEbEEZZNS1_14partition_implILS5_8ELb0ES3_jPlPS6_PKS6_NS0_5tupleIJS9_S6_EEENSD_IJSA_SA_EEENS0_18inequality_wrapperIZN2at6native12_GLOBAL__N_124unique_dim_cuda_templateIN3c108BFloat16EEESt5tupleIJNSH_6TensorESO_SO_EERKSO_lbbbEUlllE0_EEPmJS6_EEE10hipError_tPvRmT3_T4_T5_T6_T7_T9_mT8_P12ihipStream_tbDpT10_ENKUlT_T0_E_clISt17integral_constantIbLb0EES1E_EEDaS19_S1A_EUlS19_E_NS1_11comp_targetILNS1_3genE5ELNS1_11target_archE942ELNS1_3gpuE9ELNS1_3repE0EEENS1_30default_config_static_selectorELNS0_4arch9wavefront6targetE1EEEvT1_, .Lfunc_end1183-_ZN7rocprim17ROCPRIM_400000_NS6detail17trampoline_kernelINS0_14default_configENS1_25partition_config_selectorILNS1_17partition_subalgoE8ElNS0_10empty_typeEbEEZZNS1_14partition_implILS5_8ELb0ES3_jPlPS6_PKS6_NS0_5tupleIJS9_S6_EEENSD_IJSA_SA_EEENS0_18inequality_wrapperIZN2at6native12_GLOBAL__N_124unique_dim_cuda_templateIN3c108BFloat16EEESt5tupleIJNSH_6TensorESO_SO_EERKSO_lbbbEUlllE0_EEPmJS6_EEE10hipError_tPvRmT3_T4_T5_T6_T7_T9_mT8_P12ihipStream_tbDpT10_ENKUlT_T0_E_clISt17integral_constantIbLb0EES1E_EEDaS19_S1A_EUlS19_E_NS1_11comp_targetILNS1_3genE5ELNS1_11target_archE942ELNS1_3gpuE9ELNS1_3repE0EEENS1_30default_config_static_selectorELNS0_4arch9wavefront6targetE1EEEvT1_
                                        ; -- End function
	.section	.AMDGPU.csdata,"",@progbits
; Kernel info:
; codeLenInByte = 13508
; NumSgprs: 58
; NumVgprs: 52
; NumAgprs: 0
; TotalNumVgprs: 52
; ScratchSize: 0
; MemoryBound: 0
; FloatMode: 240
; IeeeMode: 1
; LDSByteSize: 28684 bytes/workgroup (compile time only)
; SGPRBlocks: 7
; VGPRBlocks: 6
; NumSGPRsForWavesPerEU: 58
; NumVGPRsForWavesPerEU: 52
; AccumOffset: 52
; Occupancy: 4
; WaveLimiterHint : 1
; COMPUTE_PGM_RSRC2:SCRATCH_EN: 0
; COMPUTE_PGM_RSRC2:USER_SGPR: 2
; COMPUTE_PGM_RSRC2:TRAP_HANDLER: 0
; COMPUTE_PGM_RSRC2:TGID_X_EN: 1
; COMPUTE_PGM_RSRC2:TGID_Y_EN: 0
; COMPUTE_PGM_RSRC2:TGID_Z_EN: 0
; COMPUTE_PGM_RSRC2:TIDIG_COMP_CNT: 0
; COMPUTE_PGM_RSRC3_GFX90A:ACCUM_OFFSET: 12
; COMPUTE_PGM_RSRC3_GFX90A:TG_SPLIT: 0
	.section	.text._ZN7rocprim17ROCPRIM_400000_NS6detail17trampoline_kernelINS0_14default_configENS1_25partition_config_selectorILNS1_17partition_subalgoE8ElNS0_10empty_typeEbEEZZNS1_14partition_implILS5_8ELb0ES3_jPlPS6_PKS6_NS0_5tupleIJS9_S6_EEENSD_IJSA_SA_EEENS0_18inequality_wrapperIZN2at6native12_GLOBAL__N_124unique_dim_cuda_templateIN3c108BFloat16EEESt5tupleIJNSH_6TensorESO_SO_EERKSO_lbbbEUlllE0_EEPmJS6_EEE10hipError_tPvRmT3_T4_T5_T6_T7_T9_mT8_P12ihipStream_tbDpT10_ENKUlT_T0_E_clISt17integral_constantIbLb0EES1E_EEDaS19_S1A_EUlS19_E_NS1_11comp_targetILNS1_3genE4ELNS1_11target_archE910ELNS1_3gpuE8ELNS1_3repE0EEENS1_30default_config_static_selectorELNS0_4arch9wavefront6targetE1EEEvT1_,"axG",@progbits,_ZN7rocprim17ROCPRIM_400000_NS6detail17trampoline_kernelINS0_14default_configENS1_25partition_config_selectorILNS1_17partition_subalgoE8ElNS0_10empty_typeEbEEZZNS1_14partition_implILS5_8ELb0ES3_jPlPS6_PKS6_NS0_5tupleIJS9_S6_EEENSD_IJSA_SA_EEENS0_18inequality_wrapperIZN2at6native12_GLOBAL__N_124unique_dim_cuda_templateIN3c108BFloat16EEESt5tupleIJNSH_6TensorESO_SO_EERKSO_lbbbEUlllE0_EEPmJS6_EEE10hipError_tPvRmT3_T4_T5_T6_T7_T9_mT8_P12ihipStream_tbDpT10_ENKUlT_T0_E_clISt17integral_constantIbLb0EES1E_EEDaS19_S1A_EUlS19_E_NS1_11comp_targetILNS1_3genE4ELNS1_11target_archE910ELNS1_3gpuE8ELNS1_3repE0EEENS1_30default_config_static_selectorELNS0_4arch9wavefront6targetE1EEEvT1_,comdat
	.globl	_ZN7rocprim17ROCPRIM_400000_NS6detail17trampoline_kernelINS0_14default_configENS1_25partition_config_selectorILNS1_17partition_subalgoE8ElNS0_10empty_typeEbEEZZNS1_14partition_implILS5_8ELb0ES3_jPlPS6_PKS6_NS0_5tupleIJS9_S6_EEENSD_IJSA_SA_EEENS0_18inequality_wrapperIZN2at6native12_GLOBAL__N_124unique_dim_cuda_templateIN3c108BFloat16EEESt5tupleIJNSH_6TensorESO_SO_EERKSO_lbbbEUlllE0_EEPmJS6_EEE10hipError_tPvRmT3_T4_T5_T6_T7_T9_mT8_P12ihipStream_tbDpT10_ENKUlT_T0_E_clISt17integral_constantIbLb0EES1E_EEDaS19_S1A_EUlS19_E_NS1_11comp_targetILNS1_3genE4ELNS1_11target_archE910ELNS1_3gpuE8ELNS1_3repE0EEENS1_30default_config_static_selectorELNS0_4arch9wavefront6targetE1EEEvT1_ ; -- Begin function _ZN7rocprim17ROCPRIM_400000_NS6detail17trampoline_kernelINS0_14default_configENS1_25partition_config_selectorILNS1_17partition_subalgoE8ElNS0_10empty_typeEbEEZZNS1_14partition_implILS5_8ELb0ES3_jPlPS6_PKS6_NS0_5tupleIJS9_S6_EEENSD_IJSA_SA_EEENS0_18inequality_wrapperIZN2at6native12_GLOBAL__N_124unique_dim_cuda_templateIN3c108BFloat16EEESt5tupleIJNSH_6TensorESO_SO_EERKSO_lbbbEUlllE0_EEPmJS6_EEE10hipError_tPvRmT3_T4_T5_T6_T7_T9_mT8_P12ihipStream_tbDpT10_ENKUlT_T0_E_clISt17integral_constantIbLb0EES1E_EEDaS19_S1A_EUlS19_E_NS1_11comp_targetILNS1_3genE4ELNS1_11target_archE910ELNS1_3gpuE8ELNS1_3repE0EEENS1_30default_config_static_selectorELNS0_4arch9wavefront6targetE1EEEvT1_
	.p2align	8
	.type	_ZN7rocprim17ROCPRIM_400000_NS6detail17trampoline_kernelINS0_14default_configENS1_25partition_config_selectorILNS1_17partition_subalgoE8ElNS0_10empty_typeEbEEZZNS1_14partition_implILS5_8ELb0ES3_jPlPS6_PKS6_NS0_5tupleIJS9_S6_EEENSD_IJSA_SA_EEENS0_18inequality_wrapperIZN2at6native12_GLOBAL__N_124unique_dim_cuda_templateIN3c108BFloat16EEESt5tupleIJNSH_6TensorESO_SO_EERKSO_lbbbEUlllE0_EEPmJS6_EEE10hipError_tPvRmT3_T4_T5_T6_T7_T9_mT8_P12ihipStream_tbDpT10_ENKUlT_T0_E_clISt17integral_constantIbLb0EES1E_EEDaS19_S1A_EUlS19_E_NS1_11comp_targetILNS1_3genE4ELNS1_11target_archE910ELNS1_3gpuE8ELNS1_3repE0EEENS1_30default_config_static_selectorELNS0_4arch9wavefront6targetE1EEEvT1_,@function
_ZN7rocprim17ROCPRIM_400000_NS6detail17trampoline_kernelINS0_14default_configENS1_25partition_config_selectorILNS1_17partition_subalgoE8ElNS0_10empty_typeEbEEZZNS1_14partition_implILS5_8ELb0ES3_jPlPS6_PKS6_NS0_5tupleIJS9_S6_EEENSD_IJSA_SA_EEENS0_18inequality_wrapperIZN2at6native12_GLOBAL__N_124unique_dim_cuda_templateIN3c108BFloat16EEESt5tupleIJNSH_6TensorESO_SO_EERKSO_lbbbEUlllE0_EEPmJS6_EEE10hipError_tPvRmT3_T4_T5_T6_T7_T9_mT8_P12ihipStream_tbDpT10_ENKUlT_T0_E_clISt17integral_constantIbLb0EES1E_EEDaS19_S1A_EUlS19_E_NS1_11comp_targetILNS1_3genE4ELNS1_11target_archE910ELNS1_3gpuE8ELNS1_3repE0EEENS1_30default_config_static_selectorELNS0_4arch9wavefront6targetE1EEEvT1_: ; @_ZN7rocprim17ROCPRIM_400000_NS6detail17trampoline_kernelINS0_14default_configENS1_25partition_config_selectorILNS1_17partition_subalgoE8ElNS0_10empty_typeEbEEZZNS1_14partition_implILS5_8ELb0ES3_jPlPS6_PKS6_NS0_5tupleIJS9_S6_EEENSD_IJSA_SA_EEENS0_18inequality_wrapperIZN2at6native12_GLOBAL__N_124unique_dim_cuda_templateIN3c108BFloat16EEESt5tupleIJNSH_6TensorESO_SO_EERKSO_lbbbEUlllE0_EEPmJS6_EEE10hipError_tPvRmT3_T4_T5_T6_T7_T9_mT8_P12ihipStream_tbDpT10_ENKUlT_T0_E_clISt17integral_constantIbLb0EES1E_EEDaS19_S1A_EUlS19_E_NS1_11comp_targetILNS1_3genE4ELNS1_11target_archE910ELNS1_3gpuE8ELNS1_3repE0EEENS1_30default_config_static_selectorELNS0_4arch9wavefront6targetE1EEEvT1_
; %bb.0:
	.section	.rodata,"a",@progbits
	.p2align	6, 0x0
	.amdhsa_kernel _ZN7rocprim17ROCPRIM_400000_NS6detail17trampoline_kernelINS0_14default_configENS1_25partition_config_selectorILNS1_17partition_subalgoE8ElNS0_10empty_typeEbEEZZNS1_14partition_implILS5_8ELb0ES3_jPlPS6_PKS6_NS0_5tupleIJS9_S6_EEENSD_IJSA_SA_EEENS0_18inequality_wrapperIZN2at6native12_GLOBAL__N_124unique_dim_cuda_templateIN3c108BFloat16EEESt5tupleIJNSH_6TensorESO_SO_EERKSO_lbbbEUlllE0_EEPmJS6_EEE10hipError_tPvRmT3_T4_T5_T6_T7_T9_mT8_P12ihipStream_tbDpT10_ENKUlT_T0_E_clISt17integral_constantIbLb0EES1E_EEDaS19_S1A_EUlS19_E_NS1_11comp_targetILNS1_3genE4ELNS1_11target_archE910ELNS1_3gpuE8ELNS1_3repE0EEENS1_30default_config_static_selectorELNS0_4arch9wavefront6targetE1EEEvT1_
		.amdhsa_group_segment_fixed_size 0
		.amdhsa_private_segment_fixed_size 0
		.amdhsa_kernarg_size 120
		.amdhsa_user_sgpr_count 2
		.amdhsa_user_sgpr_dispatch_ptr 0
		.amdhsa_user_sgpr_queue_ptr 0
		.amdhsa_user_sgpr_kernarg_segment_ptr 1
		.amdhsa_user_sgpr_dispatch_id 0
		.amdhsa_user_sgpr_kernarg_preload_length 0
		.amdhsa_user_sgpr_kernarg_preload_offset 0
		.amdhsa_user_sgpr_private_segment_size 0
		.amdhsa_uses_dynamic_stack 0
		.amdhsa_enable_private_segment 0
		.amdhsa_system_sgpr_workgroup_id_x 1
		.amdhsa_system_sgpr_workgroup_id_y 0
		.amdhsa_system_sgpr_workgroup_id_z 0
		.amdhsa_system_sgpr_workgroup_info 0
		.amdhsa_system_vgpr_workitem_id 0
		.amdhsa_next_free_vgpr 1
		.amdhsa_next_free_sgpr 0
		.amdhsa_accum_offset 4
		.amdhsa_reserve_vcc 0
		.amdhsa_float_round_mode_32 0
		.amdhsa_float_round_mode_16_64 0
		.amdhsa_float_denorm_mode_32 3
		.amdhsa_float_denorm_mode_16_64 3
		.amdhsa_dx10_clamp 1
		.amdhsa_ieee_mode 1
		.amdhsa_fp16_overflow 0
		.amdhsa_tg_split 0
		.amdhsa_exception_fp_ieee_invalid_op 0
		.amdhsa_exception_fp_denorm_src 0
		.amdhsa_exception_fp_ieee_div_zero 0
		.amdhsa_exception_fp_ieee_overflow 0
		.amdhsa_exception_fp_ieee_underflow 0
		.amdhsa_exception_fp_ieee_inexact 0
		.amdhsa_exception_int_div_zero 0
	.end_amdhsa_kernel
	.section	.text._ZN7rocprim17ROCPRIM_400000_NS6detail17trampoline_kernelINS0_14default_configENS1_25partition_config_selectorILNS1_17partition_subalgoE8ElNS0_10empty_typeEbEEZZNS1_14partition_implILS5_8ELb0ES3_jPlPS6_PKS6_NS0_5tupleIJS9_S6_EEENSD_IJSA_SA_EEENS0_18inequality_wrapperIZN2at6native12_GLOBAL__N_124unique_dim_cuda_templateIN3c108BFloat16EEESt5tupleIJNSH_6TensorESO_SO_EERKSO_lbbbEUlllE0_EEPmJS6_EEE10hipError_tPvRmT3_T4_T5_T6_T7_T9_mT8_P12ihipStream_tbDpT10_ENKUlT_T0_E_clISt17integral_constantIbLb0EES1E_EEDaS19_S1A_EUlS19_E_NS1_11comp_targetILNS1_3genE4ELNS1_11target_archE910ELNS1_3gpuE8ELNS1_3repE0EEENS1_30default_config_static_selectorELNS0_4arch9wavefront6targetE1EEEvT1_,"axG",@progbits,_ZN7rocprim17ROCPRIM_400000_NS6detail17trampoline_kernelINS0_14default_configENS1_25partition_config_selectorILNS1_17partition_subalgoE8ElNS0_10empty_typeEbEEZZNS1_14partition_implILS5_8ELb0ES3_jPlPS6_PKS6_NS0_5tupleIJS9_S6_EEENSD_IJSA_SA_EEENS0_18inequality_wrapperIZN2at6native12_GLOBAL__N_124unique_dim_cuda_templateIN3c108BFloat16EEESt5tupleIJNSH_6TensorESO_SO_EERKSO_lbbbEUlllE0_EEPmJS6_EEE10hipError_tPvRmT3_T4_T5_T6_T7_T9_mT8_P12ihipStream_tbDpT10_ENKUlT_T0_E_clISt17integral_constantIbLb0EES1E_EEDaS19_S1A_EUlS19_E_NS1_11comp_targetILNS1_3genE4ELNS1_11target_archE910ELNS1_3gpuE8ELNS1_3repE0EEENS1_30default_config_static_selectorELNS0_4arch9wavefront6targetE1EEEvT1_,comdat
.Lfunc_end1184:
	.size	_ZN7rocprim17ROCPRIM_400000_NS6detail17trampoline_kernelINS0_14default_configENS1_25partition_config_selectorILNS1_17partition_subalgoE8ElNS0_10empty_typeEbEEZZNS1_14partition_implILS5_8ELb0ES3_jPlPS6_PKS6_NS0_5tupleIJS9_S6_EEENSD_IJSA_SA_EEENS0_18inequality_wrapperIZN2at6native12_GLOBAL__N_124unique_dim_cuda_templateIN3c108BFloat16EEESt5tupleIJNSH_6TensorESO_SO_EERKSO_lbbbEUlllE0_EEPmJS6_EEE10hipError_tPvRmT3_T4_T5_T6_T7_T9_mT8_P12ihipStream_tbDpT10_ENKUlT_T0_E_clISt17integral_constantIbLb0EES1E_EEDaS19_S1A_EUlS19_E_NS1_11comp_targetILNS1_3genE4ELNS1_11target_archE910ELNS1_3gpuE8ELNS1_3repE0EEENS1_30default_config_static_selectorELNS0_4arch9wavefront6targetE1EEEvT1_, .Lfunc_end1184-_ZN7rocprim17ROCPRIM_400000_NS6detail17trampoline_kernelINS0_14default_configENS1_25partition_config_selectorILNS1_17partition_subalgoE8ElNS0_10empty_typeEbEEZZNS1_14partition_implILS5_8ELb0ES3_jPlPS6_PKS6_NS0_5tupleIJS9_S6_EEENSD_IJSA_SA_EEENS0_18inequality_wrapperIZN2at6native12_GLOBAL__N_124unique_dim_cuda_templateIN3c108BFloat16EEESt5tupleIJNSH_6TensorESO_SO_EERKSO_lbbbEUlllE0_EEPmJS6_EEE10hipError_tPvRmT3_T4_T5_T6_T7_T9_mT8_P12ihipStream_tbDpT10_ENKUlT_T0_E_clISt17integral_constantIbLb0EES1E_EEDaS19_S1A_EUlS19_E_NS1_11comp_targetILNS1_3genE4ELNS1_11target_archE910ELNS1_3gpuE8ELNS1_3repE0EEENS1_30default_config_static_selectorELNS0_4arch9wavefront6targetE1EEEvT1_
                                        ; -- End function
	.section	.AMDGPU.csdata,"",@progbits
; Kernel info:
; codeLenInByte = 0
; NumSgprs: 6
; NumVgprs: 0
; NumAgprs: 0
; TotalNumVgprs: 0
; ScratchSize: 0
; MemoryBound: 0
; FloatMode: 240
; IeeeMode: 1
; LDSByteSize: 0 bytes/workgroup (compile time only)
; SGPRBlocks: 0
; VGPRBlocks: 0
; NumSGPRsForWavesPerEU: 6
; NumVGPRsForWavesPerEU: 1
; AccumOffset: 4
; Occupancy: 8
; WaveLimiterHint : 0
; COMPUTE_PGM_RSRC2:SCRATCH_EN: 0
; COMPUTE_PGM_RSRC2:USER_SGPR: 2
; COMPUTE_PGM_RSRC2:TRAP_HANDLER: 0
; COMPUTE_PGM_RSRC2:TGID_X_EN: 1
; COMPUTE_PGM_RSRC2:TGID_Y_EN: 0
; COMPUTE_PGM_RSRC2:TGID_Z_EN: 0
; COMPUTE_PGM_RSRC2:TIDIG_COMP_CNT: 0
; COMPUTE_PGM_RSRC3_GFX90A:ACCUM_OFFSET: 0
; COMPUTE_PGM_RSRC3_GFX90A:TG_SPLIT: 0
	.section	.text._ZN7rocprim17ROCPRIM_400000_NS6detail17trampoline_kernelINS0_14default_configENS1_25partition_config_selectorILNS1_17partition_subalgoE8ElNS0_10empty_typeEbEEZZNS1_14partition_implILS5_8ELb0ES3_jPlPS6_PKS6_NS0_5tupleIJS9_S6_EEENSD_IJSA_SA_EEENS0_18inequality_wrapperIZN2at6native12_GLOBAL__N_124unique_dim_cuda_templateIN3c108BFloat16EEESt5tupleIJNSH_6TensorESO_SO_EERKSO_lbbbEUlllE0_EEPmJS6_EEE10hipError_tPvRmT3_T4_T5_T6_T7_T9_mT8_P12ihipStream_tbDpT10_ENKUlT_T0_E_clISt17integral_constantIbLb0EES1E_EEDaS19_S1A_EUlS19_E_NS1_11comp_targetILNS1_3genE3ELNS1_11target_archE908ELNS1_3gpuE7ELNS1_3repE0EEENS1_30default_config_static_selectorELNS0_4arch9wavefront6targetE1EEEvT1_,"axG",@progbits,_ZN7rocprim17ROCPRIM_400000_NS6detail17trampoline_kernelINS0_14default_configENS1_25partition_config_selectorILNS1_17partition_subalgoE8ElNS0_10empty_typeEbEEZZNS1_14partition_implILS5_8ELb0ES3_jPlPS6_PKS6_NS0_5tupleIJS9_S6_EEENSD_IJSA_SA_EEENS0_18inequality_wrapperIZN2at6native12_GLOBAL__N_124unique_dim_cuda_templateIN3c108BFloat16EEESt5tupleIJNSH_6TensorESO_SO_EERKSO_lbbbEUlllE0_EEPmJS6_EEE10hipError_tPvRmT3_T4_T5_T6_T7_T9_mT8_P12ihipStream_tbDpT10_ENKUlT_T0_E_clISt17integral_constantIbLb0EES1E_EEDaS19_S1A_EUlS19_E_NS1_11comp_targetILNS1_3genE3ELNS1_11target_archE908ELNS1_3gpuE7ELNS1_3repE0EEENS1_30default_config_static_selectorELNS0_4arch9wavefront6targetE1EEEvT1_,comdat
	.globl	_ZN7rocprim17ROCPRIM_400000_NS6detail17trampoline_kernelINS0_14default_configENS1_25partition_config_selectorILNS1_17partition_subalgoE8ElNS0_10empty_typeEbEEZZNS1_14partition_implILS5_8ELb0ES3_jPlPS6_PKS6_NS0_5tupleIJS9_S6_EEENSD_IJSA_SA_EEENS0_18inequality_wrapperIZN2at6native12_GLOBAL__N_124unique_dim_cuda_templateIN3c108BFloat16EEESt5tupleIJNSH_6TensorESO_SO_EERKSO_lbbbEUlllE0_EEPmJS6_EEE10hipError_tPvRmT3_T4_T5_T6_T7_T9_mT8_P12ihipStream_tbDpT10_ENKUlT_T0_E_clISt17integral_constantIbLb0EES1E_EEDaS19_S1A_EUlS19_E_NS1_11comp_targetILNS1_3genE3ELNS1_11target_archE908ELNS1_3gpuE7ELNS1_3repE0EEENS1_30default_config_static_selectorELNS0_4arch9wavefront6targetE1EEEvT1_ ; -- Begin function _ZN7rocprim17ROCPRIM_400000_NS6detail17trampoline_kernelINS0_14default_configENS1_25partition_config_selectorILNS1_17partition_subalgoE8ElNS0_10empty_typeEbEEZZNS1_14partition_implILS5_8ELb0ES3_jPlPS6_PKS6_NS0_5tupleIJS9_S6_EEENSD_IJSA_SA_EEENS0_18inequality_wrapperIZN2at6native12_GLOBAL__N_124unique_dim_cuda_templateIN3c108BFloat16EEESt5tupleIJNSH_6TensorESO_SO_EERKSO_lbbbEUlllE0_EEPmJS6_EEE10hipError_tPvRmT3_T4_T5_T6_T7_T9_mT8_P12ihipStream_tbDpT10_ENKUlT_T0_E_clISt17integral_constantIbLb0EES1E_EEDaS19_S1A_EUlS19_E_NS1_11comp_targetILNS1_3genE3ELNS1_11target_archE908ELNS1_3gpuE7ELNS1_3repE0EEENS1_30default_config_static_selectorELNS0_4arch9wavefront6targetE1EEEvT1_
	.p2align	8
	.type	_ZN7rocprim17ROCPRIM_400000_NS6detail17trampoline_kernelINS0_14default_configENS1_25partition_config_selectorILNS1_17partition_subalgoE8ElNS0_10empty_typeEbEEZZNS1_14partition_implILS5_8ELb0ES3_jPlPS6_PKS6_NS0_5tupleIJS9_S6_EEENSD_IJSA_SA_EEENS0_18inequality_wrapperIZN2at6native12_GLOBAL__N_124unique_dim_cuda_templateIN3c108BFloat16EEESt5tupleIJNSH_6TensorESO_SO_EERKSO_lbbbEUlllE0_EEPmJS6_EEE10hipError_tPvRmT3_T4_T5_T6_T7_T9_mT8_P12ihipStream_tbDpT10_ENKUlT_T0_E_clISt17integral_constantIbLb0EES1E_EEDaS19_S1A_EUlS19_E_NS1_11comp_targetILNS1_3genE3ELNS1_11target_archE908ELNS1_3gpuE7ELNS1_3repE0EEENS1_30default_config_static_selectorELNS0_4arch9wavefront6targetE1EEEvT1_,@function
_ZN7rocprim17ROCPRIM_400000_NS6detail17trampoline_kernelINS0_14default_configENS1_25partition_config_selectorILNS1_17partition_subalgoE8ElNS0_10empty_typeEbEEZZNS1_14partition_implILS5_8ELb0ES3_jPlPS6_PKS6_NS0_5tupleIJS9_S6_EEENSD_IJSA_SA_EEENS0_18inequality_wrapperIZN2at6native12_GLOBAL__N_124unique_dim_cuda_templateIN3c108BFloat16EEESt5tupleIJNSH_6TensorESO_SO_EERKSO_lbbbEUlllE0_EEPmJS6_EEE10hipError_tPvRmT3_T4_T5_T6_T7_T9_mT8_P12ihipStream_tbDpT10_ENKUlT_T0_E_clISt17integral_constantIbLb0EES1E_EEDaS19_S1A_EUlS19_E_NS1_11comp_targetILNS1_3genE3ELNS1_11target_archE908ELNS1_3gpuE7ELNS1_3repE0EEENS1_30default_config_static_selectorELNS0_4arch9wavefront6targetE1EEEvT1_: ; @_ZN7rocprim17ROCPRIM_400000_NS6detail17trampoline_kernelINS0_14default_configENS1_25partition_config_selectorILNS1_17partition_subalgoE8ElNS0_10empty_typeEbEEZZNS1_14partition_implILS5_8ELb0ES3_jPlPS6_PKS6_NS0_5tupleIJS9_S6_EEENSD_IJSA_SA_EEENS0_18inequality_wrapperIZN2at6native12_GLOBAL__N_124unique_dim_cuda_templateIN3c108BFloat16EEESt5tupleIJNSH_6TensorESO_SO_EERKSO_lbbbEUlllE0_EEPmJS6_EEE10hipError_tPvRmT3_T4_T5_T6_T7_T9_mT8_P12ihipStream_tbDpT10_ENKUlT_T0_E_clISt17integral_constantIbLb0EES1E_EEDaS19_S1A_EUlS19_E_NS1_11comp_targetILNS1_3genE3ELNS1_11target_archE908ELNS1_3gpuE7ELNS1_3repE0EEENS1_30default_config_static_selectorELNS0_4arch9wavefront6targetE1EEEvT1_
; %bb.0:
	.section	.rodata,"a",@progbits
	.p2align	6, 0x0
	.amdhsa_kernel _ZN7rocprim17ROCPRIM_400000_NS6detail17trampoline_kernelINS0_14default_configENS1_25partition_config_selectorILNS1_17partition_subalgoE8ElNS0_10empty_typeEbEEZZNS1_14partition_implILS5_8ELb0ES3_jPlPS6_PKS6_NS0_5tupleIJS9_S6_EEENSD_IJSA_SA_EEENS0_18inequality_wrapperIZN2at6native12_GLOBAL__N_124unique_dim_cuda_templateIN3c108BFloat16EEESt5tupleIJNSH_6TensorESO_SO_EERKSO_lbbbEUlllE0_EEPmJS6_EEE10hipError_tPvRmT3_T4_T5_T6_T7_T9_mT8_P12ihipStream_tbDpT10_ENKUlT_T0_E_clISt17integral_constantIbLb0EES1E_EEDaS19_S1A_EUlS19_E_NS1_11comp_targetILNS1_3genE3ELNS1_11target_archE908ELNS1_3gpuE7ELNS1_3repE0EEENS1_30default_config_static_selectorELNS0_4arch9wavefront6targetE1EEEvT1_
		.amdhsa_group_segment_fixed_size 0
		.amdhsa_private_segment_fixed_size 0
		.amdhsa_kernarg_size 120
		.amdhsa_user_sgpr_count 2
		.amdhsa_user_sgpr_dispatch_ptr 0
		.amdhsa_user_sgpr_queue_ptr 0
		.amdhsa_user_sgpr_kernarg_segment_ptr 1
		.amdhsa_user_sgpr_dispatch_id 0
		.amdhsa_user_sgpr_kernarg_preload_length 0
		.amdhsa_user_sgpr_kernarg_preload_offset 0
		.amdhsa_user_sgpr_private_segment_size 0
		.amdhsa_uses_dynamic_stack 0
		.amdhsa_enable_private_segment 0
		.amdhsa_system_sgpr_workgroup_id_x 1
		.amdhsa_system_sgpr_workgroup_id_y 0
		.amdhsa_system_sgpr_workgroup_id_z 0
		.amdhsa_system_sgpr_workgroup_info 0
		.amdhsa_system_vgpr_workitem_id 0
		.amdhsa_next_free_vgpr 1
		.amdhsa_next_free_sgpr 0
		.amdhsa_accum_offset 4
		.amdhsa_reserve_vcc 0
		.amdhsa_float_round_mode_32 0
		.amdhsa_float_round_mode_16_64 0
		.amdhsa_float_denorm_mode_32 3
		.amdhsa_float_denorm_mode_16_64 3
		.amdhsa_dx10_clamp 1
		.amdhsa_ieee_mode 1
		.amdhsa_fp16_overflow 0
		.amdhsa_tg_split 0
		.amdhsa_exception_fp_ieee_invalid_op 0
		.amdhsa_exception_fp_denorm_src 0
		.amdhsa_exception_fp_ieee_div_zero 0
		.amdhsa_exception_fp_ieee_overflow 0
		.amdhsa_exception_fp_ieee_underflow 0
		.amdhsa_exception_fp_ieee_inexact 0
		.amdhsa_exception_int_div_zero 0
	.end_amdhsa_kernel
	.section	.text._ZN7rocprim17ROCPRIM_400000_NS6detail17trampoline_kernelINS0_14default_configENS1_25partition_config_selectorILNS1_17partition_subalgoE8ElNS0_10empty_typeEbEEZZNS1_14partition_implILS5_8ELb0ES3_jPlPS6_PKS6_NS0_5tupleIJS9_S6_EEENSD_IJSA_SA_EEENS0_18inequality_wrapperIZN2at6native12_GLOBAL__N_124unique_dim_cuda_templateIN3c108BFloat16EEESt5tupleIJNSH_6TensorESO_SO_EERKSO_lbbbEUlllE0_EEPmJS6_EEE10hipError_tPvRmT3_T4_T5_T6_T7_T9_mT8_P12ihipStream_tbDpT10_ENKUlT_T0_E_clISt17integral_constantIbLb0EES1E_EEDaS19_S1A_EUlS19_E_NS1_11comp_targetILNS1_3genE3ELNS1_11target_archE908ELNS1_3gpuE7ELNS1_3repE0EEENS1_30default_config_static_selectorELNS0_4arch9wavefront6targetE1EEEvT1_,"axG",@progbits,_ZN7rocprim17ROCPRIM_400000_NS6detail17trampoline_kernelINS0_14default_configENS1_25partition_config_selectorILNS1_17partition_subalgoE8ElNS0_10empty_typeEbEEZZNS1_14partition_implILS5_8ELb0ES3_jPlPS6_PKS6_NS0_5tupleIJS9_S6_EEENSD_IJSA_SA_EEENS0_18inequality_wrapperIZN2at6native12_GLOBAL__N_124unique_dim_cuda_templateIN3c108BFloat16EEESt5tupleIJNSH_6TensorESO_SO_EERKSO_lbbbEUlllE0_EEPmJS6_EEE10hipError_tPvRmT3_T4_T5_T6_T7_T9_mT8_P12ihipStream_tbDpT10_ENKUlT_T0_E_clISt17integral_constantIbLb0EES1E_EEDaS19_S1A_EUlS19_E_NS1_11comp_targetILNS1_3genE3ELNS1_11target_archE908ELNS1_3gpuE7ELNS1_3repE0EEENS1_30default_config_static_selectorELNS0_4arch9wavefront6targetE1EEEvT1_,comdat
.Lfunc_end1185:
	.size	_ZN7rocprim17ROCPRIM_400000_NS6detail17trampoline_kernelINS0_14default_configENS1_25partition_config_selectorILNS1_17partition_subalgoE8ElNS0_10empty_typeEbEEZZNS1_14partition_implILS5_8ELb0ES3_jPlPS6_PKS6_NS0_5tupleIJS9_S6_EEENSD_IJSA_SA_EEENS0_18inequality_wrapperIZN2at6native12_GLOBAL__N_124unique_dim_cuda_templateIN3c108BFloat16EEESt5tupleIJNSH_6TensorESO_SO_EERKSO_lbbbEUlllE0_EEPmJS6_EEE10hipError_tPvRmT3_T4_T5_T6_T7_T9_mT8_P12ihipStream_tbDpT10_ENKUlT_T0_E_clISt17integral_constantIbLb0EES1E_EEDaS19_S1A_EUlS19_E_NS1_11comp_targetILNS1_3genE3ELNS1_11target_archE908ELNS1_3gpuE7ELNS1_3repE0EEENS1_30default_config_static_selectorELNS0_4arch9wavefront6targetE1EEEvT1_, .Lfunc_end1185-_ZN7rocprim17ROCPRIM_400000_NS6detail17trampoline_kernelINS0_14default_configENS1_25partition_config_selectorILNS1_17partition_subalgoE8ElNS0_10empty_typeEbEEZZNS1_14partition_implILS5_8ELb0ES3_jPlPS6_PKS6_NS0_5tupleIJS9_S6_EEENSD_IJSA_SA_EEENS0_18inequality_wrapperIZN2at6native12_GLOBAL__N_124unique_dim_cuda_templateIN3c108BFloat16EEESt5tupleIJNSH_6TensorESO_SO_EERKSO_lbbbEUlllE0_EEPmJS6_EEE10hipError_tPvRmT3_T4_T5_T6_T7_T9_mT8_P12ihipStream_tbDpT10_ENKUlT_T0_E_clISt17integral_constantIbLb0EES1E_EEDaS19_S1A_EUlS19_E_NS1_11comp_targetILNS1_3genE3ELNS1_11target_archE908ELNS1_3gpuE7ELNS1_3repE0EEENS1_30default_config_static_selectorELNS0_4arch9wavefront6targetE1EEEvT1_
                                        ; -- End function
	.section	.AMDGPU.csdata,"",@progbits
; Kernel info:
; codeLenInByte = 0
; NumSgprs: 6
; NumVgprs: 0
; NumAgprs: 0
; TotalNumVgprs: 0
; ScratchSize: 0
; MemoryBound: 0
; FloatMode: 240
; IeeeMode: 1
; LDSByteSize: 0 bytes/workgroup (compile time only)
; SGPRBlocks: 0
; VGPRBlocks: 0
; NumSGPRsForWavesPerEU: 6
; NumVGPRsForWavesPerEU: 1
; AccumOffset: 4
; Occupancy: 8
; WaveLimiterHint : 0
; COMPUTE_PGM_RSRC2:SCRATCH_EN: 0
; COMPUTE_PGM_RSRC2:USER_SGPR: 2
; COMPUTE_PGM_RSRC2:TRAP_HANDLER: 0
; COMPUTE_PGM_RSRC2:TGID_X_EN: 1
; COMPUTE_PGM_RSRC2:TGID_Y_EN: 0
; COMPUTE_PGM_RSRC2:TGID_Z_EN: 0
; COMPUTE_PGM_RSRC2:TIDIG_COMP_CNT: 0
; COMPUTE_PGM_RSRC3_GFX90A:ACCUM_OFFSET: 0
; COMPUTE_PGM_RSRC3_GFX90A:TG_SPLIT: 0
	.section	.text._ZN7rocprim17ROCPRIM_400000_NS6detail17trampoline_kernelINS0_14default_configENS1_25partition_config_selectorILNS1_17partition_subalgoE8ElNS0_10empty_typeEbEEZZNS1_14partition_implILS5_8ELb0ES3_jPlPS6_PKS6_NS0_5tupleIJS9_S6_EEENSD_IJSA_SA_EEENS0_18inequality_wrapperIZN2at6native12_GLOBAL__N_124unique_dim_cuda_templateIN3c108BFloat16EEESt5tupleIJNSH_6TensorESO_SO_EERKSO_lbbbEUlllE0_EEPmJS6_EEE10hipError_tPvRmT3_T4_T5_T6_T7_T9_mT8_P12ihipStream_tbDpT10_ENKUlT_T0_E_clISt17integral_constantIbLb0EES1E_EEDaS19_S1A_EUlS19_E_NS1_11comp_targetILNS1_3genE2ELNS1_11target_archE906ELNS1_3gpuE6ELNS1_3repE0EEENS1_30default_config_static_selectorELNS0_4arch9wavefront6targetE1EEEvT1_,"axG",@progbits,_ZN7rocprim17ROCPRIM_400000_NS6detail17trampoline_kernelINS0_14default_configENS1_25partition_config_selectorILNS1_17partition_subalgoE8ElNS0_10empty_typeEbEEZZNS1_14partition_implILS5_8ELb0ES3_jPlPS6_PKS6_NS0_5tupleIJS9_S6_EEENSD_IJSA_SA_EEENS0_18inequality_wrapperIZN2at6native12_GLOBAL__N_124unique_dim_cuda_templateIN3c108BFloat16EEESt5tupleIJNSH_6TensorESO_SO_EERKSO_lbbbEUlllE0_EEPmJS6_EEE10hipError_tPvRmT3_T4_T5_T6_T7_T9_mT8_P12ihipStream_tbDpT10_ENKUlT_T0_E_clISt17integral_constantIbLb0EES1E_EEDaS19_S1A_EUlS19_E_NS1_11comp_targetILNS1_3genE2ELNS1_11target_archE906ELNS1_3gpuE6ELNS1_3repE0EEENS1_30default_config_static_selectorELNS0_4arch9wavefront6targetE1EEEvT1_,comdat
	.globl	_ZN7rocprim17ROCPRIM_400000_NS6detail17trampoline_kernelINS0_14default_configENS1_25partition_config_selectorILNS1_17partition_subalgoE8ElNS0_10empty_typeEbEEZZNS1_14partition_implILS5_8ELb0ES3_jPlPS6_PKS6_NS0_5tupleIJS9_S6_EEENSD_IJSA_SA_EEENS0_18inequality_wrapperIZN2at6native12_GLOBAL__N_124unique_dim_cuda_templateIN3c108BFloat16EEESt5tupleIJNSH_6TensorESO_SO_EERKSO_lbbbEUlllE0_EEPmJS6_EEE10hipError_tPvRmT3_T4_T5_T6_T7_T9_mT8_P12ihipStream_tbDpT10_ENKUlT_T0_E_clISt17integral_constantIbLb0EES1E_EEDaS19_S1A_EUlS19_E_NS1_11comp_targetILNS1_3genE2ELNS1_11target_archE906ELNS1_3gpuE6ELNS1_3repE0EEENS1_30default_config_static_selectorELNS0_4arch9wavefront6targetE1EEEvT1_ ; -- Begin function _ZN7rocprim17ROCPRIM_400000_NS6detail17trampoline_kernelINS0_14default_configENS1_25partition_config_selectorILNS1_17partition_subalgoE8ElNS0_10empty_typeEbEEZZNS1_14partition_implILS5_8ELb0ES3_jPlPS6_PKS6_NS0_5tupleIJS9_S6_EEENSD_IJSA_SA_EEENS0_18inequality_wrapperIZN2at6native12_GLOBAL__N_124unique_dim_cuda_templateIN3c108BFloat16EEESt5tupleIJNSH_6TensorESO_SO_EERKSO_lbbbEUlllE0_EEPmJS6_EEE10hipError_tPvRmT3_T4_T5_T6_T7_T9_mT8_P12ihipStream_tbDpT10_ENKUlT_T0_E_clISt17integral_constantIbLb0EES1E_EEDaS19_S1A_EUlS19_E_NS1_11comp_targetILNS1_3genE2ELNS1_11target_archE906ELNS1_3gpuE6ELNS1_3repE0EEENS1_30default_config_static_selectorELNS0_4arch9wavefront6targetE1EEEvT1_
	.p2align	8
	.type	_ZN7rocprim17ROCPRIM_400000_NS6detail17trampoline_kernelINS0_14default_configENS1_25partition_config_selectorILNS1_17partition_subalgoE8ElNS0_10empty_typeEbEEZZNS1_14partition_implILS5_8ELb0ES3_jPlPS6_PKS6_NS0_5tupleIJS9_S6_EEENSD_IJSA_SA_EEENS0_18inequality_wrapperIZN2at6native12_GLOBAL__N_124unique_dim_cuda_templateIN3c108BFloat16EEESt5tupleIJNSH_6TensorESO_SO_EERKSO_lbbbEUlllE0_EEPmJS6_EEE10hipError_tPvRmT3_T4_T5_T6_T7_T9_mT8_P12ihipStream_tbDpT10_ENKUlT_T0_E_clISt17integral_constantIbLb0EES1E_EEDaS19_S1A_EUlS19_E_NS1_11comp_targetILNS1_3genE2ELNS1_11target_archE906ELNS1_3gpuE6ELNS1_3repE0EEENS1_30default_config_static_selectorELNS0_4arch9wavefront6targetE1EEEvT1_,@function
_ZN7rocprim17ROCPRIM_400000_NS6detail17trampoline_kernelINS0_14default_configENS1_25partition_config_selectorILNS1_17partition_subalgoE8ElNS0_10empty_typeEbEEZZNS1_14partition_implILS5_8ELb0ES3_jPlPS6_PKS6_NS0_5tupleIJS9_S6_EEENSD_IJSA_SA_EEENS0_18inequality_wrapperIZN2at6native12_GLOBAL__N_124unique_dim_cuda_templateIN3c108BFloat16EEESt5tupleIJNSH_6TensorESO_SO_EERKSO_lbbbEUlllE0_EEPmJS6_EEE10hipError_tPvRmT3_T4_T5_T6_T7_T9_mT8_P12ihipStream_tbDpT10_ENKUlT_T0_E_clISt17integral_constantIbLb0EES1E_EEDaS19_S1A_EUlS19_E_NS1_11comp_targetILNS1_3genE2ELNS1_11target_archE906ELNS1_3gpuE6ELNS1_3repE0EEENS1_30default_config_static_selectorELNS0_4arch9wavefront6targetE1EEEvT1_: ; @_ZN7rocprim17ROCPRIM_400000_NS6detail17trampoline_kernelINS0_14default_configENS1_25partition_config_selectorILNS1_17partition_subalgoE8ElNS0_10empty_typeEbEEZZNS1_14partition_implILS5_8ELb0ES3_jPlPS6_PKS6_NS0_5tupleIJS9_S6_EEENSD_IJSA_SA_EEENS0_18inequality_wrapperIZN2at6native12_GLOBAL__N_124unique_dim_cuda_templateIN3c108BFloat16EEESt5tupleIJNSH_6TensorESO_SO_EERKSO_lbbbEUlllE0_EEPmJS6_EEE10hipError_tPvRmT3_T4_T5_T6_T7_T9_mT8_P12ihipStream_tbDpT10_ENKUlT_T0_E_clISt17integral_constantIbLb0EES1E_EEDaS19_S1A_EUlS19_E_NS1_11comp_targetILNS1_3genE2ELNS1_11target_archE906ELNS1_3gpuE6ELNS1_3repE0EEENS1_30default_config_static_selectorELNS0_4arch9wavefront6targetE1EEEvT1_
; %bb.0:
	.section	.rodata,"a",@progbits
	.p2align	6, 0x0
	.amdhsa_kernel _ZN7rocprim17ROCPRIM_400000_NS6detail17trampoline_kernelINS0_14default_configENS1_25partition_config_selectorILNS1_17partition_subalgoE8ElNS0_10empty_typeEbEEZZNS1_14partition_implILS5_8ELb0ES3_jPlPS6_PKS6_NS0_5tupleIJS9_S6_EEENSD_IJSA_SA_EEENS0_18inequality_wrapperIZN2at6native12_GLOBAL__N_124unique_dim_cuda_templateIN3c108BFloat16EEESt5tupleIJNSH_6TensorESO_SO_EERKSO_lbbbEUlllE0_EEPmJS6_EEE10hipError_tPvRmT3_T4_T5_T6_T7_T9_mT8_P12ihipStream_tbDpT10_ENKUlT_T0_E_clISt17integral_constantIbLb0EES1E_EEDaS19_S1A_EUlS19_E_NS1_11comp_targetILNS1_3genE2ELNS1_11target_archE906ELNS1_3gpuE6ELNS1_3repE0EEENS1_30default_config_static_selectorELNS0_4arch9wavefront6targetE1EEEvT1_
		.amdhsa_group_segment_fixed_size 0
		.amdhsa_private_segment_fixed_size 0
		.amdhsa_kernarg_size 120
		.amdhsa_user_sgpr_count 2
		.amdhsa_user_sgpr_dispatch_ptr 0
		.amdhsa_user_sgpr_queue_ptr 0
		.amdhsa_user_sgpr_kernarg_segment_ptr 1
		.amdhsa_user_sgpr_dispatch_id 0
		.amdhsa_user_sgpr_kernarg_preload_length 0
		.amdhsa_user_sgpr_kernarg_preload_offset 0
		.amdhsa_user_sgpr_private_segment_size 0
		.amdhsa_uses_dynamic_stack 0
		.amdhsa_enable_private_segment 0
		.amdhsa_system_sgpr_workgroup_id_x 1
		.amdhsa_system_sgpr_workgroup_id_y 0
		.amdhsa_system_sgpr_workgroup_id_z 0
		.amdhsa_system_sgpr_workgroup_info 0
		.amdhsa_system_vgpr_workitem_id 0
		.amdhsa_next_free_vgpr 1
		.amdhsa_next_free_sgpr 0
		.amdhsa_accum_offset 4
		.amdhsa_reserve_vcc 0
		.amdhsa_float_round_mode_32 0
		.amdhsa_float_round_mode_16_64 0
		.amdhsa_float_denorm_mode_32 3
		.amdhsa_float_denorm_mode_16_64 3
		.amdhsa_dx10_clamp 1
		.amdhsa_ieee_mode 1
		.amdhsa_fp16_overflow 0
		.amdhsa_tg_split 0
		.amdhsa_exception_fp_ieee_invalid_op 0
		.amdhsa_exception_fp_denorm_src 0
		.amdhsa_exception_fp_ieee_div_zero 0
		.amdhsa_exception_fp_ieee_overflow 0
		.amdhsa_exception_fp_ieee_underflow 0
		.amdhsa_exception_fp_ieee_inexact 0
		.amdhsa_exception_int_div_zero 0
	.end_amdhsa_kernel
	.section	.text._ZN7rocprim17ROCPRIM_400000_NS6detail17trampoline_kernelINS0_14default_configENS1_25partition_config_selectorILNS1_17partition_subalgoE8ElNS0_10empty_typeEbEEZZNS1_14partition_implILS5_8ELb0ES3_jPlPS6_PKS6_NS0_5tupleIJS9_S6_EEENSD_IJSA_SA_EEENS0_18inequality_wrapperIZN2at6native12_GLOBAL__N_124unique_dim_cuda_templateIN3c108BFloat16EEESt5tupleIJNSH_6TensorESO_SO_EERKSO_lbbbEUlllE0_EEPmJS6_EEE10hipError_tPvRmT3_T4_T5_T6_T7_T9_mT8_P12ihipStream_tbDpT10_ENKUlT_T0_E_clISt17integral_constantIbLb0EES1E_EEDaS19_S1A_EUlS19_E_NS1_11comp_targetILNS1_3genE2ELNS1_11target_archE906ELNS1_3gpuE6ELNS1_3repE0EEENS1_30default_config_static_selectorELNS0_4arch9wavefront6targetE1EEEvT1_,"axG",@progbits,_ZN7rocprim17ROCPRIM_400000_NS6detail17trampoline_kernelINS0_14default_configENS1_25partition_config_selectorILNS1_17partition_subalgoE8ElNS0_10empty_typeEbEEZZNS1_14partition_implILS5_8ELb0ES3_jPlPS6_PKS6_NS0_5tupleIJS9_S6_EEENSD_IJSA_SA_EEENS0_18inequality_wrapperIZN2at6native12_GLOBAL__N_124unique_dim_cuda_templateIN3c108BFloat16EEESt5tupleIJNSH_6TensorESO_SO_EERKSO_lbbbEUlllE0_EEPmJS6_EEE10hipError_tPvRmT3_T4_T5_T6_T7_T9_mT8_P12ihipStream_tbDpT10_ENKUlT_T0_E_clISt17integral_constantIbLb0EES1E_EEDaS19_S1A_EUlS19_E_NS1_11comp_targetILNS1_3genE2ELNS1_11target_archE906ELNS1_3gpuE6ELNS1_3repE0EEENS1_30default_config_static_selectorELNS0_4arch9wavefront6targetE1EEEvT1_,comdat
.Lfunc_end1186:
	.size	_ZN7rocprim17ROCPRIM_400000_NS6detail17trampoline_kernelINS0_14default_configENS1_25partition_config_selectorILNS1_17partition_subalgoE8ElNS0_10empty_typeEbEEZZNS1_14partition_implILS5_8ELb0ES3_jPlPS6_PKS6_NS0_5tupleIJS9_S6_EEENSD_IJSA_SA_EEENS0_18inequality_wrapperIZN2at6native12_GLOBAL__N_124unique_dim_cuda_templateIN3c108BFloat16EEESt5tupleIJNSH_6TensorESO_SO_EERKSO_lbbbEUlllE0_EEPmJS6_EEE10hipError_tPvRmT3_T4_T5_T6_T7_T9_mT8_P12ihipStream_tbDpT10_ENKUlT_T0_E_clISt17integral_constantIbLb0EES1E_EEDaS19_S1A_EUlS19_E_NS1_11comp_targetILNS1_3genE2ELNS1_11target_archE906ELNS1_3gpuE6ELNS1_3repE0EEENS1_30default_config_static_selectorELNS0_4arch9wavefront6targetE1EEEvT1_, .Lfunc_end1186-_ZN7rocprim17ROCPRIM_400000_NS6detail17trampoline_kernelINS0_14default_configENS1_25partition_config_selectorILNS1_17partition_subalgoE8ElNS0_10empty_typeEbEEZZNS1_14partition_implILS5_8ELb0ES3_jPlPS6_PKS6_NS0_5tupleIJS9_S6_EEENSD_IJSA_SA_EEENS0_18inequality_wrapperIZN2at6native12_GLOBAL__N_124unique_dim_cuda_templateIN3c108BFloat16EEESt5tupleIJNSH_6TensorESO_SO_EERKSO_lbbbEUlllE0_EEPmJS6_EEE10hipError_tPvRmT3_T4_T5_T6_T7_T9_mT8_P12ihipStream_tbDpT10_ENKUlT_T0_E_clISt17integral_constantIbLb0EES1E_EEDaS19_S1A_EUlS19_E_NS1_11comp_targetILNS1_3genE2ELNS1_11target_archE906ELNS1_3gpuE6ELNS1_3repE0EEENS1_30default_config_static_selectorELNS0_4arch9wavefront6targetE1EEEvT1_
                                        ; -- End function
	.section	.AMDGPU.csdata,"",@progbits
; Kernel info:
; codeLenInByte = 0
; NumSgprs: 6
; NumVgprs: 0
; NumAgprs: 0
; TotalNumVgprs: 0
; ScratchSize: 0
; MemoryBound: 0
; FloatMode: 240
; IeeeMode: 1
; LDSByteSize: 0 bytes/workgroup (compile time only)
; SGPRBlocks: 0
; VGPRBlocks: 0
; NumSGPRsForWavesPerEU: 6
; NumVGPRsForWavesPerEU: 1
; AccumOffset: 4
; Occupancy: 8
; WaveLimiterHint : 0
; COMPUTE_PGM_RSRC2:SCRATCH_EN: 0
; COMPUTE_PGM_RSRC2:USER_SGPR: 2
; COMPUTE_PGM_RSRC2:TRAP_HANDLER: 0
; COMPUTE_PGM_RSRC2:TGID_X_EN: 1
; COMPUTE_PGM_RSRC2:TGID_Y_EN: 0
; COMPUTE_PGM_RSRC2:TGID_Z_EN: 0
; COMPUTE_PGM_RSRC2:TIDIG_COMP_CNT: 0
; COMPUTE_PGM_RSRC3_GFX90A:ACCUM_OFFSET: 0
; COMPUTE_PGM_RSRC3_GFX90A:TG_SPLIT: 0
	.section	.text._ZN7rocprim17ROCPRIM_400000_NS6detail17trampoline_kernelINS0_14default_configENS1_25partition_config_selectorILNS1_17partition_subalgoE8ElNS0_10empty_typeEbEEZZNS1_14partition_implILS5_8ELb0ES3_jPlPS6_PKS6_NS0_5tupleIJS9_S6_EEENSD_IJSA_SA_EEENS0_18inequality_wrapperIZN2at6native12_GLOBAL__N_124unique_dim_cuda_templateIN3c108BFloat16EEESt5tupleIJNSH_6TensorESO_SO_EERKSO_lbbbEUlllE0_EEPmJS6_EEE10hipError_tPvRmT3_T4_T5_T6_T7_T9_mT8_P12ihipStream_tbDpT10_ENKUlT_T0_E_clISt17integral_constantIbLb0EES1E_EEDaS19_S1A_EUlS19_E_NS1_11comp_targetILNS1_3genE10ELNS1_11target_archE1200ELNS1_3gpuE4ELNS1_3repE0EEENS1_30default_config_static_selectorELNS0_4arch9wavefront6targetE1EEEvT1_,"axG",@progbits,_ZN7rocprim17ROCPRIM_400000_NS6detail17trampoline_kernelINS0_14default_configENS1_25partition_config_selectorILNS1_17partition_subalgoE8ElNS0_10empty_typeEbEEZZNS1_14partition_implILS5_8ELb0ES3_jPlPS6_PKS6_NS0_5tupleIJS9_S6_EEENSD_IJSA_SA_EEENS0_18inequality_wrapperIZN2at6native12_GLOBAL__N_124unique_dim_cuda_templateIN3c108BFloat16EEESt5tupleIJNSH_6TensorESO_SO_EERKSO_lbbbEUlllE0_EEPmJS6_EEE10hipError_tPvRmT3_T4_T5_T6_T7_T9_mT8_P12ihipStream_tbDpT10_ENKUlT_T0_E_clISt17integral_constantIbLb0EES1E_EEDaS19_S1A_EUlS19_E_NS1_11comp_targetILNS1_3genE10ELNS1_11target_archE1200ELNS1_3gpuE4ELNS1_3repE0EEENS1_30default_config_static_selectorELNS0_4arch9wavefront6targetE1EEEvT1_,comdat
	.globl	_ZN7rocprim17ROCPRIM_400000_NS6detail17trampoline_kernelINS0_14default_configENS1_25partition_config_selectorILNS1_17partition_subalgoE8ElNS0_10empty_typeEbEEZZNS1_14partition_implILS5_8ELb0ES3_jPlPS6_PKS6_NS0_5tupleIJS9_S6_EEENSD_IJSA_SA_EEENS0_18inequality_wrapperIZN2at6native12_GLOBAL__N_124unique_dim_cuda_templateIN3c108BFloat16EEESt5tupleIJNSH_6TensorESO_SO_EERKSO_lbbbEUlllE0_EEPmJS6_EEE10hipError_tPvRmT3_T4_T5_T6_T7_T9_mT8_P12ihipStream_tbDpT10_ENKUlT_T0_E_clISt17integral_constantIbLb0EES1E_EEDaS19_S1A_EUlS19_E_NS1_11comp_targetILNS1_3genE10ELNS1_11target_archE1200ELNS1_3gpuE4ELNS1_3repE0EEENS1_30default_config_static_selectorELNS0_4arch9wavefront6targetE1EEEvT1_ ; -- Begin function _ZN7rocprim17ROCPRIM_400000_NS6detail17trampoline_kernelINS0_14default_configENS1_25partition_config_selectorILNS1_17partition_subalgoE8ElNS0_10empty_typeEbEEZZNS1_14partition_implILS5_8ELb0ES3_jPlPS6_PKS6_NS0_5tupleIJS9_S6_EEENSD_IJSA_SA_EEENS0_18inequality_wrapperIZN2at6native12_GLOBAL__N_124unique_dim_cuda_templateIN3c108BFloat16EEESt5tupleIJNSH_6TensorESO_SO_EERKSO_lbbbEUlllE0_EEPmJS6_EEE10hipError_tPvRmT3_T4_T5_T6_T7_T9_mT8_P12ihipStream_tbDpT10_ENKUlT_T0_E_clISt17integral_constantIbLb0EES1E_EEDaS19_S1A_EUlS19_E_NS1_11comp_targetILNS1_3genE10ELNS1_11target_archE1200ELNS1_3gpuE4ELNS1_3repE0EEENS1_30default_config_static_selectorELNS0_4arch9wavefront6targetE1EEEvT1_
	.p2align	8
	.type	_ZN7rocprim17ROCPRIM_400000_NS6detail17trampoline_kernelINS0_14default_configENS1_25partition_config_selectorILNS1_17partition_subalgoE8ElNS0_10empty_typeEbEEZZNS1_14partition_implILS5_8ELb0ES3_jPlPS6_PKS6_NS0_5tupleIJS9_S6_EEENSD_IJSA_SA_EEENS0_18inequality_wrapperIZN2at6native12_GLOBAL__N_124unique_dim_cuda_templateIN3c108BFloat16EEESt5tupleIJNSH_6TensorESO_SO_EERKSO_lbbbEUlllE0_EEPmJS6_EEE10hipError_tPvRmT3_T4_T5_T6_T7_T9_mT8_P12ihipStream_tbDpT10_ENKUlT_T0_E_clISt17integral_constantIbLb0EES1E_EEDaS19_S1A_EUlS19_E_NS1_11comp_targetILNS1_3genE10ELNS1_11target_archE1200ELNS1_3gpuE4ELNS1_3repE0EEENS1_30default_config_static_selectorELNS0_4arch9wavefront6targetE1EEEvT1_,@function
_ZN7rocprim17ROCPRIM_400000_NS6detail17trampoline_kernelINS0_14default_configENS1_25partition_config_selectorILNS1_17partition_subalgoE8ElNS0_10empty_typeEbEEZZNS1_14partition_implILS5_8ELb0ES3_jPlPS6_PKS6_NS0_5tupleIJS9_S6_EEENSD_IJSA_SA_EEENS0_18inequality_wrapperIZN2at6native12_GLOBAL__N_124unique_dim_cuda_templateIN3c108BFloat16EEESt5tupleIJNSH_6TensorESO_SO_EERKSO_lbbbEUlllE0_EEPmJS6_EEE10hipError_tPvRmT3_T4_T5_T6_T7_T9_mT8_P12ihipStream_tbDpT10_ENKUlT_T0_E_clISt17integral_constantIbLb0EES1E_EEDaS19_S1A_EUlS19_E_NS1_11comp_targetILNS1_3genE10ELNS1_11target_archE1200ELNS1_3gpuE4ELNS1_3repE0EEENS1_30default_config_static_selectorELNS0_4arch9wavefront6targetE1EEEvT1_: ; @_ZN7rocprim17ROCPRIM_400000_NS6detail17trampoline_kernelINS0_14default_configENS1_25partition_config_selectorILNS1_17partition_subalgoE8ElNS0_10empty_typeEbEEZZNS1_14partition_implILS5_8ELb0ES3_jPlPS6_PKS6_NS0_5tupleIJS9_S6_EEENSD_IJSA_SA_EEENS0_18inequality_wrapperIZN2at6native12_GLOBAL__N_124unique_dim_cuda_templateIN3c108BFloat16EEESt5tupleIJNSH_6TensorESO_SO_EERKSO_lbbbEUlllE0_EEPmJS6_EEE10hipError_tPvRmT3_T4_T5_T6_T7_T9_mT8_P12ihipStream_tbDpT10_ENKUlT_T0_E_clISt17integral_constantIbLb0EES1E_EEDaS19_S1A_EUlS19_E_NS1_11comp_targetILNS1_3genE10ELNS1_11target_archE1200ELNS1_3gpuE4ELNS1_3repE0EEENS1_30default_config_static_selectorELNS0_4arch9wavefront6targetE1EEEvT1_
; %bb.0:
	.section	.rodata,"a",@progbits
	.p2align	6, 0x0
	.amdhsa_kernel _ZN7rocprim17ROCPRIM_400000_NS6detail17trampoline_kernelINS0_14default_configENS1_25partition_config_selectorILNS1_17partition_subalgoE8ElNS0_10empty_typeEbEEZZNS1_14partition_implILS5_8ELb0ES3_jPlPS6_PKS6_NS0_5tupleIJS9_S6_EEENSD_IJSA_SA_EEENS0_18inequality_wrapperIZN2at6native12_GLOBAL__N_124unique_dim_cuda_templateIN3c108BFloat16EEESt5tupleIJNSH_6TensorESO_SO_EERKSO_lbbbEUlllE0_EEPmJS6_EEE10hipError_tPvRmT3_T4_T5_T6_T7_T9_mT8_P12ihipStream_tbDpT10_ENKUlT_T0_E_clISt17integral_constantIbLb0EES1E_EEDaS19_S1A_EUlS19_E_NS1_11comp_targetILNS1_3genE10ELNS1_11target_archE1200ELNS1_3gpuE4ELNS1_3repE0EEENS1_30default_config_static_selectorELNS0_4arch9wavefront6targetE1EEEvT1_
		.amdhsa_group_segment_fixed_size 0
		.amdhsa_private_segment_fixed_size 0
		.amdhsa_kernarg_size 120
		.amdhsa_user_sgpr_count 2
		.amdhsa_user_sgpr_dispatch_ptr 0
		.amdhsa_user_sgpr_queue_ptr 0
		.amdhsa_user_sgpr_kernarg_segment_ptr 1
		.amdhsa_user_sgpr_dispatch_id 0
		.amdhsa_user_sgpr_kernarg_preload_length 0
		.amdhsa_user_sgpr_kernarg_preload_offset 0
		.amdhsa_user_sgpr_private_segment_size 0
		.amdhsa_uses_dynamic_stack 0
		.amdhsa_enable_private_segment 0
		.amdhsa_system_sgpr_workgroup_id_x 1
		.amdhsa_system_sgpr_workgroup_id_y 0
		.amdhsa_system_sgpr_workgroup_id_z 0
		.amdhsa_system_sgpr_workgroup_info 0
		.amdhsa_system_vgpr_workitem_id 0
		.amdhsa_next_free_vgpr 1
		.amdhsa_next_free_sgpr 0
		.amdhsa_accum_offset 4
		.amdhsa_reserve_vcc 0
		.amdhsa_float_round_mode_32 0
		.amdhsa_float_round_mode_16_64 0
		.amdhsa_float_denorm_mode_32 3
		.amdhsa_float_denorm_mode_16_64 3
		.amdhsa_dx10_clamp 1
		.amdhsa_ieee_mode 1
		.amdhsa_fp16_overflow 0
		.amdhsa_tg_split 0
		.amdhsa_exception_fp_ieee_invalid_op 0
		.amdhsa_exception_fp_denorm_src 0
		.amdhsa_exception_fp_ieee_div_zero 0
		.amdhsa_exception_fp_ieee_overflow 0
		.amdhsa_exception_fp_ieee_underflow 0
		.amdhsa_exception_fp_ieee_inexact 0
		.amdhsa_exception_int_div_zero 0
	.end_amdhsa_kernel
	.section	.text._ZN7rocprim17ROCPRIM_400000_NS6detail17trampoline_kernelINS0_14default_configENS1_25partition_config_selectorILNS1_17partition_subalgoE8ElNS0_10empty_typeEbEEZZNS1_14partition_implILS5_8ELb0ES3_jPlPS6_PKS6_NS0_5tupleIJS9_S6_EEENSD_IJSA_SA_EEENS0_18inequality_wrapperIZN2at6native12_GLOBAL__N_124unique_dim_cuda_templateIN3c108BFloat16EEESt5tupleIJNSH_6TensorESO_SO_EERKSO_lbbbEUlllE0_EEPmJS6_EEE10hipError_tPvRmT3_T4_T5_T6_T7_T9_mT8_P12ihipStream_tbDpT10_ENKUlT_T0_E_clISt17integral_constantIbLb0EES1E_EEDaS19_S1A_EUlS19_E_NS1_11comp_targetILNS1_3genE10ELNS1_11target_archE1200ELNS1_3gpuE4ELNS1_3repE0EEENS1_30default_config_static_selectorELNS0_4arch9wavefront6targetE1EEEvT1_,"axG",@progbits,_ZN7rocprim17ROCPRIM_400000_NS6detail17trampoline_kernelINS0_14default_configENS1_25partition_config_selectorILNS1_17partition_subalgoE8ElNS0_10empty_typeEbEEZZNS1_14partition_implILS5_8ELb0ES3_jPlPS6_PKS6_NS0_5tupleIJS9_S6_EEENSD_IJSA_SA_EEENS0_18inequality_wrapperIZN2at6native12_GLOBAL__N_124unique_dim_cuda_templateIN3c108BFloat16EEESt5tupleIJNSH_6TensorESO_SO_EERKSO_lbbbEUlllE0_EEPmJS6_EEE10hipError_tPvRmT3_T4_T5_T6_T7_T9_mT8_P12ihipStream_tbDpT10_ENKUlT_T0_E_clISt17integral_constantIbLb0EES1E_EEDaS19_S1A_EUlS19_E_NS1_11comp_targetILNS1_3genE10ELNS1_11target_archE1200ELNS1_3gpuE4ELNS1_3repE0EEENS1_30default_config_static_selectorELNS0_4arch9wavefront6targetE1EEEvT1_,comdat
.Lfunc_end1187:
	.size	_ZN7rocprim17ROCPRIM_400000_NS6detail17trampoline_kernelINS0_14default_configENS1_25partition_config_selectorILNS1_17partition_subalgoE8ElNS0_10empty_typeEbEEZZNS1_14partition_implILS5_8ELb0ES3_jPlPS6_PKS6_NS0_5tupleIJS9_S6_EEENSD_IJSA_SA_EEENS0_18inequality_wrapperIZN2at6native12_GLOBAL__N_124unique_dim_cuda_templateIN3c108BFloat16EEESt5tupleIJNSH_6TensorESO_SO_EERKSO_lbbbEUlllE0_EEPmJS6_EEE10hipError_tPvRmT3_T4_T5_T6_T7_T9_mT8_P12ihipStream_tbDpT10_ENKUlT_T0_E_clISt17integral_constantIbLb0EES1E_EEDaS19_S1A_EUlS19_E_NS1_11comp_targetILNS1_3genE10ELNS1_11target_archE1200ELNS1_3gpuE4ELNS1_3repE0EEENS1_30default_config_static_selectorELNS0_4arch9wavefront6targetE1EEEvT1_, .Lfunc_end1187-_ZN7rocprim17ROCPRIM_400000_NS6detail17trampoline_kernelINS0_14default_configENS1_25partition_config_selectorILNS1_17partition_subalgoE8ElNS0_10empty_typeEbEEZZNS1_14partition_implILS5_8ELb0ES3_jPlPS6_PKS6_NS0_5tupleIJS9_S6_EEENSD_IJSA_SA_EEENS0_18inequality_wrapperIZN2at6native12_GLOBAL__N_124unique_dim_cuda_templateIN3c108BFloat16EEESt5tupleIJNSH_6TensorESO_SO_EERKSO_lbbbEUlllE0_EEPmJS6_EEE10hipError_tPvRmT3_T4_T5_T6_T7_T9_mT8_P12ihipStream_tbDpT10_ENKUlT_T0_E_clISt17integral_constantIbLb0EES1E_EEDaS19_S1A_EUlS19_E_NS1_11comp_targetILNS1_3genE10ELNS1_11target_archE1200ELNS1_3gpuE4ELNS1_3repE0EEENS1_30default_config_static_selectorELNS0_4arch9wavefront6targetE1EEEvT1_
                                        ; -- End function
	.section	.AMDGPU.csdata,"",@progbits
; Kernel info:
; codeLenInByte = 0
; NumSgprs: 6
; NumVgprs: 0
; NumAgprs: 0
; TotalNumVgprs: 0
; ScratchSize: 0
; MemoryBound: 0
; FloatMode: 240
; IeeeMode: 1
; LDSByteSize: 0 bytes/workgroup (compile time only)
; SGPRBlocks: 0
; VGPRBlocks: 0
; NumSGPRsForWavesPerEU: 6
; NumVGPRsForWavesPerEU: 1
; AccumOffset: 4
; Occupancy: 8
; WaveLimiterHint : 0
; COMPUTE_PGM_RSRC2:SCRATCH_EN: 0
; COMPUTE_PGM_RSRC2:USER_SGPR: 2
; COMPUTE_PGM_RSRC2:TRAP_HANDLER: 0
; COMPUTE_PGM_RSRC2:TGID_X_EN: 1
; COMPUTE_PGM_RSRC2:TGID_Y_EN: 0
; COMPUTE_PGM_RSRC2:TGID_Z_EN: 0
; COMPUTE_PGM_RSRC2:TIDIG_COMP_CNT: 0
; COMPUTE_PGM_RSRC3_GFX90A:ACCUM_OFFSET: 0
; COMPUTE_PGM_RSRC3_GFX90A:TG_SPLIT: 0
	.section	.text._ZN7rocprim17ROCPRIM_400000_NS6detail17trampoline_kernelINS0_14default_configENS1_25partition_config_selectorILNS1_17partition_subalgoE8ElNS0_10empty_typeEbEEZZNS1_14partition_implILS5_8ELb0ES3_jPlPS6_PKS6_NS0_5tupleIJS9_S6_EEENSD_IJSA_SA_EEENS0_18inequality_wrapperIZN2at6native12_GLOBAL__N_124unique_dim_cuda_templateIN3c108BFloat16EEESt5tupleIJNSH_6TensorESO_SO_EERKSO_lbbbEUlllE0_EEPmJS6_EEE10hipError_tPvRmT3_T4_T5_T6_T7_T9_mT8_P12ihipStream_tbDpT10_ENKUlT_T0_E_clISt17integral_constantIbLb0EES1E_EEDaS19_S1A_EUlS19_E_NS1_11comp_targetILNS1_3genE9ELNS1_11target_archE1100ELNS1_3gpuE3ELNS1_3repE0EEENS1_30default_config_static_selectorELNS0_4arch9wavefront6targetE1EEEvT1_,"axG",@progbits,_ZN7rocprim17ROCPRIM_400000_NS6detail17trampoline_kernelINS0_14default_configENS1_25partition_config_selectorILNS1_17partition_subalgoE8ElNS0_10empty_typeEbEEZZNS1_14partition_implILS5_8ELb0ES3_jPlPS6_PKS6_NS0_5tupleIJS9_S6_EEENSD_IJSA_SA_EEENS0_18inequality_wrapperIZN2at6native12_GLOBAL__N_124unique_dim_cuda_templateIN3c108BFloat16EEESt5tupleIJNSH_6TensorESO_SO_EERKSO_lbbbEUlllE0_EEPmJS6_EEE10hipError_tPvRmT3_T4_T5_T6_T7_T9_mT8_P12ihipStream_tbDpT10_ENKUlT_T0_E_clISt17integral_constantIbLb0EES1E_EEDaS19_S1A_EUlS19_E_NS1_11comp_targetILNS1_3genE9ELNS1_11target_archE1100ELNS1_3gpuE3ELNS1_3repE0EEENS1_30default_config_static_selectorELNS0_4arch9wavefront6targetE1EEEvT1_,comdat
	.globl	_ZN7rocprim17ROCPRIM_400000_NS6detail17trampoline_kernelINS0_14default_configENS1_25partition_config_selectorILNS1_17partition_subalgoE8ElNS0_10empty_typeEbEEZZNS1_14partition_implILS5_8ELb0ES3_jPlPS6_PKS6_NS0_5tupleIJS9_S6_EEENSD_IJSA_SA_EEENS0_18inequality_wrapperIZN2at6native12_GLOBAL__N_124unique_dim_cuda_templateIN3c108BFloat16EEESt5tupleIJNSH_6TensorESO_SO_EERKSO_lbbbEUlllE0_EEPmJS6_EEE10hipError_tPvRmT3_T4_T5_T6_T7_T9_mT8_P12ihipStream_tbDpT10_ENKUlT_T0_E_clISt17integral_constantIbLb0EES1E_EEDaS19_S1A_EUlS19_E_NS1_11comp_targetILNS1_3genE9ELNS1_11target_archE1100ELNS1_3gpuE3ELNS1_3repE0EEENS1_30default_config_static_selectorELNS0_4arch9wavefront6targetE1EEEvT1_ ; -- Begin function _ZN7rocprim17ROCPRIM_400000_NS6detail17trampoline_kernelINS0_14default_configENS1_25partition_config_selectorILNS1_17partition_subalgoE8ElNS0_10empty_typeEbEEZZNS1_14partition_implILS5_8ELb0ES3_jPlPS6_PKS6_NS0_5tupleIJS9_S6_EEENSD_IJSA_SA_EEENS0_18inequality_wrapperIZN2at6native12_GLOBAL__N_124unique_dim_cuda_templateIN3c108BFloat16EEESt5tupleIJNSH_6TensorESO_SO_EERKSO_lbbbEUlllE0_EEPmJS6_EEE10hipError_tPvRmT3_T4_T5_T6_T7_T9_mT8_P12ihipStream_tbDpT10_ENKUlT_T0_E_clISt17integral_constantIbLb0EES1E_EEDaS19_S1A_EUlS19_E_NS1_11comp_targetILNS1_3genE9ELNS1_11target_archE1100ELNS1_3gpuE3ELNS1_3repE0EEENS1_30default_config_static_selectorELNS0_4arch9wavefront6targetE1EEEvT1_
	.p2align	8
	.type	_ZN7rocprim17ROCPRIM_400000_NS6detail17trampoline_kernelINS0_14default_configENS1_25partition_config_selectorILNS1_17partition_subalgoE8ElNS0_10empty_typeEbEEZZNS1_14partition_implILS5_8ELb0ES3_jPlPS6_PKS6_NS0_5tupleIJS9_S6_EEENSD_IJSA_SA_EEENS0_18inequality_wrapperIZN2at6native12_GLOBAL__N_124unique_dim_cuda_templateIN3c108BFloat16EEESt5tupleIJNSH_6TensorESO_SO_EERKSO_lbbbEUlllE0_EEPmJS6_EEE10hipError_tPvRmT3_T4_T5_T6_T7_T9_mT8_P12ihipStream_tbDpT10_ENKUlT_T0_E_clISt17integral_constantIbLb0EES1E_EEDaS19_S1A_EUlS19_E_NS1_11comp_targetILNS1_3genE9ELNS1_11target_archE1100ELNS1_3gpuE3ELNS1_3repE0EEENS1_30default_config_static_selectorELNS0_4arch9wavefront6targetE1EEEvT1_,@function
_ZN7rocprim17ROCPRIM_400000_NS6detail17trampoline_kernelINS0_14default_configENS1_25partition_config_selectorILNS1_17partition_subalgoE8ElNS0_10empty_typeEbEEZZNS1_14partition_implILS5_8ELb0ES3_jPlPS6_PKS6_NS0_5tupleIJS9_S6_EEENSD_IJSA_SA_EEENS0_18inequality_wrapperIZN2at6native12_GLOBAL__N_124unique_dim_cuda_templateIN3c108BFloat16EEESt5tupleIJNSH_6TensorESO_SO_EERKSO_lbbbEUlllE0_EEPmJS6_EEE10hipError_tPvRmT3_T4_T5_T6_T7_T9_mT8_P12ihipStream_tbDpT10_ENKUlT_T0_E_clISt17integral_constantIbLb0EES1E_EEDaS19_S1A_EUlS19_E_NS1_11comp_targetILNS1_3genE9ELNS1_11target_archE1100ELNS1_3gpuE3ELNS1_3repE0EEENS1_30default_config_static_selectorELNS0_4arch9wavefront6targetE1EEEvT1_: ; @_ZN7rocprim17ROCPRIM_400000_NS6detail17trampoline_kernelINS0_14default_configENS1_25partition_config_selectorILNS1_17partition_subalgoE8ElNS0_10empty_typeEbEEZZNS1_14partition_implILS5_8ELb0ES3_jPlPS6_PKS6_NS0_5tupleIJS9_S6_EEENSD_IJSA_SA_EEENS0_18inequality_wrapperIZN2at6native12_GLOBAL__N_124unique_dim_cuda_templateIN3c108BFloat16EEESt5tupleIJNSH_6TensorESO_SO_EERKSO_lbbbEUlllE0_EEPmJS6_EEE10hipError_tPvRmT3_T4_T5_T6_T7_T9_mT8_P12ihipStream_tbDpT10_ENKUlT_T0_E_clISt17integral_constantIbLb0EES1E_EEDaS19_S1A_EUlS19_E_NS1_11comp_targetILNS1_3genE9ELNS1_11target_archE1100ELNS1_3gpuE3ELNS1_3repE0EEENS1_30default_config_static_selectorELNS0_4arch9wavefront6targetE1EEEvT1_
; %bb.0:
	.section	.rodata,"a",@progbits
	.p2align	6, 0x0
	.amdhsa_kernel _ZN7rocprim17ROCPRIM_400000_NS6detail17trampoline_kernelINS0_14default_configENS1_25partition_config_selectorILNS1_17partition_subalgoE8ElNS0_10empty_typeEbEEZZNS1_14partition_implILS5_8ELb0ES3_jPlPS6_PKS6_NS0_5tupleIJS9_S6_EEENSD_IJSA_SA_EEENS0_18inequality_wrapperIZN2at6native12_GLOBAL__N_124unique_dim_cuda_templateIN3c108BFloat16EEESt5tupleIJNSH_6TensorESO_SO_EERKSO_lbbbEUlllE0_EEPmJS6_EEE10hipError_tPvRmT3_T4_T5_T6_T7_T9_mT8_P12ihipStream_tbDpT10_ENKUlT_T0_E_clISt17integral_constantIbLb0EES1E_EEDaS19_S1A_EUlS19_E_NS1_11comp_targetILNS1_3genE9ELNS1_11target_archE1100ELNS1_3gpuE3ELNS1_3repE0EEENS1_30default_config_static_selectorELNS0_4arch9wavefront6targetE1EEEvT1_
		.amdhsa_group_segment_fixed_size 0
		.amdhsa_private_segment_fixed_size 0
		.amdhsa_kernarg_size 120
		.amdhsa_user_sgpr_count 2
		.amdhsa_user_sgpr_dispatch_ptr 0
		.amdhsa_user_sgpr_queue_ptr 0
		.amdhsa_user_sgpr_kernarg_segment_ptr 1
		.amdhsa_user_sgpr_dispatch_id 0
		.amdhsa_user_sgpr_kernarg_preload_length 0
		.amdhsa_user_sgpr_kernarg_preload_offset 0
		.amdhsa_user_sgpr_private_segment_size 0
		.amdhsa_uses_dynamic_stack 0
		.amdhsa_enable_private_segment 0
		.amdhsa_system_sgpr_workgroup_id_x 1
		.amdhsa_system_sgpr_workgroup_id_y 0
		.amdhsa_system_sgpr_workgroup_id_z 0
		.amdhsa_system_sgpr_workgroup_info 0
		.amdhsa_system_vgpr_workitem_id 0
		.amdhsa_next_free_vgpr 1
		.amdhsa_next_free_sgpr 0
		.amdhsa_accum_offset 4
		.amdhsa_reserve_vcc 0
		.amdhsa_float_round_mode_32 0
		.amdhsa_float_round_mode_16_64 0
		.amdhsa_float_denorm_mode_32 3
		.amdhsa_float_denorm_mode_16_64 3
		.amdhsa_dx10_clamp 1
		.amdhsa_ieee_mode 1
		.amdhsa_fp16_overflow 0
		.amdhsa_tg_split 0
		.amdhsa_exception_fp_ieee_invalid_op 0
		.amdhsa_exception_fp_denorm_src 0
		.amdhsa_exception_fp_ieee_div_zero 0
		.amdhsa_exception_fp_ieee_overflow 0
		.amdhsa_exception_fp_ieee_underflow 0
		.amdhsa_exception_fp_ieee_inexact 0
		.amdhsa_exception_int_div_zero 0
	.end_amdhsa_kernel
	.section	.text._ZN7rocprim17ROCPRIM_400000_NS6detail17trampoline_kernelINS0_14default_configENS1_25partition_config_selectorILNS1_17partition_subalgoE8ElNS0_10empty_typeEbEEZZNS1_14partition_implILS5_8ELb0ES3_jPlPS6_PKS6_NS0_5tupleIJS9_S6_EEENSD_IJSA_SA_EEENS0_18inequality_wrapperIZN2at6native12_GLOBAL__N_124unique_dim_cuda_templateIN3c108BFloat16EEESt5tupleIJNSH_6TensorESO_SO_EERKSO_lbbbEUlllE0_EEPmJS6_EEE10hipError_tPvRmT3_T4_T5_T6_T7_T9_mT8_P12ihipStream_tbDpT10_ENKUlT_T0_E_clISt17integral_constantIbLb0EES1E_EEDaS19_S1A_EUlS19_E_NS1_11comp_targetILNS1_3genE9ELNS1_11target_archE1100ELNS1_3gpuE3ELNS1_3repE0EEENS1_30default_config_static_selectorELNS0_4arch9wavefront6targetE1EEEvT1_,"axG",@progbits,_ZN7rocprim17ROCPRIM_400000_NS6detail17trampoline_kernelINS0_14default_configENS1_25partition_config_selectorILNS1_17partition_subalgoE8ElNS0_10empty_typeEbEEZZNS1_14partition_implILS5_8ELb0ES3_jPlPS6_PKS6_NS0_5tupleIJS9_S6_EEENSD_IJSA_SA_EEENS0_18inequality_wrapperIZN2at6native12_GLOBAL__N_124unique_dim_cuda_templateIN3c108BFloat16EEESt5tupleIJNSH_6TensorESO_SO_EERKSO_lbbbEUlllE0_EEPmJS6_EEE10hipError_tPvRmT3_T4_T5_T6_T7_T9_mT8_P12ihipStream_tbDpT10_ENKUlT_T0_E_clISt17integral_constantIbLb0EES1E_EEDaS19_S1A_EUlS19_E_NS1_11comp_targetILNS1_3genE9ELNS1_11target_archE1100ELNS1_3gpuE3ELNS1_3repE0EEENS1_30default_config_static_selectorELNS0_4arch9wavefront6targetE1EEEvT1_,comdat
.Lfunc_end1188:
	.size	_ZN7rocprim17ROCPRIM_400000_NS6detail17trampoline_kernelINS0_14default_configENS1_25partition_config_selectorILNS1_17partition_subalgoE8ElNS0_10empty_typeEbEEZZNS1_14partition_implILS5_8ELb0ES3_jPlPS6_PKS6_NS0_5tupleIJS9_S6_EEENSD_IJSA_SA_EEENS0_18inequality_wrapperIZN2at6native12_GLOBAL__N_124unique_dim_cuda_templateIN3c108BFloat16EEESt5tupleIJNSH_6TensorESO_SO_EERKSO_lbbbEUlllE0_EEPmJS6_EEE10hipError_tPvRmT3_T4_T5_T6_T7_T9_mT8_P12ihipStream_tbDpT10_ENKUlT_T0_E_clISt17integral_constantIbLb0EES1E_EEDaS19_S1A_EUlS19_E_NS1_11comp_targetILNS1_3genE9ELNS1_11target_archE1100ELNS1_3gpuE3ELNS1_3repE0EEENS1_30default_config_static_selectorELNS0_4arch9wavefront6targetE1EEEvT1_, .Lfunc_end1188-_ZN7rocprim17ROCPRIM_400000_NS6detail17trampoline_kernelINS0_14default_configENS1_25partition_config_selectorILNS1_17partition_subalgoE8ElNS0_10empty_typeEbEEZZNS1_14partition_implILS5_8ELb0ES3_jPlPS6_PKS6_NS0_5tupleIJS9_S6_EEENSD_IJSA_SA_EEENS0_18inequality_wrapperIZN2at6native12_GLOBAL__N_124unique_dim_cuda_templateIN3c108BFloat16EEESt5tupleIJNSH_6TensorESO_SO_EERKSO_lbbbEUlllE0_EEPmJS6_EEE10hipError_tPvRmT3_T4_T5_T6_T7_T9_mT8_P12ihipStream_tbDpT10_ENKUlT_T0_E_clISt17integral_constantIbLb0EES1E_EEDaS19_S1A_EUlS19_E_NS1_11comp_targetILNS1_3genE9ELNS1_11target_archE1100ELNS1_3gpuE3ELNS1_3repE0EEENS1_30default_config_static_selectorELNS0_4arch9wavefront6targetE1EEEvT1_
                                        ; -- End function
	.section	.AMDGPU.csdata,"",@progbits
; Kernel info:
; codeLenInByte = 0
; NumSgprs: 6
; NumVgprs: 0
; NumAgprs: 0
; TotalNumVgprs: 0
; ScratchSize: 0
; MemoryBound: 0
; FloatMode: 240
; IeeeMode: 1
; LDSByteSize: 0 bytes/workgroup (compile time only)
; SGPRBlocks: 0
; VGPRBlocks: 0
; NumSGPRsForWavesPerEU: 6
; NumVGPRsForWavesPerEU: 1
; AccumOffset: 4
; Occupancy: 8
; WaveLimiterHint : 0
; COMPUTE_PGM_RSRC2:SCRATCH_EN: 0
; COMPUTE_PGM_RSRC2:USER_SGPR: 2
; COMPUTE_PGM_RSRC2:TRAP_HANDLER: 0
; COMPUTE_PGM_RSRC2:TGID_X_EN: 1
; COMPUTE_PGM_RSRC2:TGID_Y_EN: 0
; COMPUTE_PGM_RSRC2:TGID_Z_EN: 0
; COMPUTE_PGM_RSRC2:TIDIG_COMP_CNT: 0
; COMPUTE_PGM_RSRC3_GFX90A:ACCUM_OFFSET: 0
; COMPUTE_PGM_RSRC3_GFX90A:TG_SPLIT: 0
	.section	.text._ZN7rocprim17ROCPRIM_400000_NS6detail17trampoline_kernelINS0_14default_configENS1_25partition_config_selectorILNS1_17partition_subalgoE8ElNS0_10empty_typeEbEEZZNS1_14partition_implILS5_8ELb0ES3_jPlPS6_PKS6_NS0_5tupleIJS9_S6_EEENSD_IJSA_SA_EEENS0_18inequality_wrapperIZN2at6native12_GLOBAL__N_124unique_dim_cuda_templateIN3c108BFloat16EEESt5tupleIJNSH_6TensorESO_SO_EERKSO_lbbbEUlllE0_EEPmJS6_EEE10hipError_tPvRmT3_T4_T5_T6_T7_T9_mT8_P12ihipStream_tbDpT10_ENKUlT_T0_E_clISt17integral_constantIbLb0EES1E_EEDaS19_S1A_EUlS19_E_NS1_11comp_targetILNS1_3genE8ELNS1_11target_archE1030ELNS1_3gpuE2ELNS1_3repE0EEENS1_30default_config_static_selectorELNS0_4arch9wavefront6targetE1EEEvT1_,"axG",@progbits,_ZN7rocprim17ROCPRIM_400000_NS6detail17trampoline_kernelINS0_14default_configENS1_25partition_config_selectorILNS1_17partition_subalgoE8ElNS0_10empty_typeEbEEZZNS1_14partition_implILS5_8ELb0ES3_jPlPS6_PKS6_NS0_5tupleIJS9_S6_EEENSD_IJSA_SA_EEENS0_18inequality_wrapperIZN2at6native12_GLOBAL__N_124unique_dim_cuda_templateIN3c108BFloat16EEESt5tupleIJNSH_6TensorESO_SO_EERKSO_lbbbEUlllE0_EEPmJS6_EEE10hipError_tPvRmT3_T4_T5_T6_T7_T9_mT8_P12ihipStream_tbDpT10_ENKUlT_T0_E_clISt17integral_constantIbLb0EES1E_EEDaS19_S1A_EUlS19_E_NS1_11comp_targetILNS1_3genE8ELNS1_11target_archE1030ELNS1_3gpuE2ELNS1_3repE0EEENS1_30default_config_static_selectorELNS0_4arch9wavefront6targetE1EEEvT1_,comdat
	.globl	_ZN7rocprim17ROCPRIM_400000_NS6detail17trampoline_kernelINS0_14default_configENS1_25partition_config_selectorILNS1_17partition_subalgoE8ElNS0_10empty_typeEbEEZZNS1_14partition_implILS5_8ELb0ES3_jPlPS6_PKS6_NS0_5tupleIJS9_S6_EEENSD_IJSA_SA_EEENS0_18inequality_wrapperIZN2at6native12_GLOBAL__N_124unique_dim_cuda_templateIN3c108BFloat16EEESt5tupleIJNSH_6TensorESO_SO_EERKSO_lbbbEUlllE0_EEPmJS6_EEE10hipError_tPvRmT3_T4_T5_T6_T7_T9_mT8_P12ihipStream_tbDpT10_ENKUlT_T0_E_clISt17integral_constantIbLb0EES1E_EEDaS19_S1A_EUlS19_E_NS1_11comp_targetILNS1_3genE8ELNS1_11target_archE1030ELNS1_3gpuE2ELNS1_3repE0EEENS1_30default_config_static_selectorELNS0_4arch9wavefront6targetE1EEEvT1_ ; -- Begin function _ZN7rocprim17ROCPRIM_400000_NS6detail17trampoline_kernelINS0_14default_configENS1_25partition_config_selectorILNS1_17partition_subalgoE8ElNS0_10empty_typeEbEEZZNS1_14partition_implILS5_8ELb0ES3_jPlPS6_PKS6_NS0_5tupleIJS9_S6_EEENSD_IJSA_SA_EEENS0_18inequality_wrapperIZN2at6native12_GLOBAL__N_124unique_dim_cuda_templateIN3c108BFloat16EEESt5tupleIJNSH_6TensorESO_SO_EERKSO_lbbbEUlllE0_EEPmJS6_EEE10hipError_tPvRmT3_T4_T5_T6_T7_T9_mT8_P12ihipStream_tbDpT10_ENKUlT_T0_E_clISt17integral_constantIbLb0EES1E_EEDaS19_S1A_EUlS19_E_NS1_11comp_targetILNS1_3genE8ELNS1_11target_archE1030ELNS1_3gpuE2ELNS1_3repE0EEENS1_30default_config_static_selectorELNS0_4arch9wavefront6targetE1EEEvT1_
	.p2align	8
	.type	_ZN7rocprim17ROCPRIM_400000_NS6detail17trampoline_kernelINS0_14default_configENS1_25partition_config_selectorILNS1_17partition_subalgoE8ElNS0_10empty_typeEbEEZZNS1_14partition_implILS5_8ELb0ES3_jPlPS6_PKS6_NS0_5tupleIJS9_S6_EEENSD_IJSA_SA_EEENS0_18inequality_wrapperIZN2at6native12_GLOBAL__N_124unique_dim_cuda_templateIN3c108BFloat16EEESt5tupleIJNSH_6TensorESO_SO_EERKSO_lbbbEUlllE0_EEPmJS6_EEE10hipError_tPvRmT3_T4_T5_T6_T7_T9_mT8_P12ihipStream_tbDpT10_ENKUlT_T0_E_clISt17integral_constantIbLb0EES1E_EEDaS19_S1A_EUlS19_E_NS1_11comp_targetILNS1_3genE8ELNS1_11target_archE1030ELNS1_3gpuE2ELNS1_3repE0EEENS1_30default_config_static_selectorELNS0_4arch9wavefront6targetE1EEEvT1_,@function
_ZN7rocprim17ROCPRIM_400000_NS6detail17trampoline_kernelINS0_14default_configENS1_25partition_config_selectorILNS1_17partition_subalgoE8ElNS0_10empty_typeEbEEZZNS1_14partition_implILS5_8ELb0ES3_jPlPS6_PKS6_NS0_5tupleIJS9_S6_EEENSD_IJSA_SA_EEENS0_18inequality_wrapperIZN2at6native12_GLOBAL__N_124unique_dim_cuda_templateIN3c108BFloat16EEESt5tupleIJNSH_6TensorESO_SO_EERKSO_lbbbEUlllE0_EEPmJS6_EEE10hipError_tPvRmT3_T4_T5_T6_T7_T9_mT8_P12ihipStream_tbDpT10_ENKUlT_T0_E_clISt17integral_constantIbLb0EES1E_EEDaS19_S1A_EUlS19_E_NS1_11comp_targetILNS1_3genE8ELNS1_11target_archE1030ELNS1_3gpuE2ELNS1_3repE0EEENS1_30default_config_static_selectorELNS0_4arch9wavefront6targetE1EEEvT1_: ; @_ZN7rocprim17ROCPRIM_400000_NS6detail17trampoline_kernelINS0_14default_configENS1_25partition_config_selectorILNS1_17partition_subalgoE8ElNS0_10empty_typeEbEEZZNS1_14partition_implILS5_8ELb0ES3_jPlPS6_PKS6_NS0_5tupleIJS9_S6_EEENSD_IJSA_SA_EEENS0_18inequality_wrapperIZN2at6native12_GLOBAL__N_124unique_dim_cuda_templateIN3c108BFloat16EEESt5tupleIJNSH_6TensorESO_SO_EERKSO_lbbbEUlllE0_EEPmJS6_EEE10hipError_tPvRmT3_T4_T5_T6_T7_T9_mT8_P12ihipStream_tbDpT10_ENKUlT_T0_E_clISt17integral_constantIbLb0EES1E_EEDaS19_S1A_EUlS19_E_NS1_11comp_targetILNS1_3genE8ELNS1_11target_archE1030ELNS1_3gpuE2ELNS1_3repE0EEENS1_30default_config_static_selectorELNS0_4arch9wavefront6targetE1EEEvT1_
; %bb.0:
	.section	.rodata,"a",@progbits
	.p2align	6, 0x0
	.amdhsa_kernel _ZN7rocprim17ROCPRIM_400000_NS6detail17trampoline_kernelINS0_14default_configENS1_25partition_config_selectorILNS1_17partition_subalgoE8ElNS0_10empty_typeEbEEZZNS1_14partition_implILS5_8ELb0ES3_jPlPS6_PKS6_NS0_5tupleIJS9_S6_EEENSD_IJSA_SA_EEENS0_18inequality_wrapperIZN2at6native12_GLOBAL__N_124unique_dim_cuda_templateIN3c108BFloat16EEESt5tupleIJNSH_6TensorESO_SO_EERKSO_lbbbEUlllE0_EEPmJS6_EEE10hipError_tPvRmT3_T4_T5_T6_T7_T9_mT8_P12ihipStream_tbDpT10_ENKUlT_T0_E_clISt17integral_constantIbLb0EES1E_EEDaS19_S1A_EUlS19_E_NS1_11comp_targetILNS1_3genE8ELNS1_11target_archE1030ELNS1_3gpuE2ELNS1_3repE0EEENS1_30default_config_static_selectorELNS0_4arch9wavefront6targetE1EEEvT1_
		.amdhsa_group_segment_fixed_size 0
		.amdhsa_private_segment_fixed_size 0
		.amdhsa_kernarg_size 120
		.amdhsa_user_sgpr_count 2
		.amdhsa_user_sgpr_dispatch_ptr 0
		.amdhsa_user_sgpr_queue_ptr 0
		.amdhsa_user_sgpr_kernarg_segment_ptr 1
		.amdhsa_user_sgpr_dispatch_id 0
		.amdhsa_user_sgpr_kernarg_preload_length 0
		.amdhsa_user_sgpr_kernarg_preload_offset 0
		.amdhsa_user_sgpr_private_segment_size 0
		.amdhsa_uses_dynamic_stack 0
		.amdhsa_enable_private_segment 0
		.amdhsa_system_sgpr_workgroup_id_x 1
		.amdhsa_system_sgpr_workgroup_id_y 0
		.amdhsa_system_sgpr_workgroup_id_z 0
		.amdhsa_system_sgpr_workgroup_info 0
		.amdhsa_system_vgpr_workitem_id 0
		.amdhsa_next_free_vgpr 1
		.amdhsa_next_free_sgpr 0
		.amdhsa_accum_offset 4
		.amdhsa_reserve_vcc 0
		.amdhsa_float_round_mode_32 0
		.amdhsa_float_round_mode_16_64 0
		.amdhsa_float_denorm_mode_32 3
		.amdhsa_float_denorm_mode_16_64 3
		.amdhsa_dx10_clamp 1
		.amdhsa_ieee_mode 1
		.amdhsa_fp16_overflow 0
		.amdhsa_tg_split 0
		.amdhsa_exception_fp_ieee_invalid_op 0
		.amdhsa_exception_fp_denorm_src 0
		.amdhsa_exception_fp_ieee_div_zero 0
		.amdhsa_exception_fp_ieee_overflow 0
		.amdhsa_exception_fp_ieee_underflow 0
		.amdhsa_exception_fp_ieee_inexact 0
		.amdhsa_exception_int_div_zero 0
	.end_amdhsa_kernel
	.section	.text._ZN7rocprim17ROCPRIM_400000_NS6detail17trampoline_kernelINS0_14default_configENS1_25partition_config_selectorILNS1_17partition_subalgoE8ElNS0_10empty_typeEbEEZZNS1_14partition_implILS5_8ELb0ES3_jPlPS6_PKS6_NS0_5tupleIJS9_S6_EEENSD_IJSA_SA_EEENS0_18inequality_wrapperIZN2at6native12_GLOBAL__N_124unique_dim_cuda_templateIN3c108BFloat16EEESt5tupleIJNSH_6TensorESO_SO_EERKSO_lbbbEUlllE0_EEPmJS6_EEE10hipError_tPvRmT3_T4_T5_T6_T7_T9_mT8_P12ihipStream_tbDpT10_ENKUlT_T0_E_clISt17integral_constantIbLb0EES1E_EEDaS19_S1A_EUlS19_E_NS1_11comp_targetILNS1_3genE8ELNS1_11target_archE1030ELNS1_3gpuE2ELNS1_3repE0EEENS1_30default_config_static_selectorELNS0_4arch9wavefront6targetE1EEEvT1_,"axG",@progbits,_ZN7rocprim17ROCPRIM_400000_NS6detail17trampoline_kernelINS0_14default_configENS1_25partition_config_selectorILNS1_17partition_subalgoE8ElNS0_10empty_typeEbEEZZNS1_14partition_implILS5_8ELb0ES3_jPlPS6_PKS6_NS0_5tupleIJS9_S6_EEENSD_IJSA_SA_EEENS0_18inequality_wrapperIZN2at6native12_GLOBAL__N_124unique_dim_cuda_templateIN3c108BFloat16EEESt5tupleIJNSH_6TensorESO_SO_EERKSO_lbbbEUlllE0_EEPmJS6_EEE10hipError_tPvRmT3_T4_T5_T6_T7_T9_mT8_P12ihipStream_tbDpT10_ENKUlT_T0_E_clISt17integral_constantIbLb0EES1E_EEDaS19_S1A_EUlS19_E_NS1_11comp_targetILNS1_3genE8ELNS1_11target_archE1030ELNS1_3gpuE2ELNS1_3repE0EEENS1_30default_config_static_selectorELNS0_4arch9wavefront6targetE1EEEvT1_,comdat
.Lfunc_end1189:
	.size	_ZN7rocprim17ROCPRIM_400000_NS6detail17trampoline_kernelINS0_14default_configENS1_25partition_config_selectorILNS1_17partition_subalgoE8ElNS0_10empty_typeEbEEZZNS1_14partition_implILS5_8ELb0ES3_jPlPS6_PKS6_NS0_5tupleIJS9_S6_EEENSD_IJSA_SA_EEENS0_18inequality_wrapperIZN2at6native12_GLOBAL__N_124unique_dim_cuda_templateIN3c108BFloat16EEESt5tupleIJNSH_6TensorESO_SO_EERKSO_lbbbEUlllE0_EEPmJS6_EEE10hipError_tPvRmT3_T4_T5_T6_T7_T9_mT8_P12ihipStream_tbDpT10_ENKUlT_T0_E_clISt17integral_constantIbLb0EES1E_EEDaS19_S1A_EUlS19_E_NS1_11comp_targetILNS1_3genE8ELNS1_11target_archE1030ELNS1_3gpuE2ELNS1_3repE0EEENS1_30default_config_static_selectorELNS0_4arch9wavefront6targetE1EEEvT1_, .Lfunc_end1189-_ZN7rocprim17ROCPRIM_400000_NS6detail17trampoline_kernelINS0_14default_configENS1_25partition_config_selectorILNS1_17partition_subalgoE8ElNS0_10empty_typeEbEEZZNS1_14partition_implILS5_8ELb0ES3_jPlPS6_PKS6_NS0_5tupleIJS9_S6_EEENSD_IJSA_SA_EEENS0_18inequality_wrapperIZN2at6native12_GLOBAL__N_124unique_dim_cuda_templateIN3c108BFloat16EEESt5tupleIJNSH_6TensorESO_SO_EERKSO_lbbbEUlllE0_EEPmJS6_EEE10hipError_tPvRmT3_T4_T5_T6_T7_T9_mT8_P12ihipStream_tbDpT10_ENKUlT_T0_E_clISt17integral_constantIbLb0EES1E_EEDaS19_S1A_EUlS19_E_NS1_11comp_targetILNS1_3genE8ELNS1_11target_archE1030ELNS1_3gpuE2ELNS1_3repE0EEENS1_30default_config_static_selectorELNS0_4arch9wavefront6targetE1EEEvT1_
                                        ; -- End function
	.section	.AMDGPU.csdata,"",@progbits
; Kernel info:
; codeLenInByte = 0
; NumSgprs: 6
; NumVgprs: 0
; NumAgprs: 0
; TotalNumVgprs: 0
; ScratchSize: 0
; MemoryBound: 0
; FloatMode: 240
; IeeeMode: 1
; LDSByteSize: 0 bytes/workgroup (compile time only)
; SGPRBlocks: 0
; VGPRBlocks: 0
; NumSGPRsForWavesPerEU: 6
; NumVGPRsForWavesPerEU: 1
; AccumOffset: 4
; Occupancy: 8
; WaveLimiterHint : 0
; COMPUTE_PGM_RSRC2:SCRATCH_EN: 0
; COMPUTE_PGM_RSRC2:USER_SGPR: 2
; COMPUTE_PGM_RSRC2:TRAP_HANDLER: 0
; COMPUTE_PGM_RSRC2:TGID_X_EN: 1
; COMPUTE_PGM_RSRC2:TGID_Y_EN: 0
; COMPUTE_PGM_RSRC2:TGID_Z_EN: 0
; COMPUTE_PGM_RSRC2:TIDIG_COMP_CNT: 0
; COMPUTE_PGM_RSRC3_GFX90A:ACCUM_OFFSET: 0
; COMPUTE_PGM_RSRC3_GFX90A:TG_SPLIT: 0
	.section	.text._ZN7rocprim17ROCPRIM_400000_NS6detail17trampoline_kernelINS0_14default_configENS1_25partition_config_selectorILNS1_17partition_subalgoE8ElNS0_10empty_typeEbEEZZNS1_14partition_implILS5_8ELb0ES3_jPlPS6_PKS6_NS0_5tupleIJS9_S6_EEENSD_IJSA_SA_EEENS0_18inequality_wrapperIZN2at6native12_GLOBAL__N_124unique_dim_cuda_templateIN3c108BFloat16EEESt5tupleIJNSH_6TensorESO_SO_EERKSO_lbbbEUlllE0_EEPmJS6_EEE10hipError_tPvRmT3_T4_T5_T6_T7_T9_mT8_P12ihipStream_tbDpT10_ENKUlT_T0_E_clISt17integral_constantIbLb1EES1E_EEDaS19_S1A_EUlS19_E_NS1_11comp_targetILNS1_3genE0ELNS1_11target_archE4294967295ELNS1_3gpuE0ELNS1_3repE0EEENS1_30default_config_static_selectorELNS0_4arch9wavefront6targetE1EEEvT1_,"axG",@progbits,_ZN7rocprim17ROCPRIM_400000_NS6detail17trampoline_kernelINS0_14default_configENS1_25partition_config_selectorILNS1_17partition_subalgoE8ElNS0_10empty_typeEbEEZZNS1_14partition_implILS5_8ELb0ES3_jPlPS6_PKS6_NS0_5tupleIJS9_S6_EEENSD_IJSA_SA_EEENS0_18inequality_wrapperIZN2at6native12_GLOBAL__N_124unique_dim_cuda_templateIN3c108BFloat16EEESt5tupleIJNSH_6TensorESO_SO_EERKSO_lbbbEUlllE0_EEPmJS6_EEE10hipError_tPvRmT3_T4_T5_T6_T7_T9_mT8_P12ihipStream_tbDpT10_ENKUlT_T0_E_clISt17integral_constantIbLb1EES1E_EEDaS19_S1A_EUlS19_E_NS1_11comp_targetILNS1_3genE0ELNS1_11target_archE4294967295ELNS1_3gpuE0ELNS1_3repE0EEENS1_30default_config_static_selectorELNS0_4arch9wavefront6targetE1EEEvT1_,comdat
	.globl	_ZN7rocprim17ROCPRIM_400000_NS6detail17trampoline_kernelINS0_14default_configENS1_25partition_config_selectorILNS1_17partition_subalgoE8ElNS0_10empty_typeEbEEZZNS1_14partition_implILS5_8ELb0ES3_jPlPS6_PKS6_NS0_5tupleIJS9_S6_EEENSD_IJSA_SA_EEENS0_18inequality_wrapperIZN2at6native12_GLOBAL__N_124unique_dim_cuda_templateIN3c108BFloat16EEESt5tupleIJNSH_6TensorESO_SO_EERKSO_lbbbEUlllE0_EEPmJS6_EEE10hipError_tPvRmT3_T4_T5_T6_T7_T9_mT8_P12ihipStream_tbDpT10_ENKUlT_T0_E_clISt17integral_constantIbLb1EES1E_EEDaS19_S1A_EUlS19_E_NS1_11comp_targetILNS1_3genE0ELNS1_11target_archE4294967295ELNS1_3gpuE0ELNS1_3repE0EEENS1_30default_config_static_selectorELNS0_4arch9wavefront6targetE1EEEvT1_ ; -- Begin function _ZN7rocprim17ROCPRIM_400000_NS6detail17trampoline_kernelINS0_14default_configENS1_25partition_config_selectorILNS1_17partition_subalgoE8ElNS0_10empty_typeEbEEZZNS1_14partition_implILS5_8ELb0ES3_jPlPS6_PKS6_NS0_5tupleIJS9_S6_EEENSD_IJSA_SA_EEENS0_18inequality_wrapperIZN2at6native12_GLOBAL__N_124unique_dim_cuda_templateIN3c108BFloat16EEESt5tupleIJNSH_6TensorESO_SO_EERKSO_lbbbEUlllE0_EEPmJS6_EEE10hipError_tPvRmT3_T4_T5_T6_T7_T9_mT8_P12ihipStream_tbDpT10_ENKUlT_T0_E_clISt17integral_constantIbLb1EES1E_EEDaS19_S1A_EUlS19_E_NS1_11comp_targetILNS1_3genE0ELNS1_11target_archE4294967295ELNS1_3gpuE0ELNS1_3repE0EEENS1_30default_config_static_selectorELNS0_4arch9wavefront6targetE1EEEvT1_
	.p2align	8
	.type	_ZN7rocprim17ROCPRIM_400000_NS6detail17trampoline_kernelINS0_14default_configENS1_25partition_config_selectorILNS1_17partition_subalgoE8ElNS0_10empty_typeEbEEZZNS1_14partition_implILS5_8ELb0ES3_jPlPS6_PKS6_NS0_5tupleIJS9_S6_EEENSD_IJSA_SA_EEENS0_18inequality_wrapperIZN2at6native12_GLOBAL__N_124unique_dim_cuda_templateIN3c108BFloat16EEESt5tupleIJNSH_6TensorESO_SO_EERKSO_lbbbEUlllE0_EEPmJS6_EEE10hipError_tPvRmT3_T4_T5_T6_T7_T9_mT8_P12ihipStream_tbDpT10_ENKUlT_T0_E_clISt17integral_constantIbLb1EES1E_EEDaS19_S1A_EUlS19_E_NS1_11comp_targetILNS1_3genE0ELNS1_11target_archE4294967295ELNS1_3gpuE0ELNS1_3repE0EEENS1_30default_config_static_selectorELNS0_4arch9wavefront6targetE1EEEvT1_,@function
_ZN7rocprim17ROCPRIM_400000_NS6detail17trampoline_kernelINS0_14default_configENS1_25partition_config_selectorILNS1_17partition_subalgoE8ElNS0_10empty_typeEbEEZZNS1_14partition_implILS5_8ELb0ES3_jPlPS6_PKS6_NS0_5tupleIJS9_S6_EEENSD_IJSA_SA_EEENS0_18inequality_wrapperIZN2at6native12_GLOBAL__N_124unique_dim_cuda_templateIN3c108BFloat16EEESt5tupleIJNSH_6TensorESO_SO_EERKSO_lbbbEUlllE0_EEPmJS6_EEE10hipError_tPvRmT3_T4_T5_T6_T7_T9_mT8_P12ihipStream_tbDpT10_ENKUlT_T0_E_clISt17integral_constantIbLb1EES1E_EEDaS19_S1A_EUlS19_E_NS1_11comp_targetILNS1_3genE0ELNS1_11target_archE4294967295ELNS1_3gpuE0ELNS1_3repE0EEENS1_30default_config_static_selectorELNS0_4arch9wavefront6targetE1EEEvT1_: ; @_ZN7rocprim17ROCPRIM_400000_NS6detail17trampoline_kernelINS0_14default_configENS1_25partition_config_selectorILNS1_17partition_subalgoE8ElNS0_10empty_typeEbEEZZNS1_14partition_implILS5_8ELb0ES3_jPlPS6_PKS6_NS0_5tupleIJS9_S6_EEENSD_IJSA_SA_EEENS0_18inequality_wrapperIZN2at6native12_GLOBAL__N_124unique_dim_cuda_templateIN3c108BFloat16EEESt5tupleIJNSH_6TensorESO_SO_EERKSO_lbbbEUlllE0_EEPmJS6_EEE10hipError_tPvRmT3_T4_T5_T6_T7_T9_mT8_P12ihipStream_tbDpT10_ENKUlT_T0_E_clISt17integral_constantIbLb1EES1E_EEDaS19_S1A_EUlS19_E_NS1_11comp_targetILNS1_3genE0ELNS1_11target_archE4294967295ELNS1_3gpuE0ELNS1_3repE0EEENS1_30default_config_static_selectorELNS0_4arch9wavefront6targetE1EEEvT1_
; %bb.0:
	.section	.rodata,"a",@progbits
	.p2align	6, 0x0
	.amdhsa_kernel _ZN7rocprim17ROCPRIM_400000_NS6detail17trampoline_kernelINS0_14default_configENS1_25partition_config_selectorILNS1_17partition_subalgoE8ElNS0_10empty_typeEbEEZZNS1_14partition_implILS5_8ELb0ES3_jPlPS6_PKS6_NS0_5tupleIJS9_S6_EEENSD_IJSA_SA_EEENS0_18inequality_wrapperIZN2at6native12_GLOBAL__N_124unique_dim_cuda_templateIN3c108BFloat16EEESt5tupleIJNSH_6TensorESO_SO_EERKSO_lbbbEUlllE0_EEPmJS6_EEE10hipError_tPvRmT3_T4_T5_T6_T7_T9_mT8_P12ihipStream_tbDpT10_ENKUlT_T0_E_clISt17integral_constantIbLb1EES1E_EEDaS19_S1A_EUlS19_E_NS1_11comp_targetILNS1_3genE0ELNS1_11target_archE4294967295ELNS1_3gpuE0ELNS1_3repE0EEENS1_30default_config_static_selectorELNS0_4arch9wavefront6targetE1EEEvT1_
		.amdhsa_group_segment_fixed_size 0
		.amdhsa_private_segment_fixed_size 0
		.amdhsa_kernarg_size 136
		.amdhsa_user_sgpr_count 2
		.amdhsa_user_sgpr_dispatch_ptr 0
		.amdhsa_user_sgpr_queue_ptr 0
		.amdhsa_user_sgpr_kernarg_segment_ptr 1
		.amdhsa_user_sgpr_dispatch_id 0
		.amdhsa_user_sgpr_kernarg_preload_length 0
		.amdhsa_user_sgpr_kernarg_preload_offset 0
		.amdhsa_user_sgpr_private_segment_size 0
		.amdhsa_uses_dynamic_stack 0
		.amdhsa_enable_private_segment 0
		.amdhsa_system_sgpr_workgroup_id_x 1
		.amdhsa_system_sgpr_workgroup_id_y 0
		.amdhsa_system_sgpr_workgroup_id_z 0
		.amdhsa_system_sgpr_workgroup_info 0
		.amdhsa_system_vgpr_workitem_id 0
		.amdhsa_next_free_vgpr 1
		.amdhsa_next_free_sgpr 0
		.amdhsa_accum_offset 4
		.amdhsa_reserve_vcc 0
		.amdhsa_float_round_mode_32 0
		.amdhsa_float_round_mode_16_64 0
		.amdhsa_float_denorm_mode_32 3
		.amdhsa_float_denorm_mode_16_64 3
		.amdhsa_dx10_clamp 1
		.amdhsa_ieee_mode 1
		.amdhsa_fp16_overflow 0
		.amdhsa_tg_split 0
		.amdhsa_exception_fp_ieee_invalid_op 0
		.amdhsa_exception_fp_denorm_src 0
		.amdhsa_exception_fp_ieee_div_zero 0
		.amdhsa_exception_fp_ieee_overflow 0
		.amdhsa_exception_fp_ieee_underflow 0
		.amdhsa_exception_fp_ieee_inexact 0
		.amdhsa_exception_int_div_zero 0
	.end_amdhsa_kernel
	.section	.text._ZN7rocprim17ROCPRIM_400000_NS6detail17trampoline_kernelINS0_14default_configENS1_25partition_config_selectorILNS1_17partition_subalgoE8ElNS0_10empty_typeEbEEZZNS1_14partition_implILS5_8ELb0ES3_jPlPS6_PKS6_NS0_5tupleIJS9_S6_EEENSD_IJSA_SA_EEENS0_18inequality_wrapperIZN2at6native12_GLOBAL__N_124unique_dim_cuda_templateIN3c108BFloat16EEESt5tupleIJNSH_6TensorESO_SO_EERKSO_lbbbEUlllE0_EEPmJS6_EEE10hipError_tPvRmT3_T4_T5_T6_T7_T9_mT8_P12ihipStream_tbDpT10_ENKUlT_T0_E_clISt17integral_constantIbLb1EES1E_EEDaS19_S1A_EUlS19_E_NS1_11comp_targetILNS1_3genE0ELNS1_11target_archE4294967295ELNS1_3gpuE0ELNS1_3repE0EEENS1_30default_config_static_selectorELNS0_4arch9wavefront6targetE1EEEvT1_,"axG",@progbits,_ZN7rocprim17ROCPRIM_400000_NS6detail17trampoline_kernelINS0_14default_configENS1_25partition_config_selectorILNS1_17partition_subalgoE8ElNS0_10empty_typeEbEEZZNS1_14partition_implILS5_8ELb0ES3_jPlPS6_PKS6_NS0_5tupleIJS9_S6_EEENSD_IJSA_SA_EEENS0_18inequality_wrapperIZN2at6native12_GLOBAL__N_124unique_dim_cuda_templateIN3c108BFloat16EEESt5tupleIJNSH_6TensorESO_SO_EERKSO_lbbbEUlllE0_EEPmJS6_EEE10hipError_tPvRmT3_T4_T5_T6_T7_T9_mT8_P12ihipStream_tbDpT10_ENKUlT_T0_E_clISt17integral_constantIbLb1EES1E_EEDaS19_S1A_EUlS19_E_NS1_11comp_targetILNS1_3genE0ELNS1_11target_archE4294967295ELNS1_3gpuE0ELNS1_3repE0EEENS1_30default_config_static_selectorELNS0_4arch9wavefront6targetE1EEEvT1_,comdat
.Lfunc_end1190:
	.size	_ZN7rocprim17ROCPRIM_400000_NS6detail17trampoline_kernelINS0_14default_configENS1_25partition_config_selectorILNS1_17partition_subalgoE8ElNS0_10empty_typeEbEEZZNS1_14partition_implILS5_8ELb0ES3_jPlPS6_PKS6_NS0_5tupleIJS9_S6_EEENSD_IJSA_SA_EEENS0_18inequality_wrapperIZN2at6native12_GLOBAL__N_124unique_dim_cuda_templateIN3c108BFloat16EEESt5tupleIJNSH_6TensorESO_SO_EERKSO_lbbbEUlllE0_EEPmJS6_EEE10hipError_tPvRmT3_T4_T5_T6_T7_T9_mT8_P12ihipStream_tbDpT10_ENKUlT_T0_E_clISt17integral_constantIbLb1EES1E_EEDaS19_S1A_EUlS19_E_NS1_11comp_targetILNS1_3genE0ELNS1_11target_archE4294967295ELNS1_3gpuE0ELNS1_3repE0EEENS1_30default_config_static_selectorELNS0_4arch9wavefront6targetE1EEEvT1_, .Lfunc_end1190-_ZN7rocprim17ROCPRIM_400000_NS6detail17trampoline_kernelINS0_14default_configENS1_25partition_config_selectorILNS1_17partition_subalgoE8ElNS0_10empty_typeEbEEZZNS1_14partition_implILS5_8ELb0ES3_jPlPS6_PKS6_NS0_5tupleIJS9_S6_EEENSD_IJSA_SA_EEENS0_18inequality_wrapperIZN2at6native12_GLOBAL__N_124unique_dim_cuda_templateIN3c108BFloat16EEESt5tupleIJNSH_6TensorESO_SO_EERKSO_lbbbEUlllE0_EEPmJS6_EEE10hipError_tPvRmT3_T4_T5_T6_T7_T9_mT8_P12ihipStream_tbDpT10_ENKUlT_T0_E_clISt17integral_constantIbLb1EES1E_EEDaS19_S1A_EUlS19_E_NS1_11comp_targetILNS1_3genE0ELNS1_11target_archE4294967295ELNS1_3gpuE0ELNS1_3repE0EEENS1_30default_config_static_selectorELNS0_4arch9wavefront6targetE1EEEvT1_
                                        ; -- End function
	.section	.AMDGPU.csdata,"",@progbits
; Kernel info:
; codeLenInByte = 0
; NumSgprs: 6
; NumVgprs: 0
; NumAgprs: 0
; TotalNumVgprs: 0
; ScratchSize: 0
; MemoryBound: 0
; FloatMode: 240
; IeeeMode: 1
; LDSByteSize: 0 bytes/workgroup (compile time only)
; SGPRBlocks: 0
; VGPRBlocks: 0
; NumSGPRsForWavesPerEU: 6
; NumVGPRsForWavesPerEU: 1
; AccumOffset: 4
; Occupancy: 8
; WaveLimiterHint : 0
; COMPUTE_PGM_RSRC2:SCRATCH_EN: 0
; COMPUTE_PGM_RSRC2:USER_SGPR: 2
; COMPUTE_PGM_RSRC2:TRAP_HANDLER: 0
; COMPUTE_PGM_RSRC2:TGID_X_EN: 1
; COMPUTE_PGM_RSRC2:TGID_Y_EN: 0
; COMPUTE_PGM_RSRC2:TGID_Z_EN: 0
; COMPUTE_PGM_RSRC2:TIDIG_COMP_CNT: 0
; COMPUTE_PGM_RSRC3_GFX90A:ACCUM_OFFSET: 0
; COMPUTE_PGM_RSRC3_GFX90A:TG_SPLIT: 0
	.section	.text._ZN7rocprim17ROCPRIM_400000_NS6detail17trampoline_kernelINS0_14default_configENS1_25partition_config_selectorILNS1_17partition_subalgoE8ElNS0_10empty_typeEbEEZZNS1_14partition_implILS5_8ELb0ES3_jPlPS6_PKS6_NS0_5tupleIJS9_S6_EEENSD_IJSA_SA_EEENS0_18inequality_wrapperIZN2at6native12_GLOBAL__N_124unique_dim_cuda_templateIN3c108BFloat16EEESt5tupleIJNSH_6TensorESO_SO_EERKSO_lbbbEUlllE0_EEPmJS6_EEE10hipError_tPvRmT3_T4_T5_T6_T7_T9_mT8_P12ihipStream_tbDpT10_ENKUlT_T0_E_clISt17integral_constantIbLb1EES1E_EEDaS19_S1A_EUlS19_E_NS1_11comp_targetILNS1_3genE5ELNS1_11target_archE942ELNS1_3gpuE9ELNS1_3repE0EEENS1_30default_config_static_selectorELNS0_4arch9wavefront6targetE1EEEvT1_,"axG",@progbits,_ZN7rocprim17ROCPRIM_400000_NS6detail17trampoline_kernelINS0_14default_configENS1_25partition_config_selectorILNS1_17partition_subalgoE8ElNS0_10empty_typeEbEEZZNS1_14partition_implILS5_8ELb0ES3_jPlPS6_PKS6_NS0_5tupleIJS9_S6_EEENSD_IJSA_SA_EEENS0_18inequality_wrapperIZN2at6native12_GLOBAL__N_124unique_dim_cuda_templateIN3c108BFloat16EEESt5tupleIJNSH_6TensorESO_SO_EERKSO_lbbbEUlllE0_EEPmJS6_EEE10hipError_tPvRmT3_T4_T5_T6_T7_T9_mT8_P12ihipStream_tbDpT10_ENKUlT_T0_E_clISt17integral_constantIbLb1EES1E_EEDaS19_S1A_EUlS19_E_NS1_11comp_targetILNS1_3genE5ELNS1_11target_archE942ELNS1_3gpuE9ELNS1_3repE0EEENS1_30default_config_static_selectorELNS0_4arch9wavefront6targetE1EEEvT1_,comdat
	.globl	_ZN7rocprim17ROCPRIM_400000_NS6detail17trampoline_kernelINS0_14default_configENS1_25partition_config_selectorILNS1_17partition_subalgoE8ElNS0_10empty_typeEbEEZZNS1_14partition_implILS5_8ELb0ES3_jPlPS6_PKS6_NS0_5tupleIJS9_S6_EEENSD_IJSA_SA_EEENS0_18inequality_wrapperIZN2at6native12_GLOBAL__N_124unique_dim_cuda_templateIN3c108BFloat16EEESt5tupleIJNSH_6TensorESO_SO_EERKSO_lbbbEUlllE0_EEPmJS6_EEE10hipError_tPvRmT3_T4_T5_T6_T7_T9_mT8_P12ihipStream_tbDpT10_ENKUlT_T0_E_clISt17integral_constantIbLb1EES1E_EEDaS19_S1A_EUlS19_E_NS1_11comp_targetILNS1_3genE5ELNS1_11target_archE942ELNS1_3gpuE9ELNS1_3repE0EEENS1_30default_config_static_selectorELNS0_4arch9wavefront6targetE1EEEvT1_ ; -- Begin function _ZN7rocprim17ROCPRIM_400000_NS6detail17trampoline_kernelINS0_14default_configENS1_25partition_config_selectorILNS1_17partition_subalgoE8ElNS0_10empty_typeEbEEZZNS1_14partition_implILS5_8ELb0ES3_jPlPS6_PKS6_NS0_5tupleIJS9_S6_EEENSD_IJSA_SA_EEENS0_18inequality_wrapperIZN2at6native12_GLOBAL__N_124unique_dim_cuda_templateIN3c108BFloat16EEESt5tupleIJNSH_6TensorESO_SO_EERKSO_lbbbEUlllE0_EEPmJS6_EEE10hipError_tPvRmT3_T4_T5_T6_T7_T9_mT8_P12ihipStream_tbDpT10_ENKUlT_T0_E_clISt17integral_constantIbLb1EES1E_EEDaS19_S1A_EUlS19_E_NS1_11comp_targetILNS1_3genE5ELNS1_11target_archE942ELNS1_3gpuE9ELNS1_3repE0EEENS1_30default_config_static_selectorELNS0_4arch9wavefront6targetE1EEEvT1_
	.p2align	8
	.type	_ZN7rocprim17ROCPRIM_400000_NS6detail17trampoline_kernelINS0_14default_configENS1_25partition_config_selectorILNS1_17partition_subalgoE8ElNS0_10empty_typeEbEEZZNS1_14partition_implILS5_8ELb0ES3_jPlPS6_PKS6_NS0_5tupleIJS9_S6_EEENSD_IJSA_SA_EEENS0_18inequality_wrapperIZN2at6native12_GLOBAL__N_124unique_dim_cuda_templateIN3c108BFloat16EEESt5tupleIJNSH_6TensorESO_SO_EERKSO_lbbbEUlllE0_EEPmJS6_EEE10hipError_tPvRmT3_T4_T5_T6_T7_T9_mT8_P12ihipStream_tbDpT10_ENKUlT_T0_E_clISt17integral_constantIbLb1EES1E_EEDaS19_S1A_EUlS19_E_NS1_11comp_targetILNS1_3genE5ELNS1_11target_archE942ELNS1_3gpuE9ELNS1_3repE0EEENS1_30default_config_static_selectorELNS0_4arch9wavefront6targetE1EEEvT1_,@function
_ZN7rocprim17ROCPRIM_400000_NS6detail17trampoline_kernelINS0_14default_configENS1_25partition_config_selectorILNS1_17partition_subalgoE8ElNS0_10empty_typeEbEEZZNS1_14partition_implILS5_8ELb0ES3_jPlPS6_PKS6_NS0_5tupleIJS9_S6_EEENSD_IJSA_SA_EEENS0_18inequality_wrapperIZN2at6native12_GLOBAL__N_124unique_dim_cuda_templateIN3c108BFloat16EEESt5tupleIJNSH_6TensorESO_SO_EERKSO_lbbbEUlllE0_EEPmJS6_EEE10hipError_tPvRmT3_T4_T5_T6_T7_T9_mT8_P12ihipStream_tbDpT10_ENKUlT_T0_E_clISt17integral_constantIbLb1EES1E_EEDaS19_S1A_EUlS19_E_NS1_11comp_targetILNS1_3genE5ELNS1_11target_archE942ELNS1_3gpuE9ELNS1_3repE0EEENS1_30default_config_static_selectorELNS0_4arch9wavefront6targetE1EEEvT1_: ; @_ZN7rocprim17ROCPRIM_400000_NS6detail17trampoline_kernelINS0_14default_configENS1_25partition_config_selectorILNS1_17partition_subalgoE8ElNS0_10empty_typeEbEEZZNS1_14partition_implILS5_8ELb0ES3_jPlPS6_PKS6_NS0_5tupleIJS9_S6_EEENSD_IJSA_SA_EEENS0_18inequality_wrapperIZN2at6native12_GLOBAL__N_124unique_dim_cuda_templateIN3c108BFloat16EEESt5tupleIJNSH_6TensorESO_SO_EERKSO_lbbbEUlllE0_EEPmJS6_EEE10hipError_tPvRmT3_T4_T5_T6_T7_T9_mT8_P12ihipStream_tbDpT10_ENKUlT_T0_E_clISt17integral_constantIbLb1EES1E_EEDaS19_S1A_EUlS19_E_NS1_11comp_targetILNS1_3genE5ELNS1_11target_archE942ELNS1_3gpuE9ELNS1_3repE0EEENS1_30default_config_static_selectorELNS0_4arch9wavefront6targetE1EEEvT1_
; %bb.0:
	s_load_dwordx2 s[34:35], s[0:1], 0x28
	s_load_dwordx8 s[20:27], s[0:1], 0x40
	s_load_dwordx4 s[28:31], s[0:1], 0x60
	v_cmp_ne_u32_e64 s[2:3], 0, v0
	v_cmp_eq_u32_e64 s[18:19], 0, v0
	s_and_saveexec_b64 s[4:5], s[18:19]
	s_cbranch_execz .LBB1191_4
; %bb.1:
	s_mov_b64 s[8:9], exec
	v_mbcnt_lo_u32_b32 v1, s8, 0
	v_mbcnt_hi_u32_b32 v1, s9, v1
	v_cmp_eq_u32_e32 vcc, 0, v1
                                        ; implicit-def: $vgpr2
	s_and_saveexec_b64 s[6:7], vcc
	s_cbranch_execz .LBB1191_3
; %bb.2:
	s_load_dwordx2 s[10:11], s[0:1], 0x78
	s_bcnt1_i32_b64 s8, s[8:9]
	v_mov_b32_e32 v2, 0
	v_mov_b32_e32 v3, s8
	s_waitcnt lgkmcnt(0)
	global_atomic_add v2, v2, v3, s[10:11] sc0
.LBB1191_3:
	s_or_b64 exec, exec, s[6:7]
	s_waitcnt vmcnt(0)
	v_readfirstlane_b32 s6, v2
	v_mov_b32_e32 v2, 0
	s_nop 0
	v_add_u32_e32 v1, s6, v1
	ds_write_b32 v2, v1
.LBB1191_4:
	s_or_b64 exec, exec, s[4:5]
	v_mov_b32_e32 v3, 0
	s_load_dwordx4 s[4:7], s[0:1], 0x8
	s_load_dword s10, s[0:1], 0x70
	s_waitcnt lgkmcnt(0)
	s_barrier
	ds_read_b32 v1, v3
	s_waitcnt lgkmcnt(0)
	s_barrier
	global_load_dwordx2 v[4:5], v3, s[22:23]
	s_lshl_b64 s[0:1], s[6:7], 3
	s_mul_i32 s12, s10, 0xe00
	s_add_u32 s0, s4, s0
	s_addc_u32 s1, s5, s1
	s_add_i32 s4, s12, s6
	s_add_i32 s10, s10, -1
	s_sub_i32 s52, s24, s4
	s_add_u32 s4, s6, s12
	s_movk_i32 s11, 0xe00
	s_addc_u32 s5, s7, 0
	v_readfirstlane_b32 s33, v1
	v_mov_b32_e32 v6, s24
	v_mov_b32_e32 v7, s25
	v_mul_lo_u32 v2, v1, s11
	s_cmp_eq_u32 s33, s10
	v_cmp_ge_u64_e32 vcc, s[4:5], v[6:7]
	v_lshlrev_b64 v[6:7], 3, v[2:3]
	s_cselect_b64 s[24:25], -1, 0
	v_lshl_add_u64 v[18:19], s[0:1], 0, v[6:7]
	s_and_b64 s[0:1], vcc, s[24:25]
	s_xor_b64 s[36:37], s[0:1], -1
	s_mov_b64 s[8:9], -1
	s_and_b64 vcc, exec, s[36:37]
	s_waitcnt vmcnt(0)
	v_readfirstlane_b32 s22, v4
	v_readfirstlane_b32 s23, v5
	s_cbranch_vccz .LBB1191_6
; %bb.5:
	v_lshlrev_b32_e32 v2, 3, v0
	v_lshl_add_u64 v[4:5], v[18:19], 0, v[2:3]
	v_add_co_u32_e32 v8, vcc, 0x1000, v4
	v_readfirstlane_b32 s4, v18
	s_nop 0
	v_addc_co_u32_e32 v9, vcc, 0, v5, vcc
	v_add_co_u32_e32 v10, vcc, 0x2000, v4
	v_readfirstlane_b32 s5, v19
	s_nop 0
	v_addc_co_u32_e32 v11, vcc, 0, v5, vcc
	v_add_co_u32_e32 v12, vcc, 0x3000, v4
	s_mov_b64 s[8:9], 0
	s_nop 0
	v_addc_co_u32_e32 v13, vcc, 0, v5, vcc
	v_add_co_u32_e32 v14, vcc, 0x4000, v4
	global_load_dwordx2 v[6:7], v2, s[4:5]
	s_nop 0
	v_addc_co_u32_e32 v15, vcc, 0, v5, vcc
	global_load_dwordx2 v[16:17], v[8:9], off
	global_load_dwordx2 v[20:21], v[10:11], off
	;; [unrolled: 1-line block ×4, first 2 shown]
	v_add_co_u32_e32 v8, vcc, 0x5000, v4
	s_nop 1
	v_addc_co_u32_e32 v9, vcc, 0, v5, vcc
	v_add_co_u32_e32 v4, vcc, 0x6000, v4
	global_load_dwordx2 v[8:9], v[8:9], off
	s_nop 0
	v_addc_co_u32_e32 v5, vcc, 0, v5, vcc
	global_load_dwordx2 v[4:5], v[4:5], off
	s_waitcnt vmcnt(5)
	ds_write2st64_b64 v2, v[6:7], v[16:17] offset1:8
	s_waitcnt vmcnt(3)
	ds_write2st64_b64 v2, v[20:21], v[22:23] offset0:16 offset1:24
	s_waitcnt vmcnt(1)
	ds_write2st64_b64 v2, v[24:25], v[8:9] offset0:32 offset1:40
	s_waitcnt vmcnt(0)
	ds_write_b64 v2, v[4:5] offset:24576
	s_waitcnt lgkmcnt(0)
	s_barrier
.LBB1191_6:
	s_andn2_b64 vcc, exec, s[8:9]
	s_addk_i32 s52, 0xe00
	s_cbranch_vccnz .LBB1191_22
; %bb.7:
	v_cmp_gt_u32_e32 vcc, s52, v0
                                        ; implicit-def: $vgpr2_vgpr3_vgpr4_vgpr5_vgpr6_vgpr7_vgpr8_vgpr9_vgpr10_vgpr11_vgpr12_vgpr13_vgpr14_vgpr15_vgpr16_vgpr17
	s_and_saveexec_b64 s[4:5], vcc
	s_cbranch_execz .LBB1191_9
; %bb.8:
	v_lshlrev_b32_e32 v1, 3, v0
	v_readfirstlane_b32 s8, v18
	v_readfirstlane_b32 s9, v19
	s_nop 4
	global_load_dwordx2 v[2:3], v1, s[8:9]
.LBB1191_9:
	s_or_b64 exec, exec, s[4:5]
	v_or_b32_e32 v1, 0x200, v0
	v_cmp_gt_u32_e32 vcc, s52, v1
	s_and_saveexec_b64 s[4:5], vcc
	s_cbranch_execz .LBB1191_11
; %bb.10:
	v_lshlrev_b32_e32 v1, 3, v1
	v_readfirstlane_b32 s8, v18
	v_readfirstlane_b32 s9, v19
	s_nop 4
	global_load_dwordx2 v[4:5], v1, s[8:9]
.LBB1191_11:
	s_or_b64 exec, exec, s[4:5]
	v_or_b32_e32 v1, 0x400, v0
	v_cmp_gt_u32_e32 vcc, s52, v1
	s_and_saveexec_b64 s[4:5], vcc
	s_cbranch_execz .LBB1191_13
; %bb.12:
	v_lshlrev_b32_e32 v1, 3, v1
	v_readfirstlane_b32 s8, v18
	v_readfirstlane_b32 s9, v19
	s_nop 4
	global_load_dwordx2 v[6:7], v1, s[8:9]
.LBB1191_13:
	s_or_b64 exec, exec, s[4:5]
	v_or_b32_e32 v1, 0x600, v0
	v_cmp_gt_u32_e32 vcc, s52, v1
	s_and_saveexec_b64 s[4:5], vcc
	s_cbranch_execz .LBB1191_15
; %bb.14:
	v_lshlrev_b32_e32 v1, 3, v1
	v_readfirstlane_b32 s8, v18
	v_readfirstlane_b32 s9, v19
	s_nop 4
	global_load_dwordx2 v[8:9], v1, s[8:9]
.LBB1191_15:
	s_or_b64 exec, exec, s[4:5]
	v_or_b32_e32 v1, 0x800, v0
	v_cmp_gt_u32_e32 vcc, s52, v1
	s_and_saveexec_b64 s[4:5], vcc
	s_cbranch_execz .LBB1191_17
; %bb.16:
	v_lshlrev_b32_e32 v1, 3, v1
	v_readfirstlane_b32 s8, v18
	v_readfirstlane_b32 s9, v19
	s_nop 4
	global_load_dwordx2 v[10:11], v1, s[8:9]
.LBB1191_17:
	s_or_b64 exec, exec, s[4:5]
	v_or_b32_e32 v1, 0xa00, v0
	v_cmp_gt_u32_e32 vcc, s52, v1
	s_and_saveexec_b64 s[4:5], vcc
	s_cbranch_execz .LBB1191_19
; %bb.18:
	v_lshlrev_b32_e32 v1, 3, v1
	v_readfirstlane_b32 s8, v18
	v_readfirstlane_b32 s9, v19
	s_nop 4
	global_load_dwordx2 v[12:13], v1, s[8:9]
.LBB1191_19:
	s_or_b64 exec, exec, s[4:5]
	v_or_b32_e32 v1, 0xc00, v0
	v_cmp_gt_u32_e32 vcc, s52, v1
	s_and_saveexec_b64 s[4:5], vcc
	s_cbranch_execz .LBB1191_21
; %bb.20:
	v_lshlrev_b32_e32 v1, 3, v1
	v_readfirstlane_b32 s8, v18
	v_readfirstlane_b32 s9, v19
	s_nop 4
	global_load_dwordx2 v[14:15], v1, s[8:9]
.LBB1191_21:
	s_or_b64 exec, exec, s[4:5]
	v_lshlrev_b32_e32 v1, 3, v0
	s_waitcnt vmcnt(0)
	ds_write2st64_b64 v1, v[2:3], v[4:5] offset1:8
	ds_write2st64_b64 v1, v[6:7], v[8:9] offset0:16 offset1:24
	ds_write2st64_b64 v1, v[10:11], v[12:13] offset0:32 offset1:40
	ds_write_b64 v1, v[14:15] offset:24576
	s_waitcnt lgkmcnt(0)
	s_barrier
.LBB1191_22:
	v_mul_u32_u24_e32 v1, 7, v0
	v_lshlrev_b32_e32 v32, 3, v1
	ds_read2_b64 v[10:13], v32 offset1:1
	ds_read2_b64 v[6:9], v32 offset0:2 offset1:3
	ds_read2_b64 v[2:5], v32 offset0:4 offset1:5
	ds_read_b64 v[14:15], v32 offset:48
	s_cmp_lg_u32 s33, 0
	s_cselect_b64 s[16:17], -1, 0
	s_cmp_lg_u64 s[6:7], 0
	s_cselect_b64 s[4:5], -1, 0
	s_or_b64 s[4:5], s[4:5], s[16:17]
	v_mad_u32_u24 v27, v0, 7, 1
	v_mad_u32_u24 v26, v0, 7, 2
	;; [unrolled: 1-line block ×6, first 2 shown]
	s_mov_b64 s[8:9], 0
	s_and_b64 vcc, exec, s[4:5]
	v_cmp_gt_i64_e64 s[4:5], s[26:27], 0
	s_waitcnt lgkmcnt(0)
	s_barrier
	s_cbranch_vccz .LBB1191_31
; %bb.23:
	global_load_dwordx2 v[16:17], v[18:19], off offset:-8
	v_cndmask_b32_e64 v18, 0, 1, s[4:5]
	v_lshlrev_b32_e32 v33, 3, v0
	s_mov_b64 s[6:7], 0
	s_and_b64 vcc, exec, s[36:37]
	v_cmp_ne_u32_e64 s[4:5], 1, v18
	ds_write_b64 v33, v[14:15]
	s_cbranch_vccz .LBB1191_33
; %bb.24:
	v_mul_lo_u32 v20, v5, s26
	v_mul_lo_u32 v21, v4, s27
	v_mad_u64_u32 v[18:19], s[8:9], v4, s26, 0
	v_add3_u32 v19, v19, v21, v20
	s_and_b64 vcc, exec, s[4:5]
	v_lshl_add_u64 v[18:19], v[18:19], 1, s[28:29]
	s_cbranch_vccnz .LBB1191_36
; %bb.25:
	v_mul_lo_u32 v22, v15, s26
	v_mul_lo_u32 v23, v14, s27
	v_mad_u64_u32 v[20:21], s[6:7], v14, s26, 0
	v_add3_u32 v21, v21, v23, v22
	v_lshl_add_u64 v[20:21], v[20:21], 1, s[28:29]
	global_load_ushort v22, v[20:21], off
	global_load_ushort v23, v[18:19], off
	s_mov_b64 s[6:7], -1
	s_waitcnt vmcnt(1)
	v_lshlrev_b32_e32 v22, 16, v22
	s_waitcnt vmcnt(0)
	v_lshlrev_b32_e32 v23, 16, v23
	v_cmp_eq_f32_e32 vcc, v23, v22
	s_and_saveexec_b64 s[8:9], vcc
	s_cbranch_execz .LBB1191_35
; %bb.26:
	s_add_u32 s6, s26, -1
	v_lshl_add_u64 v[20:21], v[20:21], 0, 2
	v_lshl_add_u64 v[22:23], v[18:19], 0, 2
	s_addc_u32 s7, s27, -1
	s_mov_b64 s[10:11], 0
	s_mov_b64 s[14:15], 0
                                        ; implicit-def: $sgpr12_sgpr13
	s_branch .LBB1191_29
.LBB1191_27:                            ;   in Loop: Header=BB1191_29 Depth=1
	global_load_ushort v24, v[20:21], off
	global_load_ushort v25, v[22:23], off
	s_add_u32 s14, s14, 1
	s_addc_u32 s15, s15, 0
	s_andn2_b64 s[12:13], s[12:13], exec
	v_lshl_add_u64 v[20:21], v[20:21], 0, 2
	v_lshl_add_u64 v[22:23], v[22:23], 0, 2
	s_waitcnt vmcnt(1)
	v_lshlrev_b32_e32 v24, 16, v24
	s_waitcnt vmcnt(0)
	v_lshlrev_b32_e32 v25, 16, v25
	v_cmp_neq_f32_e32 vcc, v25, v24
	s_and_b64 s[38:39], vcc, exec
	s_or_b64 s[12:13], s[12:13], s[38:39]
.LBB1191_28:                            ;   in Loop: Header=BB1191_29 Depth=1
	s_and_b64 s[38:39], exec, s[12:13]
	s_or_b64 s[10:11], s[38:39], s[10:11]
	v_mov_b64_e32 v[24:25], s[14:15]
	s_andn2_b64 exec, exec, s[10:11]
	s_cbranch_execz .LBB1191_34
.LBB1191_29:                            ; =>This Inner Loop Header: Depth=1
	s_or_b64 s[12:13], s[12:13], exec
	s_cmp_eq_u64 s[6:7], s[14:15]
	s_cbranch_scc0 .LBB1191_27
; %bb.30:                               ;   in Loop: Header=BB1191_29 Depth=1
                                        ; implicit-def: $vgpr20_vgpr21
                                        ; implicit-def: $vgpr22_vgpr23
	s_mov_b64 s[14:15], s[26:27]
	s_branch .LBB1191_28
.LBB1191_31:
                                        ; implicit-def: $sgpr12_sgpr13
                                        ; implicit-def: $vgpr35
                                        ; implicit-def: $vgpr34
                                        ; implicit-def: $vgpr25
                                        ; implicit-def: $vgpr20
	s_branch .LBB1191_174
.LBB1191_32:
                                        ; implicit-def: $vgpr16_vgpr17
	s_branch .LBB1191_322
.LBB1191_33:
                                        ; implicit-def: $sgpr12_sgpr13
                                        ; implicit-def: $vgpr35
                                        ; implicit-def: $vgpr34
                                        ; implicit-def: $vgpr25
                                        ; implicit-def: $vgpr20
	s_cbranch_execnz .LBB1191_93
	s_branch .LBB1191_173
.LBB1191_34:
	s_or_b64 exec, exec, s[10:11]
	v_cmp_gt_i64_e32 vcc, s[26:27], v[24:25]
	s_orn2_b64 s[6:7], vcc, exec
.LBB1191_35:
	s_or_b64 exec, exec, s[8:9]
.LBB1191_36:
	v_mul_lo_u32 v22, v3, s26
	v_mul_lo_u32 v23, v2, s27
	v_mad_u64_u32 v[20:21], s[8:9], v2, s26, 0
	v_add3_u32 v21, v21, v23, v22
	s_mov_b64 s[8:9], 0
	s_and_b64 vcc, exec, s[4:5]
	v_lshl_add_u64 v[20:21], v[20:21], 1, s[28:29]
	s_mov_b64 s[10:11], 0
	s_cbranch_vccnz .LBB1191_45
; %bb.37:
	global_load_ushort v22, v[18:19], off
	global_load_ushort v23, v[20:21], off
	s_mov_b64 s[10:11], -1
	s_waitcnt vmcnt(1)
	v_lshlrev_b32_e32 v22, 16, v22
	s_waitcnt vmcnt(0)
	v_lshlrev_b32_e32 v23, 16, v23
	v_cmp_eq_f32_e32 vcc, v23, v22
	s_and_saveexec_b64 s[12:13], vcc
	s_cbranch_execz .LBB1191_44
; %bb.38:
	s_add_u32 s10, s26, -1
	v_lshl_add_u64 v[18:19], v[18:19], 0, 2
	v_lshl_add_u64 v[22:23], v[20:21], 0, 2
	s_addc_u32 s11, s27, -1
	s_mov_b64 s[14:15], 0
	s_mov_b64 s[40:41], 0
                                        ; implicit-def: $sgpr38_sgpr39
	s_branch .LBB1191_41
.LBB1191_39:                            ;   in Loop: Header=BB1191_41 Depth=1
	global_load_ushort v24, v[18:19], off
	global_load_ushort v25, v[22:23], off
	s_add_u32 s40, s40, 1
	s_addc_u32 s41, s41, 0
	s_andn2_b64 s[38:39], s[38:39], exec
	v_lshl_add_u64 v[18:19], v[18:19], 0, 2
	v_lshl_add_u64 v[22:23], v[22:23], 0, 2
	s_waitcnt vmcnt(1)
	v_lshlrev_b32_e32 v24, 16, v24
	s_waitcnt vmcnt(0)
	v_lshlrev_b32_e32 v25, 16, v25
	v_cmp_neq_f32_e32 vcc, v25, v24
	s_and_b64 s[42:43], vcc, exec
	s_or_b64 s[38:39], s[38:39], s[42:43]
.LBB1191_40:                            ;   in Loop: Header=BB1191_41 Depth=1
	s_and_b64 s[42:43], exec, s[38:39]
	s_or_b64 s[14:15], s[42:43], s[14:15]
	v_mov_b64_e32 v[24:25], s[40:41]
	s_andn2_b64 exec, exec, s[14:15]
	s_cbranch_execz .LBB1191_43
.LBB1191_41:                            ; =>This Inner Loop Header: Depth=1
	s_or_b64 s[38:39], s[38:39], exec
	s_cmp_eq_u64 s[10:11], s[40:41]
	s_cbranch_scc0 .LBB1191_39
; %bb.42:                               ;   in Loop: Header=BB1191_41 Depth=1
                                        ; implicit-def: $vgpr18_vgpr19
                                        ; implicit-def: $vgpr22_vgpr23
	s_mov_b64 s[40:41], s[26:27]
	s_branch .LBB1191_40
.LBB1191_43:
	s_or_b64 exec, exec, s[14:15]
	v_cmp_gt_i64_e32 vcc, s[26:27], v[24:25]
	s_orn2_b64 s[10:11], vcc, exec
.LBB1191_44:
	s_or_b64 exec, exec, s[12:13]
.LBB1191_45:
	v_mul_lo_u32 v22, v9, s26
	v_mul_lo_u32 v23, v8, s27
	v_mad_u64_u32 v[18:19], s[12:13], v8, s26, 0
	v_add3_u32 v19, v19, v23, v22
	s_and_b64 vcc, exec, s[4:5]
	v_lshl_add_u64 v[18:19], v[18:19], 1, s[28:29]
	s_cbranch_vccnz .LBB1191_54
; %bb.46:
	global_load_ushort v22, v[20:21], off
	global_load_ushort v23, v[18:19], off
	s_mov_b64 s[8:9], -1
	s_waitcnt vmcnt(1)
	v_lshlrev_b32_e32 v22, 16, v22
	s_waitcnt vmcnt(0)
	v_lshlrev_b32_e32 v23, 16, v23
	v_cmp_eq_f32_e32 vcc, v23, v22
	s_and_saveexec_b64 s[12:13], vcc
	s_cbranch_execz .LBB1191_53
; %bb.47:
	s_add_u32 s8, s26, -1
	v_lshl_add_u64 v[20:21], v[20:21], 0, 2
	v_lshl_add_u64 v[22:23], v[18:19], 0, 2
	s_addc_u32 s9, s27, -1
	s_mov_b64 s[14:15], 0
	s_mov_b64 s[40:41], 0
                                        ; implicit-def: $sgpr38_sgpr39
	s_branch .LBB1191_50
.LBB1191_48:                            ;   in Loop: Header=BB1191_50 Depth=1
	global_load_ushort v24, v[20:21], off
	global_load_ushort v25, v[22:23], off
	s_add_u32 s40, s40, 1
	s_addc_u32 s41, s41, 0
	s_andn2_b64 s[38:39], s[38:39], exec
	v_lshl_add_u64 v[20:21], v[20:21], 0, 2
	v_lshl_add_u64 v[22:23], v[22:23], 0, 2
	s_waitcnt vmcnt(1)
	v_lshlrev_b32_e32 v24, 16, v24
	s_waitcnt vmcnt(0)
	v_lshlrev_b32_e32 v25, 16, v25
	v_cmp_neq_f32_e32 vcc, v25, v24
	s_and_b64 s[42:43], vcc, exec
	s_or_b64 s[38:39], s[38:39], s[42:43]
.LBB1191_49:                            ;   in Loop: Header=BB1191_50 Depth=1
	s_and_b64 s[42:43], exec, s[38:39]
	s_or_b64 s[14:15], s[42:43], s[14:15]
	v_mov_b64_e32 v[24:25], s[40:41]
	s_andn2_b64 exec, exec, s[14:15]
	s_cbranch_execz .LBB1191_52
.LBB1191_50:                            ; =>This Inner Loop Header: Depth=1
	s_or_b64 s[38:39], s[38:39], exec
	s_cmp_eq_u64 s[8:9], s[40:41]
	s_cbranch_scc0 .LBB1191_48
; %bb.51:                               ;   in Loop: Header=BB1191_50 Depth=1
                                        ; implicit-def: $vgpr20_vgpr21
                                        ; implicit-def: $vgpr22_vgpr23
	s_mov_b64 s[40:41], s[26:27]
	s_branch .LBB1191_49
.LBB1191_52:
	s_or_b64 exec, exec, s[14:15]
	v_cmp_gt_i64_e32 vcc, s[26:27], v[24:25]
	s_orn2_b64 s[8:9], vcc, exec
.LBB1191_53:
	s_or_b64 exec, exec, s[12:13]
.LBB1191_54:
	v_mul_lo_u32 v22, v7, s26
	v_mul_lo_u32 v23, v6, s27
	v_mad_u64_u32 v[20:21], s[12:13], v6, s26, 0
	v_add3_u32 v21, v21, v23, v22
	s_mov_b64 s[12:13], 0
	s_and_b64 vcc, exec, s[4:5]
	v_lshl_add_u64 v[22:23], v[20:21], 1, s[28:29]
	s_mov_b64 s[14:15], 0
	s_cbranch_vccnz .LBB1191_63
; %bb.55:
	global_load_ushort v20, v[18:19], off
	global_load_ushort v21, v[22:23], off
	s_mov_b64 s[14:15], -1
	s_waitcnt vmcnt(1)
	v_lshlrev_b32_e32 v20, 16, v20
	s_waitcnt vmcnt(0)
	v_lshlrev_b32_e32 v21, 16, v21
	v_cmp_eq_f32_e32 vcc, v21, v20
	s_and_saveexec_b64 s[38:39], vcc
	s_cbranch_execz .LBB1191_62
; %bb.56:
	s_add_u32 s14, s26, -1
	v_lshl_add_u64 v[18:19], v[18:19], 0, 2
	v_lshl_add_u64 v[20:21], v[22:23], 0, 2
	s_addc_u32 s15, s27, -1
	s_mov_b64 s[40:41], 0
	s_mov_b64 s[44:45], 0
                                        ; implicit-def: $sgpr42_sgpr43
	s_branch .LBB1191_59
.LBB1191_57:                            ;   in Loop: Header=BB1191_59 Depth=1
	global_load_ushort v24, v[18:19], off
	global_load_ushort v25, v[20:21], off
	s_add_u32 s44, s44, 1
	s_addc_u32 s45, s45, 0
	s_andn2_b64 s[42:43], s[42:43], exec
	v_lshl_add_u64 v[18:19], v[18:19], 0, 2
	v_lshl_add_u64 v[20:21], v[20:21], 0, 2
	s_waitcnt vmcnt(1)
	v_lshlrev_b32_e32 v24, 16, v24
	s_waitcnt vmcnt(0)
	v_lshlrev_b32_e32 v25, 16, v25
	v_cmp_neq_f32_e32 vcc, v25, v24
	s_and_b64 s[46:47], vcc, exec
	s_or_b64 s[42:43], s[42:43], s[46:47]
.LBB1191_58:                            ;   in Loop: Header=BB1191_59 Depth=1
	s_and_b64 s[46:47], exec, s[42:43]
	s_or_b64 s[40:41], s[46:47], s[40:41]
	v_mov_b64_e32 v[24:25], s[44:45]
	s_andn2_b64 exec, exec, s[40:41]
	s_cbranch_execz .LBB1191_61
.LBB1191_59:                            ; =>This Inner Loop Header: Depth=1
	s_or_b64 s[42:43], s[42:43], exec
	s_cmp_eq_u64 s[14:15], s[44:45]
	s_cbranch_scc0 .LBB1191_57
; %bb.60:                               ;   in Loop: Header=BB1191_59 Depth=1
                                        ; implicit-def: $vgpr18_vgpr19
                                        ; implicit-def: $vgpr20_vgpr21
	s_mov_b64 s[44:45], s[26:27]
	s_branch .LBB1191_58
.LBB1191_61:
	s_or_b64 exec, exec, s[40:41]
	v_cmp_gt_i64_e32 vcc, s[26:27], v[24:25]
	s_orn2_b64 s[14:15], vcc, exec
.LBB1191_62:
	s_or_b64 exec, exec, s[38:39]
.LBB1191_63:
	v_mul_lo_u32 v20, v13, s26
	v_mul_lo_u32 v21, v12, s27
	v_mad_u64_u32 v[18:19], s[38:39], v12, s26, 0
	v_add3_u32 v19, v19, v21, v20
	s_and_b64 vcc, exec, s[4:5]
	v_lshl_add_u64 v[20:21], v[18:19], 1, s[28:29]
	s_cbranch_vccnz .LBB1191_72
; %bb.64:
	global_load_ushort v18, v[22:23], off
	global_load_ushort v19, v[20:21], off
	s_mov_b64 s[12:13], -1
	s_waitcnt vmcnt(1)
	v_lshlrev_b32_e32 v18, 16, v18
	s_waitcnt vmcnt(0)
	v_lshlrev_b32_e32 v19, 16, v19
	v_cmp_eq_f32_e32 vcc, v19, v18
	s_and_saveexec_b64 s[38:39], vcc
	s_cbranch_execz .LBB1191_71
; %bb.65:
	s_add_u32 s12, s26, -1
	v_lshl_add_u64 v[18:19], v[22:23], 0, 2
	v_lshl_add_u64 v[22:23], v[20:21], 0, 2
	s_addc_u32 s13, s27, -1
	s_mov_b64 s[40:41], 0
	s_mov_b64 s[44:45], 0
                                        ; implicit-def: $sgpr42_sgpr43
	s_branch .LBB1191_68
.LBB1191_66:                            ;   in Loop: Header=BB1191_68 Depth=1
	global_load_ushort v24, v[18:19], off
	global_load_ushort v25, v[22:23], off
	s_add_u32 s44, s44, 1
	s_addc_u32 s45, s45, 0
	s_andn2_b64 s[42:43], s[42:43], exec
	v_lshl_add_u64 v[18:19], v[18:19], 0, 2
	v_lshl_add_u64 v[22:23], v[22:23], 0, 2
	s_waitcnt vmcnt(1)
	v_lshlrev_b32_e32 v24, 16, v24
	s_waitcnt vmcnt(0)
	v_lshlrev_b32_e32 v25, 16, v25
	v_cmp_neq_f32_e32 vcc, v25, v24
	s_and_b64 s[46:47], vcc, exec
	s_or_b64 s[42:43], s[42:43], s[46:47]
.LBB1191_67:                            ;   in Loop: Header=BB1191_68 Depth=1
	s_and_b64 s[46:47], exec, s[42:43]
	s_or_b64 s[40:41], s[46:47], s[40:41]
	v_mov_b64_e32 v[24:25], s[44:45]
	s_andn2_b64 exec, exec, s[40:41]
	s_cbranch_execz .LBB1191_70
.LBB1191_68:                            ; =>This Inner Loop Header: Depth=1
	s_or_b64 s[42:43], s[42:43], exec
	s_cmp_eq_u64 s[12:13], s[44:45]
	s_cbranch_scc0 .LBB1191_66
; %bb.69:                               ;   in Loop: Header=BB1191_68 Depth=1
                                        ; implicit-def: $vgpr18_vgpr19
                                        ; implicit-def: $vgpr22_vgpr23
	s_mov_b64 s[44:45], s[26:27]
	s_branch .LBB1191_67
.LBB1191_70:
	s_or_b64 exec, exec, s[40:41]
	v_cmp_gt_i64_e32 vcc, s[26:27], v[24:25]
	s_orn2_b64 s[12:13], vcc, exec
.LBB1191_71:
	s_or_b64 exec, exec, s[38:39]
.LBB1191_72:
	v_mul_lo_u32 v22, v11, s26
	v_mul_lo_u32 v23, v10, s27
	v_mad_u64_u32 v[18:19], s[38:39], v10, s26, 0
	v_add3_u32 v19, v19, v23, v22
	s_mov_b64 s[40:41], 0
	s_and_b64 vcc, exec, s[4:5]
	v_lshl_add_u64 v[18:19], v[18:19], 1, s[28:29]
	s_cbranch_vccnz .LBB1191_81
; %bb.73:
	global_load_ushort v22, v[20:21], off
	global_load_ushort v23, v[18:19], off
	s_mov_b64 s[40:41], -1
	s_waitcnt vmcnt(1)
	v_lshlrev_b32_e32 v22, 16, v22
	s_waitcnt vmcnt(0)
	v_lshlrev_b32_e32 v23, 16, v23
	v_cmp_eq_f32_e32 vcc, v23, v22
	s_and_saveexec_b64 s[38:39], vcc
	s_cbranch_execz .LBB1191_80
; %bb.74:
	s_add_u32 s40, s26, -1
	v_lshl_add_u64 v[20:21], v[20:21], 0, 2
	v_lshl_add_u64 v[22:23], v[18:19], 0, 2
	s_addc_u32 s41, s27, -1
	s_mov_b64 s[42:43], 0
	s_mov_b64 s[46:47], 0
                                        ; implicit-def: $sgpr44_sgpr45
	s_branch .LBB1191_77
.LBB1191_75:                            ;   in Loop: Header=BB1191_77 Depth=1
	global_load_ushort v24, v[20:21], off
	global_load_ushort v25, v[22:23], off
	s_add_u32 s46, s46, 1
	s_addc_u32 s47, s47, 0
	s_andn2_b64 s[44:45], s[44:45], exec
	v_lshl_add_u64 v[20:21], v[20:21], 0, 2
	v_lshl_add_u64 v[22:23], v[22:23], 0, 2
	s_waitcnt vmcnt(1)
	v_lshlrev_b32_e32 v24, 16, v24
	s_waitcnt vmcnt(0)
	v_lshlrev_b32_e32 v25, 16, v25
	v_cmp_neq_f32_e32 vcc, v25, v24
	s_and_b64 s[48:49], vcc, exec
	s_or_b64 s[44:45], s[44:45], s[48:49]
.LBB1191_76:                            ;   in Loop: Header=BB1191_77 Depth=1
	s_and_b64 s[48:49], exec, s[44:45]
	s_or_b64 s[42:43], s[48:49], s[42:43]
	v_mov_b64_e32 v[24:25], s[46:47]
	s_andn2_b64 exec, exec, s[42:43]
	s_cbranch_execz .LBB1191_79
.LBB1191_77:                            ; =>This Inner Loop Header: Depth=1
	s_or_b64 s[44:45], s[44:45], exec
	s_cmp_eq_u64 s[40:41], s[46:47]
	s_cbranch_scc0 .LBB1191_75
; %bb.78:                               ;   in Loop: Header=BB1191_77 Depth=1
                                        ; implicit-def: $vgpr20_vgpr21
                                        ; implicit-def: $vgpr22_vgpr23
	s_mov_b64 s[46:47], s[26:27]
	s_branch .LBB1191_76
.LBB1191_79:
	s_or_b64 exec, exec, s[42:43]
	v_cmp_gt_i64_e32 vcc, s[26:27], v[24:25]
	s_orn2_b64 s[40:41], vcc, exec
.LBB1191_80:
	s_or_b64 exec, exec, s[38:39]
.LBB1191_81:
	s_waitcnt vmcnt(0)
	v_mov_b64_e32 v[20:21], v[16:17]
	s_waitcnt lgkmcnt(0)
	s_barrier
	s_and_saveexec_b64 s[38:39], s[2:3]
	s_cbranch_execz .LBB1191_83
; %bb.82:
	v_add_u32_e32 v20, -8, v33
	ds_read_b64 v[20:21], v20
.LBB1191_83:
	s_or_b64 exec, exec, s[38:39]
	v_cndmask_b32_e64 v23, 0, 1, s[14:15]
	v_cndmask_b32_e64 v22, 0, 1, s[12:13]
	;; [unrolled: 1-line block ×3, first 2 shown]
	v_lshlrev_b16_e32 v23, 8, v23
	v_lshlrev_b16_e32 v24, 8, v24
	v_or_b32_sdwa v36, v22, v23 dst_sel:WORD_1 dst_unused:UNUSED_PAD src0_sel:DWORD src1_sel:DWORD
	s_mov_b64 s[14:15], 0
	s_and_b64 vcc, exec, s[4:5]
	s_mov_b64 s[12:13], 0
	s_cbranch_vccnz .LBB1191_92
; %bb.84:
	s_waitcnt lgkmcnt(0)
	v_mul_lo_u32 v22, v21, s26
	v_mul_lo_u32 v23, v20, s27
	v_mad_u64_u32 v[20:21], s[12:13], v20, s26, 0
	v_add3_u32 v21, v21, v23, v22
	v_lshl_add_u64 v[20:21], v[20:21], 1, s[28:29]
	global_load_ushort v22, v[20:21], off
	global_load_ushort v23, v[18:19], off
	s_mov_b64 s[12:13], -1
	s_waitcnt vmcnt(1)
	v_lshlrev_b32_e32 v22, 16, v22
	s_waitcnt vmcnt(0)
	v_lshlrev_b32_e32 v23, 16, v23
	v_cmp_eq_f32_e32 vcc, v22, v23
	s_and_saveexec_b64 s[38:39], vcc
	s_cbranch_execz .LBB1191_91
; %bb.85:
	s_add_u32 s12, s26, -1
	v_lshl_add_u64 v[18:19], v[18:19], 0, 2
	v_lshl_add_u64 v[20:21], v[20:21], 0, 2
	s_addc_u32 s13, s27, -1
	s_mov_b64 s[40:41], 0
	s_mov_b64 s[44:45], 0
                                        ; implicit-def: $sgpr42_sgpr43
	s_branch .LBB1191_88
.LBB1191_86:                            ;   in Loop: Header=BB1191_88 Depth=1
	global_load_ushort v22, v[18:19], off
	global_load_ushort v23, v[20:21], off
	s_add_u32 s44, s44, 1
	s_addc_u32 s45, s45, 0
	s_andn2_b64 s[42:43], s[42:43], exec
	v_lshl_add_u64 v[18:19], v[18:19], 0, 2
	v_lshl_add_u64 v[20:21], v[20:21], 0, 2
	s_waitcnt vmcnt(1)
	v_lshlrev_b32_e32 v22, 16, v22
	s_waitcnt vmcnt(0)
	v_lshlrev_b32_e32 v23, 16, v23
	v_cmp_neq_f32_e32 vcc, v23, v22
	s_and_b64 s[46:47], vcc, exec
	s_or_b64 s[42:43], s[42:43], s[46:47]
.LBB1191_87:                            ;   in Loop: Header=BB1191_88 Depth=1
	s_and_b64 s[46:47], exec, s[42:43]
	s_or_b64 s[40:41], s[46:47], s[40:41]
	v_mov_b64_e32 v[22:23], s[44:45]
	s_andn2_b64 exec, exec, s[40:41]
	s_cbranch_execz .LBB1191_90
.LBB1191_88:                            ; =>This Inner Loop Header: Depth=1
	s_or_b64 s[42:43], s[42:43], exec
	s_cmp_eq_u64 s[12:13], s[44:45]
	s_cbranch_scc0 .LBB1191_86
; %bb.89:                               ;   in Loop: Header=BB1191_88 Depth=1
                                        ; implicit-def: $vgpr18_vgpr19
                                        ; implicit-def: $vgpr20_vgpr21
	s_mov_b64 s[44:45], s[26:27]
	s_branch .LBB1191_87
.LBB1191_90:
	s_or_b64 exec, exec, s[40:41]
	v_cmp_gt_i64_e32 vcc, s[26:27], v[22:23]
	s_orn2_b64 s[12:13], vcc, exec
.LBB1191_91:
	s_or_b64 exec, exec, s[38:39]
.LBB1191_92:
	v_cndmask_b32_e64 v25, 0, 1, s[8:9]
	v_cndmask_b32_e64 v34, 0, 1, s[10:11]
	v_cndmask_b32_e64 v35, 0, 1, s[6:7]
	s_waitcnt lgkmcnt(0)
	v_or_b32_e32 v20, v24, v36
	s_and_b64 vcc, exec, s[14:15]
	s_cbranch_vccz .LBB1191_173
.LBB1191_93:
	v_cmp_gt_u32_e32 vcc, s52, v29
	s_mov_b64 s[8:9], 0
	s_mov_b64 s[6:7], 0
	s_and_saveexec_b64 s[10:11], vcc
	s_cbranch_execz .LBB1191_104
; %bb.94:
	s_and_b64 vcc, exec, s[4:5]
	s_mov_b64 s[12:13], 0
	s_cbranch_vccnz .LBB1191_103
; %bb.95:
	v_mul_lo_u32 v20, v5, s26
	v_mul_lo_u32 v21, v4, s27
	v_mad_u64_u32 v[18:19], s[6:7], v4, s26, 0
	v_add3_u32 v19, v19, v21, v20
	v_mul_lo_u32 v20, v15, s26
	v_mul_lo_u32 v21, v14, s27
	v_mad_u64_u32 v[22:23], s[6:7], v14, s26, 0
	v_add3_u32 v23, v23, v21, v20
	v_lshl_add_u64 v[20:21], v[18:19], 1, s[28:29]
	v_lshl_add_u64 v[18:19], v[22:23], 1, s[28:29]
	global_load_ushort v22, v[18:19], off
	global_load_ushort v23, v[20:21], off
	s_mov_b64 s[12:13], -1
	s_waitcnt vmcnt(1)
	v_lshlrev_b32_e32 v22, 16, v22
	s_waitcnt vmcnt(0)
	v_lshlrev_b32_e32 v23, 16, v23
	v_cmp_eq_f32_e32 vcc, v23, v22
	s_and_saveexec_b64 s[6:7], vcc
	s_cbranch_execz .LBB1191_102
; %bb.96:
	s_add_u32 s12, s26, -1
	v_lshl_add_u64 v[18:19], v[18:19], 0, 2
	v_lshl_add_u64 v[20:21], v[20:21], 0, 2
	s_addc_u32 s13, s27, -1
	s_mov_b64 s[14:15], 0
	s_mov_b64 s[40:41], 0
                                        ; implicit-def: $sgpr38_sgpr39
	s_branch .LBB1191_99
.LBB1191_97:                            ;   in Loop: Header=BB1191_99 Depth=1
	global_load_ushort v22, v[18:19], off
	global_load_ushort v23, v[20:21], off
	s_add_u32 s40, s40, 1
	s_addc_u32 s41, s41, 0
	s_andn2_b64 s[38:39], s[38:39], exec
	v_lshl_add_u64 v[18:19], v[18:19], 0, 2
	v_lshl_add_u64 v[20:21], v[20:21], 0, 2
	s_waitcnt vmcnt(1)
	v_lshlrev_b32_e32 v22, 16, v22
	s_waitcnt vmcnt(0)
	v_lshlrev_b32_e32 v23, 16, v23
	v_cmp_neq_f32_e32 vcc, v23, v22
	s_and_b64 s[42:43], vcc, exec
	s_or_b64 s[38:39], s[38:39], s[42:43]
.LBB1191_98:                            ;   in Loop: Header=BB1191_99 Depth=1
	s_and_b64 s[42:43], exec, s[38:39]
	s_or_b64 s[14:15], s[42:43], s[14:15]
	v_mov_b64_e32 v[22:23], s[40:41]
	s_andn2_b64 exec, exec, s[14:15]
	s_cbranch_execz .LBB1191_101
.LBB1191_99:                            ; =>This Inner Loop Header: Depth=1
	s_or_b64 s[38:39], s[38:39], exec
	s_cmp_eq_u64 s[12:13], s[40:41]
	s_cbranch_scc0 .LBB1191_97
; %bb.100:                              ;   in Loop: Header=BB1191_99 Depth=1
                                        ; implicit-def: $vgpr18_vgpr19
                                        ; implicit-def: $vgpr20_vgpr21
	s_mov_b64 s[40:41], s[26:27]
	s_branch .LBB1191_98
.LBB1191_101:
	s_or_b64 exec, exec, s[14:15]
	v_cmp_gt_i64_e32 vcc, s[26:27], v[22:23]
	s_orn2_b64 s[12:13], vcc, exec
.LBB1191_102:
	s_or_b64 exec, exec, s[6:7]
.LBB1191_103:
	s_and_b64 s[6:7], s[12:13], exec
.LBB1191_104:
	s_or_b64 exec, exec, s[10:11]
	v_cmp_gt_u32_e32 vcc, s52, v31
	s_and_saveexec_b64 s[10:11], vcc
	s_cbranch_execz .LBB1191_115
; %bb.105:
	s_and_b64 vcc, exec, s[4:5]
	s_mov_b64 s[12:13], 0
	s_cbranch_vccnz .LBB1191_114
; %bb.106:
	v_mul_lo_u32 v20, v3, s26
	v_mul_lo_u32 v21, v2, s27
	v_mad_u64_u32 v[18:19], s[8:9], v2, s26, 0
	v_add3_u32 v19, v19, v21, v20
	v_mul_lo_u32 v20, v5, s26
	v_mul_lo_u32 v21, v4, s27
	v_mad_u64_u32 v[22:23], s[8:9], v4, s26, 0
	v_add3_u32 v23, v23, v21, v20
	v_lshl_add_u64 v[20:21], v[18:19], 1, s[28:29]
	v_lshl_add_u64 v[18:19], v[22:23], 1, s[28:29]
	global_load_ushort v22, v[18:19], off
	global_load_ushort v23, v[20:21], off
	s_mov_b64 s[12:13], -1
	s_waitcnt vmcnt(1)
	v_lshlrev_b32_e32 v22, 16, v22
	s_waitcnt vmcnt(0)
	v_lshlrev_b32_e32 v23, 16, v23
	v_cmp_eq_f32_e32 vcc, v23, v22
	s_and_saveexec_b64 s[8:9], vcc
	s_cbranch_execz .LBB1191_113
; %bb.107:
	s_add_u32 s12, s26, -1
	v_lshl_add_u64 v[18:19], v[18:19], 0, 2
	v_lshl_add_u64 v[20:21], v[20:21], 0, 2
	s_addc_u32 s13, s27, -1
	s_mov_b64 s[14:15], 0
	s_mov_b64 s[40:41], 0
                                        ; implicit-def: $sgpr38_sgpr39
	s_branch .LBB1191_110
.LBB1191_108:                           ;   in Loop: Header=BB1191_110 Depth=1
	global_load_ushort v22, v[18:19], off
	global_load_ushort v23, v[20:21], off
	s_add_u32 s40, s40, 1
	s_addc_u32 s41, s41, 0
	s_andn2_b64 s[38:39], s[38:39], exec
	v_lshl_add_u64 v[18:19], v[18:19], 0, 2
	v_lshl_add_u64 v[20:21], v[20:21], 0, 2
	s_waitcnt vmcnt(1)
	v_lshlrev_b32_e32 v22, 16, v22
	s_waitcnt vmcnt(0)
	v_lshlrev_b32_e32 v23, 16, v23
	v_cmp_neq_f32_e32 vcc, v23, v22
	s_and_b64 s[42:43], vcc, exec
	s_or_b64 s[38:39], s[38:39], s[42:43]
.LBB1191_109:                           ;   in Loop: Header=BB1191_110 Depth=1
	s_and_b64 s[42:43], exec, s[38:39]
	s_or_b64 s[14:15], s[42:43], s[14:15]
	v_mov_b64_e32 v[22:23], s[40:41]
	s_andn2_b64 exec, exec, s[14:15]
	s_cbranch_execz .LBB1191_112
.LBB1191_110:                           ; =>This Inner Loop Header: Depth=1
	s_or_b64 s[38:39], s[38:39], exec
	s_cmp_eq_u64 s[12:13], s[40:41]
	s_cbranch_scc0 .LBB1191_108
; %bb.111:                              ;   in Loop: Header=BB1191_110 Depth=1
                                        ; implicit-def: $vgpr18_vgpr19
                                        ; implicit-def: $vgpr20_vgpr21
	s_mov_b64 s[40:41], s[26:27]
	s_branch .LBB1191_109
.LBB1191_112:
	s_or_b64 exec, exec, s[14:15]
	v_cmp_gt_i64_e32 vcc, s[26:27], v[22:23]
	s_orn2_b64 s[12:13], vcc, exec
.LBB1191_113:
	s_or_b64 exec, exec, s[8:9]
.LBB1191_114:
	s_and_b64 s[8:9], s[12:13], exec
.LBB1191_115:
	s_or_b64 exec, exec, s[10:11]
	v_cmp_gt_u32_e32 vcc, s52, v28
	s_mov_b64 s[12:13], 0
	s_mov_b64 s[10:11], 0
	s_and_saveexec_b64 s[14:15], vcc
	s_cbranch_execz .LBB1191_126
; %bb.116:
	s_and_b64 vcc, exec, s[4:5]
	s_mov_b64 s[38:39], 0
	s_cbranch_vccnz .LBB1191_125
; %bb.117:
	v_mul_lo_u32 v20, v9, s26
	v_mul_lo_u32 v21, v8, s27
	v_mad_u64_u32 v[18:19], s[10:11], v8, s26, 0
	v_add3_u32 v19, v19, v21, v20
	v_mul_lo_u32 v20, v3, s26
	v_mul_lo_u32 v21, v2, s27
	v_mad_u64_u32 v[22:23], s[10:11], v2, s26, 0
	v_add3_u32 v23, v23, v21, v20
	v_lshl_add_u64 v[20:21], v[18:19], 1, s[28:29]
	v_lshl_add_u64 v[18:19], v[22:23], 1, s[28:29]
	global_load_ushort v22, v[18:19], off
	global_load_ushort v23, v[20:21], off
	s_mov_b64 s[38:39], -1
	s_waitcnt vmcnt(1)
	v_lshlrev_b32_e32 v22, 16, v22
	s_waitcnt vmcnt(0)
	v_lshlrev_b32_e32 v23, 16, v23
	v_cmp_eq_f32_e32 vcc, v23, v22
	s_and_saveexec_b64 s[10:11], vcc
	s_cbranch_execz .LBB1191_124
; %bb.118:
	s_add_u32 s38, s26, -1
	v_lshl_add_u64 v[18:19], v[18:19], 0, 2
	v_lshl_add_u64 v[20:21], v[20:21], 0, 2
	s_addc_u32 s39, s27, -1
	s_mov_b64 s[40:41], 0
	s_mov_b64 s[44:45], 0
                                        ; implicit-def: $sgpr42_sgpr43
	s_branch .LBB1191_121
.LBB1191_119:                           ;   in Loop: Header=BB1191_121 Depth=1
	global_load_ushort v22, v[18:19], off
	global_load_ushort v23, v[20:21], off
	s_add_u32 s44, s44, 1
	s_addc_u32 s45, s45, 0
	s_andn2_b64 s[42:43], s[42:43], exec
	v_lshl_add_u64 v[18:19], v[18:19], 0, 2
	v_lshl_add_u64 v[20:21], v[20:21], 0, 2
	s_waitcnt vmcnt(1)
	v_lshlrev_b32_e32 v22, 16, v22
	s_waitcnt vmcnt(0)
	v_lshlrev_b32_e32 v23, 16, v23
	v_cmp_neq_f32_e32 vcc, v23, v22
	s_and_b64 s[46:47], vcc, exec
	s_or_b64 s[42:43], s[42:43], s[46:47]
.LBB1191_120:                           ;   in Loop: Header=BB1191_121 Depth=1
	s_and_b64 s[46:47], exec, s[42:43]
	s_or_b64 s[40:41], s[46:47], s[40:41]
	v_mov_b64_e32 v[22:23], s[44:45]
	s_andn2_b64 exec, exec, s[40:41]
	s_cbranch_execz .LBB1191_123
.LBB1191_121:                           ; =>This Inner Loop Header: Depth=1
	s_or_b64 s[42:43], s[42:43], exec
	s_cmp_eq_u64 s[38:39], s[44:45]
	s_cbranch_scc0 .LBB1191_119
; %bb.122:                              ;   in Loop: Header=BB1191_121 Depth=1
                                        ; implicit-def: $vgpr18_vgpr19
                                        ; implicit-def: $vgpr20_vgpr21
	s_mov_b64 s[44:45], s[26:27]
	s_branch .LBB1191_120
.LBB1191_123:
	s_or_b64 exec, exec, s[40:41]
	v_cmp_gt_i64_e32 vcc, s[26:27], v[22:23]
	s_orn2_b64 s[38:39], vcc, exec
.LBB1191_124:
	s_or_b64 exec, exec, s[10:11]
.LBB1191_125:
	s_and_b64 s[10:11], s[38:39], exec
.LBB1191_126:
	s_or_b64 exec, exec, s[14:15]
	v_cmp_gt_u32_e32 vcc, s52, v30
	s_and_saveexec_b64 s[14:15], vcc
	s_cbranch_execz .LBB1191_137
; %bb.127:
	s_and_b64 vcc, exec, s[4:5]
	s_mov_b64 s[38:39], 0
	s_cbranch_vccnz .LBB1191_136
; %bb.128:
	v_mul_lo_u32 v20, v7, s26
	v_mul_lo_u32 v21, v6, s27
	v_mad_u64_u32 v[18:19], s[12:13], v6, s26, 0
	v_add3_u32 v19, v19, v21, v20
	v_mul_lo_u32 v20, v9, s26
	v_mul_lo_u32 v21, v8, s27
	v_mad_u64_u32 v[22:23], s[12:13], v8, s26, 0
	v_add3_u32 v23, v23, v21, v20
	v_lshl_add_u64 v[20:21], v[18:19], 1, s[28:29]
	v_lshl_add_u64 v[18:19], v[22:23], 1, s[28:29]
	global_load_ushort v22, v[18:19], off
	global_load_ushort v23, v[20:21], off
	s_mov_b64 s[38:39], -1
	s_waitcnt vmcnt(1)
	v_lshlrev_b32_e32 v22, 16, v22
	s_waitcnt vmcnt(0)
	v_lshlrev_b32_e32 v23, 16, v23
	v_cmp_eq_f32_e32 vcc, v23, v22
	s_and_saveexec_b64 s[12:13], vcc
	s_cbranch_execz .LBB1191_135
; %bb.129:
	s_add_u32 s38, s26, -1
	v_lshl_add_u64 v[18:19], v[18:19], 0, 2
	v_lshl_add_u64 v[20:21], v[20:21], 0, 2
	s_addc_u32 s39, s27, -1
	s_mov_b64 s[40:41], 0
	s_mov_b64 s[44:45], 0
                                        ; implicit-def: $sgpr42_sgpr43
	s_branch .LBB1191_132
.LBB1191_130:                           ;   in Loop: Header=BB1191_132 Depth=1
	global_load_ushort v22, v[18:19], off
	global_load_ushort v23, v[20:21], off
	s_add_u32 s44, s44, 1
	s_addc_u32 s45, s45, 0
	s_andn2_b64 s[42:43], s[42:43], exec
	v_lshl_add_u64 v[18:19], v[18:19], 0, 2
	v_lshl_add_u64 v[20:21], v[20:21], 0, 2
	s_waitcnt vmcnt(1)
	v_lshlrev_b32_e32 v22, 16, v22
	s_waitcnt vmcnt(0)
	v_lshlrev_b32_e32 v23, 16, v23
	v_cmp_neq_f32_e32 vcc, v23, v22
	s_and_b64 s[46:47], vcc, exec
	s_or_b64 s[42:43], s[42:43], s[46:47]
.LBB1191_131:                           ;   in Loop: Header=BB1191_132 Depth=1
	s_and_b64 s[46:47], exec, s[42:43]
	s_or_b64 s[40:41], s[46:47], s[40:41]
	v_mov_b64_e32 v[22:23], s[44:45]
	s_andn2_b64 exec, exec, s[40:41]
	s_cbranch_execz .LBB1191_134
.LBB1191_132:                           ; =>This Inner Loop Header: Depth=1
	s_or_b64 s[42:43], s[42:43], exec
	s_cmp_eq_u64 s[38:39], s[44:45]
	s_cbranch_scc0 .LBB1191_130
; %bb.133:                              ;   in Loop: Header=BB1191_132 Depth=1
                                        ; implicit-def: $vgpr18_vgpr19
                                        ; implicit-def: $vgpr20_vgpr21
	s_mov_b64 s[44:45], s[26:27]
	s_branch .LBB1191_131
.LBB1191_134:
	s_or_b64 exec, exec, s[40:41]
	v_cmp_gt_i64_e32 vcc, s[26:27], v[22:23]
	s_orn2_b64 s[38:39], vcc, exec
.LBB1191_135:
	s_or_b64 exec, exec, s[12:13]
.LBB1191_136:
	s_and_b64 s[12:13], s[38:39], exec
.LBB1191_137:
	s_or_b64 exec, exec, s[14:15]
	v_cmp_gt_u32_e32 vcc, s52, v26
	s_mov_b64 s[14:15], 0
	s_mov_b64 s[38:39], 0
	s_and_saveexec_b64 s[40:41], vcc
	s_cbranch_execz .LBB1191_148
; %bb.138:
	s_and_b64 vcc, exec, s[4:5]
	s_mov_b64 s[42:43], 0
	s_cbranch_vccnz .LBB1191_147
; %bb.139:
	v_mul_lo_u32 v20, v13, s26
	v_mul_lo_u32 v21, v12, s27
	v_mad_u64_u32 v[18:19], s[38:39], v12, s26, 0
	v_add3_u32 v19, v19, v21, v20
	v_mul_lo_u32 v20, v7, s26
	v_mul_lo_u32 v21, v6, s27
	v_mad_u64_u32 v[22:23], s[38:39], v6, s26, 0
	v_add3_u32 v23, v23, v21, v20
	v_lshl_add_u64 v[20:21], v[18:19], 1, s[28:29]
	v_lshl_add_u64 v[18:19], v[22:23], 1, s[28:29]
	global_load_ushort v22, v[18:19], off
	global_load_ushort v23, v[20:21], off
	s_mov_b64 s[42:43], -1
	s_waitcnt vmcnt(1)
	v_lshlrev_b32_e32 v22, 16, v22
	s_waitcnt vmcnt(0)
	v_lshlrev_b32_e32 v23, 16, v23
	v_cmp_eq_f32_e32 vcc, v23, v22
	s_and_saveexec_b64 s[38:39], vcc
	s_cbranch_execz .LBB1191_146
; %bb.140:
	s_add_u32 s42, s26, -1
	v_lshl_add_u64 v[18:19], v[18:19], 0, 2
	v_lshl_add_u64 v[20:21], v[20:21], 0, 2
	s_addc_u32 s43, s27, -1
	s_mov_b64 s[44:45], 0
	s_mov_b64 s[48:49], 0
                                        ; implicit-def: $sgpr46_sgpr47
	s_branch .LBB1191_143
.LBB1191_141:                           ;   in Loop: Header=BB1191_143 Depth=1
	global_load_ushort v22, v[18:19], off
	global_load_ushort v23, v[20:21], off
	s_add_u32 s48, s48, 1
	s_addc_u32 s49, s49, 0
	s_andn2_b64 s[46:47], s[46:47], exec
	v_lshl_add_u64 v[18:19], v[18:19], 0, 2
	v_lshl_add_u64 v[20:21], v[20:21], 0, 2
	s_waitcnt vmcnt(1)
	v_lshlrev_b32_e32 v22, 16, v22
	s_waitcnt vmcnt(0)
	v_lshlrev_b32_e32 v23, 16, v23
	v_cmp_neq_f32_e32 vcc, v23, v22
	s_and_b64 s[50:51], vcc, exec
	s_or_b64 s[46:47], s[46:47], s[50:51]
.LBB1191_142:                           ;   in Loop: Header=BB1191_143 Depth=1
	s_and_b64 s[50:51], exec, s[46:47]
	s_or_b64 s[44:45], s[50:51], s[44:45]
	v_mov_b64_e32 v[22:23], s[48:49]
	s_andn2_b64 exec, exec, s[44:45]
	s_cbranch_execz .LBB1191_145
.LBB1191_143:                           ; =>This Inner Loop Header: Depth=1
	s_or_b64 s[46:47], s[46:47], exec
	s_cmp_eq_u64 s[42:43], s[48:49]
	s_cbranch_scc0 .LBB1191_141
; %bb.144:                              ;   in Loop: Header=BB1191_143 Depth=1
                                        ; implicit-def: $vgpr18_vgpr19
                                        ; implicit-def: $vgpr20_vgpr21
	s_mov_b64 s[48:49], s[26:27]
	s_branch .LBB1191_142
.LBB1191_145:
	s_or_b64 exec, exec, s[44:45]
	v_cmp_gt_i64_e32 vcc, s[26:27], v[22:23]
	s_orn2_b64 s[42:43], vcc, exec
.LBB1191_146:
	s_or_b64 exec, exec, s[38:39]
.LBB1191_147:
	s_and_b64 s[38:39], s[42:43], exec
.LBB1191_148:
	s_or_b64 exec, exec, s[40:41]
	v_cmp_gt_u32_e32 vcc, s52, v27
	s_and_saveexec_b64 s[40:41], vcc
	s_cbranch_execz .LBB1191_159
; %bb.149:
	s_and_b64 vcc, exec, s[4:5]
	s_mov_b64 s[42:43], 0
	s_cbranch_vccnz .LBB1191_158
; %bb.150:
	v_mul_lo_u32 v20, v11, s26
	v_mul_lo_u32 v21, v10, s27
	v_mad_u64_u32 v[18:19], s[14:15], v10, s26, 0
	v_add3_u32 v19, v19, v21, v20
	v_mul_lo_u32 v20, v13, s26
	v_mul_lo_u32 v21, v12, s27
	v_mad_u64_u32 v[22:23], s[14:15], v12, s26, 0
	v_add3_u32 v23, v23, v21, v20
	v_lshl_add_u64 v[20:21], v[18:19], 1, s[28:29]
	v_lshl_add_u64 v[18:19], v[22:23], 1, s[28:29]
	global_load_ushort v22, v[18:19], off
	global_load_ushort v23, v[20:21], off
	s_mov_b64 s[42:43], -1
	s_waitcnt vmcnt(1)
	v_lshlrev_b32_e32 v22, 16, v22
	s_waitcnt vmcnt(0)
	v_lshlrev_b32_e32 v23, 16, v23
	v_cmp_eq_f32_e32 vcc, v23, v22
	s_and_saveexec_b64 s[14:15], vcc
	s_cbranch_execz .LBB1191_157
; %bb.151:
	s_add_u32 s42, s26, -1
	v_lshl_add_u64 v[18:19], v[18:19], 0, 2
	v_lshl_add_u64 v[20:21], v[20:21], 0, 2
	s_addc_u32 s43, s27, -1
	s_mov_b64 s[44:45], 0
	s_mov_b64 s[48:49], 0
                                        ; implicit-def: $sgpr46_sgpr47
	s_branch .LBB1191_154
.LBB1191_152:                           ;   in Loop: Header=BB1191_154 Depth=1
	global_load_ushort v22, v[18:19], off
	global_load_ushort v23, v[20:21], off
	s_add_u32 s48, s48, 1
	s_addc_u32 s49, s49, 0
	s_andn2_b64 s[46:47], s[46:47], exec
	v_lshl_add_u64 v[18:19], v[18:19], 0, 2
	v_lshl_add_u64 v[20:21], v[20:21], 0, 2
	s_waitcnt vmcnt(1)
	v_lshlrev_b32_e32 v22, 16, v22
	s_waitcnt vmcnt(0)
	v_lshlrev_b32_e32 v23, 16, v23
	v_cmp_neq_f32_e32 vcc, v23, v22
	s_and_b64 s[50:51], vcc, exec
	s_or_b64 s[46:47], s[46:47], s[50:51]
.LBB1191_153:                           ;   in Loop: Header=BB1191_154 Depth=1
	s_and_b64 s[50:51], exec, s[46:47]
	s_or_b64 s[44:45], s[50:51], s[44:45]
	v_mov_b64_e32 v[22:23], s[48:49]
	s_andn2_b64 exec, exec, s[44:45]
	s_cbranch_execz .LBB1191_156
.LBB1191_154:                           ; =>This Inner Loop Header: Depth=1
	s_or_b64 s[46:47], s[46:47], exec
	s_cmp_eq_u64 s[42:43], s[48:49]
	s_cbranch_scc0 .LBB1191_152
; %bb.155:                              ;   in Loop: Header=BB1191_154 Depth=1
                                        ; implicit-def: $vgpr18_vgpr19
                                        ; implicit-def: $vgpr20_vgpr21
	s_mov_b64 s[48:49], s[26:27]
	s_branch .LBB1191_153
.LBB1191_156:
	s_or_b64 exec, exec, s[44:45]
	v_cmp_gt_i64_e32 vcc, s[26:27], v[22:23]
	s_orn2_b64 s[42:43], vcc, exec
.LBB1191_157:
	s_or_b64 exec, exec, s[14:15]
.LBB1191_158:
	s_and_b64 s[14:15], s[42:43], exec
.LBB1191_159:
	s_or_b64 exec, exec, s[40:41]
	s_waitcnt lgkmcnt(0)
	s_barrier
	s_and_saveexec_b64 s[40:41], s[2:3]
	s_cbranch_execz .LBB1191_161
; %bb.160:
	s_waitcnt vmcnt(0)
	v_add_u32_e32 v16, -8, v33
	ds_read_b64 v[16:17], v16
.LBB1191_161:
	s_or_b64 exec, exec, s[40:41]
	v_cndmask_b32_e64 v19, 0, 1, s[12:13]
	v_cndmask_b32_e64 v18, 0, 1, s[38:39]
	;; [unrolled: 1-line block ×3, first 2 shown]
	v_lshlrev_b16_e32 v19, 8, v19
	v_cmp_gt_u32_e32 vcc, s52, v1
	v_lshlrev_b16_e32 v22, 8, v20
	v_or_b32_sdwa v23, v18, v19 dst_sel:WORD_1 dst_unused:UNUSED_PAD src0_sel:DWORD src1_sel:DWORD
	s_mov_b64 s[12:13], 0
	s_and_saveexec_b64 s[14:15], vcc
	s_cbranch_execz .LBB1191_172
; %bb.162:
	s_and_b64 vcc, exec, s[4:5]
	s_cbranch_vccnz .LBB1191_171
; %bb.163:
	s_waitcnt vmcnt(0) lgkmcnt(0)
	v_mul_lo_u32 v18, v17, s26
	v_mul_lo_u32 v19, v16, s27
	v_mad_u64_u32 v[16:17], s[4:5], v16, s26, 0
	v_add3_u32 v17, v17, v19, v18
	v_mul_lo_u32 v18, v11, s26
	v_mul_lo_u32 v19, v10, s27
	v_mad_u64_u32 v[20:21], s[4:5], v10, s26, 0
	v_add3_u32 v21, v21, v19, v18
	v_lshl_add_u64 v[18:19], v[16:17], 1, s[28:29]
	v_lshl_add_u64 v[16:17], v[20:21], 1, s[28:29]
	global_load_ushort v20, v[16:17], off
	global_load_ushort v21, v[18:19], off
	s_mov_b64 s[12:13], -1
	s_waitcnt vmcnt(1)
	v_lshlrev_b32_e32 v20, 16, v20
	s_waitcnt vmcnt(0)
	v_lshlrev_b32_e32 v21, 16, v21
	v_cmp_eq_f32_e32 vcc, v21, v20
	s_and_saveexec_b64 s[4:5], vcc
	s_cbranch_execz .LBB1191_170
; %bb.164:
	s_add_u32 s12, s26, -1
	v_lshl_add_u64 v[16:17], v[16:17], 0, 2
	v_lshl_add_u64 v[18:19], v[18:19], 0, 2
	s_addc_u32 s13, s27, -1
	s_mov_b64 s[38:39], 0
	s_mov_b64 s[42:43], 0
                                        ; implicit-def: $sgpr40_sgpr41
	s_branch .LBB1191_167
.LBB1191_165:                           ;   in Loop: Header=BB1191_167 Depth=1
	global_load_ushort v20, v[16:17], off
	global_load_ushort v21, v[18:19], off
	s_add_u32 s42, s42, 1
	s_addc_u32 s43, s43, 0
	s_andn2_b64 s[40:41], s[40:41], exec
	v_lshl_add_u64 v[16:17], v[16:17], 0, 2
	v_lshl_add_u64 v[18:19], v[18:19], 0, 2
	s_waitcnt vmcnt(1)
	v_lshlrev_b32_e32 v20, 16, v20
	s_waitcnt vmcnt(0)
	v_lshlrev_b32_e32 v21, 16, v21
	v_cmp_neq_f32_e32 vcc, v21, v20
	s_and_b64 s[44:45], vcc, exec
	s_or_b64 s[40:41], s[40:41], s[44:45]
.LBB1191_166:                           ;   in Loop: Header=BB1191_167 Depth=1
	s_and_b64 s[44:45], exec, s[40:41]
	s_or_b64 s[38:39], s[44:45], s[38:39]
	v_mov_b64_e32 v[20:21], s[42:43]
	s_andn2_b64 exec, exec, s[38:39]
	s_cbranch_execz .LBB1191_169
.LBB1191_167:                           ; =>This Inner Loop Header: Depth=1
	s_or_b64 s[40:41], s[40:41], exec
	s_cmp_eq_u64 s[12:13], s[42:43]
	s_cbranch_scc0 .LBB1191_165
; %bb.168:                              ;   in Loop: Header=BB1191_167 Depth=1
                                        ; implicit-def: $vgpr16_vgpr17
                                        ; implicit-def: $vgpr18_vgpr19
	s_mov_b64 s[42:43], s[26:27]
	s_branch .LBB1191_166
.LBB1191_169:
	s_or_b64 exec, exec, s[38:39]
	v_cmp_gt_i64_e32 vcc, s[26:27], v[20:21]
	s_orn2_b64 s[12:13], vcc, exec
.LBB1191_170:
	s_or_b64 exec, exec, s[4:5]
.LBB1191_171:
	s_and_b64 s[12:13], s[12:13], exec
.LBB1191_172:
	s_or_b64 exec, exec, s[14:15]
	v_cndmask_b32_e64 v25, 0, 1, s[10:11]
	v_cndmask_b32_e64 v34, 0, 1, s[8:9]
	;; [unrolled: 1-line block ×3, first 2 shown]
	v_or_b32_e32 v20, v22, v23
.LBB1191_173:
	s_mov_b64 s[8:9], -1
	s_cbranch_execnz .LBB1191_32
.LBB1191_174:
	s_movk_i32 s4, 0xffd0
	v_mad_i32_i24 v24, v0, s4, v32
	s_mov_b64 s[10:11], 0
	v_cmp_gt_i64_e64 s[6:7], s[26:27], 0
	s_and_b64 vcc, exec, s[36:37]
	ds_write_b64 v24, v[14:15]
	s_cbranch_vccz .LBB1191_182
; %bb.175:
	v_mul_lo_u32 v18, v5, s26
	v_mul_lo_u32 v19, v4, s27
	s_waitcnt vmcnt(0) lgkmcnt(1)
	v_mad_u64_u32 v[16:17], s[4:5], v4, s26, 0
	v_add3_u32 v17, v17, v19, v18
	v_cndmask_b32_e64 v18, 0, 1, s[6:7]
	v_cmp_ne_u32_e64 s[4:5], 1, v18
	s_andn2_b64 vcc, exec, s[6:7]
	v_lshl_add_u64 v[16:17], v[16:17], 1, s[28:29]
	s_cbranch_vccnz .LBB1191_185
; %bb.176:
	v_mul_lo_u32 v20, v15, s26
	v_mul_lo_u32 v21, v14, s27
	v_mad_u64_u32 v[18:19], s[10:11], v14, s26, 0
	v_add3_u32 v19, v19, v21, v20
	v_lshl_add_u64 v[18:19], v[18:19], 1, s[28:29]
	global_load_ushort v20, v[18:19], off
	global_load_ushort v21, v[16:17], off
	s_mov_b64 s[10:11], -1
	s_waitcnt vmcnt(1)
	v_lshlrev_b32_e32 v20, 16, v20
	s_waitcnt vmcnt(0)
	v_lshlrev_b32_e32 v21, 16, v21
	v_cmp_eq_f32_e32 vcc, v21, v20
	s_and_saveexec_b64 s[12:13], vcc
	s_cbranch_execz .LBB1191_184
; %bb.177:
	s_add_u32 s10, s26, -1
	v_lshl_add_u64 v[18:19], v[18:19], 0, 2
	v_lshl_add_u64 v[20:21], v[16:17], 0, 2
	s_addc_u32 s11, s27, -1
	s_mov_b64 s[14:15], 0
	s_mov_b64 s[40:41], 0
                                        ; implicit-def: $sgpr38_sgpr39
	s_branch .LBB1191_180
.LBB1191_178:                           ;   in Loop: Header=BB1191_180 Depth=1
	global_load_ushort v22, v[18:19], off
	global_load_ushort v23, v[20:21], off
	s_add_u32 s40, s40, 1
	s_addc_u32 s41, s41, 0
	s_andn2_b64 s[38:39], s[38:39], exec
	v_lshl_add_u64 v[18:19], v[18:19], 0, 2
	v_lshl_add_u64 v[20:21], v[20:21], 0, 2
	s_waitcnt vmcnt(1)
	v_lshlrev_b32_e32 v22, 16, v22
	s_waitcnt vmcnt(0)
	v_lshlrev_b32_e32 v23, 16, v23
	v_cmp_neq_f32_e32 vcc, v23, v22
	s_and_b64 s[42:43], vcc, exec
	s_or_b64 s[38:39], s[38:39], s[42:43]
.LBB1191_179:                           ;   in Loop: Header=BB1191_180 Depth=1
	s_and_b64 s[42:43], exec, s[38:39]
	s_or_b64 s[14:15], s[42:43], s[14:15]
	v_mov_b64_e32 v[22:23], s[40:41]
	s_andn2_b64 exec, exec, s[14:15]
	s_cbranch_execz .LBB1191_183
.LBB1191_180:                           ; =>This Inner Loop Header: Depth=1
	s_or_b64 s[38:39], s[38:39], exec
	s_cmp_eq_u64 s[10:11], s[40:41]
	s_cbranch_scc0 .LBB1191_178
; %bb.181:                              ;   in Loop: Header=BB1191_180 Depth=1
                                        ; implicit-def: $vgpr18_vgpr19
                                        ; implicit-def: $vgpr20_vgpr21
	s_mov_b64 s[40:41], s[26:27]
	s_branch .LBB1191_179
.LBB1191_182:
                                        ; implicit-def: $sgpr12_sgpr13
                                        ; implicit-def: $vgpr35
                                        ; implicit-def: $vgpr34
                                        ; implicit-def: $vgpr25
                                        ; implicit-def: $vgpr20
                                        ; implicit-def: $vgpr16_vgpr17
	s_cbranch_execnz .LBB1191_242
	s_branch .LBB1191_322
.LBB1191_183:
	s_or_b64 exec, exec, s[14:15]
	v_cmp_gt_i64_e32 vcc, s[26:27], v[22:23]
	s_orn2_b64 s[10:11], vcc, exec
.LBB1191_184:
	s_or_b64 exec, exec, s[12:13]
.LBB1191_185:
	v_mul_lo_u32 v20, v3, s26
	v_mul_lo_u32 v21, v2, s27
	v_mad_u64_u32 v[18:19], s[12:13], v2, s26, 0
	v_add3_u32 v19, v19, v21, v20
	s_mov_b64 s[12:13], 0
	s_and_b64 vcc, exec, s[4:5]
	v_lshl_add_u64 v[18:19], v[18:19], 1, s[28:29]
	s_mov_b64 s[14:15], 0
	s_cbranch_vccnz .LBB1191_194
; %bb.186:
	global_load_ushort v20, v[16:17], off
	global_load_ushort v21, v[18:19], off
	s_mov_b64 s[14:15], -1
	s_waitcnt vmcnt(1)
	v_lshlrev_b32_e32 v20, 16, v20
	s_waitcnt vmcnt(0)
	v_lshlrev_b32_e32 v21, 16, v21
	v_cmp_eq_f32_e32 vcc, v21, v20
	s_and_saveexec_b64 s[38:39], vcc
	s_cbranch_execz .LBB1191_193
; %bb.187:
	s_add_u32 s14, s26, -1
	v_lshl_add_u64 v[16:17], v[16:17], 0, 2
	v_lshl_add_u64 v[20:21], v[18:19], 0, 2
	s_addc_u32 s15, s27, -1
	s_mov_b64 s[40:41], 0
	s_mov_b64 s[44:45], 0
                                        ; implicit-def: $sgpr42_sgpr43
	s_branch .LBB1191_190
.LBB1191_188:                           ;   in Loop: Header=BB1191_190 Depth=1
	global_load_ushort v22, v[16:17], off
	global_load_ushort v23, v[20:21], off
	s_add_u32 s44, s44, 1
	s_addc_u32 s45, s45, 0
	s_andn2_b64 s[42:43], s[42:43], exec
	v_lshl_add_u64 v[16:17], v[16:17], 0, 2
	v_lshl_add_u64 v[20:21], v[20:21], 0, 2
	s_waitcnt vmcnt(1)
	v_lshlrev_b32_e32 v22, 16, v22
	s_waitcnt vmcnt(0)
	v_lshlrev_b32_e32 v23, 16, v23
	v_cmp_neq_f32_e32 vcc, v23, v22
	s_and_b64 s[46:47], vcc, exec
	s_or_b64 s[42:43], s[42:43], s[46:47]
.LBB1191_189:                           ;   in Loop: Header=BB1191_190 Depth=1
	s_and_b64 s[46:47], exec, s[42:43]
	s_or_b64 s[40:41], s[46:47], s[40:41]
	v_mov_b64_e32 v[22:23], s[44:45]
	s_andn2_b64 exec, exec, s[40:41]
	s_cbranch_execz .LBB1191_192
.LBB1191_190:                           ; =>This Inner Loop Header: Depth=1
	s_or_b64 s[42:43], s[42:43], exec
	s_cmp_eq_u64 s[14:15], s[44:45]
	s_cbranch_scc0 .LBB1191_188
; %bb.191:                              ;   in Loop: Header=BB1191_190 Depth=1
                                        ; implicit-def: $vgpr16_vgpr17
                                        ; implicit-def: $vgpr20_vgpr21
	s_mov_b64 s[44:45], s[26:27]
	s_branch .LBB1191_189
.LBB1191_192:
	s_or_b64 exec, exec, s[40:41]
	v_cmp_gt_i64_e32 vcc, s[26:27], v[22:23]
	s_orn2_b64 s[14:15], vcc, exec
.LBB1191_193:
	s_or_b64 exec, exec, s[38:39]
.LBB1191_194:
	v_mul_lo_u32 v20, v9, s26
	v_mul_lo_u32 v21, v8, s27
	v_mad_u64_u32 v[16:17], s[38:39], v8, s26, 0
	v_add3_u32 v17, v17, v21, v20
	s_and_b64 vcc, exec, s[4:5]
	v_lshl_add_u64 v[16:17], v[16:17], 1, s[28:29]
	s_cbranch_vccnz .LBB1191_203
; %bb.195:
	global_load_ushort v20, v[18:19], off
	global_load_ushort v21, v[16:17], off
	s_mov_b64 s[12:13], -1
	s_waitcnt vmcnt(1)
	v_lshlrev_b32_e32 v20, 16, v20
	s_waitcnt vmcnt(0)
	v_lshlrev_b32_e32 v21, 16, v21
	v_cmp_eq_f32_e32 vcc, v21, v20
	s_and_saveexec_b64 s[38:39], vcc
	s_cbranch_execz .LBB1191_202
; %bb.196:
	s_add_u32 s12, s26, -1
	v_lshl_add_u64 v[18:19], v[18:19], 0, 2
	v_lshl_add_u64 v[20:21], v[16:17], 0, 2
	s_addc_u32 s13, s27, -1
	s_mov_b64 s[40:41], 0
	s_mov_b64 s[44:45], 0
                                        ; implicit-def: $sgpr42_sgpr43
	s_branch .LBB1191_199
.LBB1191_197:                           ;   in Loop: Header=BB1191_199 Depth=1
	global_load_ushort v22, v[18:19], off
	global_load_ushort v23, v[20:21], off
	s_add_u32 s44, s44, 1
	s_addc_u32 s45, s45, 0
	s_andn2_b64 s[42:43], s[42:43], exec
	v_lshl_add_u64 v[18:19], v[18:19], 0, 2
	v_lshl_add_u64 v[20:21], v[20:21], 0, 2
	s_waitcnt vmcnt(1)
	v_lshlrev_b32_e32 v22, 16, v22
	s_waitcnt vmcnt(0)
	v_lshlrev_b32_e32 v23, 16, v23
	v_cmp_neq_f32_e32 vcc, v23, v22
	s_and_b64 s[46:47], vcc, exec
	s_or_b64 s[42:43], s[42:43], s[46:47]
.LBB1191_198:                           ;   in Loop: Header=BB1191_199 Depth=1
	s_and_b64 s[46:47], exec, s[42:43]
	s_or_b64 s[40:41], s[46:47], s[40:41]
	v_mov_b64_e32 v[22:23], s[44:45]
	s_andn2_b64 exec, exec, s[40:41]
	s_cbranch_execz .LBB1191_201
.LBB1191_199:                           ; =>This Inner Loop Header: Depth=1
	s_or_b64 s[42:43], s[42:43], exec
	s_cmp_eq_u64 s[12:13], s[44:45]
	s_cbranch_scc0 .LBB1191_197
; %bb.200:                              ;   in Loop: Header=BB1191_199 Depth=1
                                        ; implicit-def: $vgpr18_vgpr19
                                        ; implicit-def: $vgpr20_vgpr21
	s_mov_b64 s[44:45], s[26:27]
	s_branch .LBB1191_198
.LBB1191_201:
	s_or_b64 exec, exec, s[40:41]
	v_cmp_gt_i64_e32 vcc, s[26:27], v[22:23]
	s_orn2_b64 s[12:13], vcc, exec
.LBB1191_202:
	s_or_b64 exec, exec, s[38:39]
.LBB1191_203:
	v_mul_lo_u32 v20, v7, s26
	v_mul_lo_u32 v21, v6, s27
	v_mad_u64_u32 v[18:19], s[38:39], v6, s26, 0
	v_add3_u32 v19, v19, v21, v20
	s_mov_b64 s[38:39], 0
	s_and_b64 vcc, exec, s[4:5]
	v_lshl_add_u64 v[18:19], v[18:19], 1, s[28:29]
	s_mov_b64 s[40:41], 0
	s_cbranch_vccnz .LBB1191_212
; %bb.204:
	global_load_ushort v20, v[16:17], off
	global_load_ushort v21, v[18:19], off
	s_mov_b64 s[40:41], -1
	s_waitcnt vmcnt(1)
	v_lshlrev_b32_e32 v20, 16, v20
	s_waitcnt vmcnt(0)
	v_lshlrev_b32_e32 v21, 16, v21
	v_cmp_eq_f32_e32 vcc, v21, v20
	s_and_saveexec_b64 s[42:43], vcc
	s_cbranch_execz .LBB1191_211
; %bb.205:
	s_add_u32 s40, s26, -1
	v_lshl_add_u64 v[16:17], v[16:17], 0, 2
	v_lshl_add_u64 v[20:21], v[18:19], 0, 2
	s_addc_u32 s41, s27, -1
	s_mov_b64 s[44:45], 0
	s_mov_b64 s[48:49], 0
                                        ; implicit-def: $sgpr46_sgpr47
	s_branch .LBB1191_208
.LBB1191_206:                           ;   in Loop: Header=BB1191_208 Depth=1
	global_load_ushort v22, v[16:17], off
	global_load_ushort v23, v[20:21], off
	s_add_u32 s48, s48, 1
	s_addc_u32 s49, s49, 0
	s_andn2_b64 s[46:47], s[46:47], exec
	v_lshl_add_u64 v[16:17], v[16:17], 0, 2
	v_lshl_add_u64 v[20:21], v[20:21], 0, 2
	s_waitcnt vmcnt(1)
	v_lshlrev_b32_e32 v22, 16, v22
	s_waitcnt vmcnt(0)
	v_lshlrev_b32_e32 v23, 16, v23
	v_cmp_neq_f32_e32 vcc, v23, v22
	s_and_b64 s[50:51], vcc, exec
	s_or_b64 s[46:47], s[46:47], s[50:51]
.LBB1191_207:                           ;   in Loop: Header=BB1191_208 Depth=1
	s_and_b64 s[50:51], exec, s[46:47]
	s_or_b64 s[44:45], s[50:51], s[44:45]
	v_mov_b64_e32 v[22:23], s[48:49]
	s_andn2_b64 exec, exec, s[44:45]
	s_cbranch_execz .LBB1191_210
.LBB1191_208:                           ; =>This Inner Loop Header: Depth=1
	s_or_b64 s[46:47], s[46:47], exec
	s_cmp_eq_u64 s[40:41], s[48:49]
	s_cbranch_scc0 .LBB1191_206
; %bb.209:                              ;   in Loop: Header=BB1191_208 Depth=1
                                        ; implicit-def: $vgpr16_vgpr17
                                        ; implicit-def: $vgpr20_vgpr21
	s_mov_b64 s[48:49], s[26:27]
	s_branch .LBB1191_207
.LBB1191_210:
	s_or_b64 exec, exec, s[44:45]
	v_cmp_gt_i64_e32 vcc, s[26:27], v[22:23]
	s_orn2_b64 s[40:41], vcc, exec
.LBB1191_211:
	s_or_b64 exec, exec, s[42:43]
.LBB1191_212:
	v_mul_lo_u32 v20, v13, s26
	v_mul_lo_u32 v21, v12, s27
	v_mad_u64_u32 v[16:17], s[42:43], v12, s26, 0
	v_add3_u32 v17, v17, v21, v20
	s_and_b64 vcc, exec, s[4:5]
	v_lshl_add_u64 v[16:17], v[16:17], 1, s[28:29]
	s_cbranch_vccnz .LBB1191_221
; %bb.213:
	global_load_ushort v20, v[18:19], off
	global_load_ushort v21, v[16:17], off
	s_mov_b64 s[38:39], -1
	s_waitcnt vmcnt(1)
	v_lshlrev_b32_e32 v20, 16, v20
	s_waitcnt vmcnt(0)
	v_lshlrev_b32_e32 v21, 16, v21
	v_cmp_eq_f32_e32 vcc, v21, v20
	s_and_saveexec_b64 s[42:43], vcc
	s_cbranch_execz .LBB1191_220
; %bb.214:
	s_add_u32 s38, s26, -1
	v_lshl_add_u64 v[18:19], v[18:19], 0, 2
	v_lshl_add_u64 v[20:21], v[16:17], 0, 2
	s_addc_u32 s39, s27, -1
	s_mov_b64 s[44:45], 0
	s_mov_b64 s[48:49], 0
                                        ; implicit-def: $sgpr46_sgpr47
	s_branch .LBB1191_217
.LBB1191_215:                           ;   in Loop: Header=BB1191_217 Depth=1
	global_load_ushort v22, v[18:19], off
	global_load_ushort v23, v[20:21], off
	s_add_u32 s48, s48, 1
	s_addc_u32 s49, s49, 0
	s_andn2_b64 s[46:47], s[46:47], exec
	v_lshl_add_u64 v[18:19], v[18:19], 0, 2
	v_lshl_add_u64 v[20:21], v[20:21], 0, 2
	s_waitcnt vmcnt(1)
	v_lshlrev_b32_e32 v22, 16, v22
	s_waitcnt vmcnt(0)
	v_lshlrev_b32_e32 v23, 16, v23
	v_cmp_neq_f32_e32 vcc, v23, v22
	s_and_b64 s[50:51], vcc, exec
	s_or_b64 s[46:47], s[46:47], s[50:51]
.LBB1191_216:                           ;   in Loop: Header=BB1191_217 Depth=1
	s_and_b64 s[50:51], exec, s[46:47]
	s_or_b64 s[44:45], s[50:51], s[44:45]
	v_mov_b64_e32 v[22:23], s[48:49]
	s_andn2_b64 exec, exec, s[44:45]
	s_cbranch_execz .LBB1191_219
.LBB1191_217:                           ; =>This Inner Loop Header: Depth=1
	s_or_b64 s[46:47], s[46:47], exec
	s_cmp_eq_u64 s[38:39], s[48:49]
	s_cbranch_scc0 .LBB1191_215
; %bb.218:                              ;   in Loop: Header=BB1191_217 Depth=1
                                        ; implicit-def: $vgpr18_vgpr19
                                        ; implicit-def: $vgpr20_vgpr21
	s_mov_b64 s[48:49], s[26:27]
	s_branch .LBB1191_216
.LBB1191_219:
	s_or_b64 exec, exec, s[44:45]
	v_cmp_gt_i64_e32 vcc, s[26:27], v[22:23]
	s_orn2_b64 s[38:39], vcc, exec
.LBB1191_220:
	s_or_b64 exec, exec, s[42:43]
.LBB1191_221:
	v_mul_lo_u32 v20, v11, s26
	v_mul_lo_u32 v21, v10, s27
	v_mad_u64_u32 v[18:19], s[42:43], v10, s26, 0
	v_add3_u32 v19, v19, v21, v20
	s_and_b64 vcc, exec, s[4:5]
	s_mov_b64 s[44:45], 0
	s_cbranch_vccnz .LBB1191_230
; %bb.222:
	v_lshl_add_u64 v[20:21], v[18:19], 1, s[28:29]
	global_load_ushort v22, v[16:17], off
	global_load_ushort v23, v[20:21], off
	s_mov_b64 s[44:45], -1
	s_waitcnt vmcnt(1)
	v_lshlrev_b32_e32 v22, 16, v22
	s_waitcnt vmcnt(0)
	v_lshlrev_b32_e32 v23, 16, v23
	v_cmp_eq_f32_e32 vcc, v23, v22
	s_and_saveexec_b64 s[42:43], vcc
	s_cbranch_execz .LBB1191_229
; %bb.223:
	s_add_u32 s44, s26, -1
	v_lshl_add_u64 v[16:17], v[16:17], 0, 2
	v_lshl_add_u64 v[20:21], v[20:21], 0, 2
	s_addc_u32 s45, s27, -1
	s_mov_b64 s[46:47], 0
	s_mov_b64 s[50:51], 0
                                        ; implicit-def: $sgpr48_sgpr49
	s_branch .LBB1191_226
.LBB1191_224:                           ;   in Loop: Header=BB1191_226 Depth=1
	global_load_ushort v22, v[16:17], off
	global_load_ushort v23, v[20:21], off
	s_add_u32 s50, s50, 1
	s_addc_u32 s51, s51, 0
	s_andn2_b64 s[48:49], s[48:49], exec
	v_lshl_add_u64 v[16:17], v[16:17], 0, 2
	v_lshl_add_u64 v[20:21], v[20:21], 0, 2
	s_waitcnt vmcnt(1)
	v_lshlrev_b32_e32 v22, 16, v22
	s_waitcnt vmcnt(0)
	v_lshlrev_b32_e32 v23, 16, v23
	v_cmp_neq_f32_e32 vcc, v23, v22
	s_and_b64 s[54:55], vcc, exec
	s_or_b64 s[48:49], s[48:49], s[54:55]
.LBB1191_225:                           ;   in Loop: Header=BB1191_226 Depth=1
	s_and_b64 s[54:55], exec, s[48:49]
	s_or_b64 s[46:47], s[54:55], s[46:47]
	v_mov_b64_e32 v[22:23], s[50:51]
	s_andn2_b64 exec, exec, s[46:47]
	s_cbranch_execz .LBB1191_228
.LBB1191_226:                           ; =>This Inner Loop Header: Depth=1
	s_or_b64 s[48:49], s[48:49], exec
	s_cmp_eq_u64 s[44:45], s[50:51]
	s_cbranch_scc0 .LBB1191_224
; %bb.227:                              ;   in Loop: Header=BB1191_226 Depth=1
                                        ; implicit-def: $vgpr16_vgpr17
                                        ; implicit-def: $vgpr20_vgpr21
	s_mov_b64 s[50:51], s[26:27]
	s_branch .LBB1191_225
.LBB1191_228:
	s_or_b64 exec, exec, s[46:47]
	v_cmp_gt_i64_e32 vcc, s[26:27], v[22:23]
	s_orn2_b64 s[44:45], vcc, exec
.LBB1191_229:
	s_or_b64 exec, exec, s[42:43]
.LBB1191_230:
	v_cndmask_b32_e64 v17, 0, 1, s[40:41]
	v_cndmask_b32_e64 v16, 0, 1, s[38:39]
	;; [unrolled: 1-line block ×3, first 2 shown]
	v_lshlrev_b16_e32 v17, 8, v17
	v_cndmask_b32_e64 v25, 0, 1, s[12:13]
	v_cndmask_b32_e64 v20, 0, 1, s[44:45]
	v_or_b32_sdwa v16, v16, v17 dst_sel:WORD_1 dst_unused:UNUSED_PAD src0_sel:DWORD src1_sel:DWORD
	v_lshlrev_b16_e32 v17, 8, v34
	v_lshlrev_b16_e32 v20, 8, v20
	v_or_b32_e32 v17, v25, v17
	v_or_b32_e32 v20, 1, v20
	v_and_b32_e32 v17, 0xffff, v17
	v_cndmask_b32_e64 v35, 0, 1, s[10:11]
	v_or_b32_sdwa v16, v20, v16 dst_sel:DWORD dst_unused:UNUSED_PAD src0_sel:WORD_0 src1_sel:DWORD
	v_lshl_or_b32 v17, v35, 16, v17
	s_waitcnt lgkmcnt(0)
	s_barrier
	s_waitcnt lgkmcnt(0)
                                        ; implicit-def: $sgpr12_sgpr13
                                        ; implicit-def: $vgpr20
	s_and_saveexec_b64 s[10:11], s[2:3]
	s_xor_b64 s[10:11], exec, s[10:11]
	s_cbranch_execz .LBB1191_241
; %bb.231:
	s_mov_b32 s42, 0x3020104
	s_and_b64 vcc, exec, s[4:5]
	s_mov_b64 s[12:13], 0
	s_cbranch_vccnz .LBB1191_240
; %bb.232:
	v_add_u32_e32 v17, -8, v24
	ds_read_b64 v[20:21], v17
	v_lshl_add_u64 v[18:19], v[18:19], 1, s[28:29]
	s_mov_b64 s[12:13], -1
	s_waitcnt lgkmcnt(0)
	v_mul_lo_u32 v17, v21, s26
	v_mul_lo_u32 v22, v20, s27
	v_mad_u64_u32 v[20:21], s[4:5], v20, s26, 0
	v_add3_u32 v21, v21, v22, v17
	v_lshl_add_u64 v[20:21], v[20:21], 1, s[28:29]
	global_load_ushort v17, v[20:21], off
	global_load_ushort v22, v[18:19], off
	s_waitcnt vmcnt(1)
	v_lshlrev_b32_e32 v17, 16, v17
	s_waitcnt vmcnt(0)
	v_lshlrev_b32_e32 v22, 16, v22
	v_cmp_eq_f32_e32 vcc, v17, v22
	s_and_saveexec_b64 s[4:5], vcc
	s_cbranch_execz .LBB1191_239
; %bb.233:
	s_add_u32 s12, s26, -1
	v_lshl_add_u64 v[18:19], v[18:19], 0, 2
	v_lshl_add_u64 v[20:21], v[20:21], 0, 2
	s_addc_u32 s13, s27, -1
	s_mov_b64 s[14:15], 0
	s_mov_b64 s[40:41], 0
                                        ; implicit-def: $sgpr38_sgpr39
	s_branch .LBB1191_236
.LBB1191_234:                           ;   in Loop: Header=BB1191_236 Depth=1
	global_load_ushort v17, v[18:19], off
	global_load_ushort v22, v[20:21], off
	s_add_u32 s40, s40, 1
	s_addc_u32 s41, s41, 0
	s_andn2_b64 s[38:39], s[38:39], exec
	v_lshl_add_u64 v[18:19], v[18:19], 0, 2
	v_lshl_add_u64 v[20:21], v[20:21], 0, 2
	s_waitcnt vmcnt(1)
	v_lshlrev_b32_e32 v17, 16, v17
	s_waitcnt vmcnt(0)
	v_lshlrev_b32_e32 v22, 16, v22
	v_cmp_neq_f32_e32 vcc, v22, v17
	s_and_b64 s[44:45], vcc, exec
	s_or_b64 s[38:39], s[38:39], s[44:45]
.LBB1191_235:                           ;   in Loop: Header=BB1191_236 Depth=1
	s_and_b64 s[44:45], exec, s[38:39]
	s_or_b64 s[14:15], s[44:45], s[14:15]
	v_mov_b64_e32 v[22:23], s[40:41]
	s_andn2_b64 exec, exec, s[14:15]
	s_cbranch_execz .LBB1191_238
.LBB1191_236:                           ; =>This Inner Loop Header: Depth=1
	s_or_b64 s[38:39], s[38:39], exec
	s_cmp_eq_u64 s[12:13], s[40:41]
	s_cbranch_scc0 .LBB1191_234
; %bb.237:                              ;   in Loop: Header=BB1191_236 Depth=1
                                        ; implicit-def: $vgpr18_vgpr19
                                        ; implicit-def: $vgpr20_vgpr21
	s_mov_b64 s[40:41], s[26:27]
	s_branch .LBB1191_235
.LBB1191_238:
	s_or_b64 exec, exec, s[14:15]
	v_cmp_gt_i64_e32 vcc, s[26:27], v[22:23]
	s_orn2_b64 s[12:13], vcc, exec
.LBB1191_239:
	s_or_b64 exec, exec, s[4:5]
.LBB1191_240:
	v_perm_b32 v20, v16, v16, s42
	s_and_b64 s[12:13], s[12:13], exec
	s_or_b64 s[8:9], s[8:9], exec
                                        ; implicit-def: $vgpr16_vgpr17
.LBB1191_241:
	s_or_b64 exec, exec, s[10:11]
	s_branch .LBB1191_322
.LBB1191_242:
	v_cmp_gt_u32_e32 vcc, s52, v29
	s_mov_b64 s[10:11], 0
	s_mov_b64 s[4:5], 0
	s_and_saveexec_b64 s[12:13], vcc
	s_cbranch_execz .LBB1191_253
; %bb.243:
	s_andn2_b64 vcc, exec, s[6:7]
	s_mov_b64 s[14:15], 0
	s_cbranch_vccnz .LBB1191_252
; %bb.244:
	v_mul_lo_u32 v18, v5, s26
	v_mul_lo_u32 v19, v4, s27
	s_waitcnt vmcnt(0) lgkmcnt(1)
	v_mad_u64_u32 v[16:17], s[4:5], v4, s26, 0
	v_add3_u32 v17, v17, v19, v18
	v_mul_lo_u32 v18, v15, s26
	v_mul_lo_u32 v19, v14, s27
	v_mad_u64_u32 v[20:21], s[4:5], v14, s26, 0
	v_add3_u32 v21, v21, v19, v18
	v_lshl_add_u64 v[18:19], v[16:17], 1, s[28:29]
	v_lshl_add_u64 v[16:17], v[20:21], 1, s[28:29]
	global_load_ushort v20, v[16:17], off
	global_load_ushort v21, v[18:19], off
	s_mov_b64 s[14:15], -1
	s_waitcnt vmcnt(1)
	v_lshlrev_b32_e32 v20, 16, v20
	s_waitcnt vmcnt(0)
	v_lshlrev_b32_e32 v21, 16, v21
	v_cmp_eq_f32_e32 vcc, v21, v20
	s_and_saveexec_b64 s[4:5], vcc
	s_cbranch_execz .LBB1191_251
; %bb.245:
	s_add_u32 s14, s26, -1
	v_lshl_add_u64 v[16:17], v[16:17], 0, 2
	v_lshl_add_u64 v[18:19], v[18:19], 0, 2
	s_addc_u32 s15, s27, -1
	s_mov_b64 s[38:39], 0
	s_mov_b64 s[42:43], 0
                                        ; implicit-def: $sgpr40_sgpr41
	s_branch .LBB1191_248
.LBB1191_246:                           ;   in Loop: Header=BB1191_248 Depth=1
	global_load_ushort v20, v[16:17], off
	global_load_ushort v21, v[18:19], off
	s_add_u32 s42, s42, 1
	s_addc_u32 s43, s43, 0
	s_andn2_b64 s[40:41], s[40:41], exec
	v_lshl_add_u64 v[16:17], v[16:17], 0, 2
	v_lshl_add_u64 v[18:19], v[18:19], 0, 2
	s_waitcnt vmcnt(1)
	v_lshlrev_b32_e32 v20, 16, v20
	s_waitcnt vmcnt(0)
	v_lshlrev_b32_e32 v21, 16, v21
	v_cmp_neq_f32_e32 vcc, v21, v20
	s_and_b64 s[44:45], vcc, exec
	s_or_b64 s[40:41], s[40:41], s[44:45]
.LBB1191_247:                           ;   in Loop: Header=BB1191_248 Depth=1
	s_and_b64 s[44:45], exec, s[40:41]
	s_or_b64 s[38:39], s[44:45], s[38:39]
	v_mov_b64_e32 v[20:21], s[42:43]
	s_andn2_b64 exec, exec, s[38:39]
	s_cbranch_execz .LBB1191_250
.LBB1191_248:                           ; =>This Inner Loop Header: Depth=1
	s_or_b64 s[40:41], s[40:41], exec
	s_cmp_eq_u64 s[14:15], s[42:43]
	s_cbranch_scc0 .LBB1191_246
; %bb.249:                              ;   in Loop: Header=BB1191_248 Depth=1
                                        ; implicit-def: $vgpr16_vgpr17
                                        ; implicit-def: $vgpr18_vgpr19
	s_mov_b64 s[42:43], s[26:27]
	s_branch .LBB1191_247
.LBB1191_250:
	s_or_b64 exec, exec, s[38:39]
	v_cmp_gt_i64_e32 vcc, s[26:27], v[20:21]
	s_orn2_b64 s[14:15], vcc, exec
.LBB1191_251:
	s_or_b64 exec, exec, s[4:5]
.LBB1191_252:
	s_and_b64 s[4:5], s[14:15], exec
.LBB1191_253:
	s_or_b64 exec, exec, s[12:13]
	v_cmp_gt_u32_e32 vcc, s52, v31
	s_and_saveexec_b64 s[12:13], vcc
	s_cbranch_execz .LBB1191_264
; %bb.254:
	s_andn2_b64 vcc, exec, s[6:7]
	s_mov_b64 s[14:15], 0
	s_cbranch_vccnz .LBB1191_263
; %bb.255:
	v_mul_lo_u32 v18, v3, s26
	v_mul_lo_u32 v19, v2, s27
	s_waitcnt vmcnt(0) lgkmcnt(1)
	v_mad_u64_u32 v[16:17], s[10:11], v2, s26, 0
	v_add3_u32 v17, v17, v19, v18
	v_mul_lo_u32 v18, v5, s26
	v_mul_lo_u32 v19, v4, s27
	v_mad_u64_u32 v[20:21], s[10:11], v4, s26, 0
	v_add3_u32 v21, v21, v19, v18
	v_lshl_add_u64 v[18:19], v[16:17], 1, s[28:29]
	v_lshl_add_u64 v[16:17], v[20:21], 1, s[28:29]
	global_load_ushort v20, v[16:17], off
	global_load_ushort v21, v[18:19], off
	s_mov_b64 s[14:15], -1
	s_waitcnt vmcnt(1)
	v_lshlrev_b32_e32 v20, 16, v20
	s_waitcnt vmcnt(0)
	v_lshlrev_b32_e32 v21, 16, v21
	v_cmp_eq_f32_e32 vcc, v21, v20
	s_and_saveexec_b64 s[10:11], vcc
	s_cbranch_execz .LBB1191_262
; %bb.256:
	s_add_u32 s14, s26, -1
	v_lshl_add_u64 v[16:17], v[16:17], 0, 2
	v_lshl_add_u64 v[18:19], v[18:19], 0, 2
	s_addc_u32 s15, s27, -1
	s_mov_b64 s[38:39], 0
	s_mov_b64 s[42:43], 0
                                        ; implicit-def: $sgpr40_sgpr41
	s_branch .LBB1191_259
.LBB1191_257:                           ;   in Loop: Header=BB1191_259 Depth=1
	global_load_ushort v20, v[16:17], off
	global_load_ushort v21, v[18:19], off
	s_add_u32 s42, s42, 1
	s_addc_u32 s43, s43, 0
	s_andn2_b64 s[40:41], s[40:41], exec
	v_lshl_add_u64 v[16:17], v[16:17], 0, 2
	v_lshl_add_u64 v[18:19], v[18:19], 0, 2
	s_waitcnt vmcnt(1)
	v_lshlrev_b32_e32 v20, 16, v20
	s_waitcnt vmcnt(0)
	v_lshlrev_b32_e32 v21, 16, v21
	v_cmp_neq_f32_e32 vcc, v21, v20
	s_and_b64 s[44:45], vcc, exec
	s_or_b64 s[40:41], s[40:41], s[44:45]
.LBB1191_258:                           ;   in Loop: Header=BB1191_259 Depth=1
	s_and_b64 s[44:45], exec, s[40:41]
	s_or_b64 s[38:39], s[44:45], s[38:39]
	v_mov_b64_e32 v[20:21], s[42:43]
	s_andn2_b64 exec, exec, s[38:39]
	s_cbranch_execz .LBB1191_261
.LBB1191_259:                           ; =>This Inner Loop Header: Depth=1
	s_or_b64 s[40:41], s[40:41], exec
	s_cmp_eq_u64 s[14:15], s[42:43]
	s_cbranch_scc0 .LBB1191_257
; %bb.260:                              ;   in Loop: Header=BB1191_259 Depth=1
                                        ; implicit-def: $vgpr16_vgpr17
                                        ; implicit-def: $vgpr18_vgpr19
	s_mov_b64 s[42:43], s[26:27]
	s_branch .LBB1191_258
.LBB1191_261:
	s_or_b64 exec, exec, s[38:39]
	v_cmp_gt_i64_e32 vcc, s[26:27], v[20:21]
	s_orn2_b64 s[14:15], vcc, exec
.LBB1191_262:
	s_or_b64 exec, exec, s[10:11]
.LBB1191_263:
	s_and_b64 s[10:11], s[14:15], exec
.LBB1191_264:
	s_or_b64 exec, exec, s[12:13]
	v_cmp_gt_u32_e32 vcc, s52, v28
	s_mov_b64 s[14:15], 0
	s_mov_b64 s[12:13], 0
	s_and_saveexec_b64 s[38:39], vcc
	s_cbranch_execz .LBB1191_275
; %bb.265:
	s_andn2_b64 vcc, exec, s[6:7]
	s_mov_b64 s[40:41], 0
	s_cbranch_vccnz .LBB1191_274
; %bb.266:
	v_mul_lo_u32 v18, v9, s26
	v_mul_lo_u32 v19, v8, s27
	s_waitcnt vmcnt(0) lgkmcnt(1)
	v_mad_u64_u32 v[16:17], s[12:13], v8, s26, 0
	v_add3_u32 v17, v17, v19, v18
	v_mul_lo_u32 v18, v3, s26
	v_mul_lo_u32 v19, v2, s27
	v_mad_u64_u32 v[20:21], s[12:13], v2, s26, 0
	v_add3_u32 v21, v21, v19, v18
	v_lshl_add_u64 v[18:19], v[16:17], 1, s[28:29]
	v_lshl_add_u64 v[16:17], v[20:21], 1, s[28:29]
	global_load_ushort v20, v[16:17], off
	global_load_ushort v21, v[18:19], off
	s_mov_b64 s[40:41], -1
	s_waitcnt vmcnt(1)
	v_lshlrev_b32_e32 v20, 16, v20
	s_waitcnt vmcnt(0)
	v_lshlrev_b32_e32 v21, 16, v21
	v_cmp_eq_f32_e32 vcc, v21, v20
	s_and_saveexec_b64 s[12:13], vcc
	s_cbranch_execz .LBB1191_273
; %bb.267:
	s_add_u32 s40, s26, -1
	v_lshl_add_u64 v[16:17], v[16:17], 0, 2
	v_lshl_add_u64 v[18:19], v[18:19], 0, 2
	s_addc_u32 s41, s27, -1
	s_mov_b64 s[42:43], 0
	s_mov_b64 s[46:47], 0
                                        ; implicit-def: $sgpr44_sgpr45
	s_branch .LBB1191_270
.LBB1191_268:                           ;   in Loop: Header=BB1191_270 Depth=1
	global_load_ushort v20, v[16:17], off
	global_load_ushort v21, v[18:19], off
	s_add_u32 s46, s46, 1
	s_addc_u32 s47, s47, 0
	s_andn2_b64 s[44:45], s[44:45], exec
	v_lshl_add_u64 v[16:17], v[16:17], 0, 2
	v_lshl_add_u64 v[18:19], v[18:19], 0, 2
	s_waitcnt vmcnt(1)
	v_lshlrev_b32_e32 v20, 16, v20
	s_waitcnt vmcnt(0)
	v_lshlrev_b32_e32 v21, 16, v21
	v_cmp_neq_f32_e32 vcc, v21, v20
	s_and_b64 s[48:49], vcc, exec
	s_or_b64 s[44:45], s[44:45], s[48:49]
.LBB1191_269:                           ;   in Loop: Header=BB1191_270 Depth=1
	s_and_b64 s[48:49], exec, s[44:45]
	s_or_b64 s[42:43], s[48:49], s[42:43]
	v_mov_b64_e32 v[20:21], s[46:47]
	s_andn2_b64 exec, exec, s[42:43]
	s_cbranch_execz .LBB1191_272
.LBB1191_270:                           ; =>This Inner Loop Header: Depth=1
	s_or_b64 s[44:45], s[44:45], exec
	s_cmp_eq_u64 s[40:41], s[46:47]
	s_cbranch_scc0 .LBB1191_268
; %bb.271:                              ;   in Loop: Header=BB1191_270 Depth=1
                                        ; implicit-def: $vgpr16_vgpr17
                                        ; implicit-def: $vgpr18_vgpr19
	s_mov_b64 s[46:47], s[26:27]
	s_branch .LBB1191_269
.LBB1191_272:
	s_or_b64 exec, exec, s[42:43]
	v_cmp_gt_i64_e32 vcc, s[26:27], v[20:21]
	s_orn2_b64 s[40:41], vcc, exec
.LBB1191_273:
	s_or_b64 exec, exec, s[12:13]
.LBB1191_274:
	s_and_b64 s[12:13], s[40:41], exec
.LBB1191_275:
	s_or_b64 exec, exec, s[38:39]
	v_cmp_gt_u32_e32 vcc, s52, v30
	s_and_saveexec_b64 s[38:39], vcc
	s_cbranch_execz .LBB1191_286
; %bb.276:
	s_andn2_b64 vcc, exec, s[6:7]
	s_mov_b64 s[40:41], 0
	s_cbranch_vccnz .LBB1191_285
; %bb.277:
	v_mul_lo_u32 v18, v7, s26
	v_mul_lo_u32 v19, v6, s27
	s_waitcnt vmcnt(0) lgkmcnt(1)
	v_mad_u64_u32 v[16:17], s[14:15], v6, s26, 0
	v_add3_u32 v17, v17, v19, v18
	v_mul_lo_u32 v18, v9, s26
	v_mul_lo_u32 v19, v8, s27
	v_mad_u64_u32 v[20:21], s[14:15], v8, s26, 0
	v_add3_u32 v21, v21, v19, v18
	v_lshl_add_u64 v[18:19], v[16:17], 1, s[28:29]
	v_lshl_add_u64 v[16:17], v[20:21], 1, s[28:29]
	global_load_ushort v20, v[16:17], off
	global_load_ushort v21, v[18:19], off
	s_mov_b64 s[40:41], -1
	s_waitcnt vmcnt(1)
	v_lshlrev_b32_e32 v20, 16, v20
	s_waitcnt vmcnt(0)
	v_lshlrev_b32_e32 v21, 16, v21
	v_cmp_eq_f32_e32 vcc, v21, v20
	s_and_saveexec_b64 s[14:15], vcc
	s_cbranch_execz .LBB1191_284
; %bb.278:
	s_add_u32 s40, s26, -1
	v_lshl_add_u64 v[16:17], v[16:17], 0, 2
	v_lshl_add_u64 v[18:19], v[18:19], 0, 2
	s_addc_u32 s41, s27, -1
	s_mov_b64 s[42:43], 0
	s_mov_b64 s[46:47], 0
                                        ; implicit-def: $sgpr44_sgpr45
	s_branch .LBB1191_281
.LBB1191_279:                           ;   in Loop: Header=BB1191_281 Depth=1
	global_load_ushort v20, v[16:17], off
	global_load_ushort v21, v[18:19], off
	s_add_u32 s46, s46, 1
	s_addc_u32 s47, s47, 0
	s_andn2_b64 s[44:45], s[44:45], exec
	v_lshl_add_u64 v[16:17], v[16:17], 0, 2
	v_lshl_add_u64 v[18:19], v[18:19], 0, 2
	s_waitcnt vmcnt(1)
	v_lshlrev_b32_e32 v20, 16, v20
	s_waitcnt vmcnt(0)
	v_lshlrev_b32_e32 v21, 16, v21
	v_cmp_neq_f32_e32 vcc, v21, v20
	s_and_b64 s[48:49], vcc, exec
	s_or_b64 s[44:45], s[44:45], s[48:49]
.LBB1191_280:                           ;   in Loop: Header=BB1191_281 Depth=1
	s_and_b64 s[48:49], exec, s[44:45]
	s_or_b64 s[42:43], s[48:49], s[42:43]
	v_mov_b64_e32 v[20:21], s[46:47]
	s_andn2_b64 exec, exec, s[42:43]
	s_cbranch_execz .LBB1191_283
.LBB1191_281:                           ; =>This Inner Loop Header: Depth=1
	s_or_b64 s[44:45], s[44:45], exec
	s_cmp_eq_u64 s[40:41], s[46:47]
	s_cbranch_scc0 .LBB1191_279
; %bb.282:                              ;   in Loop: Header=BB1191_281 Depth=1
                                        ; implicit-def: $vgpr16_vgpr17
                                        ; implicit-def: $vgpr18_vgpr19
	s_mov_b64 s[46:47], s[26:27]
	s_branch .LBB1191_280
.LBB1191_283:
	s_or_b64 exec, exec, s[42:43]
	v_cmp_gt_i64_e32 vcc, s[26:27], v[20:21]
	s_orn2_b64 s[40:41], vcc, exec
.LBB1191_284:
	s_or_b64 exec, exec, s[14:15]
.LBB1191_285:
	s_and_b64 s[14:15], s[40:41], exec
.LBB1191_286:
	s_or_b64 exec, exec, s[38:39]
	v_cmp_gt_u32_e32 vcc, s52, v26
	s_mov_b64 s[38:39], 0
	s_mov_b64 s[40:41], 0
	s_and_saveexec_b64 s[42:43], vcc
	s_cbranch_execz .LBB1191_297
; %bb.287:
	s_andn2_b64 vcc, exec, s[6:7]
	s_mov_b64 s[44:45], 0
	s_cbranch_vccnz .LBB1191_296
; %bb.288:
	v_mul_lo_u32 v18, v13, s26
	v_mul_lo_u32 v19, v12, s27
	s_waitcnt vmcnt(0) lgkmcnt(1)
	v_mad_u64_u32 v[16:17], s[40:41], v12, s26, 0
	v_add3_u32 v17, v17, v19, v18
	v_mul_lo_u32 v18, v7, s26
	v_mul_lo_u32 v19, v6, s27
	v_mad_u64_u32 v[20:21], s[40:41], v6, s26, 0
	v_add3_u32 v21, v21, v19, v18
	v_lshl_add_u64 v[18:19], v[16:17], 1, s[28:29]
	v_lshl_add_u64 v[16:17], v[20:21], 1, s[28:29]
	global_load_ushort v20, v[16:17], off
	global_load_ushort v21, v[18:19], off
	s_mov_b64 s[44:45], -1
	s_waitcnt vmcnt(1)
	v_lshlrev_b32_e32 v20, 16, v20
	s_waitcnt vmcnt(0)
	v_lshlrev_b32_e32 v21, 16, v21
	v_cmp_eq_f32_e32 vcc, v21, v20
	s_and_saveexec_b64 s[40:41], vcc
	s_cbranch_execz .LBB1191_295
; %bb.289:
	s_add_u32 s44, s26, -1
	v_lshl_add_u64 v[16:17], v[16:17], 0, 2
	v_lshl_add_u64 v[18:19], v[18:19], 0, 2
	s_addc_u32 s45, s27, -1
	s_mov_b64 s[46:47], 0
	s_mov_b64 s[50:51], 0
                                        ; implicit-def: $sgpr48_sgpr49
	s_branch .LBB1191_292
.LBB1191_290:                           ;   in Loop: Header=BB1191_292 Depth=1
	global_load_ushort v20, v[16:17], off
	global_load_ushort v21, v[18:19], off
	s_add_u32 s50, s50, 1
	s_addc_u32 s51, s51, 0
	s_andn2_b64 s[48:49], s[48:49], exec
	v_lshl_add_u64 v[16:17], v[16:17], 0, 2
	v_lshl_add_u64 v[18:19], v[18:19], 0, 2
	s_waitcnt vmcnt(1)
	v_lshlrev_b32_e32 v20, 16, v20
	s_waitcnt vmcnt(0)
	v_lshlrev_b32_e32 v21, 16, v21
	v_cmp_neq_f32_e32 vcc, v21, v20
	s_and_b64 s[54:55], vcc, exec
	s_or_b64 s[48:49], s[48:49], s[54:55]
.LBB1191_291:                           ;   in Loop: Header=BB1191_292 Depth=1
	s_and_b64 s[54:55], exec, s[48:49]
	s_or_b64 s[46:47], s[54:55], s[46:47]
	v_mov_b64_e32 v[20:21], s[50:51]
	s_andn2_b64 exec, exec, s[46:47]
	s_cbranch_execz .LBB1191_294
.LBB1191_292:                           ; =>This Inner Loop Header: Depth=1
	s_or_b64 s[48:49], s[48:49], exec
	s_cmp_eq_u64 s[44:45], s[50:51]
	s_cbranch_scc0 .LBB1191_290
; %bb.293:                              ;   in Loop: Header=BB1191_292 Depth=1
                                        ; implicit-def: $vgpr16_vgpr17
                                        ; implicit-def: $vgpr18_vgpr19
	s_mov_b64 s[50:51], s[26:27]
	s_branch .LBB1191_291
.LBB1191_294:
	s_or_b64 exec, exec, s[46:47]
	v_cmp_gt_i64_e32 vcc, s[26:27], v[20:21]
	s_orn2_b64 s[44:45], vcc, exec
.LBB1191_295:
	s_or_b64 exec, exec, s[40:41]
.LBB1191_296:
	s_and_b64 s[40:41], s[44:45], exec
.LBB1191_297:
	s_or_b64 exec, exec, s[42:43]
	v_cmp_gt_u32_e32 vcc, s52, v27
	s_and_saveexec_b64 s[42:43], vcc
	s_cbranch_execz .LBB1191_308
; %bb.298:
	s_andn2_b64 vcc, exec, s[6:7]
	s_mov_b64 s[44:45], 0
	s_cbranch_vccnz .LBB1191_307
; %bb.299:
	v_mul_lo_u32 v18, v11, s26
	v_mul_lo_u32 v19, v10, s27
	s_waitcnt vmcnt(0) lgkmcnt(1)
	v_mad_u64_u32 v[16:17], s[38:39], v10, s26, 0
	v_add3_u32 v17, v17, v19, v18
	v_mul_lo_u32 v18, v13, s26
	v_mul_lo_u32 v19, v12, s27
	v_mad_u64_u32 v[20:21], s[38:39], v12, s26, 0
	v_add3_u32 v21, v21, v19, v18
	v_lshl_add_u64 v[18:19], v[16:17], 1, s[28:29]
	v_lshl_add_u64 v[16:17], v[20:21], 1, s[28:29]
	global_load_ushort v20, v[16:17], off
	global_load_ushort v21, v[18:19], off
	s_mov_b64 s[44:45], -1
	s_waitcnt vmcnt(1)
	v_lshlrev_b32_e32 v20, 16, v20
	s_waitcnt vmcnt(0)
	v_lshlrev_b32_e32 v21, 16, v21
	v_cmp_eq_f32_e32 vcc, v21, v20
	s_and_saveexec_b64 s[38:39], vcc
	s_cbranch_execz .LBB1191_306
; %bb.300:
	s_add_u32 s44, s26, -1
	v_lshl_add_u64 v[16:17], v[16:17], 0, 2
	v_lshl_add_u64 v[18:19], v[18:19], 0, 2
	s_addc_u32 s45, s27, -1
	s_mov_b64 s[46:47], 0
	s_mov_b64 s[50:51], 0
                                        ; implicit-def: $sgpr48_sgpr49
	s_branch .LBB1191_303
.LBB1191_301:                           ;   in Loop: Header=BB1191_303 Depth=1
	global_load_ushort v20, v[16:17], off
	global_load_ushort v21, v[18:19], off
	s_add_u32 s50, s50, 1
	s_addc_u32 s51, s51, 0
	s_andn2_b64 s[48:49], s[48:49], exec
	v_lshl_add_u64 v[16:17], v[16:17], 0, 2
	v_lshl_add_u64 v[18:19], v[18:19], 0, 2
	s_waitcnt vmcnt(1)
	v_lshlrev_b32_e32 v20, 16, v20
	s_waitcnt vmcnt(0)
	v_lshlrev_b32_e32 v21, 16, v21
	v_cmp_neq_f32_e32 vcc, v21, v20
	s_and_b64 s[54:55], vcc, exec
	s_or_b64 s[48:49], s[48:49], s[54:55]
.LBB1191_302:                           ;   in Loop: Header=BB1191_303 Depth=1
	s_and_b64 s[54:55], exec, s[48:49]
	s_or_b64 s[46:47], s[54:55], s[46:47]
	v_mov_b64_e32 v[20:21], s[50:51]
	s_andn2_b64 exec, exec, s[46:47]
	s_cbranch_execz .LBB1191_305
.LBB1191_303:                           ; =>This Inner Loop Header: Depth=1
	s_or_b64 s[48:49], s[48:49], exec
	s_cmp_eq_u64 s[44:45], s[50:51]
	s_cbranch_scc0 .LBB1191_301
; %bb.304:                              ;   in Loop: Header=BB1191_303 Depth=1
                                        ; implicit-def: $vgpr16_vgpr17
                                        ; implicit-def: $vgpr18_vgpr19
	s_mov_b64 s[50:51], s[26:27]
	s_branch .LBB1191_302
.LBB1191_305:
	s_or_b64 exec, exec, s[46:47]
	v_cmp_gt_i64_e32 vcc, s[26:27], v[20:21]
	s_orn2_b64 s[44:45], vcc, exec
.LBB1191_306:
	s_or_b64 exec, exec, s[38:39]
.LBB1191_307:
	s_and_b64 s[38:39], s[44:45], exec
.LBB1191_308:
	s_or_b64 exec, exec, s[42:43]
	s_waitcnt vmcnt(0) lgkmcnt(1)
	v_cndmask_b32_e64 v17, 0, 1, s[14:15]
	v_cndmask_b32_e64 v16, 0, 1, s[40:41]
	;; [unrolled: 1-line block ×3, first 2 shown]
	v_lshlrev_b16_e32 v17, 8, v17
	v_cndmask_b32_e64 v25, 0, 1, s[12:13]
	v_cndmask_b32_e64 v18, 0, 1, s[38:39]
	v_or_b32_sdwa v16, v16, v17 dst_sel:WORD_1 dst_unused:UNUSED_PAD src0_sel:DWORD src1_sel:DWORD
	v_lshlrev_b16_e32 v17, 8, v34
	v_lshlrev_b16_e32 v18, 8, v18
	v_or_b32_e32 v17, v25, v17
	v_or_b32_e32 v18, 1, v18
	v_and_b32_e32 v17, 0xffff, v17
	v_cndmask_b32_e64 v35, 0, 1, s[4:5]
	v_or_b32_sdwa v16, v18, v16 dst_sel:DWORD dst_unused:UNUSED_PAD src0_sel:WORD_0 src1_sel:DWORD
	v_lshl_or_b32 v17, v35, 16, v17
	s_waitcnt lgkmcnt(0)
	s_barrier
	s_waitcnt lgkmcnt(0)
                                        ; implicit-def: $sgpr12_sgpr13
                                        ; implicit-def: $vgpr20
	s_and_saveexec_b64 s[4:5], s[2:3]
	s_cbranch_execz .LBB1191_321
; %bb.309:
	v_cmp_gt_u32_e32 vcc, s52, v1
	s_mov_b32 s38, 0x3020104
	s_mov_b64 s[10:11], 0
	s_and_saveexec_b64 s[2:3], vcc
	s_cbranch_execz .LBB1191_320
; %bb.310:
	s_andn2_b64 vcc, exec, s[6:7]
	s_cbranch_vccnz .LBB1191_319
; %bb.311:
	v_add_u32_e32 v17, -8, v24
	ds_read_b64 v[18:19], v17
	v_mul_lo_u32 v17, v11, s26
	v_mad_u64_u32 v[22:23], s[6:7], v10, s26, 0
	s_mov_b64 s[10:11], -1
	s_waitcnt lgkmcnt(0)
	v_mul_lo_u32 v20, v19, s26
	v_mul_lo_u32 v21, v18, s27
	v_mad_u64_u32 v[18:19], s[6:7], v18, s26, 0
	v_add3_u32 v19, v19, v21, v20
	v_mul_lo_u32 v20, v10, s27
	v_add3_u32 v23, v23, v20, v17
	v_lshl_add_u64 v[20:21], v[18:19], 1, s[28:29]
	v_lshl_add_u64 v[18:19], v[22:23], 1, s[28:29]
	global_load_ushort v17, v[18:19], off
	global_load_ushort v22, v[20:21], off
	s_waitcnt vmcnt(1)
	v_lshlrev_b32_e32 v17, 16, v17
	s_waitcnt vmcnt(0)
	v_lshlrev_b32_e32 v22, 16, v22
	v_cmp_eq_f32_e32 vcc, v22, v17
	s_and_saveexec_b64 s[6:7], vcc
	s_cbranch_execz .LBB1191_318
; %bb.312:
	s_add_u32 s10, s26, -1
	v_lshl_add_u64 v[18:19], v[18:19], 0, 2
	v_lshl_add_u64 v[20:21], v[20:21], 0, 2
	s_addc_u32 s11, s27, -1
	s_mov_b64 s[12:13], 0
	s_mov_b64 s[28:29], 0
                                        ; implicit-def: $sgpr14_sgpr15
	s_branch .LBB1191_315
.LBB1191_313:                           ;   in Loop: Header=BB1191_315 Depth=1
	global_load_ushort v17, v[18:19], off
	global_load_ushort v22, v[20:21], off
	s_add_u32 s28, s28, 1
	s_addc_u32 s29, s29, 0
	s_andn2_b64 s[14:15], s[14:15], exec
	v_lshl_add_u64 v[18:19], v[18:19], 0, 2
	v_lshl_add_u64 v[20:21], v[20:21], 0, 2
	s_waitcnt vmcnt(1)
	v_lshlrev_b32_e32 v17, 16, v17
	s_waitcnt vmcnt(0)
	v_lshlrev_b32_e32 v22, 16, v22
	v_cmp_neq_f32_e32 vcc, v22, v17
	s_and_b64 s[40:41], vcc, exec
	s_or_b64 s[14:15], s[14:15], s[40:41]
.LBB1191_314:                           ;   in Loop: Header=BB1191_315 Depth=1
	s_and_b64 s[40:41], exec, s[14:15]
	s_or_b64 s[12:13], s[40:41], s[12:13]
	v_mov_b64_e32 v[22:23], s[28:29]
	s_andn2_b64 exec, exec, s[12:13]
	s_cbranch_execz .LBB1191_317
.LBB1191_315:                           ; =>This Inner Loop Header: Depth=1
	s_or_b64 s[14:15], s[14:15], exec
	s_cmp_eq_u64 s[10:11], s[28:29]
	s_cbranch_scc0 .LBB1191_313
; %bb.316:                              ;   in Loop: Header=BB1191_315 Depth=1
                                        ; implicit-def: $vgpr18_vgpr19
                                        ; implicit-def: $vgpr20_vgpr21
	s_mov_b64 s[28:29], s[26:27]
	s_branch .LBB1191_314
.LBB1191_317:
	s_or_b64 exec, exec, s[12:13]
	v_cmp_gt_i64_e32 vcc, s[26:27], v[22:23]
	s_orn2_b64 s[10:11], vcc, exec
.LBB1191_318:
	s_or_b64 exec, exec, s[6:7]
.LBB1191_319:
	s_and_b64 s[10:11], s[10:11], exec
.LBB1191_320:
	s_or_b64 exec, exec, s[2:3]
	v_perm_b32 v20, v16, v16, s38
	s_and_b64 s[12:13], s[10:11], exec
	s_or_b64 s[8:9], s[8:9], exec
                                        ; implicit-def: $vgpr16_vgpr17
.LBB1191_321:
	s_or_b64 exec, exec, s[4:5]
.LBB1191_322:
	s_and_saveexec_b64 s[2:3], s[8:9]
	s_cbranch_execz .LBB1191_324
; %bb.323:
	s_waitcnt vmcnt(0) lgkmcnt(0)
	v_lshlrev_b16_e32 v17, 8, v34
	v_and_b32_e32 v18, 0xff, v35
	v_or_b32_sdwa v17, v25, v17 dst_sel:DWORD dst_unused:UNUSED_PAD src0_sel:BYTE_0 src1_sel:DWORD
	v_lshlrev_b32_e32 v18, 16, v18
	s_movk_i32 s4, 0xff
	v_or_b32_sdwa v17, v17, v18 dst_sel:DWORD dst_unused:UNUSED_PAD src0_sel:WORD_0 src1_sel:DWORD
	v_lshrrev_b32_e32 v18, 24, v20
	v_lshlrev_b16_e32 v18, 8, v18
	v_and_b32_sdwa v19, v20, s4 dst_sel:DWORD dst_unused:UNUSED_PAD src0_sel:WORD_1 src1_sel:DWORD
	v_or_b32_sdwa v18, v19, v18 dst_sel:WORD_1 dst_unused:UNUSED_PAD src0_sel:DWORD src1_sel:DWORD
	v_mov_b32_e32 v19, 8
	v_cndmask_b32_e64 v16, 0, 1, s[12:13]
	v_lshrrev_b32_sdwa v19, v19, v20 dst_sel:BYTE_1 dst_unused:UNUSED_PAD src0_sel:DWORD src1_sel:DWORD
	s_nop 0
	v_or_b32_e32 v16, v16, v19
	v_or_b32_sdwa v16, v16, v18 dst_sel:DWORD dst_unused:UNUSED_PAD src0_sel:WORD_0 src1_sel:DWORD
.LBB1191_324:
	s_or_b64 exec, exec, s[2:3]
	s_andn2_b64 vcc, exec, s[0:1]
	s_cbranch_vccnz .LBB1191_326
; %bb.325:
	s_waitcnt vmcnt(0) lgkmcnt(0)
	v_and_b32_e32 v18, 0xffff0000, v16
	v_cmp_gt_u32_e32 vcc, s52, v1
	s_mov_b32 s0, 0x40c0100
	s_nop 0
	v_cndmask_b32_e32 v1, v18, v16, vcc
	v_and_b32_e32 v1, 0xffff00ff, v1
	v_cmp_gt_u32_e32 vcc, s52, v27
	s_nop 1
	v_cndmask_b32_e32 v1, v1, v16, vcc
	v_lshrrev_b32_e32 v18, 24, v1
	v_perm_b32 v1, v18, v1, s0
	v_cmp_gt_u32_e32 vcc, s52, v26
	v_and_b32_e32 v18, 0xffffff00, v17
	s_nop 0
	v_cndmask_b32_e32 v1, v1, v16, vcc
	v_and_b32_e32 v1, 0xffffff, v1
	v_cmp_gt_u32_e32 vcc, s52, v30
	s_nop 1
	v_cndmask_b32_e32 v1, v1, v16, vcc
	v_cmp_gt_u32_e32 vcc, s52, v28
	s_nop 1
	v_cndmask_b32_e32 v18, v18, v17, vcc
	v_and_b32_e32 v18, 0xffff00ff, v18
	v_cndmask_b32_e32 v1, v1, v16, vcc
	v_cmp_gt_u32_e32 vcc, s52, v31
	s_nop 1
	v_cndmask_b32_e32 v18, v18, v17, vcc
	v_lshrrev_b32_e32 v19, 24, v18
	v_cndmask_b32_e32 v1, v1, v16, vcc
	v_perm_b32 v18, v19, v18, s0
	v_cmp_gt_u32_e32 vcc, s52, v29
	s_mov_b32 s0, 0x3020104
	s_nop 0
	v_cndmask_b32_e32 v1, v1, v16, vcc
	v_cndmask_b32_e32 v16, v18, v17, vcc
	v_mov_b32_e32 v17, 8
	v_lshrrev_b32_sdwa v17, v17, v16 dst_sel:BYTE_1 dst_unused:UNUSED_PAD src0_sel:DWORD src1_sel:DWORD
	s_nop 0
	v_or_b32_sdwa v17, v16, v17 dst_sel:DWORD dst_unused:UNUSED_PAD src0_sel:BYTE_0 src1_sel:DWORD
	v_and_b32_e32 v17, 0xffff, v17
	v_bfe_u32 v16, v16, 16, 8
	v_lshl_or_b32 v17, v16, 16, v17
	v_perm_b32 v16, v1, v1, s0
.LBB1191_326:
	s_waitcnt vmcnt(0) lgkmcnt(0)
	v_and_b32_e32 v1, 0xff, v16
	v_bfe_u32 v29, v16, 8, 8
	v_bfe_u32 v31, v16, 16, 8
	v_alignbit_b32 v18, v17, v16, 24
	v_and_b32_e32 v33, 0xff, v18
	v_and_b32_e32 v35, 0xff, v17
	v_add3_u32 v19, v29, v1, v31
	v_bfe_u32 v36, v17, 8, 8
	v_bfe_u32 v18, v17, 16, 8
	v_add3_u32 v19, v19, v33, v35
	v_add3_u32 v39, v19, v36, v18
	v_mbcnt_lo_u32_b32 v18, -1, 0
	v_mbcnt_hi_u32_b32 v37, -1, v18
	v_and_b32_e32 v18, 15, v37
	v_cmp_eq_u32_e64 s[14:15], 0, v18
	v_cmp_lt_u32_e64 s[12:13], 1, v18
	v_cmp_lt_u32_e64 s[10:11], 3, v18
	;; [unrolled: 1-line block ×3, first 2 shown]
	v_and_b32_e32 v18, 16, v37
	v_cmp_eq_u32_e64 s[6:7], 0, v18
	v_or_b32_e32 v18, 63, v0
	v_cmp_lt_u32_e64 s[2:3], 31, v37
	v_lshrrev_b32_e32 v38, 6, v0
	v_cmp_eq_u32_e64 s[4:5], v18, v0
	s_and_b64 vcc, exec, s[16:17]
	s_barrier
	s_cbranch_vccz .LBB1191_357
; %bb.327:
	v_mov_b32_dpp v18, v39 row_shr:1 row_mask:0xf bank_mask:0xf
	v_cndmask_b32_e64 v18, v18, 0, s[14:15]
	v_add_u32_e32 v18, v18, v39
	s_nop 1
	v_mov_b32_dpp v19, v18 row_shr:2 row_mask:0xf bank_mask:0xf
	v_cndmask_b32_e64 v19, 0, v19, s[12:13]
	v_add_u32_e32 v18, v18, v19
	s_nop 1
	;; [unrolled: 4-line block ×4, first 2 shown]
	v_mov_b32_dpp v19, v18 row_bcast:15 row_mask:0xf bank_mask:0xf
	v_cndmask_b32_e64 v19, v19, 0, s[6:7]
	v_add_u32_e32 v18, v18, v19
	s_nop 1
	v_mov_b32_dpp v19, v18 row_bcast:31 row_mask:0xf bank_mask:0xf
	v_cndmask_b32_e64 v19, 0, v19, s[2:3]
	v_add_u32_e32 v18, v18, v19
	s_and_saveexec_b64 s[0:1], s[4:5]
	s_cbranch_execz .LBB1191_329
; %bb.328:
	v_lshlrev_b32_e32 v19, 2, v38
	ds_write_b32 v19, v18
.LBB1191_329:
	s_or_b64 exec, exec, s[0:1]
	v_cmp_gt_u32_e32 vcc, 8, v0
	s_waitcnt lgkmcnt(0)
	s_barrier
	s_and_saveexec_b64 s[0:1], vcc
	s_cbranch_execz .LBB1191_331
; %bb.330:
	v_lshlrev_b32_e32 v19, 2, v0
	ds_read_b32 v20, v19
	v_and_b32_e32 v21, 7, v37
	v_cmp_ne_u32_e32 vcc, 0, v21
	s_waitcnt lgkmcnt(0)
	v_mov_b32_dpp v22, v20 row_shr:1 row_mask:0xf bank_mask:0xf
	v_cndmask_b32_e32 v22, 0, v22, vcc
	v_add_u32_e32 v20, v22, v20
	v_cmp_lt_u32_e32 vcc, 1, v21
	s_nop 0
	v_mov_b32_dpp v22, v20 row_shr:2 row_mask:0xf bank_mask:0xf
	v_cndmask_b32_e32 v22, 0, v22, vcc
	v_add_u32_e32 v20, v20, v22
	v_cmp_lt_u32_e32 vcc, 3, v21
	s_nop 0
	v_mov_b32_dpp v22, v20 row_shr:4 row_mask:0xf bank_mask:0xf
	v_cndmask_b32_e32 v21, 0, v22, vcc
	v_add_u32_e32 v20, v20, v21
	ds_write_b32 v19, v20
.LBB1191_331:
	s_or_b64 exec, exec, s[0:1]
	v_cmp_gt_u32_e32 vcc, 64, v0
	v_cmp_lt_u32_e64 s[0:1], 63, v0
	s_waitcnt lgkmcnt(0)
	s_barrier
	s_waitcnt lgkmcnt(0)
                                        ; implicit-def: $vgpr28
	s_and_saveexec_b64 s[16:17], s[0:1]
	s_cbranch_execz .LBB1191_333
; %bb.332:
	v_lshl_add_u32 v19, v38, 2, -4
	ds_read_b32 v28, v19
	s_waitcnt lgkmcnt(0)
	v_add_u32_e32 v18, v28, v18
.LBB1191_333:
	s_or_b64 exec, exec, s[16:17]
	v_add_u32_e32 v19, -1, v37
	v_and_b32_e32 v20, 64, v37
	v_cmp_lt_i32_e64 s[0:1], v19, v20
	v_cmp_eq_u32_e64 s[16:17], 0, v37
	s_nop 0
	v_cndmask_b32_e64 v19, v19, v37, s[0:1]
	v_lshlrev_b32_e32 v19, 2, v19
	ds_bpermute_b32 v30, v19, v18
	s_and_saveexec_b64 s[0:1], vcc
	s_cbranch_execz .LBB1191_356
; %bb.334:
	v_mov_b32_e32 v27, 0
	ds_read_b32 v18, v27 offset:28
	s_and_saveexec_b64 s[26:27], s[16:17]
	s_cbranch_execz .LBB1191_336
; %bb.335:
	s_add_i32 s28, s33, 64
	s_mov_b32 s29, 0
	s_lshl_b64 s[28:29], s[28:29], 3
	s_add_u32 s28, s30, s28
	v_mov_b32_e32 v19, 1
	s_addc_u32 s29, s31, s29
	s_waitcnt lgkmcnt(0)
	global_store_dwordx2 v27, v[18:19], s[28:29] sc1
.LBB1191_336:
	s_or_b64 exec, exec, s[26:27]
	v_xad_u32 v20, v37, -1, s33
	v_add_u32_e32 v26, 64, v20
	v_lshl_add_u64 v[22:23], v[26:27], 3, s[30:31]
	global_load_dwordx2 v[24:25], v[22:23], off sc1
	s_waitcnt vmcnt(0)
	v_cmp_eq_u16_sdwa s[28:29], v25, v27 src0_sel:BYTE_0 src1_sel:DWORD
	s_and_saveexec_b64 s[26:27], s[28:29]
	s_cbranch_execz .LBB1191_342
; %bb.337:
	s_mov_b32 s38, 1
	s_mov_b64 s[28:29], 0
	v_mov_b32_e32 v19, 0
.LBB1191_338:                           ; =>This Loop Header: Depth=1
                                        ;     Child Loop BB1191_339 Depth 2
	s_max_u32 s39, s38, 1
.LBB1191_339:                           ;   Parent Loop BB1191_338 Depth=1
                                        ; =>  This Inner Loop Header: Depth=2
	s_add_i32 s39, s39, -1
	s_cmp_eq_u32 s39, 0
	s_sleep 1
	s_cbranch_scc0 .LBB1191_339
; %bb.340:                              ;   in Loop: Header=BB1191_338 Depth=1
	global_load_dwordx2 v[24:25], v[22:23], off sc1
	s_cmp_lt_u32 s38, 32
	s_cselect_b64 s[40:41], -1, 0
	s_cmp_lg_u64 s[40:41], 0
	s_addc_u32 s38, s38, 0
	s_waitcnt vmcnt(0)
	v_cmp_ne_u16_sdwa s[40:41], v25, v19 src0_sel:BYTE_0 src1_sel:DWORD
	s_or_b64 s[28:29], s[40:41], s[28:29]
	s_andn2_b64 exec, exec, s[28:29]
	s_cbranch_execnz .LBB1191_338
; %bb.341:
	s_or_b64 exec, exec, s[28:29]
.LBB1191_342:
	s_or_b64 exec, exec, s[26:27]
	v_and_b32_e32 v32, 63, v37
	v_mov_b32_e32 v19, 2
	v_cmp_ne_u32_e32 vcc, 63, v32
	v_cmp_eq_u16_sdwa s[26:27], v25, v19 src0_sel:BYTE_0 src1_sel:DWORD
	v_lshlrev_b64 v[22:23], v37, -1
	v_addc_co_u32_e32 v27, vcc, 0, v37, vcc
	v_and_b32_e32 v21, s27, v23
	v_lshlrev_b32_e32 v34, 2, v27
	v_or_b32_e32 v21, 0x80000000, v21
	ds_bpermute_b32 v27, v34, v24
	v_and_b32_e32 v26, s26, v22
	v_ffbl_b32_e32 v21, v21
	v_add_u32_e32 v21, 32, v21
	v_ffbl_b32_e32 v26, v26
	v_min_u32_e32 v21, v26, v21
	v_cmp_lt_u32_e32 vcc, v32, v21
	v_add_u32_e32 v41, 2, v32
	v_add_u32_e32 v43, 4, v32
	s_waitcnt lgkmcnt(0)
	v_cndmask_b32_e32 v26, 0, v27, vcc
	v_cmp_gt_u32_e32 vcc, 62, v32
	v_add_u32_e32 v24, v26, v24
	v_add_u32_e32 v45, 8, v32
	v_cndmask_b32_e64 v26, 0, 1, vcc
	v_lshlrev_b32_e32 v26, 1, v26
	v_add_lshl_u32 v40, v26, v37, 2
	ds_bpermute_b32 v26, v40, v24
	v_cmp_le_u32_e32 vcc, v41, v21
	v_add_u32_e32 v48, 16, v32
	v_add_u32_e32 v50, 32, v32
	s_waitcnt lgkmcnt(0)
	v_cndmask_b32_e32 v26, 0, v26, vcc
	v_cmp_gt_u32_e32 vcc, 60, v32
	v_add_u32_e32 v24, v24, v26
	s_nop 0
	v_cndmask_b32_e64 v26, 0, 1, vcc
	v_lshlrev_b32_e32 v26, 2, v26
	v_add_lshl_u32 v42, v26, v37, 2
	ds_bpermute_b32 v26, v42, v24
	v_cmp_le_u32_e32 vcc, v43, v21
	s_waitcnt lgkmcnt(0)
	s_nop 0
	v_cndmask_b32_e32 v26, 0, v26, vcc
	v_cmp_gt_u32_e32 vcc, 56, v32
	v_add_u32_e32 v24, v24, v26
	s_nop 0
	v_cndmask_b32_e64 v26, 0, 1, vcc
	v_lshlrev_b32_e32 v26, 3, v26
	v_add_lshl_u32 v44, v26, v37, 2
	ds_bpermute_b32 v26, v44, v24
	v_cmp_le_u32_e32 vcc, v45, v21
	s_waitcnt lgkmcnt(0)
	s_nop 0
	v_cndmask_b32_e32 v26, 0, v26, vcc
	v_cmp_gt_u32_e32 vcc, 48, v32
	v_add_u32_e32 v24, v24, v26
	s_nop 0
	v_cndmask_b32_e64 v26, 0, 1, vcc
	v_lshlrev_b32_e32 v26, 4, v26
	v_add_lshl_u32 v47, v26, v37, 2
	ds_bpermute_b32 v26, v47, v24
	v_cmp_le_u32_e32 vcc, v48, v21
	s_waitcnt lgkmcnt(0)
	s_nop 0
	v_cndmask_b32_e32 v26, 0, v26, vcc
	v_cmp_gt_u32_e32 vcc, 32, v32
	v_add_u32_e32 v24, v24, v26
	s_nop 0
	v_cndmask_b32_e64 v26, 0, 1, vcc
	v_lshlrev_b32_e32 v26, 5, v26
	v_add_lshl_u32 v49, v26, v37, 2
	ds_bpermute_b32 v26, v49, v24
	v_cmp_le_u32_e32 vcc, v50, v21
	s_waitcnt lgkmcnt(0)
	s_nop 0
	v_cndmask_b32_e32 v21, 0, v26, vcc
	v_add_u32_e32 v24, v24, v21
	v_mov_b32_e32 v21, 0
	s_branch .LBB1191_344
.LBB1191_343:                           ;   in Loop: Header=BB1191_344 Depth=1
	s_or_b64 exec, exec, s[26:27]
	v_cmp_eq_u16_sdwa s[26:27], v25, v19 src0_sel:BYTE_0 src1_sel:DWORD
	ds_bpermute_b32 v51, v34, v24
	v_subrev_u32_e32 v20, 64, v20
	v_and_b32_e32 v26, s27, v23
	v_or_b32_e32 v26, 0x80000000, v26
	v_and_b32_e32 v27, s26, v22
	v_ffbl_b32_e32 v26, v26
	v_add_u32_e32 v26, 32, v26
	v_ffbl_b32_e32 v27, v27
	v_min_u32_e32 v26, v27, v26
	v_cmp_lt_u32_e32 vcc, v32, v26
	s_waitcnt lgkmcnt(0)
	s_nop 0
	v_cndmask_b32_e32 v27, 0, v51, vcc
	v_add_u32_e32 v24, v27, v24
	ds_bpermute_b32 v27, v40, v24
	v_cmp_le_u32_e32 vcc, v41, v26
	s_waitcnt lgkmcnt(0)
	s_nop 0
	v_cndmask_b32_e32 v27, 0, v27, vcc
	v_add_u32_e32 v24, v24, v27
	ds_bpermute_b32 v27, v42, v24
	v_cmp_le_u32_e32 vcc, v43, v26
	;; [unrolled: 6-line block ×5, first 2 shown]
	s_waitcnt lgkmcnt(0)
	s_nop 0
	v_cndmask_b32_e32 v26, 0, v27, vcc
	v_add3_u32 v24, v26, v46, v24
.LBB1191_344:                           ; =>This Loop Header: Depth=1
                                        ;     Child Loop BB1191_347 Depth 2
                                        ;       Child Loop BB1191_348 Depth 3
	v_cmp_ne_u16_sdwa s[26:27], v25, v19 src0_sel:BYTE_0 src1_sel:DWORD
	v_mov_b32_e32 v46, v24
	s_nop 0
	v_cndmask_b32_e64 v25, 0, 1, s[26:27]
	;;#ASMSTART
	;;#ASMEND
	s_nop 0
	v_cmp_ne_u32_e32 vcc, 0, v25
	s_cmp_lg_u64 vcc, exec
	s_cbranch_scc1 .LBB1191_351
; %bb.345:                              ;   in Loop: Header=BB1191_344 Depth=1
	v_lshl_add_u64 v[26:27], v[20:21], 3, s[30:31]
	global_load_dwordx2 v[24:25], v[26:27], off sc1
	s_waitcnt vmcnt(0)
	v_cmp_eq_u16_sdwa s[28:29], v25, v21 src0_sel:BYTE_0 src1_sel:DWORD
	s_and_saveexec_b64 s[26:27], s[28:29]
	s_cbranch_execz .LBB1191_343
; %bb.346:                              ;   in Loop: Header=BB1191_344 Depth=1
	s_mov_b32 s38, 1
	s_mov_b64 s[28:29], 0
.LBB1191_347:                           ;   Parent Loop BB1191_344 Depth=1
                                        ; =>  This Loop Header: Depth=2
                                        ;       Child Loop BB1191_348 Depth 3
	s_max_u32 s39, s38, 1
.LBB1191_348:                           ;   Parent Loop BB1191_344 Depth=1
                                        ;     Parent Loop BB1191_347 Depth=2
                                        ; =>    This Inner Loop Header: Depth=3
	s_add_i32 s39, s39, -1
	s_cmp_eq_u32 s39, 0
	s_sleep 1
	s_cbranch_scc0 .LBB1191_348
; %bb.349:                              ;   in Loop: Header=BB1191_347 Depth=2
	global_load_dwordx2 v[24:25], v[26:27], off sc1
	s_cmp_lt_u32 s38, 32
	s_cselect_b64 s[40:41], -1, 0
	s_cmp_lg_u64 s[40:41], 0
	s_addc_u32 s38, s38, 0
	s_waitcnt vmcnt(0)
	v_cmp_ne_u16_sdwa s[40:41], v25, v21 src0_sel:BYTE_0 src1_sel:DWORD
	s_or_b64 s[28:29], s[40:41], s[28:29]
	s_andn2_b64 exec, exec, s[28:29]
	s_cbranch_execnz .LBB1191_347
; %bb.350:                              ;   in Loop: Header=BB1191_344 Depth=1
	s_or_b64 exec, exec, s[28:29]
	s_branch .LBB1191_343
.LBB1191_351:                           ;   in Loop: Header=BB1191_344 Depth=1
                                        ; implicit-def: $vgpr24
                                        ; implicit-def: $vgpr25
	s_cbranch_execz .LBB1191_344
; %bb.352:
	s_and_saveexec_b64 s[26:27], s[16:17]
	s_cbranch_execz .LBB1191_354
; %bb.353:
	s_add_i32 s28, s33, 64
	s_mov_b32 s29, 0
	s_lshl_b64 s[28:29], s[28:29], 3
	s_add_u32 s28, s30, s28
	v_add_u32_e32 v20, v46, v18
	v_mov_b32_e32 v21, 2
	s_addc_u32 s29, s31, s29
	v_mov_b32_e32 v19, 0
	global_store_dwordx2 v19, v[20:21], s[28:29] sc1
	s_movk_i32 s28, 0x7000
	v_add_u32_e64 v19, s28, 0
	ds_write2_b32 v19, v18, v46 offset1:2
.LBB1191_354:
	s_or_b64 exec, exec, s[26:27]
	s_and_b64 exec, exec, s[18:19]
	s_cbranch_execz .LBB1191_356
; %bb.355:
	v_mov_b32_e32 v18, 0
	ds_write_b32 v18, v46 offset:28
.LBB1191_356:
	s_or_b64 exec, exec, s[0:1]
	v_mov_b32_e32 v18, 0
	s_waitcnt lgkmcnt(0)
	s_barrier
	ds_read_b32 v18, v18 offset:28
	v_cndmask_b32_e64 v19, v30, v28, s[16:17]
	v_cndmask_b32_e64 v19, v19, 0, s[18:19]
	s_movk_i32 s0, 0x7000
	s_waitcnt lgkmcnt(0)
	v_add_u32_e32 v34, v18, v19
	v_add_u32_e32 v32, v34, v1
	v_add_u32_e64 v18, s0, 0
	v_add_u32_e32 v30, v32, v29
	s_barrier
	ds_read2_b32 v[18:19], v18 offset1:2
	v_add_u32_e32 v28, v30, v31
	v_add_u32_e32 v26, v28, v33
	;; [unrolled: 1-line block ×4, first 2 shown]
	v_lshrrev_b64 v[20:21], 24, v[16:17]
	s_branch .LBB1191_367
.LBB1191_357:
                                        ; implicit-def: $vgpr22
                                        ; implicit-def: $vgpr24
                                        ; implicit-def: $vgpr26
                                        ; implicit-def: $vgpr28
                                        ; implicit-def: $vgpr30
                                        ; implicit-def: $vgpr32
                                        ; implicit-def: $vgpr34
                                        ; implicit-def: $vgpr19
	v_lshrrev_b64 v[20:21], 24, v[16:17]
	s_cbranch_execz .LBB1191_367
; %bb.358:
	s_waitcnt lgkmcnt(0)
	v_mov_b32_dpp v18, v39 row_shr:1 row_mask:0xf bank_mask:0xf
	v_cndmask_b32_e64 v18, v18, 0, s[14:15]
	v_add_u32_e32 v18, v18, v39
	s_nop 1
	v_mov_b32_dpp v19, v18 row_shr:2 row_mask:0xf bank_mask:0xf
	v_cndmask_b32_e64 v19, 0, v19, s[12:13]
	v_add_u32_e32 v18, v18, v19
	s_nop 1
	;; [unrolled: 4-line block ×4, first 2 shown]
	v_mov_b32_dpp v19, v18 row_bcast:15 row_mask:0xf bank_mask:0xf
	v_cndmask_b32_e64 v19, v19, 0, s[6:7]
	v_add_u32_e32 v18, v18, v19
	s_nop 1
	v_mov_b32_dpp v19, v18 row_bcast:31 row_mask:0xf bank_mask:0xf
	v_cndmask_b32_e64 v19, 0, v19, s[2:3]
	v_add_u32_e32 v18, v18, v19
	s_and_saveexec_b64 s[0:1], s[4:5]
	s_cbranch_execz .LBB1191_360
; %bb.359:
	v_lshlrev_b32_e32 v19, 2, v38
	ds_write_b32 v19, v18
.LBB1191_360:
	s_or_b64 exec, exec, s[0:1]
	v_cmp_gt_u32_e32 vcc, 8, v0
	s_waitcnt lgkmcnt(0)
	s_barrier
	s_and_saveexec_b64 s[0:1], vcc
	s_cbranch_execz .LBB1191_362
; %bb.361:
	v_lshlrev_b32_e32 v19, 2, v0
	ds_read_b32 v21, v19
	v_and_b32_e32 v22, 7, v37
	v_cmp_ne_u32_e32 vcc, 0, v22
	s_waitcnt lgkmcnt(0)
	v_mov_b32_dpp v23, v21 row_shr:1 row_mask:0xf bank_mask:0xf
	v_cndmask_b32_e32 v23, 0, v23, vcc
	v_add_u32_e32 v21, v23, v21
	v_cmp_lt_u32_e32 vcc, 1, v22
	s_nop 0
	v_mov_b32_dpp v23, v21 row_shr:2 row_mask:0xf bank_mask:0xf
	v_cndmask_b32_e32 v23, 0, v23, vcc
	v_add_u32_e32 v21, v21, v23
	v_cmp_lt_u32_e32 vcc, 3, v22
	s_nop 0
	v_mov_b32_dpp v23, v21 row_shr:4 row_mask:0xf bank_mask:0xf
	v_cndmask_b32_e32 v22, 0, v23, vcc
	v_add_u32_e32 v21, v21, v22
	ds_write_b32 v19, v21
.LBB1191_362:
	s_or_b64 exec, exec, s[0:1]
	v_cmp_lt_u32_e32 vcc, 63, v0
	v_mov_b32_e32 v19, 0
	v_mov_b32_e32 v21, 0
	s_waitcnt lgkmcnt(0)
	s_barrier
	s_and_saveexec_b64 s[0:1], vcc
	s_cbranch_execz .LBB1191_364
; %bb.363:
	v_lshl_add_u32 v21, v38, 2, -4
	ds_read_b32 v21, v21
.LBB1191_364:
	s_or_b64 exec, exec, s[0:1]
	v_add_u32_e32 v22, -1, v37
	v_and_b32_e32 v23, 64, v37
	v_cmp_lt_i32_e32 vcc, v22, v23
	s_waitcnt lgkmcnt(0)
	v_add_u32_e32 v18, v21, v18
	v_cndmask_b32_e32 v22, v22, v37, vcc
	v_lshlrev_b32_e32 v22, 2, v22
	ds_bpermute_b32 v22, v22, v18
	ds_read_b32 v18, v19 offset:28
	s_and_saveexec_b64 s[0:1], s[18:19]
	s_cbranch_execz .LBB1191_366
; %bb.365:
	v_mov_b32_e32 v23, 0
	v_mov_b32_e32 v19, 2
	s_waitcnt lgkmcnt(0)
	global_store_dwordx2 v23, v[18:19], s[30:31] offset:512 sc1
.LBB1191_366:
	s_or_b64 exec, exec, s[0:1]
	v_cmp_eq_u32_e32 vcc, 0, v37
	v_mov_b32_e32 v19, 0
	s_waitcnt lgkmcnt(0)
	v_cndmask_b32_e32 v21, v22, v21, vcc
	v_cndmask_b32_e64 v34, v21, 0, s[18:19]
	v_add_u32_e32 v32, v34, v1
	v_add_u32_e32 v30, v32, v29
	;; [unrolled: 1-line block ×6, first 2 shown]
	s_barrier
.LBB1191_367:
	s_movk_i32 s0, 0x201
	s_waitcnt lgkmcnt(0)
	v_cmp_gt_u32_e32 vcc, s0, v18
	v_lshrrev_b32_e32 v21, 8, v16
	v_lshrrev_b32_e32 v1, 8, v17
	s_mov_b64 s[0:1], -1
	s_cbranch_vccnz .LBB1191_371
; %bb.368:
	s_and_b64 vcc, exec, s[0:1]
	s_cbranch_vccnz .LBB1191_393
.LBB1191_369:
	s_and_b64 s[0:1], s[18:19], s[24:25]
	s_and_saveexec_b64 s[2:3], s[0:1]
	s_cbranch_execnz .LBB1191_411
.LBB1191_370:
	s_endpgm
.LBB1191_371:
	v_add_u32_e32 v23, v19, v18
	v_cmp_lt_u32_e32 vcc, v34, v23
	s_or_b64 s[2:3], s[36:37], vcc
	s_and_saveexec_b64 s[0:1], s[2:3]
	s_cbranch_execz .LBB1191_374
; %bb.372:
	v_and_b32_e32 v25, 1, v16
	v_cmp_eq_u32_e32 vcc, 1, v25
	s_and_b64 exec, exec, vcc
	s_cbranch_execz .LBB1191_374
; %bb.373:
	s_lshl_b64 s[2:3], s[22:23], 3
	s_add_u32 s2, s34, s2
	s_addc_u32 s3, s35, s3
	v_mov_b32_e32 v35, 0
	v_lshl_add_u64 v[36:37], v[34:35], 3, s[2:3]
	global_store_dwordx2 v[36:37], v[10:11], off
.LBB1191_374:
	s_or_b64 exec, exec, s[0:1]
	v_cmp_lt_u32_e32 vcc, v32, v23
	s_or_b64 s[2:3], s[36:37], vcc
	s_and_saveexec_b64 s[0:1], s[2:3]
	s_cbranch_execz .LBB1191_377
; %bb.375:
	v_and_b32_e32 v25, 1, v21
	v_cmp_eq_u32_e32 vcc, 1, v25
	s_and_b64 exec, exec, vcc
	s_cbranch_execz .LBB1191_377
; %bb.376:
	s_lshl_b64 s[2:3], s[22:23], 3
	s_add_u32 s2, s34, s2
	s_addc_u32 s3, s35, s3
	v_mov_b32_e32 v33, 0
	v_lshl_add_u64 v[36:37], v[32:33], 3, s[2:3]
	global_store_dwordx2 v[36:37], v[12:13], off
.LBB1191_377:
	s_or_b64 exec, exec, s[0:1]
	v_cmp_lt_u32_e32 vcc, v30, v23
	s_or_b64 s[2:3], s[36:37], vcc
	s_and_saveexec_b64 s[0:1], s[2:3]
	s_cbranch_execz .LBB1191_380
; %bb.378:
	v_mov_b32_e32 v25, 1
	v_and_b32_sdwa v25, v25, v16 dst_sel:DWORD dst_unused:UNUSED_PAD src0_sel:DWORD src1_sel:WORD_1
	v_cmp_eq_u32_e32 vcc, 1, v25
	s_and_b64 exec, exec, vcc
	s_cbranch_execz .LBB1191_380
; %bb.379:
	s_lshl_b64 s[2:3], s[22:23], 3
	s_add_u32 s2, s34, s2
	s_addc_u32 s3, s35, s3
	v_mov_b32_e32 v31, 0
	v_lshl_add_u64 v[36:37], v[30:31], 3, s[2:3]
	global_store_dwordx2 v[36:37], v[6:7], off
.LBB1191_380:
	s_or_b64 exec, exec, s[0:1]
	v_cmp_lt_u32_e32 vcc, v28, v23
	s_or_b64 s[2:3], s[36:37], vcc
	s_and_saveexec_b64 s[0:1], s[2:3]
	s_cbranch_execz .LBB1191_383
; %bb.381:
	v_and_b32_e32 v25, 1, v20
	v_cmp_eq_u32_e32 vcc, 1, v25
	s_and_b64 exec, exec, vcc
	s_cbranch_execz .LBB1191_383
; %bb.382:
	s_lshl_b64 s[2:3], s[22:23], 3
	s_add_u32 s2, s34, s2
	s_addc_u32 s3, s35, s3
	v_mov_b32_e32 v29, 0
	v_lshl_add_u64 v[36:37], v[28:29], 3, s[2:3]
	global_store_dwordx2 v[36:37], v[8:9], off
.LBB1191_383:
	s_or_b64 exec, exec, s[0:1]
	v_cmp_lt_u32_e32 vcc, v26, v23
	s_or_b64 s[2:3], s[36:37], vcc
	s_and_saveexec_b64 s[0:1], s[2:3]
	s_cbranch_execz .LBB1191_386
; %bb.384:
	v_and_b32_e32 v25, 1, v17
	v_cmp_eq_u32_e32 vcc, 1, v25
	s_and_b64 exec, exec, vcc
	s_cbranch_execz .LBB1191_386
; %bb.385:
	s_lshl_b64 s[2:3], s[22:23], 3
	s_add_u32 s2, s34, s2
	s_addc_u32 s3, s35, s3
	v_mov_b32_e32 v27, 0
	v_lshl_add_u64 v[36:37], v[26:27], 3, s[2:3]
	global_store_dwordx2 v[36:37], v[2:3], off
.LBB1191_386:
	;; [unrolled: 18-line block ×3, first 2 shown]
	s_or_b64 exec, exec, s[0:1]
	v_cmp_lt_u32_e32 vcc, v22, v23
	s_or_b64 s[2:3], s[36:37], vcc
	s_and_saveexec_b64 s[0:1], s[2:3]
	s_cbranch_execz .LBB1191_392
; %bb.390:
	v_mov_b32_e32 v23, 1
	v_and_b32_sdwa v23, v23, v17 dst_sel:DWORD dst_unused:UNUSED_PAD src0_sel:DWORD src1_sel:WORD_1
	v_cmp_eq_u32_e32 vcc, 1, v23
	s_and_b64 exec, exec, vcc
	s_cbranch_execz .LBB1191_392
; %bb.391:
	s_lshl_b64 s[2:3], s[22:23], 3
	s_add_u32 s2, s34, s2
	s_addc_u32 s3, s35, s3
	v_mov_b32_e32 v23, 0
	v_lshl_add_u64 v[36:37], v[22:23], 3, s[2:3]
	global_store_dwordx2 v[36:37], v[14:15], off
.LBB1191_392:
	s_or_b64 exec, exec, s[0:1]
	s_branch .LBB1191_369
.LBB1191_393:
	v_and_b32_e32 v23, 1, v16
	v_cmp_eq_u32_e32 vcc, 1, v23
	s_and_saveexec_b64 s[0:1], vcc
	s_cbranch_execz .LBB1191_395
; %bb.394:
	v_sub_u32_e32 v23, v34, v19
	v_lshlrev_b32_e32 v23, 3, v23
	ds_write_b64 v23, v[10:11]
.LBB1191_395:
	s_or_b64 exec, exec, s[0:1]
	v_and_b32_e32 v10, 1, v21
	v_cmp_eq_u32_e32 vcc, 1, v10
	s_and_saveexec_b64 s[0:1], vcc
	s_cbranch_execz .LBB1191_397
; %bb.396:
	v_sub_u32_e32 v10, v32, v19
	v_lshlrev_b32_e32 v10, 3, v10
	ds_write_b64 v10, v[12:13]
.LBB1191_397:
	s_or_b64 exec, exec, s[0:1]
	v_mov_b32_e32 v10, 1
	v_and_b32_sdwa v10, v10, v16 dst_sel:DWORD dst_unused:UNUSED_PAD src0_sel:DWORD src1_sel:WORD_1
	v_cmp_eq_u32_e32 vcc, 1, v10
	s_and_saveexec_b64 s[0:1], vcc
	s_cbranch_execz .LBB1191_399
; %bb.398:
	v_sub_u32_e32 v10, v30, v19
	v_lshlrev_b32_e32 v10, 3, v10
	ds_write_b64 v10, v[6:7]
.LBB1191_399:
	s_or_b64 exec, exec, s[0:1]
	v_and_b32_e32 v6, 1, v20
	v_cmp_eq_u32_e32 vcc, 1, v6
	s_and_saveexec_b64 s[0:1], vcc
	s_cbranch_execz .LBB1191_401
; %bb.400:
	v_sub_u32_e32 v6, v28, v19
	v_lshlrev_b32_e32 v6, 3, v6
	ds_write_b64 v6, v[8:9]
.LBB1191_401:
	s_or_b64 exec, exec, s[0:1]
	v_and_b32_e32 v6, 1, v17
	v_cmp_eq_u32_e32 vcc, 1, v6
	s_and_saveexec_b64 s[0:1], vcc
	s_cbranch_execz .LBB1191_403
; %bb.402:
	v_sub_u32_e32 v6, v26, v19
	v_lshlrev_b32_e32 v6, 3, v6
	ds_write_b64 v6, v[2:3]
.LBB1191_403:
	s_or_b64 exec, exec, s[0:1]
	v_and_b32_e32 v1, 1, v1
	v_cmp_eq_u32_e32 vcc, 1, v1
	s_and_saveexec_b64 s[0:1], vcc
	s_cbranch_execz .LBB1191_405
; %bb.404:
	v_sub_u32_e32 v1, v24, v19
	v_lshlrev_b32_e32 v1, 3, v1
	ds_write_b64 v1, v[4:5]
.LBB1191_405:
	s_or_b64 exec, exec, s[0:1]
	v_mov_b32_e32 v1, 1
	v_and_b32_sdwa v1, v1, v17 dst_sel:DWORD dst_unused:UNUSED_PAD src0_sel:DWORD src1_sel:WORD_1
	v_cmp_eq_u32_e32 vcc, 1, v1
	s_and_saveexec_b64 s[0:1], vcc
	s_cbranch_execz .LBB1191_407
; %bb.406:
	v_sub_u32_e32 v1, v22, v19
	v_lshlrev_b32_e32 v1, 3, v1
	ds_write_b64 v1, v[14:15]
.LBB1191_407:
	s_or_b64 exec, exec, s[0:1]
	v_cmp_lt_u32_e32 vcc, v0, v18
	s_waitcnt lgkmcnt(0)
	s_barrier
	s_and_saveexec_b64 s[0:1], vcc
	s_cbranch_execz .LBB1191_410
; %bb.408:
	v_mov_b32_e32 v5, 0
	v_mov_b32_e32 v4, v19
	s_lshl_b64 s[2:3], s[22:23], 3
	v_lshlrev_b64 v[6:7], 3, v[4:5]
	v_lshl_add_u64 v[6:7], s[2:3], 0, v[6:7]
	v_lshlrev_b32_e32 v2, 3, v0
	v_mov_b32_e32 v3, v5
	v_lshl_add_u64 v[4:5], s[34:35], 0, v[6:7]
	v_lshl_add_u64 v[4:5], v[4:5], 0, v[2:3]
	s_mov_b64 s[2:3], 0
	s_mov_b64 s[4:5], 0x1000
.LBB1191_409:                           ; =>This Inner Loop Header: Depth=1
	ds_read_b64 v[6:7], v2
	v_add_u32_e32 v0, 0x200, v0
	v_cmp_ge_u32_e32 vcc, v0, v18
	v_add_u32_e32 v2, 0x1000, v2
	s_or_b64 s[2:3], vcc, s[2:3]
	s_waitcnt lgkmcnt(0)
	global_store_dwordx2 v[4:5], v[6:7], off
	v_lshl_add_u64 v[4:5], v[4:5], 0, s[4:5]
	s_andn2_b64 exec, exec, s[2:3]
	s_cbranch_execnz .LBB1191_409
.LBB1191_410:
	s_or_b64 exec, exec, s[0:1]
	s_and_b64 s[0:1], s[18:19], s[24:25]
	s_and_saveexec_b64 s[2:3], s[0:1]
	s_cbranch_execz .LBB1191_370
.LBB1191_411:
	v_mov_b32_e32 v1, 0
	v_mov_b32_e32 v0, v18
	v_lshl_add_u64 v[2:3], s[22:23], 0, v[0:1]
	v_mov_b32_e32 v0, v19
	v_lshl_add_u64 v[2:3], v[2:3], 0, v[0:1]
	global_store_dwordx2 v1, v[2:3], s[20:21]
	s_endpgm
	.section	.rodata,"a",@progbits
	.p2align	6, 0x0
	.amdhsa_kernel _ZN7rocprim17ROCPRIM_400000_NS6detail17trampoline_kernelINS0_14default_configENS1_25partition_config_selectorILNS1_17partition_subalgoE8ElNS0_10empty_typeEbEEZZNS1_14partition_implILS5_8ELb0ES3_jPlPS6_PKS6_NS0_5tupleIJS9_S6_EEENSD_IJSA_SA_EEENS0_18inequality_wrapperIZN2at6native12_GLOBAL__N_124unique_dim_cuda_templateIN3c108BFloat16EEESt5tupleIJNSH_6TensorESO_SO_EERKSO_lbbbEUlllE0_EEPmJS6_EEE10hipError_tPvRmT3_T4_T5_T6_T7_T9_mT8_P12ihipStream_tbDpT10_ENKUlT_T0_E_clISt17integral_constantIbLb1EES1E_EEDaS19_S1A_EUlS19_E_NS1_11comp_targetILNS1_3genE5ELNS1_11target_archE942ELNS1_3gpuE9ELNS1_3repE0EEENS1_30default_config_static_selectorELNS0_4arch9wavefront6targetE1EEEvT1_
		.amdhsa_group_segment_fixed_size 28684
		.amdhsa_private_segment_fixed_size 0
		.amdhsa_kernarg_size 136
		.amdhsa_user_sgpr_count 2
		.amdhsa_user_sgpr_dispatch_ptr 0
		.amdhsa_user_sgpr_queue_ptr 0
		.amdhsa_user_sgpr_kernarg_segment_ptr 1
		.amdhsa_user_sgpr_dispatch_id 0
		.amdhsa_user_sgpr_kernarg_preload_length 0
		.amdhsa_user_sgpr_kernarg_preload_offset 0
		.amdhsa_user_sgpr_private_segment_size 0
		.amdhsa_uses_dynamic_stack 0
		.amdhsa_enable_private_segment 0
		.amdhsa_system_sgpr_workgroup_id_x 1
		.amdhsa_system_sgpr_workgroup_id_y 0
		.amdhsa_system_sgpr_workgroup_id_z 0
		.amdhsa_system_sgpr_workgroup_info 0
		.amdhsa_system_vgpr_workitem_id 0
		.amdhsa_next_free_vgpr 52
		.amdhsa_next_free_sgpr 56
		.amdhsa_accum_offset 52
		.amdhsa_reserve_vcc 1
		.amdhsa_float_round_mode_32 0
		.amdhsa_float_round_mode_16_64 0
		.amdhsa_float_denorm_mode_32 3
		.amdhsa_float_denorm_mode_16_64 3
		.amdhsa_dx10_clamp 1
		.amdhsa_ieee_mode 1
		.amdhsa_fp16_overflow 0
		.amdhsa_tg_split 0
		.amdhsa_exception_fp_ieee_invalid_op 0
		.amdhsa_exception_fp_denorm_src 0
		.amdhsa_exception_fp_ieee_div_zero 0
		.amdhsa_exception_fp_ieee_overflow 0
		.amdhsa_exception_fp_ieee_underflow 0
		.amdhsa_exception_fp_ieee_inexact 0
		.amdhsa_exception_int_div_zero 0
	.end_amdhsa_kernel
	.section	.text._ZN7rocprim17ROCPRIM_400000_NS6detail17trampoline_kernelINS0_14default_configENS1_25partition_config_selectorILNS1_17partition_subalgoE8ElNS0_10empty_typeEbEEZZNS1_14partition_implILS5_8ELb0ES3_jPlPS6_PKS6_NS0_5tupleIJS9_S6_EEENSD_IJSA_SA_EEENS0_18inequality_wrapperIZN2at6native12_GLOBAL__N_124unique_dim_cuda_templateIN3c108BFloat16EEESt5tupleIJNSH_6TensorESO_SO_EERKSO_lbbbEUlllE0_EEPmJS6_EEE10hipError_tPvRmT3_T4_T5_T6_T7_T9_mT8_P12ihipStream_tbDpT10_ENKUlT_T0_E_clISt17integral_constantIbLb1EES1E_EEDaS19_S1A_EUlS19_E_NS1_11comp_targetILNS1_3genE5ELNS1_11target_archE942ELNS1_3gpuE9ELNS1_3repE0EEENS1_30default_config_static_selectorELNS0_4arch9wavefront6targetE1EEEvT1_,"axG",@progbits,_ZN7rocprim17ROCPRIM_400000_NS6detail17trampoline_kernelINS0_14default_configENS1_25partition_config_selectorILNS1_17partition_subalgoE8ElNS0_10empty_typeEbEEZZNS1_14partition_implILS5_8ELb0ES3_jPlPS6_PKS6_NS0_5tupleIJS9_S6_EEENSD_IJSA_SA_EEENS0_18inequality_wrapperIZN2at6native12_GLOBAL__N_124unique_dim_cuda_templateIN3c108BFloat16EEESt5tupleIJNSH_6TensorESO_SO_EERKSO_lbbbEUlllE0_EEPmJS6_EEE10hipError_tPvRmT3_T4_T5_T6_T7_T9_mT8_P12ihipStream_tbDpT10_ENKUlT_T0_E_clISt17integral_constantIbLb1EES1E_EEDaS19_S1A_EUlS19_E_NS1_11comp_targetILNS1_3genE5ELNS1_11target_archE942ELNS1_3gpuE9ELNS1_3repE0EEENS1_30default_config_static_selectorELNS0_4arch9wavefront6targetE1EEEvT1_,comdat
.Lfunc_end1191:
	.size	_ZN7rocprim17ROCPRIM_400000_NS6detail17trampoline_kernelINS0_14default_configENS1_25partition_config_selectorILNS1_17partition_subalgoE8ElNS0_10empty_typeEbEEZZNS1_14partition_implILS5_8ELb0ES3_jPlPS6_PKS6_NS0_5tupleIJS9_S6_EEENSD_IJSA_SA_EEENS0_18inequality_wrapperIZN2at6native12_GLOBAL__N_124unique_dim_cuda_templateIN3c108BFloat16EEESt5tupleIJNSH_6TensorESO_SO_EERKSO_lbbbEUlllE0_EEPmJS6_EEE10hipError_tPvRmT3_T4_T5_T6_T7_T9_mT8_P12ihipStream_tbDpT10_ENKUlT_T0_E_clISt17integral_constantIbLb1EES1E_EEDaS19_S1A_EUlS19_E_NS1_11comp_targetILNS1_3genE5ELNS1_11target_archE942ELNS1_3gpuE9ELNS1_3repE0EEENS1_30default_config_static_selectorELNS0_4arch9wavefront6targetE1EEEvT1_, .Lfunc_end1191-_ZN7rocprim17ROCPRIM_400000_NS6detail17trampoline_kernelINS0_14default_configENS1_25partition_config_selectorILNS1_17partition_subalgoE8ElNS0_10empty_typeEbEEZZNS1_14partition_implILS5_8ELb0ES3_jPlPS6_PKS6_NS0_5tupleIJS9_S6_EEENSD_IJSA_SA_EEENS0_18inequality_wrapperIZN2at6native12_GLOBAL__N_124unique_dim_cuda_templateIN3c108BFloat16EEESt5tupleIJNSH_6TensorESO_SO_EERKSO_lbbbEUlllE0_EEPmJS6_EEE10hipError_tPvRmT3_T4_T5_T6_T7_T9_mT8_P12ihipStream_tbDpT10_ENKUlT_T0_E_clISt17integral_constantIbLb1EES1E_EEDaS19_S1A_EUlS19_E_NS1_11comp_targetILNS1_3genE5ELNS1_11target_archE942ELNS1_3gpuE9ELNS1_3repE0EEENS1_30default_config_static_selectorELNS0_4arch9wavefront6targetE1EEEvT1_
                                        ; -- End function
	.section	.AMDGPU.csdata,"",@progbits
; Kernel info:
; codeLenInByte = 13796
; NumSgprs: 62
; NumVgprs: 52
; NumAgprs: 0
; TotalNumVgprs: 52
; ScratchSize: 0
; MemoryBound: 0
; FloatMode: 240
; IeeeMode: 1
; LDSByteSize: 28684 bytes/workgroup (compile time only)
; SGPRBlocks: 7
; VGPRBlocks: 6
; NumSGPRsForWavesPerEU: 62
; NumVGPRsForWavesPerEU: 52
; AccumOffset: 52
; Occupancy: 4
; WaveLimiterHint : 1
; COMPUTE_PGM_RSRC2:SCRATCH_EN: 0
; COMPUTE_PGM_RSRC2:USER_SGPR: 2
; COMPUTE_PGM_RSRC2:TRAP_HANDLER: 0
; COMPUTE_PGM_RSRC2:TGID_X_EN: 1
; COMPUTE_PGM_RSRC2:TGID_Y_EN: 0
; COMPUTE_PGM_RSRC2:TGID_Z_EN: 0
; COMPUTE_PGM_RSRC2:TIDIG_COMP_CNT: 0
; COMPUTE_PGM_RSRC3_GFX90A:ACCUM_OFFSET: 12
; COMPUTE_PGM_RSRC3_GFX90A:TG_SPLIT: 0
	.section	.text._ZN7rocprim17ROCPRIM_400000_NS6detail17trampoline_kernelINS0_14default_configENS1_25partition_config_selectorILNS1_17partition_subalgoE8ElNS0_10empty_typeEbEEZZNS1_14partition_implILS5_8ELb0ES3_jPlPS6_PKS6_NS0_5tupleIJS9_S6_EEENSD_IJSA_SA_EEENS0_18inequality_wrapperIZN2at6native12_GLOBAL__N_124unique_dim_cuda_templateIN3c108BFloat16EEESt5tupleIJNSH_6TensorESO_SO_EERKSO_lbbbEUlllE0_EEPmJS6_EEE10hipError_tPvRmT3_T4_T5_T6_T7_T9_mT8_P12ihipStream_tbDpT10_ENKUlT_T0_E_clISt17integral_constantIbLb1EES1E_EEDaS19_S1A_EUlS19_E_NS1_11comp_targetILNS1_3genE4ELNS1_11target_archE910ELNS1_3gpuE8ELNS1_3repE0EEENS1_30default_config_static_selectorELNS0_4arch9wavefront6targetE1EEEvT1_,"axG",@progbits,_ZN7rocprim17ROCPRIM_400000_NS6detail17trampoline_kernelINS0_14default_configENS1_25partition_config_selectorILNS1_17partition_subalgoE8ElNS0_10empty_typeEbEEZZNS1_14partition_implILS5_8ELb0ES3_jPlPS6_PKS6_NS0_5tupleIJS9_S6_EEENSD_IJSA_SA_EEENS0_18inequality_wrapperIZN2at6native12_GLOBAL__N_124unique_dim_cuda_templateIN3c108BFloat16EEESt5tupleIJNSH_6TensorESO_SO_EERKSO_lbbbEUlllE0_EEPmJS6_EEE10hipError_tPvRmT3_T4_T5_T6_T7_T9_mT8_P12ihipStream_tbDpT10_ENKUlT_T0_E_clISt17integral_constantIbLb1EES1E_EEDaS19_S1A_EUlS19_E_NS1_11comp_targetILNS1_3genE4ELNS1_11target_archE910ELNS1_3gpuE8ELNS1_3repE0EEENS1_30default_config_static_selectorELNS0_4arch9wavefront6targetE1EEEvT1_,comdat
	.globl	_ZN7rocprim17ROCPRIM_400000_NS6detail17trampoline_kernelINS0_14default_configENS1_25partition_config_selectorILNS1_17partition_subalgoE8ElNS0_10empty_typeEbEEZZNS1_14partition_implILS5_8ELb0ES3_jPlPS6_PKS6_NS0_5tupleIJS9_S6_EEENSD_IJSA_SA_EEENS0_18inequality_wrapperIZN2at6native12_GLOBAL__N_124unique_dim_cuda_templateIN3c108BFloat16EEESt5tupleIJNSH_6TensorESO_SO_EERKSO_lbbbEUlllE0_EEPmJS6_EEE10hipError_tPvRmT3_T4_T5_T6_T7_T9_mT8_P12ihipStream_tbDpT10_ENKUlT_T0_E_clISt17integral_constantIbLb1EES1E_EEDaS19_S1A_EUlS19_E_NS1_11comp_targetILNS1_3genE4ELNS1_11target_archE910ELNS1_3gpuE8ELNS1_3repE0EEENS1_30default_config_static_selectorELNS0_4arch9wavefront6targetE1EEEvT1_ ; -- Begin function _ZN7rocprim17ROCPRIM_400000_NS6detail17trampoline_kernelINS0_14default_configENS1_25partition_config_selectorILNS1_17partition_subalgoE8ElNS0_10empty_typeEbEEZZNS1_14partition_implILS5_8ELb0ES3_jPlPS6_PKS6_NS0_5tupleIJS9_S6_EEENSD_IJSA_SA_EEENS0_18inequality_wrapperIZN2at6native12_GLOBAL__N_124unique_dim_cuda_templateIN3c108BFloat16EEESt5tupleIJNSH_6TensorESO_SO_EERKSO_lbbbEUlllE0_EEPmJS6_EEE10hipError_tPvRmT3_T4_T5_T6_T7_T9_mT8_P12ihipStream_tbDpT10_ENKUlT_T0_E_clISt17integral_constantIbLb1EES1E_EEDaS19_S1A_EUlS19_E_NS1_11comp_targetILNS1_3genE4ELNS1_11target_archE910ELNS1_3gpuE8ELNS1_3repE0EEENS1_30default_config_static_selectorELNS0_4arch9wavefront6targetE1EEEvT1_
	.p2align	8
	.type	_ZN7rocprim17ROCPRIM_400000_NS6detail17trampoline_kernelINS0_14default_configENS1_25partition_config_selectorILNS1_17partition_subalgoE8ElNS0_10empty_typeEbEEZZNS1_14partition_implILS5_8ELb0ES3_jPlPS6_PKS6_NS0_5tupleIJS9_S6_EEENSD_IJSA_SA_EEENS0_18inequality_wrapperIZN2at6native12_GLOBAL__N_124unique_dim_cuda_templateIN3c108BFloat16EEESt5tupleIJNSH_6TensorESO_SO_EERKSO_lbbbEUlllE0_EEPmJS6_EEE10hipError_tPvRmT3_T4_T5_T6_T7_T9_mT8_P12ihipStream_tbDpT10_ENKUlT_T0_E_clISt17integral_constantIbLb1EES1E_EEDaS19_S1A_EUlS19_E_NS1_11comp_targetILNS1_3genE4ELNS1_11target_archE910ELNS1_3gpuE8ELNS1_3repE0EEENS1_30default_config_static_selectorELNS0_4arch9wavefront6targetE1EEEvT1_,@function
_ZN7rocprim17ROCPRIM_400000_NS6detail17trampoline_kernelINS0_14default_configENS1_25partition_config_selectorILNS1_17partition_subalgoE8ElNS0_10empty_typeEbEEZZNS1_14partition_implILS5_8ELb0ES3_jPlPS6_PKS6_NS0_5tupleIJS9_S6_EEENSD_IJSA_SA_EEENS0_18inequality_wrapperIZN2at6native12_GLOBAL__N_124unique_dim_cuda_templateIN3c108BFloat16EEESt5tupleIJNSH_6TensorESO_SO_EERKSO_lbbbEUlllE0_EEPmJS6_EEE10hipError_tPvRmT3_T4_T5_T6_T7_T9_mT8_P12ihipStream_tbDpT10_ENKUlT_T0_E_clISt17integral_constantIbLb1EES1E_EEDaS19_S1A_EUlS19_E_NS1_11comp_targetILNS1_3genE4ELNS1_11target_archE910ELNS1_3gpuE8ELNS1_3repE0EEENS1_30default_config_static_selectorELNS0_4arch9wavefront6targetE1EEEvT1_: ; @_ZN7rocprim17ROCPRIM_400000_NS6detail17trampoline_kernelINS0_14default_configENS1_25partition_config_selectorILNS1_17partition_subalgoE8ElNS0_10empty_typeEbEEZZNS1_14partition_implILS5_8ELb0ES3_jPlPS6_PKS6_NS0_5tupleIJS9_S6_EEENSD_IJSA_SA_EEENS0_18inequality_wrapperIZN2at6native12_GLOBAL__N_124unique_dim_cuda_templateIN3c108BFloat16EEESt5tupleIJNSH_6TensorESO_SO_EERKSO_lbbbEUlllE0_EEPmJS6_EEE10hipError_tPvRmT3_T4_T5_T6_T7_T9_mT8_P12ihipStream_tbDpT10_ENKUlT_T0_E_clISt17integral_constantIbLb1EES1E_EEDaS19_S1A_EUlS19_E_NS1_11comp_targetILNS1_3genE4ELNS1_11target_archE910ELNS1_3gpuE8ELNS1_3repE0EEENS1_30default_config_static_selectorELNS0_4arch9wavefront6targetE1EEEvT1_
; %bb.0:
	.section	.rodata,"a",@progbits
	.p2align	6, 0x0
	.amdhsa_kernel _ZN7rocprim17ROCPRIM_400000_NS6detail17trampoline_kernelINS0_14default_configENS1_25partition_config_selectorILNS1_17partition_subalgoE8ElNS0_10empty_typeEbEEZZNS1_14partition_implILS5_8ELb0ES3_jPlPS6_PKS6_NS0_5tupleIJS9_S6_EEENSD_IJSA_SA_EEENS0_18inequality_wrapperIZN2at6native12_GLOBAL__N_124unique_dim_cuda_templateIN3c108BFloat16EEESt5tupleIJNSH_6TensorESO_SO_EERKSO_lbbbEUlllE0_EEPmJS6_EEE10hipError_tPvRmT3_T4_T5_T6_T7_T9_mT8_P12ihipStream_tbDpT10_ENKUlT_T0_E_clISt17integral_constantIbLb1EES1E_EEDaS19_S1A_EUlS19_E_NS1_11comp_targetILNS1_3genE4ELNS1_11target_archE910ELNS1_3gpuE8ELNS1_3repE0EEENS1_30default_config_static_selectorELNS0_4arch9wavefront6targetE1EEEvT1_
		.amdhsa_group_segment_fixed_size 0
		.amdhsa_private_segment_fixed_size 0
		.amdhsa_kernarg_size 136
		.amdhsa_user_sgpr_count 2
		.amdhsa_user_sgpr_dispatch_ptr 0
		.amdhsa_user_sgpr_queue_ptr 0
		.amdhsa_user_sgpr_kernarg_segment_ptr 1
		.amdhsa_user_sgpr_dispatch_id 0
		.amdhsa_user_sgpr_kernarg_preload_length 0
		.amdhsa_user_sgpr_kernarg_preload_offset 0
		.amdhsa_user_sgpr_private_segment_size 0
		.amdhsa_uses_dynamic_stack 0
		.amdhsa_enable_private_segment 0
		.amdhsa_system_sgpr_workgroup_id_x 1
		.amdhsa_system_sgpr_workgroup_id_y 0
		.amdhsa_system_sgpr_workgroup_id_z 0
		.amdhsa_system_sgpr_workgroup_info 0
		.amdhsa_system_vgpr_workitem_id 0
		.amdhsa_next_free_vgpr 1
		.amdhsa_next_free_sgpr 0
		.amdhsa_accum_offset 4
		.amdhsa_reserve_vcc 0
		.amdhsa_float_round_mode_32 0
		.amdhsa_float_round_mode_16_64 0
		.amdhsa_float_denorm_mode_32 3
		.amdhsa_float_denorm_mode_16_64 3
		.amdhsa_dx10_clamp 1
		.amdhsa_ieee_mode 1
		.amdhsa_fp16_overflow 0
		.amdhsa_tg_split 0
		.amdhsa_exception_fp_ieee_invalid_op 0
		.amdhsa_exception_fp_denorm_src 0
		.amdhsa_exception_fp_ieee_div_zero 0
		.amdhsa_exception_fp_ieee_overflow 0
		.amdhsa_exception_fp_ieee_underflow 0
		.amdhsa_exception_fp_ieee_inexact 0
		.amdhsa_exception_int_div_zero 0
	.end_amdhsa_kernel
	.section	.text._ZN7rocprim17ROCPRIM_400000_NS6detail17trampoline_kernelINS0_14default_configENS1_25partition_config_selectorILNS1_17partition_subalgoE8ElNS0_10empty_typeEbEEZZNS1_14partition_implILS5_8ELb0ES3_jPlPS6_PKS6_NS0_5tupleIJS9_S6_EEENSD_IJSA_SA_EEENS0_18inequality_wrapperIZN2at6native12_GLOBAL__N_124unique_dim_cuda_templateIN3c108BFloat16EEESt5tupleIJNSH_6TensorESO_SO_EERKSO_lbbbEUlllE0_EEPmJS6_EEE10hipError_tPvRmT3_T4_T5_T6_T7_T9_mT8_P12ihipStream_tbDpT10_ENKUlT_T0_E_clISt17integral_constantIbLb1EES1E_EEDaS19_S1A_EUlS19_E_NS1_11comp_targetILNS1_3genE4ELNS1_11target_archE910ELNS1_3gpuE8ELNS1_3repE0EEENS1_30default_config_static_selectorELNS0_4arch9wavefront6targetE1EEEvT1_,"axG",@progbits,_ZN7rocprim17ROCPRIM_400000_NS6detail17trampoline_kernelINS0_14default_configENS1_25partition_config_selectorILNS1_17partition_subalgoE8ElNS0_10empty_typeEbEEZZNS1_14partition_implILS5_8ELb0ES3_jPlPS6_PKS6_NS0_5tupleIJS9_S6_EEENSD_IJSA_SA_EEENS0_18inequality_wrapperIZN2at6native12_GLOBAL__N_124unique_dim_cuda_templateIN3c108BFloat16EEESt5tupleIJNSH_6TensorESO_SO_EERKSO_lbbbEUlllE0_EEPmJS6_EEE10hipError_tPvRmT3_T4_T5_T6_T7_T9_mT8_P12ihipStream_tbDpT10_ENKUlT_T0_E_clISt17integral_constantIbLb1EES1E_EEDaS19_S1A_EUlS19_E_NS1_11comp_targetILNS1_3genE4ELNS1_11target_archE910ELNS1_3gpuE8ELNS1_3repE0EEENS1_30default_config_static_selectorELNS0_4arch9wavefront6targetE1EEEvT1_,comdat
.Lfunc_end1192:
	.size	_ZN7rocprim17ROCPRIM_400000_NS6detail17trampoline_kernelINS0_14default_configENS1_25partition_config_selectorILNS1_17partition_subalgoE8ElNS0_10empty_typeEbEEZZNS1_14partition_implILS5_8ELb0ES3_jPlPS6_PKS6_NS0_5tupleIJS9_S6_EEENSD_IJSA_SA_EEENS0_18inequality_wrapperIZN2at6native12_GLOBAL__N_124unique_dim_cuda_templateIN3c108BFloat16EEESt5tupleIJNSH_6TensorESO_SO_EERKSO_lbbbEUlllE0_EEPmJS6_EEE10hipError_tPvRmT3_T4_T5_T6_T7_T9_mT8_P12ihipStream_tbDpT10_ENKUlT_T0_E_clISt17integral_constantIbLb1EES1E_EEDaS19_S1A_EUlS19_E_NS1_11comp_targetILNS1_3genE4ELNS1_11target_archE910ELNS1_3gpuE8ELNS1_3repE0EEENS1_30default_config_static_selectorELNS0_4arch9wavefront6targetE1EEEvT1_, .Lfunc_end1192-_ZN7rocprim17ROCPRIM_400000_NS6detail17trampoline_kernelINS0_14default_configENS1_25partition_config_selectorILNS1_17partition_subalgoE8ElNS0_10empty_typeEbEEZZNS1_14partition_implILS5_8ELb0ES3_jPlPS6_PKS6_NS0_5tupleIJS9_S6_EEENSD_IJSA_SA_EEENS0_18inequality_wrapperIZN2at6native12_GLOBAL__N_124unique_dim_cuda_templateIN3c108BFloat16EEESt5tupleIJNSH_6TensorESO_SO_EERKSO_lbbbEUlllE0_EEPmJS6_EEE10hipError_tPvRmT3_T4_T5_T6_T7_T9_mT8_P12ihipStream_tbDpT10_ENKUlT_T0_E_clISt17integral_constantIbLb1EES1E_EEDaS19_S1A_EUlS19_E_NS1_11comp_targetILNS1_3genE4ELNS1_11target_archE910ELNS1_3gpuE8ELNS1_3repE0EEENS1_30default_config_static_selectorELNS0_4arch9wavefront6targetE1EEEvT1_
                                        ; -- End function
	.section	.AMDGPU.csdata,"",@progbits
; Kernel info:
; codeLenInByte = 0
; NumSgprs: 6
; NumVgprs: 0
; NumAgprs: 0
; TotalNumVgprs: 0
; ScratchSize: 0
; MemoryBound: 0
; FloatMode: 240
; IeeeMode: 1
; LDSByteSize: 0 bytes/workgroup (compile time only)
; SGPRBlocks: 0
; VGPRBlocks: 0
; NumSGPRsForWavesPerEU: 6
; NumVGPRsForWavesPerEU: 1
; AccumOffset: 4
; Occupancy: 8
; WaveLimiterHint : 0
; COMPUTE_PGM_RSRC2:SCRATCH_EN: 0
; COMPUTE_PGM_RSRC2:USER_SGPR: 2
; COMPUTE_PGM_RSRC2:TRAP_HANDLER: 0
; COMPUTE_PGM_RSRC2:TGID_X_EN: 1
; COMPUTE_PGM_RSRC2:TGID_Y_EN: 0
; COMPUTE_PGM_RSRC2:TGID_Z_EN: 0
; COMPUTE_PGM_RSRC2:TIDIG_COMP_CNT: 0
; COMPUTE_PGM_RSRC3_GFX90A:ACCUM_OFFSET: 0
; COMPUTE_PGM_RSRC3_GFX90A:TG_SPLIT: 0
	.section	.text._ZN7rocprim17ROCPRIM_400000_NS6detail17trampoline_kernelINS0_14default_configENS1_25partition_config_selectorILNS1_17partition_subalgoE8ElNS0_10empty_typeEbEEZZNS1_14partition_implILS5_8ELb0ES3_jPlPS6_PKS6_NS0_5tupleIJS9_S6_EEENSD_IJSA_SA_EEENS0_18inequality_wrapperIZN2at6native12_GLOBAL__N_124unique_dim_cuda_templateIN3c108BFloat16EEESt5tupleIJNSH_6TensorESO_SO_EERKSO_lbbbEUlllE0_EEPmJS6_EEE10hipError_tPvRmT3_T4_T5_T6_T7_T9_mT8_P12ihipStream_tbDpT10_ENKUlT_T0_E_clISt17integral_constantIbLb1EES1E_EEDaS19_S1A_EUlS19_E_NS1_11comp_targetILNS1_3genE3ELNS1_11target_archE908ELNS1_3gpuE7ELNS1_3repE0EEENS1_30default_config_static_selectorELNS0_4arch9wavefront6targetE1EEEvT1_,"axG",@progbits,_ZN7rocprim17ROCPRIM_400000_NS6detail17trampoline_kernelINS0_14default_configENS1_25partition_config_selectorILNS1_17partition_subalgoE8ElNS0_10empty_typeEbEEZZNS1_14partition_implILS5_8ELb0ES3_jPlPS6_PKS6_NS0_5tupleIJS9_S6_EEENSD_IJSA_SA_EEENS0_18inequality_wrapperIZN2at6native12_GLOBAL__N_124unique_dim_cuda_templateIN3c108BFloat16EEESt5tupleIJNSH_6TensorESO_SO_EERKSO_lbbbEUlllE0_EEPmJS6_EEE10hipError_tPvRmT3_T4_T5_T6_T7_T9_mT8_P12ihipStream_tbDpT10_ENKUlT_T0_E_clISt17integral_constantIbLb1EES1E_EEDaS19_S1A_EUlS19_E_NS1_11comp_targetILNS1_3genE3ELNS1_11target_archE908ELNS1_3gpuE7ELNS1_3repE0EEENS1_30default_config_static_selectorELNS0_4arch9wavefront6targetE1EEEvT1_,comdat
	.globl	_ZN7rocprim17ROCPRIM_400000_NS6detail17trampoline_kernelINS0_14default_configENS1_25partition_config_selectorILNS1_17partition_subalgoE8ElNS0_10empty_typeEbEEZZNS1_14partition_implILS5_8ELb0ES3_jPlPS6_PKS6_NS0_5tupleIJS9_S6_EEENSD_IJSA_SA_EEENS0_18inequality_wrapperIZN2at6native12_GLOBAL__N_124unique_dim_cuda_templateIN3c108BFloat16EEESt5tupleIJNSH_6TensorESO_SO_EERKSO_lbbbEUlllE0_EEPmJS6_EEE10hipError_tPvRmT3_T4_T5_T6_T7_T9_mT8_P12ihipStream_tbDpT10_ENKUlT_T0_E_clISt17integral_constantIbLb1EES1E_EEDaS19_S1A_EUlS19_E_NS1_11comp_targetILNS1_3genE3ELNS1_11target_archE908ELNS1_3gpuE7ELNS1_3repE0EEENS1_30default_config_static_selectorELNS0_4arch9wavefront6targetE1EEEvT1_ ; -- Begin function _ZN7rocprim17ROCPRIM_400000_NS6detail17trampoline_kernelINS0_14default_configENS1_25partition_config_selectorILNS1_17partition_subalgoE8ElNS0_10empty_typeEbEEZZNS1_14partition_implILS5_8ELb0ES3_jPlPS6_PKS6_NS0_5tupleIJS9_S6_EEENSD_IJSA_SA_EEENS0_18inequality_wrapperIZN2at6native12_GLOBAL__N_124unique_dim_cuda_templateIN3c108BFloat16EEESt5tupleIJNSH_6TensorESO_SO_EERKSO_lbbbEUlllE0_EEPmJS6_EEE10hipError_tPvRmT3_T4_T5_T6_T7_T9_mT8_P12ihipStream_tbDpT10_ENKUlT_T0_E_clISt17integral_constantIbLb1EES1E_EEDaS19_S1A_EUlS19_E_NS1_11comp_targetILNS1_3genE3ELNS1_11target_archE908ELNS1_3gpuE7ELNS1_3repE0EEENS1_30default_config_static_selectorELNS0_4arch9wavefront6targetE1EEEvT1_
	.p2align	8
	.type	_ZN7rocprim17ROCPRIM_400000_NS6detail17trampoline_kernelINS0_14default_configENS1_25partition_config_selectorILNS1_17partition_subalgoE8ElNS0_10empty_typeEbEEZZNS1_14partition_implILS5_8ELb0ES3_jPlPS6_PKS6_NS0_5tupleIJS9_S6_EEENSD_IJSA_SA_EEENS0_18inequality_wrapperIZN2at6native12_GLOBAL__N_124unique_dim_cuda_templateIN3c108BFloat16EEESt5tupleIJNSH_6TensorESO_SO_EERKSO_lbbbEUlllE0_EEPmJS6_EEE10hipError_tPvRmT3_T4_T5_T6_T7_T9_mT8_P12ihipStream_tbDpT10_ENKUlT_T0_E_clISt17integral_constantIbLb1EES1E_EEDaS19_S1A_EUlS19_E_NS1_11comp_targetILNS1_3genE3ELNS1_11target_archE908ELNS1_3gpuE7ELNS1_3repE0EEENS1_30default_config_static_selectorELNS0_4arch9wavefront6targetE1EEEvT1_,@function
_ZN7rocprim17ROCPRIM_400000_NS6detail17trampoline_kernelINS0_14default_configENS1_25partition_config_selectorILNS1_17partition_subalgoE8ElNS0_10empty_typeEbEEZZNS1_14partition_implILS5_8ELb0ES3_jPlPS6_PKS6_NS0_5tupleIJS9_S6_EEENSD_IJSA_SA_EEENS0_18inequality_wrapperIZN2at6native12_GLOBAL__N_124unique_dim_cuda_templateIN3c108BFloat16EEESt5tupleIJNSH_6TensorESO_SO_EERKSO_lbbbEUlllE0_EEPmJS6_EEE10hipError_tPvRmT3_T4_T5_T6_T7_T9_mT8_P12ihipStream_tbDpT10_ENKUlT_T0_E_clISt17integral_constantIbLb1EES1E_EEDaS19_S1A_EUlS19_E_NS1_11comp_targetILNS1_3genE3ELNS1_11target_archE908ELNS1_3gpuE7ELNS1_3repE0EEENS1_30default_config_static_selectorELNS0_4arch9wavefront6targetE1EEEvT1_: ; @_ZN7rocprim17ROCPRIM_400000_NS6detail17trampoline_kernelINS0_14default_configENS1_25partition_config_selectorILNS1_17partition_subalgoE8ElNS0_10empty_typeEbEEZZNS1_14partition_implILS5_8ELb0ES3_jPlPS6_PKS6_NS0_5tupleIJS9_S6_EEENSD_IJSA_SA_EEENS0_18inequality_wrapperIZN2at6native12_GLOBAL__N_124unique_dim_cuda_templateIN3c108BFloat16EEESt5tupleIJNSH_6TensorESO_SO_EERKSO_lbbbEUlllE0_EEPmJS6_EEE10hipError_tPvRmT3_T4_T5_T6_T7_T9_mT8_P12ihipStream_tbDpT10_ENKUlT_T0_E_clISt17integral_constantIbLb1EES1E_EEDaS19_S1A_EUlS19_E_NS1_11comp_targetILNS1_3genE3ELNS1_11target_archE908ELNS1_3gpuE7ELNS1_3repE0EEENS1_30default_config_static_selectorELNS0_4arch9wavefront6targetE1EEEvT1_
; %bb.0:
	.section	.rodata,"a",@progbits
	.p2align	6, 0x0
	.amdhsa_kernel _ZN7rocprim17ROCPRIM_400000_NS6detail17trampoline_kernelINS0_14default_configENS1_25partition_config_selectorILNS1_17partition_subalgoE8ElNS0_10empty_typeEbEEZZNS1_14partition_implILS5_8ELb0ES3_jPlPS6_PKS6_NS0_5tupleIJS9_S6_EEENSD_IJSA_SA_EEENS0_18inequality_wrapperIZN2at6native12_GLOBAL__N_124unique_dim_cuda_templateIN3c108BFloat16EEESt5tupleIJNSH_6TensorESO_SO_EERKSO_lbbbEUlllE0_EEPmJS6_EEE10hipError_tPvRmT3_T4_T5_T6_T7_T9_mT8_P12ihipStream_tbDpT10_ENKUlT_T0_E_clISt17integral_constantIbLb1EES1E_EEDaS19_S1A_EUlS19_E_NS1_11comp_targetILNS1_3genE3ELNS1_11target_archE908ELNS1_3gpuE7ELNS1_3repE0EEENS1_30default_config_static_selectorELNS0_4arch9wavefront6targetE1EEEvT1_
		.amdhsa_group_segment_fixed_size 0
		.amdhsa_private_segment_fixed_size 0
		.amdhsa_kernarg_size 136
		.amdhsa_user_sgpr_count 2
		.amdhsa_user_sgpr_dispatch_ptr 0
		.amdhsa_user_sgpr_queue_ptr 0
		.amdhsa_user_sgpr_kernarg_segment_ptr 1
		.amdhsa_user_sgpr_dispatch_id 0
		.amdhsa_user_sgpr_kernarg_preload_length 0
		.amdhsa_user_sgpr_kernarg_preload_offset 0
		.amdhsa_user_sgpr_private_segment_size 0
		.amdhsa_uses_dynamic_stack 0
		.amdhsa_enable_private_segment 0
		.amdhsa_system_sgpr_workgroup_id_x 1
		.amdhsa_system_sgpr_workgroup_id_y 0
		.amdhsa_system_sgpr_workgroup_id_z 0
		.amdhsa_system_sgpr_workgroup_info 0
		.amdhsa_system_vgpr_workitem_id 0
		.amdhsa_next_free_vgpr 1
		.amdhsa_next_free_sgpr 0
		.amdhsa_accum_offset 4
		.amdhsa_reserve_vcc 0
		.amdhsa_float_round_mode_32 0
		.amdhsa_float_round_mode_16_64 0
		.amdhsa_float_denorm_mode_32 3
		.amdhsa_float_denorm_mode_16_64 3
		.amdhsa_dx10_clamp 1
		.amdhsa_ieee_mode 1
		.amdhsa_fp16_overflow 0
		.amdhsa_tg_split 0
		.amdhsa_exception_fp_ieee_invalid_op 0
		.amdhsa_exception_fp_denorm_src 0
		.amdhsa_exception_fp_ieee_div_zero 0
		.amdhsa_exception_fp_ieee_overflow 0
		.amdhsa_exception_fp_ieee_underflow 0
		.amdhsa_exception_fp_ieee_inexact 0
		.amdhsa_exception_int_div_zero 0
	.end_amdhsa_kernel
	.section	.text._ZN7rocprim17ROCPRIM_400000_NS6detail17trampoline_kernelINS0_14default_configENS1_25partition_config_selectorILNS1_17partition_subalgoE8ElNS0_10empty_typeEbEEZZNS1_14partition_implILS5_8ELb0ES3_jPlPS6_PKS6_NS0_5tupleIJS9_S6_EEENSD_IJSA_SA_EEENS0_18inequality_wrapperIZN2at6native12_GLOBAL__N_124unique_dim_cuda_templateIN3c108BFloat16EEESt5tupleIJNSH_6TensorESO_SO_EERKSO_lbbbEUlllE0_EEPmJS6_EEE10hipError_tPvRmT3_T4_T5_T6_T7_T9_mT8_P12ihipStream_tbDpT10_ENKUlT_T0_E_clISt17integral_constantIbLb1EES1E_EEDaS19_S1A_EUlS19_E_NS1_11comp_targetILNS1_3genE3ELNS1_11target_archE908ELNS1_3gpuE7ELNS1_3repE0EEENS1_30default_config_static_selectorELNS0_4arch9wavefront6targetE1EEEvT1_,"axG",@progbits,_ZN7rocprim17ROCPRIM_400000_NS6detail17trampoline_kernelINS0_14default_configENS1_25partition_config_selectorILNS1_17partition_subalgoE8ElNS0_10empty_typeEbEEZZNS1_14partition_implILS5_8ELb0ES3_jPlPS6_PKS6_NS0_5tupleIJS9_S6_EEENSD_IJSA_SA_EEENS0_18inequality_wrapperIZN2at6native12_GLOBAL__N_124unique_dim_cuda_templateIN3c108BFloat16EEESt5tupleIJNSH_6TensorESO_SO_EERKSO_lbbbEUlllE0_EEPmJS6_EEE10hipError_tPvRmT3_T4_T5_T6_T7_T9_mT8_P12ihipStream_tbDpT10_ENKUlT_T0_E_clISt17integral_constantIbLb1EES1E_EEDaS19_S1A_EUlS19_E_NS1_11comp_targetILNS1_3genE3ELNS1_11target_archE908ELNS1_3gpuE7ELNS1_3repE0EEENS1_30default_config_static_selectorELNS0_4arch9wavefront6targetE1EEEvT1_,comdat
.Lfunc_end1193:
	.size	_ZN7rocprim17ROCPRIM_400000_NS6detail17trampoline_kernelINS0_14default_configENS1_25partition_config_selectorILNS1_17partition_subalgoE8ElNS0_10empty_typeEbEEZZNS1_14partition_implILS5_8ELb0ES3_jPlPS6_PKS6_NS0_5tupleIJS9_S6_EEENSD_IJSA_SA_EEENS0_18inequality_wrapperIZN2at6native12_GLOBAL__N_124unique_dim_cuda_templateIN3c108BFloat16EEESt5tupleIJNSH_6TensorESO_SO_EERKSO_lbbbEUlllE0_EEPmJS6_EEE10hipError_tPvRmT3_T4_T5_T6_T7_T9_mT8_P12ihipStream_tbDpT10_ENKUlT_T0_E_clISt17integral_constantIbLb1EES1E_EEDaS19_S1A_EUlS19_E_NS1_11comp_targetILNS1_3genE3ELNS1_11target_archE908ELNS1_3gpuE7ELNS1_3repE0EEENS1_30default_config_static_selectorELNS0_4arch9wavefront6targetE1EEEvT1_, .Lfunc_end1193-_ZN7rocprim17ROCPRIM_400000_NS6detail17trampoline_kernelINS0_14default_configENS1_25partition_config_selectorILNS1_17partition_subalgoE8ElNS0_10empty_typeEbEEZZNS1_14partition_implILS5_8ELb0ES3_jPlPS6_PKS6_NS0_5tupleIJS9_S6_EEENSD_IJSA_SA_EEENS0_18inequality_wrapperIZN2at6native12_GLOBAL__N_124unique_dim_cuda_templateIN3c108BFloat16EEESt5tupleIJNSH_6TensorESO_SO_EERKSO_lbbbEUlllE0_EEPmJS6_EEE10hipError_tPvRmT3_T4_T5_T6_T7_T9_mT8_P12ihipStream_tbDpT10_ENKUlT_T0_E_clISt17integral_constantIbLb1EES1E_EEDaS19_S1A_EUlS19_E_NS1_11comp_targetILNS1_3genE3ELNS1_11target_archE908ELNS1_3gpuE7ELNS1_3repE0EEENS1_30default_config_static_selectorELNS0_4arch9wavefront6targetE1EEEvT1_
                                        ; -- End function
	.section	.AMDGPU.csdata,"",@progbits
; Kernel info:
; codeLenInByte = 0
; NumSgprs: 6
; NumVgprs: 0
; NumAgprs: 0
; TotalNumVgprs: 0
; ScratchSize: 0
; MemoryBound: 0
; FloatMode: 240
; IeeeMode: 1
; LDSByteSize: 0 bytes/workgroup (compile time only)
; SGPRBlocks: 0
; VGPRBlocks: 0
; NumSGPRsForWavesPerEU: 6
; NumVGPRsForWavesPerEU: 1
; AccumOffset: 4
; Occupancy: 8
; WaveLimiterHint : 0
; COMPUTE_PGM_RSRC2:SCRATCH_EN: 0
; COMPUTE_PGM_RSRC2:USER_SGPR: 2
; COMPUTE_PGM_RSRC2:TRAP_HANDLER: 0
; COMPUTE_PGM_RSRC2:TGID_X_EN: 1
; COMPUTE_PGM_RSRC2:TGID_Y_EN: 0
; COMPUTE_PGM_RSRC2:TGID_Z_EN: 0
; COMPUTE_PGM_RSRC2:TIDIG_COMP_CNT: 0
; COMPUTE_PGM_RSRC3_GFX90A:ACCUM_OFFSET: 0
; COMPUTE_PGM_RSRC3_GFX90A:TG_SPLIT: 0
	.section	.text._ZN7rocprim17ROCPRIM_400000_NS6detail17trampoline_kernelINS0_14default_configENS1_25partition_config_selectorILNS1_17partition_subalgoE8ElNS0_10empty_typeEbEEZZNS1_14partition_implILS5_8ELb0ES3_jPlPS6_PKS6_NS0_5tupleIJS9_S6_EEENSD_IJSA_SA_EEENS0_18inequality_wrapperIZN2at6native12_GLOBAL__N_124unique_dim_cuda_templateIN3c108BFloat16EEESt5tupleIJNSH_6TensorESO_SO_EERKSO_lbbbEUlllE0_EEPmJS6_EEE10hipError_tPvRmT3_T4_T5_T6_T7_T9_mT8_P12ihipStream_tbDpT10_ENKUlT_T0_E_clISt17integral_constantIbLb1EES1E_EEDaS19_S1A_EUlS19_E_NS1_11comp_targetILNS1_3genE2ELNS1_11target_archE906ELNS1_3gpuE6ELNS1_3repE0EEENS1_30default_config_static_selectorELNS0_4arch9wavefront6targetE1EEEvT1_,"axG",@progbits,_ZN7rocprim17ROCPRIM_400000_NS6detail17trampoline_kernelINS0_14default_configENS1_25partition_config_selectorILNS1_17partition_subalgoE8ElNS0_10empty_typeEbEEZZNS1_14partition_implILS5_8ELb0ES3_jPlPS6_PKS6_NS0_5tupleIJS9_S6_EEENSD_IJSA_SA_EEENS0_18inequality_wrapperIZN2at6native12_GLOBAL__N_124unique_dim_cuda_templateIN3c108BFloat16EEESt5tupleIJNSH_6TensorESO_SO_EERKSO_lbbbEUlllE0_EEPmJS6_EEE10hipError_tPvRmT3_T4_T5_T6_T7_T9_mT8_P12ihipStream_tbDpT10_ENKUlT_T0_E_clISt17integral_constantIbLb1EES1E_EEDaS19_S1A_EUlS19_E_NS1_11comp_targetILNS1_3genE2ELNS1_11target_archE906ELNS1_3gpuE6ELNS1_3repE0EEENS1_30default_config_static_selectorELNS0_4arch9wavefront6targetE1EEEvT1_,comdat
	.globl	_ZN7rocprim17ROCPRIM_400000_NS6detail17trampoline_kernelINS0_14default_configENS1_25partition_config_selectorILNS1_17partition_subalgoE8ElNS0_10empty_typeEbEEZZNS1_14partition_implILS5_8ELb0ES3_jPlPS6_PKS6_NS0_5tupleIJS9_S6_EEENSD_IJSA_SA_EEENS0_18inequality_wrapperIZN2at6native12_GLOBAL__N_124unique_dim_cuda_templateIN3c108BFloat16EEESt5tupleIJNSH_6TensorESO_SO_EERKSO_lbbbEUlllE0_EEPmJS6_EEE10hipError_tPvRmT3_T4_T5_T6_T7_T9_mT8_P12ihipStream_tbDpT10_ENKUlT_T0_E_clISt17integral_constantIbLb1EES1E_EEDaS19_S1A_EUlS19_E_NS1_11comp_targetILNS1_3genE2ELNS1_11target_archE906ELNS1_3gpuE6ELNS1_3repE0EEENS1_30default_config_static_selectorELNS0_4arch9wavefront6targetE1EEEvT1_ ; -- Begin function _ZN7rocprim17ROCPRIM_400000_NS6detail17trampoline_kernelINS0_14default_configENS1_25partition_config_selectorILNS1_17partition_subalgoE8ElNS0_10empty_typeEbEEZZNS1_14partition_implILS5_8ELb0ES3_jPlPS6_PKS6_NS0_5tupleIJS9_S6_EEENSD_IJSA_SA_EEENS0_18inequality_wrapperIZN2at6native12_GLOBAL__N_124unique_dim_cuda_templateIN3c108BFloat16EEESt5tupleIJNSH_6TensorESO_SO_EERKSO_lbbbEUlllE0_EEPmJS6_EEE10hipError_tPvRmT3_T4_T5_T6_T7_T9_mT8_P12ihipStream_tbDpT10_ENKUlT_T0_E_clISt17integral_constantIbLb1EES1E_EEDaS19_S1A_EUlS19_E_NS1_11comp_targetILNS1_3genE2ELNS1_11target_archE906ELNS1_3gpuE6ELNS1_3repE0EEENS1_30default_config_static_selectorELNS0_4arch9wavefront6targetE1EEEvT1_
	.p2align	8
	.type	_ZN7rocprim17ROCPRIM_400000_NS6detail17trampoline_kernelINS0_14default_configENS1_25partition_config_selectorILNS1_17partition_subalgoE8ElNS0_10empty_typeEbEEZZNS1_14partition_implILS5_8ELb0ES3_jPlPS6_PKS6_NS0_5tupleIJS9_S6_EEENSD_IJSA_SA_EEENS0_18inequality_wrapperIZN2at6native12_GLOBAL__N_124unique_dim_cuda_templateIN3c108BFloat16EEESt5tupleIJNSH_6TensorESO_SO_EERKSO_lbbbEUlllE0_EEPmJS6_EEE10hipError_tPvRmT3_T4_T5_T6_T7_T9_mT8_P12ihipStream_tbDpT10_ENKUlT_T0_E_clISt17integral_constantIbLb1EES1E_EEDaS19_S1A_EUlS19_E_NS1_11comp_targetILNS1_3genE2ELNS1_11target_archE906ELNS1_3gpuE6ELNS1_3repE0EEENS1_30default_config_static_selectorELNS0_4arch9wavefront6targetE1EEEvT1_,@function
_ZN7rocprim17ROCPRIM_400000_NS6detail17trampoline_kernelINS0_14default_configENS1_25partition_config_selectorILNS1_17partition_subalgoE8ElNS0_10empty_typeEbEEZZNS1_14partition_implILS5_8ELb0ES3_jPlPS6_PKS6_NS0_5tupleIJS9_S6_EEENSD_IJSA_SA_EEENS0_18inequality_wrapperIZN2at6native12_GLOBAL__N_124unique_dim_cuda_templateIN3c108BFloat16EEESt5tupleIJNSH_6TensorESO_SO_EERKSO_lbbbEUlllE0_EEPmJS6_EEE10hipError_tPvRmT3_T4_T5_T6_T7_T9_mT8_P12ihipStream_tbDpT10_ENKUlT_T0_E_clISt17integral_constantIbLb1EES1E_EEDaS19_S1A_EUlS19_E_NS1_11comp_targetILNS1_3genE2ELNS1_11target_archE906ELNS1_3gpuE6ELNS1_3repE0EEENS1_30default_config_static_selectorELNS0_4arch9wavefront6targetE1EEEvT1_: ; @_ZN7rocprim17ROCPRIM_400000_NS6detail17trampoline_kernelINS0_14default_configENS1_25partition_config_selectorILNS1_17partition_subalgoE8ElNS0_10empty_typeEbEEZZNS1_14partition_implILS5_8ELb0ES3_jPlPS6_PKS6_NS0_5tupleIJS9_S6_EEENSD_IJSA_SA_EEENS0_18inequality_wrapperIZN2at6native12_GLOBAL__N_124unique_dim_cuda_templateIN3c108BFloat16EEESt5tupleIJNSH_6TensorESO_SO_EERKSO_lbbbEUlllE0_EEPmJS6_EEE10hipError_tPvRmT3_T4_T5_T6_T7_T9_mT8_P12ihipStream_tbDpT10_ENKUlT_T0_E_clISt17integral_constantIbLb1EES1E_EEDaS19_S1A_EUlS19_E_NS1_11comp_targetILNS1_3genE2ELNS1_11target_archE906ELNS1_3gpuE6ELNS1_3repE0EEENS1_30default_config_static_selectorELNS0_4arch9wavefront6targetE1EEEvT1_
; %bb.0:
	.section	.rodata,"a",@progbits
	.p2align	6, 0x0
	.amdhsa_kernel _ZN7rocprim17ROCPRIM_400000_NS6detail17trampoline_kernelINS0_14default_configENS1_25partition_config_selectorILNS1_17partition_subalgoE8ElNS0_10empty_typeEbEEZZNS1_14partition_implILS5_8ELb0ES3_jPlPS6_PKS6_NS0_5tupleIJS9_S6_EEENSD_IJSA_SA_EEENS0_18inequality_wrapperIZN2at6native12_GLOBAL__N_124unique_dim_cuda_templateIN3c108BFloat16EEESt5tupleIJNSH_6TensorESO_SO_EERKSO_lbbbEUlllE0_EEPmJS6_EEE10hipError_tPvRmT3_T4_T5_T6_T7_T9_mT8_P12ihipStream_tbDpT10_ENKUlT_T0_E_clISt17integral_constantIbLb1EES1E_EEDaS19_S1A_EUlS19_E_NS1_11comp_targetILNS1_3genE2ELNS1_11target_archE906ELNS1_3gpuE6ELNS1_3repE0EEENS1_30default_config_static_selectorELNS0_4arch9wavefront6targetE1EEEvT1_
		.amdhsa_group_segment_fixed_size 0
		.amdhsa_private_segment_fixed_size 0
		.amdhsa_kernarg_size 136
		.amdhsa_user_sgpr_count 2
		.amdhsa_user_sgpr_dispatch_ptr 0
		.amdhsa_user_sgpr_queue_ptr 0
		.amdhsa_user_sgpr_kernarg_segment_ptr 1
		.amdhsa_user_sgpr_dispatch_id 0
		.amdhsa_user_sgpr_kernarg_preload_length 0
		.amdhsa_user_sgpr_kernarg_preload_offset 0
		.amdhsa_user_sgpr_private_segment_size 0
		.amdhsa_uses_dynamic_stack 0
		.amdhsa_enable_private_segment 0
		.amdhsa_system_sgpr_workgroup_id_x 1
		.amdhsa_system_sgpr_workgroup_id_y 0
		.amdhsa_system_sgpr_workgroup_id_z 0
		.amdhsa_system_sgpr_workgroup_info 0
		.amdhsa_system_vgpr_workitem_id 0
		.amdhsa_next_free_vgpr 1
		.amdhsa_next_free_sgpr 0
		.amdhsa_accum_offset 4
		.amdhsa_reserve_vcc 0
		.amdhsa_float_round_mode_32 0
		.amdhsa_float_round_mode_16_64 0
		.amdhsa_float_denorm_mode_32 3
		.amdhsa_float_denorm_mode_16_64 3
		.amdhsa_dx10_clamp 1
		.amdhsa_ieee_mode 1
		.amdhsa_fp16_overflow 0
		.amdhsa_tg_split 0
		.amdhsa_exception_fp_ieee_invalid_op 0
		.amdhsa_exception_fp_denorm_src 0
		.amdhsa_exception_fp_ieee_div_zero 0
		.amdhsa_exception_fp_ieee_overflow 0
		.amdhsa_exception_fp_ieee_underflow 0
		.amdhsa_exception_fp_ieee_inexact 0
		.amdhsa_exception_int_div_zero 0
	.end_amdhsa_kernel
	.section	.text._ZN7rocprim17ROCPRIM_400000_NS6detail17trampoline_kernelINS0_14default_configENS1_25partition_config_selectorILNS1_17partition_subalgoE8ElNS0_10empty_typeEbEEZZNS1_14partition_implILS5_8ELb0ES3_jPlPS6_PKS6_NS0_5tupleIJS9_S6_EEENSD_IJSA_SA_EEENS0_18inequality_wrapperIZN2at6native12_GLOBAL__N_124unique_dim_cuda_templateIN3c108BFloat16EEESt5tupleIJNSH_6TensorESO_SO_EERKSO_lbbbEUlllE0_EEPmJS6_EEE10hipError_tPvRmT3_T4_T5_T6_T7_T9_mT8_P12ihipStream_tbDpT10_ENKUlT_T0_E_clISt17integral_constantIbLb1EES1E_EEDaS19_S1A_EUlS19_E_NS1_11comp_targetILNS1_3genE2ELNS1_11target_archE906ELNS1_3gpuE6ELNS1_3repE0EEENS1_30default_config_static_selectorELNS0_4arch9wavefront6targetE1EEEvT1_,"axG",@progbits,_ZN7rocprim17ROCPRIM_400000_NS6detail17trampoline_kernelINS0_14default_configENS1_25partition_config_selectorILNS1_17partition_subalgoE8ElNS0_10empty_typeEbEEZZNS1_14partition_implILS5_8ELb0ES3_jPlPS6_PKS6_NS0_5tupleIJS9_S6_EEENSD_IJSA_SA_EEENS0_18inequality_wrapperIZN2at6native12_GLOBAL__N_124unique_dim_cuda_templateIN3c108BFloat16EEESt5tupleIJNSH_6TensorESO_SO_EERKSO_lbbbEUlllE0_EEPmJS6_EEE10hipError_tPvRmT3_T4_T5_T6_T7_T9_mT8_P12ihipStream_tbDpT10_ENKUlT_T0_E_clISt17integral_constantIbLb1EES1E_EEDaS19_S1A_EUlS19_E_NS1_11comp_targetILNS1_3genE2ELNS1_11target_archE906ELNS1_3gpuE6ELNS1_3repE0EEENS1_30default_config_static_selectorELNS0_4arch9wavefront6targetE1EEEvT1_,comdat
.Lfunc_end1194:
	.size	_ZN7rocprim17ROCPRIM_400000_NS6detail17trampoline_kernelINS0_14default_configENS1_25partition_config_selectorILNS1_17partition_subalgoE8ElNS0_10empty_typeEbEEZZNS1_14partition_implILS5_8ELb0ES3_jPlPS6_PKS6_NS0_5tupleIJS9_S6_EEENSD_IJSA_SA_EEENS0_18inequality_wrapperIZN2at6native12_GLOBAL__N_124unique_dim_cuda_templateIN3c108BFloat16EEESt5tupleIJNSH_6TensorESO_SO_EERKSO_lbbbEUlllE0_EEPmJS6_EEE10hipError_tPvRmT3_T4_T5_T6_T7_T9_mT8_P12ihipStream_tbDpT10_ENKUlT_T0_E_clISt17integral_constantIbLb1EES1E_EEDaS19_S1A_EUlS19_E_NS1_11comp_targetILNS1_3genE2ELNS1_11target_archE906ELNS1_3gpuE6ELNS1_3repE0EEENS1_30default_config_static_selectorELNS0_4arch9wavefront6targetE1EEEvT1_, .Lfunc_end1194-_ZN7rocprim17ROCPRIM_400000_NS6detail17trampoline_kernelINS0_14default_configENS1_25partition_config_selectorILNS1_17partition_subalgoE8ElNS0_10empty_typeEbEEZZNS1_14partition_implILS5_8ELb0ES3_jPlPS6_PKS6_NS0_5tupleIJS9_S6_EEENSD_IJSA_SA_EEENS0_18inequality_wrapperIZN2at6native12_GLOBAL__N_124unique_dim_cuda_templateIN3c108BFloat16EEESt5tupleIJNSH_6TensorESO_SO_EERKSO_lbbbEUlllE0_EEPmJS6_EEE10hipError_tPvRmT3_T4_T5_T6_T7_T9_mT8_P12ihipStream_tbDpT10_ENKUlT_T0_E_clISt17integral_constantIbLb1EES1E_EEDaS19_S1A_EUlS19_E_NS1_11comp_targetILNS1_3genE2ELNS1_11target_archE906ELNS1_3gpuE6ELNS1_3repE0EEENS1_30default_config_static_selectorELNS0_4arch9wavefront6targetE1EEEvT1_
                                        ; -- End function
	.section	.AMDGPU.csdata,"",@progbits
; Kernel info:
; codeLenInByte = 0
; NumSgprs: 6
; NumVgprs: 0
; NumAgprs: 0
; TotalNumVgprs: 0
; ScratchSize: 0
; MemoryBound: 0
; FloatMode: 240
; IeeeMode: 1
; LDSByteSize: 0 bytes/workgroup (compile time only)
; SGPRBlocks: 0
; VGPRBlocks: 0
; NumSGPRsForWavesPerEU: 6
; NumVGPRsForWavesPerEU: 1
; AccumOffset: 4
; Occupancy: 8
; WaveLimiterHint : 0
; COMPUTE_PGM_RSRC2:SCRATCH_EN: 0
; COMPUTE_PGM_RSRC2:USER_SGPR: 2
; COMPUTE_PGM_RSRC2:TRAP_HANDLER: 0
; COMPUTE_PGM_RSRC2:TGID_X_EN: 1
; COMPUTE_PGM_RSRC2:TGID_Y_EN: 0
; COMPUTE_PGM_RSRC2:TGID_Z_EN: 0
; COMPUTE_PGM_RSRC2:TIDIG_COMP_CNT: 0
; COMPUTE_PGM_RSRC3_GFX90A:ACCUM_OFFSET: 0
; COMPUTE_PGM_RSRC3_GFX90A:TG_SPLIT: 0
	.section	.text._ZN7rocprim17ROCPRIM_400000_NS6detail17trampoline_kernelINS0_14default_configENS1_25partition_config_selectorILNS1_17partition_subalgoE8ElNS0_10empty_typeEbEEZZNS1_14partition_implILS5_8ELb0ES3_jPlPS6_PKS6_NS0_5tupleIJS9_S6_EEENSD_IJSA_SA_EEENS0_18inequality_wrapperIZN2at6native12_GLOBAL__N_124unique_dim_cuda_templateIN3c108BFloat16EEESt5tupleIJNSH_6TensorESO_SO_EERKSO_lbbbEUlllE0_EEPmJS6_EEE10hipError_tPvRmT3_T4_T5_T6_T7_T9_mT8_P12ihipStream_tbDpT10_ENKUlT_T0_E_clISt17integral_constantIbLb1EES1E_EEDaS19_S1A_EUlS19_E_NS1_11comp_targetILNS1_3genE10ELNS1_11target_archE1200ELNS1_3gpuE4ELNS1_3repE0EEENS1_30default_config_static_selectorELNS0_4arch9wavefront6targetE1EEEvT1_,"axG",@progbits,_ZN7rocprim17ROCPRIM_400000_NS6detail17trampoline_kernelINS0_14default_configENS1_25partition_config_selectorILNS1_17partition_subalgoE8ElNS0_10empty_typeEbEEZZNS1_14partition_implILS5_8ELb0ES3_jPlPS6_PKS6_NS0_5tupleIJS9_S6_EEENSD_IJSA_SA_EEENS0_18inequality_wrapperIZN2at6native12_GLOBAL__N_124unique_dim_cuda_templateIN3c108BFloat16EEESt5tupleIJNSH_6TensorESO_SO_EERKSO_lbbbEUlllE0_EEPmJS6_EEE10hipError_tPvRmT3_T4_T5_T6_T7_T9_mT8_P12ihipStream_tbDpT10_ENKUlT_T0_E_clISt17integral_constantIbLb1EES1E_EEDaS19_S1A_EUlS19_E_NS1_11comp_targetILNS1_3genE10ELNS1_11target_archE1200ELNS1_3gpuE4ELNS1_3repE0EEENS1_30default_config_static_selectorELNS0_4arch9wavefront6targetE1EEEvT1_,comdat
	.globl	_ZN7rocprim17ROCPRIM_400000_NS6detail17trampoline_kernelINS0_14default_configENS1_25partition_config_selectorILNS1_17partition_subalgoE8ElNS0_10empty_typeEbEEZZNS1_14partition_implILS5_8ELb0ES3_jPlPS6_PKS6_NS0_5tupleIJS9_S6_EEENSD_IJSA_SA_EEENS0_18inequality_wrapperIZN2at6native12_GLOBAL__N_124unique_dim_cuda_templateIN3c108BFloat16EEESt5tupleIJNSH_6TensorESO_SO_EERKSO_lbbbEUlllE0_EEPmJS6_EEE10hipError_tPvRmT3_T4_T5_T6_T7_T9_mT8_P12ihipStream_tbDpT10_ENKUlT_T0_E_clISt17integral_constantIbLb1EES1E_EEDaS19_S1A_EUlS19_E_NS1_11comp_targetILNS1_3genE10ELNS1_11target_archE1200ELNS1_3gpuE4ELNS1_3repE0EEENS1_30default_config_static_selectorELNS0_4arch9wavefront6targetE1EEEvT1_ ; -- Begin function _ZN7rocprim17ROCPRIM_400000_NS6detail17trampoline_kernelINS0_14default_configENS1_25partition_config_selectorILNS1_17partition_subalgoE8ElNS0_10empty_typeEbEEZZNS1_14partition_implILS5_8ELb0ES3_jPlPS6_PKS6_NS0_5tupleIJS9_S6_EEENSD_IJSA_SA_EEENS0_18inequality_wrapperIZN2at6native12_GLOBAL__N_124unique_dim_cuda_templateIN3c108BFloat16EEESt5tupleIJNSH_6TensorESO_SO_EERKSO_lbbbEUlllE0_EEPmJS6_EEE10hipError_tPvRmT3_T4_T5_T6_T7_T9_mT8_P12ihipStream_tbDpT10_ENKUlT_T0_E_clISt17integral_constantIbLb1EES1E_EEDaS19_S1A_EUlS19_E_NS1_11comp_targetILNS1_3genE10ELNS1_11target_archE1200ELNS1_3gpuE4ELNS1_3repE0EEENS1_30default_config_static_selectorELNS0_4arch9wavefront6targetE1EEEvT1_
	.p2align	8
	.type	_ZN7rocprim17ROCPRIM_400000_NS6detail17trampoline_kernelINS0_14default_configENS1_25partition_config_selectorILNS1_17partition_subalgoE8ElNS0_10empty_typeEbEEZZNS1_14partition_implILS5_8ELb0ES3_jPlPS6_PKS6_NS0_5tupleIJS9_S6_EEENSD_IJSA_SA_EEENS0_18inequality_wrapperIZN2at6native12_GLOBAL__N_124unique_dim_cuda_templateIN3c108BFloat16EEESt5tupleIJNSH_6TensorESO_SO_EERKSO_lbbbEUlllE0_EEPmJS6_EEE10hipError_tPvRmT3_T4_T5_T6_T7_T9_mT8_P12ihipStream_tbDpT10_ENKUlT_T0_E_clISt17integral_constantIbLb1EES1E_EEDaS19_S1A_EUlS19_E_NS1_11comp_targetILNS1_3genE10ELNS1_11target_archE1200ELNS1_3gpuE4ELNS1_3repE0EEENS1_30default_config_static_selectorELNS0_4arch9wavefront6targetE1EEEvT1_,@function
_ZN7rocprim17ROCPRIM_400000_NS6detail17trampoline_kernelINS0_14default_configENS1_25partition_config_selectorILNS1_17partition_subalgoE8ElNS0_10empty_typeEbEEZZNS1_14partition_implILS5_8ELb0ES3_jPlPS6_PKS6_NS0_5tupleIJS9_S6_EEENSD_IJSA_SA_EEENS0_18inequality_wrapperIZN2at6native12_GLOBAL__N_124unique_dim_cuda_templateIN3c108BFloat16EEESt5tupleIJNSH_6TensorESO_SO_EERKSO_lbbbEUlllE0_EEPmJS6_EEE10hipError_tPvRmT3_T4_T5_T6_T7_T9_mT8_P12ihipStream_tbDpT10_ENKUlT_T0_E_clISt17integral_constantIbLb1EES1E_EEDaS19_S1A_EUlS19_E_NS1_11comp_targetILNS1_3genE10ELNS1_11target_archE1200ELNS1_3gpuE4ELNS1_3repE0EEENS1_30default_config_static_selectorELNS0_4arch9wavefront6targetE1EEEvT1_: ; @_ZN7rocprim17ROCPRIM_400000_NS6detail17trampoline_kernelINS0_14default_configENS1_25partition_config_selectorILNS1_17partition_subalgoE8ElNS0_10empty_typeEbEEZZNS1_14partition_implILS5_8ELb0ES3_jPlPS6_PKS6_NS0_5tupleIJS9_S6_EEENSD_IJSA_SA_EEENS0_18inequality_wrapperIZN2at6native12_GLOBAL__N_124unique_dim_cuda_templateIN3c108BFloat16EEESt5tupleIJNSH_6TensorESO_SO_EERKSO_lbbbEUlllE0_EEPmJS6_EEE10hipError_tPvRmT3_T4_T5_T6_T7_T9_mT8_P12ihipStream_tbDpT10_ENKUlT_T0_E_clISt17integral_constantIbLb1EES1E_EEDaS19_S1A_EUlS19_E_NS1_11comp_targetILNS1_3genE10ELNS1_11target_archE1200ELNS1_3gpuE4ELNS1_3repE0EEENS1_30default_config_static_selectorELNS0_4arch9wavefront6targetE1EEEvT1_
; %bb.0:
	.section	.rodata,"a",@progbits
	.p2align	6, 0x0
	.amdhsa_kernel _ZN7rocprim17ROCPRIM_400000_NS6detail17trampoline_kernelINS0_14default_configENS1_25partition_config_selectorILNS1_17partition_subalgoE8ElNS0_10empty_typeEbEEZZNS1_14partition_implILS5_8ELb0ES3_jPlPS6_PKS6_NS0_5tupleIJS9_S6_EEENSD_IJSA_SA_EEENS0_18inequality_wrapperIZN2at6native12_GLOBAL__N_124unique_dim_cuda_templateIN3c108BFloat16EEESt5tupleIJNSH_6TensorESO_SO_EERKSO_lbbbEUlllE0_EEPmJS6_EEE10hipError_tPvRmT3_T4_T5_T6_T7_T9_mT8_P12ihipStream_tbDpT10_ENKUlT_T0_E_clISt17integral_constantIbLb1EES1E_EEDaS19_S1A_EUlS19_E_NS1_11comp_targetILNS1_3genE10ELNS1_11target_archE1200ELNS1_3gpuE4ELNS1_3repE0EEENS1_30default_config_static_selectorELNS0_4arch9wavefront6targetE1EEEvT1_
		.amdhsa_group_segment_fixed_size 0
		.amdhsa_private_segment_fixed_size 0
		.amdhsa_kernarg_size 136
		.amdhsa_user_sgpr_count 2
		.amdhsa_user_sgpr_dispatch_ptr 0
		.amdhsa_user_sgpr_queue_ptr 0
		.amdhsa_user_sgpr_kernarg_segment_ptr 1
		.amdhsa_user_sgpr_dispatch_id 0
		.amdhsa_user_sgpr_kernarg_preload_length 0
		.amdhsa_user_sgpr_kernarg_preload_offset 0
		.amdhsa_user_sgpr_private_segment_size 0
		.amdhsa_uses_dynamic_stack 0
		.amdhsa_enable_private_segment 0
		.amdhsa_system_sgpr_workgroup_id_x 1
		.amdhsa_system_sgpr_workgroup_id_y 0
		.amdhsa_system_sgpr_workgroup_id_z 0
		.amdhsa_system_sgpr_workgroup_info 0
		.amdhsa_system_vgpr_workitem_id 0
		.amdhsa_next_free_vgpr 1
		.amdhsa_next_free_sgpr 0
		.amdhsa_accum_offset 4
		.amdhsa_reserve_vcc 0
		.amdhsa_float_round_mode_32 0
		.amdhsa_float_round_mode_16_64 0
		.amdhsa_float_denorm_mode_32 3
		.amdhsa_float_denorm_mode_16_64 3
		.amdhsa_dx10_clamp 1
		.amdhsa_ieee_mode 1
		.amdhsa_fp16_overflow 0
		.amdhsa_tg_split 0
		.amdhsa_exception_fp_ieee_invalid_op 0
		.amdhsa_exception_fp_denorm_src 0
		.amdhsa_exception_fp_ieee_div_zero 0
		.amdhsa_exception_fp_ieee_overflow 0
		.amdhsa_exception_fp_ieee_underflow 0
		.amdhsa_exception_fp_ieee_inexact 0
		.amdhsa_exception_int_div_zero 0
	.end_amdhsa_kernel
	.section	.text._ZN7rocprim17ROCPRIM_400000_NS6detail17trampoline_kernelINS0_14default_configENS1_25partition_config_selectorILNS1_17partition_subalgoE8ElNS0_10empty_typeEbEEZZNS1_14partition_implILS5_8ELb0ES3_jPlPS6_PKS6_NS0_5tupleIJS9_S6_EEENSD_IJSA_SA_EEENS0_18inequality_wrapperIZN2at6native12_GLOBAL__N_124unique_dim_cuda_templateIN3c108BFloat16EEESt5tupleIJNSH_6TensorESO_SO_EERKSO_lbbbEUlllE0_EEPmJS6_EEE10hipError_tPvRmT3_T4_T5_T6_T7_T9_mT8_P12ihipStream_tbDpT10_ENKUlT_T0_E_clISt17integral_constantIbLb1EES1E_EEDaS19_S1A_EUlS19_E_NS1_11comp_targetILNS1_3genE10ELNS1_11target_archE1200ELNS1_3gpuE4ELNS1_3repE0EEENS1_30default_config_static_selectorELNS0_4arch9wavefront6targetE1EEEvT1_,"axG",@progbits,_ZN7rocprim17ROCPRIM_400000_NS6detail17trampoline_kernelINS0_14default_configENS1_25partition_config_selectorILNS1_17partition_subalgoE8ElNS0_10empty_typeEbEEZZNS1_14partition_implILS5_8ELb0ES3_jPlPS6_PKS6_NS0_5tupleIJS9_S6_EEENSD_IJSA_SA_EEENS0_18inequality_wrapperIZN2at6native12_GLOBAL__N_124unique_dim_cuda_templateIN3c108BFloat16EEESt5tupleIJNSH_6TensorESO_SO_EERKSO_lbbbEUlllE0_EEPmJS6_EEE10hipError_tPvRmT3_T4_T5_T6_T7_T9_mT8_P12ihipStream_tbDpT10_ENKUlT_T0_E_clISt17integral_constantIbLb1EES1E_EEDaS19_S1A_EUlS19_E_NS1_11comp_targetILNS1_3genE10ELNS1_11target_archE1200ELNS1_3gpuE4ELNS1_3repE0EEENS1_30default_config_static_selectorELNS0_4arch9wavefront6targetE1EEEvT1_,comdat
.Lfunc_end1195:
	.size	_ZN7rocprim17ROCPRIM_400000_NS6detail17trampoline_kernelINS0_14default_configENS1_25partition_config_selectorILNS1_17partition_subalgoE8ElNS0_10empty_typeEbEEZZNS1_14partition_implILS5_8ELb0ES3_jPlPS6_PKS6_NS0_5tupleIJS9_S6_EEENSD_IJSA_SA_EEENS0_18inequality_wrapperIZN2at6native12_GLOBAL__N_124unique_dim_cuda_templateIN3c108BFloat16EEESt5tupleIJNSH_6TensorESO_SO_EERKSO_lbbbEUlllE0_EEPmJS6_EEE10hipError_tPvRmT3_T4_T5_T6_T7_T9_mT8_P12ihipStream_tbDpT10_ENKUlT_T0_E_clISt17integral_constantIbLb1EES1E_EEDaS19_S1A_EUlS19_E_NS1_11comp_targetILNS1_3genE10ELNS1_11target_archE1200ELNS1_3gpuE4ELNS1_3repE0EEENS1_30default_config_static_selectorELNS0_4arch9wavefront6targetE1EEEvT1_, .Lfunc_end1195-_ZN7rocprim17ROCPRIM_400000_NS6detail17trampoline_kernelINS0_14default_configENS1_25partition_config_selectorILNS1_17partition_subalgoE8ElNS0_10empty_typeEbEEZZNS1_14partition_implILS5_8ELb0ES3_jPlPS6_PKS6_NS0_5tupleIJS9_S6_EEENSD_IJSA_SA_EEENS0_18inequality_wrapperIZN2at6native12_GLOBAL__N_124unique_dim_cuda_templateIN3c108BFloat16EEESt5tupleIJNSH_6TensorESO_SO_EERKSO_lbbbEUlllE0_EEPmJS6_EEE10hipError_tPvRmT3_T4_T5_T6_T7_T9_mT8_P12ihipStream_tbDpT10_ENKUlT_T0_E_clISt17integral_constantIbLb1EES1E_EEDaS19_S1A_EUlS19_E_NS1_11comp_targetILNS1_3genE10ELNS1_11target_archE1200ELNS1_3gpuE4ELNS1_3repE0EEENS1_30default_config_static_selectorELNS0_4arch9wavefront6targetE1EEEvT1_
                                        ; -- End function
	.section	.AMDGPU.csdata,"",@progbits
; Kernel info:
; codeLenInByte = 0
; NumSgprs: 6
; NumVgprs: 0
; NumAgprs: 0
; TotalNumVgprs: 0
; ScratchSize: 0
; MemoryBound: 0
; FloatMode: 240
; IeeeMode: 1
; LDSByteSize: 0 bytes/workgroup (compile time only)
; SGPRBlocks: 0
; VGPRBlocks: 0
; NumSGPRsForWavesPerEU: 6
; NumVGPRsForWavesPerEU: 1
; AccumOffset: 4
; Occupancy: 8
; WaveLimiterHint : 0
; COMPUTE_PGM_RSRC2:SCRATCH_EN: 0
; COMPUTE_PGM_RSRC2:USER_SGPR: 2
; COMPUTE_PGM_RSRC2:TRAP_HANDLER: 0
; COMPUTE_PGM_RSRC2:TGID_X_EN: 1
; COMPUTE_PGM_RSRC2:TGID_Y_EN: 0
; COMPUTE_PGM_RSRC2:TGID_Z_EN: 0
; COMPUTE_PGM_RSRC2:TIDIG_COMP_CNT: 0
; COMPUTE_PGM_RSRC3_GFX90A:ACCUM_OFFSET: 0
; COMPUTE_PGM_RSRC3_GFX90A:TG_SPLIT: 0
	.section	.text._ZN7rocprim17ROCPRIM_400000_NS6detail17trampoline_kernelINS0_14default_configENS1_25partition_config_selectorILNS1_17partition_subalgoE8ElNS0_10empty_typeEbEEZZNS1_14partition_implILS5_8ELb0ES3_jPlPS6_PKS6_NS0_5tupleIJS9_S6_EEENSD_IJSA_SA_EEENS0_18inequality_wrapperIZN2at6native12_GLOBAL__N_124unique_dim_cuda_templateIN3c108BFloat16EEESt5tupleIJNSH_6TensorESO_SO_EERKSO_lbbbEUlllE0_EEPmJS6_EEE10hipError_tPvRmT3_T4_T5_T6_T7_T9_mT8_P12ihipStream_tbDpT10_ENKUlT_T0_E_clISt17integral_constantIbLb1EES1E_EEDaS19_S1A_EUlS19_E_NS1_11comp_targetILNS1_3genE9ELNS1_11target_archE1100ELNS1_3gpuE3ELNS1_3repE0EEENS1_30default_config_static_selectorELNS0_4arch9wavefront6targetE1EEEvT1_,"axG",@progbits,_ZN7rocprim17ROCPRIM_400000_NS6detail17trampoline_kernelINS0_14default_configENS1_25partition_config_selectorILNS1_17partition_subalgoE8ElNS0_10empty_typeEbEEZZNS1_14partition_implILS5_8ELb0ES3_jPlPS6_PKS6_NS0_5tupleIJS9_S6_EEENSD_IJSA_SA_EEENS0_18inequality_wrapperIZN2at6native12_GLOBAL__N_124unique_dim_cuda_templateIN3c108BFloat16EEESt5tupleIJNSH_6TensorESO_SO_EERKSO_lbbbEUlllE0_EEPmJS6_EEE10hipError_tPvRmT3_T4_T5_T6_T7_T9_mT8_P12ihipStream_tbDpT10_ENKUlT_T0_E_clISt17integral_constantIbLb1EES1E_EEDaS19_S1A_EUlS19_E_NS1_11comp_targetILNS1_3genE9ELNS1_11target_archE1100ELNS1_3gpuE3ELNS1_3repE0EEENS1_30default_config_static_selectorELNS0_4arch9wavefront6targetE1EEEvT1_,comdat
	.globl	_ZN7rocprim17ROCPRIM_400000_NS6detail17trampoline_kernelINS0_14default_configENS1_25partition_config_selectorILNS1_17partition_subalgoE8ElNS0_10empty_typeEbEEZZNS1_14partition_implILS5_8ELb0ES3_jPlPS6_PKS6_NS0_5tupleIJS9_S6_EEENSD_IJSA_SA_EEENS0_18inequality_wrapperIZN2at6native12_GLOBAL__N_124unique_dim_cuda_templateIN3c108BFloat16EEESt5tupleIJNSH_6TensorESO_SO_EERKSO_lbbbEUlllE0_EEPmJS6_EEE10hipError_tPvRmT3_T4_T5_T6_T7_T9_mT8_P12ihipStream_tbDpT10_ENKUlT_T0_E_clISt17integral_constantIbLb1EES1E_EEDaS19_S1A_EUlS19_E_NS1_11comp_targetILNS1_3genE9ELNS1_11target_archE1100ELNS1_3gpuE3ELNS1_3repE0EEENS1_30default_config_static_selectorELNS0_4arch9wavefront6targetE1EEEvT1_ ; -- Begin function _ZN7rocprim17ROCPRIM_400000_NS6detail17trampoline_kernelINS0_14default_configENS1_25partition_config_selectorILNS1_17partition_subalgoE8ElNS0_10empty_typeEbEEZZNS1_14partition_implILS5_8ELb0ES3_jPlPS6_PKS6_NS0_5tupleIJS9_S6_EEENSD_IJSA_SA_EEENS0_18inequality_wrapperIZN2at6native12_GLOBAL__N_124unique_dim_cuda_templateIN3c108BFloat16EEESt5tupleIJNSH_6TensorESO_SO_EERKSO_lbbbEUlllE0_EEPmJS6_EEE10hipError_tPvRmT3_T4_T5_T6_T7_T9_mT8_P12ihipStream_tbDpT10_ENKUlT_T0_E_clISt17integral_constantIbLb1EES1E_EEDaS19_S1A_EUlS19_E_NS1_11comp_targetILNS1_3genE9ELNS1_11target_archE1100ELNS1_3gpuE3ELNS1_3repE0EEENS1_30default_config_static_selectorELNS0_4arch9wavefront6targetE1EEEvT1_
	.p2align	8
	.type	_ZN7rocprim17ROCPRIM_400000_NS6detail17trampoline_kernelINS0_14default_configENS1_25partition_config_selectorILNS1_17partition_subalgoE8ElNS0_10empty_typeEbEEZZNS1_14partition_implILS5_8ELb0ES3_jPlPS6_PKS6_NS0_5tupleIJS9_S6_EEENSD_IJSA_SA_EEENS0_18inequality_wrapperIZN2at6native12_GLOBAL__N_124unique_dim_cuda_templateIN3c108BFloat16EEESt5tupleIJNSH_6TensorESO_SO_EERKSO_lbbbEUlllE0_EEPmJS6_EEE10hipError_tPvRmT3_T4_T5_T6_T7_T9_mT8_P12ihipStream_tbDpT10_ENKUlT_T0_E_clISt17integral_constantIbLb1EES1E_EEDaS19_S1A_EUlS19_E_NS1_11comp_targetILNS1_3genE9ELNS1_11target_archE1100ELNS1_3gpuE3ELNS1_3repE0EEENS1_30default_config_static_selectorELNS0_4arch9wavefront6targetE1EEEvT1_,@function
_ZN7rocprim17ROCPRIM_400000_NS6detail17trampoline_kernelINS0_14default_configENS1_25partition_config_selectorILNS1_17partition_subalgoE8ElNS0_10empty_typeEbEEZZNS1_14partition_implILS5_8ELb0ES3_jPlPS6_PKS6_NS0_5tupleIJS9_S6_EEENSD_IJSA_SA_EEENS0_18inequality_wrapperIZN2at6native12_GLOBAL__N_124unique_dim_cuda_templateIN3c108BFloat16EEESt5tupleIJNSH_6TensorESO_SO_EERKSO_lbbbEUlllE0_EEPmJS6_EEE10hipError_tPvRmT3_T4_T5_T6_T7_T9_mT8_P12ihipStream_tbDpT10_ENKUlT_T0_E_clISt17integral_constantIbLb1EES1E_EEDaS19_S1A_EUlS19_E_NS1_11comp_targetILNS1_3genE9ELNS1_11target_archE1100ELNS1_3gpuE3ELNS1_3repE0EEENS1_30default_config_static_selectorELNS0_4arch9wavefront6targetE1EEEvT1_: ; @_ZN7rocprim17ROCPRIM_400000_NS6detail17trampoline_kernelINS0_14default_configENS1_25partition_config_selectorILNS1_17partition_subalgoE8ElNS0_10empty_typeEbEEZZNS1_14partition_implILS5_8ELb0ES3_jPlPS6_PKS6_NS0_5tupleIJS9_S6_EEENSD_IJSA_SA_EEENS0_18inequality_wrapperIZN2at6native12_GLOBAL__N_124unique_dim_cuda_templateIN3c108BFloat16EEESt5tupleIJNSH_6TensorESO_SO_EERKSO_lbbbEUlllE0_EEPmJS6_EEE10hipError_tPvRmT3_T4_T5_T6_T7_T9_mT8_P12ihipStream_tbDpT10_ENKUlT_T0_E_clISt17integral_constantIbLb1EES1E_EEDaS19_S1A_EUlS19_E_NS1_11comp_targetILNS1_3genE9ELNS1_11target_archE1100ELNS1_3gpuE3ELNS1_3repE0EEENS1_30default_config_static_selectorELNS0_4arch9wavefront6targetE1EEEvT1_
; %bb.0:
	.section	.rodata,"a",@progbits
	.p2align	6, 0x0
	.amdhsa_kernel _ZN7rocprim17ROCPRIM_400000_NS6detail17trampoline_kernelINS0_14default_configENS1_25partition_config_selectorILNS1_17partition_subalgoE8ElNS0_10empty_typeEbEEZZNS1_14partition_implILS5_8ELb0ES3_jPlPS6_PKS6_NS0_5tupleIJS9_S6_EEENSD_IJSA_SA_EEENS0_18inequality_wrapperIZN2at6native12_GLOBAL__N_124unique_dim_cuda_templateIN3c108BFloat16EEESt5tupleIJNSH_6TensorESO_SO_EERKSO_lbbbEUlllE0_EEPmJS6_EEE10hipError_tPvRmT3_T4_T5_T6_T7_T9_mT8_P12ihipStream_tbDpT10_ENKUlT_T0_E_clISt17integral_constantIbLb1EES1E_EEDaS19_S1A_EUlS19_E_NS1_11comp_targetILNS1_3genE9ELNS1_11target_archE1100ELNS1_3gpuE3ELNS1_3repE0EEENS1_30default_config_static_selectorELNS0_4arch9wavefront6targetE1EEEvT1_
		.amdhsa_group_segment_fixed_size 0
		.amdhsa_private_segment_fixed_size 0
		.amdhsa_kernarg_size 136
		.amdhsa_user_sgpr_count 2
		.amdhsa_user_sgpr_dispatch_ptr 0
		.amdhsa_user_sgpr_queue_ptr 0
		.amdhsa_user_sgpr_kernarg_segment_ptr 1
		.amdhsa_user_sgpr_dispatch_id 0
		.amdhsa_user_sgpr_kernarg_preload_length 0
		.amdhsa_user_sgpr_kernarg_preload_offset 0
		.amdhsa_user_sgpr_private_segment_size 0
		.amdhsa_uses_dynamic_stack 0
		.amdhsa_enable_private_segment 0
		.amdhsa_system_sgpr_workgroup_id_x 1
		.amdhsa_system_sgpr_workgroup_id_y 0
		.amdhsa_system_sgpr_workgroup_id_z 0
		.amdhsa_system_sgpr_workgroup_info 0
		.amdhsa_system_vgpr_workitem_id 0
		.amdhsa_next_free_vgpr 1
		.amdhsa_next_free_sgpr 0
		.amdhsa_accum_offset 4
		.amdhsa_reserve_vcc 0
		.amdhsa_float_round_mode_32 0
		.amdhsa_float_round_mode_16_64 0
		.amdhsa_float_denorm_mode_32 3
		.amdhsa_float_denorm_mode_16_64 3
		.amdhsa_dx10_clamp 1
		.amdhsa_ieee_mode 1
		.amdhsa_fp16_overflow 0
		.amdhsa_tg_split 0
		.amdhsa_exception_fp_ieee_invalid_op 0
		.amdhsa_exception_fp_denorm_src 0
		.amdhsa_exception_fp_ieee_div_zero 0
		.amdhsa_exception_fp_ieee_overflow 0
		.amdhsa_exception_fp_ieee_underflow 0
		.amdhsa_exception_fp_ieee_inexact 0
		.amdhsa_exception_int_div_zero 0
	.end_amdhsa_kernel
	.section	.text._ZN7rocprim17ROCPRIM_400000_NS6detail17trampoline_kernelINS0_14default_configENS1_25partition_config_selectorILNS1_17partition_subalgoE8ElNS0_10empty_typeEbEEZZNS1_14partition_implILS5_8ELb0ES3_jPlPS6_PKS6_NS0_5tupleIJS9_S6_EEENSD_IJSA_SA_EEENS0_18inequality_wrapperIZN2at6native12_GLOBAL__N_124unique_dim_cuda_templateIN3c108BFloat16EEESt5tupleIJNSH_6TensorESO_SO_EERKSO_lbbbEUlllE0_EEPmJS6_EEE10hipError_tPvRmT3_T4_T5_T6_T7_T9_mT8_P12ihipStream_tbDpT10_ENKUlT_T0_E_clISt17integral_constantIbLb1EES1E_EEDaS19_S1A_EUlS19_E_NS1_11comp_targetILNS1_3genE9ELNS1_11target_archE1100ELNS1_3gpuE3ELNS1_3repE0EEENS1_30default_config_static_selectorELNS0_4arch9wavefront6targetE1EEEvT1_,"axG",@progbits,_ZN7rocprim17ROCPRIM_400000_NS6detail17trampoline_kernelINS0_14default_configENS1_25partition_config_selectorILNS1_17partition_subalgoE8ElNS0_10empty_typeEbEEZZNS1_14partition_implILS5_8ELb0ES3_jPlPS6_PKS6_NS0_5tupleIJS9_S6_EEENSD_IJSA_SA_EEENS0_18inequality_wrapperIZN2at6native12_GLOBAL__N_124unique_dim_cuda_templateIN3c108BFloat16EEESt5tupleIJNSH_6TensorESO_SO_EERKSO_lbbbEUlllE0_EEPmJS6_EEE10hipError_tPvRmT3_T4_T5_T6_T7_T9_mT8_P12ihipStream_tbDpT10_ENKUlT_T0_E_clISt17integral_constantIbLb1EES1E_EEDaS19_S1A_EUlS19_E_NS1_11comp_targetILNS1_3genE9ELNS1_11target_archE1100ELNS1_3gpuE3ELNS1_3repE0EEENS1_30default_config_static_selectorELNS0_4arch9wavefront6targetE1EEEvT1_,comdat
.Lfunc_end1196:
	.size	_ZN7rocprim17ROCPRIM_400000_NS6detail17trampoline_kernelINS0_14default_configENS1_25partition_config_selectorILNS1_17partition_subalgoE8ElNS0_10empty_typeEbEEZZNS1_14partition_implILS5_8ELb0ES3_jPlPS6_PKS6_NS0_5tupleIJS9_S6_EEENSD_IJSA_SA_EEENS0_18inequality_wrapperIZN2at6native12_GLOBAL__N_124unique_dim_cuda_templateIN3c108BFloat16EEESt5tupleIJNSH_6TensorESO_SO_EERKSO_lbbbEUlllE0_EEPmJS6_EEE10hipError_tPvRmT3_T4_T5_T6_T7_T9_mT8_P12ihipStream_tbDpT10_ENKUlT_T0_E_clISt17integral_constantIbLb1EES1E_EEDaS19_S1A_EUlS19_E_NS1_11comp_targetILNS1_3genE9ELNS1_11target_archE1100ELNS1_3gpuE3ELNS1_3repE0EEENS1_30default_config_static_selectorELNS0_4arch9wavefront6targetE1EEEvT1_, .Lfunc_end1196-_ZN7rocprim17ROCPRIM_400000_NS6detail17trampoline_kernelINS0_14default_configENS1_25partition_config_selectorILNS1_17partition_subalgoE8ElNS0_10empty_typeEbEEZZNS1_14partition_implILS5_8ELb0ES3_jPlPS6_PKS6_NS0_5tupleIJS9_S6_EEENSD_IJSA_SA_EEENS0_18inequality_wrapperIZN2at6native12_GLOBAL__N_124unique_dim_cuda_templateIN3c108BFloat16EEESt5tupleIJNSH_6TensorESO_SO_EERKSO_lbbbEUlllE0_EEPmJS6_EEE10hipError_tPvRmT3_T4_T5_T6_T7_T9_mT8_P12ihipStream_tbDpT10_ENKUlT_T0_E_clISt17integral_constantIbLb1EES1E_EEDaS19_S1A_EUlS19_E_NS1_11comp_targetILNS1_3genE9ELNS1_11target_archE1100ELNS1_3gpuE3ELNS1_3repE0EEENS1_30default_config_static_selectorELNS0_4arch9wavefront6targetE1EEEvT1_
                                        ; -- End function
	.section	.AMDGPU.csdata,"",@progbits
; Kernel info:
; codeLenInByte = 0
; NumSgprs: 6
; NumVgprs: 0
; NumAgprs: 0
; TotalNumVgprs: 0
; ScratchSize: 0
; MemoryBound: 0
; FloatMode: 240
; IeeeMode: 1
; LDSByteSize: 0 bytes/workgroup (compile time only)
; SGPRBlocks: 0
; VGPRBlocks: 0
; NumSGPRsForWavesPerEU: 6
; NumVGPRsForWavesPerEU: 1
; AccumOffset: 4
; Occupancy: 8
; WaveLimiterHint : 0
; COMPUTE_PGM_RSRC2:SCRATCH_EN: 0
; COMPUTE_PGM_RSRC2:USER_SGPR: 2
; COMPUTE_PGM_RSRC2:TRAP_HANDLER: 0
; COMPUTE_PGM_RSRC2:TGID_X_EN: 1
; COMPUTE_PGM_RSRC2:TGID_Y_EN: 0
; COMPUTE_PGM_RSRC2:TGID_Z_EN: 0
; COMPUTE_PGM_RSRC2:TIDIG_COMP_CNT: 0
; COMPUTE_PGM_RSRC3_GFX90A:ACCUM_OFFSET: 0
; COMPUTE_PGM_RSRC3_GFX90A:TG_SPLIT: 0
	.section	.text._ZN7rocprim17ROCPRIM_400000_NS6detail17trampoline_kernelINS0_14default_configENS1_25partition_config_selectorILNS1_17partition_subalgoE8ElNS0_10empty_typeEbEEZZNS1_14partition_implILS5_8ELb0ES3_jPlPS6_PKS6_NS0_5tupleIJS9_S6_EEENSD_IJSA_SA_EEENS0_18inequality_wrapperIZN2at6native12_GLOBAL__N_124unique_dim_cuda_templateIN3c108BFloat16EEESt5tupleIJNSH_6TensorESO_SO_EERKSO_lbbbEUlllE0_EEPmJS6_EEE10hipError_tPvRmT3_T4_T5_T6_T7_T9_mT8_P12ihipStream_tbDpT10_ENKUlT_T0_E_clISt17integral_constantIbLb1EES1E_EEDaS19_S1A_EUlS19_E_NS1_11comp_targetILNS1_3genE8ELNS1_11target_archE1030ELNS1_3gpuE2ELNS1_3repE0EEENS1_30default_config_static_selectorELNS0_4arch9wavefront6targetE1EEEvT1_,"axG",@progbits,_ZN7rocprim17ROCPRIM_400000_NS6detail17trampoline_kernelINS0_14default_configENS1_25partition_config_selectorILNS1_17partition_subalgoE8ElNS0_10empty_typeEbEEZZNS1_14partition_implILS5_8ELb0ES3_jPlPS6_PKS6_NS0_5tupleIJS9_S6_EEENSD_IJSA_SA_EEENS0_18inequality_wrapperIZN2at6native12_GLOBAL__N_124unique_dim_cuda_templateIN3c108BFloat16EEESt5tupleIJNSH_6TensorESO_SO_EERKSO_lbbbEUlllE0_EEPmJS6_EEE10hipError_tPvRmT3_T4_T5_T6_T7_T9_mT8_P12ihipStream_tbDpT10_ENKUlT_T0_E_clISt17integral_constantIbLb1EES1E_EEDaS19_S1A_EUlS19_E_NS1_11comp_targetILNS1_3genE8ELNS1_11target_archE1030ELNS1_3gpuE2ELNS1_3repE0EEENS1_30default_config_static_selectorELNS0_4arch9wavefront6targetE1EEEvT1_,comdat
	.globl	_ZN7rocprim17ROCPRIM_400000_NS6detail17trampoline_kernelINS0_14default_configENS1_25partition_config_selectorILNS1_17partition_subalgoE8ElNS0_10empty_typeEbEEZZNS1_14partition_implILS5_8ELb0ES3_jPlPS6_PKS6_NS0_5tupleIJS9_S6_EEENSD_IJSA_SA_EEENS0_18inequality_wrapperIZN2at6native12_GLOBAL__N_124unique_dim_cuda_templateIN3c108BFloat16EEESt5tupleIJNSH_6TensorESO_SO_EERKSO_lbbbEUlllE0_EEPmJS6_EEE10hipError_tPvRmT3_T4_T5_T6_T7_T9_mT8_P12ihipStream_tbDpT10_ENKUlT_T0_E_clISt17integral_constantIbLb1EES1E_EEDaS19_S1A_EUlS19_E_NS1_11comp_targetILNS1_3genE8ELNS1_11target_archE1030ELNS1_3gpuE2ELNS1_3repE0EEENS1_30default_config_static_selectorELNS0_4arch9wavefront6targetE1EEEvT1_ ; -- Begin function _ZN7rocprim17ROCPRIM_400000_NS6detail17trampoline_kernelINS0_14default_configENS1_25partition_config_selectorILNS1_17partition_subalgoE8ElNS0_10empty_typeEbEEZZNS1_14partition_implILS5_8ELb0ES3_jPlPS6_PKS6_NS0_5tupleIJS9_S6_EEENSD_IJSA_SA_EEENS0_18inequality_wrapperIZN2at6native12_GLOBAL__N_124unique_dim_cuda_templateIN3c108BFloat16EEESt5tupleIJNSH_6TensorESO_SO_EERKSO_lbbbEUlllE0_EEPmJS6_EEE10hipError_tPvRmT3_T4_T5_T6_T7_T9_mT8_P12ihipStream_tbDpT10_ENKUlT_T0_E_clISt17integral_constantIbLb1EES1E_EEDaS19_S1A_EUlS19_E_NS1_11comp_targetILNS1_3genE8ELNS1_11target_archE1030ELNS1_3gpuE2ELNS1_3repE0EEENS1_30default_config_static_selectorELNS0_4arch9wavefront6targetE1EEEvT1_
	.p2align	8
	.type	_ZN7rocprim17ROCPRIM_400000_NS6detail17trampoline_kernelINS0_14default_configENS1_25partition_config_selectorILNS1_17partition_subalgoE8ElNS0_10empty_typeEbEEZZNS1_14partition_implILS5_8ELb0ES3_jPlPS6_PKS6_NS0_5tupleIJS9_S6_EEENSD_IJSA_SA_EEENS0_18inequality_wrapperIZN2at6native12_GLOBAL__N_124unique_dim_cuda_templateIN3c108BFloat16EEESt5tupleIJNSH_6TensorESO_SO_EERKSO_lbbbEUlllE0_EEPmJS6_EEE10hipError_tPvRmT3_T4_T5_T6_T7_T9_mT8_P12ihipStream_tbDpT10_ENKUlT_T0_E_clISt17integral_constantIbLb1EES1E_EEDaS19_S1A_EUlS19_E_NS1_11comp_targetILNS1_3genE8ELNS1_11target_archE1030ELNS1_3gpuE2ELNS1_3repE0EEENS1_30default_config_static_selectorELNS0_4arch9wavefront6targetE1EEEvT1_,@function
_ZN7rocprim17ROCPRIM_400000_NS6detail17trampoline_kernelINS0_14default_configENS1_25partition_config_selectorILNS1_17partition_subalgoE8ElNS0_10empty_typeEbEEZZNS1_14partition_implILS5_8ELb0ES3_jPlPS6_PKS6_NS0_5tupleIJS9_S6_EEENSD_IJSA_SA_EEENS0_18inequality_wrapperIZN2at6native12_GLOBAL__N_124unique_dim_cuda_templateIN3c108BFloat16EEESt5tupleIJNSH_6TensorESO_SO_EERKSO_lbbbEUlllE0_EEPmJS6_EEE10hipError_tPvRmT3_T4_T5_T6_T7_T9_mT8_P12ihipStream_tbDpT10_ENKUlT_T0_E_clISt17integral_constantIbLb1EES1E_EEDaS19_S1A_EUlS19_E_NS1_11comp_targetILNS1_3genE8ELNS1_11target_archE1030ELNS1_3gpuE2ELNS1_3repE0EEENS1_30default_config_static_selectorELNS0_4arch9wavefront6targetE1EEEvT1_: ; @_ZN7rocprim17ROCPRIM_400000_NS6detail17trampoline_kernelINS0_14default_configENS1_25partition_config_selectorILNS1_17partition_subalgoE8ElNS0_10empty_typeEbEEZZNS1_14partition_implILS5_8ELb0ES3_jPlPS6_PKS6_NS0_5tupleIJS9_S6_EEENSD_IJSA_SA_EEENS0_18inequality_wrapperIZN2at6native12_GLOBAL__N_124unique_dim_cuda_templateIN3c108BFloat16EEESt5tupleIJNSH_6TensorESO_SO_EERKSO_lbbbEUlllE0_EEPmJS6_EEE10hipError_tPvRmT3_T4_T5_T6_T7_T9_mT8_P12ihipStream_tbDpT10_ENKUlT_T0_E_clISt17integral_constantIbLb1EES1E_EEDaS19_S1A_EUlS19_E_NS1_11comp_targetILNS1_3genE8ELNS1_11target_archE1030ELNS1_3gpuE2ELNS1_3repE0EEENS1_30default_config_static_selectorELNS0_4arch9wavefront6targetE1EEEvT1_
; %bb.0:
	.section	.rodata,"a",@progbits
	.p2align	6, 0x0
	.amdhsa_kernel _ZN7rocprim17ROCPRIM_400000_NS6detail17trampoline_kernelINS0_14default_configENS1_25partition_config_selectorILNS1_17partition_subalgoE8ElNS0_10empty_typeEbEEZZNS1_14partition_implILS5_8ELb0ES3_jPlPS6_PKS6_NS0_5tupleIJS9_S6_EEENSD_IJSA_SA_EEENS0_18inequality_wrapperIZN2at6native12_GLOBAL__N_124unique_dim_cuda_templateIN3c108BFloat16EEESt5tupleIJNSH_6TensorESO_SO_EERKSO_lbbbEUlllE0_EEPmJS6_EEE10hipError_tPvRmT3_T4_T5_T6_T7_T9_mT8_P12ihipStream_tbDpT10_ENKUlT_T0_E_clISt17integral_constantIbLb1EES1E_EEDaS19_S1A_EUlS19_E_NS1_11comp_targetILNS1_3genE8ELNS1_11target_archE1030ELNS1_3gpuE2ELNS1_3repE0EEENS1_30default_config_static_selectorELNS0_4arch9wavefront6targetE1EEEvT1_
		.amdhsa_group_segment_fixed_size 0
		.amdhsa_private_segment_fixed_size 0
		.amdhsa_kernarg_size 136
		.amdhsa_user_sgpr_count 2
		.amdhsa_user_sgpr_dispatch_ptr 0
		.amdhsa_user_sgpr_queue_ptr 0
		.amdhsa_user_sgpr_kernarg_segment_ptr 1
		.amdhsa_user_sgpr_dispatch_id 0
		.amdhsa_user_sgpr_kernarg_preload_length 0
		.amdhsa_user_sgpr_kernarg_preload_offset 0
		.amdhsa_user_sgpr_private_segment_size 0
		.amdhsa_uses_dynamic_stack 0
		.amdhsa_enable_private_segment 0
		.amdhsa_system_sgpr_workgroup_id_x 1
		.amdhsa_system_sgpr_workgroup_id_y 0
		.amdhsa_system_sgpr_workgroup_id_z 0
		.amdhsa_system_sgpr_workgroup_info 0
		.amdhsa_system_vgpr_workitem_id 0
		.amdhsa_next_free_vgpr 1
		.amdhsa_next_free_sgpr 0
		.amdhsa_accum_offset 4
		.amdhsa_reserve_vcc 0
		.amdhsa_float_round_mode_32 0
		.amdhsa_float_round_mode_16_64 0
		.amdhsa_float_denorm_mode_32 3
		.amdhsa_float_denorm_mode_16_64 3
		.amdhsa_dx10_clamp 1
		.amdhsa_ieee_mode 1
		.amdhsa_fp16_overflow 0
		.amdhsa_tg_split 0
		.amdhsa_exception_fp_ieee_invalid_op 0
		.amdhsa_exception_fp_denorm_src 0
		.amdhsa_exception_fp_ieee_div_zero 0
		.amdhsa_exception_fp_ieee_overflow 0
		.amdhsa_exception_fp_ieee_underflow 0
		.amdhsa_exception_fp_ieee_inexact 0
		.amdhsa_exception_int_div_zero 0
	.end_amdhsa_kernel
	.section	.text._ZN7rocprim17ROCPRIM_400000_NS6detail17trampoline_kernelINS0_14default_configENS1_25partition_config_selectorILNS1_17partition_subalgoE8ElNS0_10empty_typeEbEEZZNS1_14partition_implILS5_8ELb0ES3_jPlPS6_PKS6_NS0_5tupleIJS9_S6_EEENSD_IJSA_SA_EEENS0_18inequality_wrapperIZN2at6native12_GLOBAL__N_124unique_dim_cuda_templateIN3c108BFloat16EEESt5tupleIJNSH_6TensorESO_SO_EERKSO_lbbbEUlllE0_EEPmJS6_EEE10hipError_tPvRmT3_T4_T5_T6_T7_T9_mT8_P12ihipStream_tbDpT10_ENKUlT_T0_E_clISt17integral_constantIbLb1EES1E_EEDaS19_S1A_EUlS19_E_NS1_11comp_targetILNS1_3genE8ELNS1_11target_archE1030ELNS1_3gpuE2ELNS1_3repE0EEENS1_30default_config_static_selectorELNS0_4arch9wavefront6targetE1EEEvT1_,"axG",@progbits,_ZN7rocprim17ROCPRIM_400000_NS6detail17trampoline_kernelINS0_14default_configENS1_25partition_config_selectorILNS1_17partition_subalgoE8ElNS0_10empty_typeEbEEZZNS1_14partition_implILS5_8ELb0ES3_jPlPS6_PKS6_NS0_5tupleIJS9_S6_EEENSD_IJSA_SA_EEENS0_18inequality_wrapperIZN2at6native12_GLOBAL__N_124unique_dim_cuda_templateIN3c108BFloat16EEESt5tupleIJNSH_6TensorESO_SO_EERKSO_lbbbEUlllE0_EEPmJS6_EEE10hipError_tPvRmT3_T4_T5_T6_T7_T9_mT8_P12ihipStream_tbDpT10_ENKUlT_T0_E_clISt17integral_constantIbLb1EES1E_EEDaS19_S1A_EUlS19_E_NS1_11comp_targetILNS1_3genE8ELNS1_11target_archE1030ELNS1_3gpuE2ELNS1_3repE0EEENS1_30default_config_static_selectorELNS0_4arch9wavefront6targetE1EEEvT1_,comdat
.Lfunc_end1197:
	.size	_ZN7rocprim17ROCPRIM_400000_NS6detail17trampoline_kernelINS0_14default_configENS1_25partition_config_selectorILNS1_17partition_subalgoE8ElNS0_10empty_typeEbEEZZNS1_14partition_implILS5_8ELb0ES3_jPlPS6_PKS6_NS0_5tupleIJS9_S6_EEENSD_IJSA_SA_EEENS0_18inequality_wrapperIZN2at6native12_GLOBAL__N_124unique_dim_cuda_templateIN3c108BFloat16EEESt5tupleIJNSH_6TensorESO_SO_EERKSO_lbbbEUlllE0_EEPmJS6_EEE10hipError_tPvRmT3_T4_T5_T6_T7_T9_mT8_P12ihipStream_tbDpT10_ENKUlT_T0_E_clISt17integral_constantIbLb1EES1E_EEDaS19_S1A_EUlS19_E_NS1_11comp_targetILNS1_3genE8ELNS1_11target_archE1030ELNS1_3gpuE2ELNS1_3repE0EEENS1_30default_config_static_selectorELNS0_4arch9wavefront6targetE1EEEvT1_, .Lfunc_end1197-_ZN7rocprim17ROCPRIM_400000_NS6detail17trampoline_kernelINS0_14default_configENS1_25partition_config_selectorILNS1_17partition_subalgoE8ElNS0_10empty_typeEbEEZZNS1_14partition_implILS5_8ELb0ES3_jPlPS6_PKS6_NS0_5tupleIJS9_S6_EEENSD_IJSA_SA_EEENS0_18inequality_wrapperIZN2at6native12_GLOBAL__N_124unique_dim_cuda_templateIN3c108BFloat16EEESt5tupleIJNSH_6TensorESO_SO_EERKSO_lbbbEUlllE0_EEPmJS6_EEE10hipError_tPvRmT3_T4_T5_T6_T7_T9_mT8_P12ihipStream_tbDpT10_ENKUlT_T0_E_clISt17integral_constantIbLb1EES1E_EEDaS19_S1A_EUlS19_E_NS1_11comp_targetILNS1_3genE8ELNS1_11target_archE1030ELNS1_3gpuE2ELNS1_3repE0EEENS1_30default_config_static_selectorELNS0_4arch9wavefront6targetE1EEEvT1_
                                        ; -- End function
	.section	.AMDGPU.csdata,"",@progbits
; Kernel info:
; codeLenInByte = 0
; NumSgprs: 6
; NumVgprs: 0
; NumAgprs: 0
; TotalNumVgprs: 0
; ScratchSize: 0
; MemoryBound: 0
; FloatMode: 240
; IeeeMode: 1
; LDSByteSize: 0 bytes/workgroup (compile time only)
; SGPRBlocks: 0
; VGPRBlocks: 0
; NumSGPRsForWavesPerEU: 6
; NumVGPRsForWavesPerEU: 1
; AccumOffset: 4
; Occupancy: 8
; WaveLimiterHint : 0
; COMPUTE_PGM_RSRC2:SCRATCH_EN: 0
; COMPUTE_PGM_RSRC2:USER_SGPR: 2
; COMPUTE_PGM_RSRC2:TRAP_HANDLER: 0
; COMPUTE_PGM_RSRC2:TGID_X_EN: 1
; COMPUTE_PGM_RSRC2:TGID_Y_EN: 0
; COMPUTE_PGM_RSRC2:TGID_Z_EN: 0
; COMPUTE_PGM_RSRC2:TIDIG_COMP_CNT: 0
; COMPUTE_PGM_RSRC3_GFX90A:ACCUM_OFFSET: 0
; COMPUTE_PGM_RSRC3_GFX90A:TG_SPLIT: 0
	.section	.text._ZN7rocprim17ROCPRIM_400000_NS6detail17trampoline_kernelINS0_14default_configENS1_25partition_config_selectorILNS1_17partition_subalgoE8ElNS0_10empty_typeEbEEZZNS1_14partition_implILS5_8ELb0ES3_jPlPS6_PKS6_NS0_5tupleIJS9_S6_EEENSD_IJSA_SA_EEENS0_18inequality_wrapperIZN2at6native12_GLOBAL__N_124unique_dim_cuda_templateIN3c108BFloat16EEESt5tupleIJNSH_6TensorESO_SO_EERKSO_lbbbEUlllE0_EEPmJS6_EEE10hipError_tPvRmT3_T4_T5_T6_T7_T9_mT8_P12ihipStream_tbDpT10_ENKUlT_T0_E_clISt17integral_constantIbLb1EES1D_IbLb0EEEEDaS19_S1A_EUlS19_E_NS1_11comp_targetILNS1_3genE0ELNS1_11target_archE4294967295ELNS1_3gpuE0ELNS1_3repE0EEENS1_30default_config_static_selectorELNS0_4arch9wavefront6targetE1EEEvT1_,"axG",@progbits,_ZN7rocprim17ROCPRIM_400000_NS6detail17trampoline_kernelINS0_14default_configENS1_25partition_config_selectorILNS1_17partition_subalgoE8ElNS0_10empty_typeEbEEZZNS1_14partition_implILS5_8ELb0ES3_jPlPS6_PKS6_NS0_5tupleIJS9_S6_EEENSD_IJSA_SA_EEENS0_18inequality_wrapperIZN2at6native12_GLOBAL__N_124unique_dim_cuda_templateIN3c108BFloat16EEESt5tupleIJNSH_6TensorESO_SO_EERKSO_lbbbEUlllE0_EEPmJS6_EEE10hipError_tPvRmT3_T4_T5_T6_T7_T9_mT8_P12ihipStream_tbDpT10_ENKUlT_T0_E_clISt17integral_constantIbLb1EES1D_IbLb0EEEEDaS19_S1A_EUlS19_E_NS1_11comp_targetILNS1_3genE0ELNS1_11target_archE4294967295ELNS1_3gpuE0ELNS1_3repE0EEENS1_30default_config_static_selectorELNS0_4arch9wavefront6targetE1EEEvT1_,comdat
	.globl	_ZN7rocprim17ROCPRIM_400000_NS6detail17trampoline_kernelINS0_14default_configENS1_25partition_config_selectorILNS1_17partition_subalgoE8ElNS0_10empty_typeEbEEZZNS1_14partition_implILS5_8ELb0ES3_jPlPS6_PKS6_NS0_5tupleIJS9_S6_EEENSD_IJSA_SA_EEENS0_18inequality_wrapperIZN2at6native12_GLOBAL__N_124unique_dim_cuda_templateIN3c108BFloat16EEESt5tupleIJNSH_6TensorESO_SO_EERKSO_lbbbEUlllE0_EEPmJS6_EEE10hipError_tPvRmT3_T4_T5_T6_T7_T9_mT8_P12ihipStream_tbDpT10_ENKUlT_T0_E_clISt17integral_constantIbLb1EES1D_IbLb0EEEEDaS19_S1A_EUlS19_E_NS1_11comp_targetILNS1_3genE0ELNS1_11target_archE4294967295ELNS1_3gpuE0ELNS1_3repE0EEENS1_30default_config_static_selectorELNS0_4arch9wavefront6targetE1EEEvT1_ ; -- Begin function _ZN7rocprim17ROCPRIM_400000_NS6detail17trampoline_kernelINS0_14default_configENS1_25partition_config_selectorILNS1_17partition_subalgoE8ElNS0_10empty_typeEbEEZZNS1_14partition_implILS5_8ELb0ES3_jPlPS6_PKS6_NS0_5tupleIJS9_S6_EEENSD_IJSA_SA_EEENS0_18inequality_wrapperIZN2at6native12_GLOBAL__N_124unique_dim_cuda_templateIN3c108BFloat16EEESt5tupleIJNSH_6TensorESO_SO_EERKSO_lbbbEUlllE0_EEPmJS6_EEE10hipError_tPvRmT3_T4_T5_T6_T7_T9_mT8_P12ihipStream_tbDpT10_ENKUlT_T0_E_clISt17integral_constantIbLb1EES1D_IbLb0EEEEDaS19_S1A_EUlS19_E_NS1_11comp_targetILNS1_3genE0ELNS1_11target_archE4294967295ELNS1_3gpuE0ELNS1_3repE0EEENS1_30default_config_static_selectorELNS0_4arch9wavefront6targetE1EEEvT1_
	.p2align	8
	.type	_ZN7rocprim17ROCPRIM_400000_NS6detail17trampoline_kernelINS0_14default_configENS1_25partition_config_selectorILNS1_17partition_subalgoE8ElNS0_10empty_typeEbEEZZNS1_14partition_implILS5_8ELb0ES3_jPlPS6_PKS6_NS0_5tupleIJS9_S6_EEENSD_IJSA_SA_EEENS0_18inequality_wrapperIZN2at6native12_GLOBAL__N_124unique_dim_cuda_templateIN3c108BFloat16EEESt5tupleIJNSH_6TensorESO_SO_EERKSO_lbbbEUlllE0_EEPmJS6_EEE10hipError_tPvRmT3_T4_T5_T6_T7_T9_mT8_P12ihipStream_tbDpT10_ENKUlT_T0_E_clISt17integral_constantIbLb1EES1D_IbLb0EEEEDaS19_S1A_EUlS19_E_NS1_11comp_targetILNS1_3genE0ELNS1_11target_archE4294967295ELNS1_3gpuE0ELNS1_3repE0EEENS1_30default_config_static_selectorELNS0_4arch9wavefront6targetE1EEEvT1_,@function
_ZN7rocprim17ROCPRIM_400000_NS6detail17trampoline_kernelINS0_14default_configENS1_25partition_config_selectorILNS1_17partition_subalgoE8ElNS0_10empty_typeEbEEZZNS1_14partition_implILS5_8ELb0ES3_jPlPS6_PKS6_NS0_5tupleIJS9_S6_EEENSD_IJSA_SA_EEENS0_18inequality_wrapperIZN2at6native12_GLOBAL__N_124unique_dim_cuda_templateIN3c108BFloat16EEESt5tupleIJNSH_6TensorESO_SO_EERKSO_lbbbEUlllE0_EEPmJS6_EEE10hipError_tPvRmT3_T4_T5_T6_T7_T9_mT8_P12ihipStream_tbDpT10_ENKUlT_T0_E_clISt17integral_constantIbLb1EES1D_IbLb0EEEEDaS19_S1A_EUlS19_E_NS1_11comp_targetILNS1_3genE0ELNS1_11target_archE4294967295ELNS1_3gpuE0ELNS1_3repE0EEENS1_30default_config_static_selectorELNS0_4arch9wavefront6targetE1EEEvT1_: ; @_ZN7rocprim17ROCPRIM_400000_NS6detail17trampoline_kernelINS0_14default_configENS1_25partition_config_selectorILNS1_17partition_subalgoE8ElNS0_10empty_typeEbEEZZNS1_14partition_implILS5_8ELb0ES3_jPlPS6_PKS6_NS0_5tupleIJS9_S6_EEENSD_IJSA_SA_EEENS0_18inequality_wrapperIZN2at6native12_GLOBAL__N_124unique_dim_cuda_templateIN3c108BFloat16EEESt5tupleIJNSH_6TensorESO_SO_EERKSO_lbbbEUlllE0_EEPmJS6_EEE10hipError_tPvRmT3_T4_T5_T6_T7_T9_mT8_P12ihipStream_tbDpT10_ENKUlT_T0_E_clISt17integral_constantIbLb1EES1D_IbLb0EEEEDaS19_S1A_EUlS19_E_NS1_11comp_targetILNS1_3genE0ELNS1_11target_archE4294967295ELNS1_3gpuE0ELNS1_3repE0EEENS1_30default_config_static_selectorELNS0_4arch9wavefront6targetE1EEEvT1_
; %bb.0:
	.section	.rodata,"a",@progbits
	.p2align	6, 0x0
	.amdhsa_kernel _ZN7rocprim17ROCPRIM_400000_NS6detail17trampoline_kernelINS0_14default_configENS1_25partition_config_selectorILNS1_17partition_subalgoE8ElNS0_10empty_typeEbEEZZNS1_14partition_implILS5_8ELb0ES3_jPlPS6_PKS6_NS0_5tupleIJS9_S6_EEENSD_IJSA_SA_EEENS0_18inequality_wrapperIZN2at6native12_GLOBAL__N_124unique_dim_cuda_templateIN3c108BFloat16EEESt5tupleIJNSH_6TensorESO_SO_EERKSO_lbbbEUlllE0_EEPmJS6_EEE10hipError_tPvRmT3_T4_T5_T6_T7_T9_mT8_P12ihipStream_tbDpT10_ENKUlT_T0_E_clISt17integral_constantIbLb1EES1D_IbLb0EEEEDaS19_S1A_EUlS19_E_NS1_11comp_targetILNS1_3genE0ELNS1_11target_archE4294967295ELNS1_3gpuE0ELNS1_3repE0EEENS1_30default_config_static_selectorELNS0_4arch9wavefront6targetE1EEEvT1_
		.amdhsa_group_segment_fixed_size 0
		.amdhsa_private_segment_fixed_size 0
		.amdhsa_kernarg_size 120
		.amdhsa_user_sgpr_count 2
		.amdhsa_user_sgpr_dispatch_ptr 0
		.amdhsa_user_sgpr_queue_ptr 0
		.amdhsa_user_sgpr_kernarg_segment_ptr 1
		.amdhsa_user_sgpr_dispatch_id 0
		.amdhsa_user_sgpr_kernarg_preload_length 0
		.amdhsa_user_sgpr_kernarg_preload_offset 0
		.amdhsa_user_sgpr_private_segment_size 0
		.amdhsa_uses_dynamic_stack 0
		.amdhsa_enable_private_segment 0
		.amdhsa_system_sgpr_workgroup_id_x 1
		.amdhsa_system_sgpr_workgroup_id_y 0
		.amdhsa_system_sgpr_workgroup_id_z 0
		.amdhsa_system_sgpr_workgroup_info 0
		.amdhsa_system_vgpr_workitem_id 0
		.amdhsa_next_free_vgpr 1
		.amdhsa_next_free_sgpr 0
		.amdhsa_accum_offset 4
		.amdhsa_reserve_vcc 0
		.amdhsa_float_round_mode_32 0
		.amdhsa_float_round_mode_16_64 0
		.amdhsa_float_denorm_mode_32 3
		.amdhsa_float_denorm_mode_16_64 3
		.amdhsa_dx10_clamp 1
		.amdhsa_ieee_mode 1
		.amdhsa_fp16_overflow 0
		.amdhsa_tg_split 0
		.amdhsa_exception_fp_ieee_invalid_op 0
		.amdhsa_exception_fp_denorm_src 0
		.amdhsa_exception_fp_ieee_div_zero 0
		.amdhsa_exception_fp_ieee_overflow 0
		.amdhsa_exception_fp_ieee_underflow 0
		.amdhsa_exception_fp_ieee_inexact 0
		.amdhsa_exception_int_div_zero 0
	.end_amdhsa_kernel
	.section	.text._ZN7rocprim17ROCPRIM_400000_NS6detail17trampoline_kernelINS0_14default_configENS1_25partition_config_selectorILNS1_17partition_subalgoE8ElNS0_10empty_typeEbEEZZNS1_14partition_implILS5_8ELb0ES3_jPlPS6_PKS6_NS0_5tupleIJS9_S6_EEENSD_IJSA_SA_EEENS0_18inequality_wrapperIZN2at6native12_GLOBAL__N_124unique_dim_cuda_templateIN3c108BFloat16EEESt5tupleIJNSH_6TensorESO_SO_EERKSO_lbbbEUlllE0_EEPmJS6_EEE10hipError_tPvRmT3_T4_T5_T6_T7_T9_mT8_P12ihipStream_tbDpT10_ENKUlT_T0_E_clISt17integral_constantIbLb1EES1D_IbLb0EEEEDaS19_S1A_EUlS19_E_NS1_11comp_targetILNS1_3genE0ELNS1_11target_archE4294967295ELNS1_3gpuE0ELNS1_3repE0EEENS1_30default_config_static_selectorELNS0_4arch9wavefront6targetE1EEEvT1_,"axG",@progbits,_ZN7rocprim17ROCPRIM_400000_NS6detail17trampoline_kernelINS0_14default_configENS1_25partition_config_selectorILNS1_17partition_subalgoE8ElNS0_10empty_typeEbEEZZNS1_14partition_implILS5_8ELb0ES3_jPlPS6_PKS6_NS0_5tupleIJS9_S6_EEENSD_IJSA_SA_EEENS0_18inequality_wrapperIZN2at6native12_GLOBAL__N_124unique_dim_cuda_templateIN3c108BFloat16EEESt5tupleIJNSH_6TensorESO_SO_EERKSO_lbbbEUlllE0_EEPmJS6_EEE10hipError_tPvRmT3_T4_T5_T6_T7_T9_mT8_P12ihipStream_tbDpT10_ENKUlT_T0_E_clISt17integral_constantIbLb1EES1D_IbLb0EEEEDaS19_S1A_EUlS19_E_NS1_11comp_targetILNS1_3genE0ELNS1_11target_archE4294967295ELNS1_3gpuE0ELNS1_3repE0EEENS1_30default_config_static_selectorELNS0_4arch9wavefront6targetE1EEEvT1_,comdat
.Lfunc_end1198:
	.size	_ZN7rocprim17ROCPRIM_400000_NS6detail17trampoline_kernelINS0_14default_configENS1_25partition_config_selectorILNS1_17partition_subalgoE8ElNS0_10empty_typeEbEEZZNS1_14partition_implILS5_8ELb0ES3_jPlPS6_PKS6_NS0_5tupleIJS9_S6_EEENSD_IJSA_SA_EEENS0_18inequality_wrapperIZN2at6native12_GLOBAL__N_124unique_dim_cuda_templateIN3c108BFloat16EEESt5tupleIJNSH_6TensorESO_SO_EERKSO_lbbbEUlllE0_EEPmJS6_EEE10hipError_tPvRmT3_T4_T5_T6_T7_T9_mT8_P12ihipStream_tbDpT10_ENKUlT_T0_E_clISt17integral_constantIbLb1EES1D_IbLb0EEEEDaS19_S1A_EUlS19_E_NS1_11comp_targetILNS1_3genE0ELNS1_11target_archE4294967295ELNS1_3gpuE0ELNS1_3repE0EEENS1_30default_config_static_selectorELNS0_4arch9wavefront6targetE1EEEvT1_, .Lfunc_end1198-_ZN7rocprim17ROCPRIM_400000_NS6detail17trampoline_kernelINS0_14default_configENS1_25partition_config_selectorILNS1_17partition_subalgoE8ElNS0_10empty_typeEbEEZZNS1_14partition_implILS5_8ELb0ES3_jPlPS6_PKS6_NS0_5tupleIJS9_S6_EEENSD_IJSA_SA_EEENS0_18inequality_wrapperIZN2at6native12_GLOBAL__N_124unique_dim_cuda_templateIN3c108BFloat16EEESt5tupleIJNSH_6TensorESO_SO_EERKSO_lbbbEUlllE0_EEPmJS6_EEE10hipError_tPvRmT3_T4_T5_T6_T7_T9_mT8_P12ihipStream_tbDpT10_ENKUlT_T0_E_clISt17integral_constantIbLb1EES1D_IbLb0EEEEDaS19_S1A_EUlS19_E_NS1_11comp_targetILNS1_3genE0ELNS1_11target_archE4294967295ELNS1_3gpuE0ELNS1_3repE0EEENS1_30default_config_static_selectorELNS0_4arch9wavefront6targetE1EEEvT1_
                                        ; -- End function
	.section	.AMDGPU.csdata,"",@progbits
; Kernel info:
; codeLenInByte = 0
; NumSgprs: 6
; NumVgprs: 0
; NumAgprs: 0
; TotalNumVgprs: 0
; ScratchSize: 0
; MemoryBound: 0
; FloatMode: 240
; IeeeMode: 1
; LDSByteSize: 0 bytes/workgroup (compile time only)
; SGPRBlocks: 0
; VGPRBlocks: 0
; NumSGPRsForWavesPerEU: 6
; NumVGPRsForWavesPerEU: 1
; AccumOffset: 4
; Occupancy: 8
; WaveLimiterHint : 0
; COMPUTE_PGM_RSRC2:SCRATCH_EN: 0
; COMPUTE_PGM_RSRC2:USER_SGPR: 2
; COMPUTE_PGM_RSRC2:TRAP_HANDLER: 0
; COMPUTE_PGM_RSRC2:TGID_X_EN: 1
; COMPUTE_PGM_RSRC2:TGID_Y_EN: 0
; COMPUTE_PGM_RSRC2:TGID_Z_EN: 0
; COMPUTE_PGM_RSRC2:TIDIG_COMP_CNT: 0
; COMPUTE_PGM_RSRC3_GFX90A:ACCUM_OFFSET: 0
; COMPUTE_PGM_RSRC3_GFX90A:TG_SPLIT: 0
	.section	.text._ZN7rocprim17ROCPRIM_400000_NS6detail17trampoline_kernelINS0_14default_configENS1_25partition_config_selectorILNS1_17partition_subalgoE8ElNS0_10empty_typeEbEEZZNS1_14partition_implILS5_8ELb0ES3_jPlPS6_PKS6_NS0_5tupleIJS9_S6_EEENSD_IJSA_SA_EEENS0_18inequality_wrapperIZN2at6native12_GLOBAL__N_124unique_dim_cuda_templateIN3c108BFloat16EEESt5tupleIJNSH_6TensorESO_SO_EERKSO_lbbbEUlllE0_EEPmJS6_EEE10hipError_tPvRmT3_T4_T5_T6_T7_T9_mT8_P12ihipStream_tbDpT10_ENKUlT_T0_E_clISt17integral_constantIbLb1EES1D_IbLb0EEEEDaS19_S1A_EUlS19_E_NS1_11comp_targetILNS1_3genE5ELNS1_11target_archE942ELNS1_3gpuE9ELNS1_3repE0EEENS1_30default_config_static_selectorELNS0_4arch9wavefront6targetE1EEEvT1_,"axG",@progbits,_ZN7rocprim17ROCPRIM_400000_NS6detail17trampoline_kernelINS0_14default_configENS1_25partition_config_selectorILNS1_17partition_subalgoE8ElNS0_10empty_typeEbEEZZNS1_14partition_implILS5_8ELb0ES3_jPlPS6_PKS6_NS0_5tupleIJS9_S6_EEENSD_IJSA_SA_EEENS0_18inequality_wrapperIZN2at6native12_GLOBAL__N_124unique_dim_cuda_templateIN3c108BFloat16EEESt5tupleIJNSH_6TensorESO_SO_EERKSO_lbbbEUlllE0_EEPmJS6_EEE10hipError_tPvRmT3_T4_T5_T6_T7_T9_mT8_P12ihipStream_tbDpT10_ENKUlT_T0_E_clISt17integral_constantIbLb1EES1D_IbLb0EEEEDaS19_S1A_EUlS19_E_NS1_11comp_targetILNS1_3genE5ELNS1_11target_archE942ELNS1_3gpuE9ELNS1_3repE0EEENS1_30default_config_static_selectorELNS0_4arch9wavefront6targetE1EEEvT1_,comdat
	.globl	_ZN7rocprim17ROCPRIM_400000_NS6detail17trampoline_kernelINS0_14default_configENS1_25partition_config_selectorILNS1_17partition_subalgoE8ElNS0_10empty_typeEbEEZZNS1_14partition_implILS5_8ELb0ES3_jPlPS6_PKS6_NS0_5tupleIJS9_S6_EEENSD_IJSA_SA_EEENS0_18inequality_wrapperIZN2at6native12_GLOBAL__N_124unique_dim_cuda_templateIN3c108BFloat16EEESt5tupleIJNSH_6TensorESO_SO_EERKSO_lbbbEUlllE0_EEPmJS6_EEE10hipError_tPvRmT3_T4_T5_T6_T7_T9_mT8_P12ihipStream_tbDpT10_ENKUlT_T0_E_clISt17integral_constantIbLb1EES1D_IbLb0EEEEDaS19_S1A_EUlS19_E_NS1_11comp_targetILNS1_3genE5ELNS1_11target_archE942ELNS1_3gpuE9ELNS1_3repE0EEENS1_30default_config_static_selectorELNS0_4arch9wavefront6targetE1EEEvT1_ ; -- Begin function _ZN7rocprim17ROCPRIM_400000_NS6detail17trampoline_kernelINS0_14default_configENS1_25partition_config_selectorILNS1_17partition_subalgoE8ElNS0_10empty_typeEbEEZZNS1_14partition_implILS5_8ELb0ES3_jPlPS6_PKS6_NS0_5tupleIJS9_S6_EEENSD_IJSA_SA_EEENS0_18inequality_wrapperIZN2at6native12_GLOBAL__N_124unique_dim_cuda_templateIN3c108BFloat16EEESt5tupleIJNSH_6TensorESO_SO_EERKSO_lbbbEUlllE0_EEPmJS6_EEE10hipError_tPvRmT3_T4_T5_T6_T7_T9_mT8_P12ihipStream_tbDpT10_ENKUlT_T0_E_clISt17integral_constantIbLb1EES1D_IbLb0EEEEDaS19_S1A_EUlS19_E_NS1_11comp_targetILNS1_3genE5ELNS1_11target_archE942ELNS1_3gpuE9ELNS1_3repE0EEENS1_30default_config_static_selectorELNS0_4arch9wavefront6targetE1EEEvT1_
	.p2align	8
	.type	_ZN7rocprim17ROCPRIM_400000_NS6detail17trampoline_kernelINS0_14default_configENS1_25partition_config_selectorILNS1_17partition_subalgoE8ElNS0_10empty_typeEbEEZZNS1_14partition_implILS5_8ELb0ES3_jPlPS6_PKS6_NS0_5tupleIJS9_S6_EEENSD_IJSA_SA_EEENS0_18inequality_wrapperIZN2at6native12_GLOBAL__N_124unique_dim_cuda_templateIN3c108BFloat16EEESt5tupleIJNSH_6TensorESO_SO_EERKSO_lbbbEUlllE0_EEPmJS6_EEE10hipError_tPvRmT3_T4_T5_T6_T7_T9_mT8_P12ihipStream_tbDpT10_ENKUlT_T0_E_clISt17integral_constantIbLb1EES1D_IbLb0EEEEDaS19_S1A_EUlS19_E_NS1_11comp_targetILNS1_3genE5ELNS1_11target_archE942ELNS1_3gpuE9ELNS1_3repE0EEENS1_30default_config_static_selectorELNS0_4arch9wavefront6targetE1EEEvT1_,@function
_ZN7rocprim17ROCPRIM_400000_NS6detail17trampoline_kernelINS0_14default_configENS1_25partition_config_selectorILNS1_17partition_subalgoE8ElNS0_10empty_typeEbEEZZNS1_14partition_implILS5_8ELb0ES3_jPlPS6_PKS6_NS0_5tupleIJS9_S6_EEENSD_IJSA_SA_EEENS0_18inequality_wrapperIZN2at6native12_GLOBAL__N_124unique_dim_cuda_templateIN3c108BFloat16EEESt5tupleIJNSH_6TensorESO_SO_EERKSO_lbbbEUlllE0_EEPmJS6_EEE10hipError_tPvRmT3_T4_T5_T6_T7_T9_mT8_P12ihipStream_tbDpT10_ENKUlT_T0_E_clISt17integral_constantIbLb1EES1D_IbLb0EEEEDaS19_S1A_EUlS19_E_NS1_11comp_targetILNS1_3genE5ELNS1_11target_archE942ELNS1_3gpuE9ELNS1_3repE0EEENS1_30default_config_static_selectorELNS0_4arch9wavefront6targetE1EEEvT1_: ; @_ZN7rocprim17ROCPRIM_400000_NS6detail17trampoline_kernelINS0_14default_configENS1_25partition_config_selectorILNS1_17partition_subalgoE8ElNS0_10empty_typeEbEEZZNS1_14partition_implILS5_8ELb0ES3_jPlPS6_PKS6_NS0_5tupleIJS9_S6_EEENSD_IJSA_SA_EEENS0_18inequality_wrapperIZN2at6native12_GLOBAL__N_124unique_dim_cuda_templateIN3c108BFloat16EEESt5tupleIJNSH_6TensorESO_SO_EERKSO_lbbbEUlllE0_EEPmJS6_EEE10hipError_tPvRmT3_T4_T5_T6_T7_T9_mT8_P12ihipStream_tbDpT10_ENKUlT_T0_E_clISt17integral_constantIbLb1EES1D_IbLb0EEEEDaS19_S1A_EUlS19_E_NS1_11comp_targetILNS1_3genE5ELNS1_11target_archE942ELNS1_3gpuE9ELNS1_3repE0EEENS1_30default_config_static_selectorELNS0_4arch9wavefront6targetE1EEEvT1_
; %bb.0:
	s_load_dwordx8 s[20:27], s[0:1], 0x40
	s_load_dwordx4 s[4:7], s[0:1], 0x8
	s_load_dwordx4 s[28:31], s[0:1], 0x60
	s_load_dword s3, s[0:1], 0x70
	s_waitcnt lgkmcnt(0)
	v_mov_b32_e32 v2, s24
	s_lshl_b64 s[8:9], s[6:7], 3
	s_add_u32 s12, s4, s8
	s_mul_i32 s8, s3, 0xe00
	s_addc_u32 s13, s5, s9
	s_add_i32 s10, s3, -1
	s_add_i32 s3, s8, s6
	s_sub_i32 s3, s24, s3
	s_add_u32 s8, s6, s8
	s_addc_u32 s9, s7, 0
	v_mov_b32_e32 v3, s25
	s_cmp_eq_u32 s2, s10
	s_load_dwordx2 s[22:23], s[22:23], 0x0
	v_cmp_ge_u64_e32 vcc, s[8:9], v[2:3]
	s_cselect_b64 s[24:25], -1, 0
	s_mul_i32 s4, s2, 0xe00
	s_mov_b32 s5, 0
	s_and_b64 s[8:9], s[24:25], vcc
	s_xor_b64 s[34:35], s[8:9], -1
	s_lshl_b64 s[4:5], s[4:5], 3
	s_add_u32 s4, s12, s4
	s_mov_b64 s[10:11], -1
	s_addc_u32 s5, s13, s5
	s_and_b64 vcc, exec, s[34:35]
	s_cbranch_vccz .LBB1199_2
; %bb.1:
	v_lshlrev_b32_e32 v2, 3, v0
	v_mov_b32_e32 v3, 0
	v_lshl_add_u64 v[4:5], s[4:5], 0, v[2:3]
	v_add_co_u32_e32 v8, vcc, 0x1000, v4
	global_load_dwordx2 v[6:7], v2, s[4:5]
	s_nop 0
	v_addc_co_u32_e32 v9, vcc, 0, v5, vcc
	v_add_co_u32_e32 v10, vcc, 0x2000, v4
	s_mov_b64 s[10:11], 0
	s_nop 0
	v_addc_co_u32_e32 v11, vcc, 0, v5, vcc
	v_add_co_u32_e32 v12, vcc, 0x3000, v4
	s_nop 1
	v_addc_co_u32_e32 v13, vcc, 0, v5, vcc
	v_add_co_u32_e32 v14, vcc, 0x4000, v4
	s_nop 1
	v_addc_co_u32_e32 v15, vcc, 0, v5, vcc
	global_load_dwordx2 v[16:17], v[8:9], off
	global_load_dwordx2 v[18:19], v[10:11], off
	;; [unrolled: 1-line block ×4, first 2 shown]
	v_add_co_u32_e32 v8, vcc, 0x5000, v4
	s_nop 1
	v_addc_co_u32_e32 v9, vcc, 0, v5, vcc
	v_add_co_u32_e32 v4, vcc, 0x6000, v4
	global_load_dwordx2 v[8:9], v[8:9], off
	s_nop 0
	v_addc_co_u32_e32 v5, vcc, 0, v5, vcc
	global_load_dwordx2 v[4:5], v[4:5], off
	s_waitcnt vmcnt(5)
	ds_write2st64_b64 v2, v[6:7], v[16:17] offset1:8
	s_waitcnt vmcnt(3)
	ds_write2st64_b64 v2, v[18:19], v[20:21] offset0:16 offset1:24
	s_waitcnt vmcnt(1)
	ds_write2st64_b64 v2, v[22:23], v[8:9] offset0:32 offset1:40
	s_waitcnt vmcnt(0)
	ds_write_b64 v2, v[4:5] offset:24576
	s_waitcnt lgkmcnt(0)
	s_barrier
.LBB1199_2:
	s_andn2_b64 vcc, exec, s[10:11]
	s_addk_i32 s3, 0xe00
	s_cbranch_vccnz .LBB1199_18
; %bb.3:
	v_cmp_gt_u32_e32 vcc, s3, v0
                                        ; implicit-def: $vgpr2_vgpr3_vgpr4_vgpr5_vgpr6_vgpr7_vgpr8_vgpr9_vgpr10_vgpr11_vgpr12_vgpr13_vgpr14_vgpr15_vgpr16_vgpr17
	s_and_saveexec_b64 s[10:11], vcc
	s_cbranch_execz .LBB1199_5
; %bb.4:
	v_lshlrev_b32_e32 v1, 3, v0
	global_load_dwordx2 v[2:3], v1, s[4:5]
.LBB1199_5:
	s_or_b64 exec, exec, s[10:11]
	v_or_b32_e32 v1, 0x200, v0
	v_cmp_gt_u32_e32 vcc, s3, v1
	s_and_saveexec_b64 s[10:11], vcc
	s_cbranch_execz .LBB1199_7
; %bb.6:
	v_lshlrev_b32_e32 v1, 3, v1
	global_load_dwordx2 v[4:5], v1, s[4:5]
.LBB1199_7:
	s_or_b64 exec, exec, s[10:11]
	v_or_b32_e32 v1, 0x400, v0
	v_cmp_gt_u32_e32 vcc, s3, v1
	;; [unrolled: 9-line block ×6, first 2 shown]
	s_and_saveexec_b64 s[10:11], vcc
	s_cbranch_execz .LBB1199_17
; %bb.16:
	v_lshlrev_b32_e32 v1, 3, v1
	global_load_dwordx2 v[14:15], v1, s[4:5]
.LBB1199_17:
	s_or_b64 exec, exec, s[10:11]
	v_lshlrev_b32_e32 v1, 3, v0
	s_waitcnt vmcnt(0)
	ds_write2st64_b64 v1, v[2:3], v[4:5] offset1:8
	ds_write2st64_b64 v1, v[6:7], v[8:9] offset0:16 offset1:24
	ds_write2st64_b64 v1, v[10:11], v[12:13] offset0:32 offset1:40
	ds_write_b64 v1, v[14:15] offset:24576
	s_waitcnt lgkmcnt(0)
	s_barrier
.LBB1199_18:
	v_mul_u32_u24_e32 v1, 7, v0
	v_lshlrev_b32_e32 v30, 3, v1
	s_waitcnt lgkmcnt(0)
	ds_read2_b64 v[10:13], v30 offset1:1
	ds_read2_b64 v[6:9], v30 offset0:2 offset1:3
	ds_read2_b64 v[2:5], v30 offset0:4 offset1:5
	ds_read_b64 v[14:15], v30 offset:48
	s_cmp_lg_u32 s2, 0
	s_cselect_b64 s[16:17], -1, 0
	s_cmp_lg_u64 s[6:7], 0
	s_cselect_b64 s[6:7], -1, 0
	s_or_b64 s[6:7], s[16:17], s[6:7]
	v_mad_u32_u24 v25, v0, 7, 1
	v_mad_u32_u24 v24, v0, 7, 2
	v_mad_u32_u24 v28, v0, 7, 3
	v_mad_u32_u24 v26, v0, 7, 4
	v_mad_u32_u24 v29, v0, 7, 5
	v_mad_u32_u24 v27, v0, 7, 6
	s_mov_b64 s[10:11], 0
	s_and_b64 vcc, exec, s[6:7]
	v_cmp_gt_i64_e64 s[12:13], s[26:27], 0
	s_waitcnt lgkmcnt(0)
	s_barrier
	s_cbranch_vccz .LBB1199_27
; %bb.19:
	s_add_u32 s4, s4, -8
	s_addc_u32 s5, s5, -1
	s_load_dwordx2 s[6:7], s[4:5], 0x0
	v_cndmask_b32_e64 v16, 0, 1, s[12:13]
	v_lshlrev_b32_e32 v31, 3, v0
	s_and_b64 vcc, exec, s[34:35]
	v_cmp_ne_u32_e64 s[4:5], 1, v16
	ds_write_b64 v31, v[14:15]
	s_cbranch_vccz .LBB1199_29
; %bb.20:
	v_mul_lo_u32 v18, v5, s26
	v_mul_lo_u32 v19, v4, s27
	v_mad_u64_u32 v[16:17], s[12:13], v4, s26, 0
	v_add3_u32 v17, v17, v19, v18
	s_and_b64 vcc, exec, s[4:5]
	v_lshl_add_u64 v[16:17], v[16:17], 1, s[28:29]
	s_cbranch_vccnz .LBB1199_32
; %bb.21:
	v_mul_lo_u32 v20, v15, s26
	v_mul_lo_u32 v21, v14, s27
	v_mad_u64_u32 v[18:19], s[10:11], v14, s26, 0
	v_add3_u32 v19, v19, v21, v20
	v_lshl_add_u64 v[18:19], v[18:19], 1, s[28:29]
	global_load_ushort v20, v[18:19], off
	global_load_ushort v21, v[16:17], off
	s_mov_b64 s[10:11], -1
	s_waitcnt vmcnt(1)
	v_lshlrev_b32_e32 v20, 16, v20
	s_waitcnt vmcnt(0)
	v_lshlrev_b32_e32 v21, 16, v21
	v_cmp_eq_f32_e32 vcc, v21, v20
	s_and_saveexec_b64 s[12:13], vcc
	s_cbranch_execz .LBB1199_31
; %bb.22:
	s_add_u32 s10, s26, -1
	v_lshl_add_u64 v[18:19], v[18:19], 0, 2
	v_lshl_add_u64 v[20:21], v[16:17], 0, 2
	s_addc_u32 s11, s27, -1
	s_mov_b64 s[14:15], 0
	s_mov_b64 s[36:37], 0
                                        ; implicit-def: $sgpr18_sgpr19
	s_branch .LBB1199_25
.LBB1199_23:                            ;   in Loop: Header=BB1199_25 Depth=1
	global_load_ushort v22, v[18:19], off
	global_load_ushort v23, v[20:21], off
	s_add_u32 s36, s36, 1
	s_addc_u32 s37, s37, 0
	s_andn2_b64 s[18:19], s[18:19], exec
	v_lshl_add_u64 v[18:19], v[18:19], 0, 2
	v_lshl_add_u64 v[20:21], v[20:21], 0, 2
	s_waitcnt vmcnt(1)
	v_lshlrev_b32_e32 v22, 16, v22
	s_waitcnt vmcnt(0)
	v_lshlrev_b32_e32 v23, 16, v23
	v_cmp_neq_f32_e32 vcc, v23, v22
	s_and_b64 s[38:39], vcc, exec
	s_or_b64 s[18:19], s[18:19], s[38:39]
.LBB1199_24:                            ;   in Loop: Header=BB1199_25 Depth=1
	s_and_b64 s[38:39], exec, s[18:19]
	s_or_b64 s[14:15], s[38:39], s[14:15]
	v_mov_b64_e32 v[22:23], s[36:37]
	s_andn2_b64 exec, exec, s[14:15]
	s_cbranch_execz .LBB1199_30
.LBB1199_25:                            ; =>This Inner Loop Header: Depth=1
	s_or_b64 s[18:19], s[18:19], exec
	s_cmp_eq_u64 s[10:11], s[36:37]
	s_cbranch_scc0 .LBB1199_23
; %bb.26:                               ;   in Loop: Header=BB1199_25 Depth=1
                                        ; implicit-def: $vgpr18_vgpr19
                                        ; implicit-def: $vgpr20_vgpr21
	s_mov_b64 s[36:37], s[26:27]
	s_branch .LBB1199_24
.LBB1199_27:
                                        ; implicit-def: $sgpr18_sgpr19
                                        ; implicit-def: $vgpr34
                                        ; implicit-def: $vgpr33
                                        ; implicit-def: $vgpr32
                                        ; implicit-def: $vgpr20
	s_branch .LBB1199_170
.LBB1199_28:
                                        ; implicit-def: $vgpr16_vgpr17
	s_branch .LBB1199_318
.LBB1199_29:
                                        ; implicit-def: $sgpr18_sgpr19
                                        ; implicit-def: $vgpr34
                                        ; implicit-def: $vgpr33
                                        ; implicit-def: $vgpr32
                                        ; implicit-def: $vgpr20
	s_cbranch_execnz .LBB1199_89
	s_branch .LBB1199_169
.LBB1199_30:
	s_or_b64 exec, exec, s[14:15]
	v_cmp_gt_i64_e32 vcc, s[26:27], v[22:23]
	s_orn2_b64 s[10:11], vcc, exec
.LBB1199_31:
	s_or_b64 exec, exec, s[12:13]
.LBB1199_32:
	v_mul_lo_u32 v20, v3, s26
	v_mul_lo_u32 v21, v2, s27
	v_mad_u64_u32 v[18:19], s[12:13], v2, s26, 0
	v_add3_u32 v19, v19, v21, v20
	s_mov_b64 s[12:13], 0
	s_and_b64 vcc, exec, s[4:5]
	v_lshl_add_u64 v[18:19], v[18:19], 1, s[28:29]
	s_mov_b64 s[14:15], 0
	s_cbranch_vccnz .LBB1199_41
; %bb.33:
	global_load_ushort v20, v[16:17], off
	global_load_ushort v21, v[18:19], off
	s_mov_b64 s[14:15], -1
	s_waitcnt vmcnt(1)
	v_lshlrev_b32_e32 v20, 16, v20
	s_waitcnt vmcnt(0)
	v_lshlrev_b32_e32 v21, 16, v21
	v_cmp_eq_f32_e32 vcc, v21, v20
	s_and_saveexec_b64 s[18:19], vcc
	s_cbranch_execz .LBB1199_40
; %bb.34:
	s_add_u32 s14, s26, -1
	v_lshl_add_u64 v[16:17], v[16:17], 0, 2
	v_lshl_add_u64 v[20:21], v[18:19], 0, 2
	s_addc_u32 s15, s27, -1
	s_mov_b64 s[36:37], 0
	s_mov_b64 s[40:41], 0
                                        ; implicit-def: $sgpr38_sgpr39
	s_branch .LBB1199_37
.LBB1199_35:                            ;   in Loop: Header=BB1199_37 Depth=1
	global_load_ushort v22, v[16:17], off
	global_load_ushort v23, v[20:21], off
	s_add_u32 s40, s40, 1
	s_addc_u32 s41, s41, 0
	s_andn2_b64 s[38:39], s[38:39], exec
	v_lshl_add_u64 v[16:17], v[16:17], 0, 2
	v_lshl_add_u64 v[20:21], v[20:21], 0, 2
	s_waitcnt vmcnt(1)
	v_lshlrev_b32_e32 v22, 16, v22
	s_waitcnt vmcnt(0)
	v_lshlrev_b32_e32 v23, 16, v23
	v_cmp_neq_f32_e32 vcc, v23, v22
	s_and_b64 s[42:43], vcc, exec
	s_or_b64 s[38:39], s[38:39], s[42:43]
.LBB1199_36:                            ;   in Loop: Header=BB1199_37 Depth=1
	s_and_b64 s[42:43], exec, s[38:39]
	s_or_b64 s[36:37], s[42:43], s[36:37]
	v_mov_b64_e32 v[22:23], s[40:41]
	s_andn2_b64 exec, exec, s[36:37]
	s_cbranch_execz .LBB1199_39
.LBB1199_37:                            ; =>This Inner Loop Header: Depth=1
	s_or_b64 s[38:39], s[38:39], exec
	s_cmp_eq_u64 s[14:15], s[40:41]
	s_cbranch_scc0 .LBB1199_35
; %bb.38:                               ;   in Loop: Header=BB1199_37 Depth=1
                                        ; implicit-def: $vgpr16_vgpr17
                                        ; implicit-def: $vgpr20_vgpr21
	s_mov_b64 s[40:41], s[26:27]
	s_branch .LBB1199_36
.LBB1199_39:
	s_or_b64 exec, exec, s[36:37]
	v_cmp_gt_i64_e32 vcc, s[26:27], v[22:23]
	s_orn2_b64 s[14:15], vcc, exec
.LBB1199_40:
	s_or_b64 exec, exec, s[18:19]
.LBB1199_41:
	v_mul_lo_u32 v20, v9, s26
	v_mul_lo_u32 v21, v8, s27
	v_mad_u64_u32 v[16:17], s[18:19], v8, s26, 0
	v_add3_u32 v17, v17, v21, v20
	s_and_b64 vcc, exec, s[4:5]
	v_lshl_add_u64 v[16:17], v[16:17], 1, s[28:29]
	s_cbranch_vccnz .LBB1199_50
; %bb.42:
	global_load_ushort v20, v[18:19], off
	global_load_ushort v21, v[16:17], off
	s_mov_b64 s[12:13], -1
	s_waitcnt vmcnt(1)
	v_lshlrev_b32_e32 v20, 16, v20
	s_waitcnt vmcnt(0)
	v_lshlrev_b32_e32 v21, 16, v21
	v_cmp_eq_f32_e32 vcc, v21, v20
	s_and_saveexec_b64 s[18:19], vcc
	s_cbranch_execz .LBB1199_49
; %bb.43:
	s_add_u32 s12, s26, -1
	v_lshl_add_u64 v[18:19], v[18:19], 0, 2
	v_lshl_add_u64 v[20:21], v[16:17], 0, 2
	s_addc_u32 s13, s27, -1
	s_mov_b64 s[36:37], 0
	s_mov_b64 s[40:41], 0
                                        ; implicit-def: $sgpr38_sgpr39
	s_branch .LBB1199_46
.LBB1199_44:                            ;   in Loop: Header=BB1199_46 Depth=1
	global_load_ushort v22, v[18:19], off
	global_load_ushort v23, v[20:21], off
	s_add_u32 s40, s40, 1
	s_addc_u32 s41, s41, 0
	s_andn2_b64 s[38:39], s[38:39], exec
	v_lshl_add_u64 v[18:19], v[18:19], 0, 2
	v_lshl_add_u64 v[20:21], v[20:21], 0, 2
	s_waitcnt vmcnt(1)
	v_lshlrev_b32_e32 v22, 16, v22
	s_waitcnt vmcnt(0)
	v_lshlrev_b32_e32 v23, 16, v23
	v_cmp_neq_f32_e32 vcc, v23, v22
	s_and_b64 s[42:43], vcc, exec
	s_or_b64 s[38:39], s[38:39], s[42:43]
.LBB1199_45:                            ;   in Loop: Header=BB1199_46 Depth=1
	s_and_b64 s[42:43], exec, s[38:39]
	s_or_b64 s[36:37], s[42:43], s[36:37]
	v_mov_b64_e32 v[22:23], s[40:41]
	s_andn2_b64 exec, exec, s[36:37]
	s_cbranch_execz .LBB1199_48
.LBB1199_46:                            ; =>This Inner Loop Header: Depth=1
	s_or_b64 s[38:39], s[38:39], exec
	s_cmp_eq_u64 s[12:13], s[40:41]
	s_cbranch_scc0 .LBB1199_44
; %bb.47:                               ;   in Loop: Header=BB1199_46 Depth=1
                                        ; implicit-def: $vgpr18_vgpr19
                                        ; implicit-def: $vgpr20_vgpr21
	s_mov_b64 s[40:41], s[26:27]
	s_branch .LBB1199_45
.LBB1199_48:
	s_or_b64 exec, exec, s[36:37]
	v_cmp_gt_i64_e32 vcc, s[26:27], v[22:23]
	s_orn2_b64 s[12:13], vcc, exec
.LBB1199_49:
	s_or_b64 exec, exec, s[18:19]
.LBB1199_50:
	v_mul_lo_u32 v20, v7, s26
	v_mul_lo_u32 v21, v6, s27
	v_mad_u64_u32 v[18:19], s[18:19], v6, s26, 0
	v_add3_u32 v19, v19, v21, v20
	s_mov_b64 s[18:19], 0
	s_and_b64 vcc, exec, s[4:5]
	v_lshl_add_u64 v[20:21], v[18:19], 1, s[28:29]
	s_mov_b64 s[36:37], 0
	s_cbranch_vccnz .LBB1199_59
; %bb.51:
	global_load_ushort v18, v[16:17], off
	global_load_ushort v19, v[20:21], off
	s_mov_b64 s[36:37], -1
	s_waitcnt vmcnt(1)
	v_lshlrev_b32_e32 v18, 16, v18
	s_waitcnt vmcnt(0)
	v_lshlrev_b32_e32 v19, 16, v19
	v_cmp_eq_f32_e32 vcc, v19, v18
	s_and_saveexec_b64 s[38:39], vcc
	s_cbranch_execz .LBB1199_58
; %bb.52:
	s_add_u32 s36, s26, -1
	v_lshl_add_u64 v[16:17], v[16:17], 0, 2
	v_lshl_add_u64 v[18:19], v[20:21], 0, 2
	s_addc_u32 s37, s27, -1
	s_mov_b64 s[40:41], 0
	s_mov_b64 s[44:45], 0
                                        ; implicit-def: $sgpr42_sgpr43
	s_branch .LBB1199_55
.LBB1199_53:                            ;   in Loop: Header=BB1199_55 Depth=1
	global_load_ushort v22, v[16:17], off
	global_load_ushort v23, v[18:19], off
	s_add_u32 s44, s44, 1
	s_addc_u32 s45, s45, 0
	s_andn2_b64 s[42:43], s[42:43], exec
	v_lshl_add_u64 v[16:17], v[16:17], 0, 2
	v_lshl_add_u64 v[18:19], v[18:19], 0, 2
	s_waitcnt vmcnt(1)
	v_lshlrev_b32_e32 v22, 16, v22
	s_waitcnt vmcnt(0)
	v_lshlrev_b32_e32 v23, 16, v23
	v_cmp_neq_f32_e32 vcc, v23, v22
	s_and_b64 s[46:47], vcc, exec
	s_or_b64 s[42:43], s[42:43], s[46:47]
.LBB1199_54:                            ;   in Loop: Header=BB1199_55 Depth=1
	s_and_b64 s[46:47], exec, s[42:43]
	s_or_b64 s[40:41], s[46:47], s[40:41]
	v_mov_b64_e32 v[22:23], s[44:45]
	s_andn2_b64 exec, exec, s[40:41]
	s_cbranch_execz .LBB1199_57
.LBB1199_55:                            ; =>This Inner Loop Header: Depth=1
	s_or_b64 s[42:43], s[42:43], exec
	s_cmp_eq_u64 s[36:37], s[44:45]
	s_cbranch_scc0 .LBB1199_53
; %bb.56:                               ;   in Loop: Header=BB1199_55 Depth=1
                                        ; implicit-def: $vgpr16_vgpr17
                                        ; implicit-def: $vgpr18_vgpr19
	s_mov_b64 s[44:45], s[26:27]
	s_branch .LBB1199_54
.LBB1199_57:
	s_or_b64 exec, exec, s[40:41]
	v_cmp_gt_i64_e32 vcc, s[26:27], v[22:23]
	s_orn2_b64 s[36:37], vcc, exec
.LBB1199_58:
	s_or_b64 exec, exec, s[38:39]
.LBB1199_59:
	v_mul_lo_u32 v18, v13, s26
	v_mul_lo_u32 v19, v12, s27
	v_mad_u64_u32 v[16:17], s[38:39], v12, s26, 0
	v_add3_u32 v17, v17, v19, v18
	s_and_b64 vcc, exec, s[4:5]
	v_lshl_add_u64 v[18:19], v[16:17], 1, s[28:29]
	s_cbranch_vccnz .LBB1199_68
; %bb.60:
	global_load_ushort v16, v[20:21], off
	global_load_ushort v17, v[18:19], off
	s_mov_b64 s[18:19], -1
	s_waitcnt vmcnt(1)
	v_lshlrev_b32_e32 v16, 16, v16
	s_waitcnt vmcnt(0)
	v_lshlrev_b32_e32 v17, 16, v17
	v_cmp_eq_f32_e32 vcc, v17, v16
	s_and_saveexec_b64 s[38:39], vcc
	s_cbranch_execz .LBB1199_67
; %bb.61:
	s_add_u32 s18, s26, -1
	v_lshl_add_u64 v[16:17], v[20:21], 0, 2
	v_lshl_add_u64 v[20:21], v[18:19], 0, 2
	s_addc_u32 s19, s27, -1
	s_mov_b64 s[40:41], 0
	s_mov_b64 s[44:45], 0
                                        ; implicit-def: $sgpr42_sgpr43
	s_branch .LBB1199_64
.LBB1199_62:                            ;   in Loop: Header=BB1199_64 Depth=1
	global_load_ushort v22, v[16:17], off
	global_load_ushort v23, v[20:21], off
	s_add_u32 s44, s44, 1
	s_addc_u32 s45, s45, 0
	s_andn2_b64 s[42:43], s[42:43], exec
	v_lshl_add_u64 v[16:17], v[16:17], 0, 2
	v_lshl_add_u64 v[20:21], v[20:21], 0, 2
	s_waitcnt vmcnt(1)
	v_lshlrev_b32_e32 v22, 16, v22
	s_waitcnt vmcnt(0)
	v_lshlrev_b32_e32 v23, 16, v23
	v_cmp_neq_f32_e32 vcc, v23, v22
	s_and_b64 s[46:47], vcc, exec
	s_or_b64 s[42:43], s[42:43], s[46:47]
.LBB1199_63:                            ;   in Loop: Header=BB1199_64 Depth=1
	s_and_b64 s[46:47], exec, s[42:43]
	s_or_b64 s[40:41], s[46:47], s[40:41]
	v_mov_b64_e32 v[22:23], s[44:45]
	s_andn2_b64 exec, exec, s[40:41]
	s_cbranch_execz .LBB1199_66
.LBB1199_64:                            ; =>This Inner Loop Header: Depth=1
	s_or_b64 s[42:43], s[42:43], exec
	s_cmp_eq_u64 s[18:19], s[44:45]
	s_cbranch_scc0 .LBB1199_62
; %bb.65:                               ;   in Loop: Header=BB1199_64 Depth=1
                                        ; implicit-def: $vgpr16_vgpr17
                                        ; implicit-def: $vgpr20_vgpr21
	s_mov_b64 s[44:45], s[26:27]
	s_branch .LBB1199_63
.LBB1199_66:
	s_or_b64 exec, exec, s[40:41]
	v_cmp_gt_i64_e32 vcc, s[26:27], v[22:23]
	s_orn2_b64 s[18:19], vcc, exec
.LBB1199_67:
	s_or_b64 exec, exec, s[38:39]
.LBB1199_68:
	v_mul_lo_u32 v20, v11, s26
	v_mul_lo_u32 v21, v10, s27
	v_mad_u64_u32 v[16:17], s[38:39], v10, s26, 0
	v_add3_u32 v17, v17, v21, v20
	s_mov_b64 s[40:41], 0
	s_and_b64 vcc, exec, s[4:5]
	v_lshl_add_u64 v[16:17], v[16:17], 1, s[28:29]
	s_cbranch_vccnz .LBB1199_77
; %bb.69:
	global_load_ushort v20, v[18:19], off
	global_load_ushort v21, v[16:17], off
	s_mov_b64 s[40:41], -1
	s_waitcnt vmcnt(1)
	v_lshlrev_b32_e32 v20, 16, v20
	s_waitcnt vmcnt(0)
	v_lshlrev_b32_e32 v21, 16, v21
	v_cmp_eq_f32_e32 vcc, v21, v20
	s_and_saveexec_b64 s[38:39], vcc
	s_cbranch_execz .LBB1199_76
; %bb.70:
	s_add_u32 s40, s26, -1
	v_lshl_add_u64 v[18:19], v[18:19], 0, 2
	v_lshl_add_u64 v[20:21], v[16:17], 0, 2
	s_addc_u32 s41, s27, -1
	s_mov_b64 s[42:43], 0
	s_mov_b64 s[46:47], 0
                                        ; implicit-def: $sgpr44_sgpr45
	s_branch .LBB1199_73
.LBB1199_71:                            ;   in Loop: Header=BB1199_73 Depth=1
	global_load_ushort v22, v[18:19], off
	global_load_ushort v23, v[20:21], off
	s_add_u32 s46, s46, 1
	s_addc_u32 s47, s47, 0
	s_andn2_b64 s[44:45], s[44:45], exec
	v_lshl_add_u64 v[18:19], v[18:19], 0, 2
	v_lshl_add_u64 v[20:21], v[20:21], 0, 2
	s_waitcnt vmcnt(1)
	v_lshlrev_b32_e32 v22, 16, v22
	s_waitcnt vmcnt(0)
	v_lshlrev_b32_e32 v23, 16, v23
	v_cmp_neq_f32_e32 vcc, v23, v22
	s_and_b64 s[48:49], vcc, exec
	s_or_b64 s[44:45], s[44:45], s[48:49]
.LBB1199_72:                            ;   in Loop: Header=BB1199_73 Depth=1
	s_and_b64 s[48:49], exec, s[44:45]
	s_or_b64 s[42:43], s[48:49], s[42:43]
	v_mov_b64_e32 v[22:23], s[46:47]
	s_andn2_b64 exec, exec, s[42:43]
	s_cbranch_execz .LBB1199_75
.LBB1199_73:                            ; =>This Inner Loop Header: Depth=1
	s_or_b64 s[44:45], s[44:45], exec
	s_cmp_eq_u64 s[40:41], s[46:47]
	s_cbranch_scc0 .LBB1199_71
; %bb.74:                               ;   in Loop: Header=BB1199_73 Depth=1
                                        ; implicit-def: $vgpr18_vgpr19
                                        ; implicit-def: $vgpr20_vgpr21
	s_mov_b64 s[46:47], s[26:27]
	s_branch .LBB1199_72
.LBB1199_75:
	s_or_b64 exec, exec, s[42:43]
	v_cmp_gt_i64_e32 vcc, s[26:27], v[22:23]
	s_orn2_b64 s[40:41], vcc, exec
.LBB1199_76:
	s_or_b64 exec, exec, s[38:39]
.LBB1199_77:
	v_cmp_ne_u32_e32 vcc, 0, v0
	s_waitcnt lgkmcnt(0)
	v_mov_b64_e32 v[18:19], s[6:7]
	s_barrier
	s_and_saveexec_b64 s[38:39], vcc
	s_cbranch_execz .LBB1199_79
; %bb.78:
	v_add_u32_e32 v18, -8, v31
	ds_read_b64 v[18:19], v18
.LBB1199_79:
	s_or_b64 exec, exec, s[38:39]
	v_cndmask_b32_e64 v21, 0, 1, s[36:37]
	v_cndmask_b32_e64 v20, 0, 1, s[18:19]
	;; [unrolled: 1-line block ×3, first 2 shown]
	v_lshlrev_b16_e32 v21, 8, v21
	v_lshlrev_b16_e32 v22, 8, v22
	v_or_b32_sdwa v23, v20, v21 dst_sel:WORD_1 dst_unused:UNUSED_PAD src0_sel:DWORD src1_sel:DWORD
	s_mov_b64 s[36:37], 0
	s_and_b64 vcc, exec, s[4:5]
	s_mov_b64 s[18:19], 0
	s_cbranch_vccnz .LBB1199_88
; %bb.80:
	s_waitcnt lgkmcnt(0)
	v_mul_lo_u32 v20, v19, s26
	v_mul_lo_u32 v21, v18, s27
	v_mad_u64_u32 v[18:19], s[18:19], v18, s26, 0
	v_add3_u32 v19, v19, v21, v20
	v_lshl_add_u64 v[18:19], v[18:19], 1, s[28:29]
	global_load_ushort v20, v[18:19], off
	global_load_ushort v21, v[16:17], off
	s_mov_b64 s[18:19], -1
	s_waitcnt vmcnt(1)
	v_lshlrev_b32_e32 v20, 16, v20
	s_waitcnt vmcnt(0)
	v_lshlrev_b32_e32 v21, 16, v21
	v_cmp_eq_f32_e32 vcc, v20, v21
	s_and_saveexec_b64 s[38:39], vcc
	s_cbranch_execz .LBB1199_87
; %bb.81:
	s_add_u32 s18, s26, -1
	v_lshl_add_u64 v[16:17], v[16:17], 0, 2
	v_lshl_add_u64 v[18:19], v[18:19], 0, 2
	s_addc_u32 s19, s27, -1
	s_mov_b64 s[40:41], 0
	s_mov_b64 s[44:45], 0
                                        ; implicit-def: $sgpr42_sgpr43
	s_branch .LBB1199_84
.LBB1199_82:                            ;   in Loop: Header=BB1199_84 Depth=1
	global_load_ushort v20, v[16:17], off
	global_load_ushort v21, v[18:19], off
	s_add_u32 s44, s44, 1
	s_addc_u32 s45, s45, 0
	s_andn2_b64 s[42:43], s[42:43], exec
	v_lshl_add_u64 v[16:17], v[16:17], 0, 2
	v_lshl_add_u64 v[18:19], v[18:19], 0, 2
	s_waitcnt vmcnt(1)
	v_lshlrev_b32_e32 v20, 16, v20
	s_waitcnt vmcnt(0)
	v_lshlrev_b32_e32 v21, 16, v21
	v_cmp_neq_f32_e32 vcc, v21, v20
	s_and_b64 s[46:47], vcc, exec
	s_or_b64 s[42:43], s[42:43], s[46:47]
.LBB1199_83:                            ;   in Loop: Header=BB1199_84 Depth=1
	s_and_b64 s[46:47], exec, s[42:43]
	s_or_b64 s[40:41], s[46:47], s[40:41]
	v_mov_b64_e32 v[20:21], s[44:45]
	s_andn2_b64 exec, exec, s[40:41]
	s_cbranch_execz .LBB1199_86
.LBB1199_84:                            ; =>This Inner Loop Header: Depth=1
	s_or_b64 s[42:43], s[42:43], exec
	s_cmp_eq_u64 s[18:19], s[44:45]
	s_cbranch_scc0 .LBB1199_82
; %bb.85:                               ;   in Loop: Header=BB1199_84 Depth=1
                                        ; implicit-def: $vgpr16_vgpr17
                                        ; implicit-def: $vgpr18_vgpr19
	s_mov_b64 s[44:45], s[26:27]
	s_branch .LBB1199_83
.LBB1199_86:
	s_or_b64 exec, exec, s[40:41]
	v_cmp_gt_i64_e32 vcc, s[26:27], v[20:21]
	s_orn2_b64 s[18:19], vcc, exec
.LBB1199_87:
	s_or_b64 exec, exec, s[38:39]
.LBB1199_88:
	v_cndmask_b32_e64 v32, 0, 1, s[12:13]
	v_cndmask_b32_e64 v33, 0, 1, s[14:15]
	v_cndmask_b32_e64 v34, 0, 1, s[10:11]
	v_or_b32_e32 v20, v22, v23
	s_and_b64 vcc, exec, s[36:37]
	s_cbranch_vccz .LBB1199_169
.LBB1199_89:
	v_cmp_gt_u32_e32 vcc, s3, v27
	s_mov_b64 s[12:13], 0
	s_mov_b64 s[10:11], 0
	s_and_saveexec_b64 s[14:15], vcc
	s_cbranch_execz .LBB1199_100
; %bb.90:
	s_and_b64 vcc, exec, s[4:5]
	s_mov_b64 s[18:19], 0
	s_cbranch_vccnz .LBB1199_99
; %bb.91:
	s_waitcnt lgkmcnt(0)
	v_mul_lo_u32 v18, v5, s26
	v_mul_lo_u32 v19, v4, s27
	v_mad_u64_u32 v[16:17], s[10:11], v4, s26, 0
	v_add3_u32 v17, v17, v19, v18
	v_mul_lo_u32 v18, v15, s26
	v_mul_lo_u32 v19, v14, s27
	v_mad_u64_u32 v[20:21], s[10:11], v14, s26, 0
	v_add3_u32 v21, v21, v19, v18
	v_lshl_add_u64 v[18:19], v[16:17], 1, s[28:29]
	v_lshl_add_u64 v[16:17], v[20:21], 1, s[28:29]
	global_load_ushort v20, v[16:17], off
	global_load_ushort v21, v[18:19], off
	s_mov_b64 s[18:19], -1
	s_waitcnt vmcnt(1)
	v_lshlrev_b32_e32 v20, 16, v20
	s_waitcnt vmcnt(0)
	v_lshlrev_b32_e32 v21, 16, v21
	v_cmp_eq_f32_e32 vcc, v21, v20
	s_and_saveexec_b64 s[10:11], vcc
	s_cbranch_execz .LBB1199_98
; %bb.92:
	s_add_u32 s18, s26, -1
	v_lshl_add_u64 v[16:17], v[16:17], 0, 2
	v_lshl_add_u64 v[18:19], v[18:19], 0, 2
	s_addc_u32 s19, s27, -1
	s_mov_b64 s[36:37], 0
	s_mov_b64 s[40:41], 0
                                        ; implicit-def: $sgpr38_sgpr39
	s_branch .LBB1199_95
.LBB1199_93:                            ;   in Loop: Header=BB1199_95 Depth=1
	global_load_ushort v20, v[16:17], off
	global_load_ushort v21, v[18:19], off
	s_add_u32 s40, s40, 1
	s_addc_u32 s41, s41, 0
	s_andn2_b64 s[38:39], s[38:39], exec
	v_lshl_add_u64 v[16:17], v[16:17], 0, 2
	v_lshl_add_u64 v[18:19], v[18:19], 0, 2
	s_waitcnt vmcnt(1)
	v_lshlrev_b32_e32 v20, 16, v20
	s_waitcnt vmcnt(0)
	v_lshlrev_b32_e32 v21, 16, v21
	v_cmp_neq_f32_e32 vcc, v21, v20
	s_and_b64 s[42:43], vcc, exec
	s_or_b64 s[38:39], s[38:39], s[42:43]
.LBB1199_94:                            ;   in Loop: Header=BB1199_95 Depth=1
	s_and_b64 s[42:43], exec, s[38:39]
	s_or_b64 s[36:37], s[42:43], s[36:37]
	v_mov_b64_e32 v[20:21], s[40:41]
	s_andn2_b64 exec, exec, s[36:37]
	s_cbranch_execz .LBB1199_97
.LBB1199_95:                            ; =>This Inner Loop Header: Depth=1
	s_or_b64 s[38:39], s[38:39], exec
	s_cmp_eq_u64 s[18:19], s[40:41]
	s_cbranch_scc0 .LBB1199_93
; %bb.96:                               ;   in Loop: Header=BB1199_95 Depth=1
                                        ; implicit-def: $vgpr16_vgpr17
                                        ; implicit-def: $vgpr18_vgpr19
	s_mov_b64 s[40:41], s[26:27]
	s_branch .LBB1199_94
.LBB1199_97:
	s_or_b64 exec, exec, s[36:37]
	v_cmp_gt_i64_e32 vcc, s[26:27], v[20:21]
	s_orn2_b64 s[18:19], vcc, exec
.LBB1199_98:
	s_or_b64 exec, exec, s[10:11]
.LBB1199_99:
	s_and_b64 s[10:11], s[18:19], exec
.LBB1199_100:
	s_or_b64 exec, exec, s[14:15]
	v_cmp_gt_u32_e32 vcc, s3, v29
	s_and_saveexec_b64 s[14:15], vcc
	s_cbranch_execz .LBB1199_111
; %bb.101:
	s_and_b64 vcc, exec, s[4:5]
	s_mov_b64 s[18:19], 0
	s_cbranch_vccnz .LBB1199_110
; %bb.102:
	s_waitcnt lgkmcnt(0)
	v_mul_lo_u32 v18, v3, s26
	v_mul_lo_u32 v19, v2, s27
	v_mad_u64_u32 v[16:17], s[12:13], v2, s26, 0
	v_add3_u32 v17, v17, v19, v18
	v_mul_lo_u32 v18, v5, s26
	v_mul_lo_u32 v19, v4, s27
	v_mad_u64_u32 v[20:21], s[12:13], v4, s26, 0
	v_add3_u32 v21, v21, v19, v18
	v_lshl_add_u64 v[18:19], v[16:17], 1, s[28:29]
	v_lshl_add_u64 v[16:17], v[20:21], 1, s[28:29]
	global_load_ushort v20, v[16:17], off
	global_load_ushort v21, v[18:19], off
	s_mov_b64 s[18:19], -1
	s_waitcnt vmcnt(1)
	v_lshlrev_b32_e32 v20, 16, v20
	s_waitcnt vmcnt(0)
	v_lshlrev_b32_e32 v21, 16, v21
	v_cmp_eq_f32_e32 vcc, v21, v20
	s_and_saveexec_b64 s[12:13], vcc
	s_cbranch_execz .LBB1199_109
; %bb.103:
	s_add_u32 s18, s26, -1
	v_lshl_add_u64 v[16:17], v[16:17], 0, 2
	v_lshl_add_u64 v[18:19], v[18:19], 0, 2
	s_addc_u32 s19, s27, -1
	s_mov_b64 s[36:37], 0
	s_mov_b64 s[40:41], 0
                                        ; implicit-def: $sgpr38_sgpr39
	s_branch .LBB1199_106
.LBB1199_104:                           ;   in Loop: Header=BB1199_106 Depth=1
	global_load_ushort v20, v[16:17], off
	global_load_ushort v21, v[18:19], off
	s_add_u32 s40, s40, 1
	s_addc_u32 s41, s41, 0
	s_andn2_b64 s[38:39], s[38:39], exec
	v_lshl_add_u64 v[16:17], v[16:17], 0, 2
	v_lshl_add_u64 v[18:19], v[18:19], 0, 2
	s_waitcnt vmcnt(1)
	v_lshlrev_b32_e32 v20, 16, v20
	s_waitcnt vmcnt(0)
	v_lshlrev_b32_e32 v21, 16, v21
	v_cmp_neq_f32_e32 vcc, v21, v20
	s_and_b64 s[42:43], vcc, exec
	s_or_b64 s[38:39], s[38:39], s[42:43]
.LBB1199_105:                           ;   in Loop: Header=BB1199_106 Depth=1
	s_and_b64 s[42:43], exec, s[38:39]
	s_or_b64 s[36:37], s[42:43], s[36:37]
	v_mov_b64_e32 v[20:21], s[40:41]
	s_andn2_b64 exec, exec, s[36:37]
	s_cbranch_execz .LBB1199_108
.LBB1199_106:                           ; =>This Inner Loop Header: Depth=1
	s_or_b64 s[38:39], s[38:39], exec
	s_cmp_eq_u64 s[18:19], s[40:41]
	s_cbranch_scc0 .LBB1199_104
; %bb.107:                              ;   in Loop: Header=BB1199_106 Depth=1
                                        ; implicit-def: $vgpr16_vgpr17
                                        ; implicit-def: $vgpr18_vgpr19
	s_mov_b64 s[40:41], s[26:27]
	s_branch .LBB1199_105
.LBB1199_108:
	s_or_b64 exec, exec, s[36:37]
	v_cmp_gt_i64_e32 vcc, s[26:27], v[20:21]
	s_orn2_b64 s[18:19], vcc, exec
.LBB1199_109:
	s_or_b64 exec, exec, s[12:13]
.LBB1199_110:
	s_and_b64 s[12:13], s[18:19], exec
.LBB1199_111:
	s_or_b64 exec, exec, s[14:15]
	v_cmp_gt_u32_e32 vcc, s3, v26
	s_mov_b64 s[18:19], 0
	s_mov_b64 s[14:15], 0
	s_and_saveexec_b64 s[36:37], vcc
	s_cbranch_execz .LBB1199_122
; %bb.112:
	s_and_b64 vcc, exec, s[4:5]
	s_mov_b64 s[38:39], 0
	s_cbranch_vccnz .LBB1199_121
; %bb.113:
	s_waitcnt lgkmcnt(0)
	v_mul_lo_u32 v18, v9, s26
	v_mul_lo_u32 v19, v8, s27
	v_mad_u64_u32 v[16:17], s[14:15], v8, s26, 0
	v_add3_u32 v17, v17, v19, v18
	v_mul_lo_u32 v18, v3, s26
	v_mul_lo_u32 v19, v2, s27
	v_mad_u64_u32 v[20:21], s[14:15], v2, s26, 0
	v_add3_u32 v21, v21, v19, v18
	v_lshl_add_u64 v[18:19], v[16:17], 1, s[28:29]
	v_lshl_add_u64 v[16:17], v[20:21], 1, s[28:29]
	global_load_ushort v20, v[16:17], off
	global_load_ushort v21, v[18:19], off
	s_mov_b64 s[38:39], -1
	s_waitcnt vmcnt(1)
	v_lshlrev_b32_e32 v20, 16, v20
	s_waitcnt vmcnt(0)
	v_lshlrev_b32_e32 v21, 16, v21
	v_cmp_eq_f32_e32 vcc, v21, v20
	s_and_saveexec_b64 s[14:15], vcc
	s_cbranch_execz .LBB1199_120
; %bb.114:
	s_add_u32 s38, s26, -1
	v_lshl_add_u64 v[16:17], v[16:17], 0, 2
	v_lshl_add_u64 v[18:19], v[18:19], 0, 2
	s_addc_u32 s39, s27, -1
	s_mov_b64 s[40:41], 0
	s_mov_b64 s[44:45], 0
                                        ; implicit-def: $sgpr42_sgpr43
	s_branch .LBB1199_117
.LBB1199_115:                           ;   in Loop: Header=BB1199_117 Depth=1
	global_load_ushort v20, v[16:17], off
	global_load_ushort v21, v[18:19], off
	s_add_u32 s44, s44, 1
	s_addc_u32 s45, s45, 0
	s_andn2_b64 s[42:43], s[42:43], exec
	v_lshl_add_u64 v[16:17], v[16:17], 0, 2
	v_lshl_add_u64 v[18:19], v[18:19], 0, 2
	s_waitcnt vmcnt(1)
	v_lshlrev_b32_e32 v20, 16, v20
	s_waitcnt vmcnt(0)
	v_lshlrev_b32_e32 v21, 16, v21
	v_cmp_neq_f32_e32 vcc, v21, v20
	s_and_b64 s[46:47], vcc, exec
	s_or_b64 s[42:43], s[42:43], s[46:47]
.LBB1199_116:                           ;   in Loop: Header=BB1199_117 Depth=1
	s_and_b64 s[46:47], exec, s[42:43]
	s_or_b64 s[40:41], s[46:47], s[40:41]
	v_mov_b64_e32 v[20:21], s[44:45]
	s_andn2_b64 exec, exec, s[40:41]
	s_cbranch_execz .LBB1199_119
.LBB1199_117:                           ; =>This Inner Loop Header: Depth=1
	s_or_b64 s[42:43], s[42:43], exec
	s_cmp_eq_u64 s[38:39], s[44:45]
	s_cbranch_scc0 .LBB1199_115
; %bb.118:                              ;   in Loop: Header=BB1199_117 Depth=1
                                        ; implicit-def: $vgpr16_vgpr17
                                        ; implicit-def: $vgpr18_vgpr19
	s_mov_b64 s[44:45], s[26:27]
	s_branch .LBB1199_116
.LBB1199_119:
	s_or_b64 exec, exec, s[40:41]
	v_cmp_gt_i64_e32 vcc, s[26:27], v[20:21]
	s_orn2_b64 s[38:39], vcc, exec
.LBB1199_120:
	s_or_b64 exec, exec, s[14:15]
.LBB1199_121:
	s_and_b64 s[14:15], s[38:39], exec
.LBB1199_122:
	s_or_b64 exec, exec, s[36:37]
	v_cmp_gt_u32_e32 vcc, s3, v28
	s_and_saveexec_b64 s[36:37], vcc
	s_cbranch_execz .LBB1199_133
; %bb.123:
	s_and_b64 vcc, exec, s[4:5]
	s_mov_b64 s[38:39], 0
	s_cbranch_vccnz .LBB1199_132
; %bb.124:
	s_waitcnt lgkmcnt(0)
	v_mul_lo_u32 v18, v7, s26
	v_mul_lo_u32 v19, v6, s27
	v_mad_u64_u32 v[16:17], s[18:19], v6, s26, 0
	v_add3_u32 v17, v17, v19, v18
	v_mul_lo_u32 v18, v9, s26
	v_mul_lo_u32 v19, v8, s27
	v_mad_u64_u32 v[20:21], s[18:19], v8, s26, 0
	v_add3_u32 v21, v21, v19, v18
	v_lshl_add_u64 v[18:19], v[16:17], 1, s[28:29]
	v_lshl_add_u64 v[16:17], v[20:21], 1, s[28:29]
	global_load_ushort v20, v[16:17], off
	global_load_ushort v21, v[18:19], off
	s_mov_b64 s[38:39], -1
	s_waitcnt vmcnt(1)
	v_lshlrev_b32_e32 v20, 16, v20
	s_waitcnt vmcnt(0)
	v_lshlrev_b32_e32 v21, 16, v21
	v_cmp_eq_f32_e32 vcc, v21, v20
	s_and_saveexec_b64 s[18:19], vcc
	s_cbranch_execz .LBB1199_131
; %bb.125:
	s_add_u32 s38, s26, -1
	v_lshl_add_u64 v[16:17], v[16:17], 0, 2
	v_lshl_add_u64 v[18:19], v[18:19], 0, 2
	s_addc_u32 s39, s27, -1
	s_mov_b64 s[40:41], 0
	s_mov_b64 s[44:45], 0
                                        ; implicit-def: $sgpr42_sgpr43
	s_branch .LBB1199_128
.LBB1199_126:                           ;   in Loop: Header=BB1199_128 Depth=1
	global_load_ushort v20, v[16:17], off
	global_load_ushort v21, v[18:19], off
	s_add_u32 s44, s44, 1
	s_addc_u32 s45, s45, 0
	s_andn2_b64 s[42:43], s[42:43], exec
	v_lshl_add_u64 v[16:17], v[16:17], 0, 2
	v_lshl_add_u64 v[18:19], v[18:19], 0, 2
	s_waitcnt vmcnt(1)
	v_lshlrev_b32_e32 v20, 16, v20
	s_waitcnt vmcnt(0)
	v_lshlrev_b32_e32 v21, 16, v21
	v_cmp_neq_f32_e32 vcc, v21, v20
	s_and_b64 s[46:47], vcc, exec
	s_or_b64 s[42:43], s[42:43], s[46:47]
.LBB1199_127:                           ;   in Loop: Header=BB1199_128 Depth=1
	s_and_b64 s[46:47], exec, s[42:43]
	s_or_b64 s[40:41], s[46:47], s[40:41]
	v_mov_b64_e32 v[20:21], s[44:45]
	s_andn2_b64 exec, exec, s[40:41]
	s_cbranch_execz .LBB1199_130
.LBB1199_128:                           ; =>This Inner Loop Header: Depth=1
	s_or_b64 s[42:43], s[42:43], exec
	s_cmp_eq_u64 s[38:39], s[44:45]
	s_cbranch_scc0 .LBB1199_126
; %bb.129:                              ;   in Loop: Header=BB1199_128 Depth=1
                                        ; implicit-def: $vgpr16_vgpr17
                                        ; implicit-def: $vgpr18_vgpr19
	s_mov_b64 s[44:45], s[26:27]
	s_branch .LBB1199_127
.LBB1199_130:
	s_or_b64 exec, exec, s[40:41]
	v_cmp_gt_i64_e32 vcc, s[26:27], v[20:21]
	s_orn2_b64 s[38:39], vcc, exec
.LBB1199_131:
	s_or_b64 exec, exec, s[18:19]
.LBB1199_132:
	s_and_b64 s[18:19], s[38:39], exec
.LBB1199_133:
	s_or_b64 exec, exec, s[36:37]
	v_cmp_gt_u32_e32 vcc, s3, v24
	s_mov_b64 s[36:37], 0
	s_mov_b64 s[38:39], 0
	s_and_saveexec_b64 s[40:41], vcc
	s_cbranch_execz .LBB1199_144
; %bb.134:
	s_and_b64 vcc, exec, s[4:5]
	s_mov_b64 s[42:43], 0
	s_cbranch_vccnz .LBB1199_143
; %bb.135:
	s_waitcnt lgkmcnt(0)
	v_mul_lo_u32 v18, v13, s26
	v_mul_lo_u32 v19, v12, s27
	v_mad_u64_u32 v[16:17], s[38:39], v12, s26, 0
	v_add3_u32 v17, v17, v19, v18
	v_mul_lo_u32 v18, v7, s26
	v_mul_lo_u32 v19, v6, s27
	v_mad_u64_u32 v[20:21], s[38:39], v6, s26, 0
	v_add3_u32 v21, v21, v19, v18
	v_lshl_add_u64 v[18:19], v[16:17], 1, s[28:29]
	v_lshl_add_u64 v[16:17], v[20:21], 1, s[28:29]
	global_load_ushort v20, v[16:17], off
	global_load_ushort v21, v[18:19], off
	s_mov_b64 s[42:43], -1
	s_waitcnt vmcnt(1)
	v_lshlrev_b32_e32 v20, 16, v20
	s_waitcnt vmcnt(0)
	v_lshlrev_b32_e32 v21, 16, v21
	v_cmp_eq_f32_e32 vcc, v21, v20
	s_and_saveexec_b64 s[38:39], vcc
	s_cbranch_execz .LBB1199_142
; %bb.136:
	s_add_u32 s42, s26, -1
	v_lshl_add_u64 v[16:17], v[16:17], 0, 2
	v_lshl_add_u64 v[18:19], v[18:19], 0, 2
	s_addc_u32 s43, s27, -1
	s_mov_b64 s[44:45], 0
	s_mov_b64 s[48:49], 0
                                        ; implicit-def: $sgpr46_sgpr47
	s_branch .LBB1199_139
.LBB1199_137:                           ;   in Loop: Header=BB1199_139 Depth=1
	global_load_ushort v20, v[16:17], off
	global_load_ushort v21, v[18:19], off
	s_add_u32 s48, s48, 1
	s_addc_u32 s49, s49, 0
	s_andn2_b64 s[46:47], s[46:47], exec
	v_lshl_add_u64 v[16:17], v[16:17], 0, 2
	v_lshl_add_u64 v[18:19], v[18:19], 0, 2
	s_waitcnt vmcnt(1)
	v_lshlrev_b32_e32 v20, 16, v20
	s_waitcnt vmcnt(0)
	v_lshlrev_b32_e32 v21, 16, v21
	v_cmp_neq_f32_e32 vcc, v21, v20
	s_and_b64 s[50:51], vcc, exec
	s_or_b64 s[46:47], s[46:47], s[50:51]
.LBB1199_138:                           ;   in Loop: Header=BB1199_139 Depth=1
	s_and_b64 s[50:51], exec, s[46:47]
	s_or_b64 s[44:45], s[50:51], s[44:45]
	v_mov_b64_e32 v[20:21], s[48:49]
	s_andn2_b64 exec, exec, s[44:45]
	s_cbranch_execz .LBB1199_141
.LBB1199_139:                           ; =>This Inner Loop Header: Depth=1
	s_or_b64 s[46:47], s[46:47], exec
	s_cmp_eq_u64 s[42:43], s[48:49]
	s_cbranch_scc0 .LBB1199_137
; %bb.140:                              ;   in Loop: Header=BB1199_139 Depth=1
                                        ; implicit-def: $vgpr16_vgpr17
                                        ; implicit-def: $vgpr18_vgpr19
	s_mov_b64 s[48:49], s[26:27]
	s_branch .LBB1199_138
.LBB1199_141:
	s_or_b64 exec, exec, s[44:45]
	v_cmp_gt_i64_e32 vcc, s[26:27], v[20:21]
	s_orn2_b64 s[42:43], vcc, exec
.LBB1199_142:
	s_or_b64 exec, exec, s[38:39]
.LBB1199_143:
	s_and_b64 s[38:39], s[42:43], exec
.LBB1199_144:
	s_or_b64 exec, exec, s[40:41]
	v_cmp_gt_u32_e32 vcc, s3, v25
	s_and_saveexec_b64 s[40:41], vcc
	s_cbranch_execz .LBB1199_155
; %bb.145:
	s_and_b64 vcc, exec, s[4:5]
	s_mov_b64 s[42:43], 0
	s_cbranch_vccnz .LBB1199_154
; %bb.146:
	s_waitcnt lgkmcnt(0)
	v_mul_lo_u32 v18, v11, s26
	v_mul_lo_u32 v19, v10, s27
	v_mad_u64_u32 v[16:17], s[36:37], v10, s26, 0
	v_add3_u32 v17, v17, v19, v18
	v_mul_lo_u32 v18, v13, s26
	v_mul_lo_u32 v19, v12, s27
	v_mad_u64_u32 v[20:21], s[36:37], v12, s26, 0
	v_add3_u32 v21, v21, v19, v18
	v_lshl_add_u64 v[18:19], v[16:17], 1, s[28:29]
	v_lshl_add_u64 v[16:17], v[20:21], 1, s[28:29]
	global_load_ushort v20, v[16:17], off
	global_load_ushort v21, v[18:19], off
	s_mov_b64 s[42:43], -1
	s_waitcnt vmcnt(1)
	v_lshlrev_b32_e32 v20, 16, v20
	s_waitcnt vmcnt(0)
	v_lshlrev_b32_e32 v21, 16, v21
	v_cmp_eq_f32_e32 vcc, v21, v20
	s_and_saveexec_b64 s[36:37], vcc
	s_cbranch_execz .LBB1199_153
; %bb.147:
	s_add_u32 s42, s26, -1
	v_lshl_add_u64 v[16:17], v[16:17], 0, 2
	v_lshl_add_u64 v[18:19], v[18:19], 0, 2
	s_addc_u32 s43, s27, -1
	s_mov_b64 s[44:45], 0
	s_mov_b64 s[48:49], 0
                                        ; implicit-def: $sgpr46_sgpr47
	s_branch .LBB1199_150
.LBB1199_148:                           ;   in Loop: Header=BB1199_150 Depth=1
	global_load_ushort v20, v[16:17], off
	global_load_ushort v21, v[18:19], off
	s_add_u32 s48, s48, 1
	s_addc_u32 s49, s49, 0
	s_andn2_b64 s[46:47], s[46:47], exec
	v_lshl_add_u64 v[16:17], v[16:17], 0, 2
	v_lshl_add_u64 v[18:19], v[18:19], 0, 2
	s_waitcnt vmcnt(1)
	v_lshlrev_b32_e32 v20, 16, v20
	s_waitcnt vmcnt(0)
	v_lshlrev_b32_e32 v21, 16, v21
	v_cmp_neq_f32_e32 vcc, v21, v20
	s_and_b64 s[50:51], vcc, exec
	s_or_b64 s[46:47], s[46:47], s[50:51]
.LBB1199_149:                           ;   in Loop: Header=BB1199_150 Depth=1
	s_and_b64 s[50:51], exec, s[46:47]
	s_or_b64 s[44:45], s[50:51], s[44:45]
	v_mov_b64_e32 v[20:21], s[48:49]
	s_andn2_b64 exec, exec, s[44:45]
	s_cbranch_execz .LBB1199_152
.LBB1199_150:                           ; =>This Inner Loop Header: Depth=1
	s_or_b64 s[46:47], s[46:47], exec
	s_cmp_eq_u64 s[42:43], s[48:49]
	s_cbranch_scc0 .LBB1199_148
; %bb.151:                              ;   in Loop: Header=BB1199_150 Depth=1
                                        ; implicit-def: $vgpr16_vgpr17
                                        ; implicit-def: $vgpr18_vgpr19
	s_mov_b64 s[48:49], s[26:27]
	s_branch .LBB1199_149
.LBB1199_152:
	s_or_b64 exec, exec, s[44:45]
	v_cmp_gt_i64_e32 vcc, s[26:27], v[20:21]
	s_orn2_b64 s[42:43], vcc, exec
.LBB1199_153:
	s_or_b64 exec, exec, s[36:37]
.LBB1199_154:
	s_and_b64 s[36:37], s[42:43], exec
.LBB1199_155:
	s_or_b64 exec, exec, s[40:41]
	v_cmp_ne_u32_e32 vcc, 0, v0
	s_waitcnt lgkmcnt(0)
	v_mov_b64_e32 v[16:17], s[6:7]
	s_barrier
	s_and_saveexec_b64 s[6:7], vcc
	s_cbranch_execz .LBB1199_157
; %bb.156:
	v_add_u32_e32 v16, -8, v31
	ds_read_b64 v[16:17], v16
.LBB1199_157:
	s_or_b64 exec, exec, s[6:7]
	v_cndmask_b32_e64 v19, 0, 1, s[18:19]
	v_cndmask_b32_e64 v18, 0, 1, s[38:39]
	;; [unrolled: 1-line block ×3, first 2 shown]
	v_lshlrev_b16_e32 v19, 8, v19
	v_cmp_gt_u32_e32 vcc, s3, v1
	v_lshlrev_b16_e32 v22, 8, v20
	v_or_b32_sdwa v23, v18, v19 dst_sel:WORD_1 dst_unused:UNUSED_PAD src0_sel:DWORD src1_sel:DWORD
	s_mov_b64 s[18:19], 0
	s_and_saveexec_b64 s[6:7], vcc
	s_cbranch_execz .LBB1199_168
; %bb.158:
	s_and_b64 vcc, exec, s[4:5]
	s_cbranch_vccnz .LBB1199_167
; %bb.159:
	s_waitcnt lgkmcnt(0)
	v_mul_lo_u32 v18, v17, s26
	v_mul_lo_u32 v19, v16, s27
	v_mad_u64_u32 v[16:17], s[4:5], v16, s26, 0
	v_add3_u32 v17, v17, v19, v18
	v_mul_lo_u32 v18, v11, s26
	v_mul_lo_u32 v19, v10, s27
	v_mad_u64_u32 v[20:21], s[4:5], v10, s26, 0
	v_add3_u32 v21, v21, v19, v18
	v_lshl_add_u64 v[18:19], v[16:17], 1, s[28:29]
	v_lshl_add_u64 v[16:17], v[20:21], 1, s[28:29]
	global_load_ushort v20, v[16:17], off
	global_load_ushort v21, v[18:19], off
	s_mov_b64 s[18:19], -1
	s_waitcnt vmcnt(1)
	v_lshlrev_b32_e32 v20, 16, v20
	s_waitcnt vmcnt(0)
	v_lshlrev_b32_e32 v21, 16, v21
	v_cmp_eq_f32_e32 vcc, v21, v20
	s_and_saveexec_b64 s[4:5], vcc
	s_cbranch_execz .LBB1199_166
; %bb.160:
	s_add_u32 s18, s26, -1
	v_lshl_add_u64 v[16:17], v[16:17], 0, 2
	v_lshl_add_u64 v[18:19], v[18:19], 0, 2
	s_addc_u32 s19, s27, -1
	s_mov_b64 s[36:37], 0
	s_mov_b64 s[40:41], 0
                                        ; implicit-def: $sgpr38_sgpr39
	s_branch .LBB1199_163
.LBB1199_161:                           ;   in Loop: Header=BB1199_163 Depth=1
	global_load_ushort v20, v[16:17], off
	global_load_ushort v21, v[18:19], off
	s_add_u32 s40, s40, 1
	s_addc_u32 s41, s41, 0
	s_andn2_b64 s[38:39], s[38:39], exec
	v_lshl_add_u64 v[16:17], v[16:17], 0, 2
	v_lshl_add_u64 v[18:19], v[18:19], 0, 2
	s_waitcnt vmcnt(1)
	v_lshlrev_b32_e32 v20, 16, v20
	s_waitcnt vmcnt(0)
	v_lshlrev_b32_e32 v21, 16, v21
	v_cmp_neq_f32_e32 vcc, v21, v20
	s_and_b64 s[42:43], vcc, exec
	s_or_b64 s[38:39], s[38:39], s[42:43]
.LBB1199_162:                           ;   in Loop: Header=BB1199_163 Depth=1
	s_and_b64 s[42:43], exec, s[38:39]
	s_or_b64 s[36:37], s[42:43], s[36:37]
	v_mov_b64_e32 v[20:21], s[40:41]
	s_andn2_b64 exec, exec, s[36:37]
	s_cbranch_execz .LBB1199_165
.LBB1199_163:                           ; =>This Inner Loop Header: Depth=1
	s_or_b64 s[38:39], s[38:39], exec
	s_cmp_eq_u64 s[18:19], s[40:41]
	s_cbranch_scc0 .LBB1199_161
; %bb.164:                              ;   in Loop: Header=BB1199_163 Depth=1
                                        ; implicit-def: $vgpr16_vgpr17
                                        ; implicit-def: $vgpr18_vgpr19
	s_mov_b64 s[40:41], s[26:27]
	s_branch .LBB1199_162
.LBB1199_165:
	s_or_b64 exec, exec, s[36:37]
	v_cmp_gt_i64_e32 vcc, s[26:27], v[20:21]
	s_orn2_b64 s[18:19], vcc, exec
.LBB1199_166:
	s_or_b64 exec, exec, s[4:5]
.LBB1199_167:
	s_and_b64 s[18:19], s[18:19], exec
.LBB1199_168:
	s_or_b64 exec, exec, s[6:7]
	v_cndmask_b32_e64 v32, 0, 1, s[14:15]
	v_cndmask_b32_e64 v33, 0, 1, s[12:13]
	;; [unrolled: 1-line block ×3, first 2 shown]
	v_or_b32_e32 v20, v22, v23
.LBB1199_169:
	s_mov_b64 s[10:11], -1
	s_cbranch_execnz .LBB1199_28
.LBB1199_170:
	s_movk_i32 s4, 0xffd0
	v_mad_i32_i24 v30, v0, s4, v30
	s_mov_b64 s[12:13], 0
	s_waitcnt lgkmcnt(0)
	v_cmp_gt_i64_e64 s[6:7], s[26:27], 0
	s_and_b64 vcc, exec, s[34:35]
	ds_write_b64 v30, v[14:15]
	s_cbranch_vccz .LBB1199_178
; %bb.171:
	v_mul_lo_u32 v18, v5, s26
	v_mul_lo_u32 v19, v4, s27
	v_mad_u64_u32 v[16:17], s[4:5], v4, s26, 0
	v_add3_u32 v17, v17, v19, v18
	v_cndmask_b32_e64 v18, 0, 1, s[6:7]
	v_cmp_ne_u32_e64 s[4:5], 1, v18
	s_andn2_b64 vcc, exec, s[6:7]
	v_lshl_add_u64 v[16:17], v[16:17], 1, s[28:29]
	s_cbranch_vccnz .LBB1199_181
; %bb.172:
	v_mul_lo_u32 v20, v15, s26
	v_mul_lo_u32 v21, v14, s27
	v_mad_u64_u32 v[18:19], s[12:13], v14, s26, 0
	v_add3_u32 v19, v19, v21, v20
	v_lshl_add_u64 v[18:19], v[18:19], 1, s[28:29]
	global_load_ushort v20, v[18:19], off
	global_load_ushort v21, v[16:17], off
	s_mov_b64 s[12:13], -1
	s_waitcnt vmcnt(1)
	v_lshlrev_b32_e32 v20, 16, v20
	s_waitcnt vmcnt(0)
	v_lshlrev_b32_e32 v21, 16, v21
	v_cmp_eq_f32_e32 vcc, v21, v20
	s_and_saveexec_b64 s[14:15], vcc
	s_cbranch_execz .LBB1199_180
; %bb.173:
	s_add_u32 s12, s26, -1
	v_lshl_add_u64 v[18:19], v[18:19], 0, 2
	v_lshl_add_u64 v[20:21], v[16:17], 0, 2
	s_addc_u32 s13, s27, -1
	s_mov_b64 s[18:19], 0
	s_mov_b64 s[38:39], 0
                                        ; implicit-def: $sgpr36_sgpr37
	s_branch .LBB1199_176
.LBB1199_174:                           ;   in Loop: Header=BB1199_176 Depth=1
	global_load_ushort v22, v[18:19], off
	global_load_ushort v23, v[20:21], off
	s_add_u32 s38, s38, 1
	s_addc_u32 s39, s39, 0
	s_andn2_b64 s[36:37], s[36:37], exec
	v_lshl_add_u64 v[18:19], v[18:19], 0, 2
	v_lshl_add_u64 v[20:21], v[20:21], 0, 2
	s_waitcnt vmcnt(1)
	v_lshlrev_b32_e32 v22, 16, v22
	s_waitcnt vmcnt(0)
	v_lshlrev_b32_e32 v23, 16, v23
	v_cmp_neq_f32_e32 vcc, v23, v22
	s_and_b64 s[40:41], vcc, exec
	s_or_b64 s[36:37], s[36:37], s[40:41]
.LBB1199_175:                           ;   in Loop: Header=BB1199_176 Depth=1
	s_and_b64 s[40:41], exec, s[36:37]
	s_or_b64 s[18:19], s[40:41], s[18:19]
	v_mov_b64_e32 v[22:23], s[38:39]
	s_andn2_b64 exec, exec, s[18:19]
	s_cbranch_execz .LBB1199_179
.LBB1199_176:                           ; =>This Inner Loop Header: Depth=1
	s_or_b64 s[36:37], s[36:37], exec
	s_cmp_eq_u64 s[12:13], s[38:39]
	s_cbranch_scc0 .LBB1199_174
; %bb.177:                              ;   in Loop: Header=BB1199_176 Depth=1
                                        ; implicit-def: $vgpr18_vgpr19
                                        ; implicit-def: $vgpr20_vgpr21
	s_mov_b64 s[38:39], s[26:27]
	s_branch .LBB1199_175
.LBB1199_178:
                                        ; implicit-def: $sgpr18_sgpr19
                                        ; implicit-def: $vgpr34
                                        ; implicit-def: $vgpr33
                                        ; implicit-def: $vgpr32
                                        ; implicit-def: $vgpr20
                                        ; implicit-def: $vgpr16_vgpr17
	s_cbranch_execnz .LBB1199_238
	s_branch .LBB1199_318
.LBB1199_179:
	s_or_b64 exec, exec, s[18:19]
	v_cmp_gt_i64_e32 vcc, s[26:27], v[22:23]
	s_orn2_b64 s[12:13], vcc, exec
.LBB1199_180:
	s_or_b64 exec, exec, s[14:15]
.LBB1199_181:
	v_mul_lo_u32 v20, v3, s26
	v_mul_lo_u32 v21, v2, s27
	v_mad_u64_u32 v[18:19], s[14:15], v2, s26, 0
	v_add3_u32 v19, v19, v21, v20
	s_mov_b64 s[14:15], 0
	s_and_b64 vcc, exec, s[4:5]
	v_lshl_add_u64 v[18:19], v[18:19], 1, s[28:29]
	s_mov_b64 s[18:19], 0
	s_cbranch_vccnz .LBB1199_190
; %bb.182:
	global_load_ushort v20, v[16:17], off
	global_load_ushort v21, v[18:19], off
	s_mov_b64 s[18:19], -1
	s_waitcnt vmcnt(1)
	v_lshlrev_b32_e32 v20, 16, v20
	s_waitcnt vmcnt(0)
	v_lshlrev_b32_e32 v21, 16, v21
	v_cmp_eq_f32_e32 vcc, v21, v20
	s_and_saveexec_b64 s[36:37], vcc
	s_cbranch_execz .LBB1199_189
; %bb.183:
	s_add_u32 s18, s26, -1
	v_lshl_add_u64 v[16:17], v[16:17], 0, 2
	v_lshl_add_u64 v[20:21], v[18:19], 0, 2
	s_addc_u32 s19, s27, -1
	s_mov_b64 s[38:39], 0
	s_mov_b64 s[42:43], 0
                                        ; implicit-def: $sgpr40_sgpr41
	s_branch .LBB1199_186
.LBB1199_184:                           ;   in Loop: Header=BB1199_186 Depth=1
	global_load_ushort v22, v[16:17], off
	global_load_ushort v23, v[20:21], off
	s_add_u32 s42, s42, 1
	s_addc_u32 s43, s43, 0
	s_andn2_b64 s[40:41], s[40:41], exec
	v_lshl_add_u64 v[16:17], v[16:17], 0, 2
	v_lshl_add_u64 v[20:21], v[20:21], 0, 2
	s_waitcnt vmcnt(1)
	v_lshlrev_b32_e32 v22, 16, v22
	s_waitcnt vmcnt(0)
	v_lshlrev_b32_e32 v23, 16, v23
	v_cmp_neq_f32_e32 vcc, v23, v22
	s_and_b64 s[44:45], vcc, exec
	s_or_b64 s[40:41], s[40:41], s[44:45]
.LBB1199_185:                           ;   in Loop: Header=BB1199_186 Depth=1
	s_and_b64 s[44:45], exec, s[40:41]
	s_or_b64 s[38:39], s[44:45], s[38:39]
	v_mov_b64_e32 v[22:23], s[42:43]
	s_andn2_b64 exec, exec, s[38:39]
	s_cbranch_execz .LBB1199_188
.LBB1199_186:                           ; =>This Inner Loop Header: Depth=1
	s_or_b64 s[40:41], s[40:41], exec
	s_cmp_eq_u64 s[18:19], s[42:43]
	s_cbranch_scc0 .LBB1199_184
; %bb.187:                              ;   in Loop: Header=BB1199_186 Depth=1
                                        ; implicit-def: $vgpr16_vgpr17
                                        ; implicit-def: $vgpr20_vgpr21
	s_mov_b64 s[42:43], s[26:27]
	s_branch .LBB1199_185
.LBB1199_188:
	s_or_b64 exec, exec, s[38:39]
	v_cmp_gt_i64_e32 vcc, s[26:27], v[22:23]
	s_orn2_b64 s[18:19], vcc, exec
.LBB1199_189:
	s_or_b64 exec, exec, s[36:37]
.LBB1199_190:
	v_mul_lo_u32 v20, v9, s26
	v_mul_lo_u32 v21, v8, s27
	v_mad_u64_u32 v[16:17], s[36:37], v8, s26, 0
	v_add3_u32 v17, v17, v21, v20
	s_and_b64 vcc, exec, s[4:5]
	v_lshl_add_u64 v[16:17], v[16:17], 1, s[28:29]
	s_cbranch_vccnz .LBB1199_199
; %bb.191:
	global_load_ushort v20, v[18:19], off
	global_load_ushort v21, v[16:17], off
	s_mov_b64 s[14:15], -1
	s_waitcnt vmcnt(1)
	v_lshlrev_b32_e32 v20, 16, v20
	s_waitcnt vmcnt(0)
	v_lshlrev_b32_e32 v21, 16, v21
	v_cmp_eq_f32_e32 vcc, v21, v20
	s_and_saveexec_b64 s[36:37], vcc
	s_cbranch_execz .LBB1199_198
; %bb.192:
	s_add_u32 s14, s26, -1
	v_lshl_add_u64 v[18:19], v[18:19], 0, 2
	v_lshl_add_u64 v[20:21], v[16:17], 0, 2
	s_addc_u32 s15, s27, -1
	s_mov_b64 s[38:39], 0
	s_mov_b64 s[42:43], 0
                                        ; implicit-def: $sgpr40_sgpr41
	s_branch .LBB1199_195
.LBB1199_193:                           ;   in Loop: Header=BB1199_195 Depth=1
	global_load_ushort v22, v[18:19], off
	global_load_ushort v23, v[20:21], off
	s_add_u32 s42, s42, 1
	s_addc_u32 s43, s43, 0
	s_andn2_b64 s[40:41], s[40:41], exec
	v_lshl_add_u64 v[18:19], v[18:19], 0, 2
	v_lshl_add_u64 v[20:21], v[20:21], 0, 2
	s_waitcnt vmcnt(1)
	v_lshlrev_b32_e32 v22, 16, v22
	s_waitcnt vmcnt(0)
	v_lshlrev_b32_e32 v23, 16, v23
	v_cmp_neq_f32_e32 vcc, v23, v22
	s_and_b64 s[44:45], vcc, exec
	s_or_b64 s[40:41], s[40:41], s[44:45]
.LBB1199_194:                           ;   in Loop: Header=BB1199_195 Depth=1
	s_and_b64 s[44:45], exec, s[40:41]
	s_or_b64 s[38:39], s[44:45], s[38:39]
	v_mov_b64_e32 v[22:23], s[42:43]
	s_andn2_b64 exec, exec, s[38:39]
	s_cbranch_execz .LBB1199_197
.LBB1199_195:                           ; =>This Inner Loop Header: Depth=1
	s_or_b64 s[40:41], s[40:41], exec
	s_cmp_eq_u64 s[14:15], s[42:43]
	s_cbranch_scc0 .LBB1199_193
; %bb.196:                              ;   in Loop: Header=BB1199_195 Depth=1
                                        ; implicit-def: $vgpr18_vgpr19
                                        ; implicit-def: $vgpr20_vgpr21
	s_mov_b64 s[42:43], s[26:27]
	s_branch .LBB1199_194
.LBB1199_197:
	s_or_b64 exec, exec, s[38:39]
	v_cmp_gt_i64_e32 vcc, s[26:27], v[22:23]
	s_orn2_b64 s[14:15], vcc, exec
.LBB1199_198:
	s_or_b64 exec, exec, s[36:37]
.LBB1199_199:
	v_mul_lo_u32 v20, v7, s26
	v_mul_lo_u32 v21, v6, s27
	v_mad_u64_u32 v[18:19], s[36:37], v6, s26, 0
	v_add3_u32 v19, v19, v21, v20
	s_mov_b64 s[36:37], 0
	s_and_b64 vcc, exec, s[4:5]
	v_lshl_add_u64 v[18:19], v[18:19], 1, s[28:29]
	s_mov_b64 s[38:39], 0
	s_cbranch_vccnz .LBB1199_208
; %bb.200:
	global_load_ushort v20, v[16:17], off
	global_load_ushort v21, v[18:19], off
	s_mov_b64 s[38:39], -1
	s_waitcnt vmcnt(1)
	v_lshlrev_b32_e32 v20, 16, v20
	s_waitcnt vmcnt(0)
	v_lshlrev_b32_e32 v21, 16, v21
	v_cmp_eq_f32_e32 vcc, v21, v20
	s_and_saveexec_b64 s[40:41], vcc
	s_cbranch_execz .LBB1199_207
; %bb.201:
	s_add_u32 s38, s26, -1
	v_lshl_add_u64 v[16:17], v[16:17], 0, 2
	v_lshl_add_u64 v[20:21], v[18:19], 0, 2
	s_addc_u32 s39, s27, -1
	s_mov_b64 s[42:43], 0
	s_mov_b64 s[46:47], 0
                                        ; implicit-def: $sgpr44_sgpr45
	s_branch .LBB1199_204
.LBB1199_202:                           ;   in Loop: Header=BB1199_204 Depth=1
	global_load_ushort v22, v[16:17], off
	global_load_ushort v23, v[20:21], off
	s_add_u32 s46, s46, 1
	s_addc_u32 s47, s47, 0
	s_andn2_b64 s[44:45], s[44:45], exec
	v_lshl_add_u64 v[16:17], v[16:17], 0, 2
	v_lshl_add_u64 v[20:21], v[20:21], 0, 2
	s_waitcnt vmcnt(1)
	v_lshlrev_b32_e32 v22, 16, v22
	s_waitcnt vmcnt(0)
	v_lshlrev_b32_e32 v23, 16, v23
	v_cmp_neq_f32_e32 vcc, v23, v22
	s_and_b64 s[48:49], vcc, exec
	s_or_b64 s[44:45], s[44:45], s[48:49]
.LBB1199_203:                           ;   in Loop: Header=BB1199_204 Depth=1
	s_and_b64 s[48:49], exec, s[44:45]
	s_or_b64 s[42:43], s[48:49], s[42:43]
	v_mov_b64_e32 v[22:23], s[46:47]
	s_andn2_b64 exec, exec, s[42:43]
	s_cbranch_execz .LBB1199_206
.LBB1199_204:                           ; =>This Inner Loop Header: Depth=1
	s_or_b64 s[44:45], s[44:45], exec
	s_cmp_eq_u64 s[38:39], s[46:47]
	s_cbranch_scc0 .LBB1199_202
; %bb.205:                              ;   in Loop: Header=BB1199_204 Depth=1
                                        ; implicit-def: $vgpr16_vgpr17
                                        ; implicit-def: $vgpr20_vgpr21
	s_mov_b64 s[46:47], s[26:27]
	s_branch .LBB1199_203
.LBB1199_206:
	s_or_b64 exec, exec, s[42:43]
	v_cmp_gt_i64_e32 vcc, s[26:27], v[22:23]
	s_orn2_b64 s[38:39], vcc, exec
.LBB1199_207:
	s_or_b64 exec, exec, s[40:41]
.LBB1199_208:
	v_mul_lo_u32 v20, v13, s26
	v_mul_lo_u32 v21, v12, s27
	v_mad_u64_u32 v[16:17], s[40:41], v12, s26, 0
	v_add3_u32 v17, v17, v21, v20
	s_and_b64 vcc, exec, s[4:5]
	v_lshl_add_u64 v[16:17], v[16:17], 1, s[28:29]
	s_cbranch_vccnz .LBB1199_217
; %bb.209:
	global_load_ushort v20, v[18:19], off
	global_load_ushort v21, v[16:17], off
	s_mov_b64 s[36:37], -1
	s_waitcnt vmcnt(1)
	v_lshlrev_b32_e32 v20, 16, v20
	s_waitcnt vmcnt(0)
	v_lshlrev_b32_e32 v21, 16, v21
	v_cmp_eq_f32_e32 vcc, v21, v20
	s_and_saveexec_b64 s[40:41], vcc
	s_cbranch_execz .LBB1199_216
; %bb.210:
	s_add_u32 s36, s26, -1
	v_lshl_add_u64 v[18:19], v[18:19], 0, 2
	v_lshl_add_u64 v[20:21], v[16:17], 0, 2
	s_addc_u32 s37, s27, -1
	s_mov_b64 s[42:43], 0
	s_mov_b64 s[46:47], 0
                                        ; implicit-def: $sgpr44_sgpr45
	s_branch .LBB1199_213
.LBB1199_211:                           ;   in Loop: Header=BB1199_213 Depth=1
	global_load_ushort v22, v[18:19], off
	global_load_ushort v23, v[20:21], off
	s_add_u32 s46, s46, 1
	s_addc_u32 s47, s47, 0
	s_andn2_b64 s[44:45], s[44:45], exec
	v_lshl_add_u64 v[18:19], v[18:19], 0, 2
	v_lshl_add_u64 v[20:21], v[20:21], 0, 2
	s_waitcnt vmcnt(1)
	v_lshlrev_b32_e32 v22, 16, v22
	s_waitcnt vmcnt(0)
	v_lshlrev_b32_e32 v23, 16, v23
	v_cmp_neq_f32_e32 vcc, v23, v22
	s_and_b64 s[48:49], vcc, exec
	s_or_b64 s[44:45], s[44:45], s[48:49]
.LBB1199_212:                           ;   in Loop: Header=BB1199_213 Depth=1
	s_and_b64 s[48:49], exec, s[44:45]
	s_or_b64 s[42:43], s[48:49], s[42:43]
	v_mov_b64_e32 v[22:23], s[46:47]
	s_andn2_b64 exec, exec, s[42:43]
	s_cbranch_execz .LBB1199_215
.LBB1199_213:                           ; =>This Inner Loop Header: Depth=1
	s_or_b64 s[44:45], s[44:45], exec
	s_cmp_eq_u64 s[36:37], s[46:47]
	s_cbranch_scc0 .LBB1199_211
; %bb.214:                              ;   in Loop: Header=BB1199_213 Depth=1
                                        ; implicit-def: $vgpr18_vgpr19
                                        ; implicit-def: $vgpr20_vgpr21
	s_mov_b64 s[46:47], s[26:27]
	s_branch .LBB1199_212
.LBB1199_215:
	s_or_b64 exec, exec, s[42:43]
	v_cmp_gt_i64_e32 vcc, s[26:27], v[22:23]
	s_orn2_b64 s[36:37], vcc, exec
.LBB1199_216:
	s_or_b64 exec, exec, s[40:41]
.LBB1199_217:
	v_mul_lo_u32 v20, v11, s26
	v_mul_lo_u32 v21, v10, s27
	v_mad_u64_u32 v[18:19], s[40:41], v10, s26, 0
	v_add3_u32 v19, v19, v21, v20
	s_and_b64 vcc, exec, s[4:5]
	s_mov_b64 s[42:43], 0
	s_cbranch_vccnz .LBB1199_226
; %bb.218:
	v_lshl_add_u64 v[20:21], v[18:19], 1, s[28:29]
	global_load_ushort v22, v[16:17], off
	global_load_ushort v23, v[20:21], off
	s_mov_b64 s[42:43], -1
	s_waitcnt vmcnt(1)
	v_lshlrev_b32_e32 v22, 16, v22
	s_waitcnt vmcnt(0)
	v_lshlrev_b32_e32 v23, 16, v23
	v_cmp_eq_f32_e32 vcc, v23, v22
	s_and_saveexec_b64 s[40:41], vcc
	s_cbranch_execz .LBB1199_225
; %bb.219:
	s_add_u32 s42, s26, -1
	v_lshl_add_u64 v[16:17], v[16:17], 0, 2
	v_lshl_add_u64 v[20:21], v[20:21], 0, 2
	s_addc_u32 s43, s27, -1
	s_mov_b64 s[44:45], 0
	s_mov_b64 s[48:49], 0
                                        ; implicit-def: $sgpr46_sgpr47
	s_branch .LBB1199_222
.LBB1199_220:                           ;   in Loop: Header=BB1199_222 Depth=1
	global_load_ushort v22, v[16:17], off
	global_load_ushort v23, v[20:21], off
	s_add_u32 s48, s48, 1
	s_addc_u32 s49, s49, 0
	s_andn2_b64 s[46:47], s[46:47], exec
	v_lshl_add_u64 v[16:17], v[16:17], 0, 2
	v_lshl_add_u64 v[20:21], v[20:21], 0, 2
	s_waitcnt vmcnt(1)
	v_lshlrev_b32_e32 v22, 16, v22
	s_waitcnt vmcnt(0)
	v_lshlrev_b32_e32 v23, 16, v23
	v_cmp_neq_f32_e32 vcc, v23, v22
	s_and_b64 s[50:51], vcc, exec
	s_or_b64 s[46:47], s[46:47], s[50:51]
.LBB1199_221:                           ;   in Loop: Header=BB1199_222 Depth=1
	s_and_b64 s[50:51], exec, s[46:47]
	s_or_b64 s[44:45], s[50:51], s[44:45]
	v_mov_b64_e32 v[22:23], s[48:49]
	s_andn2_b64 exec, exec, s[44:45]
	s_cbranch_execz .LBB1199_224
.LBB1199_222:                           ; =>This Inner Loop Header: Depth=1
	s_or_b64 s[46:47], s[46:47], exec
	s_cmp_eq_u64 s[42:43], s[48:49]
	s_cbranch_scc0 .LBB1199_220
; %bb.223:                              ;   in Loop: Header=BB1199_222 Depth=1
                                        ; implicit-def: $vgpr16_vgpr17
                                        ; implicit-def: $vgpr20_vgpr21
	s_mov_b64 s[48:49], s[26:27]
	s_branch .LBB1199_221
.LBB1199_224:
	s_or_b64 exec, exec, s[44:45]
	v_cmp_gt_i64_e32 vcc, s[26:27], v[22:23]
	s_orn2_b64 s[42:43], vcc, exec
.LBB1199_225:
	s_or_b64 exec, exec, s[40:41]
.LBB1199_226:
	v_cndmask_b32_e64 v17, 0, 1, s[38:39]
	v_cndmask_b32_e64 v16, 0, 1, s[36:37]
	;; [unrolled: 1-line block ×3, first 2 shown]
	v_lshlrev_b16_e32 v17, 8, v17
	v_cndmask_b32_e64 v32, 0, 1, s[14:15]
	v_cndmask_b32_e64 v20, 0, 1, s[42:43]
	v_or_b32_sdwa v16, v16, v17 dst_sel:WORD_1 dst_unused:UNUSED_PAD src0_sel:DWORD src1_sel:DWORD
	v_lshlrev_b16_e32 v17, 8, v33
	v_lshlrev_b16_e32 v20, 8, v20
	v_or_b32_e32 v17, v32, v17
	v_or_b32_e32 v20, 1, v20
	v_and_b32_e32 v17, 0xffff, v17
	v_cndmask_b32_e64 v34, 0, 1, s[12:13]
	v_or_b32_sdwa v16, v20, v16 dst_sel:DWORD dst_unused:UNUSED_PAD src0_sel:WORD_0 src1_sel:DWORD
	v_lshl_or_b32 v17, v34, 16, v17
	v_cmp_ne_u32_e32 vcc, 0, v0
	s_waitcnt lgkmcnt(0)
	s_barrier
	s_waitcnt lgkmcnt(0)
                                        ; implicit-def: $sgpr18_sgpr19
                                        ; implicit-def: $vgpr20
	s_and_saveexec_b64 s[12:13], vcc
	s_xor_b64 s[12:13], exec, s[12:13]
	s_cbranch_execz .LBB1199_237
; %bb.227:
	s_mov_b32 s33, 0x3020104
	s_and_b64 vcc, exec, s[4:5]
	s_mov_b64 s[14:15], 0
	s_cbranch_vccnz .LBB1199_236
; %bb.228:
	v_add_u32_e32 v17, -8, v30
	ds_read_b64 v[20:21], v17
	v_lshl_add_u64 v[18:19], v[18:19], 1, s[28:29]
	s_mov_b64 s[14:15], -1
	s_waitcnt lgkmcnt(0)
	v_mul_lo_u32 v17, v21, s26
	v_mul_lo_u32 v22, v20, s27
	v_mad_u64_u32 v[20:21], s[4:5], v20, s26, 0
	v_add3_u32 v21, v21, v22, v17
	v_lshl_add_u64 v[20:21], v[20:21], 1, s[28:29]
	global_load_ushort v17, v[20:21], off
	global_load_ushort v22, v[18:19], off
	s_waitcnt vmcnt(1)
	v_lshlrev_b32_e32 v17, 16, v17
	s_waitcnt vmcnt(0)
	v_lshlrev_b32_e32 v22, 16, v22
	v_cmp_eq_f32_e32 vcc, v17, v22
	s_and_saveexec_b64 s[4:5], vcc
	s_cbranch_execz .LBB1199_235
; %bb.229:
	s_add_u32 s14, s26, -1
	v_lshl_add_u64 v[18:19], v[18:19], 0, 2
	v_lshl_add_u64 v[20:21], v[20:21], 0, 2
	s_addc_u32 s15, s27, -1
	s_mov_b64 s[18:19], 0
	s_mov_b64 s[38:39], 0
                                        ; implicit-def: $sgpr36_sgpr37
	s_branch .LBB1199_232
.LBB1199_230:                           ;   in Loop: Header=BB1199_232 Depth=1
	global_load_ushort v17, v[18:19], off
	global_load_ushort v22, v[20:21], off
	s_add_u32 s38, s38, 1
	s_addc_u32 s39, s39, 0
	s_andn2_b64 s[36:37], s[36:37], exec
	v_lshl_add_u64 v[18:19], v[18:19], 0, 2
	v_lshl_add_u64 v[20:21], v[20:21], 0, 2
	s_waitcnt vmcnt(1)
	v_lshlrev_b32_e32 v17, 16, v17
	s_waitcnt vmcnt(0)
	v_lshlrev_b32_e32 v22, 16, v22
	v_cmp_neq_f32_e32 vcc, v22, v17
	s_and_b64 s[40:41], vcc, exec
	s_or_b64 s[36:37], s[36:37], s[40:41]
.LBB1199_231:                           ;   in Loop: Header=BB1199_232 Depth=1
	s_and_b64 s[40:41], exec, s[36:37]
	s_or_b64 s[18:19], s[40:41], s[18:19]
	v_mov_b64_e32 v[22:23], s[38:39]
	s_andn2_b64 exec, exec, s[18:19]
	s_cbranch_execz .LBB1199_234
.LBB1199_232:                           ; =>This Inner Loop Header: Depth=1
	s_or_b64 s[36:37], s[36:37], exec
	s_cmp_eq_u64 s[14:15], s[38:39]
	s_cbranch_scc0 .LBB1199_230
; %bb.233:                              ;   in Loop: Header=BB1199_232 Depth=1
                                        ; implicit-def: $vgpr18_vgpr19
                                        ; implicit-def: $vgpr20_vgpr21
	s_mov_b64 s[38:39], s[26:27]
	s_branch .LBB1199_231
.LBB1199_234:
	s_or_b64 exec, exec, s[18:19]
	v_cmp_gt_i64_e32 vcc, s[26:27], v[22:23]
	s_orn2_b64 s[14:15], vcc, exec
.LBB1199_235:
	s_or_b64 exec, exec, s[4:5]
.LBB1199_236:
	v_perm_b32 v20, v16, v16, s33
	s_and_b64 s[18:19], s[14:15], exec
	s_or_b64 s[10:11], s[10:11], exec
                                        ; implicit-def: $vgpr16_vgpr17
.LBB1199_237:
	s_or_b64 exec, exec, s[12:13]
	s_branch .LBB1199_318
.LBB1199_238:
	v_cmp_gt_u32_e32 vcc, s3, v27
	s_mov_b64 s[12:13], 0
	s_mov_b64 s[4:5], 0
	s_and_saveexec_b64 s[14:15], vcc
	s_cbranch_execz .LBB1199_249
; %bb.239:
	s_andn2_b64 vcc, exec, s[6:7]
	s_mov_b64 s[18:19], 0
	s_cbranch_vccnz .LBB1199_248
; %bb.240:
	v_mul_lo_u32 v18, v5, s26
	v_mul_lo_u32 v19, v4, s27
	v_mad_u64_u32 v[16:17], s[4:5], v4, s26, 0
	v_add3_u32 v17, v17, v19, v18
	v_mul_lo_u32 v18, v15, s26
	v_mul_lo_u32 v19, v14, s27
	v_mad_u64_u32 v[20:21], s[4:5], v14, s26, 0
	v_add3_u32 v21, v21, v19, v18
	v_lshl_add_u64 v[18:19], v[16:17], 1, s[28:29]
	v_lshl_add_u64 v[16:17], v[20:21], 1, s[28:29]
	global_load_ushort v20, v[16:17], off
	global_load_ushort v21, v[18:19], off
	s_mov_b64 s[18:19], -1
	s_waitcnt vmcnt(1)
	v_lshlrev_b32_e32 v20, 16, v20
	s_waitcnt vmcnt(0)
	v_lshlrev_b32_e32 v21, 16, v21
	v_cmp_eq_f32_e32 vcc, v21, v20
	s_and_saveexec_b64 s[4:5], vcc
	s_cbranch_execz .LBB1199_247
; %bb.241:
	s_add_u32 s18, s26, -1
	v_lshl_add_u64 v[16:17], v[16:17], 0, 2
	v_lshl_add_u64 v[18:19], v[18:19], 0, 2
	s_addc_u32 s19, s27, -1
	s_mov_b64 s[36:37], 0
	s_mov_b64 s[40:41], 0
                                        ; implicit-def: $sgpr38_sgpr39
	s_branch .LBB1199_244
.LBB1199_242:                           ;   in Loop: Header=BB1199_244 Depth=1
	global_load_ushort v20, v[16:17], off
	global_load_ushort v21, v[18:19], off
	s_add_u32 s40, s40, 1
	s_addc_u32 s41, s41, 0
	s_andn2_b64 s[38:39], s[38:39], exec
	v_lshl_add_u64 v[16:17], v[16:17], 0, 2
	v_lshl_add_u64 v[18:19], v[18:19], 0, 2
	s_waitcnt vmcnt(1)
	v_lshlrev_b32_e32 v20, 16, v20
	s_waitcnt vmcnt(0)
	v_lshlrev_b32_e32 v21, 16, v21
	v_cmp_neq_f32_e32 vcc, v21, v20
	s_and_b64 s[42:43], vcc, exec
	s_or_b64 s[38:39], s[38:39], s[42:43]
.LBB1199_243:                           ;   in Loop: Header=BB1199_244 Depth=1
	s_and_b64 s[42:43], exec, s[38:39]
	s_or_b64 s[36:37], s[42:43], s[36:37]
	v_mov_b64_e32 v[20:21], s[40:41]
	s_andn2_b64 exec, exec, s[36:37]
	s_cbranch_execz .LBB1199_246
.LBB1199_244:                           ; =>This Inner Loop Header: Depth=1
	s_or_b64 s[38:39], s[38:39], exec
	s_cmp_eq_u64 s[18:19], s[40:41]
	s_cbranch_scc0 .LBB1199_242
; %bb.245:                              ;   in Loop: Header=BB1199_244 Depth=1
                                        ; implicit-def: $vgpr16_vgpr17
                                        ; implicit-def: $vgpr18_vgpr19
	s_mov_b64 s[40:41], s[26:27]
	s_branch .LBB1199_243
.LBB1199_246:
	s_or_b64 exec, exec, s[36:37]
	v_cmp_gt_i64_e32 vcc, s[26:27], v[20:21]
	s_orn2_b64 s[18:19], vcc, exec
.LBB1199_247:
	s_or_b64 exec, exec, s[4:5]
.LBB1199_248:
	s_and_b64 s[4:5], s[18:19], exec
.LBB1199_249:
	s_or_b64 exec, exec, s[14:15]
	v_cmp_gt_u32_e32 vcc, s3, v29
	s_and_saveexec_b64 s[14:15], vcc
	s_cbranch_execz .LBB1199_260
; %bb.250:
	s_andn2_b64 vcc, exec, s[6:7]
	s_mov_b64 s[18:19], 0
	s_cbranch_vccnz .LBB1199_259
; %bb.251:
	v_mul_lo_u32 v18, v3, s26
	v_mul_lo_u32 v19, v2, s27
	v_mad_u64_u32 v[16:17], s[12:13], v2, s26, 0
	v_add3_u32 v17, v17, v19, v18
	v_mul_lo_u32 v18, v5, s26
	v_mul_lo_u32 v19, v4, s27
	v_mad_u64_u32 v[20:21], s[12:13], v4, s26, 0
	v_add3_u32 v21, v21, v19, v18
	v_lshl_add_u64 v[18:19], v[16:17], 1, s[28:29]
	v_lshl_add_u64 v[16:17], v[20:21], 1, s[28:29]
	global_load_ushort v20, v[16:17], off
	global_load_ushort v21, v[18:19], off
	s_mov_b64 s[18:19], -1
	s_waitcnt vmcnt(1)
	v_lshlrev_b32_e32 v20, 16, v20
	s_waitcnt vmcnt(0)
	v_lshlrev_b32_e32 v21, 16, v21
	v_cmp_eq_f32_e32 vcc, v21, v20
	s_and_saveexec_b64 s[12:13], vcc
	s_cbranch_execz .LBB1199_258
; %bb.252:
	s_add_u32 s18, s26, -1
	v_lshl_add_u64 v[16:17], v[16:17], 0, 2
	v_lshl_add_u64 v[18:19], v[18:19], 0, 2
	s_addc_u32 s19, s27, -1
	s_mov_b64 s[36:37], 0
	s_mov_b64 s[40:41], 0
                                        ; implicit-def: $sgpr38_sgpr39
	s_branch .LBB1199_255
.LBB1199_253:                           ;   in Loop: Header=BB1199_255 Depth=1
	global_load_ushort v20, v[16:17], off
	global_load_ushort v21, v[18:19], off
	s_add_u32 s40, s40, 1
	s_addc_u32 s41, s41, 0
	s_andn2_b64 s[38:39], s[38:39], exec
	v_lshl_add_u64 v[16:17], v[16:17], 0, 2
	v_lshl_add_u64 v[18:19], v[18:19], 0, 2
	s_waitcnt vmcnt(1)
	v_lshlrev_b32_e32 v20, 16, v20
	s_waitcnt vmcnt(0)
	v_lshlrev_b32_e32 v21, 16, v21
	v_cmp_neq_f32_e32 vcc, v21, v20
	s_and_b64 s[42:43], vcc, exec
	s_or_b64 s[38:39], s[38:39], s[42:43]
.LBB1199_254:                           ;   in Loop: Header=BB1199_255 Depth=1
	s_and_b64 s[42:43], exec, s[38:39]
	s_or_b64 s[36:37], s[42:43], s[36:37]
	v_mov_b64_e32 v[20:21], s[40:41]
	s_andn2_b64 exec, exec, s[36:37]
	s_cbranch_execz .LBB1199_257
.LBB1199_255:                           ; =>This Inner Loop Header: Depth=1
	s_or_b64 s[38:39], s[38:39], exec
	s_cmp_eq_u64 s[18:19], s[40:41]
	s_cbranch_scc0 .LBB1199_253
; %bb.256:                              ;   in Loop: Header=BB1199_255 Depth=1
                                        ; implicit-def: $vgpr16_vgpr17
                                        ; implicit-def: $vgpr18_vgpr19
	s_mov_b64 s[40:41], s[26:27]
	s_branch .LBB1199_254
.LBB1199_257:
	s_or_b64 exec, exec, s[36:37]
	v_cmp_gt_i64_e32 vcc, s[26:27], v[20:21]
	s_orn2_b64 s[18:19], vcc, exec
.LBB1199_258:
	s_or_b64 exec, exec, s[12:13]
.LBB1199_259:
	s_and_b64 s[12:13], s[18:19], exec
.LBB1199_260:
	s_or_b64 exec, exec, s[14:15]
	v_cmp_gt_u32_e32 vcc, s3, v26
	s_mov_b64 s[18:19], 0
	s_mov_b64 s[14:15], 0
	s_and_saveexec_b64 s[36:37], vcc
	s_cbranch_execz .LBB1199_271
; %bb.261:
	s_andn2_b64 vcc, exec, s[6:7]
	s_mov_b64 s[38:39], 0
	s_cbranch_vccnz .LBB1199_270
; %bb.262:
	v_mul_lo_u32 v18, v9, s26
	v_mul_lo_u32 v19, v8, s27
	v_mad_u64_u32 v[16:17], s[14:15], v8, s26, 0
	v_add3_u32 v17, v17, v19, v18
	v_mul_lo_u32 v18, v3, s26
	v_mul_lo_u32 v19, v2, s27
	v_mad_u64_u32 v[20:21], s[14:15], v2, s26, 0
	v_add3_u32 v21, v21, v19, v18
	v_lshl_add_u64 v[18:19], v[16:17], 1, s[28:29]
	v_lshl_add_u64 v[16:17], v[20:21], 1, s[28:29]
	global_load_ushort v20, v[16:17], off
	global_load_ushort v21, v[18:19], off
	s_mov_b64 s[38:39], -1
	s_waitcnt vmcnt(1)
	v_lshlrev_b32_e32 v20, 16, v20
	s_waitcnt vmcnt(0)
	v_lshlrev_b32_e32 v21, 16, v21
	v_cmp_eq_f32_e32 vcc, v21, v20
	s_and_saveexec_b64 s[14:15], vcc
	s_cbranch_execz .LBB1199_269
; %bb.263:
	s_add_u32 s38, s26, -1
	v_lshl_add_u64 v[16:17], v[16:17], 0, 2
	v_lshl_add_u64 v[18:19], v[18:19], 0, 2
	s_addc_u32 s39, s27, -1
	s_mov_b64 s[40:41], 0
	s_mov_b64 s[44:45], 0
                                        ; implicit-def: $sgpr42_sgpr43
	s_branch .LBB1199_266
.LBB1199_264:                           ;   in Loop: Header=BB1199_266 Depth=1
	global_load_ushort v20, v[16:17], off
	global_load_ushort v21, v[18:19], off
	s_add_u32 s44, s44, 1
	s_addc_u32 s45, s45, 0
	s_andn2_b64 s[42:43], s[42:43], exec
	v_lshl_add_u64 v[16:17], v[16:17], 0, 2
	v_lshl_add_u64 v[18:19], v[18:19], 0, 2
	s_waitcnt vmcnt(1)
	v_lshlrev_b32_e32 v20, 16, v20
	s_waitcnt vmcnt(0)
	v_lshlrev_b32_e32 v21, 16, v21
	v_cmp_neq_f32_e32 vcc, v21, v20
	s_and_b64 s[46:47], vcc, exec
	s_or_b64 s[42:43], s[42:43], s[46:47]
.LBB1199_265:                           ;   in Loop: Header=BB1199_266 Depth=1
	s_and_b64 s[46:47], exec, s[42:43]
	s_or_b64 s[40:41], s[46:47], s[40:41]
	v_mov_b64_e32 v[20:21], s[44:45]
	s_andn2_b64 exec, exec, s[40:41]
	s_cbranch_execz .LBB1199_268
.LBB1199_266:                           ; =>This Inner Loop Header: Depth=1
	s_or_b64 s[42:43], s[42:43], exec
	s_cmp_eq_u64 s[38:39], s[44:45]
	s_cbranch_scc0 .LBB1199_264
; %bb.267:                              ;   in Loop: Header=BB1199_266 Depth=1
                                        ; implicit-def: $vgpr16_vgpr17
                                        ; implicit-def: $vgpr18_vgpr19
	s_mov_b64 s[44:45], s[26:27]
	s_branch .LBB1199_265
.LBB1199_268:
	s_or_b64 exec, exec, s[40:41]
	v_cmp_gt_i64_e32 vcc, s[26:27], v[20:21]
	s_orn2_b64 s[38:39], vcc, exec
.LBB1199_269:
	s_or_b64 exec, exec, s[14:15]
.LBB1199_270:
	s_and_b64 s[14:15], s[38:39], exec
.LBB1199_271:
	s_or_b64 exec, exec, s[36:37]
	v_cmp_gt_u32_e32 vcc, s3, v28
	s_and_saveexec_b64 s[36:37], vcc
	s_cbranch_execz .LBB1199_282
; %bb.272:
	s_andn2_b64 vcc, exec, s[6:7]
	s_mov_b64 s[38:39], 0
	s_cbranch_vccnz .LBB1199_281
; %bb.273:
	v_mul_lo_u32 v18, v7, s26
	v_mul_lo_u32 v19, v6, s27
	v_mad_u64_u32 v[16:17], s[18:19], v6, s26, 0
	v_add3_u32 v17, v17, v19, v18
	v_mul_lo_u32 v18, v9, s26
	v_mul_lo_u32 v19, v8, s27
	v_mad_u64_u32 v[20:21], s[18:19], v8, s26, 0
	v_add3_u32 v21, v21, v19, v18
	v_lshl_add_u64 v[18:19], v[16:17], 1, s[28:29]
	v_lshl_add_u64 v[16:17], v[20:21], 1, s[28:29]
	global_load_ushort v20, v[16:17], off
	global_load_ushort v21, v[18:19], off
	s_mov_b64 s[38:39], -1
	s_waitcnt vmcnt(1)
	v_lshlrev_b32_e32 v20, 16, v20
	s_waitcnt vmcnt(0)
	v_lshlrev_b32_e32 v21, 16, v21
	v_cmp_eq_f32_e32 vcc, v21, v20
	s_and_saveexec_b64 s[18:19], vcc
	s_cbranch_execz .LBB1199_280
; %bb.274:
	s_add_u32 s38, s26, -1
	v_lshl_add_u64 v[16:17], v[16:17], 0, 2
	v_lshl_add_u64 v[18:19], v[18:19], 0, 2
	s_addc_u32 s39, s27, -1
	s_mov_b64 s[40:41], 0
	s_mov_b64 s[44:45], 0
                                        ; implicit-def: $sgpr42_sgpr43
	s_branch .LBB1199_277
.LBB1199_275:                           ;   in Loop: Header=BB1199_277 Depth=1
	global_load_ushort v20, v[16:17], off
	global_load_ushort v21, v[18:19], off
	s_add_u32 s44, s44, 1
	s_addc_u32 s45, s45, 0
	s_andn2_b64 s[42:43], s[42:43], exec
	v_lshl_add_u64 v[16:17], v[16:17], 0, 2
	v_lshl_add_u64 v[18:19], v[18:19], 0, 2
	s_waitcnt vmcnt(1)
	v_lshlrev_b32_e32 v20, 16, v20
	s_waitcnt vmcnt(0)
	v_lshlrev_b32_e32 v21, 16, v21
	v_cmp_neq_f32_e32 vcc, v21, v20
	s_and_b64 s[46:47], vcc, exec
	s_or_b64 s[42:43], s[42:43], s[46:47]
.LBB1199_276:                           ;   in Loop: Header=BB1199_277 Depth=1
	s_and_b64 s[46:47], exec, s[42:43]
	s_or_b64 s[40:41], s[46:47], s[40:41]
	v_mov_b64_e32 v[20:21], s[44:45]
	s_andn2_b64 exec, exec, s[40:41]
	s_cbranch_execz .LBB1199_279
.LBB1199_277:                           ; =>This Inner Loop Header: Depth=1
	s_or_b64 s[42:43], s[42:43], exec
	s_cmp_eq_u64 s[38:39], s[44:45]
	s_cbranch_scc0 .LBB1199_275
; %bb.278:                              ;   in Loop: Header=BB1199_277 Depth=1
                                        ; implicit-def: $vgpr16_vgpr17
                                        ; implicit-def: $vgpr18_vgpr19
	s_mov_b64 s[44:45], s[26:27]
	s_branch .LBB1199_276
.LBB1199_279:
	s_or_b64 exec, exec, s[40:41]
	v_cmp_gt_i64_e32 vcc, s[26:27], v[20:21]
	s_orn2_b64 s[38:39], vcc, exec
.LBB1199_280:
	s_or_b64 exec, exec, s[18:19]
.LBB1199_281:
	s_and_b64 s[18:19], s[38:39], exec
.LBB1199_282:
	s_or_b64 exec, exec, s[36:37]
	v_cmp_gt_u32_e32 vcc, s3, v24
	s_mov_b64 s[36:37], 0
	s_mov_b64 s[38:39], 0
	s_and_saveexec_b64 s[40:41], vcc
	s_cbranch_execz .LBB1199_293
; %bb.283:
	s_andn2_b64 vcc, exec, s[6:7]
	s_mov_b64 s[42:43], 0
	s_cbranch_vccnz .LBB1199_292
; %bb.284:
	v_mul_lo_u32 v18, v13, s26
	v_mul_lo_u32 v19, v12, s27
	v_mad_u64_u32 v[16:17], s[38:39], v12, s26, 0
	v_add3_u32 v17, v17, v19, v18
	v_mul_lo_u32 v18, v7, s26
	v_mul_lo_u32 v19, v6, s27
	v_mad_u64_u32 v[20:21], s[38:39], v6, s26, 0
	v_add3_u32 v21, v21, v19, v18
	v_lshl_add_u64 v[18:19], v[16:17], 1, s[28:29]
	v_lshl_add_u64 v[16:17], v[20:21], 1, s[28:29]
	global_load_ushort v20, v[16:17], off
	global_load_ushort v21, v[18:19], off
	s_mov_b64 s[42:43], -1
	s_waitcnt vmcnt(1)
	v_lshlrev_b32_e32 v20, 16, v20
	s_waitcnt vmcnt(0)
	v_lshlrev_b32_e32 v21, 16, v21
	v_cmp_eq_f32_e32 vcc, v21, v20
	s_and_saveexec_b64 s[38:39], vcc
	s_cbranch_execz .LBB1199_291
; %bb.285:
	s_add_u32 s42, s26, -1
	v_lshl_add_u64 v[16:17], v[16:17], 0, 2
	v_lshl_add_u64 v[18:19], v[18:19], 0, 2
	s_addc_u32 s43, s27, -1
	s_mov_b64 s[44:45], 0
	s_mov_b64 s[48:49], 0
                                        ; implicit-def: $sgpr46_sgpr47
	s_branch .LBB1199_288
.LBB1199_286:                           ;   in Loop: Header=BB1199_288 Depth=1
	global_load_ushort v20, v[16:17], off
	global_load_ushort v21, v[18:19], off
	s_add_u32 s48, s48, 1
	s_addc_u32 s49, s49, 0
	s_andn2_b64 s[46:47], s[46:47], exec
	v_lshl_add_u64 v[16:17], v[16:17], 0, 2
	v_lshl_add_u64 v[18:19], v[18:19], 0, 2
	s_waitcnt vmcnt(1)
	v_lshlrev_b32_e32 v20, 16, v20
	s_waitcnt vmcnt(0)
	v_lshlrev_b32_e32 v21, 16, v21
	v_cmp_neq_f32_e32 vcc, v21, v20
	s_and_b64 s[50:51], vcc, exec
	s_or_b64 s[46:47], s[46:47], s[50:51]
.LBB1199_287:                           ;   in Loop: Header=BB1199_288 Depth=1
	s_and_b64 s[50:51], exec, s[46:47]
	s_or_b64 s[44:45], s[50:51], s[44:45]
	v_mov_b64_e32 v[20:21], s[48:49]
	s_andn2_b64 exec, exec, s[44:45]
	s_cbranch_execz .LBB1199_290
.LBB1199_288:                           ; =>This Inner Loop Header: Depth=1
	s_or_b64 s[46:47], s[46:47], exec
	s_cmp_eq_u64 s[42:43], s[48:49]
	s_cbranch_scc0 .LBB1199_286
; %bb.289:                              ;   in Loop: Header=BB1199_288 Depth=1
                                        ; implicit-def: $vgpr16_vgpr17
                                        ; implicit-def: $vgpr18_vgpr19
	s_mov_b64 s[48:49], s[26:27]
	s_branch .LBB1199_287
.LBB1199_290:
	s_or_b64 exec, exec, s[44:45]
	v_cmp_gt_i64_e32 vcc, s[26:27], v[20:21]
	s_orn2_b64 s[42:43], vcc, exec
.LBB1199_291:
	s_or_b64 exec, exec, s[38:39]
.LBB1199_292:
	s_and_b64 s[38:39], s[42:43], exec
.LBB1199_293:
	s_or_b64 exec, exec, s[40:41]
	v_cmp_gt_u32_e32 vcc, s3, v25
	s_and_saveexec_b64 s[40:41], vcc
	s_cbranch_execz .LBB1199_304
; %bb.294:
	s_andn2_b64 vcc, exec, s[6:7]
	s_mov_b64 s[42:43], 0
	s_cbranch_vccnz .LBB1199_303
; %bb.295:
	v_mul_lo_u32 v18, v11, s26
	v_mul_lo_u32 v19, v10, s27
	v_mad_u64_u32 v[16:17], s[36:37], v10, s26, 0
	v_add3_u32 v17, v17, v19, v18
	v_mul_lo_u32 v18, v13, s26
	v_mul_lo_u32 v19, v12, s27
	v_mad_u64_u32 v[20:21], s[36:37], v12, s26, 0
	v_add3_u32 v21, v21, v19, v18
	v_lshl_add_u64 v[18:19], v[16:17], 1, s[28:29]
	v_lshl_add_u64 v[16:17], v[20:21], 1, s[28:29]
	global_load_ushort v20, v[16:17], off
	global_load_ushort v21, v[18:19], off
	s_mov_b64 s[42:43], -1
	s_waitcnt vmcnt(1)
	v_lshlrev_b32_e32 v20, 16, v20
	s_waitcnt vmcnt(0)
	v_lshlrev_b32_e32 v21, 16, v21
	v_cmp_eq_f32_e32 vcc, v21, v20
	s_and_saveexec_b64 s[36:37], vcc
	s_cbranch_execz .LBB1199_302
; %bb.296:
	s_add_u32 s42, s26, -1
	v_lshl_add_u64 v[16:17], v[16:17], 0, 2
	v_lshl_add_u64 v[18:19], v[18:19], 0, 2
	s_addc_u32 s43, s27, -1
	s_mov_b64 s[44:45], 0
	s_mov_b64 s[48:49], 0
                                        ; implicit-def: $sgpr46_sgpr47
	s_branch .LBB1199_299
.LBB1199_297:                           ;   in Loop: Header=BB1199_299 Depth=1
	global_load_ushort v20, v[16:17], off
	global_load_ushort v21, v[18:19], off
	s_add_u32 s48, s48, 1
	s_addc_u32 s49, s49, 0
	s_andn2_b64 s[46:47], s[46:47], exec
	v_lshl_add_u64 v[16:17], v[16:17], 0, 2
	v_lshl_add_u64 v[18:19], v[18:19], 0, 2
	s_waitcnt vmcnt(1)
	v_lshlrev_b32_e32 v20, 16, v20
	s_waitcnt vmcnt(0)
	v_lshlrev_b32_e32 v21, 16, v21
	v_cmp_neq_f32_e32 vcc, v21, v20
	s_and_b64 s[50:51], vcc, exec
	s_or_b64 s[46:47], s[46:47], s[50:51]
.LBB1199_298:                           ;   in Loop: Header=BB1199_299 Depth=1
	s_and_b64 s[50:51], exec, s[46:47]
	s_or_b64 s[44:45], s[50:51], s[44:45]
	v_mov_b64_e32 v[20:21], s[48:49]
	s_andn2_b64 exec, exec, s[44:45]
	s_cbranch_execz .LBB1199_301
.LBB1199_299:                           ; =>This Inner Loop Header: Depth=1
	s_or_b64 s[46:47], s[46:47], exec
	s_cmp_eq_u64 s[42:43], s[48:49]
	s_cbranch_scc0 .LBB1199_297
; %bb.300:                              ;   in Loop: Header=BB1199_299 Depth=1
                                        ; implicit-def: $vgpr16_vgpr17
                                        ; implicit-def: $vgpr18_vgpr19
	s_mov_b64 s[48:49], s[26:27]
	s_branch .LBB1199_298
.LBB1199_301:
	s_or_b64 exec, exec, s[44:45]
	v_cmp_gt_i64_e32 vcc, s[26:27], v[20:21]
	s_orn2_b64 s[42:43], vcc, exec
.LBB1199_302:
	s_or_b64 exec, exec, s[36:37]
.LBB1199_303:
	s_and_b64 s[36:37], s[42:43], exec
.LBB1199_304:
	s_or_b64 exec, exec, s[40:41]
	v_cndmask_b32_e64 v17, 0, 1, s[18:19]
	v_cndmask_b32_e64 v16, 0, 1, s[38:39]
	;; [unrolled: 1-line block ×3, first 2 shown]
	v_lshlrev_b16_e32 v17, 8, v17
	v_cndmask_b32_e64 v32, 0, 1, s[14:15]
	v_cndmask_b32_e64 v18, 0, 1, s[36:37]
	v_or_b32_sdwa v16, v16, v17 dst_sel:WORD_1 dst_unused:UNUSED_PAD src0_sel:DWORD src1_sel:DWORD
	v_lshlrev_b16_e32 v17, 8, v33
	v_lshlrev_b16_e32 v18, 8, v18
	v_or_b32_e32 v17, v32, v17
	v_or_b32_e32 v18, 1, v18
	v_and_b32_e32 v17, 0xffff, v17
	v_cndmask_b32_e64 v34, 0, 1, s[4:5]
	v_or_b32_sdwa v16, v18, v16 dst_sel:DWORD dst_unused:UNUSED_PAD src0_sel:WORD_0 src1_sel:DWORD
	v_lshl_or_b32 v17, v34, 16, v17
	v_cmp_ne_u32_e32 vcc, 0, v0
	s_waitcnt lgkmcnt(0)
	s_barrier
	s_waitcnt lgkmcnt(0)
                                        ; implicit-def: $sgpr18_sgpr19
                                        ; implicit-def: $vgpr20
	s_and_saveexec_b64 s[4:5], vcc
	s_cbranch_execz .LBB1199_317
; %bb.305:
	v_cmp_gt_u32_e32 vcc, s3, v1
	s_mov_b32 s33, 0x3020104
	s_mov_b64 s[14:15], 0
	s_and_saveexec_b64 s[12:13], vcc
	s_cbranch_execz .LBB1199_316
; %bb.306:
	s_andn2_b64 vcc, exec, s[6:7]
	s_cbranch_vccnz .LBB1199_315
; %bb.307:
	v_add_u32_e32 v17, -8, v30
	ds_read_b64 v[18:19], v17
	v_mul_lo_u32 v17, v11, s26
	v_mad_u64_u32 v[22:23], s[6:7], v10, s26, 0
	s_mov_b64 s[14:15], -1
	s_waitcnt lgkmcnt(0)
	v_mul_lo_u32 v20, v19, s26
	v_mul_lo_u32 v21, v18, s27
	v_mad_u64_u32 v[18:19], s[6:7], v18, s26, 0
	v_add3_u32 v19, v19, v21, v20
	v_mul_lo_u32 v20, v10, s27
	v_add3_u32 v23, v23, v20, v17
	v_lshl_add_u64 v[20:21], v[18:19], 1, s[28:29]
	v_lshl_add_u64 v[18:19], v[22:23], 1, s[28:29]
	global_load_ushort v17, v[18:19], off
	global_load_ushort v22, v[20:21], off
	s_waitcnt vmcnt(1)
	v_lshlrev_b32_e32 v17, 16, v17
	s_waitcnt vmcnt(0)
	v_lshlrev_b32_e32 v22, 16, v22
	v_cmp_eq_f32_e32 vcc, v22, v17
	s_and_saveexec_b64 s[6:7], vcc
	s_cbranch_execz .LBB1199_314
; %bb.308:
	s_add_u32 s14, s26, -1
	v_lshl_add_u64 v[18:19], v[18:19], 0, 2
	v_lshl_add_u64 v[20:21], v[20:21], 0, 2
	s_addc_u32 s15, s27, -1
	s_mov_b64 s[18:19], 0
	s_mov_b64 s[36:37], 0
                                        ; implicit-def: $sgpr28_sgpr29
	s_branch .LBB1199_311
.LBB1199_309:                           ;   in Loop: Header=BB1199_311 Depth=1
	global_load_ushort v17, v[18:19], off
	global_load_ushort v22, v[20:21], off
	s_add_u32 s36, s36, 1
	s_addc_u32 s37, s37, 0
	s_andn2_b64 s[28:29], s[28:29], exec
	v_lshl_add_u64 v[18:19], v[18:19], 0, 2
	v_lshl_add_u64 v[20:21], v[20:21], 0, 2
	s_waitcnt vmcnt(1)
	v_lshlrev_b32_e32 v17, 16, v17
	s_waitcnt vmcnt(0)
	v_lshlrev_b32_e32 v22, 16, v22
	v_cmp_neq_f32_e32 vcc, v22, v17
	s_and_b64 s[38:39], vcc, exec
	s_or_b64 s[28:29], s[28:29], s[38:39]
.LBB1199_310:                           ;   in Loop: Header=BB1199_311 Depth=1
	s_and_b64 s[38:39], exec, s[28:29]
	s_or_b64 s[18:19], s[38:39], s[18:19]
	v_mov_b64_e32 v[22:23], s[36:37]
	s_andn2_b64 exec, exec, s[18:19]
	s_cbranch_execz .LBB1199_313
.LBB1199_311:                           ; =>This Inner Loop Header: Depth=1
	s_or_b64 s[28:29], s[28:29], exec
	s_cmp_eq_u64 s[14:15], s[36:37]
	s_cbranch_scc0 .LBB1199_309
; %bb.312:                              ;   in Loop: Header=BB1199_311 Depth=1
                                        ; implicit-def: $vgpr18_vgpr19
                                        ; implicit-def: $vgpr20_vgpr21
	s_mov_b64 s[36:37], s[26:27]
	s_branch .LBB1199_310
.LBB1199_313:
	s_or_b64 exec, exec, s[18:19]
	v_cmp_gt_i64_e32 vcc, s[26:27], v[22:23]
	s_orn2_b64 s[14:15], vcc, exec
.LBB1199_314:
	s_or_b64 exec, exec, s[6:7]
.LBB1199_315:
	s_and_b64 s[14:15], s[14:15], exec
.LBB1199_316:
	s_or_b64 exec, exec, s[12:13]
	v_perm_b32 v20, v16, v16, s33
	s_and_b64 s[18:19], s[14:15], exec
	s_or_b64 s[10:11], s[10:11], exec
                                        ; implicit-def: $vgpr16_vgpr17
.LBB1199_317:
	s_or_b64 exec, exec, s[4:5]
.LBB1199_318:
	s_and_saveexec_b64 s[4:5], s[10:11]
	s_cbranch_execz .LBB1199_320
; %bb.319:
	s_waitcnt lgkmcnt(0)
	v_lshlrev_b16_e32 v17, 8, v33
	v_and_b32_e32 v18, 0xff, v34
	v_or_b32_sdwa v17, v32, v17 dst_sel:DWORD dst_unused:UNUSED_PAD src0_sel:BYTE_0 src1_sel:DWORD
	v_lshlrev_b32_e32 v18, 16, v18
	s_movk_i32 s6, 0xff
	v_or_b32_sdwa v17, v17, v18 dst_sel:DWORD dst_unused:UNUSED_PAD src0_sel:WORD_0 src1_sel:DWORD
	v_lshrrev_b32_e32 v18, 24, v20
	v_lshlrev_b16_e32 v18, 8, v18
	v_and_b32_sdwa v19, v20, s6 dst_sel:DWORD dst_unused:UNUSED_PAD src0_sel:WORD_1 src1_sel:DWORD
	v_or_b32_sdwa v18, v19, v18 dst_sel:WORD_1 dst_unused:UNUSED_PAD src0_sel:DWORD src1_sel:DWORD
	v_mov_b32_e32 v19, 8
	v_cndmask_b32_e64 v16, 0, 1, s[18:19]
	v_lshrrev_b32_sdwa v19, v19, v20 dst_sel:BYTE_1 dst_unused:UNUSED_PAD src0_sel:DWORD src1_sel:DWORD
	s_nop 0
	v_or_b32_e32 v16, v16, v19
	v_or_b32_sdwa v16, v16, v18 dst_sel:DWORD dst_unused:UNUSED_PAD src0_sel:WORD_0 src1_sel:DWORD
.LBB1199_320:
	s_or_b64 exec, exec, s[4:5]
	s_andn2_b64 vcc, exec, s[8:9]
	s_cbranch_vccnz .LBB1199_322
; %bb.321:
	s_waitcnt lgkmcnt(0)
	v_and_b32_e32 v18, 0xffff0000, v16
	v_cmp_gt_u32_e32 vcc, s3, v1
	s_mov_b32 s4, 0x40c0100
	s_nop 0
	v_cndmask_b32_e32 v1, v18, v16, vcc
	v_and_b32_e32 v1, 0xffff00ff, v1
	v_cmp_gt_u32_e32 vcc, s3, v25
	s_nop 1
	v_cndmask_b32_e32 v1, v1, v16, vcc
	v_lshrrev_b32_e32 v18, 24, v1
	v_perm_b32 v1, v18, v1, s4
	v_cmp_gt_u32_e32 vcc, s3, v24
	v_and_b32_e32 v18, 0xffffff00, v17
	s_nop 0
	v_cndmask_b32_e32 v1, v1, v16, vcc
	v_and_b32_e32 v1, 0xffffff, v1
	v_cmp_gt_u32_e32 vcc, s3, v28
	s_nop 1
	v_cndmask_b32_e32 v1, v1, v16, vcc
	v_cmp_gt_u32_e32 vcc, s3, v26
	s_nop 1
	v_cndmask_b32_e32 v18, v18, v17, vcc
	v_and_b32_e32 v18, 0xffff00ff, v18
	v_cndmask_b32_e32 v1, v1, v16, vcc
	v_cmp_gt_u32_e32 vcc, s3, v29
	s_nop 1
	v_cndmask_b32_e32 v18, v18, v17, vcc
	v_lshrrev_b32_e32 v19, 24, v18
	v_cndmask_b32_e32 v1, v1, v16, vcc
	v_perm_b32 v18, v19, v18, s4
	v_cmp_gt_u32_e32 vcc, s3, v27
	s_mov_b32 s3, 0x3020104
	s_nop 0
	v_cndmask_b32_e32 v1, v1, v16, vcc
	v_cndmask_b32_e32 v16, v18, v17, vcc
	v_mov_b32_e32 v17, 8
	v_lshrrev_b32_sdwa v17, v17, v16 dst_sel:BYTE_1 dst_unused:UNUSED_PAD src0_sel:DWORD src1_sel:DWORD
	s_nop 0
	v_or_b32_sdwa v17, v16, v17 dst_sel:DWORD dst_unused:UNUSED_PAD src0_sel:BYTE_0 src1_sel:DWORD
	v_and_b32_e32 v17, 0xffff, v17
	v_bfe_u32 v16, v16, 16, 8
	v_lshl_or_b32 v17, v16, 16, v17
	v_perm_b32 v16, v1, v1, s3
.LBB1199_322:
	s_waitcnt lgkmcnt(0)
	v_and_b32_e32 v1, 0xff, v16
	v_bfe_u32 v29, v16, 8, 8
	v_bfe_u32 v31, v16, 16, 8
	v_alignbit_b32 v18, v17, v16, 24
	v_and_b32_e32 v33, 0xff, v18
	v_and_b32_e32 v35, 0xff, v17
	v_add3_u32 v19, v29, v1, v31
	v_bfe_u32 v36, v17, 8, 8
	v_bfe_u32 v18, v17, 16, 8
	v_add3_u32 v19, v19, v33, v35
	v_add3_u32 v39, v19, v36, v18
	v_mbcnt_lo_u32_b32 v18, -1, 0
	v_mbcnt_hi_u32_b32 v37, -1, v18
	v_and_b32_e32 v18, 15, v37
	v_cmp_eq_u32_e64 s[14:15], 0, v18
	v_cmp_lt_u32_e64 s[12:13], 1, v18
	v_cmp_lt_u32_e64 s[10:11], 3, v18
	;; [unrolled: 1-line block ×3, first 2 shown]
	v_and_b32_e32 v18, 16, v37
	v_cmp_eq_u32_e64 s[6:7], 0, v18
	v_or_b32_e32 v18, 63, v0
	v_cmp_lt_u32_e64 s[18:19], 31, v37
	v_lshrrev_b32_e32 v38, 6, v0
	v_cmp_eq_u32_e64 s[4:5], v18, v0
	s_and_b64 vcc, exec, s[16:17]
	s_barrier
	s_cbranch_vccz .LBB1199_353
; %bb.323:
	v_mov_b32_dpp v18, v39 row_shr:1 row_mask:0xf bank_mask:0xf
	v_cndmask_b32_e64 v18, v18, 0, s[14:15]
	v_add_u32_e32 v18, v18, v39
	s_nop 1
	v_mov_b32_dpp v19, v18 row_shr:2 row_mask:0xf bank_mask:0xf
	v_cndmask_b32_e64 v19, 0, v19, s[12:13]
	v_add_u32_e32 v18, v18, v19
	s_nop 1
	;; [unrolled: 4-line block ×4, first 2 shown]
	v_mov_b32_dpp v19, v18 row_bcast:15 row_mask:0xf bank_mask:0xf
	v_cndmask_b32_e64 v19, v19, 0, s[6:7]
	v_add_u32_e32 v18, v18, v19
	s_nop 1
	v_mov_b32_dpp v19, v18 row_bcast:31 row_mask:0xf bank_mask:0xf
	v_cndmask_b32_e64 v19, 0, v19, s[18:19]
	v_add_u32_e32 v18, v18, v19
	s_and_saveexec_b64 s[16:17], s[4:5]
	s_cbranch_execz .LBB1199_325
; %bb.324:
	v_lshlrev_b32_e32 v19, 2, v38
	ds_write_b32 v19, v18
.LBB1199_325:
	s_or_b64 exec, exec, s[16:17]
	v_cmp_gt_u32_e32 vcc, 8, v0
	s_waitcnt lgkmcnt(0)
	s_barrier
	s_and_saveexec_b64 s[16:17], vcc
	s_cbranch_execz .LBB1199_327
; %bb.326:
	v_lshlrev_b32_e32 v19, 2, v0
	ds_read_b32 v20, v19
	v_and_b32_e32 v21, 7, v37
	v_cmp_ne_u32_e32 vcc, 0, v21
	s_waitcnt lgkmcnt(0)
	v_mov_b32_dpp v22, v20 row_shr:1 row_mask:0xf bank_mask:0xf
	v_cndmask_b32_e32 v22, 0, v22, vcc
	v_add_u32_e32 v20, v22, v20
	v_cmp_lt_u32_e32 vcc, 1, v21
	s_nop 0
	v_mov_b32_dpp v22, v20 row_shr:2 row_mask:0xf bank_mask:0xf
	v_cndmask_b32_e32 v22, 0, v22, vcc
	v_add_u32_e32 v20, v20, v22
	v_cmp_lt_u32_e32 vcc, 3, v21
	s_nop 0
	v_mov_b32_dpp v22, v20 row_shr:4 row_mask:0xf bank_mask:0xf
	v_cndmask_b32_e32 v21, 0, v22, vcc
	v_add_u32_e32 v20, v20, v21
	ds_write_b32 v19, v20
.LBB1199_327:
	s_or_b64 exec, exec, s[16:17]
	v_cmp_gt_u32_e32 vcc, 64, v0
	v_cmp_lt_u32_e64 s[16:17], 63, v0
	s_waitcnt lgkmcnt(0)
	s_barrier
	s_waitcnt lgkmcnt(0)
                                        ; implicit-def: $vgpr28
	s_and_saveexec_b64 s[26:27], s[16:17]
	s_cbranch_execz .LBB1199_329
; %bb.328:
	v_lshl_add_u32 v19, v38, 2, -4
	ds_read_b32 v28, v19
	s_waitcnt lgkmcnt(0)
	v_add_u32_e32 v18, v28, v18
.LBB1199_329:
	s_or_b64 exec, exec, s[26:27]
	v_add_u32_e32 v19, -1, v37
	v_and_b32_e32 v20, 64, v37
	v_cmp_lt_i32_e64 s[16:17], v19, v20
	s_nop 1
	v_cndmask_b32_e64 v19, v19, v37, s[16:17]
	v_lshlrev_b32_e32 v19, 2, v19
	ds_bpermute_b32 v30, v19, v18
	v_cmp_eq_u32_e64 s[16:17], 0, v37
	s_and_saveexec_b64 s[26:27], vcc
	s_cbranch_execz .LBB1199_352
; %bb.330:
	v_mov_b32_e32 v27, 0
	ds_read_b32 v18, v27 offset:28
	s_and_saveexec_b64 s[28:29], s[16:17]
	s_cbranch_execz .LBB1199_332
; %bb.331:
	s_add_i32 s36, s2, 64
	s_mov_b32 s37, 0
	s_lshl_b64 s[36:37], s[36:37], 3
	s_add_u32 s36, s30, s36
	v_mov_b32_e32 v19, 1
	s_addc_u32 s37, s31, s37
	s_waitcnt lgkmcnt(0)
	global_store_dwordx2 v27, v[18:19], s[36:37] sc1
.LBB1199_332:
	s_or_b64 exec, exec, s[28:29]
	v_xad_u32 v20, v37, -1, s2
	v_add_u32_e32 v26, 64, v20
	v_lshl_add_u64 v[22:23], v[26:27], 3, s[30:31]
	global_load_dwordx2 v[24:25], v[22:23], off sc1
	s_waitcnt vmcnt(0)
	v_cmp_eq_u16_sdwa s[36:37], v25, v27 src0_sel:BYTE_0 src1_sel:DWORD
	s_and_saveexec_b64 s[28:29], s[36:37]
	s_cbranch_execz .LBB1199_338
; %bb.333:
	s_mov_b32 s3, 1
	s_mov_b64 s[36:37], 0
	v_mov_b32_e32 v19, 0
.LBB1199_334:                           ; =>This Loop Header: Depth=1
                                        ;     Child Loop BB1199_335 Depth 2
	s_max_u32 s33, s3, 1
.LBB1199_335:                           ;   Parent Loop BB1199_334 Depth=1
                                        ; =>  This Inner Loop Header: Depth=2
	s_add_i32 s33, s33, -1
	s_cmp_eq_u32 s33, 0
	s_sleep 1
	s_cbranch_scc0 .LBB1199_335
; %bb.336:                              ;   in Loop: Header=BB1199_334 Depth=1
	global_load_dwordx2 v[24:25], v[22:23], off sc1
	s_cmp_lt_u32 s3, 32
	s_cselect_b64 s[38:39], -1, 0
	s_cmp_lg_u64 s[38:39], 0
	s_addc_u32 s3, s3, 0
	s_waitcnt vmcnt(0)
	v_cmp_ne_u16_sdwa s[38:39], v25, v19 src0_sel:BYTE_0 src1_sel:DWORD
	s_or_b64 s[36:37], s[38:39], s[36:37]
	s_andn2_b64 exec, exec, s[36:37]
	s_cbranch_execnz .LBB1199_334
; %bb.337:
	s_or_b64 exec, exec, s[36:37]
.LBB1199_338:
	s_or_b64 exec, exec, s[28:29]
	v_and_b32_e32 v32, 63, v37
	v_mov_b32_e32 v19, 2
	v_cmp_ne_u32_e32 vcc, 63, v32
	v_cmp_eq_u16_sdwa s[28:29], v25, v19 src0_sel:BYTE_0 src1_sel:DWORD
	v_lshlrev_b64 v[22:23], v37, -1
	v_addc_co_u32_e32 v27, vcc, 0, v37, vcc
	v_and_b32_e32 v21, s29, v23
	v_lshlrev_b32_e32 v34, 2, v27
	v_or_b32_e32 v21, 0x80000000, v21
	ds_bpermute_b32 v27, v34, v24
	v_and_b32_e32 v26, s28, v22
	v_ffbl_b32_e32 v21, v21
	v_add_u32_e32 v21, 32, v21
	v_ffbl_b32_e32 v26, v26
	v_min_u32_e32 v21, v26, v21
	v_cmp_lt_u32_e32 vcc, v32, v21
	v_add_u32_e32 v41, 2, v32
	v_add_u32_e32 v43, 4, v32
	s_waitcnt lgkmcnt(0)
	v_cndmask_b32_e32 v26, 0, v27, vcc
	v_cmp_gt_u32_e32 vcc, 62, v32
	v_add_u32_e32 v24, v26, v24
	v_add_u32_e32 v45, 8, v32
	v_cndmask_b32_e64 v26, 0, 1, vcc
	v_lshlrev_b32_e32 v26, 1, v26
	v_add_lshl_u32 v40, v26, v37, 2
	ds_bpermute_b32 v26, v40, v24
	v_cmp_le_u32_e32 vcc, v41, v21
	v_add_u32_e32 v48, 16, v32
	v_add_u32_e32 v50, 32, v32
	s_waitcnt lgkmcnt(0)
	v_cndmask_b32_e32 v26, 0, v26, vcc
	v_cmp_gt_u32_e32 vcc, 60, v32
	v_add_u32_e32 v24, v24, v26
	s_nop 0
	v_cndmask_b32_e64 v26, 0, 1, vcc
	v_lshlrev_b32_e32 v26, 2, v26
	v_add_lshl_u32 v42, v26, v37, 2
	ds_bpermute_b32 v26, v42, v24
	v_cmp_le_u32_e32 vcc, v43, v21
	s_waitcnt lgkmcnt(0)
	s_nop 0
	v_cndmask_b32_e32 v26, 0, v26, vcc
	v_cmp_gt_u32_e32 vcc, 56, v32
	v_add_u32_e32 v24, v24, v26
	s_nop 0
	v_cndmask_b32_e64 v26, 0, 1, vcc
	v_lshlrev_b32_e32 v26, 3, v26
	v_add_lshl_u32 v44, v26, v37, 2
	ds_bpermute_b32 v26, v44, v24
	v_cmp_le_u32_e32 vcc, v45, v21
	s_waitcnt lgkmcnt(0)
	s_nop 0
	;; [unrolled: 11-line block ×4, first 2 shown]
	v_cndmask_b32_e32 v21, 0, v26, vcc
	v_add_u32_e32 v24, v24, v21
	v_mov_b32_e32 v21, 0
	s_branch .LBB1199_340
.LBB1199_339:                           ;   in Loop: Header=BB1199_340 Depth=1
	s_or_b64 exec, exec, s[28:29]
	v_cmp_eq_u16_sdwa s[28:29], v25, v19 src0_sel:BYTE_0 src1_sel:DWORD
	ds_bpermute_b32 v51, v34, v24
	v_subrev_u32_e32 v20, 64, v20
	v_and_b32_e32 v26, s29, v23
	v_or_b32_e32 v26, 0x80000000, v26
	v_and_b32_e32 v27, s28, v22
	v_ffbl_b32_e32 v26, v26
	v_add_u32_e32 v26, 32, v26
	v_ffbl_b32_e32 v27, v27
	v_min_u32_e32 v26, v27, v26
	v_cmp_lt_u32_e32 vcc, v32, v26
	s_waitcnt lgkmcnt(0)
	s_nop 0
	v_cndmask_b32_e32 v27, 0, v51, vcc
	v_add_u32_e32 v24, v27, v24
	ds_bpermute_b32 v27, v40, v24
	v_cmp_le_u32_e32 vcc, v41, v26
	s_waitcnt lgkmcnt(0)
	s_nop 0
	v_cndmask_b32_e32 v27, 0, v27, vcc
	v_add_u32_e32 v24, v24, v27
	ds_bpermute_b32 v27, v42, v24
	v_cmp_le_u32_e32 vcc, v43, v26
	;; [unrolled: 6-line block ×5, first 2 shown]
	s_waitcnt lgkmcnt(0)
	s_nop 0
	v_cndmask_b32_e32 v26, 0, v27, vcc
	v_add3_u32 v24, v26, v46, v24
.LBB1199_340:                           ; =>This Loop Header: Depth=1
                                        ;     Child Loop BB1199_343 Depth 2
                                        ;       Child Loop BB1199_344 Depth 3
	v_cmp_ne_u16_sdwa s[28:29], v25, v19 src0_sel:BYTE_0 src1_sel:DWORD
	v_mov_b32_e32 v46, v24
	s_nop 0
	v_cndmask_b32_e64 v25, 0, 1, s[28:29]
	;;#ASMSTART
	;;#ASMEND
	s_nop 0
	v_cmp_ne_u32_e32 vcc, 0, v25
	s_cmp_lg_u64 vcc, exec
	s_cbranch_scc1 .LBB1199_347
; %bb.341:                              ;   in Loop: Header=BB1199_340 Depth=1
	v_lshl_add_u64 v[26:27], v[20:21], 3, s[30:31]
	global_load_dwordx2 v[24:25], v[26:27], off sc1
	s_waitcnt vmcnt(0)
	v_cmp_eq_u16_sdwa s[36:37], v25, v21 src0_sel:BYTE_0 src1_sel:DWORD
	s_and_saveexec_b64 s[28:29], s[36:37]
	s_cbranch_execz .LBB1199_339
; %bb.342:                              ;   in Loop: Header=BB1199_340 Depth=1
	s_mov_b32 s3, 1
	s_mov_b64 s[36:37], 0
.LBB1199_343:                           ;   Parent Loop BB1199_340 Depth=1
                                        ; =>  This Loop Header: Depth=2
                                        ;       Child Loop BB1199_344 Depth 3
	s_max_u32 s33, s3, 1
.LBB1199_344:                           ;   Parent Loop BB1199_340 Depth=1
                                        ;     Parent Loop BB1199_343 Depth=2
                                        ; =>    This Inner Loop Header: Depth=3
	s_add_i32 s33, s33, -1
	s_cmp_eq_u32 s33, 0
	s_sleep 1
	s_cbranch_scc0 .LBB1199_344
; %bb.345:                              ;   in Loop: Header=BB1199_343 Depth=2
	global_load_dwordx2 v[24:25], v[26:27], off sc1
	s_cmp_lt_u32 s3, 32
	s_cselect_b64 s[38:39], -1, 0
	s_cmp_lg_u64 s[38:39], 0
	s_addc_u32 s3, s3, 0
	s_waitcnt vmcnt(0)
	v_cmp_ne_u16_sdwa s[38:39], v25, v21 src0_sel:BYTE_0 src1_sel:DWORD
	s_or_b64 s[36:37], s[38:39], s[36:37]
	s_andn2_b64 exec, exec, s[36:37]
	s_cbranch_execnz .LBB1199_343
; %bb.346:                              ;   in Loop: Header=BB1199_340 Depth=1
	s_or_b64 exec, exec, s[36:37]
	s_branch .LBB1199_339
.LBB1199_347:                           ;   in Loop: Header=BB1199_340 Depth=1
                                        ; implicit-def: $vgpr24
                                        ; implicit-def: $vgpr25
	s_cbranch_execz .LBB1199_340
; %bb.348:
	s_and_saveexec_b64 s[28:29], s[16:17]
	s_cbranch_execz .LBB1199_350
; %bb.349:
	s_add_i32 s2, s2, 64
	s_mov_b32 s3, 0
	s_lshl_b64 s[2:3], s[2:3], 3
	s_add_u32 s2, s30, s2
	v_add_u32_e32 v20, v46, v18
	v_mov_b32_e32 v21, 2
	s_addc_u32 s3, s31, s3
	v_mov_b32_e32 v19, 0
	global_store_dwordx2 v19, v[20:21], s[2:3] sc1
	s_movk_i32 s2, 0x7000
	v_add_u32_e64 v19, s2, 0
	ds_write2_b32 v19, v18, v46 offset1:2
.LBB1199_350:
	s_or_b64 exec, exec, s[28:29]
	v_cmp_eq_u32_e32 vcc, 0, v0
	s_and_b64 exec, exec, vcc
	s_cbranch_execz .LBB1199_352
; %bb.351:
	v_mov_b32_e32 v18, 0
	ds_write_b32 v18, v46 offset:28
.LBB1199_352:
	s_or_b64 exec, exec, s[26:27]
	v_mov_b32_e32 v18, 0
	s_waitcnt lgkmcnt(0)
	s_barrier
	ds_read_b32 v18, v18 offset:28
	v_cndmask_b32_e64 v19, v30, v28, s[16:17]
	v_cmp_ne_u32_e32 vcc, 0, v0
	s_movk_i32 s2, 0x7000
	s_waitcnt lgkmcnt(0)
	v_cndmask_b32_e32 v19, 0, v19, vcc
	v_add_u32_e32 v34, v18, v19
	v_add_u32_e32 v32, v34, v1
	v_add_u32_e64 v18, s2, 0
	v_add_u32_e32 v30, v32, v29
	s_barrier
	ds_read2_b32 v[18:19], v18 offset1:2
	v_add_u32_e32 v28, v30, v31
	v_add_u32_e32 v26, v28, v33
	;; [unrolled: 1-line block ×4, first 2 shown]
	s_load_dwordx2 s[2:3], s[0:1], 0x28
	v_lshrrev_b64 v[20:21], 24, v[16:17]
	s_branch .LBB1199_363
.LBB1199_353:
                                        ; implicit-def: $vgpr22
                                        ; implicit-def: $vgpr24
                                        ; implicit-def: $vgpr26
                                        ; implicit-def: $vgpr28
                                        ; implicit-def: $vgpr30
                                        ; implicit-def: $vgpr32
                                        ; implicit-def: $vgpr34
                                        ; implicit-def: $vgpr19
	s_load_dwordx2 s[2:3], s[0:1], 0x28
	v_lshrrev_b64 v[20:21], 24, v[16:17]
	s_cbranch_execz .LBB1199_363
; %bb.354:
	s_waitcnt lgkmcnt(0)
	v_mov_b32_dpp v18, v39 row_shr:1 row_mask:0xf bank_mask:0xf
	v_cndmask_b32_e64 v18, v18, 0, s[14:15]
	v_add_u32_e32 v18, v18, v39
	s_nop 1
	v_mov_b32_dpp v19, v18 row_shr:2 row_mask:0xf bank_mask:0xf
	v_cndmask_b32_e64 v19, 0, v19, s[12:13]
	v_add_u32_e32 v18, v18, v19
	s_nop 1
	;; [unrolled: 4-line block ×4, first 2 shown]
	v_mov_b32_dpp v19, v18 row_bcast:15 row_mask:0xf bank_mask:0xf
	v_cndmask_b32_e64 v19, v19, 0, s[6:7]
	v_add_u32_e32 v18, v18, v19
	s_nop 1
	v_mov_b32_dpp v19, v18 row_bcast:31 row_mask:0xf bank_mask:0xf
	v_cndmask_b32_e64 v19, 0, v19, s[18:19]
	v_add_u32_e32 v18, v18, v19
	s_and_saveexec_b64 s[0:1], s[4:5]
	s_cbranch_execz .LBB1199_356
; %bb.355:
	v_lshlrev_b32_e32 v19, 2, v38
	ds_write_b32 v19, v18
.LBB1199_356:
	s_or_b64 exec, exec, s[0:1]
	v_cmp_gt_u32_e32 vcc, 8, v0
	s_waitcnt lgkmcnt(0)
	s_barrier
	s_and_saveexec_b64 s[0:1], vcc
	s_cbranch_execz .LBB1199_358
; %bb.357:
	v_lshlrev_b32_e32 v19, 2, v0
	ds_read_b32 v21, v19
	v_and_b32_e32 v22, 7, v37
	v_cmp_ne_u32_e32 vcc, 0, v22
	s_waitcnt lgkmcnt(0)
	v_mov_b32_dpp v23, v21 row_shr:1 row_mask:0xf bank_mask:0xf
	v_cndmask_b32_e32 v23, 0, v23, vcc
	v_add_u32_e32 v21, v23, v21
	v_cmp_lt_u32_e32 vcc, 1, v22
	s_nop 0
	v_mov_b32_dpp v23, v21 row_shr:2 row_mask:0xf bank_mask:0xf
	v_cndmask_b32_e32 v23, 0, v23, vcc
	v_add_u32_e32 v21, v21, v23
	v_cmp_lt_u32_e32 vcc, 3, v22
	s_nop 0
	v_mov_b32_dpp v23, v21 row_shr:4 row_mask:0xf bank_mask:0xf
	v_cndmask_b32_e32 v22, 0, v23, vcc
	v_add_u32_e32 v21, v21, v22
	ds_write_b32 v19, v21
.LBB1199_358:
	s_or_b64 exec, exec, s[0:1]
	v_cmp_lt_u32_e32 vcc, 63, v0
	v_mov_b32_e32 v19, 0
	v_mov_b32_e32 v21, 0
	s_waitcnt lgkmcnt(0)
	s_barrier
	s_and_saveexec_b64 s[0:1], vcc
	s_cbranch_execz .LBB1199_360
; %bb.359:
	v_lshl_add_u32 v21, v38, 2, -4
	ds_read_b32 v21, v21
.LBB1199_360:
	s_or_b64 exec, exec, s[0:1]
	v_add_u32_e32 v22, -1, v37
	v_and_b32_e32 v23, 64, v37
	v_cmp_lt_i32_e32 vcc, v22, v23
	s_waitcnt lgkmcnt(0)
	v_add_u32_e32 v18, v21, v18
	v_cndmask_b32_e32 v22, v22, v37, vcc
	v_lshlrev_b32_e32 v22, 2, v22
	ds_bpermute_b32 v22, v22, v18
	ds_read_b32 v18, v19 offset:28
	v_cmp_eq_u32_e32 vcc, 0, v0
	s_and_saveexec_b64 s[0:1], vcc
	s_cbranch_execz .LBB1199_362
; %bb.361:
	v_mov_b32_e32 v23, 0
	v_mov_b32_e32 v19, 2
	s_waitcnt lgkmcnt(0)
	global_store_dwordx2 v23, v[18:19], s[30:31] offset:512 sc1
.LBB1199_362:
	s_or_b64 exec, exec, s[0:1]
	v_cmp_eq_u32_e64 s[0:1], 0, v37
	v_mov_b32_e32 v19, 0
	s_waitcnt lgkmcnt(0)
	v_cndmask_b32_e64 v21, v22, v21, s[0:1]
	v_cndmask_b32_e64 v34, v21, 0, vcc
	v_add_u32_e32 v32, v34, v1
	v_add_u32_e32 v30, v32, v29
	;; [unrolled: 1-line block ×6, first 2 shown]
	s_barrier
.LBB1199_363:
	s_movk_i32 s0, 0x201
	s_waitcnt lgkmcnt(0)
	v_cmp_gt_u32_e32 vcc, s0, v18
	v_lshrrev_b32_e32 v21, 8, v16
	v_lshrrev_b32_e32 v1, 8, v17
	s_mov_b64 s[0:1], -1
	s_cbranch_vccnz .LBB1199_367
; %bb.364:
	s_and_b64 vcc, exec, s[0:1]
	s_cbranch_vccnz .LBB1199_389
.LBB1199_365:
	v_cmp_eq_u32_e32 vcc, 0, v0
	s_and_b64 s[0:1], vcc, s[24:25]
	s_and_saveexec_b64 s[2:3], s[0:1]
	s_cbranch_execnz .LBB1199_407
.LBB1199_366:
	s_endpgm
.LBB1199_367:
	v_add_u32_e32 v23, v19, v18
	v_cmp_lt_u32_e32 vcc, v34, v23
	s_or_b64 s[4:5], s[34:35], vcc
	s_and_saveexec_b64 s[0:1], s[4:5]
	s_cbranch_execz .LBB1199_370
; %bb.368:
	v_and_b32_e32 v25, 1, v16
	v_cmp_eq_u32_e32 vcc, 1, v25
	s_and_b64 exec, exec, vcc
	s_cbranch_execz .LBB1199_370
; %bb.369:
	s_lshl_b64 s[4:5], s[22:23], 3
	s_add_u32 s4, s2, s4
	s_addc_u32 s5, s3, s5
	v_mov_b32_e32 v35, 0
	v_lshl_add_u64 v[36:37], v[34:35], 3, s[4:5]
	global_store_dwordx2 v[36:37], v[10:11], off
.LBB1199_370:
	s_or_b64 exec, exec, s[0:1]
	v_cmp_lt_u32_e32 vcc, v32, v23
	s_or_b64 s[4:5], s[34:35], vcc
	s_and_saveexec_b64 s[0:1], s[4:5]
	s_cbranch_execz .LBB1199_373
; %bb.371:
	v_and_b32_e32 v25, 1, v21
	v_cmp_eq_u32_e32 vcc, 1, v25
	s_and_b64 exec, exec, vcc
	s_cbranch_execz .LBB1199_373
; %bb.372:
	s_lshl_b64 s[4:5], s[22:23], 3
	s_add_u32 s4, s2, s4
	s_addc_u32 s5, s3, s5
	v_mov_b32_e32 v33, 0
	v_lshl_add_u64 v[36:37], v[32:33], 3, s[4:5]
	global_store_dwordx2 v[36:37], v[12:13], off
.LBB1199_373:
	s_or_b64 exec, exec, s[0:1]
	v_cmp_lt_u32_e32 vcc, v30, v23
	s_or_b64 s[4:5], s[34:35], vcc
	s_and_saveexec_b64 s[0:1], s[4:5]
	s_cbranch_execz .LBB1199_376
; %bb.374:
	v_mov_b32_e32 v25, 1
	v_and_b32_sdwa v25, v25, v16 dst_sel:DWORD dst_unused:UNUSED_PAD src0_sel:DWORD src1_sel:WORD_1
	v_cmp_eq_u32_e32 vcc, 1, v25
	s_and_b64 exec, exec, vcc
	s_cbranch_execz .LBB1199_376
; %bb.375:
	s_lshl_b64 s[4:5], s[22:23], 3
	s_add_u32 s4, s2, s4
	s_addc_u32 s5, s3, s5
	v_mov_b32_e32 v31, 0
	v_lshl_add_u64 v[36:37], v[30:31], 3, s[4:5]
	global_store_dwordx2 v[36:37], v[6:7], off
.LBB1199_376:
	s_or_b64 exec, exec, s[0:1]
	v_cmp_lt_u32_e32 vcc, v28, v23
	s_or_b64 s[4:5], s[34:35], vcc
	s_and_saveexec_b64 s[0:1], s[4:5]
	s_cbranch_execz .LBB1199_379
; %bb.377:
	v_and_b32_e32 v25, 1, v20
	v_cmp_eq_u32_e32 vcc, 1, v25
	s_and_b64 exec, exec, vcc
	s_cbranch_execz .LBB1199_379
; %bb.378:
	s_lshl_b64 s[4:5], s[22:23], 3
	s_add_u32 s4, s2, s4
	s_addc_u32 s5, s3, s5
	v_mov_b32_e32 v29, 0
	v_lshl_add_u64 v[36:37], v[28:29], 3, s[4:5]
	global_store_dwordx2 v[36:37], v[8:9], off
.LBB1199_379:
	s_or_b64 exec, exec, s[0:1]
	v_cmp_lt_u32_e32 vcc, v26, v23
	s_or_b64 s[4:5], s[34:35], vcc
	s_and_saveexec_b64 s[0:1], s[4:5]
	s_cbranch_execz .LBB1199_382
; %bb.380:
	v_and_b32_e32 v25, 1, v17
	v_cmp_eq_u32_e32 vcc, 1, v25
	s_and_b64 exec, exec, vcc
	s_cbranch_execz .LBB1199_382
; %bb.381:
	s_lshl_b64 s[4:5], s[22:23], 3
	s_add_u32 s4, s2, s4
	s_addc_u32 s5, s3, s5
	v_mov_b32_e32 v27, 0
	v_lshl_add_u64 v[36:37], v[26:27], 3, s[4:5]
	global_store_dwordx2 v[36:37], v[2:3], off
.LBB1199_382:
	;; [unrolled: 18-line block ×3, first 2 shown]
	s_or_b64 exec, exec, s[0:1]
	v_cmp_lt_u32_e32 vcc, v22, v23
	s_or_b64 s[4:5], s[34:35], vcc
	s_and_saveexec_b64 s[0:1], s[4:5]
	s_cbranch_execz .LBB1199_388
; %bb.386:
	v_mov_b32_e32 v23, 1
	v_and_b32_sdwa v23, v23, v17 dst_sel:DWORD dst_unused:UNUSED_PAD src0_sel:DWORD src1_sel:WORD_1
	v_cmp_eq_u32_e32 vcc, 1, v23
	s_and_b64 exec, exec, vcc
	s_cbranch_execz .LBB1199_388
; %bb.387:
	s_lshl_b64 s[4:5], s[22:23], 3
	s_add_u32 s4, s2, s4
	s_addc_u32 s5, s3, s5
	v_mov_b32_e32 v23, 0
	v_lshl_add_u64 v[36:37], v[22:23], 3, s[4:5]
	global_store_dwordx2 v[36:37], v[14:15], off
.LBB1199_388:
	s_or_b64 exec, exec, s[0:1]
	s_branch .LBB1199_365
.LBB1199_389:
	v_and_b32_e32 v23, 1, v16
	v_cmp_eq_u32_e32 vcc, 1, v23
	s_and_saveexec_b64 s[0:1], vcc
	s_cbranch_execz .LBB1199_391
; %bb.390:
	v_sub_u32_e32 v23, v34, v19
	v_lshlrev_b32_e32 v23, 3, v23
	ds_write_b64 v23, v[10:11]
.LBB1199_391:
	s_or_b64 exec, exec, s[0:1]
	v_and_b32_e32 v10, 1, v21
	v_cmp_eq_u32_e32 vcc, 1, v10
	s_and_saveexec_b64 s[0:1], vcc
	s_cbranch_execz .LBB1199_393
; %bb.392:
	v_sub_u32_e32 v10, v32, v19
	v_lshlrev_b32_e32 v10, 3, v10
	ds_write_b64 v10, v[12:13]
.LBB1199_393:
	s_or_b64 exec, exec, s[0:1]
	v_mov_b32_e32 v10, 1
	v_and_b32_sdwa v10, v10, v16 dst_sel:DWORD dst_unused:UNUSED_PAD src0_sel:DWORD src1_sel:WORD_1
	v_cmp_eq_u32_e32 vcc, 1, v10
	s_and_saveexec_b64 s[0:1], vcc
	s_cbranch_execz .LBB1199_395
; %bb.394:
	v_sub_u32_e32 v10, v30, v19
	v_lshlrev_b32_e32 v10, 3, v10
	ds_write_b64 v10, v[6:7]
.LBB1199_395:
	s_or_b64 exec, exec, s[0:1]
	v_and_b32_e32 v6, 1, v20
	v_cmp_eq_u32_e32 vcc, 1, v6
	s_and_saveexec_b64 s[0:1], vcc
	s_cbranch_execz .LBB1199_397
; %bb.396:
	v_sub_u32_e32 v6, v28, v19
	v_lshlrev_b32_e32 v6, 3, v6
	ds_write_b64 v6, v[8:9]
.LBB1199_397:
	s_or_b64 exec, exec, s[0:1]
	v_and_b32_e32 v6, 1, v17
	;; [unrolled: 10-line block ×3, first 2 shown]
	v_cmp_eq_u32_e32 vcc, 1, v1
	s_and_saveexec_b64 s[0:1], vcc
	s_cbranch_execz .LBB1199_401
; %bb.400:
	v_sub_u32_e32 v1, v24, v19
	v_lshlrev_b32_e32 v1, 3, v1
	ds_write_b64 v1, v[4:5]
.LBB1199_401:
	s_or_b64 exec, exec, s[0:1]
	v_mov_b32_e32 v1, 1
	v_and_b32_sdwa v1, v1, v17 dst_sel:DWORD dst_unused:UNUSED_PAD src0_sel:DWORD src1_sel:WORD_1
	v_cmp_eq_u32_e32 vcc, 1, v1
	s_and_saveexec_b64 s[0:1], vcc
	s_cbranch_execz .LBB1199_403
; %bb.402:
	v_sub_u32_e32 v1, v22, v19
	v_lshlrev_b32_e32 v1, 3, v1
	ds_write_b64 v1, v[14:15]
.LBB1199_403:
	s_or_b64 exec, exec, s[0:1]
	v_cmp_lt_u32_e32 vcc, v0, v18
	s_waitcnt lgkmcnt(0)
	s_barrier
	s_and_saveexec_b64 s[0:1], vcc
	s_cbranch_execz .LBB1199_406
; %bb.404:
	v_mov_b32_e32 v5, 0
	v_mov_b32_e32 v4, v19
	s_lshl_b64 s[4:5], s[22:23], 3
	v_lshlrev_b64 v[6:7], 3, v[4:5]
	v_lshl_add_u64 v[6:7], s[4:5], 0, v[6:7]
	v_lshlrev_b32_e32 v2, 3, v0
	v_mov_b32_e32 v3, v5
	v_lshl_add_u64 v[4:5], s[2:3], 0, v[6:7]
	v_lshl_add_u64 v[4:5], v[4:5], 0, v[2:3]
	s_mov_b64 s[2:3], 0
	s_mov_b64 s[4:5], 0x1000
	v_mov_b32_e32 v1, v0
.LBB1199_405:                           ; =>This Inner Loop Header: Depth=1
	ds_read_b64 v[6:7], v2
	v_add_u32_e32 v1, 0x200, v1
	v_cmp_ge_u32_e32 vcc, v1, v18
	v_add_u32_e32 v2, 0x1000, v2
	s_or_b64 s[2:3], vcc, s[2:3]
	s_waitcnt lgkmcnt(0)
	global_store_dwordx2 v[4:5], v[6:7], off
	v_lshl_add_u64 v[4:5], v[4:5], 0, s[4:5]
	s_andn2_b64 exec, exec, s[2:3]
	s_cbranch_execnz .LBB1199_405
.LBB1199_406:
	s_or_b64 exec, exec, s[0:1]
	v_cmp_eq_u32_e32 vcc, 0, v0
	s_and_b64 s[0:1], vcc, s[24:25]
	s_and_saveexec_b64 s[2:3], s[0:1]
	s_cbranch_execz .LBB1199_366
.LBB1199_407:
	v_mov_b32_e32 v1, 0
	v_mov_b32_e32 v0, v18
	v_lshl_add_u64 v[2:3], s[22:23], 0, v[0:1]
	v_mov_b32_e32 v0, v19
	v_lshl_add_u64 v[2:3], v[2:3], 0, v[0:1]
	global_store_dwordx2 v1, v[2:3], s[20:21]
	s_endpgm
	.section	.rodata,"a",@progbits
	.p2align	6, 0x0
	.amdhsa_kernel _ZN7rocprim17ROCPRIM_400000_NS6detail17trampoline_kernelINS0_14default_configENS1_25partition_config_selectorILNS1_17partition_subalgoE8ElNS0_10empty_typeEbEEZZNS1_14partition_implILS5_8ELb0ES3_jPlPS6_PKS6_NS0_5tupleIJS9_S6_EEENSD_IJSA_SA_EEENS0_18inequality_wrapperIZN2at6native12_GLOBAL__N_124unique_dim_cuda_templateIN3c108BFloat16EEESt5tupleIJNSH_6TensorESO_SO_EERKSO_lbbbEUlllE0_EEPmJS6_EEE10hipError_tPvRmT3_T4_T5_T6_T7_T9_mT8_P12ihipStream_tbDpT10_ENKUlT_T0_E_clISt17integral_constantIbLb1EES1D_IbLb0EEEEDaS19_S1A_EUlS19_E_NS1_11comp_targetILNS1_3genE5ELNS1_11target_archE942ELNS1_3gpuE9ELNS1_3repE0EEENS1_30default_config_static_selectorELNS0_4arch9wavefront6targetE1EEEvT1_
		.amdhsa_group_segment_fixed_size 28684
		.amdhsa_private_segment_fixed_size 0
		.amdhsa_kernarg_size 120
		.amdhsa_user_sgpr_count 2
		.amdhsa_user_sgpr_dispatch_ptr 0
		.amdhsa_user_sgpr_queue_ptr 0
		.amdhsa_user_sgpr_kernarg_segment_ptr 1
		.amdhsa_user_sgpr_dispatch_id 0
		.amdhsa_user_sgpr_kernarg_preload_length 0
		.amdhsa_user_sgpr_kernarg_preload_offset 0
		.amdhsa_user_sgpr_private_segment_size 0
		.amdhsa_uses_dynamic_stack 0
		.amdhsa_enable_private_segment 0
		.amdhsa_system_sgpr_workgroup_id_x 1
		.amdhsa_system_sgpr_workgroup_id_y 0
		.amdhsa_system_sgpr_workgroup_id_z 0
		.amdhsa_system_sgpr_workgroup_info 0
		.amdhsa_system_vgpr_workitem_id 0
		.amdhsa_next_free_vgpr 52
		.amdhsa_next_free_sgpr 52
		.amdhsa_accum_offset 52
		.amdhsa_reserve_vcc 1
		.amdhsa_float_round_mode_32 0
		.amdhsa_float_round_mode_16_64 0
		.amdhsa_float_denorm_mode_32 3
		.amdhsa_float_denorm_mode_16_64 3
		.amdhsa_dx10_clamp 1
		.amdhsa_ieee_mode 1
		.amdhsa_fp16_overflow 0
		.amdhsa_tg_split 0
		.amdhsa_exception_fp_ieee_invalid_op 0
		.amdhsa_exception_fp_denorm_src 0
		.amdhsa_exception_fp_ieee_div_zero 0
		.amdhsa_exception_fp_ieee_overflow 0
		.amdhsa_exception_fp_ieee_underflow 0
		.amdhsa_exception_fp_ieee_inexact 0
		.amdhsa_exception_int_div_zero 0
	.end_amdhsa_kernel
	.section	.text._ZN7rocprim17ROCPRIM_400000_NS6detail17trampoline_kernelINS0_14default_configENS1_25partition_config_selectorILNS1_17partition_subalgoE8ElNS0_10empty_typeEbEEZZNS1_14partition_implILS5_8ELb0ES3_jPlPS6_PKS6_NS0_5tupleIJS9_S6_EEENSD_IJSA_SA_EEENS0_18inequality_wrapperIZN2at6native12_GLOBAL__N_124unique_dim_cuda_templateIN3c108BFloat16EEESt5tupleIJNSH_6TensorESO_SO_EERKSO_lbbbEUlllE0_EEPmJS6_EEE10hipError_tPvRmT3_T4_T5_T6_T7_T9_mT8_P12ihipStream_tbDpT10_ENKUlT_T0_E_clISt17integral_constantIbLb1EES1D_IbLb0EEEEDaS19_S1A_EUlS19_E_NS1_11comp_targetILNS1_3genE5ELNS1_11target_archE942ELNS1_3gpuE9ELNS1_3repE0EEENS1_30default_config_static_selectorELNS0_4arch9wavefront6targetE1EEEvT1_,"axG",@progbits,_ZN7rocprim17ROCPRIM_400000_NS6detail17trampoline_kernelINS0_14default_configENS1_25partition_config_selectorILNS1_17partition_subalgoE8ElNS0_10empty_typeEbEEZZNS1_14partition_implILS5_8ELb0ES3_jPlPS6_PKS6_NS0_5tupleIJS9_S6_EEENSD_IJSA_SA_EEENS0_18inequality_wrapperIZN2at6native12_GLOBAL__N_124unique_dim_cuda_templateIN3c108BFloat16EEESt5tupleIJNSH_6TensorESO_SO_EERKSO_lbbbEUlllE0_EEPmJS6_EEE10hipError_tPvRmT3_T4_T5_T6_T7_T9_mT8_P12ihipStream_tbDpT10_ENKUlT_T0_E_clISt17integral_constantIbLb1EES1D_IbLb0EEEEDaS19_S1A_EUlS19_E_NS1_11comp_targetILNS1_3genE5ELNS1_11target_archE942ELNS1_3gpuE9ELNS1_3repE0EEENS1_30default_config_static_selectorELNS0_4arch9wavefront6targetE1EEEvT1_,comdat
.Lfunc_end1199:
	.size	_ZN7rocprim17ROCPRIM_400000_NS6detail17trampoline_kernelINS0_14default_configENS1_25partition_config_selectorILNS1_17partition_subalgoE8ElNS0_10empty_typeEbEEZZNS1_14partition_implILS5_8ELb0ES3_jPlPS6_PKS6_NS0_5tupleIJS9_S6_EEENSD_IJSA_SA_EEENS0_18inequality_wrapperIZN2at6native12_GLOBAL__N_124unique_dim_cuda_templateIN3c108BFloat16EEESt5tupleIJNSH_6TensorESO_SO_EERKSO_lbbbEUlllE0_EEPmJS6_EEE10hipError_tPvRmT3_T4_T5_T6_T7_T9_mT8_P12ihipStream_tbDpT10_ENKUlT_T0_E_clISt17integral_constantIbLb1EES1D_IbLb0EEEEDaS19_S1A_EUlS19_E_NS1_11comp_targetILNS1_3genE5ELNS1_11target_archE942ELNS1_3gpuE9ELNS1_3repE0EEENS1_30default_config_static_selectorELNS0_4arch9wavefront6targetE1EEEvT1_, .Lfunc_end1199-_ZN7rocprim17ROCPRIM_400000_NS6detail17trampoline_kernelINS0_14default_configENS1_25partition_config_selectorILNS1_17partition_subalgoE8ElNS0_10empty_typeEbEEZZNS1_14partition_implILS5_8ELb0ES3_jPlPS6_PKS6_NS0_5tupleIJS9_S6_EEENSD_IJSA_SA_EEENS0_18inequality_wrapperIZN2at6native12_GLOBAL__N_124unique_dim_cuda_templateIN3c108BFloat16EEESt5tupleIJNSH_6TensorESO_SO_EERKSO_lbbbEUlllE0_EEPmJS6_EEE10hipError_tPvRmT3_T4_T5_T6_T7_T9_mT8_P12ihipStream_tbDpT10_ENKUlT_T0_E_clISt17integral_constantIbLb1EES1D_IbLb0EEEEDaS19_S1A_EUlS19_E_NS1_11comp_targetILNS1_3genE5ELNS1_11target_archE942ELNS1_3gpuE9ELNS1_3repE0EEENS1_30default_config_static_selectorELNS0_4arch9wavefront6targetE1EEEvT1_
                                        ; -- End function
	.section	.AMDGPU.csdata,"",@progbits
; Kernel info:
; codeLenInByte = 13588
; NumSgprs: 58
; NumVgprs: 52
; NumAgprs: 0
; TotalNumVgprs: 52
; ScratchSize: 0
; MemoryBound: 0
; FloatMode: 240
; IeeeMode: 1
; LDSByteSize: 28684 bytes/workgroup (compile time only)
; SGPRBlocks: 7
; VGPRBlocks: 6
; NumSGPRsForWavesPerEU: 58
; NumVGPRsForWavesPerEU: 52
; AccumOffset: 52
; Occupancy: 4
; WaveLimiterHint : 1
; COMPUTE_PGM_RSRC2:SCRATCH_EN: 0
; COMPUTE_PGM_RSRC2:USER_SGPR: 2
; COMPUTE_PGM_RSRC2:TRAP_HANDLER: 0
; COMPUTE_PGM_RSRC2:TGID_X_EN: 1
; COMPUTE_PGM_RSRC2:TGID_Y_EN: 0
; COMPUTE_PGM_RSRC2:TGID_Z_EN: 0
; COMPUTE_PGM_RSRC2:TIDIG_COMP_CNT: 0
; COMPUTE_PGM_RSRC3_GFX90A:ACCUM_OFFSET: 12
; COMPUTE_PGM_RSRC3_GFX90A:TG_SPLIT: 0
	.section	.text._ZN7rocprim17ROCPRIM_400000_NS6detail17trampoline_kernelINS0_14default_configENS1_25partition_config_selectorILNS1_17partition_subalgoE8ElNS0_10empty_typeEbEEZZNS1_14partition_implILS5_8ELb0ES3_jPlPS6_PKS6_NS0_5tupleIJS9_S6_EEENSD_IJSA_SA_EEENS0_18inequality_wrapperIZN2at6native12_GLOBAL__N_124unique_dim_cuda_templateIN3c108BFloat16EEESt5tupleIJNSH_6TensorESO_SO_EERKSO_lbbbEUlllE0_EEPmJS6_EEE10hipError_tPvRmT3_T4_T5_T6_T7_T9_mT8_P12ihipStream_tbDpT10_ENKUlT_T0_E_clISt17integral_constantIbLb1EES1D_IbLb0EEEEDaS19_S1A_EUlS19_E_NS1_11comp_targetILNS1_3genE4ELNS1_11target_archE910ELNS1_3gpuE8ELNS1_3repE0EEENS1_30default_config_static_selectorELNS0_4arch9wavefront6targetE1EEEvT1_,"axG",@progbits,_ZN7rocprim17ROCPRIM_400000_NS6detail17trampoline_kernelINS0_14default_configENS1_25partition_config_selectorILNS1_17partition_subalgoE8ElNS0_10empty_typeEbEEZZNS1_14partition_implILS5_8ELb0ES3_jPlPS6_PKS6_NS0_5tupleIJS9_S6_EEENSD_IJSA_SA_EEENS0_18inequality_wrapperIZN2at6native12_GLOBAL__N_124unique_dim_cuda_templateIN3c108BFloat16EEESt5tupleIJNSH_6TensorESO_SO_EERKSO_lbbbEUlllE0_EEPmJS6_EEE10hipError_tPvRmT3_T4_T5_T6_T7_T9_mT8_P12ihipStream_tbDpT10_ENKUlT_T0_E_clISt17integral_constantIbLb1EES1D_IbLb0EEEEDaS19_S1A_EUlS19_E_NS1_11comp_targetILNS1_3genE4ELNS1_11target_archE910ELNS1_3gpuE8ELNS1_3repE0EEENS1_30default_config_static_selectorELNS0_4arch9wavefront6targetE1EEEvT1_,comdat
	.globl	_ZN7rocprim17ROCPRIM_400000_NS6detail17trampoline_kernelINS0_14default_configENS1_25partition_config_selectorILNS1_17partition_subalgoE8ElNS0_10empty_typeEbEEZZNS1_14partition_implILS5_8ELb0ES3_jPlPS6_PKS6_NS0_5tupleIJS9_S6_EEENSD_IJSA_SA_EEENS0_18inequality_wrapperIZN2at6native12_GLOBAL__N_124unique_dim_cuda_templateIN3c108BFloat16EEESt5tupleIJNSH_6TensorESO_SO_EERKSO_lbbbEUlllE0_EEPmJS6_EEE10hipError_tPvRmT3_T4_T5_T6_T7_T9_mT8_P12ihipStream_tbDpT10_ENKUlT_T0_E_clISt17integral_constantIbLb1EES1D_IbLb0EEEEDaS19_S1A_EUlS19_E_NS1_11comp_targetILNS1_3genE4ELNS1_11target_archE910ELNS1_3gpuE8ELNS1_3repE0EEENS1_30default_config_static_selectorELNS0_4arch9wavefront6targetE1EEEvT1_ ; -- Begin function _ZN7rocprim17ROCPRIM_400000_NS6detail17trampoline_kernelINS0_14default_configENS1_25partition_config_selectorILNS1_17partition_subalgoE8ElNS0_10empty_typeEbEEZZNS1_14partition_implILS5_8ELb0ES3_jPlPS6_PKS6_NS0_5tupleIJS9_S6_EEENSD_IJSA_SA_EEENS0_18inequality_wrapperIZN2at6native12_GLOBAL__N_124unique_dim_cuda_templateIN3c108BFloat16EEESt5tupleIJNSH_6TensorESO_SO_EERKSO_lbbbEUlllE0_EEPmJS6_EEE10hipError_tPvRmT3_T4_T5_T6_T7_T9_mT8_P12ihipStream_tbDpT10_ENKUlT_T0_E_clISt17integral_constantIbLb1EES1D_IbLb0EEEEDaS19_S1A_EUlS19_E_NS1_11comp_targetILNS1_3genE4ELNS1_11target_archE910ELNS1_3gpuE8ELNS1_3repE0EEENS1_30default_config_static_selectorELNS0_4arch9wavefront6targetE1EEEvT1_
	.p2align	8
	.type	_ZN7rocprim17ROCPRIM_400000_NS6detail17trampoline_kernelINS0_14default_configENS1_25partition_config_selectorILNS1_17partition_subalgoE8ElNS0_10empty_typeEbEEZZNS1_14partition_implILS5_8ELb0ES3_jPlPS6_PKS6_NS0_5tupleIJS9_S6_EEENSD_IJSA_SA_EEENS0_18inequality_wrapperIZN2at6native12_GLOBAL__N_124unique_dim_cuda_templateIN3c108BFloat16EEESt5tupleIJNSH_6TensorESO_SO_EERKSO_lbbbEUlllE0_EEPmJS6_EEE10hipError_tPvRmT3_T4_T5_T6_T7_T9_mT8_P12ihipStream_tbDpT10_ENKUlT_T0_E_clISt17integral_constantIbLb1EES1D_IbLb0EEEEDaS19_S1A_EUlS19_E_NS1_11comp_targetILNS1_3genE4ELNS1_11target_archE910ELNS1_3gpuE8ELNS1_3repE0EEENS1_30default_config_static_selectorELNS0_4arch9wavefront6targetE1EEEvT1_,@function
_ZN7rocprim17ROCPRIM_400000_NS6detail17trampoline_kernelINS0_14default_configENS1_25partition_config_selectorILNS1_17partition_subalgoE8ElNS0_10empty_typeEbEEZZNS1_14partition_implILS5_8ELb0ES3_jPlPS6_PKS6_NS0_5tupleIJS9_S6_EEENSD_IJSA_SA_EEENS0_18inequality_wrapperIZN2at6native12_GLOBAL__N_124unique_dim_cuda_templateIN3c108BFloat16EEESt5tupleIJNSH_6TensorESO_SO_EERKSO_lbbbEUlllE0_EEPmJS6_EEE10hipError_tPvRmT3_T4_T5_T6_T7_T9_mT8_P12ihipStream_tbDpT10_ENKUlT_T0_E_clISt17integral_constantIbLb1EES1D_IbLb0EEEEDaS19_S1A_EUlS19_E_NS1_11comp_targetILNS1_3genE4ELNS1_11target_archE910ELNS1_3gpuE8ELNS1_3repE0EEENS1_30default_config_static_selectorELNS0_4arch9wavefront6targetE1EEEvT1_: ; @_ZN7rocprim17ROCPRIM_400000_NS6detail17trampoline_kernelINS0_14default_configENS1_25partition_config_selectorILNS1_17partition_subalgoE8ElNS0_10empty_typeEbEEZZNS1_14partition_implILS5_8ELb0ES3_jPlPS6_PKS6_NS0_5tupleIJS9_S6_EEENSD_IJSA_SA_EEENS0_18inequality_wrapperIZN2at6native12_GLOBAL__N_124unique_dim_cuda_templateIN3c108BFloat16EEESt5tupleIJNSH_6TensorESO_SO_EERKSO_lbbbEUlllE0_EEPmJS6_EEE10hipError_tPvRmT3_T4_T5_T6_T7_T9_mT8_P12ihipStream_tbDpT10_ENKUlT_T0_E_clISt17integral_constantIbLb1EES1D_IbLb0EEEEDaS19_S1A_EUlS19_E_NS1_11comp_targetILNS1_3genE4ELNS1_11target_archE910ELNS1_3gpuE8ELNS1_3repE0EEENS1_30default_config_static_selectorELNS0_4arch9wavefront6targetE1EEEvT1_
; %bb.0:
	.section	.rodata,"a",@progbits
	.p2align	6, 0x0
	.amdhsa_kernel _ZN7rocprim17ROCPRIM_400000_NS6detail17trampoline_kernelINS0_14default_configENS1_25partition_config_selectorILNS1_17partition_subalgoE8ElNS0_10empty_typeEbEEZZNS1_14partition_implILS5_8ELb0ES3_jPlPS6_PKS6_NS0_5tupleIJS9_S6_EEENSD_IJSA_SA_EEENS0_18inequality_wrapperIZN2at6native12_GLOBAL__N_124unique_dim_cuda_templateIN3c108BFloat16EEESt5tupleIJNSH_6TensorESO_SO_EERKSO_lbbbEUlllE0_EEPmJS6_EEE10hipError_tPvRmT3_T4_T5_T6_T7_T9_mT8_P12ihipStream_tbDpT10_ENKUlT_T0_E_clISt17integral_constantIbLb1EES1D_IbLb0EEEEDaS19_S1A_EUlS19_E_NS1_11comp_targetILNS1_3genE4ELNS1_11target_archE910ELNS1_3gpuE8ELNS1_3repE0EEENS1_30default_config_static_selectorELNS0_4arch9wavefront6targetE1EEEvT1_
		.amdhsa_group_segment_fixed_size 0
		.amdhsa_private_segment_fixed_size 0
		.amdhsa_kernarg_size 120
		.amdhsa_user_sgpr_count 2
		.amdhsa_user_sgpr_dispatch_ptr 0
		.amdhsa_user_sgpr_queue_ptr 0
		.amdhsa_user_sgpr_kernarg_segment_ptr 1
		.amdhsa_user_sgpr_dispatch_id 0
		.amdhsa_user_sgpr_kernarg_preload_length 0
		.amdhsa_user_sgpr_kernarg_preload_offset 0
		.amdhsa_user_sgpr_private_segment_size 0
		.amdhsa_uses_dynamic_stack 0
		.amdhsa_enable_private_segment 0
		.amdhsa_system_sgpr_workgroup_id_x 1
		.amdhsa_system_sgpr_workgroup_id_y 0
		.amdhsa_system_sgpr_workgroup_id_z 0
		.amdhsa_system_sgpr_workgroup_info 0
		.amdhsa_system_vgpr_workitem_id 0
		.amdhsa_next_free_vgpr 1
		.amdhsa_next_free_sgpr 0
		.amdhsa_accum_offset 4
		.amdhsa_reserve_vcc 0
		.amdhsa_float_round_mode_32 0
		.amdhsa_float_round_mode_16_64 0
		.amdhsa_float_denorm_mode_32 3
		.amdhsa_float_denorm_mode_16_64 3
		.amdhsa_dx10_clamp 1
		.amdhsa_ieee_mode 1
		.amdhsa_fp16_overflow 0
		.amdhsa_tg_split 0
		.amdhsa_exception_fp_ieee_invalid_op 0
		.amdhsa_exception_fp_denorm_src 0
		.amdhsa_exception_fp_ieee_div_zero 0
		.amdhsa_exception_fp_ieee_overflow 0
		.amdhsa_exception_fp_ieee_underflow 0
		.amdhsa_exception_fp_ieee_inexact 0
		.amdhsa_exception_int_div_zero 0
	.end_amdhsa_kernel
	.section	.text._ZN7rocprim17ROCPRIM_400000_NS6detail17trampoline_kernelINS0_14default_configENS1_25partition_config_selectorILNS1_17partition_subalgoE8ElNS0_10empty_typeEbEEZZNS1_14partition_implILS5_8ELb0ES3_jPlPS6_PKS6_NS0_5tupleIJS9_S6_EEENSD_IJSA_SA_EEENS0_18inequality_wrapperIZN2at6native12_GLOBAL__N_124unique_dim_cuda_templateIN3c108BFloat16EEESt5tupleIJNSH_6TensorESO_SO_EERKSO_lbbbEUlllE0_EEPmJS6_EEE10hipError_tPvRmT3_T4_T5_T6_T7_T9_mT8_P12ihipStream_tbDpT10_ENKUlT_T0_E_clISt17integral_constantIbLb1EES1D_IbLb0EEEEDaS19_S1A_EUlS19_E_NS1_11comp_targetILNS1_3genE4ELNS1_11target_archE910ELNS1_3gpuE8ELNS1_3repE0EEENS1_30default_config_static_selectorELNS0_4arch9wavefront6targetE1EEEvT1_,"axG",@progbits,_ZN7rocprim17ROCPRIM_400000_NS6detail17trampoline_kernelINS0_14default_configENS1_25partition_config_selectorILNS1_17partition_subalgoE8ElNS0_10empty_typeEbEEZZNS1_14partition_implILS5_8ELb0ES3_jPlPS6_PKS6_NS0_5tupleIJS9_S6_EEENSD_IJSA_SA_EEENS0_18inequality_wrapperIZN2at6native12_GLOBAL__N_124unique_dim_cuda_templateIN3c108BFloat16EEESt5tupleIJNSH_6TensorESO_SO_EERKSO_lbbbEUlllE0_EEPmJS6_EEE10hipError_tPvRmT3_T4_T5_T6_T7_T9_mT8_P12ihipStream_tbDpT10_ENKUlT_T0_E_clISt17integral_constantIbLb1EES1D_IbLb0EEEEDaS19_S1A_EUlS19_E_NS1_11comp_targetILNS1_3genE4ELNS1_11target_archE910ELNS1_3gpuE8ELNS1_3repE0EEENS1_30default_config_static_selectorELNS0_4arch9wavefront6targetE1EEEvT1_,comdat
.Lfunc_end1200:
	.size	_ZN7rocprim17ROCPRIM_400000_NS6detail17trampoline_kernelINS0_14default_configENS1_25partition_config_selectorILNS1_17partition_subalgoE8ElNS0_10empty_typeEbEEZZNS1_14partition_implILS5_8ELb0ES3_jPlPS6_PKS6_NS0_5tupleIJS9_S6_EEENSD_IJSA_SA_EEENS0_18inequality_wrapperIZN2at6native12_GLOBAL__N_124unique_dim_cuda_templateIN3c108BFloat16EEESt5tupleIJNSH_6TensorESO_SO_EERKSO_lbbbEUlllE0_EEPmJS6_EEE10hipError_tPvRmT3_T4_T5_T6_T7_T9_mT8_P12ihipStream_tbDpT10_ENKUlT_T0_E_clISt17integral_constantIbLb1EES1D_IbLb0EEEEDaS19_S1A_EUlS19_E_NS1_11comp_targetILNS1_3genE4ELNS1_11target_archE910ELNS1_3gpuE8ELNS1_3repE0EEENS1_30default_config_static_selectorELNS0_4arch9wavefront6targetE1EEEvT1_, .Lfunc_end1200-_ZN7rocprim17ROCPRIM_400000_NS6detail17trampoline_kernelINS0_14default_configENS1_25partition_config_selectorILNS1_17partition_subalgoE8ElNS0_10empty_typeEbEEZZNS1_14partition_implILS5_8ELb0ES3_jPlPS6_PKS6_NS0_5tupleIJS9_S6_EEENSD_IJSA_SA_EEENS0_18inequality_wrapperIZN2at6native12_GLOBAL__N_124unique_dim_cuda_templateIN3c108BFloat16EEESt5tupleIJNSH_6TensorESO_SO_EERKSO_lbbbEUlllE0_EEPmJS6_EEE10hipError_tPvRmT3_T4_T5_T6_T7_T9_mT8_P12ihipStream_tbDpT10_ENKUlT_T0_E_clISt17integral_constantIbLb1EES1D_IbLb0EEEEDaS19_S1A_EUlS19_E_NS1_11comp_targetILNS1_3genE4ELNS1_11target_archE910ELNS1_3gpuE8ELNS1_3repE0EEENS1_30default_config_static_selectorELNS0_4arch9wavefront6targetE1EEEvT1_
                                        ; -- End function
	.section	.AMDGPU.csdata,"",@progbits
; Kernel info:
; codeLenInByte = 0
; NumSgprs: 6
; NumVgprs: 0
; NumAgprs: 0
; TotalNumVgprs: 0
; ScratchSize: 0
; MemoryBound: 0
; FloatMode: 240
; IeeeMode: 1
; LDSByteSize: 0 bytes/workgroup (compile time only)
; SGPRBlocks: 0
; VGPRBlocks: 0
; NumSGPRsForWavesPerEU: 6
; NumVGPRsForWavesPerEU: 1
; AccumOffset: 4
; Occupancy: 8
; WaveLimiterHint : 0
; COMPUTE_PGM_RSRC2:SCRATCH_EN: 0
; COMPUTE_PGM_RSRC2:USER_SGPR: 2
; COMPUTE_PGM_RSRC2:TRAP_HANDLER: 0
; COMPUTE_PGM_RSRC2:TGID_X_EN: 1
; COMPUTE_PGM_RSRC2:TGID_Y_EN: 0
; COMPUTE_PGM_RSRC2:TGID_Z_EN: 0
; COMPUTE_PGM_RSRC2:TIDIG_COMP_CNT: 0
; COMPUTE_PGM_RSRC3_GFX90A:ACCUM_OFFSET: 0
; COMPUTE_PGM_RSRC3_GFX90A:TG_SPLIT: 0
	.section	.text._ZN7rocprim17ROCPRIM_400000_NS6detail17trampoline_kernelINS0_14default_configENS1_25partition_config_selectorILNS1_17partition_subalgoE8ElNS0_10empty_typeEbEEZZNS1_14partition_implILS5_8ELb0ES3_jPlPS6_PKS6_NS0_5tupleIJS9_S6_EEENSD_IJSA_SA_EEENS0_18inequality_wrapperIZN2at6native12_GLOBAL__N_124unique_dim_cuda_templateIN3c108BFloat16EEESt5tupleIJNSH_6TensorESO_SO_EERKSO_lbbbEUlllE0_EEPmJS6_EEE10hipError_tPvRmT3_T4_T5_T6_T7_T9_mT8_P12ihipStream_tbDpT10_ENKUlT_T0_E_clISt17integral_constantIbLb1EES1D_IbLb0EEEEDaS19_S1A_EUlS19_E_NS1_11comp_targetILNS1_3genE3ELNS1_11target_archE908ELNS1_3gpuE7ELNS1_3repE0EEENS1_30default_config_static_selectorELNS0_4arch9wavefront6targetE1EEEvT1_,"axG",@progbits,_ZN7rocprim17ROCPRIM_400000_NS6detail17trampoline_kernelINS0_14default_configENS1_25partition_config_selectorILNS1_17partition_subalgoE8ElNS0_10empty_typeEbEEZZNS1_14partition_implILS5_8ELb0ES3_jPlPS6_PKS6_NS0_5tupleIJS9_S6_EEENSD_IJSA_SA_EEENS0_18inequality_wrapperIZN2at6native12_GLOBAL__N_124unique_dim_cuda_templateIN3c108BFloat16EEESt5tupleIJNSH_6TensorESO_SO_EERKSO_lbbbEUlllE0_EEPmJS6_EEE10hipError_tPvRmT3_T4_T5_T6_T7_T9_mT8_P12ihipStream_tbDpT10_ENKUlT_T0_E_clISt17integral_constantIbLb1EES1D_IbLb0EEEEDaS19_S1A_EUlS19_E_NS1_11comp_targetILNS1_3genE3ELNS1_11target_archE908ELNS1_3gpuE7ELNS1_3repE0EEENS1_30default_config_static_selectorELNS0_4arch9wavefront6targetE1EEEvT1_,comdat
	.globl	_ZN7rocprim17ROCPRIM_400000_NS6detail17trampoline_kernelINS0_14default_configENS1_25partition_config_selectorILNS1_17partition_subalgoE8ElNS0_10empty_typeEbEEZZNS1_14partition_implILS5_8ELb0ES3_jPlPS6_PKS6_NS0_5tupleIJS9_S6_EEENSD_IJSA_SA_EEENS0_18inequality_wrapperIZN2at6native12_GLOBAL__N_124unique_dim_cuda_templateIN3c108BFloat16EEESt5tupleIJNSH_6TensorESO_SO_EERKSO_lbbbEUlllE0_EEPmJS6_EEE10hipError_tPvRmT3_T4_T5_T6_T7_T9_mT8_P12ihipStream_tbDpT10_ENKUlT_T0_E_clISt17integral_constantIbLb1EES1D_IbLb0EEEEDaS19_S1A_EUlS19_E_NS1_11comp_targetILNS1_3genE3ELNS1_11target_archE908ELNS1_3gpuE7ELNS1_3repE0EEENS1_30default_config_static_selectorELNS0_4arch9wavefront6targetE1EEEvT1_ ; -- Begin function _ZN7rocprim17ROCPRIM_400000_NS6detail17trampoline_kernelINS0_14default_configENS1_25partition_config_selectorILNS1_17partition_subalgoE8ElNS0_10empty_typeEbEEZZNS1_14partition_implILS5_8ELb0ES3_jPlPS6_PKS6_NS0_5tupleIJS9_S6_EEENSD_IJSA_SA_EEENS0_18inequality_wrapperIZN2at6native12_GLOBAL__N_124unique_dim_cuda_templateIN3c108BFloat16EEESt5tupleIJNSH_6TensorESO_SO_EERKSO_lbbbEUlllE0_EEPmJS6_EEE10hipError_tPvRmT3_T4_T5_T6_T7_T9_mT8_P12ihipStream_tbDpT10_ENKUlT_T0_E_clISt17integral_constantIbLb1EES1D_IbLb0EEEEDaS19_S1A_EUlS19_E_NS1_11comp_targetILNS1_3genE3ELNS1_11target_archE908ELNS1_3gpuE7ELNS1_3repE0EEENS1_30default_config_static_selectorELNS0_4arch9wavefront6targetE1EEEvT1_
	.p2align	8
	.type	_ZN7rocprim17ROCPRIM_400000_NS6detail17trampoline_kernelINS0_14default_configENS1_25partition_config_selectorILNS1_17partition_subalgoE8ElNS0_10empty_typeEbEEZZNS1_14partition_implILS5_8ELb0ES3_jPlPS6_PKS6_NS0_5tupleIJS9_S6_EEENSD_IJSA_SA_EEENS0_18inequality_wrapperIZN2at6native12_GLOBAL__N_124unique_dim_cuda_templateIN3c108BFloat16EEESt5tupleIJNSH_6TensorESO_SO_EERKSO_lbbbEUlllE0_EEPmJS6_EEE10hipError_tPvRmT3_T4_T5_T6_T7_T9_mT8_P12ihipStream_tbDpT10_ENKUlT_T0_E_clISt17integral_constantIbLb1EES1D_IbLb0EEEEDaS19_S1A_EUlS19_E_NS1_11comp_targetILNS1_3genE3ELNS1_11target_archE908ELNS1_3gpuE7ELNS1_3repE0EEENS1_30default_config_static_selectorELNS0_4arch9wavefront6targetE1EEEvT1_,@function
_ZN7rocprim17ROCPRIM_400000_NS6detail17trampoline_kernelINS0_14default_configENS1_25partition_config_selectorILNS1_17partition_subalgoE8ElNS0_10empty_typeEbEEZZNS1_14partition_implILS5_8ELb0ES3_jPlPS6_PKS6_NS0_5tupleIJS9_S6_EEENSD_IJSA_SA_EEENS0_18inequality_wrapperIZN2at6native12_GLOBAL__N_124unique_dim_cuda_templateIN3c108BFloat16EEESt5tupleIJNSH_6TensorESO_SO_EERKSO_lbbbEUlllE0_EEPmJS6_EEE10hipError_tPvRmT3_T4_T5_T6_T7_T9_mT8_P12ihipStream_tbDpT10_ENKUlT_T0_E_clISt17integral_constantIbLb1EES1D_IbLb0EEEEDaS19_S1A_EUlS19_E_NS1_11comp_targetILNS1_3genE3ELNS1_11target_archE908ELNS1_3gpuE7ELNS1_3repE0EEENS1_30default_config_static_selectorELNS0_4arch9wavefront6targetE1EEEvT1_: ; @_ZN7rocprim17ROCPRIM_400000_NS6detail17trampoline_kernelINS0_14default_configENS1_25partition_config_selectorILNS1_17partition_subalgoE8ElNS0_10empty_typeEbEEZZNS1_14partition_implILS5_8ELb0ES3_jPlPS6_PKS6_NS0_5tupleIJS9_S6_EEENSD_IJSA_SA_EEENS0_18inequality_wrapperIZN2at6native12_GLOBAL__N_124unique_dim_cuda_templateIN3c108BFloat16EEESt5tupleIJNSH_6TensorESO_SO_EERKSO_lbbbEUlllE0_EEPmJS6_EEE10hipError_tPvRmT3_T4_T5_T6_T7_T9_mT8_P12ihipStream_tbDpT10_ENKUlT_T0_E_clISt17integral_constantIbLb1EES1D_IbLb0EEEEDaS19_S1A_EUlS19_E_NS1_11comp_targetILNS1_3genE3ELNS1_11target_archE908ELNS1_3gpuE7ELNS1_3repE0EEENS1_30default_config_static_selectorELNS0_4arch9wavefront6targetE1EEEvT1_
; %bb.0:
	.section	.rodata,"a",@progbits
	.p2align	6, 0x0
	.amdhsa_kernel _ZN7rocprim17ROCPRIM_400000_NS6detail17trampoline_kernelINS0_14default_configENS1_25partition_config_selectorILNS1_17partition_subalgoE8ElNS0_10empty_typeEbEEZZNS1_14partition_implILS5_8ELb0ES3_jPlPS6_PKS6_NS0_5tupleIJS9_S6_EEENSD_IJSA_SA_EEENS0_18inequality_wrapperIZN2at6native12_GLOBAL__N_124unique_dim_cuda_templateIN3c108BFloat16EEESt5tupleIJNSH_6TensorESO_SO_EERKSO_lbbbEUlllE0_EEPmJS6_EEE10hipError_tPvRmT3_T4_T5_T6_T7_T9_mT8_P12ihipStream_tbDpT10_ENKUlT_T0_E_clISt17integral_constantIbLb1EES1D_IbLb0EEEEDaS19_S1A_EUlS19_E_NS1_11comp_targetILNS1_3genE3ELNS1_11target_archE908ELNS1_3gpuE7ELNS1_3repE0EEENS1_30default_config_static_selectorELNS0_4arch9wavefront6targetE1EEEvT1_
		.amdhsa_group_segment_fixed_size 0
		.amdhsa_private_segment_fixed_size 0
		.amdhsa_kernarg_size 120
		.amdhsa_user_sgpr_count 2
		.amdhsa_user_sgpr_dispatch_ptr 0
		.amdhsa_user_sgpr_queue_ptr 0
		.amdhsa_user_sgpr_kernarg_segment_ptr 1
		.amdhsa_user_sgpr_dispatch_id 0
		.amdhsa_user_sgpr_kernarg_preload_length 0
		.amdhsa_user_sgpr_kernarg_preload_offset 0
		.amdhsa_user_sgpr_private_segment_size 0
		.amdhsa_uses_dynamic_stack 0
		.amdhsa_enable_private_segment 0
		.amdhsa_system_sgpr_workgroup_id_x 1
		.amdhsa_system_sgpr_workgroup_id_y 0
		.amdhsa_system_sgpr_workgroup_id_z 0
		.amdhsa_system_sgpr_workgroup_info 0
		.amdhsa_system_vgpr_workitem_id 0
		.amdhsa_next_free_vgpr 1
		.amdhsa_next_free_sgpr 0
		.amdhsa_accum_offset 4
		.amdhsa_reserve_vcc 0
		.amdhsa_float_round_mode_32 0
		.amdhsa_float_round_mode_16_64 0
		.amdhsa_float_denorm_mode_32 3
		.amdhsa_float_denorm_mode_16_64 3
		.amdhsa_dx10_clamp 1
		.amdhsa_ieee_mode 1
		.amdhsa_fp16_overflow 0
		.amdhsa_tg_split 0
		.amdhsa_exception_fp_ieee_invalid_op 0
		.amdhsa_exception_fp_denorm_src 0
		.amdhsa_exception_fp_ieee_div_zero 0
		.amdhsa_exception_fp_ieee_overflow 0
		.amdhsa_exception_fp_ieee_underflow 0
		.amdhsa_exception_fp_ieee_inexact 0
		.amdhsa_exception_int_div_zero 0
	.end_amdhsa_kernel
	.section	.text._ZN7rocprim17ROCPRIM_400000_NS6detail17trampoline_kernelINS0_14default_configENS1_25partition_config_selectorILNS1_17partition_subalgoE8ElNS0_10empty_typeEbEEZZNS1_14partition_implILS5_8ELb0ES3_jPlPS6_PKS6_NS0_5tupleIJS9_S6_EEENSD_IJSA_SA_EEENS0_18inequality_wrapperIZN2at6native12_GLOBAL__N_124unique_dim_cuda_templateIN3c108BFloat16EEESt5tupleIJNSH_6TensorESO_SO_EERKSO_lbbbEUlllE0_EEPmJS6_EEE10hipError_tPvRmT3_T4_T5_T6_T7_T9_mT8_P12ihipStream_tbDpT10_ENKUlT_T0_E_clISt17integral_constantIbLb1EES1D_IbLb0EEEEDaS19_S1A_EUlS19_E_NS1_11comp_targetILNS1_3genE3ELNS1_11target_archE908ELNS1_3gpuE7ELNS1_3repE0EEENS1_30default_config_static_selectorELNS0_4arch9wavefront6targetE1EEEvT1_,"axG",@progbits,_ZN7rocprim17ROCPRIM_400000_NS6detail17trampoline_kernelINS0_14default_configENS1_25partition_config_selectorILNS1_17partition_subalgoE8ElNS0_10empty_typeEbEEZZNS1_14partition_implILS5_8ELb0ES3_jPlPS6_PKS6_NS0_5tupleIJS9_S6_EEENSD_IJSA_SA_EEENS0_18inequality_wrapperIZN2at6native12_GLOBAL__N_124unique_dim_cuda_templateIN3c108BFloat16EEESt5tupleIJNSH_6TensorESO_SO_EERKSO_lbbbEUlllE0_EEPmJS6_EEE10hipError_tPvRmT3_T4_T5_T6_T7_T9_mT8_P12ihipStream_tbDpT10_ENKUlT_T0_E_clISt17integral_constantIbLb1EES1D_IbLb0EEEEDaS19_S1A_EUlS19_E_NS1_11comp_targetILNS1_3genE3ELNS1_11target_archE908ELNS1_3gpuE7ELNS1_3repE0EEENS1_30default_config_static_selectorELNS0_4arch9wavefront6targetE1EEEvT1_,comdat
.Lfunc_end1201:
	.size	_ZN7rocprim17ROCPRIM_400000_NS6detail17trampoline_kernelINS0_14default_configENS1_25partition_config_selectorILNS1_17partition_subalgoE8ElNS0_10empty_typeEbEEZZNS1_14partition_implILS5_8ELb0ES3_jPlPS6_PKS6_NS0_5tupleIJS9_S6_EEENSD_IJSA_SA_EEENS0_18inequality_wrapperIZN2at6native12_GLOBAL__N_124unique_dim_cuda_templateIN3c108BFloat16EEESt5tupleIJNSH_6TensorESO_SO_EERKSO_lbbbEUlllE0_EEPmJS6_EEE10hipError_tPvRmT3_T4_T5_T6_T7_T9_mT8_P12ihipStream_tbDpT10_ENKUlT_T0_E_clISt17integral_constantIbLb1EES1D_IbLb0EEEEDaS19_S1A_EUlS19_E_NS1_11comp_targetILNS1_3genE3ELNS1_11target_archE908ELNS1_3gpuE7ELNS1_3repE0EEENS1_30default_config_static_selectorELNS0_4arch9wavefront6targetE1EEEvT1_, .Lfunc_end1201-_ZN7rocprim17ROCPRIM_400000_NS6detail17trampoline_kernelINS0_14default_configENS1_25partition_config_selectorILNS1_17partition_subalgoE8ElNS0_10empty_typeEbEEZZNS1_14partition_implILS5_8ELb0ES3_jPlPS6_PKS6_NS0_5tupleIJS9_S6_EEENSD_IJSA_SA_EEENS0_18inequality_wrapperIZN2at6native12_GLOBAL__N_124unique_dim_cuda_templateIN3c108BFloat16EEESt5tupleIJNSH_6TensorESO_SO_EERKSO_lbbbEUlllE0_EEPmJS6_EEE10hipError_tPvRmT3_T4_T5_T6_T7_T9_mT8_P12ihipStream_tbDpT10_ENKUlT_T0_E_clISt17integral_constantIbLb1EES1D_IbLb0EEEEDaS19_S1A_EUlS19_E_NS1_11comp_targetILNS1_3genE3ELNS1_11target_archE908ELNS1_3gpuE7ELNS1_3repE0EEENS1_30default_config_static_selectorELNS0_4arch9wavefront6targetE1EEEvT1_
                                        ; -- End function
	.section	.AMDGPU.csdata,"",@progbits
; Kernel info:
; codeLenInByte = 0
; NumSgprs: 6
; NumVgprs: 0
; NumAgprs: 0
; TotalNumVgprs: 0
; ScratchSize: 0
; MemoryBound: 0
; FloatMode: 240
; IeeeMode: 1
; LDSByteSize: 0 bytes/workgroup (compile time only)
; SGPRBlocks: 0
; VGPRBlocks: 0
; NumSGPRsForWavesPerEU: 6
; NumVGPRsForWavesPerEU: 1
; AccumOffset: 4
; Occupancy: 8
; WaveLimiterHint : 0
; COMPUTE_PGM_RSRC2:SCRATCH_EN: 0
; COMPUTE_PGM_RSRC2:USER_SGPR: 2
; COMPUTE_PGM_RSRC2:TRAP_HANDLER: 0
; COMPUTE_PGM_RSRC2:TGID_X_EN: 1
; COMPUTE_PGM_RSRC2:TGID_Y_EN: 0
; COMPUTE_PGM_RSRC2:TGID_Z_EN: 0
; COMPUTE_PGM_RSRC2:TIDIG_COMP_CNT: 0
; COMPUTE_PGM_RSRC3_GFX90A:ACCUM_OFFSET: 0
; COMPUTE_PGM_RSRC3_GFX90A:TG_SPLIT: 0
	.section	.text._ZN7rocprim17ROCPRIM_400000_NS6detail17trampoline_kernelINS0_14default_configENS1_25partition_config_selectorILNS1_17partition_subalgoE8ElNS0_10empty_typeEbEEZZNS1_14partition_implILS5_8ELb0ES3_jPlPS6_PKS6_NS0_5tupleIJS9_S6_EEENSD_IJSA_SA_EEENS0_18inequality_wrapperIZN2at6native12_GLOBAL__N_124unique_dim_cuda_templateIN3c108BFloat16EEESt5tupleIJNSH_6TensorESO_SO_EERKSO_lbbbEUlllE0_EEPmJS6_EEE10hipError_tPvRmT3_T4_T5_T6_T7_T9_mT8_P12ihipStream_tbDpT10_ENKUlT_T0_E_clISt17integral_constantIbLb1EES1D_IbLb0EEEEDaS19_S1A_EUlS19_E_NS1_11comp_targetILNS1_3genE2ELNS1_11target_archE906ELNS1_3gpuE6ELNS1_3repE0EEENS1_30default_config_static_selectorELNS0_4arch9wavefront6targetE1EEEvT1_,"axG",@progbits,_ZN7rocprim17ROCPRIM_400000_NS6detail17trampoline_kernelINS0_14default_configENS1_25partition_config_selectorILNS1_17partition_subalgoE8ElNS0_10empty_typeEbEEZZNS1_14partition_implILS5_8ELb0ES3_jPlPS6_PKS6_NS0_5tupleIJS9_S6_EEENSD_IJSA_SA_EEENS0_18inequality_wrapperIZN2at6native12_GLOBAL__N_124unique_dim_cuda_templateIN3c108BFloat16EEESt5tupleIJNSH_6TensorESO_SO_EERKSO_lbbbEUlllE0_EEPmJS6_EEE10hipError_tPvRmT3_T4_T5_T6_T7_T9_mT8_P12ihipStream_tbDpT10_ENKUlT_T0_E_clISt17integral_constantIbLb1EES1D_IbLb0EEEEDaS19_S1A_EUlS19_E_NS1_11comp_targetILNS1_3genE2ELNS1_11target_archE906ELNS1_3gpuE6ELNS1_3repE0EEENS1_30default_config_static_selectorELNS0_4arch9wavefront6targetE1EEEvT1_,comdat
	.globl	_ZN7rocprim17ROCPRIM_400000_NS6detail17trampoline_kernelINS0_14default_configENS1_25partition_config_selectorILNS1_17partition_subalgoE8ElNS0_10empty_typeEbEEZZNS1_14partition_implILS5_8ELb0ES3_jPlPS6_PKS6_NS0_5tupleIJS9_S6_EEENSD_IJSA_SA_EEENS0_18inequality_wrapperIZN2at6native12_GLOBAL__N_124unique_dim_cuda_templateIN3c108BFloat16EEESt5tupleIJNSH_6TensorESO_SO_EERKSO_lbbbEUlllE0_EEPmJS6_EEE10hipError_tPvRmT3_T4_T5_T6_T7_T9_mT8_P12ihipStream_tbDpT10_ENKUlT_T0_E_clISt17integral_constantIbLb1EES1D_IbLb0EEEEDaS19_S1A_EUlS19_E_NS1_11comp_targetILNS1_3genE2ELNS1_11target_archE906ELNS1_3gpuE6ELNS1_3repE0EEENS1_30default_config_static_selectorELNS0_4arch9wavefront6targetE1EEEvT1_ ; -- Begin function _ZN7rocprim17ROCPRIM_400000_NS6detail17trampoline_kernelINS0_14default_configENS1_25partition_config_selectorILNS1_17partition_subalgoE8ElNS0_10empty_typeEbEEZZNS1_14partition_implILS5_8ELb0ES3_jPlPS6_PKS6_NS0_5tupleIJS9_S6_EEENSD_IJSA_SA_EEENS0_18inequality_wrapperIZN2at6native12_GLOBAL__N_124unique_dim_cuda_templateIN3c108BFloat16EEESt5tupleIJNSH_6TensorESO_SO_EERKSO_lbbbEUlllE0_EEPmJS6_EEE10hipError_tPvRmT3_T4_T5_T6_T7_T9_mT8_P12ihipStream_tbDpT10_ENKUlT_T0_E_clISt17integral_constantIbLb1EES1D_IbLb0EEEEDaS19_S1A_EUlS19_E_NS1_11comp_targetILNS1_3genE2ELNS1_11target_archE906ELNS1_3gpuE6ELNS1_3repE0EEENS1_30default_config_static_selectorELNS0_4arch9wavefront6targetE1EEEvT1_
	.p2align	8
	.type	_ZN7rocprim17ROCPRIM_400000_NS6detail17trampoline_kernelINS0_14default_configENS1_25partition_config_selectorILNS1_17partition_subalgoE8ElNS0_10empty_typeEbEEZZNS1_14partition_implILS5_8ELb0ES3_jPlPS6_PKS6_NS0_5tupleIJS9_S6_EEENSD_IJSA_SA_EEENS0_18inequality_wrapperIZN2at6native12_GLOBAL__N_124unique_dim_cuda_templateIN3c108BFloat16EEESt5tupleIJNSH_6TensorESO_SO_EERKSO_lbbbEUlllE0_EEPmJS6_EEE10hipError_tPvRmT3_T4_T5_T6_T7_T9_mT8_P12ihipStream_tbDpT10_ENKUlT_T0_E_clISt17integral_constantIbLb1EES1D_IbLb0EEEEDaS19_S1A_EUlS19_E_NS1_11comp_targetILNS1_3genE2ELNS1_11target_archE906ELNS1_3gpuE6ELNS1_3repE0EEENS1_30default_config_static_selectorELNS0_4arch9wavefront6targetE1EEEvT1_,@function
_ZN7rocprim17ROCPRIM_400000_NS6detail17trampoline_kernelINS0_14default_configENS1_25partition_config_selectorILNS1_17partition_subalgoE8ElNS0_10empty_typeEbEEZZNS1_14partition_implILS5_8ELb0ES3_jPlPS6_PKS6_NS0_5tupleIJS9_S6_EEENSD_IJSA_SA_EEENS0_18inequality_wrapperIZN2at6native12_GLOBAL__N_124unique_dim_cuda_templateIN3c108BFloat16EEESt5tupleIJNSH_6TensorESO_SO_EERKSO_lbbbEUlllE0_EEPmJS6_EEE10hipError_tPvRmT3_T4_T5_T6_T7_T9_mT8_P12ihipStream_tbDpT10_ENKUlT_T0_E_clISt17integral_constantIbLb1EES1D_IbLb0EEEEDaS19_S1A_EUlS19_E_NS1_11comp_targetILNS1_3genE2ELNS1_11target_archE906ELNS1_3gpuE6ELNS1_3repE0EEENS1_30default_config_static_selectorELNS0_4arch9wavefront6targetE1EEEvT1_: ; @_ZN7rocprim17ROCPRIM_400000_NS6detail17trampoline_kernelINS0_14default_configENS1_25partition_config_selectorILNS1_17partition_subalgoE8ElNS0_10empty_typeEbEEZZNS1_14partition_implILS5_8ELb0ES3_jPlPS6_PKS6_NS0_5tupleIJS9_S6_EEENSD_IJSA_SA_EEENS0_18inequality_wrapperIZN2at6native12_GLOBAL__N_124unique_dim_cuda_templateIN3c108BFloat16EEESt5tupleIJNSH_6TensorESO_SO_EERKSO_lbbbEUlllE0_EEPmJS6_EEE10hipError_tPvRmT3_T4_T5_T6_T7_T9_mT8_P12ihipStream_tbDpT10_ENKUlT_T0_E_clISt17integral_constantIbLb1EES1D_IbLb0EEEEDaS19_S1A_EUlS19_E_NS1_11comp_targetILNS1_3genE2ELNS1_11target_archE906ELNS1_3gpuE6ELNS1_3repE0EEENS1_30default_config_static_selectorELNS0_4arch9wavefront6targetE1EEEvT1_
; %bb.0:
	.section	.rodata,"a",@progbits
	.p2align	6, 0x0
	.amdhsa_kernel _ZN7rocprim17ROCPRIM_400000_NS6detail17trampoline_kernelINS0_14default_configENS1_25partition_config_selectorILNS1_17partition_subalgoE8ElNS0_10empty_typeEbEEZZNS1_14partition_implILS5_8ELb0ES3_jPlPS6_PKS6_NS0_5tupleIJS9_S6_EEENSD_IJSA_SA_EEENS0_18inequality_wrapperIZN2at6native12_GLOBAL__N_124unique_dim_cuda_templateIN3c108BFloat16EEESt5tupleIJNSH_6TensorESO_SO_EERKSO_lbbbEUlllE0_EEPmJS6_EEE10hipError_tPvRmT3_T4_T5_T6_T7_T9_mT8_P12ihipStream_tbDpT10_ENKUlT_T0_E_clISt17integral_constantIbLb1EES1D_IbLb0EEEEDaS19_S1A_EUlS19_E_NS1_11comp_targetILNS1_3genE2ELNS1_11target_archE906ELNS1_3gpuE6ELNS1_3repE0EEENS1_30default_config_static_selectorELNS0_4arch9wavefront6targetE1EEEvT1_
		.amdhsa_group_segment_fixed_size 0
		.amdhsa_private_segment_fixed_size 0
		.amdhsa_kernarg_size 120
		.amdhsa_user_sgpr_count 2
		.amdhsa_user_sgpr_dispatch_ptr 0
		.amdhsa_user_sgpr_queue_ptr 0
		.amdhsa_user_sgpr_kernarg_segment_ptr 1
		.amdhsa_user_sgpr_dispatch_id 0
		.amdhsa_user_sgpr_kernarg_preload_length 0
		.amdhsa_user_sgpr_kernarg_preload_offset 0
		.amdhsa_user_sgpr_private_segment_size 0
		.amdhsa_uses_dynamic_stack 0
		.amdhsa_enable_private_segment 0
		.amdhsa_system_sgpr_workgroup_id_x 1
		.amdhsa_system_sgpr_workgroup_id_y 0
		.amdhsa_system_sgpr_workgroup_id_z 0
		.amdhsa_system_sgpr_workgroup_info 0
		.amdhsa_system_vgpr_workitem_id 0
		.amdhsa_next_free_vgpr 1
		.amdhsa_next_free_sgpr 0
		.amdhsa_accum_offset 4
		.amdhsa_reserve_vcc 0
		.amdhsa_float_round_mode_32 0
		.amdhsa_float_round_mode_16_64 0
		.amdhsa_float_denorm_mode_32 3
		.amdhsa_float_denorm_mode_16_64 3
		.amdhsa_dx10_clamp 1
		.amdhsa_ieee_mode 1
		.amdhsa_fp16_overflow 0
		.amdhsa_tg_split 0
		.amdhsa_exception_fp_ieee_invalid_op 0
		.amdhsa_exception_fp_denorm_src 0
		.amdhsa_exception_fp_ieee_div_zero 0
		.amdhsa_exception_fp_ieee_overflow 0
		.amdhsa_exception_fp_ieee_underflow 0
		.amdhsa_exception_fp_ieee_inexact 0
		.amdhsa_exception_int_div_zero 0
	.end_amdhsa_kernel
	.section	.text._ZN7rocprim17ROCPRIM_400000_NS6detail17trampoline_kernelINS0_14default_configENS1_25partition_config_selectorILNS1_17partition_subalgoE8ElNS0_10empty_typeEbEEZZNS1_14partition_implILS5_8ELb0ES3_jPlPS6_PKS6_NS0_5tupleIJS9_S6_EEENSD_IJSA_SA_EEENS0_18inequality_wrapperIZN2at6native12_GLOBAL__N_124unique_dim_cuda_templateIN3c108BFloat16EEESt5tupleIJNSH_6TensorESO_SO_EERKSO_lbbbEUlllE0_EEPmJS6_EEE10hipError_tPvRmT3_T4_T5_T6_T7_T9_mT8_P12ihipStream_tbDpT10_ENKUlT_T0_E_clISt17integral_constantIbLb1EES1D_IbLb0EEEEDaS19_S1A_EUlS19_E_NS1_11comp_targetILNS1_3genE2ELNS1_11target_archE906ELNS1_3gpuE6ELNS1_3repE0EEENS1_30default_config_static_selectorELNS0_4arch9wavefront6targetE1EEEvT1_,"axG",@progbits,_ZN7rocprim17ROCPRIM_400000_NS6detail17trampoline_kernelINS0_14default_configENS1_25partition_config_selectorILNS1_17partition_subalgoE8ElNS0_10empty_typeEbEEZZNS1_14partition_implILS5_8ELb0ES3_jPlPS6_PKS6_NS0_5tupleIJS9_S6_EEENSD_IJSA_SA_EEENS0_18inequality_wrapperIZN2at6native12_GLOBAL__N_124unique_dim_cuda_templateIN3c108BFloat16EEESt5tupleIJNSH_6TensorESO_SO_EERKSO_lbbbEUlllE0_EEPmJS6_EEE10hipError_tPvRmT3_T4_T5_T6_T7_T9_mT8_P12ihipStream_tbDpT10_ENKUlT_T0_E_clISt17integral_constantIbLb1EES1D_IbLb0EEEEDaS19_S1A_EUlS19_E_NS1_11comp_targetILNS1_3genE2ELNS1_11target_archE906ELNS1_3gpuE6ELNS1_3repE0EEENS1_30default_config_static_selectorELNS0_4arch9wavefront6targetE1EEEvT1_,comdat
.Lfunc_end1202:
	.size	_ZN7rocprim17ROCPRIM_400000_NS6detail17trampoline_kernelINS0_14default_configENS1_25partition_config_selectorILNS1_17partition_subalgoE8ElNS0_10empty_typeEbEEZZNS1_14partition_implILS5_8ELb0ES3_jPlPS6_PKS6_NS0_5tupleIJS9_S6_EEENSD_IJSA_SA_EEENS0_18inequality_wrapperIZN2at6native12_GLOBAL__N_124unique_dim_cuda_templateIN3c108BFloat16EEESt5tupleIJNSH_6TensorESO_SO_EERKSO_lbbbEUlllE0_EEPmJS6_EEE10hipError_tPvRmT3_T4_T5_T6_T7_T9_mT8_P12ihipStream_tbDpT10_ENKUlT_T0_E_clISt17integral_constantIbLb1EES1D_IbLb0EEEEDaS19_S1A_EUlS19_E_NS1_11comp_targetILNS1_3genE2ELNS1_11target_archE906ELNS1_3gpuE6ELNS1_3repE0EEENS1_30default_config_static_selectorELNS0_4arch9wavefront6targetE1EEEvT1_, .Lfunc_end1202-_ZN7rocprim17ROCPRIM_400000_NS6detail17trampoline_kernelINS0_14default_configENS1_25partition_config_selectorILNS1_17partition_subalgoE8ElNS0_10empty_typeEbEEZZNS1_14partition_implILS5_8ELb0ES3_jPlPS6_PKS6_NS0_5tupleIJS9_S6_EEENSD_IJSA_SA_EEENS0_18inequality_wrapperIZN2at6native12_GLOBAL__N_124unique_dim_cuda_templateIN3c108BFloat16EEESt5tupleIJNSH_6TensorESO_SO_EERKSO_lbbbEUlllE0_EEPmJS6_EEE10hipError_tPvRmT3_T4_T5_T6_T7_T9_mT8_P12ihipStream_tbDpT10_ENKUlT_T0_E_clISt17integral_constantIbLb1EES1D_IbLb0EEEEDaS19_S1A_EUlS19_E_NS1_11comp_targetILNS1_3genE2ELNS1_11target_archE906ELNS1_3gpuE6ELNS1_3repE0EEENS1_30default_config_static_selectorELNS0_4arch9wavefront6targetE1EEEvT1_
                                        ; -- End function
	.section	.AMDGPU.csdata,"",@progbits
; Kernel info:
; codeLenInByte = 0
; NumSgprs: 6
; NumVgprs: 0
; NumAgprs: 0
; TotalNumVgprs: 0
; ScratchSize: 0
; MemoryBound: 0
; FloatMode: 240
; IeeeMode: 1
; LDSByteSize: 0 bytes/workgroup (compile time only)
; SGPRBlocks: 0
; VGPRBlocks: 0
; NumSGPRsForWavesPerEU: 6
; NumVGPRsForWavesPerEU: 1
; AccumOffset: 4
; Occupancy: 8
; WaveLimiterHint : 0
; COMPUTE_PGM_RSRC2:SCRATCH_EN: 0
; COMPUTE_PGM_RSRC2:USER_SGPR: 2
; COMPUTE_PGM_RSRC2:TRAP_HANDLER: 0
; COMPUTE_PGM_RSRC2:TGID_X_EN: 1
; COMPUTE_PGM_RSRC2:TGID_Y_EN: 0
; COMPUTE_PGM_RSRC2:TGID_Z_EN: 0
; COMPUTE_PGM_RSRC2:TIDIG_COMP_CNT: 0
; COMPUTE_PGM_RSRC3_GFX90A:ACCUM_OFFSET: 0
; COMPUTE_PGM_RSRC3_GFX90A:TG_SPLIT: 0
	.section	.text._ZN7rocprim17ROCPRIM_400000_NS6detail17trampoline_kernelINS0_14default_configENS1_25partition_config_selectorILNS1_17partition_subalgoE8ElNS0_10empty_typeEbEEZZNS1_14partition_implILS5_8ELb0ES3_jPlPS6_PKS6_NS0_5tupleIJS9_S6_EEENSD_IJSA_SA_EEENS0_18inequality_wrapperIZN2at6native12_GLOBAL__N_124unique_dim_cuda_templateIN3c108BFloat16EEESt5tupleIJNSH_6TensorESO_SO_EERKSO_lbbbEUlllE0_EEPmJS6_EEE10hipError_tPvRmT3_T4_T5_T6_T7_T9_mT8_P12ihipStream_tbDpT10_ENKUlT_T0_E_clISt17integral_constantIbLb1EES1D_IbLb0EEEEDaS19_S1A_EUlS19_E_NS1_11comp_targetILNS1_3genE10ELNS1_11target_archE1200ELNS1_3gpuE4ELNS1_3repE0EEENS1_30default_config_static_selectorELNS0_4arch9wavefront6targetE1EEEvT1_,"axG",@progbits,_ZN7rocprim17ROCPRIM_400000_NS6detail17trampoline_kernelINS0_14default_configENS1_25partition_config_selectorILNS1_17partition_subalgoE8ElNS0_10empty_typeEbEEZZNS1_14partition_implILS5_8ELb0ES3_jPlPS6_PKS6_NS0_5tupleIJS9_S6_EEENSD_IJSA_SA_EEENS0_18inequality_wrapperIZN2at6native12_GLOBAL__N_124unique_dim_cuda_templateIN3c108BFloat16EEESt5tupleIJNSH_6TensorESO_SO_EERKSO_lbbbEUlllE0_EEPmJS6_EEE10hipError_tPvRmT3_T4_T5_T6_T7_T9_mT8_P12ihipStream_tbDpT10_ENKUlT_T0_E_clISt17integral_constantIbLb1EES1D_IbLb0EEEEDaS19_S1A_EUlS19_E_NS1_11comp_targetILNS1_3genE10ELNS1_11target_archE1200ELNS1_3gpuE4ELNS1_3repE0EEENS1_30default_config_static_selectorELNS0_4arch9wavefront6targetE1EEEvT1_,comdat
	.globl	_ZN7rocprim17ROCPRIM_400000_NS6detail17trampoline_kernelINS0_14default_configENS1_25partition_config_selectorILNS1_17partition_subalgoE8ElNS0_10empty_typeEbEEZZNS1_14partition_implILS5_8ELb0ES3_jPlPS6_PKS6_NS0_5tupleIJS9_S6_EEENSD_IJSA_SA_EEENS0_18inequality_wrapperIZN2at6native12_GLOBAL__N_124unique_dim_cuda_templateIN3c108BFloat16EEESt5tupleIJNSH_6TensorESO_SO_EERKSO_lbbbEUlllE0_EEPmJS6_EEE10hipError_tPvRmT3_T4_T5_T6_T7_T9_mT8_P12ihipStream_tbDpT10_ENKUlT_T0_E_clISt17integral_constantIbLb1EES1D_IbLb0EEEEDaS19_S1A_EUlS19_E_NS1_11comp_targetILNS1_3genE10ELNS1_11target_archE1200ELNS1_3gpuE4ELNS1_3repE0EEENS1_30default_config_static_selectorELNS0_4arch9wavefront6targetE1EEEvT1_ ; -- Begin function _ZN7rocprim17ROCPRIM_400000_NS6detail17trampoline_kernelINS0_14default_configENS1_25partition_config_selectorILNS1_17partition_subalgoE8ElNS0_10empty_typeEbEEZZNS1_14partition_implILS5_8ELb0ES3_jPlPS6_PKS6_NS0_5tupleIJS9_S6_EEENSD_IJSA_SA_EEENS0_18inequality_wrapperIZN2at6native12_GLOBAL__N_124unique_dim_cuda_templateIN3c108BFloat16EEESt5tupleIJNSH_6TensorESO_SO_EERKSO_lbbbEUlllE0_EEPmJS6_EEE10hipError_tPvRmT3_T4_T5_T6_T7_T9_mT8_P12ihipStream_tbDpT10_ENKUlT_T0_E_clISt17integral_constantIbLb1EES1D_IbLb0EEEEDaS19_S1A_EUlS19_E_NS1_11comp_targetILNS1_3genE10ELNS1_11target_archE1200ELNS1_3gpuE4ELNS1_3repE0EEENS1_30default_config_static_selectorELNS0_4arch9wavefront6targetE1EEEvT1_
	.p2align	8
	.type	_ZN7rocprim17ROCPRIM_400000_NS6detail17trampoline_kernelINS0_14default_configENS1_25partition_config_selectorILNS1_17partition_subalgoE8ElNS0_10empty_typeEbEEZZNS1_14partition_implILS5_8ELb0ES3_jPlPS6_PKS6_NS0_5tupleIJS9_S6_EEENSD_IJSA_SA_EEENS0_18inequality_wrapperIZN2at6native12_GLOBAL__N_124unique_dim_cuda_templateIN3c108BFloat16EEESt5tupleIJNSH_6TensorESO_SO_EERKSO_lbbbEUlllE0_EEPmJS6_EEE10hipError_tPvRmT3_T4_T5_T6_T7_T9_mT8_P12ihipStream_tbDpT10_ENKUlT_T0_E_clISt17integral_constantIbLb1EES1D_IbLb0EEEEDaS19_S1A_EUlS19_E_NS1_11comp_targetILNS1_3genE10ELNS1_11target_archE1200ELNS1_3gpuE4ELNS1_3repE0EEENS1_30default_config_static_selectorELNS0_4arch9wavefront6targetE1EEEvT1_,@function
_ZN7rocprim17ROCPRIM_400000_NS6detail17trampoline_kernelINS0_14default_configENS1_25partition_config_selectorILNS1_17partition_subalgoE8ElNS0_10empty_typeEbEEZZNS1_14partition_implILS5_8ELb0ES3_jPlPS6_PKS6_NS0_5tupleIJS9_S6_EEENSD_IJSA_SA_EEENS0_18inequality_wrapperIZN2at6native12_GLOBAL__N_124unique_dim_cuda_templateIN3c108BFloat16EEESt5tupleIJNSH_6TensorESO_SO_EERKSO_lbbbEUlllE0_EEPmJS6_EEE10hipError_tPvRmT3_T4_T5_T6_T7_T9_mT8_P12ihipStream_tbDpT10_ENKUlT_T0_E_clISt17integral_constantIbLb1EES1D_IbLb0EEEEDaS19_S1A_EUlS19_E_NS1_11comp_targetILNS1_3genE10ELNS1_11target_archE1200ELNS1_3gpuE4ELNS1_3repE0EEENS1_30default_config_static_selectorELNS0_4arch9wavefront6targetE1EEEvT1_: ; @_ZN7rocprim17ROCPRIM_400000_NS6detail17trampoline_kernelINS0_14default_configENS1_25partition_config_selectorILNS1_17partition_subalgoE8ElNS0_10empty_typeEbEEZZNS1_14partition_implILS5_8ELb0ES3_jPlPS6_PKS6_NS0_5tupleIJS9_S6_EEENSD_IJSA_SA_EEENS0_18inequality_wrapperIZN2at6native12_GLOBAL__N_124unique_dim_cuda_templateIN3c108BFloat16EEESt5tupleIJNSH_6TensorESO_SO_EERKSO_lbbbEUlllE0_EEPmJS6_EEE10hipError_tPvRmT3_T4_T5_T6_T7_T9_mT8_P12ihipStream_tbDpT10_ENKUlT_T0_E_clISt17integral_constantIbLb1EES1D_IbLb0EEEEDaS19_S1A_EUlS19_E_NS1_11comp_targetILNS1_3genE10ELNS1_11target_archE1200ELNS1_3gpuE4ELNS1_3repE0EEENS1_30default_config_static_selectorELNS0_4arch9wavefront6targetE1EEEvT1_
; %bb.0:
	.section	.rodata,"a",@progbits
	.p2align	6, 0x0
	.amdhsa_kernel _ZN7rocprim17ROCPRIM_400000_NS6detail17trampoline_kernelINS0_14default_configENS1_25partition_config_selectorILNS1_17partition_subalgoE8ElNS0_10empty_typeEbEEZZNS1_14partition_implILS5_8ELb0ES3_jPlPS6_PKS6_NS0_5tupleIJS9_S6_EEENSD_IJSA_SA_EEENS0_18inequality_wrapperIZN2at6native12_GLOBAL__N_124unique_dim_cuda_templateIN3c108BFloat16EEESt5tupleIJNSH_6TensorESO_SO_EERKSO_lbbbEUlllE0_EEPmJS6_EEE10hipError_tPvRmT3_T4_T5_T6_T7_T9_mT8_P12ihipStream_tbDpT10_ENKUlT_T0_E_clISt17integral_constantIbLb1EES1D_IbLb0EEEEDaS19_S1A_EUlS19_E_NS1_11comp_targetILNS1_3genE10ELNS1_11target_archE1200ELNS1_3gpuE4ELNS1_3repE0EEENS1_30default_config_static_selectorELNS0_4arch9wavefront6targetE1EEEvT1_
		.amdhsa_group_segment_fixed_size 0
		.amdhsa_private_segment_fixed_size 0
		.amdhsa_kernarg_size 120
		.amdhsa_user_sgpr_count 2
		.amdhsa_user_sgpr_dispatch_ptr 0
		.amdhsa_user_sgpr_queue_ptr 0
		.amdhsa_user_sgpr_kernarg_segment_ptr 1
		.amdhsa_user_sgpr_dispatch_id 0
		.amdhsa_user_sgpr_kernarg_preload_length 0
		.amdhsa_user_sgpr_kernarg_preload_offset 0
		.amdhsa_user_sgpr_private_segment_size 0
		.amdhsa_uses_dynamic_stack 0
		.amdhsa_enable_private_segment 0
		.amdhsa_system_sgpr_workgroup_id_x 1
		.amdhsa_system_sgpr_workgroup_id_y 0
		.amdhsa_system_sgpr_workgroup_id_z 0
		.amdhsa_system_sgpr_workgroup_info 0
		.amdhsa_system_vgpr_workitem_id 0
		.amdhsa_next_free_vgpr 1
		.amdhsa_next_free_sgpr 0
		.amdhsa_accum_offset 4
		.amdhsa_reserve_vcc 0
		.amdhsa_float_round_mode_32 0
		.amdhsa_float_round_mode_16_64 0
		.amdhsa_float_denorm_mode_32 3
		.amdhsa_float_denorm_mode_16_64 3
		.amdhsa_dx10_clamp 1
		.amdhsa_ieee_mode 1
		.amdhsa_fp16_overflow 0
		.amdhsa_tg_split 0
		.amdhsa_exception_fp_ieee_invalid_op 0
		.amdhsa_exception_fp_denorm_src 0
		.amdhsa_exception_fp_ieee_div_zero 0
		.amdhsa_exception_fp_ieee_overflow 0
		.amdhsa_exception_fp_ieee_underflow 0
		.amdhsa_exception_fp_ieee_inexact 0
		.amdhsa_exception_int_div_zero 0
	.end_amdhsa_kernel
	.section	.text._ZN7rocprim17ROCPRIM_400000_NS6detail17trampoline_kernelINS0_14default_configENS1_25partition_config_selectorILNS1_17partition_subalgoE8ElNS0_10empty_typeEbEEZZNS1_14partition_implILS5_8ELb0ES3_jPlPS6_PKS6_NS0_5tupleIJS9_S6_EEENSD_IJSA_SA_EEENS0_18inequality_wrapperIZN2at6native12_GLOBAL__N_124unique_dim_cuda_templateIN3c108BFloat16EEESt5tupleIJNSH_6TensorESO_SO_EERKSO_lbbbEUlllE0_EEPmJS6_EEE10hipError_tPvRmT3_T4_T5_T6_T7_T9_mT8_P12ihipStream_tbDpT10_ENKUlT_T0_E_clISt17integral_constantIbLb1EES1D_IbLb0EEEEDaS19_S1A_EUlS19_E_NS1_11comp_targetILNS1_3genE10ELNS1_11target_archE1200ELNS1_3gpuE4ELNS1_3repE0EEENS1_30default_config_static_selectorELNS0_4arch9wavefront6targetE1EEEvT1_,"axG",@progbits,_ZN7rocprim17ROCPRIM_400000_NS6detail17trampoline_kernelINS0_14default_configENS1_25partition_config_selectorILNS1_17partition_subalgoE8ElNS0_10empty_typeEbEEZZNS1_14partition_implILS5_8ELb0ES3_jPlPS6_PKS6_NS0_5tupleIJS9_S6_EEENSD_IJSA_SA_EEENS0_18inequality_wrapperIZN2at6native12_GLOBAL__N_124unique_dim_cuda_templateIN3c108BFloat16EEESt5tupleIJNSH_6TensorESO_SO_EERKSO_lbbbEUlllE0_EEPmJS6_EEE10hipError_tPvRmT3_T4_T5_T6_T7_T9_mT8_P12ihipStream_tbDpT10_ENKUlT_T0_E_clISt17integral_constantIbLb1EES1D_IbLb0EEEEDaS19_S1A_EUlS19_E_NS1_11comp_targetILNS1_3genE10ELNS1_11target_archE1200ELNS1_3gpuE4ELNS1_3repE0EEENS1_30default_config_static_selectorELNS0_4arch9wavefront6targetE1EEEvT1_,comdat
.Lfunc_end1203:
	.size	_ZN7rocprim17ROCPRIM_400000_NS6detail17trampoline_kernelINS0_14default_configENS1_25partition_config_selectorILNS1_17partition_subalgoE8ElNS0_10empty_typeEbEEZZNS1_14partition_implILS5_8ELb0ES3_jPlPS6_PKS6_NS0_5tupleIJS9_S6_EEENSD_IJSA_SA_EEENS0_18inequality_wrapperIZN2at6native12_GLOBAL__N_124unique_dim_cuda_templateIN3c108BFloat16EEESt5tupleIJNSH_6TensorESO_SO_EERKSO_lbbbEUlllE0_EEPmJS6_EEE10hipError_tPvRmT3_T4_T5_T6_T7_T9_mT8_P12ihipStream_tbDpT10_ENKUlT_T0_E_clISt17integral_constantIbLb1EES1D_IbLb0EEEEDaS19_S1A_EUlS19_E_NS1_11comp_targetILNS1_3genE10ELNS1_11target_archE1200ELNS1_3gpuE4ELNS1_3repE0EEENS1_30default_config_static_selectorELNS0_4arch9wavefront6targetE1EEEvT1_, .Lfunc_end1203-_ZN7rocprim17ROCPRIM_400000_NS6detail17trampoline_kernelINS0_14default_configENS1_25partition_config_selectorILNS1_17partition_subalgoE8ElNS0_10empty_typeEbEEZZNS1_14partition_implILS5_8ELb0ES3_jPlPS6_PKS6_NS0_5tupleIJS9_S6_EEENSD_IJSA_SA_EEENS0_18inequality_wrapperIZN2at6native12_GLOBAL__N_124unique_dim_cuda_templateIN3c108BFloat16EEESt5tupleIJNSH_6TensorESO_SO_EERKSO_lbbbEUlllE0_EEPmJS6_EEE10hipError_tPvRmT3_T4_T5_T6_T7_T9_mT8_P12ihipStream_tbDpT10_ENKUlT_T0_E_clISt17integral_constantIbLb1EES1D_IbLb0EEEEDaS19_S1A_EUlS19_E_NS1_11comp_targetILNS1_3genE10ELNS1_11target_archE1200ELNS1_3gpuE4ELNS1_3repE0EEENS1_30default_config_static_selectorELNS0_4arch9wavefront6targetE1EEEvT1_
                                        ; -- End function
	.section	.AMDGPU.csdata,"",@progbits
; Kernel info:
; codeLenInByte = 0
; NumSgprs: 6
; NumVgprs: 0
; NumAgprs: 0
; TotalNumVgprs: 0
; ScratchSize: 0
; MemoryBound: 0
; FloatMode: 240
; IeeeMode: 1
; LDSByteSize: 0 bytes/workgroup (compile time only)
; SGPRBlocks: 0
; VGPRBlocks: 0
; NumSGPRsForWavesPerEU: 6
; NumVGPRsForWavesPerEU: 1
; AccumOffset: 4
; Occupancy: 8
; WaveLimiterHint : 0
; COMPUTE_PGM_RSRC2:SCRATCH_EN: 0
; COMPUTE_PGM_RSRC2:USER_SGPR: 2
; COMPUTE_PGM_RSRC2:TRAP_HANDLER: 0
; COMPUTE_PGM_RSRC2:TGID_X_EN: 1
; COMPUTE_PGM_RSRC2:TGID_Y_EN: 0
; COMPUTE_PGM_RSRC2:TGID_Z_EN: 0
; COMPUTE_PGM_RSRC2:TIDIG_COMP_CNT: 0
; COMPUTE_PGM_RSRC3_GFX90A:ACCUM_OFFSET: 0
; COMPUTE_PGM_RSRC3_GFX90A:TG_SPLIT: 0
	.section	.text._ZN7rocprim17ROCPRIM_400000_NS6detail17trampoline_kernelINS0_14default_configENS1_25partition_config_selectorILNS1_17partition_subalgoE8ElNS0_10empty_typeEbEEZZNS1_14partition_implILS5_8ELb0ES3_jPlPS6_PKS6_NS0_5tupleIJS9_S6_EEENSD_IJSA_SA_EEENS0_18inequality_wrapperIZN2at6native12_GLOBAL__N_124unique_dim_cuda_templateIN3c108BFloat16EEESt5tupleIJNSH_6TensorESO_SO_EERKSO_lbbbEUlllE0_EEPmJS6_EEE10hipError_tPvRmT3_T4_T5_T6_T7_T9_mT8_P12ihipStream_tbDpT10_ENKUlT_T0_E_clISt17integral_constantIbLb1EES1D_IbLb0EEEEDaS19_S1A_EUlS19_E_NS1_11comp_targetILNS1_3genE9ELNS1_11target_archE1100ELNS1_3gpuE3ELNS1_3repE0EEENS1_30default_config_static_selectorELNS0_4arch9wavefront6targetE1EEEvT1_,"axG",@progbits,_ZN7rocprim17ROCPRIM_400000_NS6detail17trampoline_kernelINS0_14default_configENS1_25partition_config_selectorILNS1_17partition_subalgoE8ElNS0_10empty_typeEbEEZZNS1_14partition_implILS5_8ELb0ES3_jPlPS6_PKS6_NS0_5tupleIJS9_S6_EEENSD_IJSA_SA_EEENS0_18inequality_wrapperIZN2at6native12_GLOBAL__N_124unique_dim_cuda_templateIN3c108BFloat16EEESt5tupleIJNSH_6TensorESO_SO_EERKSO_lbbbEUlllE0_EEPmJS6_EEE10hipError_tPvRmT3_T4_T5_T6_T7_T9_mT8_P12ihipStream_tbDpT10_ENKUlT_T0_E_clISt17integral_constantIbLb1EES1D_IbLb0EEEEDaS19_S1A_EUlS19_E_NS1_11comp_targetILNS1_3genE9ELNS1_11target_archE1100ELNS1_3gpuE3ELNS1_3repE0EEENS1_30default_config_static_selectorELNS0_4arch9wavefront6targetE1EEEvT1_,comdat
	.globl	_ZN7rocprim17ROCPRIM_400000_NS6detail17trampoline_kernelINS0_14default_configENS1_25partition_config_selectorILNS1_17partition_subalgoE8ElNS0_10empty_typeEbEEZZNS1_14partition_implILS5_8ELb0ES3_jPlPS6_PKS6_NS0_5tupleIJS9_S6_EEENSD_IJSA_SA_EEENS0_18inequality_wrapperIZN2at6native12_GLOBAL__N_124unique_dim_cuda_templateIN3c108BFloat16EEESt5tupleIJNSH_6TensorESO_SO_EERKSO_lbbbEUlllE0_EEPmJS6_EEE10hipError_tPvRmT3_T4_T5_T6_T7_T9_mT8_P12ihipStream_tbDpT10_ENKUlT_T0_E_clISt17integral_constantIbLb1EES1D_IbLb0EEEEDaS19_S1A_EUlS19_E_NS1_11comp_targetILNS1_3genE9ELNS1_11target_archE1100ELNS1_3gpuE3ELNS1_3repE0EEENS1_30default_config_static_selectorELNS0_4arch9wavefront6targetE1EEEvT1_ ; -- Begin function _ZN7rocprim17ROCPRIM_400000_NS6detail17trampoline_kernelINS0_14default_configENS1_25partition_config_selectorILNS1_17partition_subalgoE8ElNS0_10empty_typeEbEEZZNS1_14partition_implILS5_8ELb0ES3_jPlPS6_PKS6_NS0_5tupleIJS9_S6_EEENSD_IJSA_SA_EEENS0_18inequality_wrapperIZN2at6native12_GLOBAL__N_124unique_dim_cuda_templateIN3c108BFloat16EEESt5tupleIJNSH_6TensorESO_SO_EERKSO_lbbbEUlllE0_EEPmJS6_EEE10hipError_tPvRmT3_T4_T5_T6_T7_T9_mT8_P12ihipStream_tbDpT10_ENKUlT_T0_E_clISt17integral_constantIbLb1EES1D_IbLb0EEEEDaS19_S1A_EUlS19_E_NS1_11comp_targetILNS1_3genE9ELNS1_11target_archE1100ELNS1_3gpuE3ELNS1_3repE0EEENS1_30default_config_static_selectorELNS0_4arch9wavefront6targetE1EEEvT1_
	.p2align	8
	.type	_ZN7rocprim17ROCPRIM_400000_NS6detail17trampoline_kernelINS0_14default_configENS1_25partition_config_selectorILNS1_17partition_subalgoE8ElNS0_10empty_typeEbEEZZNS1_14partition_implILS5_8ELb0ES3_jPlPS6_PKS6_NS0_5tupleIJS9_S6_EEENSD_IJSA_SA_EEENS0_18inequality_wrapperIZN2at6native12_GLOBAL__N_124unique_dim_cuda_templateIN3c108BFloat16EEESt5tupleIJNSH_6TensorESO_SO_EERKSO_lbbbEUlllE0_EEPmJS6_EEE10hipError_tPvRmT3_T4_T5_T6_T7_T9_mT8_P12ihipStream_tbDpT10_ENKUlT_T0_E_clISt17integral_constantIbLb1EES1D_IbLb0EEEEDaS19_S1A_EUlS19_E_NS1_11comp_targetILNS1_3genE9ELNS1_11target_archE1100ELNS1_3gpuE3ELNS1_3repE0EEENS1_30default_config_static_selectorELNS0_4arch9wavefront6targetE1EEEvT1_,@function
_ZN7rocprim17ROCPRIM_400000_NS6detail17trampoline_kernelINS0_14default_configENS1_25partition_config_selectorILNS1_17partition_subalgoE8ElNS0_10empty_typeEbEEZZNS1_14partition_implILS5_8ELb0ES3_jPlPS6_PKS6_NS0_5tupleIJS9_S6_EEENSD_IJSA_SA_EEENS0_18inequality_wrapperIZN2at6native12_GLOBAL__N_124unique_dim_cuda_templateIN3c108BFloat16EEESt5tupleIJNSH_6TensorESO_SO_EERKSO_lbbbEUlllE0_EEPmJS6_EEE10hipError_tPvRmT3_T4_T5_T6_T7_T9_mT8_P12ihipStream_tbDpT10_ENKUlT_T0_E_clISt17integral_constantIbLb1EES1D_IbLb0EEEEDaS19_S1A_EUlS19_E_NS1_11comp_targetILNS1_3genE9ELNS1_11target_archE1100ELNS1_3gpuE3ELNS1_3repE0EEENS1_30default_config_static_selectorELNS0_4arch9wavefront6targetE1EEEvT1_: ; @_ZN7rocprim17ROCPRIM_400000_NS6detail17trampoline_kernelINS0_14default_configENS1_25partition_config_selectorILNS1_17partition_subalgoE8ElNS0_10empty_typeEbEEZZNS1_14partition_implILS5_8ELb0ES3_jPlPS6_PKS6_NS0_5tupleIJS9_S6_EEENSD_IJSA_SA_EEENS0_18inequality_wrapperIZN2at6native12_GLOBAL__N_124unique_dim_cuda_templateIN3c108BFloat16EEESt5tupleIJNSH_6TensorESO_SO_EERKSO_lbbbEUlllE0_EEPmJS6_EEE10hipError_tPvRmT3_T4_T5_T6_T7_T9_mT8_P12ihipStream_tbDpT10_ENKUlT_T0_E_clISt17integral_constantIbLb1EES1D_IbLb0EEEEDaS19_S1A_EUlS19_E_NS1_11comp_targetILNS1_3genE9ELNS1_11target_archE1100ELNS1_3gpuE3ELNS1_3repE0EEENS1_30default_config_static_selectorELNS0_4arch9wavefront6targetE1EEEvT1_
; %bb.0:
	.section	.rodata,"a",@progbits
	.p2align	6, 0x0
	.amdhsa_kernel _ZN7rocprim17ROCPRIM_400000_NS6detail17trampoline_kernelINS0_14default_configENS1_25partition_config_selectorILNS1_17partition_subalgoE8ElNS0_10empty_typeEbEEZZNS1_14partition_implILS5_8ELb0ES3_jPlPS6_PKS6_NS0_5tupleIJS9_S6_EEENSD_IJSA_SA_EEENS0_18inequality_wrapperIZN2at6native12_GLOBAL__N_124unique_dim_cuda_templateIN3c108BFloat16EEESt5tupleIJNSH_6TensorESO_SO_EERKSO_lbbbEUlllE0_EEPmJS6_EEE10hipError_tPvRmT3_T4_T5_T6_T7_T9_mT8_P12ihipStream_tbDpT10_ENKUlT_T0_E_clISt17integral_constantIbLb1EES1D_IbLb0EEEEDaS19_S1A_EUlS19_E_NS1_11comp_targetILNS1_3genE9ELNS1_11target_archE1100ELNS1_3gpuE3ELNS1_3repE0EEENS1_30default_config_static_selectorELNS0_4arch9wavefront6targetE1EEEvT1_
		.amdhsa_group_segment_fixed_size 0
		.amdhsa_private_segment_fixed_size 0
		.amdhsa_kernarg_size 120
		.amdhsa_user_sgpr_count 2
		.amdhsa_user_sgpr_dispatch_ptr 0
		.amdhsa_user_sgpr_queue_ptr 0
		.amdhsa_user_sgpr_kernarg_segment_ptr 1
		.amdhsa_user_sgpr_dispatch_id 0
		.amdhsa_user_sgpr_kernarg_preload_length 0
		.amdhsa_user_sgpr_kernarg_preload_offset 0
		.amdhsa_user_sgpr_private_segment_size 0
		.amdhsa_uses_dynamic_stack 0
		.amdhsa_enable_private_segment 0
		.amdhsa_system_sgpr_workgroup_id_x 1
		.amdhsa_system_sgpr_workgroup_id_y 0
		.amdhsa_system_sgpr_workgroup_id_z 0
		.amdhsa_system_sgpr_workgroup_info 0
		.amdhsa_system_vgpr_workitem_id 0
		.amdhsa_next_free_vgpr 1
		.amdhsa_next_free_sgpr 0
		.amdhsa_accum_offset 4
		.amdhsa_reserve_vcc 0
		.amdhsa_float_round_mode_32 0
		.amdhsa_float_round_mode_16_64 0
		.amdhsa_float_denorm_mode_32 3
		.amdhsa_float_denorm_mode_16_64 3
		.amdhsa_dx10_clamp 1
		.amdhsa_ieee_mode 1
		.amdhsa_fp16_overflow 0
		.amdhsa_tg_split 0
		.amdhsa_exception_fp_ieee_invalid_op 0
		.amdhsa_exception_fp_denorm_src 0
		.amdhsa_exception_fp_ieee_div_zero 0
		.amdhsa_exception_fp_ieee_overflow 0
		.amdhsa_exception_fp_ieee_underflow 0
		.amdhsa_exception_fp_ieee_inexact 0
		.amdhsa_exception_int_div_zero 0
	.end_amdhsa_kernel
	.section	.text._ZN7rocprim17ROCPRIM_400000_NS6detail17trampoline_kernelINS0_14default_configENS1_25partition_config_selectorILNS1_17partition_subalgoE8ElNS0_10empty_typeEbEEZZNS1_14partition_implILS5_8ELb0ES3_jPlPS6_PKS6_NS0_5tupleIJS9_S6_EEENSD_IJSA_SA_EEENS0_18inequality_wrapperIZN2at6native12_GLOBAL__N_124unique_dim_cuda_templateIN3c108BFloat16EEESt5tupleIJNSH_6TensorESO_SO_EERKSO_lbbbEUlllE0_EEPmJS6_EEE10hipError_tPvRmT3_T4_T5_T6_T7_T9_mT8_P12ihipStream_tbDpT10_ENKUlT_T0_E_clISt17integral_constantIbLb1EES1D_IbLb0EEEEDaS19_S1A_EUlS19_E_NS1_11comp_targetILNS1_3genE9ELNS1_11target_archE1100ELNS1_3gpuE3ELNS1_3repE0EEENS1_30default_config_static_selectorELNS0_4arch9wavefront6targetE1EEEvT1_,"axG",@progbits,_ZN7rocprim17ROCPRIM_400000_NS6detail17trampoline_kernelINS0_14default_configENS1_25partition_config_selectorILNS1_17partition_subalgoE8ElNS0_10empty_typeEbEEZZNS1_14partition_implILS5_8ELb0ES3_jPlPS6_PKS6_NS0_5tupleIJS9_S6_EEENSD_IJSA_SA_EEENS0_18inequality_wrapperIZN2at6native12_GLOBAL__N_124unique_dim_cuda_templateIN3c108BFloat16EEESt5tupleIJNSH_6TensorESO_SO_EERKSO_lbbbEUlllE0_EEPmJS6_EEE10hipError_tPvRmT3_T4_T5_T6_T7_T9_mT8_P12ihipStream_tbDpT10_ENKUlT_T0_E_clISt17integral_constantIbLb1EES1D_IbLb0EEEEDaS19_S1A_EUlS19_E_NS1_11comp_targetILNS1_3genE9ELNS1_11target_archE1100ELNS1_3gpuE3ELNS1_3repE0EEENS1_30default_config_static_selectorELNS0_4arch9wavefront6targetE1EEEvT1_,comdat
.Lfunc_end1204:
	.size	_ZN7rocprim17ROCPRIM_400000_NS6detail17trampoline_kernelINS0_14default_configENS1_25partition_config_selectorILNS1_17partition_subalgoE8ElNS0_10empty_typeEbEEZZNS1_14partition_implILS5_8ELb0ES3_jPlPS6_PKS6_NS0_5tupleIJS9_S6_EEENSD_IJSA_SA_EEENS0_18inequality_wrapperIZN2at6native12_GLOBAL__N_124unique_dim_cuda_templateIN3c108BFloat16EEESt5tupleIJNSH_6TensorESO_SO_EERKSO_lbbbEUlllE0_EEPmJS6_EEE10hipError_tPvRmT3_T4_T5_T6_T7_T9_mT8_P12ihipStream_tbDpT10_ENKUlT_T0_E_clISt17integral_constantIbLb1EES1D_IbLb0EEEEDaS19_S1A_EUlS19_E_NS1_11comp_targetILNS1_3genE9ELNS1_11target_archE1100ELNS1_3gpuE3ELNS1_3repE0EEENS1_30default_config_static_selectorELNS0_4arch9wavefront6targetE1EEEvT1_, .Lfunc_end1204-_ZN7rocprim17ROCPRIM_400000_NS6detail17trampoline_kernelINS0_14default_configENS1_25partition_config_selectorILNS1_17partition_subalgoE8ElNS0_10empty_typeEbEEZZNS1_14partition_implILS5_8ELb0ES3_jPlPS6_PKS6_NS0_5tupleIJS9_S6_EEENSD_IJSA_SA_EEENS0_18inequality_wrapperIZN2at6native12_GLOBAL__N_124unique_dim_cuda_templateIN3c108BFloat16EEESt5tupleIJNSH_6TensorESO_SO_EERKSO_lbbbEUlllE0_EEPmJS6_EEE10hipError_tPvRmT3_T4_T5_T6_T7_T9_mT8_P12ihipStream_tbDpT10_ENKUlT_T0_E_clISt17integral_constantIbLb1EES1D_IbLb0EEEEDaS19_S1A_EUlS19_E_NS1_11comp_targetILNS1_3genE9ELNS1_11target_archE1100ELNS1_3gpuE3ELNS1_3repE0EEENS1_30default_config_static_selectorELNS0_4arch9wavefront6targetE1EEEvT1_
                                        ; -- End function
	.section	.AMDGPU.csdata,"",@progbits
; Kernel info:
; codeLenInByte = 0
; NumSgprs: 6
; NumVgprs: 0
; NumAgprs: 0
; TotalNumVgprs: 0
; ScratchSize: 0
; MemoryBound: 0
; FloatMode: 240
; IeeeMode: 1
; LDSByteSize: 0 bytes/workgroup (compile time only)
; SGPRBlocks: 0
; VGPRBlocks: 0
; NumSGPRsForWavesPerEU: 6
; NumVGPRsForWavesPerEU: 1
; AccumOffset: 4
; Occupancy: 8
; WaveLimiterHint : 0
; COMPUTE_PGM_RSRC2:SCRATCH_EN: 0
; COMPUTE_PGM_RSRC2:USER_SGPR: 2
; COMPUTE_PGM_RSRC2:TRAP_HANDLER: 0
; COMPUTE_PGM_RSRC2:TGID_X_EN: 1
; COMPUTE_PGM_RSRC2:TGID_Y_EN: 0
; COMPUTE_PGM_RSRC2:TGID_Z_EN: 0
; COMPUTE_PGM_RSRC2:TIDIG_COMP_CNT: 0
; COMPUTE_PGM_RSRC3_GFX90A:ACCUM_OFFSET: 0
; COMPUTE_PGM_RSRC3_GFX90A:TG_SPLIT: 0
	.section	.text._ZN7rocprim17ROCPRIM_400000_NS6detail17trampoline_kernelINS0_14default_configENS1_25partition_config_selectorILNS1_17partition_subalgoE8ElNS0_10empty_typeEbEEZZNS1_14partition_implILS5_8ELb0ES3_jPlPS6_PKS6_NS0_5tupleIJS9_S6_EEENSD_IJSA_SA_EEENS0_18inequality_wrapperIZN2at6native12_GLOBAL__N_124unique_dim_cuda_templateIN3c108BFloat16EEESt5tupleIJNSH_6TensorESO_SO_EERKSO_lbbbEUlllE0_EEPmJS6_EEE10hipError_tPvRmT3_T4_T5_T6_T7_T9_mT8_P12ihipStream_tbDpT10_ENKUlT_T0_E_clISt17integral_constantIbLb1EES1D_IbLb0EEEEDaS19_S1A_EUlS19_E_NS1_11comp_targetILNS1_3genE8ELNS1_11target_archE1030ELNS1_3gpuE2ELNS1_3repE0EEENS1_30default_config_static_selectorELNS0_4arch9wavefront6targetE1EEEvT1_,"axG",@progbits,_ZN7rocprim17ROCPRIM_400000_NS6detail17trampoline_kernelINS0_14default_configENS1_25partition_config_selectorILNS1_17partition_subalgoE8ElNS0_10empty_typeEbEEZZNS1_14partition_implILS5_8ELb0ES3_jPlPS6_PKS6_NS0_5tupleIJS9_S6_EEENSD_IJSA_SA_EEENS0_18inequality_wrapperIZN2at6native12_GLOBAL__N_124unique_dim_cuda_templateIN3c108BFloat16EEESt5tupleIJNSH_6TensorESO_SO_EERKSO_lbbbEUlllE0_EEPmJS6_EEE10hipError_tPvRmT3_T4_T5_T6_T7_T9_mT8_P12ihipStream_tbDpT10_ENKUlT_T0_E_clISt17integral_constantIbLb1EES1D_IbLb0EEEEDaS19_S1A_EUlS19_E_NS1_11comp_targetILNS1_3genE8ELNS1_11target_archE1030ELNS1_3gpuE2ELNS1_3repE0EEENS1_30default_config_static_selectorELNS0_4arch9wavefront6targetE1EEEvT1_,comdat
	.globl	_ZN7rocprim17ROCPRIM_400000_NS6detail17trampoline_kernelINS0_14default_configENS1_25partition_config_selectorILNS1_17partition_subalgoE8ElNS0_10empty_typeEbEEZZNS1_14partition_implILS5_8ELb0ES3_jPlPS6_PKS6_NS0_5tupleIJS9_S6_EEENSD_IJSA_SA_EEENS0_18inequality_wrapperIZN2at6native12_GLOBAL__N_124unique_dim_cuda_templateIN3c108BFloat16EEESt5tupleIJNSH_6TensorESO_SO_EERKSO_lbbbEUlllE0_EEPmJS6_EEE10hipError_tPvRmT3_T4_T5_T6_T7_T9_mT8_P12ihipStream_tbDpT10_ENKUlT_T0_E_clISt17integral_constantIbLb1EES1D_IbLb0EEEEDaS19_S1A_EUlS19_E_NS1_11comp_targetILNS1_3genE8ELNS1_11target_archE1030ELNS1_3gpuE2ELNS1_3repE0EEENS1_30default_config_static_selectorELNS0_4arch9wavefront6targetE1EEEvT1_ ; -- Begin function _ZN7rocprim17ROCPRIM_400000_NS6detail17trampoline_kernelINS0_14default_configENS1_25partition_config_selectorILNS1_17partition_subalgoE8ElNS0_10empty_typeEbEEZZNS1_14partition_implILS5_8ELb0ES3_jPlPS6_PKS6_NS0_5tupleIJS9_S6_EEENSD_IJSA_SA_EEENS0_18inequality_wrapperIZN2at6native12_GLOBAL__N_124unique_dim_cuda_templateIN3c108BFloat16EEESt5tupleIJNSH_6TensorESO_SO_EERKSO_lbbbEUlllE0_EEPmJS6_EEE10hipError_tPvRmT3_T4_T5_T6_T7_T9_mT8_P12ihipStream_tbDpT10_ENKUlT_T0_E_clISt17integral_constantIbLb1EES1D_IbLb0EEEEDaS19_S1A_EUlS19_E_NS1_11comp_targetILNS1_3genE8ELNS1_11target_archE1030ELNS1_3gpuE2ELNS1_3repE0EEENS1_30default_config_static_selectorELNS0_4arch9wavefront6targetE1EEEvT1_
	.p2align	8
	.type	_ZN7rocprim17ROCPRIM_400000_NS6detail17trampoline_kernelINS0_14default_configENS1_25partition_config_selectorILNS1_17partition_subalgoE8ElNS0_10empty_typeEbEEZZNS1_14partition_implILS5_8ELb0ES3_jPlPS6_PKS6_NS0_5tupleIJS9_S6_EEENSD_IJSA_SA_EEENS0_18inequality_wrapperIZN2at6native12_GLOBAL__N_124unique_dim_cuda_templateIN3c108BFloat16EEESt5tupleIJNSH_6TensorESO_SO_EERKSO_lbbbEUlllE0_EEPmJS6_EEE10hipError_tPvRmT3_T4_T5_T6_T7_T9_mT8_P12ihipStream_tbDpT10_ENKUlT_T0_E_clISt17integral_constantIbLb1EES1D_IbLb0EEEEDaS19_S1A_EUlS19_E_NS1_11comp_targetILNS1_3genE8ELNS1_11target_archE1030ELNS1_3gpuE2ELNS1_3repE0EEENS1_30default_config_static_selectorELNS0_4arch9wavefront6targetE1EEEvT1_,@function
_ZN7rocprim17ROCPRIM_400000_NS6detail17trampoline_kernelINS0_14default_configENS1_25partition_config_selectorILNS1_17partition_subalgoE8ElNS0_10empty_typeEbEEZZNS1_14partition_implILS5_8ELb0ES3_jPlPS6_PKS6_NS0_5tupleIJS9_S6_EEENSD_IJSA_SA_EEENS0_18inequality_wrapperIZN2at6native12_GLOBAL__N_124unique_dim_cuda_templateIN3c108BFloat16EEESt5tupleIJNSH_6TensorESO_SO_EERKSO_lbbbEUlllE0_EEPmJS6_EEE10hipError_tPvRmT3_T4_T5_T6_T7_T9_mT8_P12ihipStream_tbDpT10_ENKUlT_T0_E_clISt17integral_constantIbLb1EES1D_IbLb0EEEEDaS19_S1A_EUlS19_E_NS1_11comp_targetILNS1_3genE8ELNS1_11target_archE1030ELNS1_3gpuE2ELNS1_3repE0EEENS1_30default_config_static_selectorELNS0_4arch9wavefront6targetE1EEEvT1_: ; @_ZN7rocprim17ROCPRIM_400000_NS6detail17trampoline_kernelINS0_14default_configENS1_25partition_config_selectorILNS1_17partition_subalgoE8ElNS0_10empty_typeEbEEZZNS1_14partition_implILS5_8ELb0ES3_jPlPS6_PKS6_NS0_5tupleIJS9_S6_EEENSD_IJSA_SA_EEENS0_18inequality_wrapperIZN2at6native12_GLOBAL__N_124unique_dim_cuda_templateIN3c108BFloat16EEESt5tupleIJNSH_6TensorESO_SO_EERKSO_lbbbEUlllE0_EEPmJS6_EEE10hipError_tPvRmT3_T4_T5_T6_T7_T9_mT8_P12ihipStream_tbDpT10_ENKUlT_T0_E_clISt17integral_constantIbLb1EES1D_IbLb0EEEEDaS19_S1A_EUlS19_E_NS1_11comp_targetILNS1_3genE8ELNS1_11target_archE1030ELNS1_3gpuE2ELNS1_3repE0EEENS1_30default_config_static_selectorELNS0_4arch9wavefront6targetE1EEEvT1_
; %bb.0:
	.section	.rodata,"a",@progbits
	.p2align	6, 0x0
	.amdhsa_kernel _ZN7rocprim17ROCPRIM_400000_NS6detail17trampoline_kernelINS0_14default_configENS1_25partition_config_selectorILNS1_17partition_subalgoE8ElNS0_10empty_typeEbEEZZNS1_14partition_implILS5_8ELb0ES3_jPlPS6_PKS6_NS0_5tupleIJS9_S6_EEENSD_IJSA_SA_EEENS0_18inequality_wrapperIZN2at6native12_GLOBAL__N_124unique_dim_cuda_templateIN3c108BFloat16EEESt5tupleIJNSH_6TensorESO_SO_EERKSO_lbbbEUlllE0_EEPmJS6_EEE10hipError_tPvRmT3_T4_T5_T6_T7_T9_mT8_P12ihipStream_tbDpT10_ENKUlT_T0_E_clISt17integral_constantIbLb1EES1D_IbLb0EEEEDaS19_S1A_EUlS19_E_NS1_11comp_targetILNS1_3genE8ELNS1_11target_archE1030ELNS1_3gpuE2ELNS1_3repE0EEENS1_30default_config_static_selectorELNS0_4arch9wavefront6targetE1EEEvT1_
		.amdhsa_group_segment_fixed_size 0
		.amdhsa_private_segment_fixed_size 0
		.amdhsa_kernarg_size 120
		.amdhsa_user_sgpr_count 2
		.amdhsa_user_sgpr_dispatch_ptr 0
		.amdhsa_user_sgpr_queue_ptr 0
		.amdhsa_user_sgpr_kernarg_segment_ptr 1
		.amdhsa_user_sgpr_dispatch_id 0
		.amdhsa_user_sgpr_kernarg_preload_length 0
		.amdhsa_user_sgpr_kernarg_preload_offset 0
		.amdhsa_user_sgpr_private_segment_size 0
		.amdhsa_uses_dynamic_stack 0
		.amdhsa_enable_private_segment 0
		.amdhsa_system_sgpr_workgroup_id_x 1
		.amdhsa_system_sgpr_workgroup_id_y 0
		.amdhsa_system_sgpr_workgroup_id_z 0
		.amdhsa_system_sgpr_workgroup_info 0
		.amdhsa_system_vgpr_workitem_id 0
		.amdhsa_next_free_vgpr 1
		.amdhsa_next_free_sgpr 0
		.amdhsa_accum_offset 4
		.amdhsa_reserve_vcc 0
		.amdhsa_float_round_mode_32 0
		.amdhsa_float_round_mode_16_64 0
		.amdhsa_float_denorm_mode_32 3
		.amdhsa_float_denorm_mode_16_64 3
		.amdhsa_dx10_clamp 1
		.amdhsa_ieee_mode 1
		.amdhsa_fp16_overflow 0
		.amdhsa_tg_split 0
		.amdhsa_exception_fp_ieee_invalid_op 0
		.amdhsa_exception_fp_denorm_src 0
		.amdhsa_exception_fp_ieee_div_zero 0
		.amdhsa_exception_fp_ieee_overflow 0
		.amdhsa_exception_fp_ieee_underflow 0
		.amdhsa_exception_fp_ieee_inexact 0
		.amdhsa_exception_int_div_zero 0
	.end_amdhsa_kernel
	.section	.text._ZN7rocprim17ROCPRIM_400000_NS6detail17trampoline_kernelINS0_14default_configENS1_25partition_config_selectorILNS1_17partition_subalgoE8ElNS0_10empty_typeEbEEZZNS1_14partition_implILS5_8ELb0ES3_jPlPS6_PKS6_NS0_5tupleIJS9_S6_EEENSD_IJSA_SA_EEENS0_18inequality_wrapperIZN2at6native12_GLOBAL__N_124unique_dim_cuda_templateIN3c108BFloat16EEESt5tupleIJNSH_6TensorESO_SO_EERKSO_lbbbEUlllE0_EEPmJS6_EEE10hipError_tPvRmT3_T4_T5_T6_T7_T9_mT8_P12ihipStream_tbDpT10_ENKUlT_T0_E_clISt17integral_constantIbLb1EES1D_IbLb0EEEEDaS19_S1A_EUlS19_E_NS1_11comp_targetILNS1_3genE8ELNS1_11target_archE1030ELNS1_3gpuE2ELNS1_3repE0EEENS1_30default_config_static_selectorELNS0_4arch9wavefront6targetE1EEEvT1_,"axG",@progbits,_ZN7rocprim17ROCPRIM_400000_NS6detail17trampoline_kernelINS0_14default_configENS1_25partition_config_selectorILNS1_17partition_subalgoE8ElNS0_10empty_typeEbEEZZNS1_14partition_implILS5_8ELb0ES3_jPlPS6_PKS6_NS0_5tupleIJS9_S6_EEENSD_IJSA_SA_EEENS0_18inequality_wrapperIZN2at6native12_GLOBAL__N_124unique_dim_cuda_templateIN3c108BFloat16EEESt5tupleIJNSH_6TensorESO_SO_EERKSO_lbbbEUlllE0_EEPmJS6_EEE10hipError_tPvRmT3_T4_T5_T6_T7_T9_mT8_P12ihipStream_tbDpT10_ENKUlT_T0_E_clISt17integral_constantIbLb1EES1D_IbLb0EEEEDaS19_S1A_EUlS19_E_NS1_11comp_targetILNS1_3genE8ELNS1_11target_archE1030ELNS1_3gpuE2ELNS1_3repE0EEENS1_30default_config_static_selectorELNS0_4arch9wavefront6targetE1EEEvT1_,comdat
.Lfunc_end1205:
	.size	_ZN7rocprim17ROCPRIM_400000_NS6detail17trampoline_kernelINS0_14default_configENS1_25partition_config_selectorILNS1_17partition_subalgoE8ElNS0_10empty_typeEbEEZZNS1_14partition_implILS5_8ELb0ES3_jPlPS6_PKS6_NS0_5tupleIJS9_S6_EEENSD_IJSA_SA_EEENS0_18inequality_wrapperIZN2at6native12_GLOBAL__N_124unique_dim_cuda_templateIN3c108BFloat16EEESt5tupleIJNSH_6TensorESO_SO_EERKSO_lbbbEUlllE0_EEPmJS6_EEE10hipError_tPvRmT3_T4_T5_T6_T7_T9_mT8_P12ihipStream_tbDpT10_ENKUlT_T0_E_clISt17integral_constantIbLb1EES1D_IbLb0EEEEDaS19_S1A_EUlS19_E_NS1_11comp_targetILNS1_3genE8ELNS1_11target_archE1030ELNS1_3gpuE2ELNS1_3repE0EEENS1_30default_config_static_selectorELNS0_4arch9wavefront6targetE1EEEvT1_, .Lfunc_end1205-_ZN7rocprim17ROCPRIM_400000_NS6detail17trampoline_kernelINS0_14default_configENS1_25partition_config_selectorILNS1_17partition_subalgoE8ElNS0_10empty_typeEbEEZZNS1_14partition_implILS5_8ELb0ES3_jPlPS6_PKS6_NS0_5tupleIJS9_S6_EEENSD_IJSA_SA_EEENS0_18inequality_wrapperIZN2at6native12_GLOBAL__N_124unique_dim_cuda_templateIN3c108BFloat16EEESt5tupleIJNSH_6TensorESO_SO_EERKSO_lbbbEUlllE0_EEPmJS6_EEE10hipError_tPvRmT3_T4_T5_T6_T7_T9_mT8_P12ihipStream_tbDpT10_ENKUlT_T0_E_clISt17integral_constantIbLb1EES1D_IbLb0EEEEDaS19_S1A_EUlS19_E_NS1_11comp_targetILNS1_3genE8ELNS1_11target_archE1030ELNS1_3gpuE2ELNS1_3repE0EEENS1_30default_config_static_selectorELNS0_4arch9wavefront6targetE1EEEvT1_
                                        ; -- End function
	.section	.AMDGPU.csdata,"",@progbits
; Kernel info:
; codeLenInByte = 0
; NumSgprs: 6
; NumVgprs: 0
; NumAgprs: 0
; TotalNumVgprs: 0
; ScratchSize: 0
; MemoryBound: 0
; FloatMode: 240
; IeeeMode: 1
; LDSByteSize: 0 bytes/workgroup (compile time only)
; SGPRBlocks: 0
; VGPRBlocks: 0
; NumSGPRsForWavesPerEU: 6
; NumVGPRsForWavesPerEU: 1
; AccumOffset: 4
; Occupancy: 8
; WaveLimiterHint : 0
; COMPUTE_PGM_RSRC2:SCRATCH_EN: 0
; COMPUTE_PGM_RSRC2:USER_SGPR: 2
; COMPUTE_PGM_RSRC2:TRAP_HANDLER: 0
; COMPUTE_PGM_RSRC2:TGID_X_EN: 1
; COMPUTE_PGM_RSRC2:TGID_Y_EN: 0
; COMPUTE_PGM_RSRC2:TGID_Z_EN: 0
; COMPUTE_PGM_RSRC2:TIDIG_COMP_CNT: 0
; COMPUTE_PGM_RSRC3_GFX90A:ACCUM_OFFSET: 0
; COMPUTE_PGM_RSRC3_GFX90A:TG_SPLIT: 0
	.section	.text._ZN7rocprim17ROCPRIM_400000_NS6detail17trampoline_kernelINS0_14default_configENS1_25partition_config_selectorILNS1_17partition_subalgoE8ElNS0_10empty_typeEbEEZZNS1_14partition_implILS5_8ELb0ES3_jPlPS6_PKS6_NS0_5tupleIJS9_S6_EEENSD_IJSA_SA_EEENS0_18inequality_wrapperIZN2at6native12_GLOBAL__N_124unique_dim_cuda_templateIN3c108BFloat16EEESt5tupleIJNSH_6TensorESO_SO_EERKSO_lbbbEUlllE0_EEPmJS6_EEE10hipError_tPvRmT3_T4_T5_T6_T7_T9_mT8_P12ihipStream_tbDpT10_ENKUlT_T0_E_clISt17integral_constantIbLb0EES1D_IbLb1EEEEDaS19_S1A_EUlS19_E_NS1_11comp_targetILNS1_3genE0ELNS1_11target_archE4294967295ELNS1_3gpuE0ELNS1_3repE0EEENS1_30default_config_static_selectorELNS0_4arch9wavefront6targetE1EEEvT1_,"axG",@progbits,_ZN7rocprim17ROCPRIM_400000_NS6detail17trampoline_kernelINS0_14default_configENS1_25partition_config_selectorILNS1_17partition_subalgoE8ElNS0_10empty_typeEbEEZZNS1_14partition_implILS5_8ELb0ES3_jPlPS6_PKS6_NS0_5tupleIJS9_S6_EEENSD_IJSA_SA_EEENS0_18inequality_wrapperIZN2at6native12_GLOBAL__N_124unique_dim_cuda_templateIN3c108BFloat16EEESt5tupleIJNSH_6TensorESO_SO_EERKSO_lbbbEUlllE0_EEPmJS6_EEE10hipError_tPvRmT3_T4_T5_T6_T7_T9_mT8_P12ihipStream_tbDpT10_ENKUlT_T0_E_clISt17integral_constantIbLb0EES1D_IbLb1EEEEDaS19_S1A_EUlS19_E_NS1_11comp_targetILNS1_3genE0ELNS1_11target_archE4294967295ELNS1_3gpuE0ELNS1_3repE0EEENS1_30default_config_static_selectorELNS0_4arch9wavefront6targetE1EEEvT1_,comdat
	.globl	_ZN7rocprim17ROCPRIM_400000_NS6detail17trampoline_kernelINS0_14default_configENS1_25partition_config_selectorILNS1_17partition_subalgoE8ElNS0_10empty_typeEbEEZZNS1_14partition_implILS5_8ELb0ES3_jPlPS6_PKS6_NS0_5tupleIJS9_S6_EEENSD_IJSA_SA_EEENS0_18inequality_wrapperIZN2at6native12_GLOBAL__N_124unique_dim_cuda_templateIN3c108BFloat16EEESt5tupleIJNSH_6TensorESO_SO_EERKSO_lbbbEUlllE0_EEPmJS6_EEE10hipError_tPvRmT3_T4_T5_T6_T7_T9_mT8_P12ihipStream_tbDpT10_ENKUlT_T0_E_clISt17integral_constantIbLb0EES1D_IbLb1EEEEDaS19_S1A_EUlS19_E_NS1_11comp_targetILNS1_3genE0ELNS1_11target_archE4294967295ELNS1_3gpuE0ELNS1_3repE0EEENS1_30default_config_static_selectorELNS0_4arch9wavefront6targetE1EEEvT1_ ; -- Begin function _ZN7rocprim17ROCPRIM_400000_NS6detail17trampoline_kernelINS0_14default_configENS1_25partition_config_selectorILNS1_17partition_subalgoE8ElNS0_10empty_typeEbEEZZNS1_14partition_implILS5_8ELb0ES3_jPlPS6_PKS6_NS0_5tupleIJS9_S6_EEENSD_IJSA_SA_EEENS0_18inequality_wrapperIZN2at6native12_GLOBAL__N_124unique_dim_cuda_templateIN3c108BFloat16EEESt5tupleIJNSH_6TensorESO_SO_EERKSO_lbbbEUlllE0_EEPmJS6_EEE10hipError_tPvRmT3_T4_T5_T6_T7_T9_mT8_P12ihipStream_tbDpT10_ENKUlT_T0_E_clISt17integral_constantIbLb0EES1D_IbLb1EEEEDaS19_S1A_EUlS19_E_NS1_11comp_targetILNS1_3genE0ELNS1_11target_archE4294967295ELNS1_3gpuE0ELNS1_3repE0EEENS1_30default_config_static_selectorELNS0_4arch9wavefront6targetE1EEEvT1_
	.p2align	8
	.type	_ZN7rocprim17ROCPRIM_400000_NS6detail17trampoline_kernelINS0_14default_configENS1_25partition_config_selectorILNS1_17partition_subalgoE8ElNS0_10empty_typeEbEEZZNS1_14partition_implILS5_8ELb0ES3_jPlPS6_PKS6_NS0_5tupleIJS9_S6_EEENSD_IJSA_SA_EEENS0_18inequality_wrapperIZN2at6native12_GLOBAL__N_124unique_dim_cuda_templateIN3c108BFloat16EEESt5tupleIJNSH_6TensorESO_SO_EERKSO_lbbbEUlllE0_EEPmJS6_EEE10hipError_tPvRmT3_T4_T5_T6_T7_T9_mT8_P12ihipStream_tbDpT10_ENKUlT_T0_E_clISt17integral_constantIbLb0EES1D_IbLb1EEEEDaS19_S1A_EUlS19_E_NS1_11comp_targetILNS1_3genE0ELNS1_11target_archE4294967295ELNS1_3gpuE0ELNS1_3repE0EEENS1_30default_config_static_selectorELNS0_4arch9wavefront6targetE1EEEvT1_,@function
_ZN7rocprim17ROCPRIM_400000_NS6detail17trampoline_kernelINS0_14default_configENS1_25partition_config_selectorILNS1_17partition_subalgoE8ElNS0_10empty_typeEbEEZZNS1_14partition_implILS5_8ELb0ES3_jPlPS6_PKS6_NS0_5tupleIJS9_S6_EEENSD_IJSA_SA_EEENS0_18inequality_wrapperIZN2at6native12_GLOBAL__N_124unique_dim_cuda_templateIN3c108BFloat16EEESt5tupleIJNSH_6TensorESO_SO_EERKSO_lbbbEUlllE0_EEPmJS6_EEE10hipError_tPvRmT3_T4_T5_T6_T7_T9_mT8_P12ihipStream_tbDpT10_ENKUlT_T0_E_clISt17integral_constantIbLb0EES1D_IbLb1EEEEDaS19_S1A_EUlS19_E_NS1_11comp_targetILNS1_3genE0ELNS1_11target_archE4294967295ELNS1_3gpuE0ELNS1_3repE0EEENS1_30default_config_static_selectorELNS0_4arch9wavefront6targetE1EEEvT1_: ; @_ZN7rocprim17ROCPRIM_400000_NS6detail17trampoline_kernelINS0_14default_configENS1_25partition_config_selectorILNS1_17partition_subalgoE8ElNS0_10empty_typeEbEEZZNS1_14partition_implILS5_8ELb0ES3_jPlPS6_PKS6_NS0_5tupleIJS9_S6_EEENSD_IJSA_SA_EEENS0_18inequality_wrapperIZN2at6native12_GLOBAL__N_124unique_dim_cuda_templateIN3c108BFloat16EEESt5tupleIJNSH_6TensorESO_SO_EERKSO_lbbbEUlllE0_EEPmJS6_EEE10hipError_tPvRmT3_T4_T5_T6_T7_T9_mT8_P12ihipStream_tbDpT10_ENKUlT_T0_E_clISt17integral_constantIbLb0EES1D_IbLb1EEEEDaS19_S1A_EUlS19_E_NS1_11comp_targetILNS1_3genE0ELNS1_11target_archE4294967295ELNS1_3gpuE0ELNS1_3repE0EEENS1_30default_config_static_selectorELNS0_4arch9wavefront6targetE1EEEvT1_
; %bb.0:
	.section	.rodata,"a",@progbits
	.p2align	6, 0x0
	.amdhsa_kernel _ZN7rocprim17ROCPRIM_400000_NS6detail17trampoline_kernelINS0_14default_configENS1_25partition_config_selectorILNS1_17partition_subalgoE8ElNS0_10empty_typeEbEEZZNS1_14partition_implILS5_8ELb0ES3_jPlPS6_PKS6_NS0_5tupleIJS9_S6_EEENSD_IJSA_SA_EEENS0_18inequality_wrapperIZN2at6native12_GLOBAL__N_124unique_dim_cuda_templateIN3c108BFloat16EEESt5tupleIJNSH_6TensorESO_SO_EERKSO_lbbbEUlllE0_EEPmJS6_EEE10hipError_tPvRmT3_T4_T5_T6_T7_T9_mT8_P12ihipStream_tbDpT10_ENKUlT_T0_E_clISt17integral_constantIbLb0EES1D_IbLb1EEEEDaS19_S1A_EUlS19_E_NS1_11comp_targetILNS1_3genE0ELNS1_11target_archE4294967295ELNS1_3gpuE0ELNS1_3repE0EEENS1_30default_config_static_selectorELNS0_4arch9wavefront6targetE1EEEvT1_
		.amdhsa_group_segment_fixed_size 0
		.amdhsa_private_segment_fixed_size 0
		.amdhsa_kernarg_size 136
		.amdhsa_user_sgpr_count 2
		.amdhsa_user_sgpr_dispatch_ptr 0
		.amdhsa_user_sgpr_queue_ptr 0
		.amdhsa_user_sgpr_kernarg_segment_ptr 1
		.amdhsa_user_sgpr_dispatch_id 0
		.amdhsa_user_sgpr_kernarg_preload_length 0
		.amdhsa_user_sgpr_kernarg_preload_offset 0
		.amdhsa_user_sgpr_private_segment_size 0
		.amdhsa_uses_dynamic_stack 0
		.amdhsa_enable_private_segment 0
		.amdhsa_system_sgpr_workgroup_id_x 1
		.amdhsa_system_sgpr_workgroup_id_y 0
		.amdhsa_system_sgpr_workgroup_id_z 0
		.amdhsa_system_sgpr_workgroup_info 0
		.amdhsa_system_vgpr_workitem_id 0
		.amdhsa_next_free_vgpr 1
		.amdhsa_next_free_sgpr 0
		.amdhsa_accum_offset 4
		.amdhsa_reserve_vcc 0
		.amdhsa_float_round_mode_32 0
		.amdhsa_float_round_mode_16_64 0
		.amdhsa_float_denorm_mode_32 3
		.amdhsa_float_denorm_mode_16_64 3
		.amdhsa_dx10_clamp 1
		.amdhsa_ieee_mode 1
		.amdhsa_fp16_overflow 0
		.amdhsa_tg_split 0
		.amdhsa_exception_fp_ieee_invalid_op 0
		.amdhsa_exception_fp_denorm_src 0
		.amdhsa_exception_fp_ieee_div_zero 0
		.amdhsa_exception_fp_ieee_overflow 0
		.amdhsa_exception_fp_ieee_underflow 0
		.amdhsa_exception_fp_ieee_inexact 0
		.amdhsa_exception_int_div_zero 0
	.end_amdhsa_kernel
	.section	.text._ZN7rocprim17ROCPRIM_400000_NS6detail17trampoline_kernelINS0_14default_configENS1_25partition_config_selectorILNS1_17partition_subalgoE8ElNS0_10empty_typeEbEEZZNS1_14partition_implILS5_8ELb0ES3_jPlPS6_PKS6_NS0_5tupleIJS9_S6_EEENSD_IJSA_SA_EEENS0_18inequality_wrapperIZN2at6native12_GLOBAL__N_124unique_dim_cuda_templateIN3c108BFloat16EEESt5tupleIJNSH_6TensorESO_SO_EERKSO_lbbbEUlllE0_EEPmJS6_EEE10hipError_tPvRmT3_T4_T5_T6_T7_T9_mT8_P12ihipStream_tbDpT10_ENKUlT_T0_E_clISt17integral_constantIbLb0EES1D_IbLb1EEEEDaS19_S1A_EUlS19_E_NS1_11comp_targetILNS1_3genE0ELNS1_11target_archE4294967295ELNS1_3gpuE0ELNS1_3repE0EEENS1_30default_config_static_selectorELNS0_4arch9wavefront6targetE1EEEvT1_,"axG",@progbits,_ZN7rocprim17ROCPRIM_400000_NS6detail17trampoline_kernelINS0_14default_configENS1_25partition_config_selectorILNS1_17partition_subalgoE8ElNS0_10empty_typeEbEEZZNS1_14partition_implILS5_8ELb0ES3_jPlPS6_PKS6_NS0_5tupleIJS9_S6_EEENSD_IJSA_SA_EEENS0_18inequality_wrapperIZN2at6native12_GLOBAL__N_124unique_dim_cuda_templateIN3c108BFloat16EEESt5tupleIJNSH_6TensorESO_SO_EERKSO_lbbbEUlllE0_EEPmJS6_EEE10hipError_tPvRmT3_T4_T5_T6_T7_T9_mT8_P12ihipStream_tbDpT10_ENKUlT_T0_E_clISt17integral_constantIbLb0EES1D_IbLb1EEEEDaS19_S1A_EUlS19_E_NS1_11comp_targetILNS1_3genE0ELNS1_11target_archE4294967295ELNS1_3gpuE0ELNS1_3repE0EEENS1_30default_config_static_selectorELNS0_4arch9wavefront6targetE1EEEvT1_,comdat
.Lfunc_end1206:
	.size	_ZN7rocprim17ROCPRIM_400000_NS6detail17trampoline_kernelINS0_14default_configENS1_25partition_config_selectorILNS1_17partition_subalgoE8ElNS0_10empty_typeEbEEZZNS1_14partition_implILS5_8ELb0ES3_jPlPS6_PKS6_NS0_5tupleIJS9_S6_EEENSD_IJSA_SA_EEENS0_18inequality_wrapperIZN2at6native12_GLOBAL__N_124unique_dim_cuda_templateIN3c108BFloat16EEESt5tupleIJNSH_6TensorESO_SO_EERKSO_lbbbEUlllE0_EEPmJS6_EEE10hipError_tPvRmT3_T4_T5_T6_T7_T9_mT8_P12ihipStream_tbDpT10_ENKUlT_T0_E_clISt17integral_constantIbLb0EES1D_IbLb1EEEEDaS19_S1A_EUlS19_E_NS1_11comp_targetILNS1_3genE0ELNS1_11target_archE4294967295ELNS1_3gpuE0ELNS1_3repE0EEENS1_30default_config_static_selectorELNS0_4arch9wavefront6targetE1EEEvT1_, .Lfunc_end1206-_ZN7rocprim17ROCPRIM_400000_NS6detail17trampoline_kernelINS0_14default_configENS1_25partition_config_selectorILNS1_17partition_subalgoE8ElNS0_10empty_typeEbEEZZNS1_14partition_implILS5_8ELb0ES3_jPlPS6_PKS6_NS0_5tupleIJS9_S6_EEENSD_IJSA_SA_EEENS0_18inequality_wrapperIZN2at6native12_GLOBAL__N_124unique_dim_cuda_templateIN3c108BFloat16EEESt5tupleIJNSH_6TensorESO_SO_EERKSO_lbbbEUlllE0_EEPmJS6_EEE10hipError_tPvRmT3_T4_T5_T6_T7_T9_mT8_P12ihipStream_tbDpT10_ENKUlT_T0_E_clISt17integral_constantIbLb0EES1D_IbLb1EEEEDaS19_S1A_EUlS19_E_NS1_11comp_targetILNS1_3genE0ELNS1_11target_archE4294967295ELNS1_3gpuE0ELNS1_3repE0EEENS1_30default_config_static_selectorELNS0_4arch9wavefront6targetE1EEEvT1_
                                        ; -- End function
	.section	.AMDGPU.csdata,"",@progbits
; Kernel info:
; codeLenInByte = 0
; NumSgprs: 6
; NumVgprs: 0
; NumAgprs: 0
; TotalNumVgprs: 0
; ScratchSize: 0
; MemoryBound: 0
; FloatMode: 240
; IeeeMode: 1
; LDSByteSize: 0 bytes/workgroup (compile time only)
; SGPRBlocks: 0
; VGPRBlocks: 0
; NumSGPRsForWavesPerEU: 6
; NumVGPRsForWavesPerEU: 1
; AccumOffset: 4
; Occupancy: 8
; WaveLimiterHint : 0
; COMPUTE_PGM_RSRC2:SCRATCH_EN: 0
; COMPUTE_PGM_RSRC2:USER_SGPR: 2
; COMPUTE_PGM_RSRC2:TRAP_HANDLER: 0
; COMPUTE_PGM_RSRC2:TGID_X_EN: 1
; COMPUTE_PGM_RSRC2:TGID_Y_EN: 0
; COMPUTE_PGM_RSRC2:TGID_Z_EN: 0
; COMPUTE_PGM_RSRC2:TIDIG_COMP_CNT: 0
; COMPUTE_PGM_RSRC3_GFX90A:ACCUM_OFFSET: 0
; COMPUTE_PGM_RSRC3_GFX90A:TG_SPLIT: 0
	.section	.text._ZN7rocprim17ROCPRIM_400000_NS6detail17trampoline_kernelINS0_14default_configENS1_25partition_config_selectorILNS1_17partition_subalgoE8ElNS0_10empty_typeEbEEZZNS1_14partition_implILS5_8ELb0ES3_jPlPS6_PKS6_NS0_5tupleIJS9_S6_EEENSD_IJSA_SA_EEENS0_18inequality_wrapperIZN2at6native12_GLOBAL__N_124unique_dim_cuda_templateIN3c108BFloat16EEESt5tupleIJNSH_6TensorESO_SO_EERKSO_lbbbEUlllE0_EEPmJS6_EEE10hipError_tPvRmT3_T4_T5_T6_T7_T9_mT8_P12ihipStream_tbDpT10_ENKUlT_T0_E_clISt17integral_constantIbLb0EES1D_IbLb1EEEEDaS19_S1A_EUlS19_E_NS1_11comp_targetILNS1_3genE5ELNS1_11target_archE942ELNS1_3gpuE9ELNS1_3repE0EEENS1_30default_config_static_selectorELNS0_4arch9wavefront6targetE1EEEvT1_,"axG",@progbits,_ZN7rocprim17ROCPRIM_400000_NS6detail17trampoline_kernelINS0_14default_configENS1_25partition_config_selectorILNS1_17partition_subalgoE8ElNS0_10empty_typeEbEEZZNS1_14partition_implILS5_8ELb0ES3_jPlPS6_PKS6_NS0_5tupleIJS9_S6_EEENSD_IJSA_SA_EEENS0_18inequality_wrapperIZN2at6native12_GLOBAL__N_124unique_dim_cuda_templateIN3c108BFloat16EEESt5tupleIJNSH_6TensorESO_SO_EERKSO_lbbbEUlllE0_EEPmJS6_EEE10hipError_tPvRmT3_T4_T5_T6_T7_T9_mT8_P12ihipStream_tbDpT10_ENKUlT_T0_E_clISt17integral_constantIbLb0EES1D_IbLb1EEEEDaS19_S1A_EUlS19_E_NS1_11comp_targetILNS1_3genE5ELNS1_11target_archE942ELNS1_3gpuE9ELNS1_3repE0EEENS1_30default_config_static_selectorELNS0_4arch9wavefront6targetE1EEEvT1_,comdat
	.globl	_ZN7rocprim17ROCPRIM_400000_NS6detail17trampoline_kernelINS0_14default_configENS1_25partition_config_selectorILNS1_17partition_subalgoE8ElNS0_10empty_typeEbEEZZNS1_14partition_implILS5_8ELb0ES3_jPlPS6_PKS6_NS0_5tupleIJS9_S6_EEENSD_IJSA_SA_EEENS0_18inequality_wrapperIZN2at6native12_GLOBAL__N_124unique_dim_cuda_templateIN3c108BFloat16EEESt5tupleIJNSH_6TensorESO_SO_EERKSO_lbbbEUlllE0_EEPmJS6_EEE10hipError_tPvRmT3_T4_T5_T6_T7_T9_mT8_P12ihipStream_tbDpT10_ENKUlT_T0_E_clISt17integral_constantIbLb0EES1D_IbLb1EEEEDaS19_S1A_EUlS19_E_NS1_11comp_targetILNS1_3genE5ELNS1_11target_archE942ELNS1_3gpuE9ELNS1_3repE0EEENS1_30default_config_static_selectorELNS0_4arch9wavefront6targetE1EEEvT1_ ; -- Begin function _ZN7rocprim17ROCPRIM_400000_NS6detail17trampoline_kernelINS0_14default_configENS1_25partition_config_selectorILNS1_17partition_subalgoE8ElNS0_10empty_typeEbEEZZNS1_14partition_implILS5_8ELb0ES3_jPlPS6_PKS6_NS0_5tupleIJS9_S6_EEENSD_IJSA_SA_EEENS0_18inequality_wrapperIZN2at6native12_GLOBAL__N_124unique_dim_cuda_templateIN3c108BFloat16EEESt5tupleIJNSH_6TensorESO_SO_EERKSO_lbbbEUlllE0_EEPmJS6_EEE10hipError_tPvRmT3_T4_T5_T6_T7_T9_mT8_P12ihipStream_tbDpT10_ENKUlT_T0_E_clISt17integral_constantIbLb0EES1D_IbLb1EEEEDaS19_S1A_EUlS19_E_NS1_11comp_targetILNS1_3genE5ELNS1_11target_archE942ELNS1_3gpuE9ELNS1_3repE0EEENS1_30default_config_static_selectorELNS0_4arch9wavefront6targetE1EEEvT1_
	.p2align	8
	.type	_ZN7rocprim17ROCPRIM_400000_NS6detail17trampoline_kernelINS0_14default_configENS1_25partition_config_selectorILNS1_17partition_subalgoE8ElNS0_10empty_typeEbEEZZNS1_14partition_implILS5_8ELb0ES3_jPlPS6_PKS6_NS0_5tupleIJS9_S6_EEENSD_IJSA_SA_EEENS0_18inequality_wrapperIZN2at6native12_GLOBAL__N_124unique_dim_cuda_templateIN3c108BFloat16EEESt5tupleIJNSH_6TensorESO_SO_EERKSO_lbbbEUlllE0_EEPmJS6_EEE10hipError_tPvRmT3_T4_T5_T6_T7_T9_mT8_P12ihipStream_tbDpT10_ENKUlT_T0_E_clISt17integral_constantIbLb0EES1D_IbLb1EEEEDaS19_S1A_EUlS19_E_NS1_11comp_targetILNS1_3genE5ELNS1_11target_archE942ELNS1_3gpuE9ELNS1_3repE0EEENS1_30default_config_static_selectorELNS0_4arch9wavefront6targetE1EEEvT1_,@function
_ZN7rocprim17ROCPRIM_400000_NS6detail17trampoline_kernelINS0_14default_configENS1_25partition_config_selectorILNS1_17partition_subalgoE8ElNS0_10empty_typeEbEEZZNS1_14partition_implILS5_8ELb0ES3_jPlPS6_PKS6_NS0_5tupleIJS9_S6_EEENSD_IJSA_SA_EEENS0_18inequality_wrapperIZN2at6native12_GLOBAL__N_124unique_dim_cuda_templateIN3c108BFloat16EEESt5tupleIJNSH_6TensorESO_SO_EERKSO_lbbbEUlllE0_EEPmJS6_EEE10hipError_tPvRmT3_T4_T5_T6_T7_T9_mT8_P12ihipStream_tbDpT10_ENKUlT_T0_E_clISt17integral_constantIbLb0EES1D_IbLb1EEEEDaS19_S1A_EUlS19_E_NS1_11comp_targetILNS1_3genE5ELNS1_11target_archE942ELNS1_3gpuE9ELNS1_3repE0EEENS1_30default_config_static_selectorELNS0_4arch9wavefront6targetE1EEEvT1_: ; @_ZN7rocprim17ROCPRIM_400000_NS6detail17trampoline_kernelINS0_14default_configENS1_25partition_config_selectorILNS1_17partition_subalgoE8ElNS0_10empty_typeEbEEZZNS1_14partition_implILS5_8ELb0ES3_jPlPS6_PKS6_NS0_5tupleIJS9_S6_EEENSD_IJSA_SA_EEENS0_18inequality_wrapperIZN2at6native12_GLOBAL__N_124unique_dim_cuda_templateIN3c108BFloat16EEESt5tupleIJNSH_6TensorESO_SO_EERKSO_lbbbEUlllE0_EEPmJS6_EEE10hipError_tPvRmT3_T4_T5_T6_T7_T9_mT8_P12ihipStream_tbDpT10_ENKUlT_T0_E_clISt17integral_constantIbLb0EES1D_IbLb1EEEEDaS19_S1A_EUlS19_E_NS1_11comp_targetILNS1_3genE5ELNS1_11target_archE942ELNS1_3gpuE9ELNS1_3repE0EEENS1_30default_config_static_selectorELNS0_4arch9wavefront6targetE1EEEvT1_
; %bb.0:
	s_load_dwordx2 s[34:35], s[0:1], 0x28
	s_load_dwordx8 s[20:27], s[0:1], 0x40
	s_load_dwordx4 s[28:31], s[0:1], 0x60
	v_cmp_ne_u32_e64 s[2:3], 0, v0
	v_cmp_eq_u32_e64 s[18:19], 0, v0
	s_and_saveexec_b64 s[4:5], s[18:19]
	s_cbranch_execz .LBB1207_4
; %bb.1:
	s_mov_b64 s[8:9], exec
	v_mbcnt_lo_u32_b32 v1, s8, 0
	v_mbcnt_hi_u32_b32 v1, s9, v1
	v_cmp_eq_u32_e32 vcc, 0, v1
                                        ; implicit-def: $vgpr2
	s_and_saveexec_b64 s[6:7], vcc
	s_cbranch_execz .LBB1207_3
; %bb.2:
	s_load_dwordx2 s[10:11], s[0:1], 0x78
	s_bcnt1_i32_b64 s8, s[8:9]
	v_mov_b32_e32 v2, 0
	v_mov_b32_e32 v3, s8
	s_waitcnt lgkmcnt(0)
	global_atomic_add v2, v2, v3, s[10:11] sc0
.LBB1207_3:
	s_or_b64 exec, exec, s[6:7]
	s_waitcnt vmcnt(0)
	v_readfirstlane_b32 s6, v2
	v_mov_b32_e32 v2, 0
	s_nop 0
	v_add_u32_e32 v1, s6, v1
	ds_write_b32 v2, v1
.LBB1207_4:
	s_or_b64 exec, exec, s[4:5]
	v_mov_b32_e32 v3, 0
	s_load_dwordx4 s[4:7], s[0:1], 0x8
	s_load_dword s10, s[0:1], 0x70
	s_waitcnt lgkmcnt(0)
	s_barrier
	ds_read_b32 v1, v3
	s_waitcnt lgkmcnt(0)
	s_barrier
	global_load_dwordx2 v[4:5], v3, s[22:23]
	s_lshl_b64 s[0:1], s[6:7], 3
	s_mul_i32 s12, s10, 0xe00
	s_add_u32 s0, s4, s0
	s_addc_u32 s1, s5, s1
	s_add_i32 s4, s12, s6
	s_add_i32 s10, s10, -1
	s_sub_i32 s52, s24, s4
	s_add_u32 s4, s6, s12
	s_movk_i32 s11, 0xe00
	s_addc_u32 s5, s7, 0
	v_readfirstlane_b32 s33, v1
	v_mov_b32_e32 v6, s24
	v_mov_b32_e32 v7, s25
	v_mul_lo_u32 v2, v1, s11
	s_cmp_eq_u32 s33, s10
	v_cmp_ge_u64_e32 vcc, s[4:5], v[6:7]
	v_lshlrev_b64 v[6:7], 3, v[2:3]
	s_cselect_b64 s[24:25], -1, 0
	v_lshl_add_u64 v[18:19], s[0:1], 0, v[6:7]
	s_and_b64 s[0:1], vcc, s[24:25]
	s_xor_b64 s[36:37], s[0:1], -1
	s_mov_b64 s[8:9], -1
	s_and_b64 vcc, exec, s[36:37]
	s_waitcnt vmcnt(0)
	v_readfirstlane_b32 s22, v4
	v_readfirstlane_b32 s23, v5
	s_cbranch_vccz .LBB1207_6
; %bb.5:
	v_lshlrev_b32_e32 v2, 3, v0
	v_lshl_add_u64 v[4:5], v[18:19], 0, v[2:3]
	v_add_co_u32_e32 v8, vcc, 0x1000, v4
	v_readfirstlane_b32 s4, v18
	s_nop 0
	v_addc_co_u32_e32 v9, vcc, 0, v5, vcc
	v_add_co_u32_e32 v10, vcc, 0x2000, v4
	v_readfirstlane_b32 s5, v19
	s_nop 0
	v_addc_co_u32_e32 v11, vcc, 0, v5, vcc
	v_add_co_u32_e32 v12, vcc, 0x3000, v4
	s_mov_b64 s[8:9], 0
	s_nop 0
	v_addc_co_u32_e32 v13, vcc, 0, v5, vcc
	v_add_co_u32_e32 v14, vcc, 0x4000, v4
	global_load_dwordx2 v[6:7], v2, s[4:5]
	s_nop 0
	v_addc_co_u32_e32 v15, vcc, 0, v5, vcc
	global_load_dwordx2 v[16:17], v[8:9], off
	global_load_dwordx2 v[20:21], v[10:11], off
	;; [unrolled: 1-line block ×4, first 2 shown]
	v_add_co_u32_e32 v8, vcc, 0x5000, v4
	s_nop 1
	v_addc_co_u32_e32 v9, vcc, 0, v5, vcc
	v_add_co_u32_e32 v4, vcc, 0x6000, v4
	global_load_dwordx2 v[8:9], v[8:9], off
	s_nop 0
	v_addc_co_u32_e32 v5, vcc, 0, v5, vcc
	global_load_dwordx2 v[4:5], v[4:5], off
	s_waitcnt vmcnt(5)
	ds_write2st64_b64 v2, v[6:7], v[16:17] offset1:8
	s_waitcnt vmcnt(3)
	ds_write2st64_b64 v2, v[20:21], v[22:23] offset0:16 offset1:24
	s_waitcnt vmcnt(1)
	ds_write2st64_b64 v2, v[24:25], v[8:9] offset0:32 offset1:40
	s_waitcnt vmcnt(0)
	ds_write_b64 v2, v[4:5] offset:24576
	s_waitcnt lgkmcnt(0)
	s_barrier
.LBB1207_6:
	s_andn2_b64 vcc, exec, s[8:9]
	s_addk_i32 s52, 0xe00
	s_cbranch_vccnz .LBB1207_22
; %bb.7:
	v_cmp_gt_u32_e32 vcc, s52, v0
                                        ; implicit-def: $vgpr2_vgpr3_vgpr4_vgpr5_vgpr6_vgpr7_vgpr8_vgpr9_vgpr10_vgpr11_vgpr12_vgpr13_vgpr14_vgpr15_vgpr16_vgpr17
	s_and_saveexec_b64 s[4:5], vcc
	s_cbranch_execz .LBB1207_9
; %bb.8:
	v_lshlrev_b32_e32 v1, 3, v0
	v_readfirstlane_b32 s8, v18
	v_readfirstlane_b32 s9, v19
	s_nop 4
	global_load_dwordx2 v[2:3], v1, s[8:9]
.LBB1207_9:
	s_or_b64 exec, exec, s[4:5]
	v_or_b32_e32 v1, 0x200, v0
	v_cmp_gt_u32_e32 vcc, s52, v1
	s_and_saveexec_b64 s[4:5], vcc
	s_cbranch_execz .LBB1207_11
; %bb.10:
	v_lshlrev_b32_e32 v1, 3, v1
	v_readfirstlane_b32 s8, v18
	v_readfirstlane_b32 s9, v19
	s_nop 4
	global_load_dwordx2 v[4:5], v1, s[8:9]
.LBB1207_11:
	s_or_b64 exec, exec, s[4:5]
	v_or_b32_e32 v1, 0x400, v0
	v_cmp_gt_u32_e32 vcc, s52, v1
	;; [unrolled: 12-line block ×6, first 2 shown]
	s_and_saveexec_b64 s[4:5], vcc
	s_cbranch_execz .LBB1207_21
; %bb.20:
	v_lshlrev_b32_e32 v1, 3, v1
	v_readfirstlane_b32 s8, v18
	v_readfirstlane_b32 s9, v19
	s_nop 4
	global_load_dwordx2 v[14:15], v1, s[8:9]
.LBB1207_21:
	s_or_b64 exec, exec, s[4:5]
	v_lshlrev_b32_e32 v1, 3, v0
	s_waitcnt vmcnt(0)
	ds_write2st64_b64 v1, v[2:3], v[4:5] offset1:8
	ds_write2st64_b64 v1, v[6:7], v[8:9] offset0:16 offset1:24
	ds_write2st64_b64 v1, v[10:11], v[12:13] offset0:32 offset1:40
	ds_write_b64 v1, v[14:15] offset:24576
	s_waitcnt lgkmcnt(0)
	s_barrier
.LBB1207_22:
	v_mul_u32_u24_e32 v1, 7, v0
	v_lshlrev_b32_e32 v32, 3, v1
	ds_read2_b64 v[10:13], v32 offset1:1
	ds_read2_b64 v[6:9], v32 offset0:2 offset1:3
	ds_read2_b64 v[2:5], v32 offset0:4 offset1:5
	ds_read_b64 v[14:15], v32 offset:48
	s_cmp_lg_u32 s33, 0
	s_cselect_b64 s[16:17], -1, 0
	s_cmp_lg_u64 s[6:7], 0
	s_cselect_b64 s[4:5], -1, 0
	s_or_b64 s[4:5], s[4:5], s[16:17]
	v_mad_u32_u24 v27, v0, 7, 1
	v_mad_u32_u24 v26, v0, 7, 2
	;; [unrolled: 1-line block ×6, first 2 shown]
	s_mov_b64 s[8:9], 0
	s_and_b64 vcc, exec, s[4:5]
	v_cmp_gt_i64_e64 s[4:5], s[26:27], 0
	s_waitcnt lgkmcnt(0)
	s_barrier
	s_cbranch_vccz .LBB1207_31
; %bb.23:
	global_load_dwordx2 v[16:17], v[18:19], off offset:-8
	v_cndmask_b32_e64 v18, 0, 1, s[4:5]
	v_lshlrev_b32_e32 v33, 3, v0
	s_mov_b64 s[6:7], 0
	s_and_b64 vcc, exec, s[36:37]
	v_cmp_ne_u32_e64 s[4:5], 1, v18
	ds_write_b64 v33, v[14:15]
	s_cbranch_vccz .LBB1207_33
; %bb.24:
	v_mul_lo_u32 v20, v5, s26
	v_mul_lo_u32 v21, v4, s27
	v_mad_u64_u32 v[18:19], s[8:9], v4, s26, 0
	v_add3_u32 v19, v19, v21, v20
	s_and_b64 vcc, exec, s[4:5]
	v_lshl_add_u64 v[18:19], v[18:19], 1, s[28:29]
	s_cbranch_vccnz .LBB1207_36
; %bb.25:
	v_mul_lo_u32 v22, v15, s26
	v_mul_lo_u32 v23, v14, s27
	v_mad_u64_u32 v[20:21], s[6:7], v14, s26, 0
	v_add3_u32 v21, v21, v23, v22
	v_lshl_add_u64 v[20:21], v[20:21], 1, s[28:29]
	global_load_ushort v22, v[20:21], off
	global_load_ushort v23, v[18:19], off
	s_mov_b64 s[6:7], -1
	s_waitcnt vmcnt(1)
	v_lshlrev_b32_e32 v22, 16, v22
	s_waitcnt vmcnt(0)
	v_lshlrev_b32_e32 v23, 16, v23
	v_cmp_eq_f32_e32 vcc, v23, v22
	s_and_saveexec_b64 s[8:9], vcc
	s_cbranch_execz .LBB1207_35
; %bb.26:
	s_add_u32 s6, s26, -1
	v_lshl_add_u64 v[20:21], v[20:21], 0, 2
	v_lshl_add_u64 v[22:23], v[18:19], 0, 2
	s_addc_u32 s7, s27, -1
	s_mov_b64 s[10:11], 0
	s_mov_b64 s[14:15], 0
                                        ; implicit-def: $sgpr12_sgpr13
	s_branch .LBB1207_29
.LBB1207_27:                            ;   in Loop: Header=BB1207_29 Depth=1
	global_load_ushort v24, v[20:21], off
	global_load_ushort v25, v[22:23], off
	s_add_u32 s14, s14, 1
	s_addc_u32 s15, s15, 0
	s_andn2_b64 s[12:13], s[12:13], exec
	v_lshl_add_u64 v[20:21], v[20:21], 0, 2
	v_lshl_add_u64 v[22:23], v[22:23], 0, 2
	s_waitcnt vmcnt(1)
	v_lshlrev_b32_e32 v24, 16, v24
	s_waitcnt vmcnt(0)
	v_lshlrev_b32_e32 v25, 16, v25
	v_cmp_neq_f32_e32 vcc, v25, v24
	s_and_b64 s[38:39], vcc, exec
	s_or_b64 s[12:13], s[12:13], s[38:39]
.LBB1207_28:                            ;   in Loop: Header=BB1207_29 Depth=1
	s_and_b64 s[38:39], exec, s[12:13]
	s_or_b64 s[10:11], s[38:39], s[10:11]
	v_mov_b64_e32 v[24:25], s[14:15]
	s_andn2_b64 exec, exec, s[10:11]
	s_cbranch_execz .LBB1207_34
.LBB1207_29:                            ; =>This Inner Loop Header: Depth=1
	s_or_b64 s[12:13], s[12:13], exec
	s_cmp_eq_u64 s[6:7], s[14:15]
	s_cbranch_scc0 .LBB1207_27
; %bb.30:                               ;   in Loop: Header=BB1207_29 Depth=1
                                        ; implicit-def: $vgpr20_vgpr21
                                        ; implicit-def: $vgpr22_vgpr23
	s_mov_b64 s[14:15], s[26:27]
	s_branch .LBB1207_28
.LBB1207_31:
                                        ; implicit-def: $sgpr12_sgpr13
                                        ; implicit-def: $vgpr35
                                        ; implicit-def: $vgpr34
                                        ; implicit-def: $vgpr25
                                        ; implicit-def: $vgpr20
	s_branch .LBB1207_174
.LBB1207_32:
                                        ; implicit-def: $vgpr16_vgpr17
	s_branch .LBB1207_322
.LBB1207_33:
                                        ; implicit-def: $sgpr12_sgpr13
                                        ; implicit-def: $vgpr35
                                        ; implicit-def: $vgpr34
                                        ; implicit-def: $vgpr25
                                        ; implicit-def: $vgpr20
	s_cbranch_execnz .LBB1207_93
	s_branch .LBB1207_173
.LBB1207_34:
	s_or_b64 exec, exec, s[10:11]
	v_cmp_gt_i64_e32 vcc, s[26:27], v[24:25]
	s_orn2_b64 s[6:7], vcc, exec
.LBB1207_35:
	s_or_b64 exec, exec, s[8:9]
.LBB1207_36:
	v_mul_lo_u32 v22, v3, s26
	v_mul_lo_u32 v23, v2, s27
	v_mad_u64_u32 v[20:21], s[8:9], v2, s26, 0
	v_add3_u32 v21, v21, v23, v22
	s_mov_b64 s[8:9], 0
	s_and_b64 vcc, exec, s[4:5]
	v_lshl_add_u64 v[20:21], v[20:21], 1, s[28:29]
	s_mov_b64 s[10:11], 0
	s_cbranch_vccnz .LBB1207_45
; %bb.37:
	global_load_ushort v22, v[18:19], off
	global_load_ushort v23, v[20:21], off
	s_mov_b64 s[10:11], -1
	s_waitcnt vmcnt(1)
	v_lshlrev_b32_e32 v22, 16, v22
	s_waitcnt vmcnt(0)
	v_lshlrev_b32_e32 v23, 16, v23
	v_cmp_eq_f32_e32 vcc, v23, v22
	s_and_saveexec_b64 s[12:13], vcc
	s_cbranch_execz .LBB1207_44
; %bb.38:
	s_add_u32 s10, s26, -1
	v_lshl_add_u64 v[18:19], v[18:19], 0, 2
	v_lshl_add_u64 v[22:23], v[20:21], 0, 2
	s_addc_u32 s11, s27, -1
	s_mov_b64 s[14:15], 0
	s_mov_b64 s[40:41], 0
                                        ; implicit-def: $sgpr38_sgpr39
	s_branch .LBB1207_41
.LBB1207_39:                            ;   in Loop: Header=BB1207_41 Depth=1
	global_load_ushort v24, v[18:19], off
	global_load_ushort v25, v[22:23], off
	s_add_u32 s40, s40, 1
	s_addc_u32 s41, s41, 0
	s_andn2_b64 s[38:39], s[38:39], exec
	v_lshl_add_u64 v[18:19], v[18:19], 0, 2
	v_lshl_add_u64 v[22:23], v[22:23], 0, 2
	s_waitcnt vmcnt(1)
	v_lshlrev_b32_e32 v24, 16, v24
	s_waitcnt vmcnt(0)
	v_lshlrev_b32_e32 v25, 16, v25
	v_cmp_neq_f32_e32 vcc, v25, v24
	s_and_b64 s[42:43], vcc, exec
	s_or_b64 s[38:39], s[38:39], s[42:43]
.LBB1207_40:                            ;   in Loop: Header=BB1207_41 Depth=1
	s_and_b64 s[42:43], exec, s[38:39]
	s_or_b64 s[14:15], s[42:43], s[14:15]
	v_mov_b64_e32 v[24:25], s[40:41]
	s_andn2_b64 exec, exec, s[14:15]
	s_cbranch_execz .LBB1207_43
.LBB1207_41:                            ; =>This Inner Loop Header: Depth=1
	s_or_b64 s[38:39], s[38:39], exec
	s_cmp_eq_u64 s[10:11], s[40:41]
	s_cbranch_scc0 .LBB1207_39
; %bb.42:                               ;   in Loop: Header=BB1207_41 Depth=1
                                        ; implicit-def: $vgpr18_vgpr19
                                        ; implicit-def: $vgpr22_vgpr23
	s_mov_b64 s[40:41], s[26:27]
	s_branch .LBB1207_40
.LBB1207_43:
	s_or_b64 exec, exec, s[14:15]
	v_cmp_gt_i64_e32 vcc, s[26:27], v[24:25]
	s_orn2_b64 s[10:11], vcc, exec
.LBB1207_44:
	s_or_b64 exec, exec, s[12:13]
.LBB1207_45:
	v_mul_lo_u32 v22, v9, s26
	v_mul_lo_u32 v23, v8, s27
	v_mad_u64_u32 v[18:19], s[12:13], v8, s26, 0
	v_add3_u32 v19, v19, v23, v22
	s_and_b64 vcc, exec, s[4:5]
	v_lshl_add_u64 v[18:19], v[18:19], 1, s[28:29]
	s_cbranch_vccnz .LBB1207_54
; %bb.46:
	global_load_ushort v22, v[20:21], off
	global_load_ushort v23, v[18:19], off
	s_mov_b64 s[8:9], -1
	s_waitcnt vmcnt(1)
	v_lshlrev_b32_e32 v22, 16, v22
	s_waitcnt vmcnt(0)
	v_lshlrev_b32_e32 v23, 16, v23
	v_cmp_eq_f32_e32 vcc, v23, v22
	s_and_saveexec_b64 s[12:13], vcc
	s_cbranch_execz .LBB1207_53
; %bb.47:
	s_add_u32 s8, s26, -1
	v_lshl_add_u64 v[20:21], v[20:21], 0, 2
	v_lshl_add_u64 v[22:23], v[18:19], 0, 2
	s_addc_u32 s9, s27, -1
	s_mov_b64 s[14:15], 0
	s_mov_b64 s[40:41], 0
                                        ; implicit-def: $sgpr38_sgpr39
	s_branch .LBB1207_50
.LBB1207_48:                            ;   in Loop: Header=BB1207_50 Depth=1
	global_load_ushort v24, v[20:21], off
	global_load_ushort v25, v[22:23], off
	s_add_u32 s40, s40, 1
	s_addc_u32 s41, s41, 0
	s_andn2_b64 s[38:39], s[38:39], exec
	v_lshl_add_u64 v[20:21], v[20:21], 0, 2
	v_lshl_add_u64 v[22:23], v[22:23], 0, 2
	s_waitcnt vmcnt(1)
	v_lshlrev_b32_e32 v24, 16, v24
	s_waitcnt vmcnt(0)
	v_lshlrev_b32_e32 v25, 16, v25
	v_cmp_neq_f32_e32 vcc, v25, v24
	s_and_b64 s[42:43], vcc, exec
	s_or_b64 s[38:39], s[38:39], s[42:43]
.LBB1207_49:                            ;   in Loop: Header=BB1207_50 Depth=1
	s_and_b64 s[42:43], exec, s[38:39]
	s_or_b64 s[14:15], s[42:43], s[14:15]
	v_mov_b64_e32 v[24:25], s[40:41]
	s_andn2_b64 exec, exec, s[14:15]
	s_cbranch_execz .LBB1207_52
.LBB1207_50:                            ; =>This Inner Loop Header: Depth=1
	s_or_b64 s[38:39], s[38:39], exec
	s_cmp_eq_u64 s[8:9], s[40:41]
	s_cbranch_scc0 .LBB1207_48
; %bb.51:                               ;   in Loop: Header=BB1207_50 Depth=1
                                        ; implicit-def: $vgpr20_vgpr21
                                        ; implicit-def: $vgpr22_vgpr23
	s_mov_b64 s[40:41], s[26:27]
	s_branch .LBB1207_49
.LBB1207_52:
	s_or_b64 exec, exec, s[14:15]
	v_cmp_gt_i64_e32 vcc, s[26:27], v[24:25]
	s_orn2_b64 s[8:9], vcc, exec
.LBB1207_53:
	s_or_b64 exec, exec, s[12:13]
.LBB1207_54:
	v_mul_lo_u32 v22, v7, s26
	v_mul_lo_u32 v23, v6, s27
	v_mad_u64_u32 v[20:21], s[12:13], v6, s26, 0
	v_add3_u32 v21, v21, v23, v22
	s_mov_b64 s[12:13], 0
	s_and_b64 vcc, exec, s[4:5]
	v_lshl_add_u64 v[22:23], v[20:21], 1, s[28:29]
	s_mov_b64 s[14:15], 0
	s_cbranch_vccnz .LBB1207_63
; %bb.55:
	global_load_ushort v20, v[18:19], off
	global_load_ushort v21, v[22:23], off
	s_mov_b64 s[14:15], -1
	s_waitcnt vmcnt(1)
	v_lshlrev_b32_e32 v20, 16, v20
	s_waitcnt vmcnt(0)
	v_lshlrev_b32_e32 v21, 16, v21
	v_cmp_eq_f32_e32 vcc, v21, v20
	s_and_saveexec_b64 s[38:39], vcc
	s_cbranch_execz .LBB1207_62
; %bb.56:
	s_add_u32 s14, s26, -1
	v_lshl_add_u64 v[18:19], v[18:19], 0, 2
	v_lshl_add_u64 v[20:21], v[22:23], 0, 2
	s_addc_u32 s15, s27, -1
	s_mov_b64 s[40:41], 0
	s_mov_b64 s[44:45], 0
                                        ; implicit-def: $sgpr42_sgpr43
	s_branch .LBB1207_59
.LBB1207_57:                            ;   in Loop: Header=BB1207_59 Depth=1
	global_load_ushort v24, v[18:19], off
	global_load_ushort v25, v[20:21], off
	s_add_u32 s44, s44, 1
	s_addc_u32 s45, s45, 0
	s_andn2_b64 s[42:43], s[42:43], exec
	v_lshl_add_u64 v[18:19], v[18:19], 0, 2
	v_lshl_add_u64 v[20:21], v[20:21], 0, 2
	s_waitcnt vmcnt(1)
	v_lshlrev_b32_e32 v24, 16, v24
	s_waitcnt vmcnt(0)
	v_lshlrev_b32_e32 v25, 16, v25
	v_cmp_neq_f32_e32 vcc, v25, v24
	s_and_b64 s[46:47], vcc, exec
	s_or_b64 s[42:43], s[42:43], s[46:47]
.LBB1207_58:                            ;   in Loop: Header=BB1207_59 Depth=1
	s_and_b64 s[46:47], exec, s[42:43]
	s_or_b64 s[40:41], s[46:47], s[40:41]
	v_mov_b64_e32 v[24:25], s[44:45]
	s_andn2_b64 exec, exec, s[40:41]
	s_cbranch_execz .LBB1207_61
.LBB1207_59:                            ; =>This Inner Loop Header: Depth=1
	s_or_b64 s[42:43], s[42:43], exec
	s_cmp_eq_u64 s[14:15], s[44:45]
	s_cbranch_scc0 .LBB1207_57
; %bb.60:                               ;   in Loop: Header=BB1207_59 Depth=1
                                        ; implicit-def: $vgpr18_vgpr19
                                        ; implicit-def: $vgpr20_vgpr21
	s_mov_b64 s[44:45], s[26:27]
	s_branch .LBB1207_58
.LBB1207_61:
	s_or_b64 exec, exec, s[40:41]
	v_cmp_gt_i64_e32 vcc, s[26:27], v[24:25]
	s_orn2_b64 s[14:15], vcc, exec
.LBB1207_62:
	s_or_b64 exec, exec, s[38:39]
.LBB1207_63:
	v_mul_lo_u32 v20, v13, s26
	v_mul_lo_u32 v21, v12, s27
	v_mad_u64_u32 v[18:19], s[38:39], v12, s26, 0
	v_add3_u32 v19, v19, v21, v20
	s_and_b64 vcc, exec, s[4:5]
	v_lshl_add_u64 v[20:21], v[18:19], 1, s[28:29]
	s_cbranch_vccnz .LBB1207_72
; %bb.64:
	global_load_ushort v18, v[22:23], off
	global_load_ushort v19, v[20:21], off
	s_mov_b64 s[12:13], -1
	s_waitcnt vmcnt(1)
	v_lshlrev_b32_e32 v18, 16, v18
	s_waitcnt vmcnt(0)
	v_lshlrev_b32_e32 v19, 16, v19
	v_cmp_eq_f32_e32 vcc, v19, v18
	s_and_saveexec_b64 s[38:39], vcc
	s_cbranch_execz .LBB1207_71
; %bb.65:
	s_add_u32 s12, s26, -1
	v_lshl_add_u64 v[18:19], v[22:23], 0, 2
	v_lshl_add_u64 v[22:23], v[20:21], 0, 2
	s_addc_u32 s13, s27, -1
	s_mov_b64 s[40:41], 0
	s_mov_b64 s[44:45], 0
                                        ; implicit-def: $sgpr42_sgpr43
	s_branch .LBB1207_68
.LBB1207_66:                            ;   in Loop: Header=BB1207_68 Depth=1
	global_load_ushort v24, v[18:19], off
	global_load_ushort v25, v[22:23], off
	s_add_u32 s44, s44, 1
	s_addc_u32 s45, s45, 0
	s_andn2_b64 s[42:43], s[42:43], exec
	v_lshl_add_u64 v[18:19], v[18:19], 0, 2
	v_lshl_add_u64 v[22:23], v[22:23], 0, 2
	s_waitcnt vmcnt(1)
	v_lshlrev_b32_e32 v24, 16, v24
	s_waitcnt vmcnt(0)
	v_lshlrev_b32_e32 v25, 16, v25
	v_cmp_neq_f32_e32 vcc, v25, v24
	s_and_b64 s[46:47], vcc, exec
	s_or_b64 s[42:43], s[42:43], s[46:47]
.LBB1207_67:                            ;   in Loop: Header=BB1207_68 Depth=1
	s_and_b64 s[46:47], exec, s[42:43]
	s_or_b64 s[40:41], s[46:47], s[40:41]
	v_mov_b64_e32 v[24:25], s[44:45]
	s_andn2_b64 exec, exec, s[40:41]
	s_cbranch_execz .LBB1207_70
.LBB1207_68:                            ; =>This Inner Loop Header: Depth=1
	s_or_b64 s[42:43], s[42:43], exec
	s_cmp_eq_u64 s[12:13], s[44:45]
	s_cbranch_scc0 .LBB1207_66
; %bb.69:                               ;   in Loop: Header=BB1207_68 Depth=1
                                        ; implicit-def: $vgpr18_vgpr19
                                        ; implicit-def: $vgpr22_vgpr23
	s_mov_b64 s[44:45], s[26:27]
	s_branch .LBB1207_67
.LBB1207_70:
	s_or_b64 exec, exec, s[40:41]
	v_cmp_gt_i64_e32 vcc, s[26:27], v[24:25]
	s_orn2_b64 s[12:13], vcc, exec
.LBB1207_71:
	s_or_b64 exec, exec, s[38:39]
.LBB1207_72:
	v_mul_lo_u32 v22, v11, s26
	v_mul_lo_u32 v23, v10, s27
	v_mad_u64_u32 v[18:19], s[38:39], v10, s26, 0
	v_add3_u32 v19, v19, v23, v22
	s_mov_b64 s[40:41], 0
	s_and_b64 vcc, exec, s[4:5]
	v_lshl_add_u64 v[18:19], v[18:19], 1, s[28:29]
	s_cbranch_vccnz .LBB1207_81
; %bb.73:
	global_load_ushort v22, v[20:21], off
	global_load_ushort v23, v[18:19], off
	s_mov_b64 s[40:41], -1
	s_waitcnt vmcnt(1)
	v_lshlrev_b32_e32 v22, 16, v22
	s_waitcnt vmcnt(0)
	v_lshlrev_b32_e32 v23, 16, v23
	v_cmp_eq_f32_e32 vcc, v23, v22
	s_and_saveexec_b64 s[38:39], vcc
	s_cbranch_execz .LBB1207_80
; %bb.74:
	s_add_u32 s40, s26, -1
	v_lshl_add_u64 v[20:21], v[20:21], 0, 2
	v_lshl_add_u64 v[22:23], v[18:19], 0, 2
	s_addc_u32 s41, s27, -1
	s_mov_b64 s[42:43], 0
	s_mov_b64 s[46:47], 0
                                        ; implicit-def: $sgpr44_sgpr45
	s_branch .LBB1207_77
.LBB1207_75:                            ;   in Loop: Header=BB1207_77 Depth=1
	global_load_ushort v24, v[20:21], off
	global_load_ushort v25, v[22:23], off
	s_add_u32 s46, s46, 1
	s_addc_u32 s47, s47, 0
	s_andn2_b64 s[44:45], s[44:45], exec
	v_lshl_add_u64 v[20:21], v[20:21], 0, 2
	v_lshl_add_u64 v[22:23], v[22:23], 0, 2
	s_waitcnt vmcnt(1)
	v_lshlrev_b32_e32 v24, 16, v24
	s_waitcnt vmcnt(0)
	v_lshlrev_b32_e32 v25, 16, v25
	v_cmp_neq_f32_e32 vcc, v25, v24
	s_and_b64 s[48:49], vcc, exec
	s_or_b64 s[44:45], s[44:45], s[48:49]
.LBB1207_76:                            ;   in Loop: Header=BB1207_77 Depth=1
	s_and_b64 s[48:49], exec, s[44:45]
	s_or_b64 s[42:43], s[48:49], s[42:43]
	v_mov_b64_e32 v[24:25], s[46:47]
	s_andn2_b64 exec, exec, s[42:43]
	s_cbranch_execz .LBB1207_79
.LBB1207_77:                            ; =>This Inner Loop Header: Depth=1
	s_or_b64 s[44:45], s[44:45], exec
	s_cmp_eq_u64 s[40:41], s[46:47]
	s_cbranch_scc0 .LBB1207_75
; %bb.78:                               ;   in Loop: Header=BB1207_77 Depth=1
                                        ; implicit-def: $vgpr20_vgpr21
                                        ; implicit-def: $vgpr22_vgpr23
	s_mov_b64 s[46:47], s[26:27]
	s_branch .LBB1207_76
.LBB1207_79:
	s_or_b64 exec, exec, s[42:43]
	v_cmp_gt_i64_e32 vcc, s[26:27], v[24:25]
	s_orn2_b64 s[40:41], vcc, exec
.LBB1207_80:
	s_or_b64 exec, exec, s[38:39]
.LBB1207_81:
	s_waitcnt vmcnt(0)
	v_mov_b64_e32 v[20:21], v[16:17]
	s_waitcnt lgkmcnt(0)
	s_barrier
	s_and_saveexec_b64 s[38:39], s[2:3]
	s_cbranch_execz .LBB1207_83
; %bb.82:
	v_add_u32_e32 v20, -8, v33
	ds_read_b64 v[20:21], v20
.LBB1207_83:
	s_or_b64 exec, exec, s[38:39]
	v_cndmask_b32_e64 v23, 0, 1, s[14:15]
	v_cndmask_b32_e64 v22, 0, 1, s[12:13]
	;; [unrolled: 1-line block ×3, first 2 shown]
	v_lshlrev_b16_e32 v23, 8, v23
	v_lshlrev_b16_e32 v24, 8, v24
	v_or_b32_sdwa v36, v22, v23 dst_sel:WORD_1 dst_unused:UNUSED_PAD src0_sel:DWORD src1_sel:DWORD
	s_mov_b64 s[14:15], 0
	s_and_b64 vcc, exec, s[4:5]
	s_mov_b64 s[12:13], 0
	s_cbranch_vccnz .LBB1207_92
; %bb.84:
	s_waitcnt lgkmcnt(0)
	v_mul_lo_u32 v22, v21, s26
	v_mul_lo_u32 v23, v20, s27
	v_mad_u64_u32 v[20:21], s[12:13], v20, s26, 0
	v_add3_u32 v21, v21, v23, v22
	v_lshl_add_u64 v[20:21], v[20:21], 1, s[28:29]
	global_load_ushort v22, v[20:21], off
	global_load_ushort v23, v[18:19], off
	s_mov_b64 s[12:13], -1
	s_waitcnt vmcnt(1)
	v_lshlrev_b32_e32 v22, 16, v22
	s_waitcnt vmcnt(0)
	v_lshlrev_b32_e32 v23, 16, v23
	v_cmp_eq_f32_e32 vcc, v22, v23
	s_and_saveexec_b64 s[38:39], vcc
	s_cbranch_execz .LBB1207_91
; %bb.85:
	s_add_u32 s12, s26, -1
	v_lshl_add_u64 v[18:19], v[18:19], 0, 2
	v_lshl_add_u64 v[20:21], v[20:21], 0, 2
	s_addc_u32 s13, s27, -1
	s_mov_b64 s[40:41], 0
	s_mov_b64 s[44:45], 0
                                        ; implicit-def: $sgpr42_sgpr43
	s_branch .LBB1207_88
.LBB1207_86:                            ;   in Loop: Header=BB1207_88 Depth=1
	global_load_ushort v22, v[18:19], off
	global_load_ushort v23, v[20:21], off
	s_add_u32 s44, s44, 1
	s_addc_u32 s45, s45, 0
	s_andn2_b64 s[42:43], s[42:43], exec
	v_lshl_add_u64 v[18:19], v[18:19], 0, 2
	v_lshl_add_u64 v[20:21], v[20:21], 0, 2
	s_waitcnt vmcnt(1)
	v_lshlrev_b32_e32 v22, 16, v22
	s_waitcnt vmcnt(0)
	v_lshlrev_b32_e32 v23, 16, v23
	v_cmp_neq_f32_e32 vcc, v23, v22
	s_and_b64 s[46:47], vcc, exec
	s_or_b64 s[42:43], s[42:43], s[46:47]
.LBB1207_87:                            ;   in Loop: Header=BB1207_88 Depth=1
	s_and_b64 s[46:47], exec, s[42:43]
	s_or_b64 s[40:41], s[46:47], s[40:41]
	v_mov_b64_e32 v[22:23], s[44:45]
	s_andn2_b64 exec, exec, s[40:41]
	s_cbranch_execz .LBB1207_90
.LBB1207_88:                            ; =>This Inner Loop Header: Depth=1
	s_or_b64 s[42:43], s[42:43], exec
	s_cmp_eq_u64 s[12:13], s[44:45]
	s_cbranch_scc0 .LBB1207_86
; %bb.89:                               ;   in Loop: Header=BB1207_88 Depth=1
                                        ; implicit-def: $vgpr18_vgpr19
                                        ; implicit-def: $vgpr20_vgpr21
	s_mov_b64 s[44:45], s[26:27]
	s_branch .LBB1207_87
.LBB1207_90:
	s_or_b64 exec, exec, s[40:41]
	v_cmp_gt_i64_e32 vcc, s[26:27], v[22:23]
	s_orn2_b64 s[12:13], vcc, exec
.LBB1207_91:
	s_or_b64 exec, exec, s[38:39]
.LBB1207_92:
	v_cndmask_b32_e64 v25, 0, 1, s[8:9]
	v_cndmask_b32_e64 v34, 0, 1, s[10:11]
	;; [unrolled: 1-line block ×3, first 2 shown]
	s_waitcnt lgkmcnt(0)
	v_or_b32_e32 v20, v24, v36
	s_and_b64 vcc, exec, s[14:15]
	s_cbranch_vccz .LBB1207_173
.LBB1207_93:
	v_cmp_gt_u32_e32 vcc, s52, v29
	s_mov_b64 s[8:9], 0
	s_mov_b64 s[6:7], 0
	s_and_saveexec_b64 s[10:11], vcc
	s_cbranch_execz .LBB1207_104
; %bb.94:
	s_and_b64 vcc, exec, s[4:5]
	s_mov_b64 s[12:13], 0
	s_cbranch_vccnz .LBB1207_103
; %bb.95:
	v_mul_lo_u32 v20, v5, s26
	v_mul_lo_u32 v21, v4, s27
	v_mad_u64_u32 v[18:19], s[6:7], v4, s26, 0
	v_add3_u32 v19, v19, v21, v20
	v_mul_lo_u32 v20, v15, s26
	v_mul_lo_u32 v21, v14, s27
	v_mad_u64_u32 v[22:23], s[6:7], v14, s26, 0
	v_add3_u32 v23, v23, v21, v20
	v_lshl_add_u64 v[20:21], v[18:19], 1, s[28:29]
	v_lshl_add_u64 v[18:19], v[22:23], 1, s[28:29]
	global_load_ushort v22, v[18:19], off
	global_load_ushort v23, v[20:21], off
	s_mov_b64 s[12:13], -1
	s_waitcnt vmcnt(1)
	v_lshlrev_b32_e32 v22, 16, v22
	s_waitcnt vmcnt(0)
	v_lshlrev_b32_e32 v23, 16, v23
	v_cmp_eq_f32_e32 vcc, v23, v22
	s_and_saveexec_b64 s[6:7], vcc
	s_cbranch_execz .LBB1207_102
; %bb.96:
	s_add_u32 s12, s26, -1
	v_lshl_add_u64 v[18:19], v[18:19], 0, 2
	v_lshl_add_u64 v[20:21], v[20:21], 0, 2
	s_addc_u32 s13, s27, -1
	s_mov_b64 s[14:15], 0
	s_mov_b64 s[40:41], 0
                                        ; implicit-def: $sgpr38_sgpr39
	s_branch .LBB1207_99
.LBB1207_97:                            ;   in Loop: Header=BB1207_99 Depth=1
	global_load_ushort v22, v[18:19], off
	global_load_ushort v23, v[20:21], off
	s_add_u32 s40, s40, 1
	s_addc_u32 s41, s41, 0
	s_andn2_b64 s[38:39], s[38:39], exec
	v_lshl_add_u64 v[18:19], v[18:19], 0, 2
	v_lshl_add_u64 v[20:21], v[20:21], 0, 2
	s_waitcnt vmcnt(1)
	v_lshlrev_b32_e32 v22, 16, v22
	s_waitcnt vmcnt(0)
	v_lshlrev_b32_e32 v23, 16, v23
	v_cmp_neq_f32_e32 vcc, v23, v22
	s_and_b64 s[42:43], vcc, exec
	s_or_b64 s[38:39], s[38:39], s[42:43]
.LBB1207_98:                            ;   in Loop: Header=BB1207_99 Depth=1
	s_and_b64 s[42:43], exec, s[38:39]
	s_or_b64 s[14:15], s[42:43], s[14:15]
	v_mov_b64_e32 v[22:23], s[40:41]
	s_andn2_b64 exec, exec, s[14:15]
	s_cbranch_execz .LBB1207_101
.LBB1207_99:                            ; =>This Inner Loop Header: Depth=1
	s_or_b64 s[38:39], s[38:39], exec
	s_cmp_eq_u64 s[12:13], s[40:41]
	s_cbranch_scc0 .LBB1207_97
; %bb.100:                              ;   in Loop: Header=BB1207_99 Depth=1
                                        ; implicit-def: $vgpr18_vgpr19
                                        ; implicit-def: $vgpr20_vgpr21
	s_mov_b64 s[40:41], s[26:27]
	s_branch .LBB1207_98
.LBB1207_101:
	s_or_b64 exec, exec, s[14:15]
	v_cmp_gt_i64_e32 vcc, s[26:27], v[22:23]
	s_orn2_b64 s[12:13], vcc, exec
.LBB1207_102:
	s_or_b64 exec, exec, s[6:7]
.LBB1207_103:
	s_and_b64 s[6:7], s[12:13], exec
.LBB1207_104:
	s_or_b64 exec, exec, s[10:11]
	v_cmp_gt_u32_e32 vcc, s52, v31
	s_and_saveexec_b64 s[10:11], vcc
	s_cbranch_execz .LBB1207_115
; %bb.105:
	s_and_b64 vcc, exec, s[4:5]
	s_mov_b64 s[12:13], 0
	s_cbranch_vccnz .LBB1207_114
; %bb.106:
	v_mul_lo_u32 v20, v3, s26
	v_mul_lo_u32 v21, v2, s27
	v_mad_u64_u32 v[18:19], s[8:9], v2, s26, 0
	v_add3_u32 v19, v19, v21, v20
	v_mul_lo_u32 v20, v5, s26
	v_mul_lo_u32 v21, v4, s27
	v_mad_u64_u32 v[22:23], s[8:9], v4, s26, 0
	v_add3_u32 v23, v23, v21, v20
	v_lshl_add_u64 v[20:21], v[18:19], 1, s[28:29]
	v_lshl_add_u64 v[18:19], v[22:23], 1, s[28:29]
	global_load_ushort v22, v[18:19], off
	global_load_ushort v23, v[20:21], off
	s_mov_b64 s[12:13], -1
	s_waitcnt vmcnt(1)
	v_lshlrev_b32_e32 v22, 16, v22
	s_waitcnt vmcnt(0)
	v_lshlrev_b32_e32 v23, 16, v23
	v_cmp_eq_f32_e32 vcc, v23, v22
	s_and_saveexec_b64 s[8:9], vcc
	s_cbranch_execz .LBB1207_113
; %bb.107:
	s_add_u32 s12, s26, -1
	v_lshl_add_u64 v[18:19], v[18:19], 0, 2
	v_lshl_add_u64 v[20:21], v[20:21], 0, 2
	s_addc_u32 s13, s27, -1
	s_mov_b64 s[14:15], 0
	s_mov_b64 s[40:41], 0
                                        ; implicit-def: $sgpr38_sgpr39
	s_branch .LBB1207_110
.LBB1207_108:                           ;   in Loop: Header=BB1207_110 Depth=1
	global_load_ushort v22, v[18:19], off
	global_load_ushort v23, v[20:21], off
	s_add_u32 s40, s40, 1
	s_addc_u32 s41, s41, 0
	s_andn2_b64 s[38:39], s[38:39], exec
	v_lshl_add_u64 v[18:19], v[18:19], 0, 2
	v_lshl_add_u64 v[20:21], v[20:21], 0, 2
	s_waitcnt vmcnt(1)
	v_lshlrev_b32_e32 v22, 16, v22
	s_waitcnt vmcnt(0)
	v_lshlrev_b32_e32 v23, 16, v23
	v_cmp_neq_f32_e32 vcc, v23, v22
	s_and_b64 s[42:43], vcc, exec
	s_or_b64 s[38:39], s[38:39], s[42:43]
.LBB1207_109:                           ;   in Loop: Header=BB1207_110 Depth=1
	s_and_b64 s[42:43], exec, s[38:39]
	s_or_b64 s[14:15], s[42:43], s[14:15]
	v_mov_b64_e32 v[22:23], s[40:41]
	s_andn2_b64 exec, exec, s[14:15]
	s_cbranch_execz .LBB1207_112
.LBB1207_110:                           ; =>This Inner Loop Header: Depth=1
	s_or_b64 s[38:39], s[38:39], exec
	s_cmp_eq_u64 s[12:13], s[40:41]
	s_cbranch_scc0 .LBB1207_108
; %bb.111:                              ;   in Loop: Header=BB1207_110 Depth=1
                                        ; implicit-def: $vgpr18_vgpr19
                                        ; implicit-def: $vgpr20_vgpr21
	s_mov_b64 s[40:41], s[26:27]
	s_branch .LBB1207_109
.LBB1207_112:
	s_or_b64 exec, exec, s[14:15]
	v_cmp_gt_i64_e32 vcc, s[26:27], v[22:23]
	s_orn2_b64 s[12:13], vcc, exec
.LBB1207_113:
	s_or_b64 exec, exec, s[8:9]
.LBB1207_114:
	s_and_b64 s[8:9], s[12:13], exec
.LBB1207_115:
	s_or_b64 exec, exec, s[10:11]
	v_cmp_gt_u32_e32 vcc, s52, v28
	s_mov_b64 s[12:13], 0
	s_mov_b64 s[10:11], 0
	s_and_saveexec_b64 s[14:15], vcc
	s_cbranch_execz .LBB1207_126
; %bb.116:
	s_and_b64 vcc, exec, s[4:5]
	s_mov_b64 s[38:39], 0
	s_cbranch_vccnz .LBB1207_125
; %bb.117:
	v_mul_lo_u32 v20, v9, s26
	v_mul_lo_u32 v21, v8, s27
	v_mad_u64_u32 v[18:19], s[10:11], v8, s26, 0
	v_add3_u32 v19, v19, v21, v20
	v_mul_lo_u32 v20, v3, s26
	v_mul_lo_u32 v21, v2, s27
	v_mad_u64_u32 v[22:23], s[10:11], v2, s26, 0
	v_add3_u32 v23, v23, v21, v20
	v_lshl_add_u64 v[20:21], v[18:19], 1, s[28:29]
	v_lshl_add_u64 v[18:19], v[22:23], 1, s[28:29]
	global_load_ushort v22, v[18:19], off
	global_load_ushort v23, v[20:21], off
	s_mov_b64 s[38:39], -1
	s_waitcnt vmcnt(1)
	v_lshlrev_b32_e32 v22, 16, v22
	s_waitcnt vmcnt(0)
	v_lshlrev_b32_e32 v23, 16, v23
	v_cmp_eq_f32_e32 vcc, v23, v22
	s_and_saveexec_b64 s[10:11], vcc
	s_cbranch_execz .LBB1207_124
; %bb.118:
	s_add_u32 s38, s26, -1
	v_lshl_add_u64 v[18:19], v[18:19], 0, 2
	v_lshl_add_u64 v[20:21], v[20:21], 0, 2
	s_addc_u32 s39, s27, -1
	s_mov_b64 s[40:41], 0
	s_mov_b64 s[44:45], 0
                                        ; implicit-def: $sgpr42_sgpr43
	s_branch .LBB1207_121
.LBB1207_119:                           ;   in Loop: Header=BB1207_121 Depth=1
	global_load_ushort v22, v[18:19], off
	global_load_ushort v23, v[20:21], off
	s_add_u32 s44, s44, 1
	s_addc_u32 s45, s45, 0
	s_andn2_b64 s[42:43], s[42:43], exec
	v_lshl_add_u64 v[18:19], v[18:19], 0, 2
	v_lshl_add_u64 v[20:21], v[20:21], 0, 2
	s_waitcnt vmcnt(1)
	v_lshlrev_b32_e32 v22, 16, v22
	s_waitcnt vmcnt(0)
	v_lshlrev_b32_e32 v23, 16, v23
	v_cmp_neq_f32_e32 vcc, v23, v22
	s_and_b64 s[46:47], vcc, exec
	s_or_b64 s[42:43], s[42:43], s[46:47]
.LBB1207_120:                           ;   in Loop: Header=BB1207_121 Depth=1
	s_and_b64 s[46:47], exec, s[42:43]
	s_or_b64 s[40:41], s[46:47], s[40:41]
	v_mov_b64_e32 v[22:23], s[44:45]
	s_andn2_b64 exec, exec, s[40:41]
	s_cbranch_execz .LBB1207_123
.LBB1207_121:                           ; =>This Inner Loop Header: Depth=1
	s_or_b64 s[42:43], s[42:43], exec
	s_cmp_eq_u64 s[38:39], s[44:45]
	s_cbranch_scc0 .LBB1207_119
; %bb.122:                              ;   in Loop: Header=BB1207_121 Depth=1
                                        ; implicit-def: $vgpr18_vgpr19
                                        ; implicit-def: $vgpr20_vgpr21
	s_mov_b64 s[44:45], s[26:27]
	s_branch .LBB1207_120
.LBB1207_123:
	s_or_b64 exec, exec, s[40:41]
	v_cmp_gt_i64_e32 vcc, s[26:27], v[22:23]
	s_orn2_b64 s[38:39], vcc, exec
.LBB1207_124:
	s_or_b64 exec, exec, s[10:11]
.LBB1207_125:
	s_and_b64 s[10:11], s[38:39], exec
.LBB1207_126:
	s_or_b64 exec, exec, s[14:15]
	v_cmp_gt_u32_e32 vcc, s52, v30
	s_and_saveexec_b64 s[14:15], vcc
	s_cbranch_execz .LBB1207_137
; %bb.127:
	s_and_b64 vcc, exec, s[4:5]
	s_mov_b64 s[38:39], 0
	s_cbranch_vccnz .LBB1207_136
; %bb.128:
	v_mul_lo_u32 v20, v7, s26
	v_mul_lo_u32 v21, v6, s27
	v_mad_u64_u32 v[18:19], s[12:13], v6, s26, 0
	v_add3_u32 v19, v19, v21, v20
	v_mul_lo_u32 v20, v9, s26
	v_mul_lo_u32 v21, v8, s27
	v_mad_u64_u32 v[22:23], s[12:13], v8, s26, 0
	v_add3_u32 v23, v23, v21, v20
	v_lshl_add_u64 v[20:21], v[18:19], 1, s[28:29]
	v_lshl_add_u64 v[18:19], v[22:23], 1, s[28:29]
	global_load_ushort v22, v[18:19], off
	global_load_ushort v23, v[20:21], off
	s_mov_b64 s[38:39], -1
	s_waitcnt vmcnt(1)
	v_lshlrev_b32_e32 v22, 16, v22
	s_waitcnt vmcnt(0)
	v_lshlrev_b32_e32 v23, 16, v23
	v_cmp_eq_f32_e32 vcc, v23, v22
	s_and_saveexec_b64 s[12:13], vcc
	s_cbranch_execz .LBB1207_135
; %bb.129:
	s_add_u32 s38, s26, -1
	v_lshl_add_u64 v[18:19], v[18:19], 0, 2
	v_lshl_add_u64 v[20:21], v[20:21], 0, 2
	s_addc_u32 s39, s27, -1
	s_mov_b64 s[40:41], 0
	s_mov_b64 s[44:45], 0
                                        ; implicit-def: $sgpr42_sgpr43
	s_branch .LBB1207_132
.LBB1207_130:                           ;   in Loop: Header=BB1207_132 Depth=1
	global_load_ushort v22, v[18:19], off
	global_load_ushort v23, v[20:21], off
	s_add_u32 s44, s44, 1
	s_addc_u32 s45, s45, 0
	s_andn2_b64 s[42:43], s[42:43], exec
	v_lshl_add_u64 v[18:19], v[18:19], 0, 2
	v_lshl_add_u64 v[20:21], v[20:21], 0, 2
	s_waitcnt vmcnt(1)
	v_lshlrev_b32_e32 v22, 16, v22
	s_waitcnt vmcnt(0)
	v_lshlrev_b32_e32 v23, 16, v23
	v_cmp_neq_f32_e32 vcc, v23, v22
	s_and_b64 s[46:47], vcc, exec
	s_or_b64 s[42:43], s[42:43], s[46:47]
.LBB1207_131:                           ;   in Loop: Header=BB1207_132 Depth=1
	s_and_b64 s[46:47], exec, s[42:43]
	s_or_b64 s[40:41], s[46:47], s[40:41]
	v_mov_b64_e32 v[22:23], s[44:45]
	s_andn2_b64 exec, exec, s[40:41]
	s_cbranch_execz .LBB1207_134
.LBB1207_132:                           ; =>This Inner Loop Header: Depth=1
	s_or_b64 s[42:43], s[42:43], exec
	s_cmp_eq_u64 s[38:39], s[44:45]
	s_cbranch_scc0 .LBB1207_130
; %bb.133:                              ;   in Loop: Header=BB1207_132 Depth=1
                                        ; implicit-def: $vgpr18_vgpr19
                                        ; implicit-def: $vgpr20_vgpr21
	s_mov_b64 s[44:45], s[26:27]
	s_branch .LBB1207_131
.LBB1207_134:
	s_or_b64 exec, exec, s[40:41]
	v_cmp_gt_i64_e32 vcc, s[26:27], v[22:23]
	s_orn2_b64 s[38:39], vcc, exec
.LBB1207_135:
	s_or_b64 exec, exec, s[12:13]
.LBB1207_136:
	s_and_b64 s[12:13], s[38:39], exec
.LBB1207_137:
	s_or_b64 exec, exec, s[14:15]
	v_cmp_gt_u32_e32 vcc, s52, v26
	s_mov_b64 s[14:15], 0
	s_mov_b64 s[38:39], 0
	s_and_saveexec_b64 s[40:41], vcc
	s_cbranch_execz .LBB1207_148
; %bb.138:
	s_and_b64 vcc, exec, s[4:5]
	s_mov_b64 s[42:43], 0
	s_cbranch_vccnz .LBB1207_147
; %bb.139:
	v_mul_lo_u32 v20, v13, s26
	v_mul_lo_u32 v21, v12, s27
	v_mad_u64_u32 v[18:19], s[38:39], v12, s26, 0
	v_add3_u32 v19, v19, v21, v20
	v_mul_lo_u32 v20, v7, s26
	v_mul_lo_u32 v21, v6, s27
	v_mad_u64_u32 v[22:23], s[38:39], v6, s26, 0
	v_add3_u32 v23, v23, v21, v20
	v_lshl_add_u64 v[20:21], v[18:19], 1, s[28:29]
	v_lshl_add_u64 v[18:19], v[22:23], 1, s[28:29]
	global_load_ushort v22, v[18:19], off
	global_load_ushort v23, v[20:21], off
	s_mov_b64 s[42:43], -1
	s_waitcnt vmcnt(1)
	v_lshlrev_b32_e32 v22, 16, v22
	s_waitcnt vmcnt(0)
	v_lshlrev_b32_e32 v23, 16, v23
	v_cmp_eq_f32_e32 vcc, v23, v22
	s_and_saveexec_b64 s[38:39], vcc
	s_cbranch_execz .LBB1207_146
; %bb.140:
	s_add_u32 s42, s26, -1
	v_lshl_add_u64 v[18:19], v[18:19], 0, 2
	v_lshl_add_u64 v[20:21], v[20:21], 0, 2
	s_addc_u32 s43, s27, -1
	s_mov_b64 s[44:45], 0
	s_mov_b64 s[48:49], 0
                                        ; implicit-def: $sgpr46_sgpr47
	s_branch .LBB1207_143
.LBB1207_141:                           ;   in Loop: Header=BB1207_143 Depth=1
	global_load_ushort v22, v[18:19], off
	global_load_ushort v23, v[20:21], off
	s_add_u32 s48, s48, 1
	s_addc_u32 s49, s49, 0
	s_andn2_b64 s[46:47], s[46:47], exec
	v_lshl_add_u64 v[18:19], v[18:19], 0, 2
	v_lshl_add_u64 v[20:21], v[20:21], 0, 2
	s_waitcnt vmcnt(1)
	v_lshlrev_b32_e32 v22, 16, v22
	s_waitcnt vmcnt(0)
	v_lshlrev_b32_e32 v23, 16, v23
	v_cmp_neq_f32_e32 vcc, v23, v22
	s_and_b64 s[50:51], vcc, exec
	s_or_b64 s[46:47], s[46:47], s[50:51]
.LBB1207_142:                           ;   in Loop: Header=BB1207_143 Depth=1
	s_and_b64 s[50:51], exec, s[46:47]
	s_or_b64 s[44:45], s[50:51], s[44:45]
	v_mov_b64_e32 v[22:23], s[48:49]
	s_andn2_b64 exec, exec, s[44:45]
	s_cbranch_execz .LBB1207_145
.LBB1207_143:                           ; =>This Inner Loop Header: Depth=1
	s_or_b64 s[46:47], s[46:47], exec
	s_cmp_eq_u64 s[42:43], s[48:49]
	s_cbranch_scc0 .LBB1207_141
; %bb.144:                              ;   in Loop: Header=BB1207_143 Depth=1
                                        ; implicit-def: $vgpr18_vgpr19
                                        ; implicit-def: $vgpr20_vgpr21
	s_mov_b64 s[48:49], s[26:27]
	s_branch .LBB1207_142
.LBB1207_145:
	s_or_b64 exec, exec, s[44:45]
	v_cmp_gt_i64_e32 vcc, s[26:27], v[22:23]
	s_orn2_b64 s[42:43], vcc, exec
.LBB1207_146:
	s_or_b64 exec, exec, s[38:39]
.LBB1207_147:
	s_and_b64 s[38:39], s[42:43], exec
.LBB1207_148:
	s_or_b64 exec, exec, s[40:41]
	v_cmp_gt_u32_e32 vcc, s52, v27
	s_and_saveexec_b64 s[40:41], vcc
	s_cbranch_execz .LBB1207_159
; %bb.149:
	s_and_b64 vcc, exec, s[4:5]
	s_mov_b64 s[42:43], 0
	s_cbranch_vccnz .LBB1207_158
; %bb.150:
	v_mul_lo_u32 v20, v11, s26
	v_mul_lo_u32 v21, v10, s27
	v_mad_u64_u32 v[18:19], s[14:15], v10, s26, 0
	v_add3_u32 v19, v19, v21, v20
	v_mul_lo_u32 v20, v13, s26
	v_mul_lo_u32 v21, v12, s27
	v_mad_u64_u32 v[22:23], s[14:15], v12, s26, 0
	v_add3_u32 v23, v23, v21, v20
	v_lshl_add_u64 v[20:21], v[18:19], 1, s[28:29]
	v_lshl_add_u64 v[18:19], v[22:23], 1, s[28:29]
	global_load_ushort v22, v[18:19], off
	global_load_ushort v23, v[20:21], off
	s_mov_b64 s[42:43], -1
	s_waitcnt vmcnt(1)
	v_lshlrev_b32_e32 v22, 16, v22
	s_waitcnt vmcnt(0)
	v_lshlrev_b32_e32 v23, 16, v23
	v_cmp_eq_f32_e32 vcc, v23, v22
	s_and_saveexec_b64 s[14:15], vcc
	s_cbranch_execz .LBB1207_157
; %bb.151:
	s_add_u32 s42, s26, -1
	v_lshl_add_u64 v[18:19], v[18:19], 0, 2
	v_lshl_add_u64 v[20:21], v[20:21], 0, 2
	s_addc_u32 s43, s27, -1
	s_mov_b64 s[44:45], 0
	s_mov_b64 s[48:49], 0
                                        ; implicit-def: $sgpr46_sgpr47
	s_branch .LBB1207_154
.LBB1207_152:                           ;   in Loop: Header=BB1207_154 Depth=1
	global_load_ushort v22, v[18:19], off
	global_load_ushort v23, v[20:21], off
	s_add_u32 s48, s48, 1
	s_addc_u32 s49, s49, 0
	s_andn2_b64 s[46:47], s[46:47], exec
	v_lshl_add_u64 v[18:19], v[18:19], 0, 2
	v_lshl_add_u64 v[20:21], v[20:21], 0, 2
	s_waitcnt vmcnt(1)
	v_lshlrev_b32_e32 v22, 16, v22
	s_waitcnt vmcnt(0)
	v_lshlrev_b32_e32 v23, 16, v23
	v_cmp_neq_f32_e32 vcc, v23, v22
	s_and_b64 s[50:51], vcc, exec
	s_or_b64 s[46:47], s[46:47], s[50:51]
.LBB1207_153:                           ;   in Loop: Header=BB1207_154 Depth=1
	s_and_b64 s[50:51], exec, s[46:47]
	s_or_b64 s[44:45], s[50:51], s[44:45]
	v_mov_b64_e32 v[22:23], s[48:49]
	s_andn2_b64 exec, exec, s[44:45]
	s_cbranch_execz .LBB1207_156
.LBB1207_154:                           ; =>This Inner Loop Header: Depth=1
	s_or_b64 s[46:47], s[46:47], exec
	s_cmp_eq_u64 s[42:43], s[48:49]
	s_cbranch_scc0 .LBB1207_152
; %bb.155:                              ;   in Loop: Header=BB1207_154 Depth=1
                                        ; implicit-def: $vgpr18_vgpr19
                                        ; implicit-def: $vgpr20_vgpr21
	s_mov_b64 s[48:49], s[26:27]
	s_branch .LBB1207_153
.LBB1207_156:
	s_or_b64 exec, exec, s[44:45]
	v_cmp_gt_i64_e32 vcc, s[26:27], v[22:23]
	s_orn2_b64 s[42:43], vcc, exec
.LBB1207_157:
	s_or_b64 exec, exec, s[14:15]
.LBB1207_158:
	s_and_b64 s[14:15], s[42:43], exec
.LBB1207_159:
	s_or_b64 exec, exec, s[40:41]
	s_waitcnt lgkmcnt(0)
	s_barrier
	s_and_saveexec_b64 s[40:41], s[2:3]
	s_cbranch_execz .LBB1207_161
; %bb.160:
	s_waitcnt vmcnt(0)
	v_add_u32_e32 v16, -8, v33
	ds_read_b64 v[16:17], v16
.LBB1207_161:
	s_or_b64 exec, exec, s[40:41]
	v_cndmask_b32_e64 v19, 0, 1, s[12:13]
	v_cndmask_b32_e64 v18, 0, 1, s[38:39]
	;; [unrolled: 1-line block ×3, first 2 shown]
	v_lshlrev_b16_e32 v19, 8, v19
	v_cmp_gt_u32_e32 vcc, s52, v1
	v_lshlrev_b16_e32 v22, 8, v20
	v_or_b32_sdwa v23, v18, v19 dst_sel:WORD_1 dst_unused:UNUSED_PAD src0_sel:DWORD src1_sel:DWORD
	s_mov_b64 s[12:13], 0
	s_and_saveexec_b64 s[14:15], vcc
	s_cbranch_execz .LBB1207_172
; %bb.162:
	s_and_b64 vcc, exec, s[4:5]
	s_cbranch_vccnz .LBB1207_171
; %bb.163:
	s_waitcnt vmcnt(0) lgkmcnt(0)
	v_mul_lo_u32 v18, v17, s26
	v_mul_lo_u32 v19, v16, s27
	v_mad_u64_u32 v[16:17], s[4:5], v16, s26, 0
	v_add3_u32 v17, v17, v19, v18
	v_mul_lo_u32 v18, v11, s26
	v_mul_lo_u32 v19, v10, s27
	v_mad_u64_u32 v[20:21], s[4:5], v10, s26, 0
	v_add3_u32 v21, v21, v19, v18
	v_lshl_add_u64 v[18:19], v[16:17], 1, s[28:29]
	v_lshl_add_u64 v[16:17], v[20:21], 1, s[28:29]
	global_load_ushort v20, v[16:17], off
	global_load_ushort v21, v[18:19], off
	s_mov_b64 s[12:13], -1
	s_waitcnt vmcnt(1)
	v_lshlrev_b32_e32 v20, 16, v20
	s_waitcnt vmcnt(0)
	v_lshlrev_b32_e32 v21, 16, v21
	v_cmp_eq_f32_e32 vcc, v21, v20
	s_and_saveexec_b64 s[4:5], vcc
	s_cbranch_execz .LBB1207_170
; %bb.164:
	s_add_u32 s12, s26, -1
	v_lshl_add_u64 v[16:17], v[16:17], 0, 2
	v_lshl_add_u64 v[18:19], v[18:19], 0, 2
	s_addc_u32 s13, s27, -1
	s_mov_b64 s[38:39], 0
	s_mov_b64 s[42:43], 0
                                        ; implicit-def: $sgpr40_sgpr41
	s_branch .LBB1207_167
.LBB1207_165:                           ;   in Loop: Header=BB1207_167 Depth=1
	global_load_ushort v20, v[16:17], off
	global_load_ushort v21, v[18:19], off
	s_add_u32 s42, s42, 1
	s_addc_u32 s43, s43, 0
	s_andn2_b64 s[40:41], s[40:41], exec
	v_lshl_add_u64 v[16:17], v[16:17], 0, 2
	v_lshl_add_u64 v[18:19], v[18:19], 0, 2
	s_waitcnt vmcnt(1)
	v_lshlrev_b32_e32 v20, 16, v20
	s_waitcnt vmcnt(0)
	v_lshlrev_b32_e32 v21, 16, v21
	v_cmp_neq_f32_e32 vcc, v21, v20
	s_and_b64 s[44:45], vcc, exec
	s_or_b64 s[40:41], s[40:41], s[44:45]
.LBB1207_166:                           ;   in Loop: Header=BB1207_167 Depth=1
	s_and_b64 s[44:45], exec, s[40:41]
	s_or_b64 s[38:39], s[44:45], s[38:39]
	v_mov_b64_e32 v[20:21], s[42:43]
	s_andn2_b64 exec, exec, s[38:39]
	s_cbranch_execz .LBB1207_169
.LBB1207_167:                           ; =>This Inner Loop Header: Depth=1
	s_or_b64 s[40:41], s[40:41], exec
	s_cmp_eq_u64 s[12:13], s[42:43]
	s_cbranch_scc0 .LBB1207_165
; %bb.168:                              ;   in Loop: Header=BB1207_167 Depth=1
                                        ; implicit-def: $vgpr16_vgpr17
                                        ; implicit-def: $vgpr18_vgpr19
	s_mov_b64 s[42:43], s[26:27]
	s_branch .LBB1207_166
.LBB1207_169:
	s_or_b64 exec, exec, s[38:39]
	v_cmp_gt_i64_e32 vcc, s[26:27], v[20:21]
	s_orn2_b64 s[12:13], vcc, exec
.LBB1207_170:
	s_or_b64 exec, exec, s[4:5]
.LBB1207_171:
	s_and_b64 s[12:13], s[12:13], exec
.LBB1207_172:
	s_or_b64 exec, exec, s[14:15]
	v_cndmask_b32_e64 v25, 0, 1, s[10:11]
	v_cndmask_b32_e64 v34, 0, 1, s[8:9]
	;; [unrolled: 1-line block ×3, first 2 shown]
	v_or_b32_e32 v20, v22, v23
.LBB1207_173:
	s_mov_b64 s[8:9], -1
	s_cbranch_execnz .LBB1207_32
.LBB1207_174:
	s_movk_i32 s4, 0xffd0
	v_mad_i32_i24 v24, v0, s4, v32
	s_mov_b64 s[10:11], 0
	v_cmp_gt_i64_e64 s[6:7], s[26:27], 0
	s_and_b64 vcc, exec, s[36:37]
	ds_write_b64 v24, v[14:15]
	s_cbranch_vccz .LBB1207_182
; %bb.175:
	v_mul_lo_u32 v18, v5, s26
	v_mul_lo_u32 v19, v4, s27
	s_waitcnt vmcnt(0) lgkmcnt(1)
	v_mad_u64_u32 v[16:17], s[4:5], v4, s26, 0
	v_add3_u32 v17, v17, v19, v18
	v_cndmask_b32_e64 v18, 0, 1, s[6:7]
	v_cmp_ne_u32_e64 s[4:5], 1, v18
	s_andn2_b64 vcc, exec, s[6:7]
	v_lshl_add_u64 v[16:17], v[16:17], 1, s[28:29]
	s_cbranch_vccnz .LBB1207_185
; %bb.176:
	v_mul_lo_u32 v20, v15, s26
	v_mul_lo_u32 v21, v14, s27
	v_mad_u64_u32 v[18:19], s[10:11], v14, s26, 0
	v_add3_u32 v19, v19, v21, v20
	v_lshl_add_u64 v[18:19], v[18:19], 1, s[28:29]
	global_load_ushort v20, v[18:19], off
	global_load_ushort v21, v[16:17], off
	s_mov_b64 s[10:11], -1
	s_waitcnt vmcnt(1)
	v_lshlrev_b32_e32 v20, 16, v20
	s_waitcnt vmcnt(0)
	v_lshlrev_b32_e32 v21, 16, v21
	v_cmp_eq_f32_e32 vcc, v21, v20
	s_and_saveexec_b64 s[12:13], vcc
	s_cbranch_execz .LBB1207_184
; %bb.177:
	s_add_u32 s10, s26, -1
	v_lshl_add_u64 v[18:19], v[18:19], 0, 2
	v_lshl_add_u64 v[20:21], v[16:17], 0, 2
	s_addc_u32 s11, s27, -1
	s_mov_b64 s[14:15], 0
	s_mov_b64 s[40:41], 0
                                        ; implicit-def: $sgpr38_sgpr39
	s_branch .LBB1207_180
.LBB1207_178:                           ;   in Loop: Header=BB1207_180 Depth=1
	global_load_ushort v22, v[18:19], off
	global_load_ushort v23, v[20:21], off
	s_add_u32 s40, s40, 1
	s_addc_u32 s41, s41, 0
	s_andn2_b64 s[38:39], s[38:39], exec
	v_lshl_add_u64 v[18:19], v[18:19], 0, 2
	v_lshl_add_u64 v[20:21], v[20:21], 0, 2
	s_waitcnt vmcnt(1)
	v_lshlrev_b32_e32 v22, 16, v22
	s_waitcnt vmcnt(0)
	v_lshlrev_b32_e32 v23, 16, v23
	v_cmp_neq_f32_e32 vcc, v23, v22
	s_and_b64 s[42:43], vcc, exec
	s_or_b64 s[38:39], s[38:39], s[42:43]
.LBB1207_179:                           ;   in Loop: Header=BB1207_180 Depth=1
	s_and_b64 s[42:43], exec, s[38:39]
	s_or_b64 s[14:15], s[42:43], s[14:15]
	v_mov_b64_e32 v[22:23], s[40:41]
	s_andn2_b64 exec, exec, s[14:15]
	s_cbranch_execz .LBB1207_183
.LBB1207_180:                           ; =>This Inner Loop Header: Depth=1
	s_or_b64 s[38:39], s[38:39], exec
	s_cmp_eq_u64 s[10:11], s[40:41]
	s_cbranch_scc0 .LBB1207_178
; %bb.181:                              ;   in Loop: Header=BB1207_180 Depth=1
                                        ; implicit-def: $vgpr18_vgpr19
                                        ; implicit-def: $vgpr20_vgpr21
	s_mov_b64 s[40:41], s[26:27]
	s_branch .LBB1207_179
.LBB1207_182:
                                        ; implicit-def: $sgpr12_sgpr13
                                        ; implicit-def: $vgpr35
                                        ; implicit-def: $vgpr34
                                        ; implicit-def: $vgpr25
                                        ; implicit-def: $vgpr20
                                        ; implicit-def: $vgpr16_vgpr17
	s_cbranch_execnz .LBB1207_242
	s_branch .LBB1207_322
.LBB1207_183:
	s_or_b64 exec, exec, s[14:15]
	v_cmp_gt_i64_e32 vcc, s[26:27], v[22:23]
	s_orn2_b64 s[10:11], vcc, exec
.LBB1207_184:
	s_or_b64 exec, exec, s[12:13]
.LBB1207_185:
	v_mul_lo_u32 v20, v3, s26
	v_mul_lo_u32 v21, v2, s27
	v_mad_u64_u32 v[18:19], s[12:13], v2, s26, 0
	v_add3_u32 v19, v19, v21, v20
	s_mov_b64 s[12:13], 0
	s_and_b64 vcc, exec, s[4:5]
	v_lshl_add_u64 v[18:19], v[18:19], 1, s[28:29]
	s_mov_b64 s[14:15], 0
	s_cbranch_vccnz .LBB1207_194
; %bb.186:
	global_load_ushort v20, v[16:17], off
	global_load_ushort v21, v[18:19], off
	s_mov_b64 s[14:15], -1
	s_waitcnt vmcnt(1)
	v_lshlrev_b32_e32 v20, 16, v20
	s_waitcnt vmcnt(0)
	v_lshlrev_b32_e32 v21, 16, v21
	v_cmp_eq_f32_e32 vcc, v21, v20
	s_and_saveexec_b64 s[38:39], vcc
	s_cbranch_execz .LBB1207_193
; %bb.187:
	s_add_u32 s14, s26, -1
	v_lshl_add_u64 v[16:17], v[16:17], 0, 2
	v_lshl_add_u64 v[20:21], v[18:19], 0, 2
	s_addc_u32 s15, s27, -1
	s_mov_b64 s[40:41], 0
	s_mov_b64 s[44:45], 0
                                        ; implicit-def: $sgpr42_sgpr43
	s_branch .LBB1207_190
.LBB1207_188:                           ;   in Loop: Header=BB1207_190 Depth=1
	global_load_ushort v22, v[16:17], off
	global_load_ushort v23, v[20:21], off
	s_add_u32 s44, s44, 1
	s_addc_u32 s45, s45, 0
	s_andn2_b64 s[42:43], s[42:43], exec
	v_lshl_add_u64 v[16:17], v[16:17], 0, 2
	v_lshl_add_u64 v[20:21], v[20:21], 0, 2
	s_waitcnt vmcnt(1)
	v_lshlrev_b32_e32 v22, 16, v22
	s_waitcnt vmcnt(0)
	v_lshlrev_b32_e32 v23, 16, v23
	v_cmp_neq_f32_e32 vcc, v23, v22
	s_and_b64 s[46:47], vcc, exec
	s_or_b64 s[42:43], s[42:43], s[46:47]
.LBB1207_189:                           ;   in Loop: Header=BB1207_190 Depth=1
	s_and_b64 s[46:47], exec, s[42:43]
	s_or_b64 s[40:41], s[46:47], s[40:41]
	v_mov_b64_e32 v[22:23], s[44:45]
	s_andn2_b64 exec, exec, s[40:41]
	s_cbranch_execz .LBB1207_192
.LBB1207_190:                           ; =>This Inner Loop Header: Depth=1
	s_or_b64 s[42:43], s[42:43], exec
	s_cmp_eq_u64 s[14:15], s[44:45]
	s_cbranch_scc0 .LBB1207_188
; %bb.191:                              ;   in Loop: Header=BB1207_190 Depth=1
                                        ; implicit-def: $vgpr16_vgpr17
                                        ; implicit-def: $vgpr20_vgpr21
	s_mov_b64 s[44:45], s[26:27]
	s_branch .LBB1207_189
.LBB1207_192:
	s_or_b64 exec, exec, s[40:41]
	v_cmp_gt_i64_e32 vcc, s[26:27], v[22:23]
	s_orn2_b64 s[14:15], vcc, exec
.LBB1207_193:
	s_or_b64 exec, exec, s[38:39]
.LBB1207_194:
	v_mul_lo_u32 v20, v9, s26
	v_mul_lo_u32 v21, v8, s27
	v_mad_u64_u32 v[16:17], s[38:39], v8, s26, 0
	v_add3_u32 v17, v17, v21, v20
	s_and_b64 vcc, exec, s[4:5]
	v_lshl_add_u64 v[16:17], v[16:17], 1, s[28:29]
	s_cbranch_vccnz .LBB1207_203
; %bb.195:
	global_load_ushort v20, v[18:19], off
	global_load_ushort v21, v[16:17], off
	s_mov_b64 s[12:13], -1
	s_waitcnt vmcnt(1)
	v_lshlrev_b32_e32 v20, 16, v20
	s_waitcnt vmcnt(0)
	v_lshlrev_b32_e32 v21, 16, v21
	v_cmp_eq_f32_e32 vcc, v21, v20
	s_and_saveexec_b64 s[38:39], vcc
	s_cbranch_execz .LBB1207_202
; %bb.196:
	s_add_u32 s12, s26, -1
	v_lshl_add_u64 v[18:19], v[18:19], 0, 2
	v_lshl_add_u64 v[20:21], v[16:17], 0, 2
	s_addc_u32 s13, s27, -1
	s_mov_b64 s[40:41], 0
	s_mov_b64 s[44:45], 0
                                        ; implicit-def: $sgpr42_sgpr43
	s_branch .LBB1207_199
.LBB1207_197:                           ;   in Loop: Header=BB1207_199 Depth=1
	global_load_ushort v22, v[18:19], off
	global_load_ushort v23, v[20:21], off
	s_add_u32 s44, s44, 1
	s_addc_u32 s45, s45, 0
	s_andn2_b64 s[42:43], s[42:43], exec
	v_lshl_add_u64 v[18:19], v[18:19], 0, 2
	v_lshl_add_u64 v[20:21], v[20:21], 0, 2
	s_waitcnt vmcnt(1)
	v_lshlrev_b32_e32 v22, 16, v22
	s_waitcnt vmcnt(0)
	v_lshlrev_b32_e32 v23, 16, v23
	v_cmp_neq_f32_e32 vcc, v23, v22
	s_and_b64 s[46:47], vcc, exec
	s_or_b64 s[42:43], s[42:43], s[46:47]
.LBB1207_198:                           ;   in Loop: Header=BB1207_199 Depth=1
	s_and_b64 s[46:47], exec, s[42:43]
	s_or_b64 s[40:41], s[46:47], s[40:41]
	v_mov_b64_e32 v[22:23], s[44:45]
	s_andn2_b64 exec, exec, s[40:41]
	s_cbranch_execz .LBB1207_201
.LBB1207_199:                           ; =>This Inner Loop Header: Depth=1
	s_or_b64 s[42:43], s[42:43], exec
	s_cmp_eq_u64 s[12:13], s[44:45]
	s_cbranch_scc0 .LBB1207_197
; %bb.200:                              ;   in Loop: Header=BB1207_199 Depth=1
                                        ; implicit-def: $vgpr18_vgpr19
                                        ; implicit-def: $vgpr20_vgpr21
	s_mov_b64 s[44:45], s[26:27]
	s_branch .LBB1207_198
.LBB1207_201:
	s_or_b64 exec, exec, s[40:41]
	v_cmp_gt_i64_e32 vcc, s[26:27], v[22:23]
	s_orn2_b64 s[12:13], vcc, exec
.LBB1207_202:
	s_or_b64 exec, exec, s[38:39]
.LBB1207_203:
	v_mul_lo_u32 v20, v7, s26
	v_mul_lo_u32 v21, v6, s27
	v_mad_u64_u32 v[18:19], s[38:39], v6, s26, 0
	v_add3_u32 v19, v19, v21, v20
	s_mov_b64 s[38:39], 0
	s_and_b64 vcc, exec, s[4:5]
	v_lshl_add_u64 v[18:19], v[18:19], 1, s[28:29]
	s_mov_b64 s[40:41], 0
	s_cbranch_vccnz .LBB1207_212
; %bb.204:
	global_load_ushort v20, v[16:17], off
	global_load_ushort v21, v[18:19], off
	s_mov_b64 s[40:41], -1
	s_waitcnt vmcnt(1)
	v_lshlrev_b32_e32 v20, 16, v20
	s_waitcnt vmcnt(0)
	v_lshlrev_b32_e32 v21, 16, v21
	v_cmp_eq_f32_e32 vcc, v21, v20
	s_and_saveexec_b64 s[42:43], vcc
	s_cbranch_execz .LBB1207_211
; %bb.205:
	s_add_u32 s40, s26, -1
	v_lshl_add_u64 v[16:17], v[16:17], 0, 2
	v_lshl_add_u64 v[20:21], v[18:19], 0, 2
	s_addc_u32 s41, s27, -1
	s_mov_b64 s[44:45], 0
	s_mov_b64 s[48:49], 0
                                        ; implicit-def: $sgpr46_sgpr47
	s_branch .LBB1207_208
.LBB1207_206:                           ;   in Loop: Header=BB1207_208 Depth=1
	global_load_ushort v22, v[16:17], off
	global_load_ushort v23, v[20:21], off
	s_add_u32 s48, s48, 1
	s_addc_u32 s49, s49, 0
	s_andn2_b64 s[46:47], s[46:47], exec
	v_lshl_add_u64 v[16:17], v[16:17], 0, 2
	v_lshl_add_u64 v[20:21], v[20:21], 0, 2
	s_waitcnt vmcnt(1)
	v_lshlrev_b32_e32 v22, 16, v22
	s_waitcnt vmcnt(0)
	v_lshlrev_b32_e32 v23, 16, v23
	v_cmp_neq_f32_e32 vcc, v23, v22
	s_and_b64 s[50:51], vcc, exec
	s_or_b64 s[46:47], s[46:47], s[50:51]
.LBB1207_207:                           ;   in Loop: Header=BB1207_208 Depth=1
	s_and_b64 s[50:51], exec, s[46:47]
	s_or_b64 s[44:45], s[50:51], s[44:45]
	v_mov_b64_e32 v[22:23], s[48:49]
	s_andn2_b64 exec, exec, s[44:45]
	s_cbranch_execz .LBB1207_210
.LBB1207_208:                           ; =>This Inner Loop Header: Depth=1
	s_or_b64 s[46:47], s[46:47], exec
	s_cmp_eq_u64 s[40:41], s[48:49]
	s_cbranch_scc0 .LBB1207_206
; %bb.209:                              ;   in Loop: Header=BB1207_208 Depth=1
                                        ; implicit-def: $vgpr16_vgpr17
                                        ; implicit-def: $vgpr20_vgpr21
	s_mov_b64 s[48:49], s[26:27]
	s_branch .LBB1207_207
.LBB1207_210:
	s_or_b64 exec, exec, s[44:45]
	v_cmp_gt_i64_e32 vcc, s[26:27], v[22:23]
	s_orn2_b64 s[40:41], vcc, exec
.LBB1207_211:
	s_or_b64 exec, exec, s[42:43]
.LBB1207_212:
	v_mul_lo_u32 v20, v13, s26
	v_mul_lo_u32 v21, v12, s27
	v_mad_u64_u32 v[16:17], s[42:43], v12, s26, 0
	v_add3_u32 v17, v17, v21, v20
	s_and_b64 vcc, exec, s[4:5]
	v_lshl_add_u64 v[16:17], v[16:17], 1, s[28:29]
	s_cbranch_vccnz .LBB1207_221
; %bb.213:
	global_load_ushort v20, v[18:19], off
	global_load_ushort v21, v[16:17], off
	s_mov_b64 s[38:39], -1
	s_waitcnt vmcnt(1)
	v_lshlrev_b32_e32 v20, 16, v20
	s_waitcnt vmcnt(0)
	v_lshlrev_b32_e32 v21, 16, v21
	v_cmp_eq_f32_e32 vcc, v21, v20
	s_and_saveexec_b64 s[42:43], vcc
	s_cbranch_execz .LBB1207_220
; %bb.214:
	s_add_u32 s38, s26, -1
	v_lshl_add_u64 v[18:19], v[18:19], 0, 2
	v_lshl_add_u64 v[20:21], v[16:17], 0, 2
	s_addc_u32 s39, s27, -1
	s_mov_b64 s[44:45], 0
	s_mov_b64 s[48:49], 0
                                        ; implicit-def: $sgpr46_sgpr47
	s_branch .LBB1207_217
.LBB1207_215:                           ;   in Loop: Header=BB1207_217 Depth=1
	global_load_ushort v22, v[18:19], off
	global_load_ushort v23, v[20:21], off
	s_add_u32 s48, s48, 1
	s_addc_u32 s49, s49, 0
	s_andn2_b64 s[46:47], s[46:47], exec
	v_lshl_add_u64 v[18:19], v[18:19], 0, 2
	v_lshl_add_u64 v[20:21], v[20:21], 0, 2
	s_waitcnt vmcnt(1)
	v_lshlrev_b32_e32 v22, 16, v22
	s_waitcnt vmcnt(0)
	v_lshlrev_b32_e32 v23, 16, v23
	v_cmp_neq_f32_e32 vcc, v23, v22
	s_and_b64 s[50:51], vcc, exec
	s_or_b64 s[46:47], s[46:47], s[50:51]
.LBB1207_216:                           ;   in Loop: Header=BB1207_217 Depth=1
	s_and_b64 s[50:51], exec, s[46:47]
	s_or_b64 s[44:45], s[50:51], s[44:45]
	v_mov_b64_e32 v[22:23], s[48:49]
	s_andn2_b64 exec, exec, s[44:45]
	s_cbranch_execz .LBB1207_219
.LBB1207_217:                           ; =>This Inner Loop Header: Depth=1
	s_or_b64 s[46:47], s[46:47], exec
	s_cmp_eq_u64 s[38:39], s[48:49]
	s_cbranch_scc0 .LBB1207_215
; %bb.218:                              ;   in Loop: Header=BB1207_217 Depth=1
                                        ; implicit-def: $vgpr18_vgpr19
                                        ; implicit-def: $vgpr20_vgpr21
	s_mov_b64 s[48:49], s[26:27]
	s_branch .LBB1207_216
.LBB1207_219:
	s_or_b64 exec, exec, s[44:45]
	v_cmp_gt_i64_e32 vcc, s[26:27], v[22:23]
	s_orn2_b64 s[38:39], vcc, exec
.LBB1207_220:
	s_or_b64 exec, exec, s[42:43]
.LBB1207_221:
	v_mul_lo_u32 v20, v11, s26
	v_mul_lo_u32 v21, v10, s27
	v_mad_u64_u32 v[18:19], s[42:43], v10, s26, 0
	v_add3_u32 v19, v19, v21, v20
	s_and_b64 vcc, exec, s[4:5]
	s_mov_b64 s[44:45], 0
	s_cbranch_vccnz .LBB1207_230
; %bb.222:
	v_lshl_add_u64 v[20:21], v[18:19], 1, s[28:29]
	global_load_ushort v22, v[16:17], off
	global_load_ushort v23, v[20:21], off
	s_mov_b64 s[44:45], -1
	s_waitcnt vmcnt(1)
	v_lshlrev_b32_e32 v22, 16, v22
	s_waitcnt vmcnt(0)
	v_lshlrev_b32_e32 v23, 16, v23
	v_cmp_eq_f32_e32 vcc, v23, v22
	s_and_saveexec_b64 s[42:43], vcc
	s_cbranch_execz .LBB1207_229
; %bb.223:
	s_add_u32 s44, s26, -1
	v_lshl_add_u64 v[16:17], v[16:17], 0, 2
	v_lshl_add_u64 v[20:21], v[20:21], 0, 2
	s_addc_u32 s45, s27, -1
	s_mov_b64 s[46:47], 0
	s_mov_b64 s[50:51], 0
                                        ; implicit-def: $sgpr48_sgpr49
	s_branch .LBB1207_226
.LBB1207_224:                           ;   in Loop: Header=BB1207_226 Depth=1
	global_load_ushort v22, v[16:17], off
	global_load_ushort v23, v[20:21], off
	s_add_u32 s50, s50, 1
	s_addc_u32 s51, s51, 0
	s_andn2_b64 s[48:49], s[48:49], exec
	v_lshl_add_u64 v[16:17], v[16:17], 0, 2
	v_lshl_add_u64 v[20:21], v[20:21], 0, 2
	s_waitcnt vmcnt(1)
	v_lshlrev_b32_e32 v22, 16, v22
	s_waitcnt vmcnt(0)
	v_lshlrev_b32_e32 v23, 16, v23
	v_cmp_neq_f32_e32 vcc, v23, v22
	s_and_b64 s[54:55], vcc, exec
	s_or_b64 s[48:49], s[48:49], s[54:55]
.LBB1207_225:                           ;   in Loop: Header=BB1207_226 Depth=1
	s_and_b64 s[54:55], exec, s[48:49]
	s_or_b64 s[46:47], s[54:55], s[46:47]
	v_mov_b64_e32 v[22:23], s[50:51]
	s_andn2_b64 exec, exec, s[46:47]
	s_cbranch_execz .LBB1207_228
.LBB1207_226:                           ; =>This Inner Loop Header: Depth=1
	s_or_b64 s[48:49], s[48:49], exec
	s_cmp_eq_u64 s[44:45], s[50:51]
	s_cbranch_scc0 .LBB1207_224
; %bb.227:                              ;   in Loop: Header=BB1207_226 Depth=1
                                        ; implicit-def: $vgpr16_vgpr17
                                        ; implicit-def: $vgpr20_vgpr21
	s_mov_b64 s[50:51], s[26:27]
	s_branch .LBB1207_225
.LBB1207_228:
	s_or_b64 exec, exec, s[46:47]
	v_cmp_gt_i64_e32 vcc, s[26:27], v[22:23]
	s_orn2_b64 s[44:45], vcc, exec
.LBB1207_229:
	s_or_b64 exec, exec, s[42:43]
.LBB1207_230:
	v_cndmask_b32_e64 v17, 0, 1, s[40:41]
	v_cndmask_b32_e64 v16, 0, 1, s[38:39]
	;; [unrolled: 1-line block ×3, first 2 shown]
	v_lshlrev_b16_e32 v17, 8, v17
	v_cndmask_b32_e64 v25, 0, 1, s[12:13]
	v_cndmask_b32_e64 v20, 0, 1, s[44:45]
	v_or_b32_sdwa v16, v16, v17 dst_sel:WORD_1 dst_unused:UNUSED_PAD src0_sel:DWORD src1_sel:DWORD
	v_lshlrev_b16_e32 v17, 8, v34
	v_lshlrev_b16_e32 v20, 8, v20
	v_or_b32_e32 v17, v25, v17
	v_or_b32_e32 v20, 1, v20
	v_and_b32_e32 v17, 0xffff, v17
	v_cndmask_b32_e64 v35, 0, 1, s[10:11]
	v_or_b32_sdwa v16, v20, v16 dst_sel:DWORD dst_unused:UNUSED_PAD src0_sel:WORD_0 src1_sel:DWORD
	v_lshl_or_b32 v17, v35, 16, v17
	s_waitcnt lgkmcnt(0)
	s_barrier
	s_waitcnt lgkmcnt(0)
                                        ; implicit-def: $sgpr12_sgpr13
                                        ; implicit-def: $vgpr20
	s_and_saveexec_b64 s[10:11], s[2:3]
	s_xor_b64 s[10:11], exec, s[10:11]
	s_cbranch_execz .LBB1207_241
; %bb.231:
	s_mov_b32 s42, 0x3020104
	s_and_b64 vcc, exec, s[4:5]
	s_mov_b64 s[12:13], 0
	s_cbranch_vccnz .LBB1207_240
; %bb.232:
	v_add_u32_e32 v17, -8, v24
	ds_read_b64 v[20:21], v17
	v_lshl_add_u64 v[18:19], v[18:19], 1, s[28:29]
	s_mov_b64 s[12:13], -1
	s_waitcnt lgkmcnt(0)
	v_mul_lo_u32 v17, v21, s26
	v_mul_lo_u32 v22, v20, s27
	v_mad_u64_u32 v[20:21], s[4:5], v20, s26, 0
	v_add3_u32 v21, v21, v22, v17
	v_lshl_add_u64 v[20:21], v[20:21], 1, s[28:29]
	global_load_ushort v17, v[20:21], off
	global_load_ushort v22, v[18:19], off
	s_waitcnt vmcnt(1)
	v_lshlrev_b32_e32 v17, 16, v17
	s_waitcnt vmcnt(0)
	v_lshlrev_b32_e32 v22, 16, v22
	v_cmp_eq_f32_e32 vcc, v17, v22
	s_and_saveexec_b64 s[4:5], vcc
	s_cbranch_execz .LBB1207_239
; %bb.233:
	s_add_u32 s12, s26, -1
	v_lshl_add_u64 v[18:19], v[18:19], 0, 2
	v_lshl_add_u64 v[20:21], v[20:21], 0, 2
	s_addc_u32 s13, s27, -1
	s_mov_b64 s[14:15], 0
	s_mov_b64 s[40:41], 0
                                        ; implicit-def: $sgpr38_sgpr39
	s_branch .LBB1207_236
.LBB1207_234:                           ;   in Loop: Header=BB1207_236 Depth=1
	global_load_ushort v17, v[18:19], off
	global_load_ushort v22, v[20:21], off
	s_add_u32 s40, s40, 1
	s_addc_u32 s41, s41, 0
	s_andn2_b64 s[38:39], s[38:39], exec
	v_lshl_add_u64 v[18:19], v[18:19], 0, 2
	v_lshl_add_u64 v[20:21], v[20:21], 0, 2
	s_waitcnt vmcnt(1)
	v_lshlrev_b32_e32 v17, 16, v17
	s_waitcnt vmcnt(0)
	v_lshlrev_b32_e32 v22, 16, v22
	v_cmp_neq_f32_e32 vcc, v22, v17
	s_and_b64 s[44:45], vcc, exec
	s_or_b64 s[38:39], s[38:39], s[44:45]
.LBB1207_235:                           ;   in Loop: Header=BB1207_236 Depth=1
	s_and_b64 s[44:45], exec, s[38:39]
	s_or_b64 s[14:15], s[44:45], s[14:15]
	v_mov_b64_e32 v[22:23], s[40:41]
	s_andn2_b64 exec, exec, s[14:15]
	s_cbranch_execz .LBB1207_238
.LBB1207_236:                           ; =>This Inner Loop Header: Depth=1
	s_or_b64 s[38:39], s[38:39], exec
	s_cmp_eq_u64 s[12:13], s[40:41]
	s_cbranch_scc0 .LBB1207_234
; %bb.237:                              ;   in Loop: Header=BB1207_236 Depth=1
                                        ; implicit-def: $vgpr18_vgpr19
                                        ; implicit-def: $vgpr20_vgpr21
	s_mov_b64 s[40:41], s[26:27]
	s_branch .LBB1207_235
.LBB1207_238:
	s_or_b64 exec, exec, s[14:15]
	v_cmp_gt_i64_e32 vcc, s[26:27], v[22:23]
	s_orn2_b64 s[12:13], vcc, exec
.LBB1207_239:
	s_or_b64 exec, exec, s[4:5]
.LBB1207_240:
	v_perm_b32 v20, v16, v16, s42
	s_and_b64 s[12:13], s[12:13], exec
	s_or_b64 s[8:9], s[8:9], exec
                                        ; implicit-def: $vgpr16_vgpr17
.LBB1207_241:
	s_or_b64 exec, exec, s[10:11]
	s_branch .LBB1207_322
.LBB1207_242:
	v_cmp_gt_u32_e32 vcc, s52, v29
	s_mov_b64 s[10:11], 0
	s_mov_b64 s[4:5], 0
	s_and_saveexec_b64 s[12:13], vcc
	s_cbranch_execz .LBB1207_253
; %bb.243:
	s_andn2_b64 vcc, exec, s[6:7]
	s_mov_b64 s[14:15], 0
	s_cbranch_vccnz .LBB1207_252
; %bb.244:
	v_mul_lo_u32 v18, v5, s26
	v_mul_lo_u32 v19, v4, s27
	s_waitcnt vmcnt(0) lgkmcnt(1)
	v_mad_u64_u32 v[16:17], s[4:5], v4, s26, 0
	v_add3_u32 v17, v17, v19, v18
	v_mul_lo_u32 v18, v15, s26
	v_mul_lo_u32 v19, v14, s27
	v_mad_u64_u32 v[20:21], s[4:5], v14, s26, 0
	v_add3_u32 v21, v21, v19, v18
	v_lshl_add_u64 v[18:19], v[16:17], 1, s[28:29]
	v_lshl_add_u64 v[16:17], v[20:21], 1, s[28:29]
	global_load_ushort v20, v[16:17], off
	global_load_ushort v21, v[18:19], off
	s_mov_b64 s[14:15], -1
	s_waitcnt vmcnt(1)
	v_lshlrev_b32_e32 v20, 16, v20
	s_waitcnt vmcnt(0)
	v_lshlrev_b32_e32 v21, 16, v21
	v_cmp_eq_f32_e32 vcc, v21, v20
	s_and_saveexec_b64 s[4:5], vcc
	s_cbranch_execz .LBB1207_251
; %bb.245:
	s_add_u32 s14, s26, -1
	v_lshl_add_u64 v[16:17], v[16:17], 0, 2
	v_lshl_add_u64 v[18:19], v[18:19], 0, 2
	s_addc_u32 s15, s27, -1
	s_mov_b64 s[38:39], 0
	s_mov_b64 s[42:43], 0
                                        ; implicit-def: $sgpr40_sgpr41
	s_branch .LBB1207_248
.LBB1207_246:                           ;   in Loop: Header=BB1207_248 Depth=1
	global_load_ushort v20, v[16:17], off
	global_load_ushort v21, v[18:19], off
	s_add_u32 s42, s42, 1
	s_addc_u32 s43, s43, 0
	s_andn2_b64 s[40:41], s[40:41], exec
	v_lshl_add_u64 v[16:17], v[16:17], 0, 2
	v_lshl_add_u64 v[18:19], v[18:19], 0, 2
	s_waitcnt vmcnt(1)
	v_lshlrev_b32_e32 v20, 16, v20
	s_waitcnt vmcnt(0)
	v_lshlrev_b32_e32 v21, 16, v21
	v_cmp_neq_f32_e32 vcc, v21, v20
	s_and_b64 s[44:45], vcc, exec
	s_or_b64 s[40:41], s[40:41], s[44:45]
.LBB1207_247:                           ;   in Loop: Header=BB1207_248 Depth=1
	s_and_b64 s[44:45], exec, s[40:41]
	s_or_b64 s[38:39], s[44:45], s[38:39]
	v_mov_b64_e32 v[20:21], s[42:43]
	s_andn2_b64 exec, exec, s[38:39]
	s_cbranch_execz .LBB1207_250
.LBB1207_248:                           ; =>This Inner Loop Header: Depth=1
	s_or_b64 s[40:41], s[40:41], exec
	s_cmp_eq_u64 s[14:15], s[42:43]
	s_cbranch_scc0 .LBB1207_246
; %bb.249:                              ;   in Loop: Header=BB1207_248 Depth=1
                                        ; implicit-def: $vgpr16_vgpr17
                                        ; implicit-def: $vgpr18_vgpr19
	s_mov_b64 s[42:43], s[26:27]
	s_branch .LBB1207_247
.LBB1207_250:
	s_or_b64 exec, exec, s[38:39]
	v_cmp_gt_i64_e32 vcc, s[26:27], v[20:21]
	s_orn2_b64 s[14:15], vcc, exec
.LBB1207_251:
	s_or_b64 exec, exec, s[4:5]
.LBB1207_252:
	s_and_b64 s[4:5], s[14:15], exec
.LBB1207_253:
	s_or_b64 exec, exec, s[12:13]
	v_cmp_gt_u32_e32 vcc, s52, v31
	s_and_saveexec_b64 s[12:13], vcc
	s_cbranch_execz .LBB1207_264
; %bb.254:
	s_andn2_b64 vcc, exec, s[6:7]
	s_mov_b64 s[14:15], 0
	s_cbranch_vccnz .LBB1207_263
; %bb.255:
	v_mul_lo_u32 v18, v3, s26
	v_mul_lo_u32 v19, v2, s27
	s_waitcnt vmcnt(0) lgkmcnt(1)
	v_mad_u64_u32 v[16:17], s[10:11], v2, s26, 0
	v_add3_u32 v17, v17, v19, v18
	v_mul_lo_u32 v18, v5, s26
	v_mul_lo_u32 v19, v4, s27
	v_mad_u64_u32 v[20:21], s[10:11], v4, s26, 0
	v_add3_u32 v21, v21, v19, v18
	v_lshl_add_u64 v[18:19], v[16:17], 1, s[28:29]
	v_lshl_add_u64 v[16:17], v[20:21], 1, s[28:29]
	global_load_ushort v20, v[16:17], off
	global_load_ushort v21, v[18:19], off
	s_mov_b64 s[14:15], -1
	s_waitcnt vmcnt(1)
	v_lshlrev_b32_e32 v20, 16, v20
	s_waitcnt vmcnt(0)
	v_lshlrev_b32_e32 v21, 16, v21
	v_cmp_eq_f32_e32 vcc, v21, v20
	s_and_saveexec_b64 s[10:11], vcc
	s_cbranch_execz .LBB1207_262
; %bb.256:
	s_add_u32 s14, s26, -1
	v_lshl_add_u64 v[16:17], v[16:17], 0, 2
	v_lshl_add_u64 v[18:19], v[18:19], 0, 2
	s_addc_u32 s15, s27, -1
	s_mov_b64 s[38:39], 0
	s_mov_b64 s[42:43], 0
                                        ; implicit-def: $sgpr40_sgpr41
	s_branch .LBB1207_259
.LBB1207_257:                           ;   in Loop: Header=BB1207_259 Depth=1
	global_load_ushort v20, v[16:17], off
	global_load_ushort v21, v[18:19], off
	s_add_u32 s42, s42, 1
	s_addc_u32 s43, s43, 0
	s_andn2_b64 s[40:41], s[40:41], exec
	v_lshl_add_u64 v[16:17], v[16:17], 0, 2
	v_lshl_add_u64 v[18:19], v[18:19], 0, 2
	s_waitcnt vmcnt(1)
	v_lshlrev_b32_e32 v20, 16, v20
	s_waitcnt vmcnt(0)
	v_lshlrev_b32_e32 v21, 16, v21
	v_cmp_neq_f32_e32 vcc, v21, v20
	s_and_b64 s[44:45], vcc, exec
	s_or_b64 s[40:41], s[40:41], s[44:45]
.LBB1207_258:                           ;   in Loop: Header=BB1207_259 Depth=1
	s_and_b64 s[44:45], exec, s[40:41]
	s_or_b64 s[38:39], s[44:45], s[38:39]
	v_mov_b64_e32 v[20:21], s[42:43]
	s_andn2_b64 exec, exec, s[38:39]
	s_cbranch_execz .LBB1207_261
.LBB1207_259:                           ; =>This Inner Loop Header: Depth=1
	s_or_b64 s[40:41], s[40:41], exec
	s_cmp_eq_u64 s[14:15], s[42:43]
	s_cbranch_scc0 .LBB1207_257
; %bb.260:                              ;   in Loop: Header=BB1207_259 Depth=1
                                        ; implicit-def: $vgpr16_vgpr17
                                        ; implicit-def: $vgpr18_vgpr19
	s_mov_b64 s[42:43], s[26:27]
	s_branch .LBB1207_258
.LBB1207_261:
	s_or_b64 exec, exec, s[38:39]
	v_cmp_gt_i64_e32 vcc, s[26:27], v[20:21]
	s_orn2_b64 s[14:15], vcc, exec
.LBB1207_262:
	s_or_b64 exec, exec, s[10:11]
.LBB1207_263:
	s_and_b64 s[10:11], s[14:15], exec
.LBB1207_264:
	s_or_b64 exec, exec, s[12:13]
	v_cmp_gt_u32_e32 vcc, s52, v28
	s_mov_b64 s[14:15], 0
	s_mov_b64 s[12:13], 0
	s_and_saveexec_b64 s[38:39], vcc
	s_cbranch_execz .LBB1207_275
; %bb.265:
	s_andn2_b64 vcc, exec, s[6:7]
	s_mov_b64 s[40:41], 0
	s_cbranch_vccnz .LBB1207_274
; %bb.266:
	v_mul_lo_u32 v18, v9, s26
	v_mul_lo_u32 v19, v8, s27
	s_waitcnt vmcnt(0) lgkmcnt(1)
	v_mad_u64_u32 v[16:17], s[12:13], v8, s26, 0
	v_add3_u32 v17, v17, v19, v18
	v_mul_lo_u32 v18, v3, s26
	v_mul_lo_u32 v19, v2, s27
	v_mad_u64_u32 v[20:21], s[12:13], v2, s26, 0
	v_add3_u32 v21, v21, v19, v18
	v_lshl_add_u64 v[18:19], v[16:17], 1, s[28:29]
	v_lshl_add_u64 v[16:17], v[20:21], 1, s[28:29]
	global_load_ushort v20, v[16:17], off
	global_load_ushort v21, v[18:19], off
	s_mov_b64 s[40:41], -1
	s_waitcnt vmcnt(1)
	v_lshlrev_b32_e32 v20, 16, v20
	s_waitcnt vmcnt(0)
	v_lshlrev_b32_e32 v21, 16, v21
	v_cmp_eq_f32_e32 vcc, v21, v20
	s_and_saveexec_b64 s[12:13], vcc
	s_cbranch_execz .LBB1207_273
; %bb.267:
	s_add_u32 s40, s26, -1
	v_lshl_add_u64 v[16:17], v[16:17], 0, 2
	v_lshl_add_u64 v[18:19], v[18:19], 0, 2
	s_addc_u32 s41, s27, -1
	s_mov_b64 s[42:43], 0
	s_mov_b64 s[46:47], 0
                                        ; implicit-def: $sgpr44_sgpr45
	s_branch .LBB1207_270
.LBB1207_268:                           ;   in Loop: Header=BB1207_270 Depth=1
	global_load_ushort v20, v[16:17], off
	global_load_ushort v21, v[18:19], off
	s_add_u32 s46, s46, 1
	s_addc_u32 s47, s47, 0
	s_andn2_b64 s[44:45], s[44:45], exec
	v_lshl_add_u64 v[16:17], v[16:17], 0, 2
	v_lshl_add_u64 v[18:19], v[18:19], 0, 2
	s_waitcnt vmcnt(1)
	v_lshlrev_b32_e32 v20, 16, v20
	s_waitcnt vmcnt(0)
	v_lshlrev_b32_e32 v21, 16, v21
	v_cmp_neq_f32_e32 vcc, v21, v20
	s_and_b64 s[48:49], vcc, exec
	s_or_b64 s[44:45], s[44:45], s[48:49]
.LBB1207_269:                           ;   in Loop: Header=BB1207_270 Depth=1
	s_and_b64 s[48:49], exec, s[44:45]
	s_or_b64 s[42:43], s[48:49], s[42:43]
	v_mov_b64_e32 v[20:21], s[46:47]
	s_andn2_b64 exec, exec, s[42:43]
	s_cbranch_execz .LBB1207_272
.LBB1207_270:                           ; =>This Inner Loop Header: Depth=1
	s_or_b64 s[44:45], s[44:45], exec
	s_cmp_eq_u64 s[40:41], s[46:47]
	s_cbranch_scc0 .LBB1207_268
; %bb.271:                              ;   in Loop: Header=BB1207_270 Depth=1
                                        ; implicit-def: $vgpr16_vgpr17
                                        ; implicit-def: $vgpr18_vgpr19
	s_mov_b64 s[46:47], s[26:27]
	s_branch .LBB1207_269
.LBB1207_272:
	s_or_b64 exec, exec, s[42:43]
	v_cmp_gt_i64_e32 vcc, s[26:27], v[20:21]
	s_orn2_b64 s[40:41], vcc, exec
.LBB1207_273:
	s_or_b64 exec, exec, s[12:13]
.LBB1207_274:
	s_and_b64 s[12:13], s[40:41], exec
.LBB1207_275:
	s_or_b64 exec, exec, s[38:39]
	v_cmp_gt_u32_e32 vcc, s52, v30
	s_and_saveexec_b64 s[38:39], vcc
	s_cbranch_execz .LBB1207_286
; %bb.276:
	s_andn2_b64 vcc, exec, s[6:7]
	s_mov_b64 s[40:41], 0
	s_cbranch_vccnz .LBB1207_285
; %bb.277:
	v_mul_lo_u32 v18, v7, s26
	v_mul_lo_u32 v19, v6, s27
	s_waitcnt vmcnt(0) lgkmcnt(1)
	v_mad_u64_u32 v[16:17], s[14:15], v6, s26, 0
	v_add3_u32 v17, v17, v19, v18
	v_mul_lo_u32 v18, v9, s26
	v_mul_lo_u32 v19, v8, s27
	v_mad_u64_u32 v[20:21], s[14:15], v8, s26, 0
	v_add3_u32 v21, v21, v19, v18
	v_lshl_add_u64 v[18:19], v[16:17], 1, s[28:29]
	v_lshl_add_u64 v[16:17], v[20:21], 1, s[28:29]
	global_load_ushort v20, v[16:17], off
	global_load_ushort v21, v[18:19], off
	s_mov_b64 s[40:41], -1
	s_waitcnt vmcnt(1)
	v_lshlrev_b32_e32 v20, 16, v20
	s_waitcnt vmcnt(0)
	v_lshlrev_b32_e32 v21, 16, v21
	v_cmp_eq_f32_e32 vcc, v21, v20
	s_and_saveexec_b64 s[14:15], vcc
	s_cbranch_execz .LBB1207_284
; %bb.278:
	s_add_u32 s40, s26, -1
	v_lshl_add_u64 v[16:17], v[16:17], 0, 2
	v_lshl_add_u64 v[18:19], v[18:19], 0, 2
	s_addc_u32 s41, s27, -1
	s_mov_b64 s[42:43], 0
	s_mov_b64 s[46:47], 0
                                        ; implicit-def: $sgpr44_sgpr45
	s_branch .LBB1207_281
.LBB1207_279:                           ;   in Loop: Header=BB1207_281 Depth=1
	global_load_ushort v20, v[16:17], off
	global_load_ushort v21, v[18:19], off
	s_add_u32 s46, s46, 1
	s_addc_u32 s47, s47, 0
	s_andn2_b64 s[44:45], s[44:45], exec
	v_lshl_add_u64 v[16:17], v[16:17], 0, 2
	v_lshl_add_u64 v[18:19], v[18:19], 0, 2
	s_waitcnt vmcnt(1)
	v_lshlrev_b32_e32 v20, 16, v20
	s_waitcnt vmcnt(0)
	v_lshlrev_b32_e32 v21, 16, v21
	v_cmp_neq_f32_e32 vcc, v21, v20
	s_and_b64 s[48:49], vcc, exec
	s_or_b64 s[44:45], s[44:45], s[48:49]
.LBB1207_280:                           ;   in Loop: Header=BB1207_281 Depth=1
	s_and_b64 s[48:49], exec, s[44:45]
	s_or_b64 s[42:43], s[48:49], s[42:43]
	v_mov_b64_e32 v[20:21], s[46:47]
	s_andn2_b64 exec, exec, s[42:43]
	s_cbranch_execz .LBB1207_283
.LBB1207_281:                           ; =>This Inner Loop Header: Depth=1
	s_or_b64 s[44:45], s[44:45], exec
	s_cmp_eq_u64 s[40:41], s[46:47]
	s_cbranch_scc0 .LBB1207_279
; %bb.282:                              ;   in Loop: Header=BB1207_281 Depth=1
                                        ; implicit-def: $vgpr16_vgpr17
                                        ; implicit-def: $vgpr18_vgpr19
	s_mov_b64 s[46:47], s[26:27]
	s_branch .LBB1207_280
.LBB1207_283:
	s_or_b64 exec, exec, s[42:43]
	v_cmp_gt_i64_e32 vcc, s[26:27], v[20:21]
	s_orn2_b64 s[40:41], vcc, exec
.LBB1207_284:
	s_or_b64 exec, exec, s[14:15]
.LBB1207_285:
	s_and_b64 s[14:15], s[40:41], exec
.LBB1207_286:
	s_or_b64 exec, exec, s[38:39]
	v_cmp_gt_u32_e32 vcc, s52, v26
	s_mov_b64 s[38:39], 0
	s_mov_b64 s[40:41], 0
	s_and_saveexec_b64 s[42:43], vcc
	s_cbranch_execz .LBB1207_297
; %bb.287:
	s_andn2_b64 vcc, exec, s[6:7]
	s_mov_b64 s[44:45], 0
	s_cbranch_vccnz .LBB1207_296
; %bb.288:
	v_mul_lo_u32 v18, v13, s26
	v_mul_lo_u32 v19, v12, s27
	s_waitcnt vmcnt(0) lgkmcnt(1)
	v_mad_u64_u32 v[16:17], s[40:41], v12, s26, 0
	v_add3_u32 v17, v17, v19, v18
	v_mul_lo_u32 v18, v7, s26
	v_mul_lo_u32 v19, v6, s27
	v_mad_u64_u32 v[20:21], s[40:41], v6, s26, 0
	v_add3_u32 v21, v21, v19, v18
	v_lshl_add_u64 v[18:19], v[16:17], 1, s[28:29]
	v_lshl_add_u64 v[16:17], v[20:21], 1, s[28:29]
	global_load_ushort v20, v[16:17], off
	global_load_ushort v21, v[18:19], off
	s_mov_b64 s[44:45], -1
	s_waitcnt vmcnt(1)
	v_lshlrev_b32_e32 v20, 16, v20
	s_waitcnt vmcnt(0)
	v_lshlrev_b32_e32 v21, 16, v21
	v_cmp_eq_f32_e32 vcc, v21, v20
	s_and_saveexec_b64 s[40:41], vcc
	s_cbranch_execz .LBB1207_295
; %bb.289:
	s_add_u32 s44, s26, -1
	v_lshl_add_u64 v[16:17], v[16:17], 0, 2
	v_lshl_add_u64 v[18:19], v[18:19], 0, 2
	s_addc_u32 s45, s27, -1
	s_mov_b64 s[46:47], 0
	s_mov_b64 s[50:51], 0
                                        ; implicit-def: $sgpr48_sgpr49
	s_branch .LBB1207_292
.LBB1207_290:                           ;   in Loop: Header=BB1207_292 Depth=1
	global_load_ushort v20, v[16:17], off
	global_load_ushort v21, v[18:19], off
	s_add_u32 s50, s50, 1
	s_addc_u32 s51, s51, 0
	s_andn2_b64 s[48:49], s[48:49], exec
	v_lshl_add_u64 v[16:17], v[16:17], 0, 2
	v_lshl_add_u64 v[18:19], v[18:19], 0, 2
	s_waitcnt vmcnt(1)
	v_lshlrev_b32_e32 v20, 16, v20
	s_waitcnt vmcnt(0)
	v_lshlrev_b32_e32 v21, 16, v21
	v_cmp_neq_f32_e32 vcc, v21, v20
	s_and_b64 s[54:55], vcc, exec
	s_or_b64 s[48:49], s[48:49], s[54:55]
.LBB1207_291:                           ;   in Loop: Header=BB1207_292 Depth=1
	s_and_b64 s[54:55], exec, s[48:49]
	s_or_b64 s[46:47], s[54:55], s[46:47]
	v_mov_b64_e32 v[20:21], s[50:51]
	s_andn2_b64 exec, exec, s[46:47]
	s_cbranch_execz .LBB1207_294
.LBB1207_292:                           ; =>This Inner Loop Header: Depth=1
	s_or_b64 s[48:49], s[48:49], exec
	s_cmp_eq_u64 s[44:45], s[50:51]
	s_cbranch_scc0 .LBB1207_290
; %bb.293:                              ;   in Loop: Header=BB1207_292 Depth=1
                                        ; implicit-def: $vgpr16_vgpr17
                                        ; implicit-def: $vgpr18_vgpr19
	s_mov_b64 s[50:51], s[26:27]
	s_branch .LBB1207_291
.LBB1207_294:
	s_or_b64 exec, exec, s[46:47]
	v_cmp_gt_i64_e32 vcc, s[26:27], v[20:21]
	s_orn2_b64 s[44:45], vcc, exec
.LBB1207_295:
	s_or_b64 exec, exec, s[40:41]
.LBB1207_296:
	s_and_b64 s[40:41], s[44:45], exec
.LBB1207_297:
	s_or_b64 exec, exec, s[42:43]
	v_cmp_gt_u32_e32 vcc, s52, v27
	s_and_saveexec_b64 s[42:43], vcc
	s_cbranch_execz .LBB1207_308
; %bb.298:
	s_andn2_b64 vcc, exec, s[6:7]
	s_mov_b64 s[44:45], 0
	s_cbranch_vccnz .LBB1207_307
; %bb.299:
	v_mul_lo_u32 v18, v11, s26
	v_mul_lo_u32 v19, v10, s27
	s_waitcnt vmcnt(0) lgkmcnt(1)
	v_mad_u64_u32 v[16:17], s[38:39], v10, s26, 0
	v_add3_u32 v17, v17, v19, v18
	v_mul_lo_u32 v18, v13, s26
	v_mul_lo_u32 v19, v12, s27
	v_mad_u64_u32 v[20:21], s[38:39], v12, s26, 0
	v_add3_u32 v21, v21, v19, v18
	v_lshl_add_u64 v[18:19], v[16:17], 1, s[28:29]
	v_lshl_add_u64 v[16:17], v[20:21], 1, s[28:29]
	global_load_ushort v20, v[16:17], off
	global_load_ushort v21, v[18:19], off
	s_mov_b64 s[44:45], -1
	s_waitcnt vmcnt(1)
	v_lshlrev_b32_e32 v20, 16, v20
	s_waitcnt vmcnt(0)
	v_lshlrev_b32_e32 v21, 16, v21
	v_cmp_eq_f32_e32 vcc, v21, v20
	s_and_saveexec_b64 s[38:39], vcc
	s_cbranch_execz .LBB1207_306
; %bb.300:
	s_add_u32 s44, s26, -1
	v_lshl_add_u64 v[16:17], v[16:17], 0, 2
	v_lshl_add_u64 v[18:19], v[18:19], 0, 2
	s_addc_u32 s45, s27, -1
	s_mov_b64 s[46:47], 0
	s_mov_b64 s[50:51], 0
                                        ; implicit-def: $sgpr48_sgpr49
	s_branch .LBB1207_303
.LBB1207_301:                           ;   in Loop: Header=BB1207_303 Depth=1
	global_load_ushort v20, v[16:17], off
	global_load_ushort v21, v[18:19], off
	s_add_u32 s50, s50, 1
	s_addc_u32 s51, s51, 0
	s_andn2_b64 s[48:49], s[48:49], exec
	v_lshl_add_u64 v[16:17], v[16:17], 0, 2
	v_lshl_add_u64 v[18:19], v[18:19], 0, 2
	s_waitcnt vmcnt(1)
	v_lshlrev_b32_e32 v20, 16, v20
	s_waitcnt vmcnt(0)
	v_lshlrev_b32_e32 v21, 16, v21
	v_cmp_neq_f32_e32 vcc, v21, v20
	s_and_b64 s[54:55], vcc, exec
	s_or_b64 s[48:49], s[48:49], s[54:55]
.LBB1207_302:                           ;   in Loop: Header=BB1207_303 Depth=1
	s_and_b64 s[54:55], exec, s[48:49]
	s_or_b64 s[46:47], s[54:55], s[46:47]
	v_mov_b64_e32 v[20:21], s[50:51]
	s_andn2_b64 exec, exec, s[46:47]
	s_cbranch_execz .LBB1207_305
.LBB1207_303:                           ; =>This Inner Loop Header: Depth=1
	s_or_b64 s[48:49], s[48:49], exec
	s_cmp_eq_u64 s[44:45], s[50:51]
	s_cbranch_scc0 .LBB1207_301
; %bb.304:                              ;   in Loop: Header=BB1207_303 Depth=1
                                        ; implicit-def: $vgpr16_vgpr17
                                        ; implicit-def: $vgpr18_vgpr19
	s_mov_b64 s[50:51], s[26:27]
	s_branch .LBB1207_302
.LBB1207_305:
	s_or_b64 exec, exec, s[46:47]
	v_cmp_gt_i64_e32 vcc, s[26:27], v[20:21]
	s_orn2_b64 s[44:45], vcc, exec
.LBB1207_306:
	s_or_b64 exec, exec, s[38:39]
.LBB1207_307:
	s_and_b64 s[38:39], s[44:45], exec
.LBB1207_308:
	s_or_b64 exec, exec, s[42:43]
	s_waitcnt vmcnt(0) lgkmcnt(1)
	v_cndmask_b32_e64 v17, 0, 1, s[14:15]
	v_cndmask_b32_e64 v16, 0, 1, s[40:41]
	;; [unrolled: 1-line block ×3, first 2 shown]
	v_lshlrev_b16_e32 v17, 8, v17
	v_cndmask_b32_e64 v25, 0, 1, s[12:13]
	v_cndmask_b32_e64 v18, 0, 1, s[38:39]
	v_or_b32_sdwa v16, v16, v17 dst_sel:WORD_1 dst_unused:UNUSED_PAD src0_sel:DWORD src1_sel:DWORD
	v_lshlrev_b16_e32 v17, 8, v34
	v_lshlrev_b16_e32 v18, 8, v18
	v_or_b32_e32 v17, v25, v17
	v_or_b32_e32 v18, 1, v18
	v_and_b32_e32 v17, 0xffff, v17
	v_cndmask_b32_e64 v35, 0, 1, s[4:5]
	v_or_b32_sdwa v16, v18, v16 dst_sel:DWORD dst_unused:UNUSED_PAD src0_sel:WORD_0 src1_sel:DWORD
	v_lshl_or_b32 v17, v35, 16, v17
	s_waitcnt lgkmcnt(0)
	s_barrier
	s_waitcnt lgkmcnt(0)
                                        ; implicit-def: $sgpr12_sgpr13
                                        ; implicit-def: $vgpr20
	s_and_saveexec_b64 s[4:5], s[2:3]
	s_cbranch_execz .LBB1207_321
; %bb.309:
	v_cmp_gt_u32_e32 vcc, s52, v1
	s_mov_b32 s38, 0x3020104
	s_mov_b64 s[10:11], 0
	s_and_saveexec_b64 s[2:3], vcc
	s_cbranch_execz .LBB1207_320
; %bb.310:
	s_andn2_b64 vcc, exec, s[6:7]
	s_cbranch_vccnz .LBB1207_319
; %bb.311:
	v_add_u32_e32 v17, -8, v24
	ds_read_b64 v[18:19], v17
	v_mul_lo_u32 v17, v11, s26
	v_mad_u64_u32 v[22:23], s[6:7], v10, s26, 0
	s_mov_b64 s[10:11], -1
	s_waitcnt lgkmcnt(0)
	v_mul_lo_u32 v20, v19, s26
	v_mul_lo_u32 v21, v18, s27
	v_mad_u64_u32 v[18:19], s[6:7], v18, s26, 0
	v_add3_u32 v19, v19, v21, v20
	v_mul_lo_u32 v20, v10, s27
	v_add3_u32 v23, v23, v20, v17
	v_lshl_add_u64 v[20:21], v[18:19], 1, s[28:29]
	v_lshl_add_u64 v[18:19], v[22:23], 1, s[28:29]
	global_load_ushort v17, v[18:19], off
	global_load_ushort v22, v[20:21], off
	s_waitcnt vmcnt(1)
	v_lshlrev_b32_e32 v17, 16, v17
	s_waitcnt vmcnt(0)
	v_lshlrev_b32_e32 v22, 16, v22
	v_cmp_eq_f32_e32 vcc, v22, v17
	s_and_saveexec_b64 s[6:7], vcc
	s_cbranch_execz .LBB1207_318
; %bb.312:
	s_add_u32 s10, s26, -1
	v_lshl_add_u64 v[18:19], v[18:19], 0, 2
	v_lshl_add_u64 v[20:21], v[20:21], 0, 2
	s_addc_u32 s11, s27, -1
	s_mov_b64 s[12:13], 0
	s_mov_b64 s[28:29], 0
                                        ; implicit-def: $sgpr14_sgpr15
	s_branch .LBB1207_315
.LBB1207_313:                           ;   in Loop: Header=BB1207_315 Depth=1
	global_load_ushort v17, v[18:19], off
	global_load_ushort v22, v[20:21], off
	s_add_u32 s28, s28, 1
	s_addc_u32 s29, s29, 0
	s_andn2_b64 s[14:15], s[14:15], exec
	v_lshl_add_u64 v[18:19], v[18:19], 0, 2
	v_lshl_add_u64 v[20:21], v[20:21], 0, 2
	s_waitcnt vmcnt(1)
	v_lshlrev_b32_e32 v17, 16, v17
	s_waitcnt vmcnt(0)
	v_lshlrev_b32_e32 v22, 16, v22
	v_cmp_neq_f32_e32 vcc, v22, v17
	s_and_b64 s[40:41], vcc, exec
	s_or_b64 s[14:15], s[14:15], s[40:41]
.LBB1207_314:                           ;   in Loop: Header=BB1207_315 Depth=1
	s_and_b64 s[40:41], exec, s[14:15]
	s_or_b64 s[12:13], s[40:41], s[12:13]
	v_mov_b64_e32 v[22:23], s[28:29]
	s_andn2_b64 exec, exec, s[12:13]
	s_cbranch_execz .LBB1207_317
.LBB1207_315:                           ; =>This Inner Loop Header: Depth=1
	s_or_b64 s[14:15], s[14:15], exec
	s_cmp_eq_u64 s[10:11], s[28:29]
	s_cbranch_scc0 .LBB1207_313
; %bb.316:                              ;   in Loop: Header=BB1207_315 Depth=1
                                        ; implicit-def: $vgpr18_vgpr19
                                        ; implicit-def: $vgpr20_vgpr21
	s_mov_b64 s[28:29], s[26:27]
	s_branch .LBB1207_314
.LBB1207_317:
	s_or_b64 exec, exec, s[12:13]
	v_cmp_gt_i64_e32 vcc, s[26:27], v[22:23]
	s_orn2_b64 s[10:11], vcc, exec
.LBB1207_318:
	s_or_b64 exec, exec, s[6:7]
.LBB1207_319:
	s_and_b64 s[10:11], s[10:11], exec
.LBB1207_320:
	s_or_b64 exec, exec, s[2:3]
	v_perm_b32 v20, v16, v16, s38
	s_and_b64 s[12:13], s[10:11], exec
	s_or_b64 s[8:9], s[8:9], exec
                                        ; implicit-def: $vgpr16_vgpr17
.LBB1207_321:
	s_or_b64 exec, exec, s[4:5]
.LBB1207_322:
	s_and_saveexec_b64 s[2:3], s[8:9]
	s_cbranch_execz .LBB1207_324
; %bb.323:
	s_waitcnt vmcnt(0) lgkmcnt(0)
	v_lshlrev_b16_e32 v17, 8, v34
	v_and_b32_e32 v18, 0xff, v35
	v_or_b32_sdwa v17, v25, v17 dst_sel:DWORD dst_unused:UNUSED_PAD src0_sel:BYTE_0 src1_sel:DWORD
	v_lshlrev_b32_e32 v18, 16, v18
	s_movk_i32 s4, 0xff
	v_or_b32_sdwa v17, v17, v18 dst_sel:DWORD dst_unused:UNUSED_PAD src0_sel:WORD_0 src1_sel:DWORD
	v_lshrrev_b32_e32 v18, 24, v20
	v_lshlrev_b16_e32 v18, 8, v18
	v_and_b32_sdwa v19, v20, s4 dst_sel:DWORD dst_unused:UNUSED_PAD src0_sel:WORD_1 src1_sel:DWORD
	v_or_b32_sdwa v18, v19, v18 dst_sel:WORD_1 dst_unused:UNUSED_PAD src0_sel:DWORD src1_sel:DWORD
	v_mov_b32_e32 v19, 8
	v_cndmask_b32_e64 v16, 0, 1, s[12:13]
	v_lshrrev_b32_sdwa v19, v19, v20 dst_sel:BYTE_1 dst_unused:UNUSED_PAD src0_sel:DWORD src1_sel:DWORD
	s_nop 0
	v_or_b32_e32 v16, v16, v19
	v_or_b32_sdwa v16, v16, v18 dst_sel:DWORD dst_unused:UNUSED_PAD src0_sel:WORD_0 src1_sel:DWORD
.LBB1207_324:
	s_or_b64 exec, exec, s[2:3]
	s_andn2_b64 vcc, exec, s[0:1]
	s_cbranch_vccnz .LBB1207_326
; %bb.325:
	s_waitcnt vmcnt(0) lgkmcnt(0)
	v_and_b32_e32 v18, 0xffff0000, v16
	v_cmp_gt_u32_e32 vcc, s52, v1
	s_mov_b32 s0, 0x40c0100
	s_nop 0
	v_cndmask_b32_e32 v1, v18, v16, vcc
	v_and_b32_e32 v1, 0xffff00ff, v1
	v_cmp_gt_u32_e32 vcc, s52, v27
	s_nop 1
	v_cndmask_b32_e32 v1, v1, v16, vcc
	v_lshrrev_b32_e32 v18, 24, v1
	v_perm_b32 v1, v18, v1, s0
	v_cmp_gt_u32_e32 vcc, s52, v26
	v_and_b32_e32 v18, 0xffffff00, v17
	s_nop 0
	v_cndmask_b32_e32 v1, v1, v16, vcc
	v_and_b32_e32 v1, 0xffffff, v1
	v_cmp_gt_u32_e32 vcc, s52, v30
	s_nop 1
	v_cndmask_b32_e32 v1, v1, v16, vcc
	v_cmp_gt_u32_e32 vcc, s52, v28
	s_nop 1
	v_cndmask_b32_e32 v18, v18, v17, vcc
	v_and_b32_e32 v18, 0xffff00ff, v18
	v_cndmask_b32_e32 v1, v1, v16, vcc
	v_cmp_gt_u32_e32 vcc, s52, v31
	s_nop 1
	v_cndmask_b32_e32 v18, v18, v17, vcc
	v_lshrrev_b32_e32 v19, 24, v18
	v_cndmask_b32_e32 v1, v1, v16, vcc
	v_perm_b32 v18, v19, v18, s0
	v_cmp_gt_u32_e32 vcc, s52, v29
	s_mov_b32 s0, 0x3020104
	s_nop 0
	v_cndmask_b32_e32 v1, v1, v16, vcc
	v_cndmask_b32_e32 v16, v18, v17, vcc
	v_mov_b32_e32 v17, 8
	v_lshrrev_b32_sdwa v17, v17, v16 dst_sel:BYTE_1 dst_unused:UNUSED_PAD src0_sel:DWORD src1_sel:DWORD
	s_nop 0
	v_or_b32_sdwa v17, v16, v17 dst_sel:DWORD dst_unused:UNUSED_PAD src0_sel:BYTE_0 src1_sel:DWORD
	v_and_b32_e32 v17, 0xffff, v17
	v_bfe_u32 v16, v16, 16, 8
	v_lshl_or_b32 v17, v16, 16, v17
	v_perm_b32 v16, v1, v1, s0
.LBB1207_326:
	s_waitcnt vmcnt(0) lgkmcnt(0)
	v_and_b32_e32 v1, 0xff, v16
	v_bfe_u32 v29, v16, 8, 8
	v_bfe_u32 v31, v16, 16, 8
	v_alignbit_b32 v18, v17, v16, 24
	v_and_b32_e32 v33, 0xff, v18
	v_and_b32_e32 v35, 0xff, v17
	v_add3_u32 v19, v29, v1, v31
	v_bfe_u32 v36, v17, 8, 8
	v_bfe_u32 v18, v17, 16, 8
	v_add3_u32 v19, v19, v33, v35
	v_add3_u32 v39, v19, v36, v18
	v_mbcnt_lo_u32_b32 v18, -1, 0
	v_mbcnt_hi_u32_b32 v37, -1, v18
	v_and_b32_e32 v18, 15, v37
	v_cmp_eq_u32_e64 s[14:15], 0, v18
	v_cmp_lt_u32_e64 s[12:13], 1, v18
	v_cmp_lt_u32_e64 s[10:11], 3, v18
	;; [unrolled: 1-line block ×3, first 2 shown]
	v_and_b32_e32 v18, 16, v37
	v_cmp_eq_u32_e64 s[6:7], 0, v18
	v_or_b32_e32 v18, 63, v0
	v_cmp_lt_u32_e64 s[2:3], 31, v37
	v_lshrrev_b32_e32 v38, 6, v0
	v_cmp_eq_u32_e64 s[4:5], v18, v0
	s_and_b64 vcc, exec, s[16:17]
	s_barrier
	s_cbranch_vccz .LBB1207_353
; %bb.327:
	v_mov_b32_dpp v18, v39 row_shr:1 row_mask:0xf bank_mask:0xf
	v_cndmask_b32_e64 v18, v18, 0, s[14:15]
	v_add_u32_e32 v18, v18, v39
	s_nop 1
	v_mov_b32_dpp v19, v18 row_shr:2 row_mask:0xf bank_mask:0xf
	v_cndmask_b32_e64 v19, 0, v19, s[12:13]
	v_add_u32_e32 v18, v18, v19
	s_nop 1
	;; [unrolled: 4-line block ×4, first 2 shown]
	v_mov_b32_dpp v19, v18 row_bcast:15 row_mask:0xf bank_mask:0xf
	v_cndmask_b32_e64 v19, v19, 0, s[6:7]
	v_add_u32_e32 v18, v18, v19
	s_nop 1
	v_mov_b32_dpp v19, v18 row_bcast:31 row_mask:0xf bank_mask:0xf
	v_cndmask_b32_e64 v19, 0, v19, s[2:3]
	v_add_u32_e32 v18, v18, v19
	s_and_saveexec_b64 s[0:1], s[4:5]
	s_cbranch_execz .LBB1207_329
; %bb.328:
	v_lshlrev_b32_e32 v19, 2, v38
	ds_write_b32 v19, v18
.LBB1207_329:
	s_or_b64 exec, exec, s[0:1]
	v_cmp_gt_u32_e32 vcc, 8, v0
	s_waitcnt lgkmcnt(0)
	s_barrier
	s_and_saveexec_b64 s[0:1], vcc
	s_cbranch_execz .LBB1207_331
; %bb.330:
	v_lshlrev_b32_e32 v19, 2, v0
	ds_read_b32 v20, v19
	v_and_b32_e32 v21, 7, v37
	v_cmp_ne_u32_e32 vcc, 0, v21
	s_waitcnt lgkmcnt(0)
	v_mov_b32_dpp v22, v20 row_shr:1 row_mask:0xf bank_mask:0xf
	v_cndmask_b32_e32 v22, 0, v22, vcc
	v_add_u32_e32 v20, v22, v20
	v_cmp_lt_u32_e32 vcc, 1, v21
	s_nop 0
	v_mov_b32_dpp v22, v20 row_shr:2 row_mask:0xf bank_mask:0xf
	v_cndmask_b32_e32 v22, 0, v22, vcc
	v_add_u32_e32 v20, v20, v22
	v_cmp_lt_u32_e32 vcc, 3, v21
	s_nop 0
	v_mov_b32_dpp v22, v20 row_shr:4 row_mask:0xf bank_mask:0xf
	v_cndmask_b32_e32 v21, 0, v22, vcc
	v_add_u32_e32 v20, v20, v21
	ds_write_b32 v19, v20
.LBB1207_331:
	s_or_b64 exec, exec, s[0:1]
	v_cmp_gt_u32_e32 vcc, 64, v0
	v_cmp_lt_u32_e64 s[0:1], 63, v0
	s_waitcnt lgkmcnt(0)
	s_barrier
	s_waitcnt lgkmcnt(0)
                                        ; implicit-def: $vgpr28
	s_and_saveexec_b64 s[16:17], s[0:1]
	s_cbranch_execz .LBB1207_333
; %bb.332:
	v_lshl_add_u32 v19, v38, 2, -4
	ds_read_b32 v28, v19
	s_waitcnt lgkmcnt(0)
	v_add_u32_e32 v18, v28, v18
.LBB1207_333:
	s_or_b64 exec, exec, s[16:17]
	v_add_u32_e32 v19, -1, v37
	v_and_b32_e32 v20, 64, v37
	v_cmp_lt_i32_e64 s[0:1], v19, v20
	v_cmp_eq_u32_e64 s[16:17], 0, v37
	s_nop 0
	v_cndmask_b32_e64 v19, v19, v37, s[0:1]
	v_lshlrev_b32_e32 v19, 2, v19
	ds_bpermute_b32 v30, v19, v18
	s_and_saveexec_b64 s[0:1], vcc
	s_cbranch_execz .LBB1207_352
; %bb.334:
	v_mov_b32_e32 v25, 0
	ds_read_b32 v18, v25 offset:28
	s_and_saveexec_b64 s[26:27], s[16:17]
	s_cbranch_execz .LBB1207_336
; %bb.335:
	s_add_i32 s28, s33, 64
	s_mov_b32 s29, 0
	s_lshl_b64 s[28:29], s[28:29], 3
	s_add_u32 s28, s30, s28
	v_mov_b32_e32 v19, 1
	s_addc_u32 s29, s31, s29
	s_waitcnt lgkmcnt(0)
	global_store_dwordx2 v25, v[18:19], s[28:29] sc1
.LBB1207_336:
	s_or_b64 exec, exec, s[26:27]
	v_xad_u32 v20, v37, -1, s33
	v_add_u32_e32 v24, 64, v20
	v_lshl_add_u64 v[26:27], v[24:25], 3, s[30:31]
	global_load_dwordx2 v[22:23], v[26:27], off sc1
	s_waitcnt vmcnt(0)
	v_cmp_eq_u16_sdwa s[28:29], v23, v25 src0_sel:BYTE_0 src1_sel:DWORD
	s_and_saveexec_b64 s[26:27], s[28:29]
	s_cbranch_execz .LBB1207_340
; %bb.337:
	s_mov_b64 s[28:29], 0
	v_mov_b32_e32 v19, 0
.LBB1207_338:                           ; =>This Inner Loop Header: Depth=1
	global_load_dwordx2 v[22:23], v[26:27], off sc1
	s_waitcnt vmcnt(0)
	v_cmp_ne_u16_sdwa s[38:39], v23, v19 src0_sel:BYTE_0 src1_sel:DWORD
	s_or_b64 s[28:29], s[38:39], s[28:29]
	s_andn2_b64 exec, exec, s[28:29]
	s_cbranch_execnz .LBB1207_338
; %bb.339:
	s_or_b64 exec, exec, s[28:29]
.LBB1207_340:
	s_or_b64 exec, exec, s[26:27]
	v_and_b32_e32 v32, 63, v37
	v_mov_b32_e32 v19, 2
	v_cmp_ne_u32_e32 vcc, 63, v32
	v_cmp_eq_u16_sdwa s[26:27], v23, v19 src0_sel:BYTE_0 src1_sel:DWORD
	v_lshlrev_b64 v[24:25], v37, -1
	v_addc_co_u32_e32 v27, vcc, 0, v37, vcc
	v_and_b32_e32 v21, s27, v25
	v_lshlrev_b32_e32 v34, 2, v27
	v_or_b32_e32 v21, 0x80000000, v21
	ds_bpermute_b32 v27, v34, v22
	v_and_b32_e32 v26, s26, v24
	v_ffbl_b32_e32 v21, v21
	v_add_u32_e32 v21, 32, v21
	v_ffbl_b32_e32 v26, v26
	v_min_u32_e32 v21, v26, v21
	v_cmp_lt_u32_e32 vcc, v32, v21
	v_add_u32_e32 v41, 2, v32
	v_add_u32_e32 v43, 4, v32
	s_waitcnt lgkmcnt(0)
	v_cndmask_b32_e32 v26, 0, v27, vcc
	v_cmp_gt_u32_e32 vcc, 62, v32
	v_add_u32_e32 v22, v26, v22
	v_add_u32_e32 v45, 8, v32
	v_cndmask_b32_e64 v26, 0, 1, vcc
	v_lshlrev_b32_e32 v26, 1, v26
	v_add_lshl_u32 v40, v26, v37, 2
	ds_bpermute_b32 v26, v40, v22
	v_cmp_le_u32_e32 vcc, v41, v21
	v_add_u32_e32 v48, 16, v32
	v_add_u32_e32 v50, 32, v32
	s_waitcnt lgkmcnt(0)
	v_cndmask_b32_e32 v26, 0, v26, vcc
	v_cmp_gt_u32_e32 vcc, 60, v32
	v_add_u32_e32 v22, v22, v26
	s_nop 0
	v_cndmask_b32_e64 v26, 0, 1, vcc
	v_lshlrev_b32_e32 v26, 2, v26
	v_add_lshl_u32 v42, v26, v37, 2
	ds_bpermute_b32 v26, v42, v22
	v_cmp_le_u32_e32 vcc, v43, v21
	s_waitcnt lgkmcnt(0)
	s_nop 0
	v_cndmask_b32_e32 v26, 0, v26, vcc
	v_cmp_gt_u32_e32 vcc, 56, v32
	v_add_u32_e32 v22, v22, v26
	s_nop 0
	v_cndmask_b32_e64 v26, 0, 1, vcc
	v_lshlrev_b32_e32 v26, 3, v26
	v_add_lshl_u32 v44, v26, v37, 2
	ds_bpermute_b32 v26, v44, v22
	v_cmp_le_u32_e32 vcc, v45, v21
	s_waitcnt lgkmcnt(0)
	s_nop 0
	;; [unrolled: 11-line block ×4, first 2 shown]
	v_cndmask_b32_e32 v21, 0, v26, vcc
	v_add_u32_e32 v22, v22, v21
	v_mov_b32_e32 v21, 0
	s_branch .LBB1207_342
.LBB1207_341:                           ;   in Loop: Header=BB1207_342 Depth=1
	s_or_b64 exec, exec, s[26:27]
	v_cmp_eq_u16_sdwa s[26:27], v23, v19 src0_sel:BYTE_0 src1_sel:DWORD
	ds_bpermute_b32 v51, v34, v22
	v_subrev_u32_e32 v20, 64, v20
	v_and_b32_e32 v26, s27, v25
	v_or_b32_e32 v26, 0x80000000, v26
	v_and_b32_e32 v27, s26, v24
	v_ffbl_b32_e32 v26, v26
	v_add_u32_e32 v26, 32, v26
	v_ffbl_b32_e32 v27, v27
	v_min_u32_e32 v26, v27, v26
	v_cmp_lt_u32_e32 vcc, v32, v26
	s_waitcnt lgkmcnt(0)
	s_nop 0
	v_cndmask_b32_e32 v27, 0, v51, vcc
	v_add_u32_e32 v22, v27, v22
	ds_bpermute_b32 v27, v40, v22
	v_cmp_le_u32_e32 vcc, v41, v26
	s_waitcnt lgkmcnt(0)
	s_nop 0
	v_cndmask_b32_e32 v27, 0, v27, vcc
	v_add_u32_e32 v22, v22, v27
	ds_bpermute_b32 v27, v42, v22
	v_cmp_le_u32_e32 vcc, v43, v26
	;; [unrolled: 6-line block ×5, first 2 shown]
	s_waitcnt lgkmcnt(0)
	s_nop 0
	v_cndmask_b32_e32 v26, 0, v27, vcc
	v_add3_u32 v22, v26, v46, v22
.LBB1207_342:                           ; =>This Loop Header: Depth=1
                                        ;     Child Loop BB1207_345 Depth 2
	v_cmp_ne_u16_sdwa s[26:27], v23, v19 src0_sel:BYTE_0 src1_sel:DWORD
	v_mov_b32_e32 v46, v22
	s_nop 0
	v_cndmask_b32_e64 v23, 0, 1, s[26:27]
	;;#ASMSTART
	;;#ASMEND
	s_nop 0
	v_cmp_ne_u32_e32 vcc, 0, v23
	s_cmp_lg_u64 vcc, exec
	s_cbranch_scc1 .LBB1207_347
; %bb.343:                              ;   in Loop: Header=BB1207_342 Depth=1
	v_lshl_add_u64 v[26:27], v[20:21], 3, s[30:31]
	global_load_dwordx2 v[22:23], v[26:27], off sc1
	s_waitcnt vmcnt(0)
	v_cmp_eq_u16_sdwa s[28:29], v23, v21 src0_sel:BYTE_0 src1_sel:DWORD
	s_and_saveexec_b64 s[26:27], s[28:29]
	s_cbranch_execz .LBB1207_341
; %bb.344:                              ;   in Loop: Header=BB1207_342 Depth=1
	s_mov_b64 s[28:29], 0
.LBB1207_345:                           ;   Parent Loop BB1207_342 Depth=1
                                        ; =>  This Inner Loop Header: Depth=2
	global_load_dwordx2 v[22:23], v[26:27], off sc1
	s_waitcnt vmcnt(0)
	v_cmp_ne_u16_sdwa s[38:39], v23, v21 src0_sel:BYTE_0 src1_sel:DWORD
	s_or_b64 s[28:29], s[38:39], s[28:29]
	s_andn2_b64 exec, exec, s[28:29]
	s_cbranch_execnz .LBB1207_345
; %bb.346:                              ;   in Loop: Header=BB1207_342 Depth=1
	s_or_b64 exec, exec, s[28:29]
	s_branch .LBB1207_341
.LBB1207_347:                           ;   in Loop: Header=BB1207_342 Depth=1
                                        ; implicit-def: $vgpr22
                                        ; implicit-def: $vgpr23
	s_cbranch_execz .LBB1207_342
; %bb.348:
	s_and_saveexec_b64 s[26:27], s[16:17]
	s_cbranch_execz .LBB1207_350
; %bb.349:
	s_add_i32 s28, s33, 64
	s_mov_b32 s29, 0
	s_lshl_b64 s[28:29], s[28:29], 3
	s_add_u32 s28, s30, s28
	v_add_u32_e32 v20, v46, v18
	v_mov_b32_e32 v21, 2
	s_addc_u32 s29, s31, s29
	v_mov_b32_e32 v19, 0
	global_store_dwordx2 v19, v[20:21], s[28:29] sc1
	s_movk_i32 s28, 0x7000
	v_add_u32_e64 v19, s28, 0
	ds_write2_b32 v19, v18, v46 offset1:2
.LBB1207_350:
	s_or_b64 exec, exec, s[26:27]
	s_and_b64 exec, exec, s[18:19]
	s_cbranch_execz .LBB1207_352
; %bb.351:
	v_mov_b32_e32 v18, 0
	ds_write_b32 v18, v46 offset:28
.LBB1207_352:
	s_or_b64 exec, exec, s[0:1]
	v_mov_b32_e32 v18, 0
	s_waitcnt lgkmcnt(0)
	s_barrier
	ds_read_b32 v18, v18 offset:28
	v_cndmask_b32_e64 v19, v30, v28, s[16:17]
	v_cndmask_b32_e64 v19, v19, 0, s[18:19]
	s_movk_i32 s0, 0x7000
	s_waitcnt lgkmcnt(0)
	v_add_u32_e32 v34, v18, v19
	v_add_u32_e32 v32, v34, v1
	v_add_u32_e64 v18, s0, 0
	v_add_u32_e32 v30, v32, v29
	s_barrier
	ds_read2_b32 v[18:19], v18 offset1:2
	v_add_u32_e32 v28, v30, v31
	v_add_u32_e32 v26, v28, v33
	;; [unrolled: 1-line block ×4, first 2 shown]
	v_lshrrev_b64 v[20:21], 24, v[16:17]
	s_branch .LBB1207_363
.LBB1207_353:
                                        ; implicit-def: $vgpr22
                                        ; implicit-def: $vgpr24
                                        ; implicit-def: $vgpr26
                                        ; implicit-def: $vgpr28
                                        ; implicit-def: $vgpr30
                                        ; implicit-def: $vgpr32
                                        ; implicit-def: $vgpr34
                                        ; implicit-def: $vgpr19
	v_lshrrev_b64 v[20:21], 24, v[16:17]
	s_cbranch_execz .LBB1207_363
; %bb.354:
	s_waitcnt lgkmcnt(0)
	v_mov_b32_dpp v18, v39 row_shr:1 row_mask:0xf bank_mask:0xf
	v_cndmask_b32_e64 v18, v18, 0, s[14:15]
	v_add_u32_e32 v18, v18, v39
	s_nop 1
	v_mov_b32_dpp v19, v18 row_shr:2 row_mask:0xf bank_mask:0xf
	v_cndmask_b32_e64 v19, 0, v19, s[12:13]
	v_add_u32_e32 v18, v18, v19
	s_nop 1
	;; [unrolled: 4-line block ×4, first 2 shown]
	v_mov_b32_dpp v19, v18 row_bcast:15 row_mask:0xf bank_mask:0xf
	v_cndmask_b32_e64 v19, v19, 0, s[6:7]
	v_add_u32_e32 v18, v18, v19
	s_nop 1
	v_mov_b32_dpp v19, v18 row_bcast:31 row_mask:0xf bank_mask:0xf
	v_cndmask_b32_e64 v19, 0, v19, s[2:3]
	v_add_u32_e32 v18, v18, v19
	s_and_saveexec_b64 s[0:1], s[4:5]
	s_cbranch_execz .LBB1207_356
; %bb.355:
	v_lshlrev_b32_e32 v19, 2, v38
	ds_write_b32 v19, v18
.LBB1207_356:
	s_or_b64 exec, exec, s[0:1]
	v_cmp_gt_u32_e32 vcc, 8, v0
	s_waitcnt lgkmcnt(0)
	s_barrier
	s_and_saveexec_b64 s[0:1], vcc
	s_cbranch_execz .LBB1207_358
; %bb.357:
	v_lshlrev_b32_e32 v19, 2, v0
	ds_read_b32 v21, v19
	v_and_b32_e32 v22, 7, v37
	v_cmp_ne_u32_e32 vcc, 0, v22
	s_waitcnt lgkmcnt(0)
	v_mov_b32_dpp v23, v21 row_shr:1 row_mask:0xf bank_mask:0xf
	v_cndmask_b32_e32 v23, 0, v23, vcc
	v_add_u32_e32 v21, v23, v21
	v_cmp_lt_u32_e32 vcc, 1, v22
	s_nop 0
	v_mov_b32_dpp v23, v21 row_shr:2 row_mask:0xf bank_mask:0xf
	v_cndmask_b32_e32 v23, 0, v23, vcc
	v_add_u32_e32 v21, v21, v23
	v_cmp_lt_u32_e32 vcc, 3, v22
	s_nop 0
	v_mov_b32_dpp v23, v21 row_shr:4 row_mask:0xf bank_mask:0xf
	v_cndmask_b32_e32 v22, 0, v23, vcc
	v_add_u32_e32 v21, v21, v22
	ds_write_b32 v19, v21
.LBB1207_358:
	s_or_b64 exec, exec, s[0:1]
	v_cmp_lt_u32_e32 vcc, 63, v0
	v_mov_b32_e32 v19, 0
	v_mov_b32_e32 v21, 0
	s_waitcnt lgkmcnt(0)
	s_barrier
	s_and_saveexec_b64 s[0:1], vcc
	s_cbranch_execz .LBB1207_360
; %bb.359:
	v_lshl_add_u32 v21, v38, 2, -4
	ds_read_b32 v21, v21
.LBB1207_360:
	s_or_b64 exec, exec, s[0:1]
	v_add_u32_e32 v22, -1, v37
	v_and_b32_e32 v23, 64, v37
	v_cmp_lt_i32_e32 vcc, v22, v23
	s_waitcnt lgkmcnt(0)
	v_add_u32_e32 v18, v21, v18
	v_cndmask_b32_e32 v22, v22, v37, vcc
	v_lshlrev_b32_e32 v22, 2, v22
	ds_bpermute_b32 v22, v22, v18
	ds_read_b32 v18, v19 offset:28
	s_and_saveexec_b64 s[0:1], s[18:19]
	s_cbranch_execz .LBB1207_362
; %bb.361:
	v_mov_b32_e32 v23, 0
	v_mov_b32_e32 v19, 2
	s_waitcnt lgkmcnt(0)
	global_store_dwordx2 v23, v[18:19], s[30:31] offset:512 sc1
.LBB1207_362:
	s_or_b64 exec, exec, s[0:1]
	v_cmp_eq_u32_e32 vcc, 0, v37
	v_mov_b32_e32 v19, 0
	s_waitcnt lgkmcnt(0)
	v_cndmask_b32_e32 v21, v22, v21, vcc
	v_cndmask_b32_e64 v34, v21, 0, s[18:19]
	v_add_u32_e32 v32, v34, v1
	v_add_u32_e32 v30, v32, v29
	;; [unrolled: 1-line block ×6, first 2 shown]
	s_barrier
.LBB1207_363:
	s_movk_i32 s0, 0x201
	s_waitcnt lgkmcnt(0)
	v_cmp_gt_u32_e32 vcc, s0, v18
	v_lshrrev_b32_e32 v21, 8, v16
	v_lshrrev_b32_e32 v1, 8, v17
	s_mov_b64 s[0:1], -1
	s_cbranch_vccnz .LBB1207_367
; %bb.364:
	s_and_b64 vcc, exec, s[0:1]
	s_cbranch_vccnz .LBB1207_389
.LBB1207_365:
	s_and_b64 s[0:1], s[18:19], s[24:25]
	s_and_saveexec_b64 s[2:3], s[0:1]
	s_cbranch_execnz .LBB1207_407
.LBB1207_366:
	s_endpgm
.LBB1207_367:
	v_add_u32_e32 v23, v19, v18
	v_cmp_lt_u32_e32 vcc, v34, v23
	s_or_b64 s[2:3], s[36:37], vcc
	s_and_saveexec_b64 s[0:1], s[2:3]
	s_cbranch_execz .LBB1207_370
; %bb.368:
	v_and_b32_e32 v25, 1, v16
	v_cmp_eq_u32_e32 vcc, 1, v25
	s_and_b64 exec, exec, vcc
	s_cbranch_execz .LBB1207_370
; %bb.369:
	s_lshl_b64 s[2:3], s[22:23], 3
	s_add_u32 s2, s34, s2
	s_addc_u32 s3, s35, s3
	v_mov_b32_e32 v35, 0
	v_lshl_add_u64 v[36:37], v[34:35], 3, s[2:3]
	global_store_dwordx2 v[36:37], v[10:11], off
.LBB1207_370:
	s_or_b64 exec, exec, s[0:1]
	v_cmp_lt_u32_e32 vcc, v32, v23
	s_or_b64 s[2:3], s[36:37], vcc
	s_and_saveexec_b64 s[0:1], s[2:3]
	s_cbranch_execz .LBB1207_373
; %bb.371:
	v_and_b32_e32 v25, 1, v21
	v_cmp_eq_u32_e32 vcc, 1, v25
	s_and_b64 exec, exec, vcc
	s_cbranch_execz .LBB1207_373
; %bb.372:
	s_lshl_b64 s[2:3], s[22:23], 3
	s_add_u32 s2, s34, s2
	s_addc_u32 s3, s35, s3
	v_mov_b32_e32 v33, 0
	v_lshl_add_u64 v[36:37], v[32:33], 3, s[2:3]
	global_store_dwordx2 v[36:37], v[12:13], off
.LBB1207_373:
	s_or_b64 exec, exec, s[0:1]
	v_cmp_lt_u32_e32 vcc, v30, v23
	s_or_b64 s[2:3], s[36:37], vcc
	s_and_saveexec_b64 s[0:1], s[2:3]
	s_cbranch_execz .LBB1207_376
; %bb.374:
	v_mov_b32_e32 v25, 1
	v_and_b32_sdwa v25, v25, v16 dst_sel:DWORD dst_unused:UNUSED_PAD src0_sel:DWORD src1_sel:WORD_1
	v_cmp_eq_u32_e32 vcc, 1, v25
	s_and_b64 exec, exec, vcc
	s_cbranch_execz .LBB1207_376
; %bb.375:
	s_lshl_b64 s[2:3], s[22:23], 3
	s_add_u32 s2, s34, s2
	s_addc_u32 s3, s35, s3
	v_mov_b32_e32 v31, 0
	v_lshl_add_u64 v[36:37], v[30:31], 3, s[2:3]
	global_store_dwordx2 v[36:37], v[6:7], off
.LBB1207_376:
	s_or_b64 exec, exec, s[0:1]
	v_cmp_lt_u32_e32 vcc, v28, v23
	s_or_b64 s[2:3], s[36:37], vcc
	s_and_saveexec_b64 s[0:1], s[2:3]
	s_cbranch_execz .LBB1207_379
; %bb.377:
	v_and_b32_e32 v25, 1, v20
	v_cmp_eq_u32_e32 vcc, 1, v25
	s_and_b64 exec, exec, vcc
	s_cbranch_execz .LBB1207_379
; %bb.378:
	s_lshl_b64 s[2:3], s[22:23], 3
	s_add_u32 s2, s34, s2
	s_addc_u32 s3, s35, s3
	v_mov_b32_e32 v29, 0
	v_lshl_add_u64 v[36:37], v[28:29], 3, s[2:3]
	global_store_dwordx2 v[36:37], v[8:9], off
.LBB1207_379:
	s_or_b64 exec, exec, s[0:1]
	v_cmp_lt_u32_e32 vcc, v26, v23
	s_or_b64 s[2:3], s[36:37], vcc
	s_and_saveexec_b64 s[0:1], s[2:3]
	s_cbranch_execz .LBB1207_382
; %bb.380:
	v_and_b32_e32 v25, 1, v17
	v_cmp_eq_u32_e32 vcc, 1, v25
	s_and_b64 exec, exec, vcc
	s_cbranch_execz .LBB1207_382
; %bb.381:
	s_lshl_b64 s[2:3], s[22:23], 3
	s_add_u32 s2, s34, s2
	s_addc_u32 s3, s35, s3
	v_mov_b32_e32 v27, 0
	v_lshl_add_u64 v[36:37], v[26:27], 3, s[2:3]
	global_store_dwordx2 v[36:37], v[2:3], off
.LBB1207_382:
	s_or_b64 exec, exec, s[0:1]
	v_cmp_lt_u32_e32 vcc, v24, v23
	s_or_b64 s[2:3], s[36:37], vcc
	s_and_saveexec_b64 s[0:1], s[2:3]
	s_cbranch_execz .LBB1207_385
; %bb.383:
	v_and_b32_e32 v25, 1, v1
	v_cmp_eq_u32_e32 vcc, 1, v25
	s_and_b64 exec, exec, vcc
	s_cbranch_execz .LBB1207_385
; %bb.384:
	s_lshl_b64 s[2:3], s[22:23], 3
	s_add_u32 s2, s34, s2
	s_addc_u32 s3, s35, s3
	v_mov_b32_e32 v25, 0
	v_lshl_add_u64 v[36:37], v[24:25], 3, s[2:3]
	global_store_dwordx2 v[36:37], v[4:5], off
.LBB1207_385:
	s_or_b64 exec, exec, s[0:1]
	v_cmp_lt_u32_e32 vcc, v22, v23
	s_or_b64 s[2:3], s[36:37], vcc
	s_and_saveexec_b64 s[0:1], s[2:3]
	s_cbranch_execz .LBB1207_388
; %bb.386:
	v_mov_b32_e32 v23, 1
	v_and_b32_sdwa v23, v23, v17 dst_sel:DWORD dst_unused:UNUSED_PAD src0_sel:DWORD src1_sel:WORD_1
	v_cmp_eq_u32_e32 vcc, 1, v23
	s_and_b64 exec, exec, vcc
	s_cbranch_execz .LBB1207_388
; %bb.387:
	s_lshl_b64 s[2:3], s[22:23], 3
	s_add_u32 s2, s34, s2
	s_addc_u32 s3, s35, s3
	v_mov_b32_e32 v23, 0
	v_lshl_add_u64 v[36:37], v[22:23], 3, s[2:3]
	global_store_dwordx2 v[36:37], v[14:15], off
.LBB1207_388:
	s_or_b64 exec, exec, s[0:1]
	s_branch .LBB1207_365
.LBB1207_389:
	v_and_b32_e32 v23, 1, v16
	v_cmp_eq_u32_e32 vcc, 1, v23
	s_and_saveexec_b64 s[0:1], vcc
	s_cbranch_execz .LBB1207_391
; %bb.390:
	v_sub_u32_e32 v23, v34, v19
	v_lshlrev_b32_e32 v23, 3, v23
	ds_write_b64 v23, v[10:11]
.LBB1207_391:
	s_or_b64 exec, exec, s[0:1]
	v_and_b32_e32 v10, 1, v21
	v_cmp_eq_u32_e32 vcc, 1, v10
	s_and_saveexec_b64 s[0:1], vcc
	s_cbranch_execz .LBB1207_393
; %bb.392:
	v_sub_u32_e32 v10, v32, v19
	v_lshlrev_b32_e32 v10, 3, v10
	ds_write_b64 v10, v[12:13]
.LBB1207_393:
	s_or_b64 exec, exec, s[0:1]
	v_mov_b32_e32 v10, 1
	v_and_b32_sdwa v10, v10, v16 dst_sel:DWORD dst_unused:UNUSED_PAD src0_sel:DWORD src1_sel:WORD_1
	v_cmp_eq_u32_e32 vcc, 1, v10
	s_and_saveexec_b64 s[0:1], vcc
	s_cbranch_execz .LBB1207_395
; %bb.394:
	v_sub_u32_e32 v10, v30, v19
	v_lshlrev_b32_e32 v10, 3, v10
	ds_write_b64 v10, v[6:7]
.LBB1207_395:
	s_or_b64 exec, exec, s[0:1]
	v_and_b32_e32 v6, 1, v20
	v_cmp_eq_u32_e32 vcc, 1, v6
	s_and_saveexec_b64 s[0:1], vcc
	s_cbranch_execz .LBB1207_397
; %bb.396:
	v_sub_u32_e32 v6, v28, v19
	v_lshlrev_b32_e32 v6, 3, v6
	ds_write_b64 v6, v[8:9]
.LBB1207_397:
	s_or_b64 exec, exec, s[0:1]
	v_and_b32_e32 v6, 1, v17
	v_cmp_eq_u32_e32 vcc, 1, v6
	s_and_saveexec_b64 s[0:1], vcc
	s_cbranch_execz .LBB1207_399
; %bb.398:
	v_sub_u32_e32 v6, v26, v19
	v_lshlrev_b32_e32 v6, 3, v6
	ds_write_b64 v6, v[2:3]
.LBB1207_399:
	s_or_b64 exec, exec, s[0:1]
	v_and_b32_e32 v1, 1, v1
	v_cmp_eq_u32_e32 vcc, 1, v1
	s_and_saveexec_b64 s[0:1], vcc
	s_cbranch_execz .LBB1207_401
; %bb.400:
	v_sub_u32_e32 v1, v24, v19
	v_lshlrev_b32_e32 v1, 3, v1
	ds_write_b64 v1, v[4:5]
.LBB1207_401:
	s_or_b64 exec, exec, s[0:1]
	v_mov_b32_e32 v1, 1
	v_and_b32_sdwa v1, v1, v17 dst_sel:DWORD dst_unused:UNUSED_PAD src0_sel:DWORD src1_sel:WORD_1
	v_cmp_eq_u32_e32 vcc, 1, v1
	s_and_saveexec_b64 s[0:1], vcc
	s_cbranch_execz .LBB1207_403
; %bb.402:
	v_sub_u32_e32 v1, v22, v19
	v_lshlrev_b32_e32 v1, 3, v1
	ds_write_b64 v1, v[14:15]
.LBB1207_403:
	s_or_b64 exec, exec, s[0:1]
	v_cmp_lt_u32_e32 vcc, v0, v18
	s_waitcnt lgkmcnt(0)
	s_barrier
	s_and_saveexec_b64 s[0:1], vcc
	s_cbranch_execz .LBB1207_406
; %bb.404:
	v_mov_b32_e32 v5, 0
	v_mov_b32_e32 v4, v19
	s_lshl_b64 s[2:3], s[22:23], 3
	v_lshlrev_b64 v[6:7], 3, v[4:5]
	v_lshl_add_u64 v[6:7], s[2:3], 0, v[6:7]
	v_lshlrev_b32_e32 v2, 3, v0
	v_mov_b32_e32 v3, v5
	v_lshl_add_u64 v[4:5], s[34:35], 0, v[6:7]
	v_lshl_add_u64 v[4:5], v[4:5], 0, v[2:3]
	s_mov_b64 s[2:3], 0
	s_mov_b64 s[4:5], 0x1000
.LBB1207_405:                           ; =>This Inner Loop Header: Depth=1
	ds_read_b64 v[6:7], v2
	v_add_u32_e32 v0, 0x200, v0
	v_cmp_ge_u32_e32 vcc, v0, v18
	v_add_u32_e32 v2, 0x1000, v2
	s_or_b64 s[2:3], vcc, s[2:3]
	s_waitcnt lgkmcnt(0)
	global_store_dwordx2 v[4:5], v[6:7], off
	v_lshl_add_u64 v[4:5], v[4:5], 0, s[4:5]
	s_andn2_b64 exec, exec, s[2:3]
	s_cbranch_execnz .LBB1207_405
.LBB1207_406:
	s_or_b64 exec, exec, s[0:1]
	s_and_b64 s[0:1], s[18:19], s[24:25]
	s_and_saveexec_b64 s[2:3], s[0:1]
	s_cbranch_execz .LBB1207_366
.LBB1207_407:
	v_mov_b32_e32 v1, 0
	v_mov_b32_e32 v0, v18
	v_lshl_add_u64 v[2:3], s[22:23], 0, v[0:1]
	v_mov_b32_e32 v0, v19
	v_lshl_add_u64 v[2:3], v[2:3], 0, v[0:1]
	global_store_dwordx2 v1, v[2:3], s[20:21]
	s_endpgm
	.section	.rodata,"a",@progbits
	.p2align	6, 0x0
	.amdhsa_kernel _ZN7rocprim17ROCPRIM_400000_NS6detail17trampoline_kernelINS0_14default_configENS1_25partition_config_selectorILNS1_17partition_subalgoE8ElNS0_10empty_typeEbEEZZNS1_14partition_implILS5_8ELb0ES3_jPlPS6_PKS6_NS0_5tupleIJS9_S6_EEENSD_IJSA_SA_EEENS0_18inequality_wrapperIZN2at6native12_GLOBAL__N_124unique_dim_cuda_templateIN3c108BFloat16EEESt5tupleIJNSH_6TensorESO_SO_EERKSO_lbbbEUlllE0_EEPmJS6_EEE10hipError_tPvRmT3_T4_T5_T6_T7_T9_mT8_P12ihipStream_tbDpT10_ENKUlT_T0_E_clISt17integral_constantIbLb0EES1D_IbLb1EEEEDaS19_S1A_EUlS19_E_NS1_11comp_targetILNS1_3genE5ELNS1_11target_archE942ELNS1_3gpuE9ELNS1_3repE0EEENS1_30default_config_static_selectorELNS0_4arch9wavefront6targetE1EEEvT1_
		.amdhsa_group_segment_fixed_size 28684
		.amdhsa_private_segment_fixed_size 0
		.amdhsa_kernarg_size 136
		.amdhsa_user_sgpr_count 2
		.amdhsa_user_sgpr_dispatch_ptr 0
		.amdhsa_user_sgpr_queue_ptr 0
		.amdhsa_user_sgpr_kernarg_segment_ptr 1
		.amdhsa_user_sgpr_dispatch_id 0
		.amdhsa_user_sgpr_kernarg_preload_length 0
		.amdhsa_user_sgpr_kernarg_preload_offset 0
		.amdhsa_user_sgpr_private_segment_size 0
		.amdhsa_uses_dynamic_stack 0
		.amdhsa_enable_private_segment 0
		.amdhsa_system_sgpr_workgroup_id_x 1
		.amdhsa_system_sgpr_workgroup_id_y 0
		.amdhsa_system_sgpr_workgroup_id_z 0
		.amdhsa_system_sgpr_workgroup_info 0
		.amdhsa_system_vgpr_workitem_id 0
		.amdhsa_next_free_vgpr 52
		.amdhsa_next_free_sgpr 56
		.amdhsa_accum_offset 52
		.amdhsa_reserve_vcc 1
		.amdhsa_float_round_mode_32 0
		.amdhsa_float_round_mode_16_64 0
		.amdhsa_float_denorm_mode_32 3
		.amdhsa_float_denorm_mode_16_64 3
		.amdhsa_dx10_clamp 1
		.amdhsa_ieee_mode 1
		.amdhsa_fp16_overflow 0
		.amdhsa_tg_split 0
		.amdhsa_exception_fp_ieee_invalid_op 0
		.amdhsa_exception_fp_denorm_src 0
		.amdhsa_exception_fp_ieee_div_zero 0
		.amdhsa_exception_fp_ieee_overflow 0
		.amdhsa_exception_fp_ieee_underflow 0
		.amdhsa_exception_fp_ieee_inexact 0
		.amdhsa_exception_int_div_zero 0
	.end_amdhsa_kernel
	.section	.text._ZN7rocprim17ROCPRIM_400000_NS6detail17trampoline_kernelINS0_14default_configENS1_25partition_config_selectorILNS1_17partition_subalgoE8ElNS0_10empty_typeEbEEZZNS1_14partition_implILS5_8ELb0ES3_jPlPS6_PKS6_NS0_5tupleIJS9_S6_EEENSD_IJSA_SA_EEENS0_18inequality_wrapperIZN2at6native12_GLOBAL__N_124unique_dim_cuda_templateIN3c108BFloat16EEESt5tupleIJNSH_6TensorESO_SO_EERKSO_lbbbEUlllE0_EEPmJS6_EEE10hipError_tPvRmT3_T4_T5_T6_T7_T9_mT8_P12ihipStream_tbDpT10_ENKUlT_T0_E_clISt17integral_constantIbLb0EES1D_IbLb1EEEEDaS19_S1A_EUlS19_E_NS1_11comp_targetILNS1_3genE5ELNS1_11target_archE942ELNS1_3gpuE9ELNS1_3repE0EEENS1_30default_config_static_selectorELNS0_4arch9wavefront6targetE1EEEvT1_,"axG",@progbits,_ZN7rocprim17ROCPRIM_400000_NS6detail17trampoline_kernelINS0_14default_configENS1_25partition_config_selectorILNS1_17partition_subalgoE8ElNS0_10empty_typeEbEEZZNS1_14partition_implILS5_8ELb0ES3_jPlPS6_PKS6_NS0_5tupleIJS9_S6_EEENSD_IJSA_SA_EEENS0_18inequality_wrapperIZN2at6native12_GLOBAL__N_124unique_dim_cuda_templateIN3c108BFloat16EEESt5tupleIJNSH_6TensorESO_SO_EERKSO_lbbbEUlllE0_EEPmJS6_EEE10hipError_tPvRmT3_T4_T5_T6_T7_T9_mT8_P12ihipStream_tbDpT10_ENKUlT_T0_E_clISt17integral_constantIbLb0EES1D_IbLb1EEEEDaS19_S1A_EUlS19_E_NS1_11comp_targetILNS1_3genE5ELNS1_11target_archE942ELNS1_3gpuE9ELNS1_3repE0EEENS1_30default_config_static_selectorELNS0_4arch9wavefront6targetE1EEEvT1_,comdat
.Lfunc_end1207:
	.size	_ZN7rocprim17ROCPRIM_400000_NS6detail17trampoline_kernelINS0_14default_configENS1_25partition_config_selectorILNS1_17partition_subalgoE8ElNS0_10empty_typeEbEEZZNS1_14partition_implILS5_8ELb0ES3_jPlPS6_PKS6_NS0_5tupleIJS9_S6_EEENSD_IJSA_SA_EEENS0_18inequality_wrapperIZN2at6native12_GLOBAL__N_124unique_dim_cuda_templateIN3c108BFloat16EEESt5tupleIJNSH_6TensorESO_SO_EERKSO_lbbbEUlllE0_EEPmJS6_EEE10hipError_tPvRmT3_T4_T5_T6_T7_T9_mT8_P12ihipStream_tbDpT10_ENKUlT_T0_E_clISt17integral_constantIbLb0EES1D_IbLb1EEEEDaS19_S1A_EUlS19_E_NS1_11comp_targetILNS1_3genE5ELNS1_11target_archE942ELNS1_3gpuE9ELNS1_3repE0EEENS1_30default_config_static_selectorELNS0_4arch9wavefront6targetE1EEEvT1_, .Lfunc_end1207-_ZN7rocprim17ROCPRIM_400000_NS6detail17trampoline_kernelINS0_14default_configENS1_25partition_config_selectorILNS1_17partition_subalgoE8ElNS0_10empty_typeEbEEZZNS1_14partition_implILS5_8ELb0ES3_jPlPS6_PKS6_NS0_5tupleIJS9_S6_EEENSD_IJSA_SA_EEENS0_18inequality_wrapperIZN2at6native12_GLOBAL__N_124unique_dim_cuda_templateIN3c108BFloat16EEESt5tupleIJNSH_6TensorESO_SO_EERKSO_lbbbEUlllE0_EEPmJS6_EEE10hipError_tPvRmT3_T4_T5_T6_T7_T9_mT8_P12ihipStream_tbDpT10_ENKUlT_T0_E_clISt17integral_constantIbLb0EES1D_IbLb1EEEEDaS19_S1A_EUlS19_E_NS1_11comp_targetILNS1_3genE5ELNS1_11target_archE942ELNS1_3gpuE9ELNS1_3repE0EEENS1_30default_config_static_selectorELNS0_4arch9wavefront6targetE1EEEvT1_
                                        ; -- End function
	.section	.AMDGPU.csdata,"",@progbits
; Kernel info:
; codeLenInByte = 13716
; NumSgprs: 62
; NumVgprs: 52
; NumAgprs: 0
; TotalNumVgprs: 52
; ScratchSize: 0
; MemoryBound: 0
; FloatMode: 240
; IeeeMode: 1
; LDSByteSize: 28684 bytes/workgroup (compile time only)
; SGPRBlocks: 7
; VGPRBlocks: 6
; NumSGPRsForWavesPerEU: 62
; NumVGPRsForWavesPerEU: 52
; AccumOffset: 52
; Occupancy: 4
; WaveLimiterHint : 1
; COMPUTE_PGM_RSRC2:SCRATCH_EN: 0
; COMPUTE_PGM_RSRC2:USER_SGPR: 2
; COMPUTE_PGM_RSRC2:TRAP_HANDLER: 0
; COMPUTE_PGM_RSRC2:TGID_X_EN: 1
; COMPUTE_PGM_RSRC2:TGID_Y_EN: 0
; COMPUTE_PGM_RSRC2:TGID_Z_EN: 0
; COMPUTE_PGM_RSRC2:TIDIG_COMP_CNT: 0
; COMPUTE_PGM_RSRC3_GFX90A:ACCUM_OFFSET: 12
; COMPUTE_PGM_RSRC3_GFX90A:TG_SPLIT: 0
	.section	.text._ZN7rocprim17ROCPRIM_400000_NS6detail17trampoline_kernelINS0_14default_configENS1_25partition_config_selectorILNS1_17partition_subalgoE8ElNS0_10empty_typeEbEEZZNS1_14partition_implILS5_8ELb0ES3_jPlPS6_PKS6_NS0_5tupleIJS9_S6_EEENSD_IJSA_SA_EEENS0_18inequality_wrapperIZN2at6native12_GLOBAL__N_124unique_dim_cuda_templateIN3c108BFloat16EEESt5tupleIJNSH_6TensorESO_SO_EERKSO_lbbbEUlllE0_EEPmJS6_EEE10hipError_tPvRmT3_T4_T5_T6_T7_T9_mT8_P12ihipStream_tbDpT10_ENKUlT_T0_E_clISt17integral_constantIbLb0EES1D_IbLb1EEEEDaS19_S1A_EUlS19_E_NS1_11comp_targetILNS1_3genE4ELNS1_11target_archE910ELNS1_3gpuE8ELNS1_3repE0EEENS1_30default_config_static_selectorELNS0_4arch9wavefront6targetE1EEEvT1_,"axG",@progbits,_ZN7rocprim17ROCPRIM_400000_NS6detail17trampoline_kernelINS0_14default_configENS1_25partition_config_selectorILNS1_17partition_subalgoE8ElNS0_10empty_typeEbEEZZNS1_14partition_implILS5_8ELb0ES3_jPlPS6_PKS6_NS0_5tupleIJS9_S6_EEENSD_IJSA_SA_EEENS0_18inequality_wrapperIZN2at6native12_GLOBAL__N_124unique_dim_cuda_templateIN3c108BFloat16EEESt5tupleIJNSH_6TensorESO_SO_EERKSO_lbbbEUlllE0_EEPmJS6_EEE10hipError_tPvRmT3_T4_T5_T6_T7_T9_mT8_P12ihipStream_tbDpT10_ENKUlT_T0_E_clISt17integral_constantIbLb0EES1D_IbLb1EEEEDaS19_S1A_EUlS19_E_NS1_11comp_targetILNS1_3genE4ELNS1_11target_archE910ELNS1_3gpuE8ELNS1_3repE0EEENS1_30default_config_static_selectorELNS0_4arch9wavefront6targetE1EEEvT1_,comdat
	.globl	_ZN7rocprim17ROCPRIM_400000_NS6detail17trampoline_kernelINS0_14default_configENS1_25partition_config_selectorILNS1_17partition_subalgoE8ElNS0_10empty_typeEbEEZZNS1_14partition_implILS5_8ELb0ES3_jPlPS6_PKS6_NS0_5tupleIJS9_S6_EEENSD_IJSA_SA_EEENS0_18inequality_wrapperIZN2at6native12_GLOBAL__N_124unique_dim_cuda_templateIN3c108BFloat16EEESt5tupleIJNSH_6TensorESO_SO_EERKSO_lbbbEUlllE0_EEPmJS6_EEE10hipError_tPvRmT3_T4_T5_T6_T7_T9_mT8_P12ihipStream_tbDpT10_ENKUlT_T0_E_clISt17integral_constantIbLb0EES1D_IbLb1EEEEDaS19_S1A_EUlS19_E_NS1_11comp_targetILNS1_3genE4ELNS1_11target_archE910ELNS1_3gpuE8ELNS1_3repE0EEENS1_30default_config_static_selectorELNS0_4arch9wavefront6targetE1EEEvT1_ ; -- Begin function _ZN7rocprim17ROCPRIM_400000_NS6detail17trampoline_kernelINS0_14default_configENS1_25partition_config_selectorILNS1_17partition_subalgoE8ElNS0_10empty_typeEbEEZZNS1_14partition_implILS5_8ELb0ES3_jPlPS6_PKS6_NS0_5tupleIJS9_S6_EEENSD_IJSA_SA_EEENS0_18inequality_wrapperIZN2at6native12_GLOBAL__N_124unique_dim_cuda_templateIN3c108BFloat16EEESt5tupleIJNSH_6TensorESO_SO_EERKSO_lbbbEUlllE0_EEPmJS6_EEE10hipError_tPvRmT3_T4_T5_T6_T7_T9_mT8_P12ihipStream_tbDpT10_ENKUlT_T0_E_clISt17integral_constantIbLb0EES1D_IbLb1EEEEDaS19_S1A_EUlS19_E_NS1_11comp_targetILNS1_3genE4ELNS1_11target_archE910ELNS1_3gpuE8ELNS1_3repE0EEENS1_30default_config_static_selectorELNS0_4arch9wavefront6targetE1EEEvT1_
	.p2align	8
	.type	_ZN7rocprim17ROCPRIM_400000_NS6detail17trampoline_kernelINS0_14default_configENS1_25partition_config_selectorILNS1_17partition_subalgoE8ElNS0_10empty_typeEbEEZZNS1_14partition_implILS5_8ELb0ES3_jPlPS6_PKS6_NS0_5tupleIJS9_S6_EEENSD_IJSA_SA_EEENS0_18inequality_wrapperIZN2at6native12_GLOBAL__N_124unique_dim_cuda_templateIN3c108BFloat16EEESt5tupleIJNSH_6TensorESO_SO_EERKSO_lbbbEUlllE0_EEPmJS6_EEE10hipError_tPvRmT3_T4_T5_T6_T7_T9_mT8_P12ihipStream_tbDpT10_ENKUlT_T0_E_clISt17integral_constantIbLb0EES1D_IbLb1EEEEDaS19_S1A_EUlS19_E_NS1_11comp_targetILNS1_3genE4ELNS1_11target_archE910ELNS1_3gpuE8ELNS1_3repE0EEENS1_30default_config_static_selectorELNS0_4arch9wavefront6targetE1EEEvT1_,@function
_ZN7rocprim17ROCPRIM_400000_NS6detail17trampoline_kernelINS0_14default_configENS1_25partition_config_selectorILNS1_17partition_subalgoE8ElNS0_10empty_typeEbEEZZNS1_14partition_implILS5_8ELb0ES3_jPlPS6_PKS6_NS0_5tupleIJS9_S6_EEENSD_IJSA_SA_EEENS0_18inequality_wrapperIZN2at6native12_GLOBAL__N_124unique_dim_cuda_templateIN3c108BFloat16EEESt5tupleIJNSH_6TensorESO_SO_EERKSO_lbbbEUlllE0_EEPmJS6_EEE10hipError_tPvRmT3_T4_T5_T6_T7_T9_mT8_P12ihipStream_tbDpT10_ENKUlT_T0_E_clISt17integral_constantIbLb0EES1D_IbLb1EEEEDaS19_S1A_EUlS19_E_NS1_11comp_targetILNS1_3genE4ELNS1_11target_archE910ELNS1_3gpuE8ELNS1_3repE0EEENS1_30default_config_static_selectorELNS0_4arch9wavefront6targetE1EEEvT1_: ; @_ZN7rocprim17ROCPRIM_400000_NS6detail17trampoline_kernelINS0_14default_configENS1_25partition_config_selectorILNS1_17partition_subalgoE8ElNS0_10empty_typeEbEEZZNS1_14partition_implILS5_8ELb0ES3_jPlPS6_PKS6_NS0_5tupleIJS9_S6_EEENSD_IJSA_SA_EEENS0_18inequality_wrapperIZN2at6native12_GLOBAL__N_124unique_dim_cuda_templateIN3c108BFloat16EEESt5tupleIJNSH_6TensorESO_SO_EERKSO_lbbbEUlllE0_EEPmJS6_EEE10hipError_tPvRmT3_T4_T5_T6_T7_T9_mT8_P12ihipStream_tbDpT10_ENKUlT_T0_E_clISt17integral_constantIbLb0EES1D_IbLb1EEEEDaS19_S1A_EUlS19_E_NS1_11comp_targetILNS1_3genE4ELNS1_11target_archE910ELNS1_3gpuE8ELNS1_3repE0EEENS1_30default_config_static_selectorELNS0_4arch9wavefront6targetE1EEEvT1_
; %bb.0:
	.section	.rodata,"a",@progbits
	.p2align	6, 0x0
	.amdhsa_kernel _ZN7rocprim17ROCPRIM_400000_NS6detail17trampoline_kernelINS0_14default_configENS1_25partition_config_selectorILNS1_17partition_subalgoE8ElNS0_10empty_typeEbEEZZNS1_14partition_implILS5_8ELb0ES3_jPlPS6_PKS6_NS0_5tupleIJS9_S6_EEENSD_IJSA_SA_EEENS0_18inequality_wrapperIZN2at6native12_GLOBAL__N_124unique_dim_cuda_templateIN3c108BFloat16EEESt5tupleIJNSH_6TensorESO_SO_EERKSO_lbbbEUlllE0_EEPmJS6_EEE10hipError_tPvRmT3_T4_T5_T6_T7_T9_mT8_P12ihipStream_tbDpT10_ENKUlT_T0_E_clISt17integral_constantIbLb0EES1D_IbLb1EEEEDaS19_S1A_EUlS19_E_NS1_11comp_targetILNS1_3genE4ELNS1_11target_archE910ELNS1_3gpuE8ELNS1_3repE0EEENS1_30default_config_static_selectorELNS0_4arch9wavefront6targetE1EEEvT1_
		.amdhsa_group_segment_fixed_size 0
		.amdhsa_private_segment_fixed_size 0
		.amdhsa_kernarg_size 136
		.amdhsa_user_sgpr_count 2
		.amdhsa_user_sgpr_dispatch_ptr 0
		.amdhsa_user_sgpr_queue_ptr 0
		.amdhsa_user_sgpr_kernarg_segment_ptr 1
		.amdhsa_user_sgpr_dispatch_id 0
		.amdhsa_user_sgpr_kernarg_preload_length 0
		.amdhsa_user_sgpr_kernarg_preload_offset 0
		.amdhsa_user_sgpr_private_segment_size 0
		.amdhsa_uses_dynamic_stack 0
		.amdhsa_enable_private_segment 0
		.amdhsa_system_sgpr_workgroup_id_x 1
		.amdhsa_system_sgpr_workgroup_id_y 0
		.amdhsa_system_sgpr_workgroup_id_z 0
		.amdhsa_system_sgpr_workgroup_info 0
		.amdhsa_system_vgpr_workitem_id 0
		.amdhsa_next_free_vgpr 1
		.amdhsa_next_free_sgpr 0
		.amdhsa_accum_offset 4
		.amdhsa_reserve_vcc 0
		.amdhsa_float_round_mode_32 0
		.amdhsa_float_round_mode_16_64 0
		.amdhsa_float_denorm_mode_32 3
		.amdhsa_float_denorm_mode_16_64 3
		.amdhsa_dx10_clamp 1
		.amdhsa_ieee_mode 1
		.amdhsa_fp16_overflow 0
		.amdhsa_tg_split 0
		.amdhsa_exception_fp_ieee_invalid_op 0
		.amdhsa_exception_fp_denorm_src 0
		.amdhsa_exception_fp_ieee_div_zero 0
		.amdhsa_exception_fp_ieee_overflow 0
		.amdhsa_exception_fp_ieee_underflow 0
		.amdhsa_exception_fp_ieee_inexact 0
		.amdhsa_exception_int_div_zero 0
	.end_amdhsa_kernel
	.section	.text._ZN7rocprim17ROCPRIM_400000_NS6detail17trampoline_kernelINS0_14default_configENS1_25partition_config_selectorILNS1_17partition_subalgoE8ElNS0_10empty_typeEbEEZZNS1_14partition_implILS5_8ELb0ES3_jPlPS6_PKS6_NS0_5tupleIJS9_S6_EEENSD_IJSA_SA_EEENS0_18inequality_wrapperIZN2at6native12_GLOBAL__N_124unique_dim_cuda_templateIN3c108BFloat16EEESt5tupleIJNSH_6TensorESO_SO_EERKSO_lbbbEUlllE0_EEPmJS6_EEE10hipError_tPvRmT3_T4_T5_T6_T7_T9_mT8_P12ihipStream_tbDpT10_ENKUlT_T0_E_clISt17integral_constantIbLb0EES1D_IbLb1EEEEDaS19_S1A_EUlS19_E_NS1_11comp_targetILNS1_3genE4ELNS1_11target_archE910ELNS1_3gpuE8ELNS1_3repE0EEENS1_30default_config_static_selectorELNS0_4arch9wavefront6targetE1EEEvT1_,"axG",@progbits,_ZN7rocprim17ROCPRIM_400000_NS6detail17trampoline_kernelINS0_14default_configENS1_25partition_config_selectorILNS1_17partition_subalgoE8ElNS0_10empty_typeEbEEZZNS1_14partition_implILS5_8ELb0ES3_jPlPS6_PKS6_NS0_5tupleIJS9_S6_EEENSD_IJSA_SA_EEENS0_18inequality_wrapperIZN2at6native12_GLOBAL__N_124unique_dim_cuda_templateIN3c108BFloat16EEESt5tupleIJNSH_6TensorESO_SO_EERKSO_lbbbEUlllE0_EEPmJS6_EEE10hipError_tPvRmT3_T4_T5_T6_T7_T9_mT8_P12ihipStream_tbDpT10_ENKUlT_T0_E_clISt17integral_constantIbLb0EES1D_IbLb1EEEEDaS19_S1A_EUlS19_E_NS1_11comp_targetILNS1_3genE4ELNS1_11target_archE910ELNS1_3gpuE8ELNS1_3repE0EEENS1_30default_config_static_selectorELNS0_4arch9wavefront6targetE1EEEvT1_,comdat
.Lfunc_end1208:
	.size	_ZN7rocprim17ROCPRIM_400000_NS6detail17trampoline_kernelINS0_14default_configENS1_25partition_config_selectorILNS1_17partition_subalgoE8ElNS0_10empty_typeEbEEZZNS1_14partition_implILS5_8ELb0ES3_jPlPS6_PKS6_NS0_5tupleIJS9_S6_EEENSD_IJSA_SA_EEENS0_18inequality_wrapperIZN2at6native12_GLOBAL__N_124unique_dim_cuda_templateIN3c108BFloat16EEESt5tupleIJNSH_6TensorESO_SO_EERKSO_lbbbEUlllE0_EEPmJS6_EEE10hipError_tPvRmT3_T4_T5_T6_T7_T9_mT8_P12ihipStream_tbDpT10_ENKUlT_T0_E_clISt17integral_constantIbLb0EES1D_IbLb1EEEEDaS19_S1A_EUlS19_E_NS1_11comp_targetILNS1_3genE4ELNS1_11target_archE910ELNS1_3gpuE8ELNS1_3repE0EEENS1_30default_config_static_selectorELNS0_4arch9wavefront6targetE1EEEvT1_, .Lfunc_end1208-_ZN7rocprim17ROCPRIM_400000_NS6detail17trampoline_kernelINS0_14default_configENS1_25partition_config_selectorILNS1_17partition_subalgoE8ElNS0_10empty_typeEbEEZZNS1_14partition_implILS5_8ELb0ES3_jPlPS6_PKS6_NS0_5tupleIJS9_S6_EEENSD_IJSA_SA_EEENS0_18inequality_wrapperIZN2at6native12_GLOBAL__N_124unique_dim_cuda_templateIN3c108BFloat16EEESt5tupleIJNSH_6TensorESO_SO_EERKSO_lbbbEUlllE0_EEPmJS6_EEE10hipError_tPvRmT3_T4_T5_T6_T7_T9_mT8_P12ihipStream_tbDpT10_ENKUlT_T0_E_clISt17integral_constantIbLb0EES1D_IbLb1EEEEDaS19_S1A_EUlS19_E_NS1_11comp_targetILNS1_3genE4ELNS1_11target_archE910ELNS1_3gpuE8ELNS1_3repE0EEENS1_30default_config_static_selectorELNS0_4arch9wavefront6targetE1EEEvT1_
                                        ; -- End function
	.section	.AMDGPU.csdata,"",@progbits
; Kernel info:
; codeLenInByte = 0
; NumSgprs: 6
; NumVgprs: 0
; NumAgprs: 0
; TotalNumVgprs: 0
; ScratchSize: 0
; MemoryBound: 0
; FloatMode: 240
; IeeeMode: 1
; LDSByteSize: 0 bytes/workgroup (compile time only)
; SGPRBlocks: 0
; VGPRBlocks: 0
; NumSGPRsForWavesPerEU: 6
; NumVGPRsForWavesPerEU: 1
; AccumOffset: 4
; Occupancy: 8
; WaveLimiterHint : 0
; COMPUTE_PGM_RSRC2:SCRATCH_EN: 0
; COMPUTE_PGM_RSRC2:USER_SGPR: 2
; COMPUTE_PGM_RSRC2:TRAP_HANDLER: 0
; COMPUTE_PGM_RSRC2:TGID_X_EN: 1
; COMPUTE_PGM_RSRC2:TGID_Y_EN: 0
; COMPUTE_PGM_RSRC2:TGID_Z_EN: 0
; COMPUTE_PGM_RSRC2:TIDIG_COMP_CNT: 0
; COMPUTE_PGM_RSRC3_GFX90A:ACCUM_OFFSET: 0
; COMPUTE_PGM_RSRC3_GFX90A:TG_SPLIT: 0
	.section	.text._ZN7rocprim17ROCPRIM_400000_NS6detail17trampoline_kernelINS0_14default_configENS1_25partition_config_selectorILNS1_17partition_subalgoE8ElNS0_10empty_typeEbEEZZNS1_14partition_implILS5_8ELb0ES3_jPlPS6_PKS6_NS0_5tupleIJS9_S6_EEENSD_IJSA_SA_EEENS0_18inequality_wrapperIZN2at6native12_GLOBAL__N_124unique_dim_cuda_templateIN3c108BFloat16EEESt5tupleIJNSH_6TensorESO_SO_EERKSO_lbbbEUlllE0_EEPmJS6_EEE10hipError_tPvRmT3_T4_T5_T6_T7_T9_mT8_P12ihipStream_tbDpT10_ENKUlT_T0_E_clISt17integral_constantIbLb0EES1D_IbLb1EEEEDaS19_S1A_EUlS19_E_NS1_11comp_targetILNS1_3genE3ELNS1_11target_archE908ELNS1_3gpuE7ELNS1_3repE0EEENS1_30default_config_static_selectorELNS0_4arch9wavefront6targetE1EEEvT1_,"axG",@progbits,_ZN7rocprim17ROCPRIM_400000_NS6detail17trampoline_kernelINS0_14default_configENS1_25partition_config_selectorILNS1_17partition_subalgoE8ElNS0_10empty_typeEbEEZZNS1_14partition_implILS5_8ELb0ES3_jPlPS6_PKS6_NS0_5tupleIJS9_S6_EEENSD_IJSA_SA_EEENS0_18inequality_wrapperIZN2at6native12_GLOBAL__N_124unique_dim_cuda_templateIN3c108BFloat16EEESt5tupleIJNSH_6TensorESO_SO_EERKSO_lbbbEUlllE0_EEPmJS6_EEE10hipError_tPvRmT3_T4_T5_T6_T7_T9_mT8_P12ihipStream_tbDpT10_ENKUlT_T0_E_clISt17integral_constantIbLb0EES1D_IbLb1EEEEDaS19_S1A_EUlS19_E_NS1_11comp_targetILNS1_3genE3ELNS1_11target_archE908ELNS1_3gpuE7ELNS1_3repE0EEENS1_30default_config_static_selectorELNS0_4arch9wavefront6targetE1EEEvT1_,comdat
	.globl	_ZN7rocprim17ROCPRIM_400000_NS6detail17trampoline_kernelINS0_14default_configENS1_25partition_config_selectorILNS1_17partition_subalgoE8ElNS0_10empty_typeEbEEZZNS1_14partition_implILS5_8ELb0ES3_jPlPS6_PKS6_NS0_5tupleIJS9_S6_EEENSD_IJSA_SA_EEENS0_18inequality_wrapperIZN2at6native12_GLOBAL__N_124unique_dim_cuda_templateIN3c108BFloat16EEESt5tupleIJNSH_6TensorESO_SO_EERKSO_lbbbEUlllE0_EEPmJS6_EEE10hipError_tPvRmT3_T4_T5_T6_T7_T9_mT8_P12ihipStream_tbDpT10_ENKUlT_T0_E_clISt17integral_constantIbLb0EES1D_IbLb1EEEEDaS19_S1A_EUlS19_E_NS1_11comp_targetILNS1_3genE3ELNS1_11target_archE908ELNS1_3gpuE7ELNS1_3repE0EEENS1_30default_config_static_selectorELNS0_4arch9wavefront6targetE1EEEvT1_ ; -- Begin function _ZN7rocprim17ROCPRIM_400000_NS6detail17trampoline_kernelINS0_14default_configENS1_25partition_config_selectorILNS1_17partition_subalgoE8ElNS0_10empty_typeEbEEZZNS1_14partition_implILS5_8ELb0ES3_jPlPS6_PKS6_NS0_5tupleIJS9_S6_EEENSD_IJSA_SA_EEENS0_18inequality_wrapperIZN2at6native12_GLOBAL__N_124unique_dim_cuda_templateIN3c108BFloat16EEESt5tupleIJNSH_6TensorESO_SO_EERKSO_lbbbEUlllE0_EEPmJS6_EEE10hipError_tPvRmT3_T4_T5_T6_T7_T9_mT8_P12ihipStream_tbDpT10_ENKUlT_T0_E_clISt17integral_constantIbLb0EES1D_IbLb1EEEEDaS19_S1A_EUlS19_E_NS1_11comp_targetILNS1_3genE3ELNS1_11target_archE908ELNS1_3gpuE7ELNS1_3repE0EEENS1_30default_config_static_selectorELNS0_4arch9wavefront6targetE1EEEvT1_
	.p2align	8
	.type	_ZN7rocprim17ROCPRIM_400000_NS6detail17trampoline_kernelINS0_14default_configENS1_25partition_config_selectorILNS1_17partition_subalgoE8ElNS0_10empty_typeEbEEZZNS1_14partition_implILS5_8ELb0ES3_jPlPS6_PKS6_NS0_5tupleIJS9_S6_EEENSD_IJSA_SA_EEENS0_18inequality_wrapperIZN2at6native12_GLOBAL__N_124unique_dim_cuda_templateIN3c108BFloat16EEESt5tupleIJNSH_6TensorESO_SO_EERKSO_lbbbEUlllE0_EEPmJS6_EEE10hipError_tPvRmT3_T4_T5_T6_T7_T9_mT8_P12ihipStream_tbDpT10_ENKUlT_T0_E_clISt17integral_constantIbLb0EES1D_IbLb1EEEEDaS19_S1A_EUlS19_E_NS1_11comp_targetILNS1_3genE3ELNS1_11target_archE908ELNS1_3gpuE7ELNS1_3repE0EEENS1_30default_config_static_selectorELNS0_4arch9wavefront6targetE1EEEvT1_,@function
_ZN7rocprim17ROCPRIM_400000_NS6detail17trampoline_kernelINS0_14default_configENS1_25partition_config_selectorILNS1_17partition_subalgoE8ElNS0_10empty_typeEbEEZZNS1_14partition_implILS5_8ELb0ES3_jPlPS6_PKS6_NS0_5tupleIJS9_S6_EEENSD_IJSA_SA_EEENS0_18inequality_wrapperIZN2at6native12_GLOBAL__N_124unique_dim_cuda_templateIN3c108BFloat16EEESt5tupleIJNSH_6TensorESO_SO_EERKSO_lbbbEUlllE0_EEPmJS6_EEE10hipError_tPvRmT3_T4_T5_T6_T7_T9_mT8_P12ihipStream_tbDpT10_ENKUlT_T0_E_clISt17integral_constantIbLb0EES1D_IbLb1EEEEDaS19_S1A_EUlS19_E_NS1_11comp_targetILNS1_3genE3ELNS1_11target_archE908ELNS1_3gpuE7ELNS1_3repE0EEENS1_30default_config_static_selectorELNS0_4arch9wavefront6targetE1EEEvT1_: ; @_ZN7rocprim17ROCPRIM_400000_NS6detail17trampoline_kernelINS0_14default_configENS1_25partition_config_selectorILNS1_17partition_subalgoE8ElNS0_10empty_typeEbEEZZNS1_14partition_implILS5_8ELb0ES3_jPlPS6_PKS6_NS0_5tupleIJS9_S6_EEENSD_IJSA_SA_EEENS0_18inequality_wrapperIZN2at6native12_GLOBAL__N_124unique_dim_cuda_templateIN3c108BFloat16EEESt5tupleIJNSH_6TensorESO_SO_EERKSO_lbbbEUlllE0_EEPmJS6_EEE10hipError_tPvRmT3_T4_T5_T6_T7_T9_mT8_P12ihipStream_tbDpT10_ENKUlT_T0_E_clISt17integral_constantIbLb0EES1D_IbLb1EEEEDaS19_S1A_EUlS19_E_NS1_11comp_targetILNS1_3genE3ELNS1_11target_archE908ELNS1_3gpuE7ELNS1_3repE0EEENS1_30default_config_static_selectorELNS0_4arch9wavefront6targetE1EEEvT1_
; %bb.0:
	.section	.rodata,"a",@progbits
	.p2align	6, 0x0
	.amdhsa_kernel _ZN7rocprim17ROCPRIM_400000_NS6detail17trampoline_kernelINS0_14default_configENS1_25partition_config_selectorILNS1_17partition_subalgoE8ElNS0_10empty_typeEbEEZZNS1_14partition_implILS5_8ELb0ES3_jPlPS6_PKS6_NS0_5tupleIJS9_S6_EEENSD_IJSA_SA_EEENS0_18inequality_wrapperIZN2at6native12_GLOBAL__N_124unique_dim_cuda_templateIN3c108BFloat16EEESt5tupleIJNSH_6TensorESO_SO_EERKSO_lbbbEUlllE0_EEPmJS6_EEE10hipError_tPvRmT3_T4_T5_T6_T7_T9_mT8_P12ihipStream_tbDpT10_ENKUlT_T0_E_clISt17integral_constantIbLb0EES1D_IbLb1EEEEDaS19_S1A_EUlS19_E_NS1_11comp_targetILNS1_3genE3ELNS1_11target_archE908ELNS1_3gpuE7ELNS1_3repE0EEENS1_30default_config_static_selectorELNS0_4arch9wavefront6targetE1EEEvT1_
		.amdhsa_group_segment_fixed_size 0
		.amdhsa_private_segment_fixed_size 0
		.amdhsa_kernarg_size 136
		.amdhsa_user_sgpr_count 2
		.amdhsa_user_sgpr_dispatch_ptr 0
		.amdhsa_user_sgpr_queue_ptr 0
		.amdhsa_user_sgpr_kernarg_segment_ptr 1
		.amdhsa_user_sgpr_dispatch_id 0
		.amdhsa_user_sgpr_kernarg_preload_length 0
		.amdhsa_user_sgpr_kernarg_preload_offset 0
		.amdhsa_user_sgpr_private_segment_size 0
		.amdhsa_uses_dynamic_stack 0
		.amdhsa_enable_private_segment 0
		.amdhsa_system_sgpr_workgroup_id_x 1
		.amdhsa_system_sgpr_workgroup_id_y 0
		.amdhsa_system_sgpr_workgroup_id_z 0
		.amdhsa_system_sgpr_workgroup_info 0
		.amdhsa_system_vgpr_workitem_id 0
		.amdhsa_next_free_vgpr 1
		.amdhsa_next_free_sgpr 0
		.amdhsa_accum_offset 4
		.amdhsa_reserve_vcc 0
		.amdhsa_float_round_mode_32 0
		.amdhsa_float_round_mode_16_64 0
		.amdhsa_float_denorm_mode_32 3
		.amdhsa_float_denorm_mode_16_64 3
		.amdhsa_dx10_clamp 1
		.amdhsa_ieee_mode 1
		.amdhsa_fp16_overflow 0
		.amdhsa_tg_split 0
		.amdhsa_exception_fp_ieee_invalid_op 0
		.amdhsa_exception_fp_denorm_src 0
		.amdhsa_exception_fp_ieee_div_zero 0
		.amdhsa_exception_fp_ieee_overflow 0
		.amdhsa_exception_fp_ieee_underflow 0
		.amdhsa_exception_fp_ieee_inexact 0
		.amdhsa_exception_int_div_zero 0
	.end_amdhsa_kernel
	.section	.text._ZN7rocprim17ROCPRIM_400000_NS6detail17trampoline_kernelINS0_14default_configENS1_25partition_config_selectorILNS1_17partition_subalgoE8ElNS0_10empty_typeEbEEZZNS1_14partition_implILS5_8ELb0ES3_jPlPS6_PKS6_NS0_5tupleIJS9_S6_EEENSD_IJSA_SA_EEENS0_18inequality_wrapperIZN2at6native12_GLOBAL__N_124unique_dim_cuda_templateIN3c108BFloat16EEESt5tupleIJNSH_6TensorESO_SO_EERKSO_lbbbEUlllE0_EEPmJS6_EEE10hipError_tPvRmT3_T4_T5_T6_T7_T9_mT8_P12ihipStream_tbDpT10_ENKUlT_T0_E_clISt17integral_constantIbLb0EES1D_IbLb1EEEEDaS19_S1A_EUlS19_E_NS1_11comp_targetILNS1_3genE3ELNS1_11target_archE908ELNS1_3gpuE7ELNS1_3repE0EEENS1_30default_config_static_selectorELNS0_4arch9wavefront6targetE1EEEvT1_,"axG",@progbits,_ZN7rocprim17ROCPRIM_400000_NS6detail17trampoline_kernelINS0_14default_configENS1_25partition_config_selectorILNS1_17partition_subalgoE8ElNS0_10empty_typeEbEEZZNS1_14partition_implILS5_8ELb0ES3_jPlPS6_PKS6_NS0_5tupleIJS9_S6_EEENSD_IJSA_SA_EEENS0_18inequality_wrapperIZN2at6native12_GLOBAL__N_124unique_dim_cuda_templateIN3c108BFloat16EEESt5tupleIJNSH_6TensorESO_SO_EERKSO_lbbbEUlllE0_EEPmJS6_EEE10hipError_tPvRmT3_T4_T5_T6_T7_T9_mT8_P12ihipStream_tbDpT10_ENKUlT_T0_E_clISt17integral_constantIbLb0EES1D_IbLb1EEEEDaS19_S1A_EUlS19_E_NS1_11comp_targetILNS1_3genE3ELNS1_11target_archE908ELNS1_3gpuE7ELNS1_3repE0EEENS1_30default_config_static_selectorELNS0_4arch9wavefront6targetE1EEEvT1_,comdat
.Lfunc_end1209:
	.size	_ZN7rocprim17ROCPRIM_400000_NS6detail17trampoline_kernelINS0_14default_configENS1_25partition_config_selectorILNS1_17partition_subalgoE8ElNS0_10empty_typeEbEEZZNS1_14partition_implILS5_8ELb0ES3_jPlPS6_PKS6_NS0_5tupleIJS9_S6_EEENSD_IJSA_SA_EEENS0_18inequality_wrapperIZN2at6native12_GLOBAL__N_124unique_dim_cuda_templateIN3c108BFloat16EEESt5tupleIJNSH_6TensorESO_SO_EERKSO_lbbbEUlllE0_EEPmJS6_EEE10hipError_tPvRmT3_T4_T5_T6_T7_T9_mT8_P12ihipStream_tbDpT10_ENKUlT_T0_E_clISt17integral_constantIbLb0EES1D_IbLb1EEEEDaS19_S1A_EUlS19_E_NS1_11comp_targetILNS1_3genE3ELNS1_11target_archE908ELNS1_3gpuE7ELNS1_3repE0EEENS1_30default_config_static_selectorELNS0_4arch9wavefront6targetE1EEEvT1_, .Lfunc_end1209-_ZN7rocprim17ROCPRIM_400000_NS6detail17trampoline_kernelINS0_14default_configENS1_25partition_config_selectorILNS1_17partition_subalgoE8ElNS0_10empty_typeEbEEZZNS1_14partition_implILS5_8ELb0ES3_jPlPS6_PKS6_NS0_5tupleIJS9_S6_EEENSD_IJSA_SA_EEENS0_18inequality_wrapperIZN2at6native12_GLOBAL__N_124unique_dim_cuda_templateIN3c108BFloat16EEESt5tupleIJNSH_6TensorESO_SO_EERKSO_lbbbEUlllE0_EEPmJS6_EEE10hipError_tPvRmT3_T4_T5_T6_T7_T9_mT8_P12ihipStream_tbDpT10_ENKUlT_T0_E_clISt17integral_constantIbLb0EES1D_IbLb1EEEEDaS19_S1A_EUlS19_E_NS1_11comp_targetILNS1_3genE3ELNS1_11target_archE908ELNS1_3gpuE7ELNS1_3repE0EEENS1_30default_config_static_selectorELNS0_4arch9wavefront6targetE1EEEvT1_
                                        ; -- End function
	.section	.AMDGPU.csdata,"",@progbits
; Kernel info:
; codeLenInByte = 0
; NumSgprs: 6
; NumVgprs: 0
; NumAgprs: 0
; TotalNumVgprs: 0
; ScratchSize: 0
; MemoryBound: 0
; FloatMode: 240
; IeeeMode: 1
; LDSByteSize: 0 bytes/workgroup (compile time only)
; SGPRBlocks: 0
; VGPRBlocks: 0
; NumSGPRsForWavesPerEU: 6
; NumVGPRsForWavesPerEU: 1
; AccumOffset: 4
; Occupancy: 8
; WaveLimiterHint : 0
; COMPUTE_PGM_RSRC2:SCRATCH_EN: 0
; COMPUTE_PGM_RSRC2:USER_SGPR: 2
; COMPUTE_PGM_RSRC2:TRAP_HANDLER: 0
; COMPUTE_PGM_RSRC2:TGID_X_EN: 1
; COMPUTE_PGM_RSRC2:TGID_Y_EN: 0
; COMPUTE_PGM_RSRC2:TGID_Z_EN: 0
; COMPUTE_PGM_RSRC2:TIDIG_COMP_CNT: 0
; COMPUTE_PGM_RSRC3_GFX90A:ACCUM_OFFSET: 0
; COMPUTE_PGM_RSRC3_GFX90A:TG_SPLIT: 0
	.section	.text._ZN7rocprim17ROCPRIM_400000_NS6detail17trampoline_kernelINS0_14default_configENS1_25partition_config_selectorILNS1_17partition_subalgoE8ElNS0_10empty_typeEbEEZZNS1_14partition_implILS5_8ELb0ES3_jPlPS6_PKS6_NS0_5tupleIJS9_S6_EEENSD_IJSA_SA_EEENS0_18inequality_wrapperIZN2at6native12_GLOBAL__N_124unique_dim_cuda_templateIN3c108BFloat16EEESt5tupleIJNSH_6TensorESO_SO_EERKSO_lbbbEUlllE0_EEPmJS6_EEE10hipError_tPvRmT3_T4_T5_T6_T7_T9_mT8_P12ihipStream_tbDpT10_ENKUlT_T0_E_clISt17integral_constantIbLb0EES1D_IbLb1EEEEDaS19_S1A_EUlS19_E_NS1_11comp_targetILNS1_3genE2ELNS1_11target_archE906ELNS1_3gpuE6ELNS1_3repE0EEENS1_30default_config_static_selectorELNS0_4arch9wavefront6targetE1EEEvT1_,"axG",@progbits,_ZN7rocprim17ROCPRIM_400000_NS6detail17trampoline_kernelINS0_14default_configENS1_25partition_config_selectorILNS1_17partition_subalgoE8ElNS0_10empty_typeEbEEZZNS1_14partition_implILS5_8ELb0ES3_jPlPS6_PKS6_NS0_5tupleIJS9_S6_EEENSD_IJSA_SA_EEENS0_18inequality_wrapperIZN2at6native12_GLOBAL__N_124unique_dim_cuda_templateIN3c108BFloat16EEESt5tupleIJNSH_6TensorESO_SO_EERKSO_lbbbEUlllE0_EEPmJS6_EEE10hipError_tPvRmT3_T4_T5_T6_T7_T9_mT8_P12ihipStream_tbDpT10_ENKUlT_T0_E_clISt17integral_constantIbLb0EES1D_IbLb1EEEEDaS19_S1A_EUlS19_E_NS1_11comp_targetILNS1_3genE2ELNS1_11target_archE906ELNS1_3gpuE6ELNS1_3repE0EEENS1_30default_config_static_selectorELNS0_4arch9wavefront6targetE1EEEvT1_,comdat
	.globl	_ZN7rocprim17ROCPRIM_400000_NS6detail17trampoline_kernelINS0_14default_configENS1_25partition_config_selectorILNS1_17partition_subalgoE8ElNS0_10empty_typeEbEEZZNS1_14partition_implILS5_8ELb0ES3_jPlPS6_PKS6_NS0_5tupleIJS9_S6_EEENSD_IJSA_SA_EEENS0_18inequality_wrapperIZN2at6native12_GLOBAL__N_124unique_dim_cuda_templateIN3c108BFloat16EEESt5tupleIJNSH_6TensorESO_SO_EERKSO_lbbbEUlllE0_EEPmJS6_EEE10hipError_tPvRmT3_T4_T5_T6_T7_T9_mT8_P12ihipStream_tbDpT10_ENKUlT_T0_E_clISt17integral_constantIbLb0EES1D_IbLb1EEEEDaS19_S1A_EUlS19_E_NS1_11comp_targetILNS1_3genE2ELNS1_11target_archE906ELNS1_3gpuE6ELNS1_3repE0EEENS1_30default_config_static_selectorELNS0_4arch9wavefront6targetE1EEEvT1_ ; -- Begin function _ZN7rocprim17ROCPRIM_400000_NS6detail17trampoline_kernelINS0_14default_configENS1_25partition_config_selectorILNS1_17partition_subalgoE8ElNS0_10empty_typeEbEEZZNS1_14partition_implILS5_8ELb0ES3_jPlPS6_PKS6_NS0_5tupleIJS9_S6_EEENSD_IJSA_SA_EEENS0_18inequality_wrapperIZN2at6native12_GLOBAL__N_124unique_dim_cuda_templateIN3c108BFloat16EEESt5tupleIJNSH_6TensorESO_SO_EERKSO_lbbbEUlllE0_EEPmJS6_EEE10hipError_tPvRmT3_T4_T5_T6_T7_T9_mT8_P12ihipStream_tbDpT10_ENKUlT_T0_E_clISt17integral_constantIbLb0EES1D_IbLb1EEEEDaS19_S1A_EUlS19_E_NS1_11comp_targetILNS1_3genE2ELNS1_11target_archE906ELNS1_3gpuE6ELNS1_3repE0EEENS1_30default_config_static_selectorELNS0_4arch9wavefront6targetE1EEEvT1_
	.p2align	8
	.type	_ZN7rocprim17ROCPRIM_400000_NS6detail17trampoline_kernelINS0_14default_configENS1_25partition_config_selectorILNS1_17partition_subalgoE8ElNS0_10empty_typeEbEEZZNS1_14partition_implILS5_8ELb0ES3_jPlPS6_PKS6_NS0_5tupleIJS9_S6_EEENSD_IJSA_SA_EEENS0_18inequality_wrapperIZN2at6native12_GLOBAL__N_124unique_dim_cuda_templateIN3c108BFloat16EEESt5tupleIJNSH_6TensorESO_SO_EERKSO_lbbbEUlllE0_EEPmJS6_EEE10hipError_tPvRmT3_T4_T5_T6_T7_T9_mT8_P12ihipStream_tbDpT10_ENKUlT_T0_E_clISt17integral_constantIbLb0EES1D_IbLb1EEEEDaS19_S1A_EUlS19_E_NS1_11comp_targetILNS1_3genE2ELNS1_11target_archE906ELNS1_3gpuE6ELNS1_3repE0EEENS1_30default_config_static_selectorELNS0_4arch9wavefront6targetE1EEEvT1_,@function
_ZN7rocprim17ROCPRIM_400000_NS6detail17trampoline_kernelINS0_14default_configENS1_25partition_config_selectorILNS1_17partition_subalgoE8ElNS0_10empty_typeEbEEZZNS1_14partition_implILS5_8ELb0ES3_jPlPS6_PKS6_NS0_5tupleIJS9_S6_EEENSD_IJSA_SA_EEENS0_18inequality_wrapperIZN2at6native12_GLOBAL__N_124unique_dim_cuda_templateIN3c108BFloat16EEESt5tupleIJNSH_6TensorESO_SO_EERKSO_lbbbEUlllE0_EEPmJS6_EEE10hipError_tPvRmT3_T4_T5_T6_T7_T9_mT8_P12ihipStream_tbDpT10_ENKUlT_T0_E_clISt17integral_constantIbLb0EES1D_IbLb1EEEEDaS19_S1A_EUlS19_E_NS1_11comp_targetILNS1_3genE2ELNS1_11target_archE906ELNS1_3gpuE6ELNS1_3repE0EEENS1_30default_config_static_selectorELNS0_4arch9wavefront6targetE1EEEvT1_: ; @_ZN7rocprim17ROCPRIM_400000_NS6detail17trampoline_kernelINS0_14default_configENS1_25partition_config_selectorILNS1_17partition_subalgoE8ElNS0_10empty_typeEbEEZZNS1_14partition_implILS5_8ELb0ES3_jPlPS6_PKS6_NS0_5tupleIJS9_S6_EEENSD_IJSA_SA_EEENS0_18inequality_wrapperIZN2at6native12_GLOBAL__N_124unique_dim_cuda_templateIN3c108BFloat16EEESt5tupleIJNSH_6TensorESO_SO_EERKSO_lbbbEUlllE0_EEPmJS6_EEE10hipError_tPvRmT3_T4_T5_T6_T7_T9_mT8_P12ihipStream_tbDpT10_ENKUlT_T0_E_clISt17integral_constantIbLb0EES1D_IbLb1EEEEDaS19_S1A_EUlS19_E_NS1_11comp_targetILNS1_3genE2ELNS1_11target_archE906ELNS1_3gpuE6ELNS1_3repE0EEENS1_30default_config_static_selectorELNS0_4arch9wavefront6targetE1EEEvT1_
; %bb.0:
	.section	.rodata,"a",@progbits
	.p2align	6, 0x0
	.amdhsa_kernel _ZN7rocprim17ROCPRIM_400000_NS6detail17trampoline_kernelINS0_14default_configENS1_25partition_config_selectorILNS1_17partition_subalgoE8ElNS0_10empty_typeEbEEZZNS1_14partition_implILS5_8ELb0ES3_jPlPS6_PKS6_NS0_5tupleIJS9_S6_EEENSD_IJSA_SA_EEENS0_18inequality_wrapperIZN2at6native12_GLOBAL__N_124unique_dim_cuda_templateIN3c108BFloat16EEESt5tupleIJNSH_6TensorESO_SO_EERKSO_lbbbEUlllE0_EEPmJS6_EEE10hipError_tPvRmT3_T4_T5_T6_T7_T9_mT8_P12ihipStream_tbDpT10_ENKUlT_T0_E_clISt17integral_constantIbLb0EES1D_IbLb1EEEEDaS19_S1A_EUlS19_E_NS1_11comp_targetILNS1_3genE2ELNS1_11target_archE906ELNS1_3gpuE6ELNS1_3repE0EEENS1_30default_config_static_selectorELNS0_4arch9wavefront6targetE1EEEvT1_
		.amdhsa_group_segment_fixed_size 0
		.amdhsa_private_segment_fixed_size 0
		.amdhsa_kernarg_size 136
		.amdhsa_user_sgpr_count 2
		.amdhsa_user_sgpr_dispatch_ptr 0
		.amdhsa_user_sgpr_queue_ptr 0
		.amdhsa_user_sgpr_kernarg_segment_ptr 1
		.amdhsa_user_sgpr_dispatch_id 0
		.amdhsa_user_sgpr_kernarg_preload_length 0
		.amdhsa_user_sgpr_kernarg_preload_offset 0
		.amdhsa_user_sgpr_private_segment_size 0
		.amdhsa_uses_dynamic_stack 0
		.amdhsa_enable_private_segment 0
		.amdhsa_system_sgpr_workgroup_id_x 1
		.amdhsa_system_sgpr_workgroup_id_y 0
		.amdhsa_system_sgpr_workgroup_id_z 0
		.amdhsa_system_sgpr_workgroup_info 0
		.amdhsa_system_vgpr_workitem_id 0
		.amdhsa_next_free_vgpr 1
		.amdhsa_next_free_sgpr 0
		.amdhsa_accum_offset 4
		.amdhsa_reserve_vcc 0
		.amdhsa_float_round_mode_32 0
		.amdhsa_float_round_mode_16_64 0
		.amdhsa_float_denorm_mode_32 3
		.amdhsa_float_denorm_mode_16_64 3
		.amdhsa_dx10_clamp 1
		.amdhsa_ieee_mode 1
		.amdhsa_fp16_overflow 0
		.amdhsa_tg_split 0
		.amdhsa_exception_fp_ieee_invalid_op 0
		.amdhsa_exception_fp_denorm_src 0
		.amdhsa_exception_fp_ieee_div_zero 0
		.amdhsa_exception_fp_ieee_overflow 0
		.amdhsa_exception_fp_ieee_underflow 0
		.amdhsa_exception_fp_ieee_inexact 0
		.amdhsa_exception_int_div_zero 0
	.end_amdhsa_kernel
	.section	.text._ZN7rocprim17ROCPRIM_400000_NS6detail17trampoline_kernelINS0_14default_configENS1_25partition_config_selectorILNS1_17partition_subalgoE8ElNS0_10empty_typeEbEEZZNS1_14partition_implILS5_8ELb0ES3_jPlPS6_PKS6_NS0_5tupleIJS9_S6_EEENSD_IJSA_SA_EEENS0_18inequality_wrapperIZN2at6native12_GLOBAL__N_124unique_dim_cuda_templateIN3c108BFloat16EEESt5tupleIJNSH_6TensorESO_SO_EERKSO_lbbbEUlllE0_EEPmJS6_EEE10hipError_tPvRmT3_T4_T5_T6_T7_T9_mT8_P12ihipStream_tbDpT10_ENKUlT_T0_E_clISt17integral_constantIbLb0EES1D_IbLb1EEEEDaS19_S1A_EUlS19_E_NS1_11comp_targetILNS1_3genE2ELNS1_11target_archE906ELNS1_3gpuE6ELNS1_3repE0EEENS1_30default_config_static_selectorELNS0_4arch9wavefront6targetE1EEEvT1_,"axG",@progbits,_ZN7rocprim17ROCPRIM_400000_NS6detail17trampoline_kernelINS0_14default_configENS1_25partition_config_selectorILNS1_17partition_subalgoE8ElNS0_10empty_typeEbEEZZNS1_14partition_implILS5_8ELb0ES3_jPlPS6_PKS6_NS0_5tupleIJS9_S6_EEENSD_IJSA_SA_EEENS0_18inequality_wrapperIZN2at6native12_GLOBAL__N_124unique_dim_cuda_templateIN3c108BFloat16EEESt5tupleIJNSH_6TensorESO_SO_EERKSO_lbbbEUlllE0_EEPmJS6_EEE10hipError_tPvRmT3_T4_T5_T6_T7_T9_mT8_P12ihipStream_tbDpT10_ENKUlT_T0_E_clISt17integral_constantIbLb0EES1D_IbLb1EEEEDaS19_S1A_EUlS19_E_NS1_11comp_targetILNS1_3genE2ELNS1_11target_archE906ELNS1_3gpuE6ELNS1_3repE0EEENS1_30default_config_static_selectorELNS0_4arch9wavefront6targetE1EEEvT1_,comdat
.Lfunc_end1210:
	.size	_ZN7rocprim17ROCPRIM_400000_NS6detail17trampoline_kernelINS0_14default_configENS1_25partition_config_selectorILNS1_17partition_subalgoE8ElNS0_10empty_typeEbEEZZNS1_14partition_implILS5_8ELb0ES3_jPlPS6_PKS6_NS0_5tupleIJS9_S6_EEENSD_IJSA_SA_EEENS0_18inequality_wrapperIZN2at6native12_GLOBAL__N_124unique_dim_cuda_templateIN3c108BFloat16EEESt5tupleIJNSH_6TensorESO_SO_EERKSO_lbbbEUlllE0_EEPmJS6_EEE10hipError_tPvRmT3_T4_T5_T6_T7_T9_mT8_P12ihipStream_tbDpT10_ENKUlT_T0_E_clISt17integral_constantIbLb0EES1D_IbLb1EEEEDaS19_S1A_EUlS19_E_NS1_11comp_targetILNS1_3genE2ELNS1_11target_archE906ELNS1_3gpuE6ELNS1_3repE0EEENS1_30default_config_static_selectorELNS0_4arch9wavefront6targetE1EEEvT1_, .Lfunc_end1210-_ZN7rocprim17ROCPRIM_400000_NS6detail17trampoline_kernelINS0_14default_configENS1_25partition_config_selectorILNS1_17partition_subalgoE8ElNS0_10empty_typeEbEEZZNS1_14partition_implILS5_8ELb0ES3_jPlPS6_PKS6_NS0_5tupleIJS9_S6_EEENSD_IJSA_SA_EEENS0_18inequality_wrapperIZN2at6native12_GLOBAL__N_124unique_dim_cuda_templateIN3c108BFloat16EEESt5tupleIJNSH_6TensorESO_SO_EERKSO_lbbbEUlllE0_EEPmJS6_EEE10hipError_tPvRmT3_T4_T5_T6_T7_T9_mT8_P12ihipStream_tbDpT10_ENKUlT_T0_E_clISt17integral_constantIbLb0EES1D_IbLb1EEEEDaS19_S1A_EUlS19_E_NS1_11comp_targetILNS1_3genE2ELNS1_11target_archE906ELNS1_3gpuE6ELNS1_3repE0EEENS1_30default_config_static_selectorELNS0_4arch9wavefront6targetE1EEEvT1_
                                        ; -- End function
	.section	.AMDGPU.csdata,"",@progbits
; Kernel info:
; codeLenInByte = 0
; NumSgprs: 6
; NumVgprs: 0
; NumAgprs: 0
; TotalNumVgprs: 0
; ScratchSize: 0
; MemoryBound: 0
; FloatMode: 240
; IeeeMode: 1
; LDSByteSize: 0 bytes/workgroup (compile time only)
; SGPRBlocks: 0
; VGPRBlocks: 0
; NumSGPRsForWavesPerEU: 6
; NumVGPRsForWavesPerEU: 1
; AccumOffset: 4
; Occupancy: 8
; WaveLimiterHint : 0
; COMPUTE_PGM_RSRC2:SCRATCH_EN: 0
; COMPUTE_PGM_RSRC2:USER_SGPR: 2
; COMPUTE_PGM_RSRC2:TRAP_HANDLER: 0
; COMPUTE_PGM_RSRC2:TGID_X_EN: 1
; COMPUTE_PGM_RSRC2:TGID_Y_EN: 0
; COMPUTE_PGM_RSRC2:TGID_Z_EN: 0
; COMPUTE_PGM_RSRC2:TIDIG_COMP_CNT: 0
; COMPUTE_PGM_RSRC3_GFX90A:ACCUM_OFFSET: 0
; COMPUTE_PGM_RSRC3_GFX90A:TG_SPLIT: 0
	.section	.text._ZN7rocprim17ROCPRIM_400000_NS6detail17trampoline_kernelINS0_14default_configENS1_25partition_config_selectorILNS1_17partition_subalgoE8ElNS0_10empty_typeEbEEZZNS1_14partition_implILS5_8ELb0ES3_jPlPS6_PKS6_NS0_5tupleIJS9_S6_EEENSD_IJSA_SA_EEENS0_18inequality_wrapperIZN2at6native12_GLOBAL__N_124unique_dim_cuda_templateIN3c108BFloat16EEESt5tupleIJNSH_6TensorESO_SO_EERKSO_lbbbEUlllE0_EEPmJS6_EEE10hipError_tPvRmT3_T4_T5_T6_T7_T9_mT8_P12ihipStream_tbDpT10_ENKUlT_T0_E_clISt17integral_constantIbLb0EES1D_IbLb1EEEEDaS19_S1A_EUlS19_E_NS1_11comp_targetILNS1_3genE10ELNS1_11target_archE1200ELNS1_3gpuE4ELNS1_3repE0EEENS1_30default_config_static_selectorELNS0_4arch9wavefront6targetE1EEEvT1_,"axG",@progbits,_ZN7rocprim17ROCPRIM_400000_NS6detail17trampoline_kernelINS0_14default_configENS1_25partition_config_selectorILNS1_17partition_subalgoE8ElNS0_10empty_typeEbEEZZNS1_14partition_implILS5_8ELb0ES3_jPlPS6_PKS6_NS0_5tupleIJS9_S6_EEENSD_IJSA_SA_EEENS0_18inequality_wrapperIZN2at6native12_GLOBAL__N_124unique_dim_cuda_templateIN3c108BFloat16EEESt5tupleIJNSH_6TensorESO_SO_EERKSO_lbbbEUlllE0_EEPmJS6_EEE10hipError_tPvRmT3_T4_T5_T6_T7_T9_mT8_P12ihipStream_tbDpT10_ENKUlT_T0_E_clISt17integral_constantIbLb0EES1D_IbLb1EEEEDaS19_S1A_EUlS19_E_NS1_11comp_targetILNS1_3genE10ELNS1_11target_archE1200ELNS1_3gpuE4ELNS1_3repE0EEENS1_30default_config_static_selectorELNS0_4arch9wavefront6targetE1EEEvT1_,comdat
	.globl	_ZN7rocprim17ROCPRIM_400000_NS6detail17trampoline_kernelINS0_14default_configENS1_25partition_config_selectorILNS1_17partition_subalgoE8ElNS0_10empty_typeEbEEZZNS1_14partition_implILS5_8ELb0ES3_jPlPS6_PKS6_NS0_5tupleIJS9_S6_EEENSD_IJSA_SA_EEENS0_18inequality_wrapperIZN2at6native12_GLOBAL__N_124unique_dim_cuda_templateIN3c108BFloat16EEESt5tupleIJNSH_6TensorESO_SO_EERKSO_lbbbEUlllE0_EEPmJS6_EEE10hipError_tPvRmT3_T4_T5_T6_T7_T9_mT8_P12ihipStream_tbDpT10_ENKUlT_T0_E_clISt17integral_constantIbLb0EES1D_IbLb1EEEEDaS19_S1A_EUlS19_E_NS1_11comp_targetILNS1_3genE10ELNS1_11target_archE1200ELNS1_3gpuE4ELNS1_3repE0EEENS1_30default_config_static_selectorELNS0_4arch9wavefront6targetE1EEEvT1_ ; -- Begin function _ZN7rocprim17ROCPRIM_400000_NS6detail17trampoline_kernelINS0_14default_configENS1_25partition_config_selectorILNS1_17partition_subalgoE8ElNS0_10empty_typeEbEEZZNS1_14partition_implILS5_8ELb0ES3_jPlPS6_PKS6_NS0_5tupleIJS9_S6_EEENSD_IJSA_SA_EEENS0_18inequality_wrapperIZN2at6native12_GLOBAL__N_124unique_dim_cuda_templateIN3c108BFloat16EEESt5tupleIJNSH_6TensorESO_SO_EERKSO_lbbbEUlllE0_EEPmJS6_EEE10hipError_tPvRmT3_T4_T5_T6_T7_T9_mT8_P12ihipStream_tbDpT10_ENKUlT_T0_E_clISt17integral_constantIbLb0EES1D_IbLb1EEEEDaS19_S1A_EUlS19_E_NS1_11comp_targetILNS1_3genE10ELNS1_11target_archE1200ELNS1_3gpuE4ELNS1_3repE0EEENS1_30default_config_static_selectorELNS0_4arch9wavefront6targetE1EEEvT1_
	.p2align	8
	.type	_ZN7rocprim17ROCPRIM_400000_NS6detail17trampoline_kernelINS0_14default_configENS1_25partition_config_selectorILNS1_17partition_subalgoE8ElNS0_10empty_typeEbEEZZNS1_14partition_implILS5_8ELb0ES3_jPlPS6_PKS6_NS0_5tupleIJS9_S6_EEENSD_IJSA_SA_EEENS0_18inequality_wrapperIZN2at6native12_GLOBAL__N_124unique_dim_cuda_templateIN3c108BFloat16EEESt5tupleIJNSH_6TensorESO_SO_EERKSO_lbbbEUlllE0_EEPmJS6_EEE10hipError_tPvRmT3_T4_T5_T6_T7_T9_mT8_P12ihipStream_tbDpT10_ENKUlT_T0_E_clISt17integral_constantIbLb0EES1D_IbLb1EEEEDaS19_S1A_EUlS19_E_NS1_11comp_targetILNS1_3genE10ELNS1_11target_archE1200ELNS1_3gpuE4ELNS1_3repE0EEENS1_30default_config_static_selectorELNS0_4arch9wavefront6targetE1EEEvT1_,@function
_ZN7rocprim17ROCPRIM_400000_NS6detail17trampoline_kernelINS0_14default_configENS1_25partition_config_selectorILNS1_17partition_subalgoE8ElNS0_10empty_typeEbEEZZNS1_14partition_implILS5_8ELb0ES3_jPlPS6_PKS6_NS0_5tupleIJS9_S6_EEENSD_IJSA_SA_EEENS0_18inequality_wrapperIZN2at6native12_GLOBAL__N_124unique_dim_cuda_templateIN3c108BFloat16EEESt5tupleIJNSH_6TensorESO_SO_EERKSO_lbbbEUlllE0_EEPmJS6_EEE10hipError_tPvRmT3_T4_T5_T6_T7_T9_mT8_P12ihipStream_tbDpT10_ENKUlT_T0_E_clISt17integral_constantIbLb0EES1D_IbLb1EEEEDaS19_S1A_EUlS19_E_NS1_11comp_targetILNS1_3genE10ELNS1_11target_archE1200ELNS1_3gpuE4ELNS1_3repE0EEENS1_30default_config_static_selectorELNS0_4arch9wavefront6targetE1EEEvT1_: ; @_ZN7rocprim17ROCPRIM_400000_NS6detail17trampoline_kernelINS0_14default_configENS1_25partition_config_selectorILNS1_17partition_subalgoE8ElNS0_10empty_typeEbEEZZNS1_14partition_implILS5_8ELb0ES3_jPlPS6_PKS6_NS0_5tupleIJS9_S6_EEENSD_IJSA_SA_EEENS0_18inequality_wrapperIZN2at6native12_GLOBAL__N_124unique_dim_cuda_templateIN3c108BFloat16EEESt5tupleIJNSH_6TensorESO_SO_EERKSO_lbbbEUlllE0_EEPmJS6_EEE10hipError_tPvRmT3_T4_T5_T6_T7_T9_mT8_P12ihipStream_tbDpT10_ENKUlT_T0_E_clISt17integral_constantIbLb0EES1D_IbLb1EEEEDaS19_S1A_EUlS19_E_NS1_11comp_targetILNS1_3genE10ELNS1_11target_archE1200ELNS1_3gpuE4ELNS1_3repE0EEENS1_30default_config_static_selectorELNS0_4arch9wavefront6targetE1EEEvT1_
; %bb.0:
	.section	.rodata,"a",@progbits
	.p2align	6, 0x0
	.amdhsa_kernel _ZN7rocprim17ROCPRIM_400000_NS6detail17trampoline_kernelINS0_14default_configENS1_25partition_config_selectorILNS1_17partition_subalgoE8ElNS0_10empty_typeEbEEZZNS1_14partition_implILS5_8ELb0ES3_jPlPS6_PKS6_NS0_5tupleIJS9_S6_EEENSD_IJSA_SA_EEENS0_18inequality_wrapperIZN2at6native12_GLOBAL__N_124unique_dim_cuda_templateIN3c108BFloat16EEESt5tupleIJNSH_6TensorESO_SO_EERKSO_lbbbEUlllE0_EEPmJS6_EEE10hipError_tPvRmT3_T4_T5_T6_T7_T9_mT8_P12ihipStream_tbDpT10_ENKUlT_T0_E_clISt17integral_constantIbLb0EES1D_IbLb1EEEEDaS19_S1A_EUlS19_E_NS1_11comp_targetILNS1_3genE10ELNS1_11target_archE1200ELNS1_3gpuE4ELNS1_3repE0EEENS1_30default_config_static_selectorELNS0_4arch9wavefront6targetE1EEEvT1_
		.amdhsa_group_segment_fixed_size 0
		.amdhsa_private_segment_fixed_size 0
		.amdhsa_kernarg_size 136
		.amdhsa_user_sgpr_count 2
		.amdhsa_user_sgpr_dispatch_ptr 0
		.amdhsa_user_sgpr_queue_ptr 0
		.amdhsa_user_sgpr_kernarg_segment_ptr 1
		.amdhsa_user_sgpr_dispatch_id 0
		.amdhsa_user_sgpr_kernarg_preload_length 0
		.amdhsa_user_sgpr_kernarg_preload_offset 0
		.amdhsa_user_sgpr_private_segment_size 0
		.amdhsa_uses_dynamic_stack 0
		.amdhsa_enable_private_segment 0
		.amdhsa_system_sgpr_workgroup_id_x 1
		.amdhsa_system_sgpr_workgroup_id_y 0
		.amdhsa_system_sgpr_workgroup_id_z 0
		.amdhsa_system_sgpr_workgroup_info 0
		.amdhsa_system_vgpr_workitem_id 0
		.amdhsa_next_free_vgpr 1
		.amdhsa_next_free_sgpr 0
		.amdhsa_accum_offset 4
		.amdhsa_reserve_vcc 0
		.amdhsa_float_round_mode_32 0
		.amdhsa_float_round_mode_16_64 0
		.amdhsa_float_denorm_mode_32 3
		.amdhsa_float_denorm_mode_16_64 3
		.amdhsa_dx10_clamp 1
		.amdhsa_ieee_mode 1
		.amdhsa_fp16_overflow 0
		.amdhsa_tg_split 0
		.amdhsa_exception_fp_ieee_invalid_op 0
		.amdhsa_exception_fp_denorm_src 0
		.amdhsa_exception_fp_ieee_div_zero 0
		.amdhsa_exception_fp_ieee_overflow 0
		.amdhsa_exception_fp_ieee_underflow 0
		.amdhsa_exception_fp_ieee_inexact 0
		.amdhsa_exception_int_div_zero 0
	.end_amdhsa_kernel
	.section	.text._ZN7rocprim17ROCPRIM_400000_NS6detail17trampoline_kernelINS0_14default_configENS1_25partition_config_selectorILNS1_17partition_subalgoE8ElNS0_10empty_typeEbEEZZNS1_14partition_implILS5_8ELb0ES3_jPlPS6_PKS6_NS0_5tupleIJS9_S6_EEENSD_IJSA_SA_EEENS0_18inequality_wrapperIZN2at6native12_GLOBAL__N_124unique_dim_cuda_templateIN3c108BFloat16EEESt5tupleIJNSH_6TensorESO_SO_EERKSO_lbbbEUlllE0_EEPmJS6_EEE10hipError_tPvRmT3_T4_T5_T6_T7_T9_mT8_P12ihipStream_tbDpT10_ENKUlT_T0_E_clISt17integral_constantIbLb0EES1D_IbLb1EEEEDaS19_S1A_EUlS19_E_NS1_11comp_targetILNS1_3genE10ELNS1_11target_archE1200ELNS1_3gpuE4ELNS1_3repE0EEENS1_30default_config_static_selectorELNS0_4arch9wavefront6targetE1EEEvT1_,"axG",@progbits,_ZN7rocprim17ROCPRIM_400000_NS6detail17trampoline_kernelINS0_14default_configENS1_25partition_config_selectorILNS1_17partition_subalgoE8ElNS0_10empty_typeEbEEZZNS1_14partition_implILS5_8ELb0ES3_jPlPS6_PKS6_NS0_5tupleIJS9_S6_EEENSD_IJSA_SA_EEENS0_18inequality_wrapperIZN2at6native12_GLOBAL__N_124unique_dim_cuda_templateIN3c108BFloat16EEESt5tupleIJNSH_6TensorESO_SO_EERKSO_lbbbEUlllE0_EEPmJS6_EEE10hipError_tPvRmT3_T4_T5_T6_T7_T9_mT8_P12ihipStream_tbDpT10_ENKUlT_T0_E_clISt17integral_constantIbLb0EES1D_IbLb1EEEEDaS19_S1A_EUlS19_E_NS1_11comp_targetILNS1_3genE10ELNS1_11target_archE1200ELNS1_3gpuE4ELNS1_3repE0EEENS1_30default_config_static_selectorELNS0_4arch9wavefront6targetE1EEEvT1_,comdat
.Lfunc_end1211:
	.size	_ZN7rocprim17ROCPRIM_400000_NS6detail17trampoline_kernelINS0_14default_configENS1_25partition_config_selectorILNS1_17partition_subalgoE8ElNS0_10empty_typeEbEEZZNS1_14partition_implILS5_8ELb0ES3_jPlPS6_PKS6_NS0_5tupleIJS9_S6_EEENSD_IJSA_SA_EEENS0_18inequality_wrapperIZN2at6native12_GLOBAL__N_124unique_dim_cuda_templateIN3c108BFloat16EEESt5tupleIJNSH_6TensorESO_SO_EERKSO_lbbbEUlllE0_EEPmJS6_EEE10hipError_tPvRmT3_T4_T5_T6_T7_T9_mT8_P12ihipStream_tbDpT10_ENKUlT_T0_E_clISt17integral_constantIbLb0EES1D_IbLb1EEEEDaS19_S1A_EUlS19_E_NS1_11comp_targetILNS1_3genE10ELNS1_11target_archE1200ELNS1_3gpuE4ELNS1_3repE0EEENS1_30default_config_static_selectorELNS0_4arch9wavefront6targetE1EEEvT1_, .Lfunc_end1211-_ZN7rocprim17ROCPRIM_400000_NS6detail17trampoline_kernelINS0_14default_configENS1_25partition_config_selectorILNS1_17partition_subalgoE8ElNS0_10empty_typeEbEEZZNS1_14partition_implILS5_8ELb0ES3_jPlPS6_PKS6_NS0_5tupleIJS9_S6_EEENSD_IJSA_SA_EEENS0_18inequality_wrapperIZN2at6native12_GLOBAL__N_124unique_dim_cuda_templateIN3c108BFloat16EEESt5tupleIJNSH_6TensorESO_SO_EERKSO_lbbbEUlllE0_EEPmJS6_EEE10hipError_tPvRmT3_T4_T5_T6_T7_T9_mT8_P12ihipStream_tbDpT10_ENKUlT_T0_E_clISt17integral_constantIbLb0EES1D_IbLb1EEEEDaS19_S1A_EUlS19_E_NS1_11comp_targetILNS1_3genE10ELNS1_11target_archE1200ELNS1_3gpuE4ELNS1_3repE0EEENS1_30default_config_static_selectorELNS0_4arch9wavefront6targetE1EEEvT1_
                                        ; -- End function
	.section	.AMDGPU.csdata,"",@progbits
; Kernel info:
; codeLenInByte = 0
; NumSgprs: 6
; NumVgprs: 0
; NumAgprs: 0
; TotalNumVgprs: 0
; ScratchSize: 0
; MemoryBound: 0
; FloatMode: 240
; IeeeMode: 1
; LDSByteSize: 0 bytes/workgroup (compile time only)
; SGPRBlocks: 0
; VGPRBlocks: 0
; NumSGPRsForWavesPerEU: 6
; NumVGPRsForWavesPerEU: 1
; AccumOffset: 4
; Occupancy: 8
; WaveLimiterHint : 0
; COMPUTE_PGM_RSRC2:SCRATCH_EN: 0
; COMPUTE_PGM_RSRC2:USER_SGPR: 2
; COMPUTE_PGM_RSRC2:TRAP_HANDLER: 0
; COMPUTE_PGM_RSRC2:TGID_X_EN: 1
; COMPUTE_PGM_RSRC2:TGID_Y_EN: 0
; COMPUTE_PGM_RSRC2:TGID_Z_EN: 0
; COMPUTE_PGM_RSRC2:TIDIG_COMP_CNT: 0
; COMPUTE_PGM_RSRC3_GFX90A:ACCUM_OFFSET: 0
; COMPUTE_PGM_RSRC3_GFX90A:TG_SPLIT: 0
	.section	.text._ZN7rocprim17ROCPRIM_400000_NS6detail17trampoline_kernelINS0_14default_configENS1_25partition_config_selectorILNS1_17partition_subalgoE8ElNS0_10empty_typeEbEEZZNS1_14partition_implILS5_8ELb0ES3_jPlPS6_PKS6_NS0_5tupleIJS9_S6_EEENSD_IJSA_SA_EEENS0_18inequality_wrapperIZN2at6native12_GLOBAL__N_124unique_dim_cuda_templateIN3c108BFloat16EEESt5tupleIJNSH_6TensorESO_SO_EERKSO_lbbbEUlllE0_EEPmJS6_EEE10hipError_tPvRmT3_T4_T5_T6_T7_T9_mT8_P12ihipStream_tbDpT10_ENKUlT_T0_E_clISt17integral_constantIbLb0EES1D_IbLb1EEEEDaS19_S1A_EUlS19_E_NS1_11comp_targetILNS1_3genE9ELNS1_11target_archE1100ELNS1_3gpuE3ELNS1_3repE0EEENS1_30default_config_static_selectorELNS0_4arch9wavefront6targetE1EEEvT1_,"axG",@progbits,_ZN7rocprim17ROCPRIM_400000_NS6detail17trampoline_kernelINS0_14default_configENS1_25partition_config_selectorILNS1_17partition_subalgoE8ElNS0_10empty_typeEbEEZZNS1_14partition_implILS5_8ELb0ES3_jPlPS6_PKS6_NS0_5tupleIJS9_S6_EEENSD_IJSA_SA_EEENS0_18inequality_wrapperIZN2at6native12_GLOBAL__N_124unique_dim_cuda_templateIN3c108BFloat16EEESt5tupleIJNSH_6TensorESO_SO_EERKSO_lbbbEUlllE0_EEPmJS6_EEE10hipError_tPvRmT3_T4_T5_T6_T7_T9_mT8_P12ihipStream_tbDpT10_ENKUlT_T0_E_clISt17integral_constantIbLb0EES1D_IbLb1EEEEDaS19_S1A_EUlS19_E_NS1_11comp_targetILNS1_3genE9ELNS1_11target_archE1100ELNS1_3gpuE3ELNS1_3repE0EEENS1_30default_config_static_selectorELNS0_4arch9wavefront6targetE1EEEvT1_,comdat
	.globl	_ZN7rocprim17ROCPRIM_400000_NS6detail17trampoline_kernelINS0_14default_configENS1_25partition_config_selectorILNS1_17partition_subalgoE8ElNS0_10empty_typeEbEEZZNS1_14partition_implILS5_8ELb0ES3_jPlPS6_PKS6_NS0_5tupleIJS9_S6_EEENSD_IJSA_SA_EEENS0_18inequality_wrapperIZN2at6native12_GLOBAL__N_124unique_dim_cuda_templateIN3c108BFloat16EEESt5tupleIJNSH_6TensorESO_SO_EERKSO_lbbbEUlllE0_EEPmJS6_EEE10hipError_tPvRmT3_T4_T5_T6_T7_T9_mT8_P12ihipStream_tbDpT10_ENKUlT_T0_E_clISt17integral_constantIbLb0EES1D_IbLb1EEEEDaS19_S1A_EUlS19_E_NS1_11comp_targetILNS1_3genE9ELNS1_11target_archE1100ELNS1_3gpuE3ELNS1_3repE0EEENS1_30default_config_static_selectorELNS0_4arch9wavefront6targetE1EEEvT1_ ; -- Begin function _ZN7rocprim17ROCPRIM_400000_NS6detail17trampoline_kernelINS0_14default_configENS1_25partition_config_selectorILNS1_17partition_subalgoE8ElNS0_10empty_typeEbEEZZNS1_14partition_implILS5_8ELb0ES3_jPlPS6_PKS6_NS0_5tupleIJS9_S6_EEENSD_IJSA_SA_EEENS0_18inequality_wrapperIZN2at6native12_GLOBAL__N_124unique_dim_cuda_templateIN3c108BFloat16EEESt5tupleIJNSH_6TensorESO_SO_EERKSO_lbbbEUlllE0_EEPmJS6_EEE10hipError_tPvRmT3_T4_T5_T6_T7_T9_mT8_P12ihipStream_tbDpT10_ENKUlT_T0_E_clISt17integral_constantIbLb0EES1D_IbLb1EEEEDaS19_S1A_EUlS19_E_NS1_11comp_targetILNS1_3genE9ELNS1_11target_archE1100ELNS1_3gpuE3ELNS1_3repE0EEENS1_30default_config_static_selectorELNS0_4arch9wavefront6targetE1EEEvT1_
	.p2align	8
	.type	_ZN7rocprim17ROCPRIM_400000_NS6detail17trampoline_kernelINS0_14default_configENS1_25partition_config_selectorILNS1_17partition_subalgoE8ElNS0_10empty_typeEbEEZZNS1_14partition_implILS5_8ELb0ES3_jPlPS6_PKS6_NS0_5tupleIJS9_S6_EEENSD_IJSA_SA_EEENS0_18inequality_wrapperIZN2at6native12_GLOBAL__N_124unique_dim_cuda_templateIN3c108BFloat16EEESt5tupleIJNSH_6TensorESO_SO_EERKSO_lbbbEUlllE0_EEPmJS6_EEE10hipError_tPvRmT3_T4_T5_T6_T7_T9_mT8_P12ihipStream_tbDpT10_ENKUlT_T0_E_clISt17integral_constantIbLb0EES1D_IbLb1EEEEDaS19_S1A_EUlS19_E_NS1_11comp_targetILNS1_3genE9ELNS1_11target_archE1100ELNS1_3gpuE3ELNS1_3repE0EEENS1_30default_config_static_selectorELNS0_4arch9wavefront6targetE1EEEvT1_,@function
_ZN7rocprim17ROCPRIM_400000_NS6detail17trampoline_kernelINS0_14default_configENS1_25partition_config_selectorILNS1_17partition_subalgoE8ElNS0_10empty_typeEbEEZZNS1_14partition_implILS5_8ELb0ES3_jPlPS6_PKS6_NS0_5tupleIJS9_S6_EEENSD_IJSA_SA_EEENS0_18inequality_wrapperIZN2at6native12_GLOBAL__N_124unique_dim_cuda_templateIN3c108BFloat16EEESt5tupleIJNSH_6TensorESO_SO_EERKSO_lbbbEUlllE0_EEPmJS6_EEE10hipError_tPvRmT3_T4_T5_T6_T7_T9_mT8_P12ihipStream_tbDpT10_ENKUlT_T0_E_clISt17integral_constantIbLb0EES1D_IbLb1EEEEDaS19_S1A_EUlS19_E_NS1_11comp_targetILNS1_3genE9ELNS1_11target_archE1100ELNS1_3gpuE3ELNS1_3repE0EEENS1_30default_config_static_selectorELNS0_4arch9wavefront6targetE1EEEvT1_: ; @_ZN7rocprim17ROCPRIM_400000_NS6detail17trampoline_kernelINS0_14default_configENS1_25partition_config_selectorILNS1_17partition_subalgoE8ElNS0_10empty_typeEbEEZZNS1_14partition_implILS5_8ELb0ES3_jPlPS6_PKS6_NS0_5tupleIJS9_S6_EEENSD_IJSA_SA_EEENS0_18inequality_wrapperIZN2at6native12_GLOBAL__N_124unique_dim_cuda_templateIN3c108BFloat16EEESt5tupleIJNSH_6TensorESO_SO_EERKSO_lbbbEUlllE0_EEPmJS6_EEE10hipError_tPvRmT3_T4_T5_T6_T7_T9_mT8_P12ihipStream_tbDpT10_ENKUlT_T0_E_clISt17integral_constantIbLb0EES1D_IbLb1EEEEDaS19_S1A_EUlS19_E_NS1_11comp_targetILNS1_3genE9ELNS1_11target_archE1100ELNS1_3gpuE3ELNS1_3repE0EEENS1_30default_config_static_selectorELNS0_4arch9wavefront6targetE1EEEvT1_
; %bb.0:
	.section	.rodata,"a",@progbits
	.p2align	6, 0x0
	.amdhsa_kernel _ZN7rocprim17ROCPRIM_400000_NS6detail17trampoline_kernelINS0_14default_configENS1_25partition_config_selectorILNS1_17partition_subalgoE8ElNS0_10empty_typeEbEEZZNS1_14partition_implILS5_8ELb0ES3_jPlPS6_PKS6_NS0_5tupleIJS9_S6_EEENSD_IJSA_SA_EEENS0_18inequality_wrapperIZN2at6native12_GLOBAL__N_124unique_dim_cuda_templateIN3c108BFloat16EEESt5tupleIJNSH_6TensorESO_SO_EERKSO_lbbbEUlllE0_EEPmJS6_EEE10hipError_tPvRmT3_T4_T5_T6_T7_T9_mT8_P12ihipStream_tbDpT10_ENKUlT_T0_E_clISt17integral_constantIbLb0EES1D_IbLb1EEEEDaS19_S1A_EUlS19_E_NS1_11comp_targetILNS1_3genE9ELNS1_11target_archE1100ELNS1_3gpuE3ELNS1_3repE0EEENS1_30default_config_static_selectorELNS0_4arch9wavefront6targetE1EEEvT1_
		.amdhsa_group_segment_fixed_size 0
		.amdhsa_private_segment_fixed_size 0
		.amdhsa_kernarg_size 136
		.amdhsa_user_sgpr_count 2
		.amdhsa_user_sgpr_dispatch_ptr 0
		.amdhsa_user_sgpr_queue_ptr 0
		.amdhsa_user_sgpr_kernarg_segment_ptr 1
		.amdhsa_user_sgpr_dispatch_id 0
		.amdhsa_user_sgpr_kernarg_preload_length 0
		.amdhsa_user_sgpr_kernarg_preload_offset 0
		.amdhsa_user_sgpr_private_segment_size 0
		.amdhsa_uses_dynamic_stack 0
		.amdhsa_enable_private_segment 0
		.amdhsa_system_sgpr_workgroup_id_x 1
		.amdhsa_system_sgpr_workgroup_id_y 0
		.amdhsa_system_sgpr_workgroup_id_z 0
		.amdhsa_system_sgpr_workgroup_info 0
		.amdhsa_system_vgpr_workitem_id 0
		.amdhsa_next_free_vgpr 1
		.amdhsa_next_free_sgpr 0
		.amdhsa_accum_offset 4
		.amdhsa_reserve_vcc 0
		.amdhsa_float_round_mode_32 0
		.amdhsa_float_round_mode_16_64 0
		.amdhsa_float_denorm_mode_32 3
		.amdhsa_float_denorm_mode_16_64 3
		.amdhsa_dx10_clamp 1
		.amdhsa_ieee_mode 1
		.amdhsa_fp16_overflow 0
		.amdhsa_tg_split 0
		.amdhsa_exception_fp_ieee_invalid_op 0
		.amdhsa_exception_fp_denorm_src 0
		.amdhsa_exception_fp_ieee_div_zero 0
		.amdhsa_exception_fp_ieee_overflow 0
		.amdhsa_exception_fp_ieee_underflow 0
		.amdhsa_exception_fp_ieee_inexact 0
		.amdhsa_exception_int_div_zero 0
	.end_amdhsa_kernel
	.section	.text._ZN7rocprim17ROCPRIM_400000_NS6detail17trampoline_kernelINS0_14default_configENS1_25partition_config_selectorILNS1_17partition_subalgoE8ElNS0_10empty_typeEbEEZZNS1_14partition_implILS5_8ELb0ES3_jPlPS6_PKS6_NS0_5tupleIJS9_S6_EEENSD_IJSA_SA_EEENS0_18inequality_wrapperIZN2at6native12_GLOBAL__N_124unique_dim_cuda_templateIN3c108BFloat16EEESt5tupleIJNSH_6TensorESO_SO_EERKSO_lbbbEUlllE0_EEPmJS6_EEE10hipError_tPvRmT3_T4_T5_T6_T7_T9_mT8_P12ihipStream_tbDpT10_ENKUlT_T0_E_clISt17integral_constantIbLb0EES1D_IbLb1EEEEDaS19_S1A_EUlS19_E_NS1_11comp_targetILNS1_3genE9ELNS1_11target_archE1100ELNS1_3gpuE3ELNS1_3repE0EEENS1_30default_config_static_selectorELNS0_4arch9wavefront6targetE1EEEvT1_,"axG",@progbits,_ZN7rocprim17ROCPRIM_400000_NS6detail17trampoline_kernelINS0_14default_configENS1_25partition_config_selectorILNS1_17partition_subalgoE8ElNS0_10empty_typeEbEEZZNS1_14partition_implILS5_8ELb0ES3_jPlPS6_PKS6_NS0_5tupleIJS9_S6_EEENSD_IJSA_SA_EEENS0_18inequality_wrapperIZN2at6native12_GLOBAL__N_124unique_dim_cuda_templateIN3c108BFloat16EEESt5tupleIJNSH_6TensorESO_SO_EERKSO_lbbbEUlllE0_EEPmJS6_EEE10hipError_tPvRmT3_T4_T5_T6_T7_T9_mT8_P12ihipStream_tbDpT10_ENKUlT_T0_E_clISt17integral_constantIbLb0EES1D_IbLb1EEEEDaS19_S1A_EUlS19_E_NS1_11comp_targetILNS1_3genE9ELNS1_11target_archE1100ELNS1_3gpuE3ELNS1_3repE0EEENS1_30default_config_static_selectorELNS0_4arch9wavefront6targetE1EEEvT1_,comdat
.Lfunc_end1212:
	.size	_ZN7rocprim17ROCPRIM_400000_NS6detail17trampoline_kernelINS0_14default_configENS1_25partition_config_selectorILNS1_17partition_subalgoE8ElNS0_10empty_typeEbEEZZNS1_14partition_implILS5_8ELb0ES3_jPlPS6_PKS6_NS0_5tupleIJS9_S6_EEENSD_IJSA_SA_EEENS0_18inequality_wrapperIZN2at6native12_GLOBAL__N_124unique_dim_cuda_templateIN3c108BFloat16EEESt5tupleIJNSH_6TensorESO_SO_EERKSO_lbbbEUlllE0_EEPmJS6_EEE10hipError_tPvRmT3_T4_T5_T6_T7_T9_mT8_P12ihipStream_tbDpT10_ENKUlT_T0_E_clISt17integral_constantIbLb0EES1D_IbLb1EEEEDaS19_S1A_EUlS19_E_NS1_11comp_targetILNS1_3genE9ELNS1_11target_archE1100ELNS1_3gpuE3ELNS1_3repE0EEENS1_30default_config_static_selectorELNS0_4arch9wavefront6targetE1EEEvT1_, .Lfunc_end1212-_ZN7rocprim17ROCPRIM_400000_NS6detail17trampoline_kernelINS0_14default_configENS1_25partition_config_selectorILNS1_17partition_subalgoE8ElNS0_10empty_typeEbEEZZNS1_14partition_implILS5_8ELb0ES3_jPlPS6_PKS6_NS0_5tupleIJS9_S6_EEENSD_IJSA_SA_EEENS0_18inequality_wrapperIZN2at6native12_GLOBAL__N_124unique_dim_cuda_templateIN3c108BFloat16EEESt5tupleIJNSH_6TensorESO_SO_EERKSO_lbbbEUlllE0_EEPmJS6_EEE10hipError_tPvRmT3_T4_T5_T6_T7_T9_mT8_P12ihipStream_tbDpT10_ENKUlT_T0_E_clISt17integral_constantIbLb0EES1D_IbLb1EEEEDaS19_S1A_EUlS19_E_NS1_11comp_targetILNS1_3genE9ELNS1_11target_archE1100ELNS1_3gpuE3ELNS1_3repE0EEENS1_30default_config_static_selectorELNS0_4arch9wavefront6targetE1EEEvT1_
                                        ; -- End function
	.section	.AMDGPU.csdata,"",@progbits
; Kernel info:
; codeLenInByte = 0
; NumSgprs: 6
; NumVgprs: 0
; NumAgprs: 0
; TotalNumVgprs: 0
; ScratchSize: 0
; MemoryBound: 0
; FloatMode: 240
; IeeeMode: 1
; LDSByteSize: 0 bytes/workgroup (compile time only)
; SGPRBlocks: 0
; VGPRBlocks: 0
; NumSGPRsForWavesPerEU: 6
; NumVGPRsForWavesPerEU: 1
; AccumOffset: 4
; Occupancy: 8
; WaveLimiterHint : 0
; COMPUTE_PGM_RSRC2:SCRATCH_EN: 0
; COMPUTE_PGM_RSRC2:USER_SGPR: 2
; COMPUTE_PGM_RSRC2:TRAP_HANDLER: 0
; COMPUTE_PGM_RSRC2:TGID_X_EN: 1
; COMPUTE_PGM_RSRC2:TGID_Y_EN: 0
; COMPUTE_PGM_RSRC2:TGID_Z_EN: 0
; COMPUTE_PGM_RSRC2:TIDIG_COMP_CNT: 0
; COMPUTE_PGM_RSRC3_GFX90A:ACCUM_OFFSET: 0
; COMPUTE_PGM_RSRC3_GFX90A:TG_SPLIT: 0
	.section	.text._ZN7rocprim17ROCPRIM_400000_NS6detail17trampoline_kernelINS0_14default_configENS1_25partition_config_selectorILNS1_17partition_subalgoE8ElNS0_10empty_typeEbEEZZNS1_14partition_implILS5_8ELb0ES3_jPlPS6_PKS6_NS0_5tupleIJS9_S6_EEENSD_IJSA_SA_EEENS0_18inequality_wrapperIZN2at6native12_GLOBAL__N_124unique_dim_cuda_templateIN3c108BFloat16EEESt5tupleIJNSH_6TensorESO_SO_EERKSO_lbbbEUlllE0_EEPmJS6_EEE10hipError_tPvRmT3_T4_T5_T6_T7_T9_mT8_P12ihipStream_tbDpT10_ENKUlT_T0_E_clISt17integral_constantIbLb0EES1D_IbLb1EEEEDaS19_S1A_EUlS19_E_NS1_11comp_targetILNS1_3genE8ELNS1_11target_archE1030ELNS1_3gpuE2ELNS1_3repE0EEENS1_30default_config_static_selectorELNS0_4arch9wavefront6targetE1EEEvT1_,"axG",@progbits,_ZN7rocprim17ROCPRIM_400000_NS6detail17trampoline_kernelINS0_14default_configENS1_25partition_config_selectorILNS1_17partition_subalgoE8ElNS0_10empty_typeEbEEZZNS1_14partition_implILS5_8ELb0ES3_jPlPS6_PKS6_NS0_5tupleIJS9_S6_EEENSD_IJSA_SA_EEENS0_18inequality_wrapperIZN2at6native12_GLOBAL__N_124unique_dim_cuda_templateIN3c108BFloat16EEESt5tupleIJNSH_6TensorESO_SO_EERKSO_lbbbEUlllE0_EEPmJS6_EEE10hipError_tPvRmT3_T4_T5_T6_T7_T9_mT8_P12ihipStream_tbDpT10_ENKUlT_T0_E_clISt17integral_constantIbLb0EES1D_IbLb1EEEEDaS19_S1A_EUlS19_E_NS1_11comp_targetILNS1_3genE8ELNS1_11target_archE1030ELNS1_3gpuE2ELNS1_3repE0EEENS1_30default_config_static_selectorELNS0_4arch9wavefront6targetE1EEEvT1_,comdat
	.globl	_ZN7rocprim17ROCPRIM_400000_NS6detail17trampoline_kernelINS0_14default_configENS1_25partition_config_selectorILNS1_17partition_subalgoE8ElNS0_10empty_typeEbEEZZNS1_14partition_implILS5_8ELb0ES3_jPlPS6_PKS6_NS0_5tupleIJS9_S6_EEENSD_IJSA_SA_EEENS0_18inequality_wrapperIZN2at6native12_GLOBAL__N_124unique_dim_cuda_templateIN3c108BFloat16EEESt5tupleIJNSH_6TensorESO_SO_EERKSO_lbbbEUlllE0_EEPmJS6_EEE10hipError_tPvRmT3_T4_T5_T6_T7_T9_mT8_P12ihipStream_tbDpT10_ENKUlT_T0_E_clISt17integral_constantIbLb0EES1D_IbLb1EEEEDaS19_S1A_EUlS19_E_NS1_11comp_targetILNS1_3genE8ELNS1_11target_archE1030ELNS1_3gpuE2ELNS1_3repE0EEENS1_30default_config_static_selectorELNS0_4arch9wavefront6targetE1EEEvT1_ ; -- Begin function _ZN7rocprim17ROCPRIM_400000_NS6detail17trampoline_kernelINS0_14default_configENS1_25partition_config_selectorILNS1_17partition_subalgoE8ElNS0_10empty_typeEbEEZZNS1_14partition_implILS5_8ELb0ES3_jPlPS6_PKS6_NS0_5tupleIJS9_S6_EEENSD_IJSA_SA_EEENS0_18inequality_wrapperIZN2at6native12_GLOBAL__N_124unique_dim_cuda_templateIN3c108BFloat16EEESt5tupleIJNSH_6TensorESO_SO_EERKSO_lbbbEUlllE0_EEPmJS6_EEE10hipError_tPvRmT3_T4_T5_T6_T7_T9_mT8_P12ihipStream_tbDpT10_ENKUlT_T0_E_clISt17integral_constantIbLb0EES1D_IbLb1EEEEDaS19_S1A_EUlS19_E_NS1_11comp_targetILNS1_3genE8ELNS1_11target_archE1030ELNS1_3gpuE2ELNS1_3repE0EEENS1_30default_config_static_selectorELNS0_4arch9wavefront6targetE1EEEvT1_
	.p2align	8
	.type	_ZN7rocprim17ROCPRIM_400000_NS6detail17trampoline_kernelINS0_14default_configENS1_25partition_config_selectorILNS1_17partition_subalgoE8ElNS0_10empty_typeEbEEZZNS1_14partition_implILS5_8ELb0ES3_jPlPS6_PKS6_NS0_5tupleIJS9_S6_EEENSD_IJSA_SA_EEENS0_18inequality_wrapperIZN2at6native12_GLOBAL__N_124unique_dim_cuda_templateIN3c108BFloat16EEESt5tupleIJNSH_6TensorESO_SO_EERKSO_lbbbEUlllE0_EEPmJS6_EEE10hipError_tPvRmT3_T4_T5_T6_T7_T9_mT8_P12ihipStream_tbDpT10_ENKUlT_T0_E_clISt17integral_constantIbLb0EES1D_IbLb1EEEEDaS19_S1A_EUlS19_E_NS1_11comp_targetILNS1_3genE8ELNS1_11target_archE1030ELNS1_3gpuE2ELNS1_3repE0EEENS1_30default_config_static_selectorELNS0_4arch9wavefront6targetE1EEEvT1_,@function
_ZN7rocprim17ROCPRIM_400000_NS6detail17trampoline_kernelINS0_14default_configENS1_25partition_config_selectorILNS1_17partition_subalgoE8ElNS0_10empty_typeEbEEZZNS1_14partition_implILS5_8ELb0ES3_jPlPS6_PKS6_NS0_5tupleIJS9_S6_EEENSD_IJSA_SA_EEENS0_18inequality_wrapperIZN2at6native12_GLOBAL__N_124unique_dim_cuda_templateIN3c108BFloat16EEESt5tupleIJNSH_6TensorESO_SO_EERKSO_lbbbEUlllE0_EEPmJS6_EEE10hipError_tPvRmT3_T4_T5_T6_T7_T9_mT8_P12ihipStream_tbDpT10_ENKUlT_T0_E_clISt17integral_constantIbLb0EES1D_IbLb1EEEEDaS19_S1A_EUlS19_E_NS1_11comp_targetILNS1_3genE8ELNS1_11target_archE1030ELNS1_3gpuE2ELNS1_3repE0EEENS1_30default_config_static_selectorELNS0_4arch9wavefront6targetE1EEEvT1_: ; @_ZN7rocprim17ROCPRIM_400000_NS6detail17trampoline_kernelINS0_14default_configENS1_25partition_config_selectorILNS1_17partition_subalgoE8ElNS0_10empty_typeEbEEZZNS1_14partition_implILS5_8ELb0ES3_jPlPS6_PKS6_NS0_5tupleIJS9_S6_EEENSD_IJSA_SA_EEENS0_18inequality_wrapperIZN2at6native12_GLOBAL__N_124unique_dim_cuda_templateIN3c108BFloat16EEESt5tupleIJNSH_6TensorESO_SO_EERKSO_lbbbEUlllE0_EEPmJS6_EEE10hipError_tPvRmT3_T4_T5_T6_T7_T9_mT8_P12ihipStream_tbDpT10_ENKUlT_T0_E_clISt17integral_constantIbLb0EES1D_IbLb1EEEEDaS19_S1A_EUlS19_E_NS1_11comp_targetILNS1_3genE8ELNS1_11target_archE1030ELNS1_3gpuE2ELNS1_3repE0EEENS1_30default_config_static_selectorELNS0_4arch9wavefront6targetE1EEEvT1_
; %bb.0:
	.section	.rodata,"a",@progbits
	.p2align	6, 0x0
	.amdhsa_kernel _ZN7rocprim17ROCPRIM_400000_NS6detail17trampoline_kernelINS0_14default_configENS1_25partition_config_selectorILNS1_17partition_subalgoE8ElNS0_10empty_typeEbEEZZNS1_14partition_implILS5_8ELb0ES3_jPlPS6_PKS6_NS0_5tupleIJS9_S6_EEENSD_IJSA_SA_EEENS0_18inequality_wrapperIZN2at6native12_GLOBAL__N_124unique_dim_cuda_templateIN3c108BFloat16EEESt5tupleIJNSH_6TensorESO_SO_EERKSO_lbbbEUlllE0_EEPmJS6_EEE10hipError_tPvRmT3_T4_T5_T6_T7_T9_mT8_P12ihipStream_tbDpT10_ENKUlT_T0_E_clISt17integral_constantIbLb0EES1D_IbLb1EEEEDaS19_S1A_EUlS19_E_NS1_11comp_targetILNS1_3genE8ELNS1_11target_archE1030ELNS1_3gpuE2ELNS1_3repE0EEENS1_30default_config_static_selectorELNS0_4arch9wavefront6targetE1EEEvT1_
		.amdhsa_group_segment_fixed_size 0
		.amdhsa_private_segment_fixed_size 0
		.amdhsa_kernarg_size 136
		.amdhsa_user_sgpr_count 2
		.amdhsa_user_sgpr_dispatch_ptr 0
		.amdhsa_user_sgpr_queue_ptr 0
		.amdhsa_user_sgpr_kernarg_segment_ptr 1
		.amdhsa_user_sgpr_dispatch_id 0
		.amdhsa_user_sgpr_kernarg_preload_length 0
		.amdhsa_user_sgpr_kernarg_preload_offset 0
		.amdhsa_user_sgpr_private_segment_size 0
		.amdhsa_uses_dynamic_stack 0
		.amdhsa_enable_private_segment 0
		.amdhsa_system_sgpr_workgroup_id_x 1
		.amdhsa_system_sgpr_workgroup_id_y 0
		.amdhsa_system_sgpr_workgroup_id_z 0
		.amdhsa_system_sgpr_workgroup_info 0
		.amdhsa_system_vgpr_workitem_id 0
		.amdhsa_next_free_vgpr 1
		.amdhsa_next_free_sgpr 0
		.amdhsa_accum_offset 4
		.amdhsa_reserve_vcc 0
		.amdhsa_float_round_mode_32 0
		.amdhsa_float_round_mode_16_64 0
		.amdhsa_float_denorm_mode_32 3
		.amdhsa_float_denorm_mode_16_64 3
		.amdhsa_dx10_clamp 1
		.amdhsa_ieee_mode 1
		.amdhsa_fp16_overflow 0
		.amdhsa_tg_split 0
		.amdhsa_exception_fp_ieee_invalid_op 0
		.amdhsa_exception_fp_denorm_src 0
		.amdhsa_exception_fp_ieee_div_zero 0
		.amdhsa_exception_fp_ieee_overflow 0
		.amdhsa_exception_fp_ieee_underflow 0
		.amdhsa_exception_fp_ieee_inexact 0
		.amdhsa_exception_int_div_zero 0
	.end_amdhsa_kernel
	.section	.text._ZN7rocprim17ROCPRIM_400000_NS6detail17trampoline_kernelINS0_14default_configENS1_25partition_config_selectorILNS1_17partition_subalgoE8ElNS0_10empty_typeEbEEZZNS1_14partition_implILS5_8ELb0ES3_jPlPS6_PKS6_NS0_5tupleIJS9_S6_EEENSD_IJSA_SA_EEENS0_18inequality_wrapperIZN2at6native12_GLOBAL__N_124unique_dim_cuda_templateIN3c108BFloat16EEESt5tupleIJNSH_6TensorESO_SO_EERKSO_lbbbEUlllE0_EEPmJS6_EEE10hipError_tPvRmT3_T4_T5_T6_T7_T9_mT8_P12ihipStream_tbDpT10_ENKUlT_T0_E_clISt17integral_constantIbLb0EES1D_IbLb1EEEEDaS19_S1A_EUlS19_E_NS1_11comp_targetILNS1_3genE8ELNS1_11target_archE1030ELNS1_3gpuE2ELNS1_3repE0EEENS1_30default_config_static_selectorELNS0_4arch9wavefront6targetE1EEEvT1_,"axG",@progbits,_ZN7rocprim17ROCPRIM_400000_NS6detail17trampoline_kernelINS0_14default_configENS1_25partition_config_selectorILNS1_17partition_subalgoE8ElNS0_10empty_typeEbEEZZNS1_14partition_implILS5_8ELb0ES3_jPlPS6_PKS6_NS0_5tupleIJS9_S6_EEENSD_IJSA_SA_EEENS0_18inequality_wrapperIZN2at6native12_GLOBAL__N_124unique_dim_cuda_templateIN3c108BFloat16EEESt5tupleIJNSH_6TensorESO_SO_EERKSO_lbbbEUlllE0_EEPmJS6_EEE10hipError_tPvRmT3_T4_T5_T6_T7_T9_mT8_P12ihipStream_tbDpT10_ENKUlT_T0_E_clISt17integral_constantIbLb0EES1D_IbLb1EEEEDaS19_S1A_EUlS19_E_NS1_11comp_targetILNS1_3genE8ELNS1_11target_archE1030ELNS1_3gpuE2ELNS1_3repE0EEENS1_30default_config_static_selectorELNS0_4arch9wavefront6targetE1EEEvT1_,comdat
.Lfunc_end1213:
	.size	_ZN7rocprim17ROCPRIM_400000_NS6detail17trampoline_kernelINS0_14default_configENS1_25partition_config_selectorILNS1_17partition_subalgoE8ElNS0_10empty_typeEbEEZZNS1_14partition_implILS5_8ELb0ES3_jPlPS6_PKS6_NS0_5tupleIJS9_S6_EEENSD_IJSA_SA_EEENS0_18inequality_wrapperIZN2at6native12_GLOBAL__N_124unique_dim_cuda_templateIN3c108BFloat16EEESt5tupleIJNSH_6TensorESO_SO_EERKSO_lbbbEUlllE0_EEPmJS6_EEE10hipError_tPvRmT3_T4_T5_T6_T7_T9_mT8_P12ihipStream_tbDpT10_ENKUlT_T0_E_clISt17integral_constantIbLb0EES1D_IbLb1EEEEDaS19_S1A_EUlS19_E_NS1_11comp_targetILNS1_3genE8ELNS1_11target_archE1030ELNS1_3gpuE2ELNS1_3repE0EEENS1_30default_config_static_selectorELNS0_4arch9wavefront6targetE1EEEvT1_, .Lfunc_end1213-_ZN7rocprim17ROCPRIM_400000_NS6detail17trampoline_kernelINS0_14default_configENS1_25partition_config_selectorILNS1_17partition_subalgoE8ElNS0_10empty_typeEbEEZZNS1_14partition_implILS5_8ELb0ES3_jPlPS6_PKS6_NS0_5tupleIJS9_S6_EEENSD_IJSA_SA_EEENS0_18inequality_wrapperIZN2at6native12_GLOBAL__N_124unique_dim_cuda_templateIN3c108BFloat16EEESt5tupleIJNSH_6TensorESO_SO_EERKSO_lbbbEUlllE0_EEPmJS6_EEE10hipError_tPvRmT3_T4_T5_T6_T7_T9_mT8_P12ihipStream_tbDpT10_ENKUlT_T0_E_clISt17integral_constantIbLb0EES1D_IbLb1EEEEDaS19_S1A_EUlS19_E_NS1_11comp_targetILNS1_3genE8ELNS1_11target_archE1030ELNS1_3gpuE2ELNS1_3repE0EEENS1_30default_config_static_selectorELNS0_4arch9wavefront6targetE1EEEvT1_
                                        ; -- End function
	.section	.AMDGPU.csdata,"",@progbits
; Kernel info:
; codeLenInByte = 0
; NumSgprs: 6
; NumVgprs: 0
; NumAgprs: 0
; TotalNumVgprs: 0
; ScratchSize: 0
; MemoryBound: 0
; FloatMode: 240
; IeeeMode: 1
; LDSByteSize: 0 bytes/workgroup (compile time only)
; SGPRBlocks: 0
; VGPRBlocks: 0
; NumSGPRsForWavesPerEU: 6
; NumVGPRsForWavesPerEU: 1
; AccumOffset: 4
; Occupancy: 8
; WaveLimiterHint : 0
; COMPUTE_PGM_RSRC2:SCRATCH_EN: 0
; COMPUTE_PGM_RSRC2:USER_SGPR: 2
; COMPUTE_PGM_RSRC2:TRAP_HANDLER: 0
; COMPUTE_PGM_RSRC2:TGID_X_EN: 1
; COMPUTE_PGM_RSRC2:TGID_Y_EN: 0
; COMPUTE_PGM_RSRC2:TGID_Z_EN: 0
; COMPUTE_PGM_RSRC2:TIDIG_COMP_CNT: 0
; COMPUTE_PGM_RSRC3_GFX90A:ACCUM_OFFSET: 0
; COMPUTE_PGM_RSRC3_GFX90A:TG_SPLIT: 0
	.section	.text._ZN7rocprim17ROCPRIM_400000_NS6detail17trampoline_kernelINS0_14default_configENS1_25partition_config_selectorILNS1_17partition_subalgoE9EllbEEZZNS1_14partition_implILS5_9ELb0ES3_jPlS8_PNS0_10empty_typeENS0_5tupleIJS8_S9_EEENSB_IJS8_SA_EEENS0_18inequality_wrapperIZN2at6native12_GLOBAL__N_124unique_dim_cuda_templateIN3c108BFloat16EEESt5tupleIJNSF_6TensorESM_SM_EERKSM_lbbbEUlllE0_EEPmJS9_EEE10hipError_tPvRmT3_T4_T5_T6_T7_T9_mT8_P12ihipStream_tbDpT10_ENKUlT_T0_E_clISt17integral_constantIbLb0EES1C_EEDaS17_S18_EUlS17_E_NS1_11comp_targetILNS1_3genE0ELNS1_11target_archE4294967295ELNS1_3gpuE0ELNS1_3repE0EEENS1_30default_config_static_selectorELNS0_4arch9wavefront6targetE1EEEvT1_,"axG",@progbits,_ZN7rocprim17ROCPRIM_400000_NS6detail17trampoline_kernelINS0_14default_configENS1_25partition_config_selectorILNS1_17partition_subalgoE9EllbEEZZNS1_14partition_implILS5_9ELb0ES3_jPlS8_PNS0_10empty_typeENS0_5tupleIJS8_S9_EEENSB_IJS8_SA_EEENS0_18inequality_wrapperIZN2at6native12_GLOBAL__N_124unique_dim_cuda_templateIN3c108BFloat16EEESt5tupleIJNSF_6TensorESM_SM_EERKSM_lbbbEUlllE0_EEPmJS9_EEE10hipError_tPvRmT3_T4_T5_T6_T7_T9_mT8_P12ihipStream_tbDpT10_ENKUlT_T0_E_clISt17integral_constantIbLb0EES1C_EEDaS17_S18_EUlS17_E_NS1_11comp_targetILNS1_3genE0ELNS1_11target_archE4294967295ELNS1_3gpuE0ELNS1_3repE0EEENS1_30default_config_static_selectorELNS0_4arch9wavefront6targetE1EEEvT1_,comdat
	.globl	_ZN7rocprim17ROCPRIM_400000_NS6detail17trampoline_kernelINS0_14default_configENS1_25partition_config_selectorILNS1_17partition_subalgoE9EllbEEZZNS1_14partition_implILS5_9ELb0ES3_jPlS8_PNS0_10empty_typeENS0_5tupleIJS8_S9_EEENSB_IJS8_SA_EEENS0_18inequality_wrapperIZN2at6native12_GLOBAL__N_124unique_dim_cuda_templateIN3c108BFloat16EEESt5tupleIJNSF_6TensorESM_SM_EERKSM_lbbbEUlllE0_EEPmJS9_EEE10hipError_tPvRmT3_T4_T5_T6_T7_T9_mT8_P12ihipStream_tbDpT10_ENKUlT_T0_E_clISt17integral_constantIbLb0EES1C_EEDaS17_S18_EUlS17_E_NS1_11comp_targetILNS1_3genE0ELNS1_11target_archE4294967295ELNS1_3gpuE0ELNS1_3repE0EEENS1_30default_config_static_selectorELNS0_4arch9wavefront6targetE1EEEvT1_ ; -- Begin function _ZN7rocprim17ROCPRIM_400000_NS6detail17trampoline_kernelINS0_14default_configENS1_25partition_config_selectorILNS1_17partition_subalgoE9EllbEEZZNS1_14partition_implILS5_9ELb0ES3_jPlS8_PNS0_10empty_typeENS0_5tupleIJS8_S9_EEENSB_IJS8_SA_EEENS0_18inequality_wrapperIZN2at6native12_GLOBAL__N_124unique_dim_cuda_templateIN3c108BFloat16EEESt5tupleIJNSF_6TensorESM_SM_EERKSM_lbbbEUlllE0_EEPmJS9_EEE10hipError_tPvRmT3_T4_T5_T6_T7_T9_mT8_P12ihipStream_tbDpT10_ENKUlT_T0_E_clISt17integral_constantIbLb0EES1C_EEDaS17_S18_EUlS17_E_NS1_11comp_targetILNS1_3genE0ELNS1_11target_archE4294967295ELNS1_3gpuE0ELNS1_3repE0EEENS1_30default_config_static_selectorELNS0_4arch9wavefront6targetE1EEEvT1_
	.p2align	8
	.type	_ZN7rocprim17ROCPRIM_400000_NS6detail17trampoline_kernelINS0_14default_configENS1_25partition_config_selectorILNS1_17partition_subalgoE9EllbEEZZNS1_14partition_implILS5_9ELb0ES3_jPlS8_PNS0_10empty_typeENS0_5tupleIJS8_S9_EEENSB_IJS8_SA_EEENS0_18inequality_wrapperIZN2at6native12_GLOBAL__N_124unique_dim_cuda_templateIN3c108BFloat16EEESt5tupleIJNSF_6TensorESM_SM_EERKSM_lbbbEUlllE0_EEPmJS9_EEE10hipError_tPvRmT3_T4_T5_T6_T7_T9_mT8_P12ihipStream_tbDpT10_ENKUlT_T0_E_clISt17integral_constantIbLb0EES1C_EEDaS17_S18_EUlS17_E_NS1_11comp_targetILNS1_3genE0ELNS1_11target_archE4294967295ELNS1_3gpuE0ELNS1_3repE0EEENS1_30default_config_static_selectorELNS0_4arch9wavefront6targetE1EEEvT1_,@function
_ZN7rocprim17ROCPRIM_400000_NS6detail17trampoline_kernelINS0_14default_configENS1_25partition_config_selectorILNS1_17partition_subalgoE9EllbEEZZNS1_14partition_implILS5_9ELb0ES3_jPlS8_PNS0_10empty_typeENS0_5tupleIJS8_S9_EEENSB_IJS8_SA_EEENS0_18inequality_wrapperIZN2at6native12_GLOBAL__N_124unique_dim_cuda_templateIN3c108BFloat16EEESt5tupleIJNSF_6TensorESM_SM_EERKSM_lbbbEUlllE0_EEPmJS9_EEE10hipError_tPvRmT3_T4_T5_T6_T7_T9_mT8_P12ihipStream_tbDpT10_ENKUlT_T0_E_clISt17integral_constantIbLb0EES1C_EEDaS17_S18_EUlS17_E_NS1_11comp_targetILNS1_3genE0ELNS1_11target_archE4294967295ELNS1_3gpuE0ELNS1_3repE0EEENS1_30default_config_static_selectorELNS0_4arch9wavefront6targetE1EEEvT1_: ; @_ZN7rocprim17ROCPRIM_400000_NS6detail17trampoline_kernelINS0_14default_configENS1_25partition_config_selectorILNS1_17partition_subalgoE9EllbEEZZNS1_14partition_implILS5_9ELb0ES3_jPlS8_PNS0_10empty_typeENS0_5tupleIJS8_S9_EEENSB_IJS8_SA_EEENS0_18inequality_wrapperIZN2at6native12_GLOBAL__N_124unique_dim_cuda_templateIN3c108BFloat16EEESt5tupleIJNSF_6TensorESM_SM_EERKSM_lbbbEUlllE0_EEPmJS9_EEE10hipError_tPvRmT3_T4_T5_T6_T7_T9_mT8_P12ihipStream_tbDpT10_ENKUlT_T0_E_clISt17integral_constantIbLb0EES1C_EEDaS17_S18_EUlS17_E_NS1_11comp_targetILNS1_3genE0ELNS1_11target_archE4294967295ELNS1_3gpuE0ELNS1_3repE0EEENS1_30default_config_static_selectorELNS0_4arch9wavefront6targetE1EEEvT1_
; %bb.0:
	.section	.rodata,"a",@progbits
	.p2align	6, 0x0
	.amdhsa_kernel _ZN7rocprim17ROCPRIM_400000_NS6detail17trampoline_kernelINS0_14default_configENS1_25partition_config_selectorILNS1_17partition_subalgoE9EllbEEZZNS1_14partition_implILS5_9ELb0ES3_jPlS8_PNS0_10empty_typeENS0_5tupleIJS8_S9_EEENSB_IJS8_SA_EEENS0_18inequality_wrapperIZN2at6native12_GLOBAL__N_124unique_dim_cuda_templateIN3c108BFloat16EEESt5tupleIJNSF_6TensorESM_SM_EERKSM_lbbbEUlllE0_EEPmJS9_EEE10hipError_tPvRmT3_T4_T5_T6_T7_T9_mT8_P12ihipStream_tbDpT10_ENKUlT_T0_E_clISt17integral_constantIbLb0EES1C_EEDaS17_S18_EUlS17_E_NS1_11comp_targetILNS1_3genE0ELNS1_11target_archE4294967295ELNS1_3gpuE0ELNS1_3repE0EEENS1_30default_config_static_selectorELNS0_4arch9wavefront6targetE1EEEvT1_
		.amdhsa_group_segment_fixed_size 0
		.amdhsa_private_segment_fixed_size 0
		.amdhsa_kernarg_size 120
		.amdhsa_user_sgpr_count 2
		.amdhsa_user_sgpr_dispatch_ptr 0
		.amdhsa_user_sgpr_queue_ptr 0
		.amdhsa_user_sgpr_kernarg_segment_ptr 1
		.amdhsa_user_sgpr_dispatch_id 0
		.amdhsa_user_sgpr_kernarg_preload_length 0
		.amdhsa_user_sgpr_kernarg_preload_offset 0
		.amdhsa_user_sgpr_private_segment_size 0
		.amdhsa_uses_dynamic_stack 0
		.amdhsa_enable_private_segment 0
		.amdhsa_system_sgpr_workgroup_id_x 1
		.amdhsa_system_sgpr_workgroup_id_y 0
		.amdhsa_system_sgpr_workgroup_id_z 0
		.amdhsa_system_sgpr_workgroup_info 0
		.amdhsa_system_vgpr_workitem_id 0
		.amdhsa_next_free_vgpr 1
		.amdhsa_next_free_sgpr 0
		.amdhsa_accum_offset 4
		.amdhsa_reserve_vcc 0
		.amdhsa_float_round_mode_32 0
		.amdhsa_float_round_mode_16_64 0
		.amdhsa_float_denorm_mode_32 3
		.amdhsa_float_denorm_mode_16_64 3
		.amdhsa_dx10_clamp 1
		.amdhsa_ieee_mode 1
		.amdhsa_fp16_overflow 0
		.amdhsa_tg_split 0
		.amdhsa_exception_fp_ieee_invalid_op 0
		.amdhsa_exception_fp_denorm_src 0
		.amdhsa_exception_fp_ieee_div_zero 0
		.amdhsa_exception_fp_ieee_overflow 0
		.amdhsa_exception_fp_ieee_underflow 0
		.amdhsa_exception_fp_ieee_inexact 0
		.amdhsa_exception_int_div_zero 0
	.end_amdhsa_kernel
	.section	.text._ZN7rocprim17ROCPRIM_400000_NS6detail17trampoline_kernelINS0_14default_configENS1_25partition_config_selectorILNS1_17partition_subalgoE9EllbEEZZNS1_14partition_implILS5_9ELb0ES3_jPlS8_PNS0_10empty_typeENS0_5tupleIJS8_S9_EEENSB_IJS8_SA_EEENS0_18inequality_wrapperIZN2at6native12_GLOBAL__N_124unique_dim_cuda_templateIN3c108BFloat16EEESt5tupleIJNSF_6TensorESM_SM_EERKSM_lbbbEUlllE0_EEPmJS9_EEE10hipError_tPvRmT3_T4_T5_T6_T7_T9_mT8_P12ihipStream_tbDpT10_ENKUlT_T0_E_clISt17integral_constantIbLb0EES1C_EEDaS17_S18_EUlS17_E_NS1_11comp_targetILNS1_3genE0ELNS1_11target_archE4294967295ELNS1_3gpuE0ELNS1_3repE0EEENS1_30default_config_static_selectorELNS0_4arch9wavefront6targetE1EEEvT1_,"axG",@progbits,_ZN7rocprim17ROCPRIM_400000_NS6detail17trampoline_kernelINS0_14default_configENS1_25partition_config_selectorILNS1_17partition_subalgoE9EllbEEZZNS1_14partition_implILS5_9ELb0ES3_jPlS8_PNS0_10empty_typeENS0_5tupleIJS8_S9_EEENSB_IJS8_SA_EEENS0_18inequality_wrapperIZN2at6native12_GLOBAL__N_124unique_dim_cuda_templateIN3c108BFloat16EEESt5tupleIJNSF_6TensorESM_SM_EERKSM_lbbbEUlllE0_EEPmJS9_EEE10hipError_tPvRmT3_T4_T5_T6_T7_T9_mT8_P12ihipStream_tbDpT10_ENKUlT_T0_E_clISt17integral_constantIbLb0EES1C_EEDaS17_S18_EUlS17_E_NS1_11comp_targetILNS1_3genE0ELNS1_11target_archE4294967295ELNS1_3gpuE0ELNS1_3repE0EEENS1_30default_config_static_selectorELNS0_4arch9wavefront6targetE1EEEvT1_,comdat
.Lfunc_end1214:
	.size	_ZN7rocprim17ROCPRIM_400000_NS6detail17trampoline_kernelINS0_14default_configENS1_25partition_config_selectorILNS1_17partition_subalgoE9EllbEEZZNS1_14partition_implILS5_9ELb0ES3_jPlS8_PNS0_10empty_typeENS0_5tupleIJS8_S9_EEENSB_IJS8_SA_EEENS0_18inequality_wrapperIZN2at6native12_GLOBAL__N_124unique_dim_cuda_templateIN3c108BFloat16EEESt5tupleIJNSF_6TensorESM_SM_EERKSM_lbbbEUlllE0_EEPmJS9_EEE10hipError_tPvRmT3_T4_T5_T6_T7_T9_mT8_P12ihipStream_tbDpT10_ENKUlT_T0_E_clISt17integral_constantIbLb0EES1C_EEDaS17_S18_EUlS17_E_NS1_11comp_targetILNS1_3genE0ELNS1_11target_archE4294967295ELNS1_3gpuE0ELNS1_3repE0EEENS1_30default_config_static_selectorELNS0_4arch9wavefront6targetE1EEEvT1_, .Lfunc_end1214-_ZN7rocprim17ROCPRIM_400000_NS6detail17trampoline_kernelINS0_14default_configENS1_25partition_config_selectorILNS1_17partition_subalgoE9EllbEEZZNS1_14partition_implILS5_9ELb0ES3_jPlS8_PNS0_10empty_typeENS0_5tupleIJS8_S9_EEENSB_IJS8_SA_EEENS0_18inequality_wrapperIZN2at6native12_GLOBAL__N_124unique_dim_cuda_templateIN3c108BFloat16EEESt5tupleIJNSF_6TensorESM_SM_EERKSM_lbbbEUlllE0_EEPmJS9_EEE10hipError_tPvRmT3_T4_T5_T6_T7_T9_mT8_P12ihipStream_tbDpT10_ENKUlT_T0_E_clISt17integral_constantIbLb0EES1C_EEDaS17_S18_EUlS17_E_NS1_11comp_targetILNS1_3genE0ELNS1_11target_archE4294967295ELNS1_3gpuE0ELNS1_3repE0EEENS1_30default_config_static_selectorELNS0_4arch9wavefront6targetE1EEEvT1_
                                        ; -- End function
	.section	.AMDGPU.csdata,"",@progbits
; Kernel info:
; codeLenInByte = 0
; NumSgprs: 6
; NumVgprs: 0
; NumAgprs: 0
; TotalNumVgprs: 0
; ScratchSize: 0
; MemoryBound: 0
; FloatMode: 240
; IeeeMode: 1
; LDSByteSize: 0 bytes/workgroup (compile time only)
; SGPRBlocks: 0
; VGPRBlocks: 0
; NumSGPRsForWavesPerEU: 6
; NumVGPRsForWavesPerEU: 1
; AccumOffset: 4
; Occupancy: 8
; WaveLimiterHint : 0
; COMPUTE_PGM_RSRC2:SCRATCH_EN: 0
; COMPUTE_PGM_RSRC2:USER_SGPR: 2
; COMPUTE_PGM_RSRC2:TRAP_HANDLER: 0
; COMPUTE_PGM_RSRC2:TGID_X_EN: 1
; COMPUTE_PGM_RSRC2:TGID_Y_EN: 0
; COMPUTE_PGM_RSRC2:TGID_Z_EN: 0
; COMPUTE_PGM_RSRC2:TIDIG_COMP_CNT: 0
; COMPUTE_PGM_RSRC3_GFX90A:ACCUM_OFFSET: 0
; COMPUTE_PGM_RSRC3_GFX90A:TG_SPLIT: 0
	.section	.text._ZN7rocprim17ROCPRIM_400000_NS6detail17trampoline_kernelINS0_14default_configENS1_25partition_config_selectorILNS1_17partition_subalgoE9EllbEEZZNS1_14partition_implILS5_9ELb0ES3_jPlS8_PNS0_10empty_typeENS0_5tupleIJS8_S9_EEENSB_IJS8_SA_EEENS0_18inequality_wrapperIZN2at6native12_GLOBAL__N_124unique_dim_cuda_templateIN3c108BFloat16EEESt5tupleIJNSF_6TensorESM_SM_EERKSM_lbbbEUlllE0_EEPmJS9_EEE10hipError_tPvRmT3_T4_T5_T6_T7_T9_mT8_P12ihipStream_tbDpT10_ENKUlT_T0_E_clISt17integral_constantIbLb0EES1C_EEDaS17_S18_EUlS17_E_NS1_11comp_targetILNS1_3genE5ELNS1_11target_archE942ELNS1_3gpuE9ELNS1_3repE0EEENS1_30default_config_static_selectorELNS0_4arch9wavefront6targetE1EEEvT1_,"axG",@progbits,_ZN7rocprim17ROCPRIM_400000_NS6detail17trampoline_kernelINS0_14default_configENS1_25partition_config_selectorILNS1_17partition_subalgoE9EllbEEZZNS1_14partition_implILS5_9ELb0ES3_jPlS8_PNS0_10empty_typeENS0_5tupleIJS8_S9_EEENSB_IJS8_SA_EEENS0_18inequality_wrapperIZN2at6native12_GLOBAL__N_124unique_dim_cuda_templateIN3c108BFloat16EEESt5tupleIJNSF_6TensorESM_SM_EERKSM_lbbbEUlllE0_EEPmJS9_EEE10hipError_tPvRmT3_T4_T5_T6_T7_T9_mT8_P12ihipStream_tbDpT10_ENKUlT_T0_E_clISt17integral_constantIbLb0EES1C_EEDaS17_S18_EUlS17_E_NS1_11comp_targetILNS1_3genE5ELNS1_11target_archE942ELNS1_3gpuE9ELNS1_3repE0EEENS1_30default_config_static_selectorELNS0_4arch9wavefront6targetE1EEEvT1_,comdat
	.globl	_ZN7rocprim17ROCPRIM_400000_NS6detail17trampoline_kernelINS0_14default_configENS1_25partition_config_selectorILNS1_17partition_subalgoE9EllbEEZZNS1_14partition_implILS5_9ELb0ES3_jPlS8_PNS0_10empty_typeENS0_5tupleIJS8_S9_EEENSB_IJS8_SA_EEENS0_18inequality_wrapperIZN2at6native12_GLOBAL__N_124unique_dim_cuda_templateIN3c108BFloat16EEESt5tupleIJNSF_6TensorESM_SM_EERKSM_lbbbEUlllE0_EEPmJS9_EEE10hipError_tPvRmT3_T4_T5_T6_T7_T9_mT8_P12ihipStream_tbDpT10_ENKUlT_T0_E_clISt17integral_constantIbLb0EES1C_EEDaS17_S18_EUlS17_E_NS1_11comp_targetILNS1_3genE5ELNS1_11target_archE942ELNS1_3gpuE9ELNS1_3repE0EEENS1_30default_config_static_selectorELNS0_4arch9wavefront6targetE1EEEvT1_ ; -- Begin function _ZN7rocprim17ROCPRIM_400000_NS6detail17trampoline_kernelINS0_14default_configENS1_25partition_config_selectorILNS1_17partition_subalgoE9EllbEEZZNS1_14partition_implILS5_9ELb0ES3_jPlS8_PNS0_10empty_typeENS0_5tupleIJS8_S9_EEENSB_IJS8_SA_EEENS0_18inequality_wrapperIZN2at6native12_GLOBAL__N_124unique_dim_cuda_templateIN3c108BFloat16EEESt5tupleIJNSF_6TensorESM_SM_EERKSM_lbbbEUlllE0_EEPmJS9_EEE10hipError_tPvRmT3_T4_T5_T6_T7_T9_mT8_P12ihipStream_tbDpT10_ENKUlT_T0_E_clISt17integral_constantIbLb0EES1C_EEDaS17_S18_EUlS17_E_NS1_11comp_targetILNS1_3genE5ELNS1_11target_archE942ELNS1_3gpuE9ELNS1_3repE0EEENS1_30default_config_static_selectorELNS0_4arch9wavefront6targetE1EEEvT1_
	.p2align	8
	.type	_ZN7rocprim17ROCPRIM_400000_NS6detail17trampoline_kernelINS0_14default_configENS1_25partition_config_selectorILNS1_17partition_subalgoE9EllbEEZZNS1_14partition_implILS5_9ELb0ES3_jPlS8_PNS0_10empty_typeENS0_5tupleIJS8_S9_EEENSB_IJS8_SA_EEENS0_18inequality_wrapperIZN2at6native12_GLOBAL__N_124unique_dim_cuda_templateIN3c108BFloat16EEESt5tupleIJNSF_6TensorESM_SM_EERKSM_lbbbEUlllE0_EEPmJS9_EEE10hipError_tPvRmT3_T4_T5_T6_T7_T9_mT8_P12ihipStream_tbDpT10_ENKUlT_T0_E_clISt17integral_constantIbLb0EES1C_EEDaS17_S18_EUlS17_E_NS1_11comp_targetILNS1_3genE5ELNS1_11target_archE942ELNS1_3gpuE9ELNS1_3repE0EEENS1_30default_config_static_selectorELNS0_4arch9wavefront6targetE1EEEvT1_,@function
_ZN7rocprim17ROCPRIM_400000_NS6detail17trampoline_kernelINS0_14default_configENS1_25partition_config_selectorILNS1_17partition_subalgoE9EllbEEZZNS1_14partition_implILS5_9ELb0ES3_jPlS8_PNS0_10empty_typeENS0_5tupleIJS8_S9_EEENSB_IJS8_SA_EEENS0_18inequality_wrapperIZN2at6native12_GLOBAL__N_124unique_dim_cuda_templateIN3c108BFloat16EEESt5tupleIJNSF_6TensorESM_SM_EERKSM_lbbbEUlllE0_EEPmJS9_EEE10hipError_tPvRmT3_T4_T5_T6_T7_T9_mT8_P12ihipStream_tbDpT10_ENKUlT_T0_E_clISt17integral_constantIbLb0EES1C_EEDaS17_S18_EUlS17_E_NS1_11comp_targetILNS1_3genE5ELNS1_11target_archE942ELNS1_3gpuE9ELNS1_3repE0EEENS1_30default_config_static_selectorELNS0_4arch9wavefront6targetE1EEEvT1_: ; @_ZN7rocprim17ROCPRIM_400000_NS6detail17trampoline_kernelINS0_14default_configENS1_25partition_config_selectorILNS1_17partition_subalgoE9EllbEEZZNS1_14partition_implILS5_9ELb0ES3_jPlS8_PNS0_10empty_typeENS0_5tupleIJS8_S9_EEENSB_IJS8_SA_EEENS0_18inequality_wrapperIZN2at6native12_GLOBAL__N_124unique_dim_cuda_templateIN3c108BFloat16EEESt5tupleIJNSF_6TensorESM_SM_EERKSM_lbbbEUlllE0_EEPmJS9_EEE10hipError_tPvRmT3_T4_T5_T6_T7_T9_mT8_P12ihipStream_tbDpT10_ENKUlT_T0_E_clISt17integral_constantIbLb0EES1C_EEDaS17_S18_EUlS17_E_NS1_11comp_targetILNS1_3genE5ELNS1_11target_archE942ELNS1_3gpuE9ELNS1_3repE0EEENS1_30default_config_static_selectorELNS0_4arch9wavefront6targetE1EEEvT1_
; %bb.0:
	s_load_dwordx8 s[20:27], s[0:1], 0x40
	s_load_dwordx4 s[4:7], s[0:1], 0x8
	s_load_dwordx2 s[10:11], s[0:1], 0x18
	s_load_dword s3, s[0:1], 0x70
	s_mul_i32 s12, s2, 0xe00
	s_waitcnt lgkmcnt(0)
	v_mov_b32_e32 v2, s24
	s_lshl_b64 s[14:15], s[6:7], 3
	s_add_u32 s18, s4, s14
	s_mul_i32 s4, s3, 0xe00
	s_addc_u32 s19, s5, s15
	s_add_i32 s8, s3, -1
	s_add_i32 s3, s4, s6
	s_sub_i32 s3, s24, s3
	s_addk_i32 s3, 0xe00
	s_add_u32 s4, s6, s4
	s_addc_u32 s5, s7, 0
	v_mov_b32_e32 v3, s25
	s_cmp_eq_u32 s2, s8
	s_load_dwordx2 s[22:23], s[22:23], 0x0
	v_cmp_ge_u64_e32 vcc, s[4:5], v[2:3]
	s_cselect_b64 s[24:25], -1, 0
	s_mov_b32 s13, 0
	s_and_b64 s[8:9], s[24:25], vcc
	s_xor_b64 s[34:35], s[8:9], -1
	s_lshl_b64 s[16:17], s[12:13], 3
	s_add_u32 s12, s18, s16
	s_mov_b64 s[4:5], -1
	s_addc_u32 s13, s19, s17
	s_and_b64 vcc, exec, s[34:35]
	s_cbranch_vccz .LBB1215_2
; %bb.1:
	v_lshlrev_b32_e32 v2, 3, v0
	v_mov_b32_e32 v3, 0
	v_lshl_add_u64 v[4:5], s[12:13], 0, v[2:3]
	v_add_co_u32_e32 v8, vcc, 0x1000, v4
	global_load_dwordx2 v[6:7], v2, s[12:13]
	s_nop 0
	v_addc_co_u32_e32 v9, vcc, 0, v5, vcc
	v_add_co_u32_e32 v10, vcc, 0x2000, v4
	s_mov_b64 s[4:5], 0
	s_nop 0
	v_addc_co_u32_e32 v11, vcc, 0, v5, vcc
	v_add_co_u32_e32 v12, vcc, 0x3000, v4
	s_nop 1
	v_addc_co_u32_e32 v13, vcc, 0, v5, vcc
	v_add_co_u32_e32 v14, vcc, 0x4000, v4
	s_nop 1
	v_addc_co_u32_e32 v15, vcc, 0, v5, vcc
	global_load_dwordx2 v[16:17], v[8:9], off
	global_load_dwordx2 v[18:19], v[10:11], off
	;; [unrolled: 1-line block ×4, first 2 shown]
	v_add_co_u32_e32 v8, vcc, 0x5000, v4
	s_nop 1
	v_addc_co_u32_e32 v9, vcc, 0, v5, vcc
	v_add_co_u32_e32 v4, vcc, 0x6000, v4
	global_load_dwordx2 v[8:9], v[8:9], off
	s_nop 0
	v_addc_co_u32_e32 v5, vcc, 0, v5, vcc
	global_load_dwordx2 v[4:5], v[4:5], off
	s_waitcnt vmcnt(5)
	ds_write2st64_b64 v2, v[6:7], v[16:17] offset1:8
	s_waitcnt vmcnt(3)
	ds_write2st64_b64 v2, v[18:19], v[20:21] offset0:16 offset1:24
	s_waitcnt vmcnt(1)
	ds_write2st64_b64 v2, v[22:23], v[8:9] offset0:32 offset1:40
	s_waitcnt vmcnt(0)
	ds_write_b64 v2, v[4:5] offset:24576
	s_waitcnt lgkmcnt(0)
	s_barrier
.LBB1215_2:
	s_load_dwordx4 s[28:31], s[0:1], 0x60
	s_andn2_b64 vcc, exec, s[4:5]
	v_cmp_gt_u32_e64 s[4:5], s3, v0
	s_cbranch_vccnz .LBB1215_18
; %bb.3:
                                        ; implicit-def: $vgpr2_vgpr3_vgpr4_vgpr5_vgpr6_vgpr7_vgpr8_vgpr9_vgpr10_vgpr11_vgpr12_vgpr13_vgpr14_vgpr15_vgpr16_vgpr17
	s_and_saveexec_b64 s[18:19], s[4:5]
	s_cbranch_execz .LBB1215_5
; %bb.4:
	v_lshlrev_b32_e32 v1, 3, v0
	global_load_dwordx2 v[2:3], v1, s[12:13]
.LBB1215_5:
	s_or_b64 exec, exec, s[18:19]
	v_or_b32_e32 v1, 0x200, v0
	v_cmp_gt_u32_e32 vcc, s3, v1
	s_and_saveexec_b64 s[4:5], vcc
	s_cbranch_execz .LBB1215_7
; %bb.6:
	v_lshlrev_b32_e32 v1, 3, v1
	global_load_dwordx2 v[4:5], v1, s[12:13]
.LBB1215_7:
	s_or_b64 exec, exec, s[4:5]
	v_or_b32_e32 v1, 0x400, v0
	v_cmp_gt_u32_e32 vcc, s3, v1
	s_and_saveexec_b64 s[4:5], vcc
	;; [unrolled: 9-line block ×6, first 2 shown]
	s_cbranch_execz .LBB1215_17
; %bb.16:
	v_lshlrev_b32_e32 v1, 3, v1
	global_load_dwordx2 v[14:15], v1, s[12:13]
.LBB1215_17:
	s_or_b64 exec, exec, s[4:5]
	v_lshlrev_b32_e32 v1, 3, v0
	s_waitcnt vmcnt(0)
	ds_write2st64_b64 v1, v[2:3], v[4:5] offset1:8
	ds_write2st64_b64 v1, v[6:7], v[8:9] offset0:16 offset1:24
	ds_write2st64_b64 v1, v[10:11], v[12:13] offset0:32 offset1:40
	ds_write_b64 v1, v[14:15] offset:24576
	s_waitcnt lgkmcnt(0)
	s_barrier
.LBB1215_18:
	v_mul_u32_u24_e32 v1, 7, v0
	v_lshlrev_b32_e32 v44, 3, v1
	s_waitcnt lgkmcnt(0)
	ds_read2_b64 v[22:25], v44 offset1:1
	ds_read2_b64 v[18:21], v44 offset0:2 offset1:3
	ds_read2_b64 v[14:17], v44 offset0:4 offset1:5
	ds_read_b64 v[28:29], v44 offset:48
	s_add_u32 s4, s10, s14
	s_addc_u32 s5, s11, s15
	s_add_u32 s4, s4, s16
	s_addc_u32 s5, s5, s17
	s_mov_b64 s[10:11], -1
	s_and_b64 vcc, exec, s[34:35]
	s_waitcnt lgkmcnt(0)
	s_barrier
	s_cbranch_vccz .LBB1215_20
; %bb.19:
	v_lshlrev_b32_e32 v2, 3, v0
	v_mov_b32_e32 v3, 0
	v_lshl_add_u64 v[4:5], s[4:5], 0, v[2:3]
	v_add_co_u32_e32 v8, vcc, 0x1000, v4
	global_load_dwordx2 v[6:7], v2, s[4:5]
	s_nop 0
	v_addc_co_u32_e32 v9, vcc, 0, v5, vcc
	v_add_co_u32_e32 v10, vcc, 0x2000, v4
	s_mov_b64 s[10:11], 0
	s_nop 0
	v_addc_co_u32_e32 v11, vcc, 0, v5, vcc
	v_add_co_u32_e32 v12, vcc, 0x3000, v4
	s_nop 1
	v_addc_co_u32_e32 v13, vcc, 0, v5, vcc
	v_add_co_u32_e32 v26, vcc, 0x4000, v4
	s_nop 1
	v_addc_co_u32_e32 v27, vcc, 0, v5, vcc
	global_load_dwordx2 v[30:31], v[8:9], off
	global_load_dwordx2 v[32:33], v[10:11], off
	global_load_dwordx2 v[34:35], v[12:13], off
	global_load_dwordx2 v[36:37], v[26:27], off
	v_add_co_u32_e32 v8, vcc, 0x5000, v4
	s_nop 1
	v_addc_co_u32_e32 v9, vcc, 0, v5, vcc
	v_add_co_u32_e32 v4, vcc, 0x6000, v4
	global_load_dwordx2 v[8:9], v[8:9], off
	s_nop 0
	v_addc_co_u32_e32 v5, vcc, 0, v5, vcc
	global_load_dwordx2 v[4:5], v[4:5], off
	s_waitcnt vmcnt(5)
	ds_write2st64_b64 v2, v[6:7], v[30:31] offset1:8
	s_waitcnt vmcnt(3)
	ds_write2st64_b64 v2, v[32:33], v[34:35] offset0:16 offset1:24
	s_waitcnt vmcnt(1)
	ds_write2st64_b64 v2, v[36:37], v[8:9] offset0:32 offset1:40
	s_waitcnt vmcnt(0)
	ds_write_b64 v2, v[4:5] offset:24576
	s_waitcnt lgkmcnt(0)
	s_barrier
.LBB1215_20:
	s_andn2_b64 vcc, exec, s[10:11]
	s_cbranch_vccnz .LBB1215_36
; %bb.21:
	v_cmp_gt_u32_e32 vcc, s3, v0
                                        ; implicit-def: $vgpr2_vgpr3
	s_and_saveexec_b64 s[10:11], vcc
	s_cbranch_execz .LBB1215_23
; %bb.22:
	v_lshlrev_b32_e32 v2, 3, v0
	global_load_dwordx2 v[2:3], v2, s[4:5]
.LBB1215_23:
	s_or_b64 exec, exec, s[10:11]
	v_or_b32_e32 v6, 0x200, v0
	v_cmp_gt_u32_e32 vcc, s3, v6
                                        ; implicit-def: $vgpr4_vgpr5
	s_and_saveexec_b64 s[10:11], vcc
	s_cbranch_execz .LBB1215_25
; %bb.24:
	v_lshlrev_b32_e32 v4, 3, v6
	global_load_dwordx2 v[4:5], v4, s[4:5]
.LBB1215_25:
	s_or_b64 exec, exec, s[10:11]
	v_or_b32_e32 v8, 0x400, v0
	v_cmp_gt_u32_e32 vcc, s3, v8
                                        ; implicit-def: $vgpr6_vgpr7
	s_and_saveexec_b64 s[10:11], vcc
	s_cbranch_execz .LBB1215_27
; %bb.26:
	v_lshlrev_b32_e32 v6, 3, v8
	global_load_dwordx2 v[6:7], v6, s[4:5]
.LBB1215_27:
	s_or_b64 exec, exec, s[10:11]
	v_or_b32_e32 v10, 0x600, v0
	v_cmp_gt_u32_e32 vcc, s3, v10
                                        ; implicit-def: $vgpr8_vgpr9
	s_and_saveexec_b64 s[10:11], vcc
	s_cbranch_execz .LBB1215_29
; %bb.28:
	v_lshlrev_b32_e32 v8, 3, v10
	global_load_dwordx2 v[8:9], v8, s[4:5]
.LBB1215_29:
	s_or_b64 exec, exec, s[10:11]
	v_or_b32_e32 v12, 0x800, v0
	v_cmp_gt_u32_e32 vcc, s3, v12
                                        ; implicit-def: $vgpr10_vgpr11
	s_and_saveexec_b64 s[10:11], vcc
	s_cbranch_execz .LBB1215_31
; %bb.30:
	v_lshlrev_b32_e32 v10, 3, v12
	global_load_dwordx2 v[10:11], v10, s[4:5]
.LBB1215_31:
	s_or_b64 exec, exec, s[10:11]
	v_or_b32_e32 v26, 0xa00, v0
	v_cmp_gt_u32_e32 vcc, s3, v26
                                        ; implicit-def: $vgpr12_vgpr13
	s_and_saveexec_b64 s[10:11], vcc
	s_cbranch_execz .LBB1215_33
; %bb.32:
	v_lshlrev_b32_e32 v12, 3, v26
	global_load_dwordx2 v[12:13], v12, s[4:5]
.LBB1215_33:
	s_or_b64 exec, exec, s[10:11]
	v_or_b32_e32 v30, 0xc00, v0
	v_cmp_gt_u32_e32 vcc, s3, v30
                                        ; implicit-def: $vgpr26_vgpr27
	s_and_saveexec_b64 s[10:11], vcc
	s_cbranch_execz .LBB1215_35
; %bb.34:
	v_lshlrev_b32_e32 v26, 3, v30
	global_load_dwordx2 v[26:27], v26, s[4:5]
.LBB1215_35:
	s_or_b64 exec, exec, s[10:11]
	s_movk_i32 s4, 0xffd0
	v_mad_i32_i24 v30, v0, s4, v44
	s_waitcnt vmcnt(0)
	ds_write2st64_b64 v30, v[2:3], v[4:5] offset1:8
	ds_write2st64_b64 v30, v[6:7], v[8:9] offset0:16 offset1:24
	ds_write2st64_b64 v30, v[10:11], v[12:13] offset0:32 offset1:40
	ds_write_b64 v30, v[26:27] offset:24576
	s_waitcnt lgkmcnt(0)
	s_barrier
.LBB1215_36:
	ds_read2_b64 v[10:13], v44 offset1:1
	ds_read2_b64 v[6:9], v44 offset0:2 offset1:3
	ds_read2_b64 v[2:5], v44 offset0:4 offset1:5
	ds_read_b64 v[26:27], v44 offset:48
	s_cmp_lg_u32 s2, 0
	s_cselect_b64 s[16:17], -1, 0
	s_cmp_lg_u64 s[6:7], 0
	s_cselect_b64 s[4:5], -1, 0
	s_or_b64 s[4:5], s[16:17], s[4:5]
	v_add_u32_e32 v41, 1, v1
	v_add_u32_e32 v38, 2, v1
	;; [unrolled: 1-line block ×6, first 2 shown]
	s_mov_b64 s[10:11], 0
	s_and_b64 vcc, exec, s[4:5]
	v_cmp_gt_i64_e64 s[4:5], s[26:27], 0
	s_waitcnt lgkmcnt(0)
	s_barrier
	s_cbranch_vccz .LBB1215_45
; %bb.37:
	s_add_u32 s6, s12, -8
	s_addc_u32 s7, s13, -1
	s_load_dwordx2 s[6:7], s[6:7], 0x0
	v_cndmask_b32_e64 v30, 0, 1, s[4:5]
	v_lshlrev_b32_e32 v45, 3, v0
	s_and_b64 vcc, exec, s[34:35]
	v_cmp_ne_u32_e64 s[4:5], 1, v30
	ds_write_b64 v45, v[28:29]
	s_cbranch_vccz .LBB1215_47
; %bb.38:
	v_mul_lo_u32 v32, v17, s26
	v_mul_lo_u32 v33, v16, s27
	v_mad_u64_u32 v[30:31], s[12:13], v16, s26, 0
	v_add3_u32 v31, v31, v33, v32
	s_and_b64 vcc, exec, s[4:5]
	v_lshl_add_u64 v[30:31], v[30:31], 1, s[28:29]
	s_cbranch_vccnz .LBB1215_50
; %bb.39:
	v_mul_lo_u32 v34, v29, s26
	v_mul_lo_u32 v35, v28, s27
	v_mad_u64_u32 v[32:33], s[10:11], v28, s26, 0
	v_add3_u32 v33, v33, v35, v34
	v_lshl_add_u64 v[32:33], v[32:33], 1, s[28:29]
	global_load_ushort v34, v[32:33], off
	global_load_ushort v35, v[30:31], off
	s_mov_b64 s[10:11], -1
	s_waitcnt vmcnt(1)
	v_lshlrev_b32_e32 v34, 16, v34
	s_waitcnt vmcnt(0)
	v_lshlrev_b32_e32 v35, 16, v35
	v_cmp_eq_f32_e32 vcc, v35, v34
	s_and_saveexec_b64 s[12:13], vcc
	s_cbranch_execz .LBB1215_49
; %bb.40:
	s_add_u32 s10, s26, -1
	v_lshl_add_u64 v[32:33], v[32:33], 0, 2
	v_lshl_add_u64 v[34:35], v[30:31], 0, 2
	s_addc_u32 s11, s27, -1
	s_mov_b64 s[14:15], 0
	s_mov_b64 s[36:37], 0
                                        ; implicit-def: $sgpr18_sgpr19
	s_branch .LBB1215_43
.LBB1215_41:                            ;   in Loop: Header=BB1215_43 Depth=1
	global_load_ushort v36, v[32:33], off
	global_load_ushort v37, v[34:35], off
	s_add_u32 s36, s36, 1
	s_addc_u32 s37, s37, 0
	s_andn2_b64 s[18:19], s[18:19], exec
	v_lshl_add_u64 v[32:33], v[32:33], 0, 2
	v_lshl_add_u64 v[34:35], v[34:35], 0, 2
	s_waitcnt vmcnt(1)
	v_lshlrev_b32_e32 v36, 16, v36
	s_waitcnt vmcnt(0)
	v_lshlrev_b32_e32 v37, 16, v37
	v_cmp_neq_f32_e32 vcc, v37, v36
	s_and_b64 s[38:39], vcc, exec
	s_or_b64 s[18:19], s[18:19], s[38:39]
.LBB1215_42:                            ;   in Loop: Header=BB1215_43 Depth=1
	s_and_b64 s[38:39], exec, s[18:19]
	s_or_b64 s[14:15], s[38:39], s[14:15]
	v_mov_b64_e32 v[36:37], s[36:37]
	s_andn2_b64 exec, exec, s[14:15]
	s_cbranch_execz .LBB1215_48
.LBB1215_43:                            ; =>This Inner Loop Header: Depth=1
	s_or_b64 s[18:19], s[18:19], exec
	s_cmp_eq_u64 s[10:11], s[36:37]
	s_cbranch_scc0 .LBB1215_41
; %bb.44:                               ;   in Loop: Header=BB1215_43 Depth=1
                                        ; implicit-def: $vgpr32_vgpr33
                                        ; implicit-def: $vgpr34_vgpr35
	s_mov_b64 s[36:37], s[26:27]
	s_branch .LBB1215_42
.LBB1215_45:
                                        ; implicit-def: $sgpr18_sgpr19
                                        ; implicit-def: $vgpr48
                                        ; implicit-def: $vgpr47
                                        ; implicit-def: $vgpr46
                                        ; implicit-def: $vgpr34
	s_branch .LBB1215_188
.LBB1215_46:
                                        ; implicit-def: $vgpr30_vgpr31
	s_branch .LBB1215_336
.LBB1215_47:
                                        ; implicit-def: $sgpr18_sgpr19
                                        ; implicit-def: $vgpr48
                                        ; implicit-def: $vgpr47
                                        ; implicit-def: $vgpr46
                                        ; implicit-def: $vgpr34
	s_cbranch_execnz .LBB1215_107
	s_branch .LBB1215_187
.LBB1215_48:
	s_or_b64 exec, exec, s[14:15]
	v_cmp_gt_i64_e32 vcc, s[26:27], v[36:37]
	s_orn2_b64 s[10:11], vcc, exec
.LBB1215_49:
	s_or_b64 exec, exec, s[12:13]
.LBB1215_50:
	v_mul_lo_u32 v34, v15, s26
	v_mul_lo_u32 v35, v14, s27
	v_mad_u64_u32 v[32:33], s[12:13], v14, s26, 0
	v_add3_u32 v33, v33, v35, v34
	s_mov_b64 s[12:13], 0
	s_and_b64 vcc, exec, s[4:5]
	v_lshl_add_u64 v[32:33], v[32:33], 1, s[28:29]
	s_mov_b64 s[14:15], 0
	s_cbranch_vccnz .LBB1215_59
; %bb.51:
	global_load_ushort v34, v[30:31], off
	global_load_ushort v35, v[32:33], off
	s_mov_b64 s[14:15], -1
	s_waitcnt vmcnt(1)
	v_lshlrev_b32_e32 v34, 16, v34
	s_waitcnt vmcnt(0)
	v_lshlrev_b32_e32 v35, 16, v35
	v_cmp_eq_f32_e32 vcc, v35, v34
	s_and_saveexec_b64 s[18:19], vcc
	s_cbranch_execz .LBB1215_58
; %bb.52:
	s_add_u32 s14, s26, -1
	v_lshl_add_u64 v[30:31], v[30:31], 0, 2
	v_lshl_add_u64 v[34:35], v[32:33], 0, 2
	s_addc_u32 s15, s27, -1
	s_mov_b64 s[36:37], 0
	s_mov_b64 s[40:41], 0
                                        ; implicit-def: $sgpr38_sgpr39
	s_branch .LBB1215_55
.LBB1215_53:                            ;   in Loop: Header=BB1215_55 Depth=1
	global_load_ushort v36, v[30:31], off
	global_load_ushort v37, v[34:35], off
	s_add_u32 s40, s40, 1
	s_addc_u32 s41, s41, 0
	s_andn2_b64 s[38:39], s[38:39], exec
	v_lshl_add_u64 v[30:31], v[30:31], 0, 2
	v_lshl_add_u64 v[34:35], v[34:35], 0, 2
	s_waitcnt vmcnt(1)
	v_lshlrev_b32_e32 v36, 16, v36
	s_waitcnt vmcnt(0)
	v_lshlrev_b32_e32 v37, 16, v37
	v_cmp_neq_f32_e32 vcc, v37, v36
	s_and_b64 s[42:43], vcc, exec
	s_or_b64 s[38:39], s[38:39], s[42:43]
.LBB1215_54:                            ;   in Loop: Header=BB1215_55 Depth=1
	s_and_b64 s[42:43], exec, s[38:39]
	s_or_b64 s[36:37], s[42:43], s[36:37]
	v_mov_b64_e32 v[36:37], s[40:41]
	s_andn2_b64 exec, exec, s[36:37]
	s_cbranch_execz .LBB1215_57
.LBB1215_55:                            ; =>This Inner Loop Header: Depth=1
	s_or_b64 s[38:39], s[38:39], exec
	s_cmp_eq_u64 s[14:15], s[40:41]
	s_cbranch_scc0 .LBB1215_53
; %bb.56:                               ;   in Loop: Header=BB1215_55 Depth=1
                                        ; implicit-def: $vgpr30_vgpr31
                                        ; implicit-def: $vgpr34_vgpr35
	s_mov_b64 s[40:41], s[26:27]
	s_branch .LBB1215_54
.LBB1215_57:
	s_or_b64 exec, exec, s[36:37]
	v_cmp_gt_i64_e32 vcc, s[26:27], v[36:37]
	s_orn2_b64 s[14:15], vcc, exec
.LBB1215_58:
	s_or_b64 exec, exec, s[18:19]
.LBB1215_59:
	v_mul_lo_u32 v34, v21, s26
	v_mul_lo_u32 v35, v20, s27
	v_mad_u64_u32 v[30:31], s[18:19], v20, s26, 0
	v_add3_u32 v31, v31, v35, v34
	s_and_b64 vcc, exec, s[4:5]
	v_lshl_add_u64 v[30:31], v[30:31], 1, s[28:29]
	s_cbranch_vccnz .LBB1215_68
; %bb.60:
	global_load_ushort v34, v[32:33], off
	global_load_ushort v35, v[30:31], off
	s_mov_b64 s[12:13], -1
	s_waitcnt vmcnt(1)
	v_lshlrev_b32_e32 v34, 16, v34
	s_waitcnt vmcnt(0)
	v_lshlrev_b32_e32 v35, 16, v35
	v_cmp_eq_f32_e32 vcc, v35, v34
	s_and_saveexec_b64 s[18:19], vcc
	s_cbranch_execz .LBB1215_67
; %bb.61:
	s_add_u32 s12, s26, -1
	v_lshl_add_u64 v[32:33], v[32:33], 0, 2
	v_lshl_add_u64 v[34:35], v[30:31], 0, 2
	s_addc_u32 s13, s27, -1
	s_mov_b64 s[36:37], 0
	s_mov_b64 s[40:41], 0
                                        ; implicit-def: $sgpr38_sgpr39
	s_branch .LBB1215_64
.LBB1215_62:                            ;   in Loop: Header=BB1215_64 Depth=1
	global_load_ushort v36, v[32:33], off
	global_load_ushort v37, v[34:35], off
	s_add_u32 s40, s40, 1
	s_addc_u32 s41, s41, 0
	s_andn2_b64 s[38:39], s[38:39], exec
	v_lshl_add_u64 v[32:33], v[32:33], 0, 2
	v_lshl_add_u64 v[34:35], v[34:35], 0, 2
	s_waitcnt vmcnt(1)
	v_lshlrev_b32_e32 v36, 16, v36
	s_waitcnt vmcnt(0)
	v_lshlrev_b32_e32 v37, 16, v37
	v_cmp_neq_f32_e32 vcc, v37, v36
	s_and_b64 s[42:43], vcc, exec
	s_or_b64 s[38:39], s[38:39], s[42:43]
.LBB1215_63:                            ;   in Loop: Header=BB1215_64 Depth=1
	s_and_b64 s[42:43], exec, s[38:39]
	s_or_b64 s[36:37], s[42:43], s[36:37]
	v_mov_b64_e32 v[36:37], s[40:41]
	s_andn2_b64 exec, exec, s[36:37]
	s_cbranch_execz .LBB1215_66
.LBB1215_64:                            ; =>This Inner Loop Header: Depth=1
	s_or_b64 s[38:39], s[38:39], exec
	s_cmp_eq_u64 s[12:13], s[40:41]
	s_cbranch_scc0 .LBB1215_62
; %bb.65:                               ;   in Loop: Header=BB1215_64 Depth=1
                                        ; implicit-def: $vgpr32_vgpr33
                                        ; implicit-def: $vgpr34_vgpr35
	s_mov_b64 s[40:41], s[26:27]
	s_branch .LBB1215_63
.LBB1215_66:
	s_or_b64 exec, exec, s[36:37]
	v_cmp_gt_i64_e32 vcc, s[26:27], v[36:37]
	s_orn2_b64 s[12:13], vcc, exec
.LBB1215_67:
	s_or_b64 exec, exec, s[18:19]
.LBB1215_68:
	v_mul_lo_u32 v34, v19, s26
	v_mul_lo_u32 v35, v18, s27
	v_mad_u64_u32 v[32:33], s[18:19], v18, s26, 0
	v_add3_u32 v33, v33, v35, v34
	s_mov_b64 s[18:19], 0
	s_and_b64 vcc, exec, s[4:5]
	v_lshl_add_u64 v[34:35], v[32:33], 1, s[28:29]
	s_mov_b64 s[36:37], 0
	s_cbranch_vccnz .LBB1215_77
; %bb.69:
	global_load_ushort v32, v[30:31], off
	global_load_ushort v33, v[34:35], off
	s_mov_b64 s[36:37], -1
	s_waitcnt vmcnt(1)
	v_lshlrev_b32_e32 v32, 16, v32
	s_waitcnt vmcnt(0)
	v_lshlrev_b32_e32 v33, 16, v33
	v_cmp_eq_f32_e32 vcc, v33, v32
	s_and_saveexec_b64 s[38:39], vcc
	s_cbranch_execz .LBB1215_76
; %bb.70:
	s_add_u32 s36, s26, -1
	v_lshl_add_u64 v[30:31], v[30:31], 0, 2
	v_lshl_add_u64 v[32:33], v[34:35], 0, 2
	s_addc_u32 s37, s27, -1
	s_mov_b64 s[40:41], 0
	s_mov_b64 s[44:45], 0
                                        ; implicit-def: $sgpr42_sgpr43
	s_branch .LBB1215_73
.LBB1215_71:                            ;   in Loop: Header=BB1215_73 Depth=1
	global_load_ushort v36, v[30:31], off
	global_load_ushort v37, v[32:33], off
	s_add_u32 s44, s44, 1
	s_addc_u32 s45, s45, 0
	s_andn2_b64 s[42:43], s[42:43], exec
	v_lshl_add_u64 v[30:31], v[30:31], 0, 2
	v_lshl_add_u64 v[32:33], v[32:33], 0, 2
	s_waitcnt vmcnt(1)
	v_lshlrev_b32_e32 v36, 16, v36
	s_waitcnt vmcnt(0)
	v_lshlrev_b32_e32 v37, 16, v37
	v_cmp_neq_f32_e32 vcc, v37, v36
	s_and_b64 s[46:47], vcc, exec
	s_or_b64 s[42:43], s[42:43], s[46:47]
.LBB1215_72:                            ;   in Loop: Header=BB1215_73 Depth=1
	s_and_b64 s[46:47], exec, s[42:43]
	s_or_b64 s[40:41], s[46:47], s[40:41]
	v_mov_b64_e32 v[36:37], s[44:45]
	s_andn2_b64 exec, exec, s[40:41]
	s_cbranch_execz .LBB1215_75
.LBB1215_73:                            ; =>This Inner Loop Header: Depth=1
	s_or_b64 s[42:43], s[42:43], exec
	s_cmp_eq_u64 s[36:37], s[44:45]
	s_cbranch_scc0 .LBB1215_71
; %bb.74:                               ;   in Loop: Header=BB1215_73 Depth=1
                                        ; implicit-def: $vgpr30_vgpr31
                                        ; implicit-def: $vgpr32_vgpr33
	s_mov_b64 s[44:45], s[26:27]
	s_branch .LBB1215_72
.LBB1215_75:
	s_or_b64 exec, exec, s[40:41]
	v_cmp_gt_i64_e32 vcc, s[26:27], v[36:37]
	s_orn2_b64 s[36:37], vcc, exec
.LBB1215_76:
	s_or_b64 exec, exec, s[38:39]
.LBB1215_77:
	v_mul_lo_u32 v32, v25, s26
	v_mul_lo_u32 v33, v24, s27
	v_mad_u64_u32 v[30:31], s[38:39], v24, s26, 0
	v_add3_u32 v31, v31, v33, v32
	s_and_b64 vcc, exec, s[4:5]
	v_lshl_add_u64 v[32:33], v[30:31], 1, s[28:29]
	s_cbranch_vccnz .LBB1215_86
; %bb.78:
	global_load_ushort v30, v[34:35], off
	global_load_ushort v31, v[32:33], off
	s_mov_b64 s[18:19], -1
	s_waitcnt vmcnt(1)
	v_lshlrev_b32_e32 v30, 16, v30
	s_waitcnt vmcnt(0)
	v_lshlrev_b32_e32 v31, 16, v31
	v_cmp_eq_f32_e32 vcc, v31, v30
	s_and_saveexec_b64 s[38:39], vcc
	s_cbranch_execz .LBB1215_85
; %bb.79:
	s_add_u32 s18, s26, -1
	v_lshl_add_u64 v[30:31], v[34:35], 0, 2
	v_lshl_add_u64 v[34:35], v[32:33], 0, 2
	s_addc_u32 s19, s27, -1
	s_mov_b64 s[40:41], 0
	s_mov_b64 s[44:45], 0
                                        ; implicit-def: $sgpr42_sgpr43
	s_branch .LBB1215_82
.LBB1215_80:                            ;   in Loop: Header=BB1215_82 Depth=1
	global_load_ushort v36, v[30:31], off
	global_load_ushort v37, v[34:35], off
	s_add_u32 s44, s44, 1
	s_addc_u32 s45, s45, 0
	s_andn2_b64 s[42:43], s[42:43], exec
	v_lshl_add_u64 v[30:31], v[30:31], 0, 2
	v_lshl_add_u64 v[34:35], v[34:35], 0, 2
	s_waitcnt vmcnt(1)
	v_lshlrev_b32_e32 v36, 16, v36
	s_waitcnt vmcnt(0)
	v_lshlrev_b32_e32 v37, 16, v37
	v_cmp_neq_f32_e32 vcc, v37, v36
	s_and_b64 s[46:47], vcc, exec
	s_or_b64 s[42:43], s[42:43], s[46:47]
.LBB1215_81:                            ;   in Loop: Header=BB1215_82 Depth=1
	s_and_b64 s[46:47], exec, s[42:43]
	s_or_b64 s[40:41], s[46:47], s[40:41]
	v_mov_b64_e32 v[36:37], s[44:45]
	s_andn2_b64 exec, exec, s[40:41]
	s_cbranch_execz .LBB1215_84
.LBB1215_82:                            ; =>This Inner Loop Header: Depth=1
	s_or_b64 s[42:43], s[42:43], exec
	s_cmp_eq_u64 s[18:19], s[44:45]
	s_cbranch_scc0 .LBB1215_80
; %bb.83:                               ;   in Loop: Header=BB1215_82 Depth=1
                                        ; implicit-def: $vgpr30_vgpr31
                                        ; implicit-def: $vgpr34_vgpr35
	s_mov_b64 s[44:45], s[26:27]
	s_branch .LBB1215_81
.LBB1215_84:
	s_or_b64 exec, exec, s[40:41]
	v_cmp_gt_i64_e32 vcc, s[26:27], v[36:37]
	s_orn2_b64 s[18:19], vcc, exec
.LBB1215_85:
	s_or_b64 exec, exec, s[38:39]
.LBB1215_86:
	v_mul_lo_u32 v34, v23, s26
	v_mul_lo_u32 v35, v22, s27
	v_mad_u64_u32 v[30:31], s[38:39], v22, s26, 0
	v_add3_u32 v31, v31, v35, v34
	s_mov_b64 s[40:41], 0
	s_and_b64 vcc, exec, s[4:5]
	v_lshl_add_u64 v[30:31], v[30:31], 1, s[28:29]
	s_cbranch_vccnz .LBB1215_95
; %bb.87:
	global_load_ushort v34, v[32:33], off
	global_load_ushort v35, v[30:31], off
	s_mov_b64 s[40:41], -1
	s_waitcnt vmcnt(1)
	v_lshlrev_b32_e32 v34, 16, v34
	s_waitcnt vmcnt(0)
	v_lshlrev_b32_e32 v35, 16, v35
	v_cmp_eq_f32_e32 vcc, v35, v34
	s_and_saveexec_b64 s[38:39], vcc
	s_cbranch_execz .LBB1215_94
; %bb.88:
	s_add_u32 s40, s26, -1
	v_lshl_add_u64 v[32:33], v[32:33], 0, 2
	v_lshl_add_u64 v[34:35], v[30:31], 0, 2
	s_addc_u32 s41, s27, -1
	s_mov_b64 s[42:43], 0
	s_mov_b64 s[46:47], 0
                                        ; implicit-def: $sgpr44_sgpr45
	s_branch .LBB1215_91
.LBB1215_89:                            ;   in Loop: Header=BB1215_91 Depth=1
	global_load_ushort v36, v[32:33], off
	global_load_ushort v37, v[34:35], off
	s_add_u32 s46, s46, 1
	s_addc_u32 s47, s47, 0
	s_andn2_b64 s[44:45], s[44:45], exec
	v_lshl_add_u64 v[32:33], v[32:33], 0, 2
	v_lshl_add_u64 v[34:35], v[34:35], 0, 2
	s_waitcnt vmcnt(1)
	v_lshlrev_b32_e32 v36, 16, v36
	s_waitcnt vmcnt(0)
	v_lshlrev_b32_e32 v37, 16, v37
	v_cmp_neq_f32_e32 vcc, v37, v36
	s_and_b64 s[48:49], vcc, exec
	s_or_b64 s[44:45], s[44:45], s[48:49]
.LBB1215_90:                            ;   in Loop: Header=BB1215_91 Depth=1
	s_and_b64 s[48:49], exec, s[44:45]
	s_or_b64 s[42:43], s[48:49], s[42:43]
	v_mov_b64_e32 v[36:37], s[46:47]
	s_andn2_b64 exec, exec, s[42:43]
	s_cbranch_execz .LBB1215_93
.LBB1215_91:                            ; =>This Inner Loop Header: Depth=1
	s_or_b64 s[44:45], s[44:45], exec
	s_cmp_eq_u64 s[40:41], s[46:47]
	s_cbranch_scc0 .LBB1215_89
; %bb.92:                               ;   in Loop: Header=BB1215_91 Depth=1
                                        ; implicit-def: $vgpr32_vgpr33
                                        ; implicit-def: $vgpr34_vgpr35
	s_mov_b64 s[46:47], s[26:27]
	s_branch .LBB1215_90
.LBB1215_93:
	s_or_b64 exec, exec, s[42:43]
	v_cmp_gt_i64_e32 vcc, s[26:27], v[36:37]
	s_orn2_b64 s[40:41], vcc, exec
.LBB1215_94:
	s_or_b64 exec, exec, s[38:39]
.LBB1215_95:
	v_cmp_ne_u32_e32 vcc, 0, v0
	s_waitcnt lgkmcnt(0)
	v_mov_b64_e32 v[32:33], s[6:7]
	s_barrier
	s_and_saveexec_b64 s[38:39], vcc
	s_cbranch_execz .LBB1215_97
; %bb.96:
	v_add_u32_e32 v32, -8, v45
	ds_read_b64 v[32:33], v32
.LBB1215_97:
	s_or_b64 exec, exec, s[38:39]
	v_cndmask_b32_e64 v35, 0, 1, s[36:37]
	v_cndmask_b32_e64 v34, 0, 1, s[18:19]
	;; [unrolled: 1-line block ×3, first 2 shown]
	v_lshlrev_b16_e32 v35, 8, v35
	v_lshlrev_b16_e32 v36, 8, v36
	v_or_b32_sdwa v37, v34, v35 dst_sel:WORD_1 dst_unused:UNUSED_PAD src0_sel:DWORD src1_sel:DWORD
	s_mov_b64 s[36:37], 0
	s_and_b64 vcc, exec, s[4:5]
	s_mov_b64 s[18:19], 0
	s_cbranch_vccnz .LBB1215_106
; %bb.98:
	s_waitcnt lgkmcnt(0)
	v_mul_lo_u32 v34, v33, s26
	v_mul_lo_u32 v35, v32, s27
	v_mad_u64_u32 v[32:33], s[18:19], v32, s26, 0
	v_add3_u32 v33, v33, v35, v34
	v_lshl_add_u64 v[32:33], v[32:33], 1, s[28:29]
	global_load_ushort v34, v[32:33], off
	global_load_ushort v35, v[30:31], off
	s_mov_b64 s[18:19], -1
	s_waitcnt vmcnt(1)
	v_lshlrev_b32_e32 v34, 16, v34
	s_waitcnt vmcnt(0)
	v_lshlrev_b32_e32 v35, 16, v35
	v_cmp_eq_f32_e32 vcc, v34, v35
	s_and_saveexec_b64 s[38:39], vcc
	s_cbranch_execz .LBB1215_105
; %bb.99:
	s_add_u32 s18, s26, -1
	v_lshl_add_u64 v[30:31], v[30:31], 0, 2
	v_lshl_add_u64 v[32:33], v[32:33], 0, 2
	s_addc_u32 s19, s27, -1
	s_mov_b64 s[40:41], 0
	s_mov_b64 s[44:45], 0
                                        ; implicit-def: $sgpr42_sgpr43
	s_branch .LBB1215_102
.LBB1215_100:                           ;   in Loop: Header=BB1215_102 Depth=1
	global_load_ushort v34, v[30:31], off
	global_load_ushort v35, v[32:33], off
	s_add_u32 s44, s44, 1
	s_addc_u32 s45, s45, 0
	s_andn2_b64 s[42:43], s[42:43], exec
	v_lshl_add_u64 v[30:31], v[30:31], 0, 2
	v_lshl_add_u64 v[32:33], v[32:33], 0, 2
	s_waitcnt vmcnt(1)
	v_lshlrev_b32_e32 v34, 16, v34
	s_waitcnt vmcnt(0)
	v_lshlrev_b32_e32 v35, 16, v35
	v_cmp_neq_f32_e32 vcc, v35, v34
	s_and_b64 s[46:47], vcc, exec
	s_or_b64 s[42:43], s[42:43], s[46:47]
.LBB1215_101:                           ;   in Loop: Header=BB1215_102 Depth=1
	s_and_b64 s[46:47], exec, s[42:43]
	s_or_b64 s[40:41], s[46:47], s[40:41]
	v_mov_b64_e32 v[34:35], s[44:45]
	s_andn2_b64 exec, exec, s[40:41]
	s_cbranch_execz .LBB1215_104
.LBB1215_102:                           ; =>This Inner Loop Header: Depth=1
	s_or_b64 s[42:43], s[42:43], exec
	s_cmp_eq_u64 s[18:19], s[44:45]
	s_cbranch_scc0 .LBB1215_100
; %bb.103:                              ;   in Loop: Header=BB1215_102 Depth=1
                                        ; implicit-def: $vgpr30_vgpr31
                                        ; implicit-def: $vgpr32_vgpr33
	s_mov_b64 s[44:45], s[26:27]
	s_branch .LBB1215_101
.LBB1215_104:
	s_or_b64 exec, exec, s[40:41]
	v_cmp_gt_i64_e32 vcc, s[26:27], v[34:35]
	s_orn2_b64 s[18:19], vcc, exec
.LBB1215_105:
	s_or_b64 exec, exec, s[38:39]
.LBB1215_106:
	v_cndmask_b32_e64 v46, 0, 1, s[12:13]
	v_cndmask_b32_e64 v47, 0, 1, s[14:15]
	v_cndmask_b32_e64 v48, 0, 1, s[10:11]
	v_or_b32_e32 v34, v36, v37
	s_and_b64 vcc, exec, s[36:37]
	s_cbranch_vccz .LBB1215_187
.LBB1215_107:
	v_cmp_gt_u32_e32 vcc, s3, v40
	s_mov_b64 s[12:13], 0
	s_mov_b64 s[10:11], 0
	s_and_saveexec_b64 s[14:15], vcc
	s_cbranch_execz .LBB1215_118
; %bb.108:
	s_and_b64 vcc, exec, s[4:5]
	s_mov_b64 s[18:19], 0
	s_cbranch_vccnz .LBB1215_117
; %bb.109:
	s_waitcnt lgkmcnt(0)
	v_mul_lo_u32 v32, v17, s26
	v_mul_lo_u32 v33, v16, s27
	v_mad_u64_u32 v[30:31], s[10:11], v16, s26, 0
	v_add3_u32 v31, v31, v33, v32
	v_mul_lo_u32 v32, v29, s26
	v_mul_lo_u32 v33, v28, s27
	v_mad_u64_u32 v[34:35], s[10:11], v28, s26, 0
	v_add3_u32 v35, v35, v33, v32
	v_lshl_add_u64 v[32:33], v[30:31], 1, s[28:29]
	v_lshl_add_u64 v[30:31], v[34:35], 1, s[28:29]
	global_load_ushort v34, v[30:31], off
	global_load_ushort v35, v[32:33], off
	s_mov_b64 s[18:19], -1
	s_waitcnt vmcnt(1)
	v_lshlrev_b32_e32 v34, 16, v34
	s_waitcnt vmcnt(0)
	v_lshlrev_b32_e32 v35, 16, v35
	v_cmp_eq_f32_e32 vcc, v35, v34
	s_and_saveexec_b64 s[10:11], vcc
	s_cbranch_execz .LBB1215_116
; %bb.110:
	s_add_u32 s18, s26, -1
	v_lshl_add_u64 v[30:31], v[30:31], 0, 2
	v_lshl_add_u64 v[32:33], v[32:33], 0, 2
	s_addc_u32 s19, s27, -1
	s_mov_b64 s[36:37], 0
	s_mov_b64 s[40:41], 0
                                        ; implicit-def: $sgpr38_sgpr39
	s_branch .LBB1215_113
.LBB1215_111:                           ;   in Loop: Header=BB1215_113 Depth=1
	global_load_ushort v34, v[30:31], off
	global_load_ushort v35, v[32:33], off
	s_add_u32 s40, s40, 1
	s_addc_u32 s41, s41, 0
	s_andn2_b64 s[38:39], s[38:39], exec
	v_lshl_add_u64 v[30:31], v[30:31], 0, 2
	v_lshl_add_u64 v[32:33], v[32:33], 0, 2
	s_waitcnt vmcnt(1)
	v_lshlrev_b32_e32 v34, 16, v34
	s_waitcnt vmcnt(0)
	v_lshlrev_b32_e32 v35, 16, v35
	v_cmp_neq_f32_e32 vcc, v35, v34
	s_and_b64 s[42:43], vcc, exec
	s_or_b64 s[38:39], s[38:39], s[42:43]
.LBB1215_112:                           ;   in Loop: Header=BB1215_113 Depth=1
	s_and_b64 s[42:43], exec, s[38:39]
	s_or_b64 s[36:37], s[42:43], s[36:37]
	v_mov_b64_e32 v[34:35], s[40:41]
	s_andn2_b64 exec, exec, s[36:37]
	s_cbranch_execz .LBB1215_115
.LBB1215_113:                           ; =>This Inner Loop Header: Depth=1
	s_or_b64 s[38:39], s[38:39], exec
	s_cmp_eq_u64 s[18:19], s[40:41]
	s_cbranch_scc0 .LBB1215_111
; %bb.114:                              ;   in Loop: Header=BB1215_113 Depth=1
                                        ; implicit-def: $vgpr30_vgpr31
                                        ; implicit-def: $vgpr32_vgpr33
	s_mov_b64 s[40:41], s[26:27]
	s_branch .LBB1215_112
.LBB1215_115:
	s_or_b64 exec, exec, s[36:37]
	v_cmp_gt_i64_e32 vcc, s[26:27], v[34:35]
	s_orn2_b64 s[18:19], vcc, exec
.LBB1215_116:
	s_or_b64 exec, exec, s[10:11]
.LBB1215_117:
	s_and_b64 s[10:11], s[18:19], exec
.LBB1215_118:
	s_or_b64 exec, exec, s[14:15]
	v_cmp_gt_u32_e32 vcc, s3, v43
	s_and_saveexec_b64 s[14:15], vcc
	s_cbranch_execz .LBB1215_129
; %bb.119:
	s_and_b64 vcc, exec, s[4:5]
	s_mov_b64 s[18:19], 0
	s_cbranch_vccnz .LBB1215_128
; %bb.120:
	s_waitcnt lgkmcnt(0)
	v_mul_lo_u32 v32, v15, s26
	v_mul_lo_u32 v33, v14, s27
	v_mad_u64_u32 v[30:31], s[12:13], v14, s26, 0
	v_add3_u32 v31, v31, v33, v32
	v_mul_lo_u32 v32, v17, s26
	v_mul_lo_u32 v33, v16, s27
	v_mad_u64_u32 v[34:35], s[12:13], v16, s26, 0
	v_add3_u32 v35, v35, v33, v32
	v_lshl_add_u64 v[32:33], v[30:31], 1, s[28:29]
	v_lshl_add_u64 v[30:31], v[34:35], 1, s[28:29]
	global_load_ushort v34, v[30:31], off
	global_load_ushort v35, v[32:33], off
	s_mov_b64 s[18:19], -1
	s_waitcnt vmcnt(1)
	v_lshlrev_b32_e32 v34, 16, v34
	s_waitcnt vmcnt(0)
	v_lshlrev_b32_e32 v35, 16, v35
	v_cmp_eq_f32_e32 vcc, v35, v34
	s_and_saveexec_b64 s[12:13], vcc
	s_cbranch_execz .LBB1215_127
; %bb.121:
	s_add_u32 s18, s26, -1
	v_lshl_add_u64 v[30:31], v[30:31], 0, 2
	v_lshl_add_u64 v[32:33], v[32:33], 0, 2
	s_addc_u32 s19, s27, -1
	s_mov_b64 s[36:37], 0
	s_mov_b64 s[40:41], 0
                                        ; implicit-def: $sgpr38_sgpr39
	s_branch .LBB1215_124
.LBB1215_122:                           ;   in Loop: Header=BB1215_124 Depth=1
	global_load_ushort v34, v[30:31], off
	global_load_ushort v35, v[32:33], off
	s_add_u32 s40, s40, 1
	s_addc_u32 s41, s41, 0
	s_andn2_b64 s[38:39], s[38:39], exec
	v_lshl_add_u64 v[30:31], v[30:31], 0, 2
	v_lshl_add_u64 v[32:33], v[32:33], 0, 2
	s_waitcnt vmcnt(1)
	v_lshlrev_b32_e32 v34, 16, v34
	s_waitcnt vmcnt(0)
	v_lshlrev_b32_e32 v35, 16, v35
	v_cmp_neq_f32_e32 vcc, v35, v34
	s_and_b64 s[42:43], vcc, exec
	s_or_b64 s[38:39], s[38:39], s[42:43]
.LBB1215_123:                           ;   in Loop: Header=BB1215_124 Depth=1
	s_and_b64 s[42:43], exec, s[38:39]
	s_or_b64 s[36:37], s[42:43], s[36:37]
	v_mov_b64_e32 v[34:35], s[40:41]
	s_andn2_b64 exec, exec, s[36:37]
	s_cbranch_execz .LBB1215_126
.LBB1215_124:                           ; =>This Inner Loop Header: Depth=1
	s_or_b64 s[38:39], s[38:39], exec
	s_cmp_eq_u64 s[18:19], s[40:41]
	s_cbranch_scc0 .LBB1215_122
; %bb.125:                              ;   in Loop: Header=BB1215_124 Depth=1
                                        ; implicit-def: $vgpr30_vgpr31
                                        ; implicit-def: $vgpr32_vgpr33
	s_mov_b64 s[40:41], s[26:27]
	s_branch .LBB1215_123
.LBB1215_126:
	s_or_b64 exec, exec, s[36:37]
	v_cmp_gt_i64_e32 vcc, s[26:27], v[34:35]
	s_orn2_b64 s[18:19], vcc, exec
.LBB1215_127:
	s_or_b64 exec, exec, s[12:13]
.LBB1215_128:
	s_and_b64 s[12:13], s[18:19], exec
.LBB1215_129:
	s_or_b64 exec, exec, s[14:15]
	v_cmp_gt_u32_e32 vcc, s3, v39
	s_mov_b64 s[18:19], 0
	s_mov_b64 s[14:15], 0
	s_and_saveexec_b64 s[36:37], vcc
	s_cbranch_execz .LBB1215_140
; %bb.130:
	s_and_b64 vcc, exec, s[4:5]
	s_mov_b64 s[38:39], 0
	s_cbranch_vccnz .LBB1215_139
; %bb.131:
	s_waitcnt lgkmcnt(0)
	v_mul_lo_u32 v32, v21, s26
	v_mul_lo_u32 v33, v20, s27
	v_mad_u64_u32 v[30:31], s[14:15], v20, s26, 0
	v_add3_u32 v31, v31, v33, v32
	v_mul_lo_u32 v32, v15, s26
	v_mul_lo_u32 v33, v14, s27
	v_mad_u64_u32 v[34:35], s[14:15], v14, s26, 0
	v_add3_u32 v35, v35, v33, v32
	v_lshl_add_u64 v[32:33], v[30:31], 1, s[28:29]
	v_lshl_add_u64 v[30:31], v[34:35], 1, s[28:29]
	global_load_ushort v34, v[30:31], off
	global_load_ushort v35, v[32:33], off
	s_mov_b64 s[38:39], -1
	s_waitcnt vmcnt(1)
	v_lshlrev_b32_e32 v34, 16, v34
	s_waitcnt vmcnt(0)
	v_lshlrev_b32_e32 v35, 16, v35
	v_cmp_eq_f32_e32 vcc, v35, v34
	s_and_saveexec_b64 s[14:15], vcc
	s_cbranch_execz .LBB1215_138
; %bb.132:
	s_add_u32 s38, s26, -1
	v_lshl_add_u64 v[30:31], v[30:31], 0, 2
	v_lshl_add_u64 v[32:33], v[32:33], 0, 2
	s_addc_u32 s39, s27, -1
	s_mov_b64 s[40:41], 0
	s_mov_b64 s[44:45], 0
                                        ; implicit-def: $sgpr42_sgpr43
	s_branch .LBB1215_135
.LBB1215_133:                           ;   in Loop: Header=BB1215_135 Depth=1
	global_load_ushort v34, v[30:31], off
	global_load_ushort v35, v[32:33], off
	s_add_u32 s44, s44, 1
	s_addc_u32 s45, s45, 0
	s_andn2_b64 s[42:43], s[42:43], exec
	v_lshl_add_u64 v[30:31], v[30:31], 0, 2
	v_lshl_add_u64 v[32:33], v[32:33], 0, 2
	s_waitcnt vmcnt(1)
	v_lshlrev_b32_e32 v34, 16, v34
	s_waitcnt vmcnt(0)
	v_lshlrev_b32_e32 v35, 16, v35
	v_cmp_neq_f32_e32 vcc, v35, v34
	s_and_b64 s[46:47], vcc, exec
	s_or_b64 s[42:43], s[42:43], s[46:47]
.LBB1215_134:                           ;   in Loop: Header=BB1215_135 Depth=1
	s_and_b64 s[46:47], exec, s[42:43]
	s_or_b64 s[40:41], s[46:47], s[40:41]
	v_mov_b64_e32 v[34:35], s[44:45]
	s_andn2_b64 exec, exec, s[40:41]
	s_cbranch_execz .LBB1215_137
.LBB1215_135:                           ; =>This Inner Loop Header: Depth=1
	s_or_b64 s[42:43], s[42:43], exec
	s_cmp_eq_u64 s[38:39], s[44:45]
	s_cbranch_scc0 .LBB1215_133
; %bb.136:                              ;   in Loop: Header=BB1215_135 Depth=1
                                        ; implicit-def: $vgpr30_vgpr31
                                        ; implicit-def: $vgpr32_vgpr33
	s_mov_b64 s[44:45], s[26:27]
	s_branch .LBB1215_134
.LBB1215_137:
	s_or_b64 exec, exec, s[40:41]
	v_cmp_gt_i64_e32 vcc, s[26:27], v[34:35]
	s_orn2_b64 s[38:39], vcc, exec
.LBB1215_138:
	s_or_b64 exec, exec, s[14:15]
.LBB1215_139:
	s_and_b64 s[14:15], s[38:39], exec
.LBB1215_140:
	s_or_b64 exec, exec, s[36:37]
	v_cmp_gt_u32_e32 vcc, s3, v42
	s_and_saveexec_b64 s[36:37], vcc
	s_cbranch_execz .LBB1215_151
; %bb.141:
	s_and_b64 vcc, exec, s[4:5]
	s_mov_b64 s[38:39], 0
	s_cbranch_vccnz .LBB1215_150
; %bb.142:
	s_waitcnt lgkmcnt(0)
	v_mul_lo_u32 v32, v19, s26
	v_mul_lo_u32 v33, v18, s27
	v_mad_u64_u32 v[30:31], s[18:19], v18, s26, 0
	v_add3_u32 v31, v31, v33, v32
	v_mul_lo_u32 v32, v21, s26
	v_mul_lo_u32 v33, v20, s27
	v_mad_u64_u32 v[34:35], s[18:19], v20, s26, 0
	v_add3_u32 v35, v35, v33, v32
	v_lshl_add_u64 v[32:33], v[30:31], 1, s[28:29]
	v_lshl_add_u64 v[30:31], v[34:35], 1, s[28:29]
	global_load_ushort v34, v[30:31], off
	global_load_ushort v35, v[32:33], off
	s_mov_b64 s[38:39], -1
	s_waitcnt vmcnt(1)
	v_lshlrev_b32_e32 v34, 16, v34
	s_waitcnt vmcnt(0)
	v_lshlrev_b32_e32 v35, 16, v35
	v_cmp_eq_f32_e32 vcc, v35, v34
	s_and_saveexec_b64 s[18:19], vcc
	s_cbranch_execz .LBB1215_149
; %bb.143:
	s_add_u32 s38, s26, -1
	v_lshl_add_u64 v[30:31], v[30:31], 0, 2
	v_lshl_add_u64 v[32:33], v[32:33], 0, 2
	s_addc_u32 s39, s27, -1
	s_mov_b64 s[40:41], 0
	s_mov_b64 s[44:45], 0
                                        ; implicit-def: $sgpr42_sgpr43
	s_branch .LBB1215_146
.LBB1215_144:                           ;   in Loop: Header=BB1215_146 Depth=1
	global_load_ushort v34, v[30:31], off
	global_load_ushort v35, v[32:33], off
	s_add_u32 s44, s44, 1
	s_addc_u32 s45, s45, 0
	s_andn2_b64 s[42:43], s[42:43], exec
	v_lshl_add_u64 v[30:31], v[30:31], 0, 2
	v_lshl_add_u64 v[32:33], v[32:33], 0, 2
	s_waitcnt vmcnt(1)
	v_lshlrev_b32_e32 v34, 16, v34
	s_waitcnt vmcnt(0)
	v_lshlrev_b32_e32 v35, 16, v35
	v_cmp_neq_f32_e32 vcc, v35, v34
	s_and_b64 s[46:47], vcc, exec
	s_or_b64 s[42:43], s[42:43], s[46:47]
.LBB1215_145:                           ;   in Loop: Header=BB1215_146 Depth=1
	s_and_b64 s[46:47], exec, s[42:43]
	s_or_b64 s[40:41], s[46:47], s[40:41]
	v_mov_b64_e32 v[34:35], s[44:45]
	s_andn2_b64 exec, exec, s[40:41]
	s_cbranch_execz .LBB1215_148
.LBB1215_146:                           ; =>This Inner Loop Header: Depth=1
	s_or_b64 s[42:43], s[42:43], exec
	s_cmp_eq_u64 s[38:39], s[44:45]
	s_cbranch_scc0 .LBB1215_144
; %bb.147:                              ;   in Loop: Header=BB1215_146 Depth=1
                                        ; implicit-def: $vgpr30_vgpr31
                                        ; implicit-def: $vgpr32_vgpr33
	s_mov_b64 s[44:45], s[26:27]
	s_branch .LBB1215_145
.LBB1215_148:
	s_or_b64 exec, exec, s[40:41]
	v_cmp_gt_i64_e32 vcc, s[26:27], v[34:35]
	s_orn2_b64 s[38:39], vcc, exec
.LBB1215_149:
	s_or_b64 exec, exec, s[18:19]
.LBB1215_150:
	s_and_b64 s[18:19], s[38:39], exec
.LBB1215_151:
	s_or_b64 exec, exec, s[36:37]
	v_cmp_gt_u32_e32 vcc, s3, v38
	s_mov_b64 s[36:37], 0
	s_mov_b64 s[38:39], 0
	s_and_saveexec_b64 s[40:41], vcc
	s_cbranch_execz .LBB1215_162
; %bb.152:
	s_and_b64 vcc, exec, s[4:5]
	s_mov_b64 s[42:43], 0
	s_cbranch_vccnz .LBB1215_161
; %bb.153:
	s_waitcnt lgkmcnt(0)
	v_mul_lo_u32 v32, v25, s26
	v_mul_lo_u32 v33, v24, s27
	v_mad_u64_u32 v[30:31], s[38:39], v24, s26, 0
	v_add3_u32 v31, v31, v33, v32
	v_mul_lo_u32 v32, v19, s26
	v_mul_lo_u32 v33, v18, s27
	v_mad_u64_u32 v[34:35], s[38:39], v18, s26, 0
	v_add3_u32 v35, v35, v33, v32
	v_lshl_add_u64 v[32:33], v[30:31], 1, s[28:29]
	v_lshl_add_u64 v[30:31], v[34:35], 1, s[28:29]
	global_load_ushort v34, v[30:31], off
	global_load_ushort v35, v[32:33], off
	s_mov_b64 s[42:43], -1
	s_waitcnt vmcnt(1)
	v_lshlrev_b32_e32 v34, 16, v34
	s_waitcnt vmcnt(0)
	v_lshlrev_b32_e32 v35, 16, v35
	v_cmp_eq_f32_e32 vcc, v35, v34
	s_and_saveexec_b64 s[38:39], vcc
	s_cbranch_execz .LBB1215_160
; %bb.154:
	s_add_u32 s42, s26, -1
	v_lshl_add_u64 v[30:31], v[30:31], 0, 2
	v_lshl_add_u64 v[32:33], v[32:33], 0, 2
	s_addc_u32 s43, s27, -1
	s_mov_b64 s[44:45], 0
	s_mov_b64 s[48:49], 0
                                        ; implicit-def: $sgpr46_sgpr47
	s_branch .LBB1215_157
.LBB1215_155:                           ;   in Loop: Header=BB1215_157 Depth=1
	global_load_ushort v34, v[30:31], off
	global_load_ushort v35, v[32:33], off
	s_add_u32 s48, s48, 1
	s_addc_u32 s49, s49, 0
	s_andn2_b64 s[46:47], s[46:47], exec
	v_lshl_add_u64 v[30:31], v[30:31], 0, 2
	v_lshl_add_u64 v[32:33], v[32:33], 0, 2
	s_waitcnt vmcnt(1)
	v_lshlrev_b32_e32 v34, 16, v34
	s_waitcnt vmcnt(0)
	v_lshlrev_b32_e32 v35, 16, v35
	v_cmp_neq_f32_e32 vcc, v35, v34
	s_and_b64 s[50:51], vcc, exec
	s_or_b64 s[46:47], s[46:47], s[50:51]
.LBB1215_156:                           ;   in Loop: Header=BB1215_157 Depth=1
	s_and_b64 s[50:51], exec, s[46:47]
	s_or_b64 s[44:45], s[50:51], s[44:45]
	v_mov_b64_e32 v[34:35], s[48:49]
	s_andn2_b64 exec, exec, s[44:45]
	s_cbranch_execz .LBB1215_159
.LBB1215_157:                           ; =>This Inner Loop Header: Depth=1
	s_or_b64 s[46:47], s[46:47], exec
	s_cmp_eq_u64 s[42:43], s[48:49]
	s_cbranch_scc0 .LBB1215_155
; %bb.158:                              ;   in Loop: Header=BB1215_157 Depth=1
                                        ; implicit-def: $vgpr30_vgpr31
                                        ; implicit-def: $vgpr32_vgpr33
	s_mov_b64 s[48:49], s[26:27]
	s_branch .LBB1215_156
.LBB1215_159:
	s_or_b64 exec, exec, s[44:45]
	v_cmp_gt_i64_e32 vcc, s[26:27], v[34:35]
	s_orn2_b64 s[42:43], vcc, exec
.LBB1215_160:
	s_or_b64 exec, exec, s[38:39]
.LBB1215_161:
	s_and_b64 s[38:39], s[42:43], exec
.LBB1215_162:
	s_or_b64 exec, exec, s[40:41]
	v_cmp_gt_u32_e32 vcc, s3, v41
	s_and_saveexec_b64 s[40:41], vcc
	s_cbranch_execz .LBB1215_173
; %bb.163:
	s_and_b64 vcc, exec, s[4:5]
	s_mov_b64 s[42:43], 0
	s_cbranch_vccnz .LBB1215_172
; %bb.164:
	s_waitcnt lgkmcnt(0)
	v_mul_lo_u32 v32, v23, s26
	v_mul_lo_u32 v33, v22, s27
	v_mad_u64_u32 v[30:31], s[36:37], v22, s26, 0
	v_add3_u32 v31, v31, v33, v32
	v_mul_lo_u32 v32, v25, s26
	v_mul_lo_u32 v33, v24, s27
	v_mad_u64_u32 v[34:35], s[36:37], v24, s26, 0
	v_add3_u32 v35, v35, v33, v32
	v_lshl_add_u64 v[32:33], v[30:31], 1, s[28:29]
	v_lshl_add_u64 v[30:31], v[34:35], 1, s[28:29]
	global_load_ushort v34, v[30:31], off
	global_load_ushort v35, v[32:33], off
	s_mov_b64 s[42:43], -1
	s_waitcnt vmcnt(1)
	v_lshlrev_b32_e32 v34, 16, v34
	s_waitcnt vmcnt(0)
	v_lshlrev_b32_e32 v35, 16, v35
	v_cmp_eq_f32_e32 vcc, v35, v34
	s_and_saveexec_b64 s[36:37], vcc
	s_cbranch_execz .LBB1215_171
; %bb.165:
	s_add_u32 s42, s26, -1
	v_lshl_add_u64 v[30:31], v[30:31], 0, 2
	v_lshl_add_u64 v[32:33], v[32:33], 0, 2
	s_addc_u32 s43, s27, -1
	s_mov_b64 s[44:45], 0
	s_mov_b64 s[48:49], 0
                                        ; implicit-def: $sgpr46_sgpr47
	s_branch .LBB1215_168
.LBB1215_166:                           ;   in Loop: Header=BB1215_168 Depth=1
	global_load_ushort v34, v[30:31], off
	global_load_ushort v35, v[32:33], off
	s_add_u32 s48, s48, 1
	s_addc_u32 s49, s49, 0
	s_andn2_b64 s[46:47], s[46:47], exec
	v_lshl_add_u64 v[30:31], v[30:31], 0, 2
	v_lshl_add_u64 v[32:33], v[32:33], 0, 2
	s_waitcnt vmcnt(1)
	v_lshlrev_b32_e32 v34, 16, v34
	s_waitcnt vmcnt(0)
	v_lshlrev_b32_e32 v35, 16, v35
	v_cmp_neq_f32_e32 vcc, v35, v34
	s_and_b64 s[50:51], vcc, exec
	s_or_b64 s[46:47], s[46:47], s[50:51]
.LBB1215_167:                           ;   in Loop: Header=BB1215_168 Depth=1
	s_and_b64 s[50:51], exec, s[46:47]
	s_or_b64 s[44:45], s[50:51], s[44:45]
	v_mov_b64_e32 v[34:35], s[48:49]
	s_andn2_b64 exec, exec, s[44:45]
	s_cbranch_execz .LBB1215_170
.LBB1215_168:                           ; =>This Inner Loop Header: Depth=1
	s_or_b64 s[46:47], s[46:47], exec
	s_cmp_eq_u64 s[42:43], s[48:49]
	s_cbranch_scc0 .LBB1215_166
; %bb.169:                              ;   in Loop: Header=BB1215_168 Depth=1
                                        ; implicit-def: $vgpr30_vgpr31
                                        ; implicit-def: $vgpr32_vgpr33
	s_mov_b64 s[48:49], s[26:27]
	s_branch .LBB1215_167
.LBB1215_170:
	s_or_b64 exec, exec, s[44:45]
	v_cmp_gt_i64_e32 vcc, s[26:27], v[34:35]
	s_orn2_b64 s[42:43], vcc, exec
.LBB1215_171:
	s_or_b64 exec, exec, s[36:37]
.LBB1215_172:
	s_and_b64 s[36:37], s[42:43], exec
.LBB1215_173:
	s_or_b64 exec, exec, s[40:41]
	v_cmp_ne_u32_e32 vcc, 0, v0
	s_waitcnt lgkmcnt(0)
	v_mov_b64_e32 v[30:31], s[6:7]
	s_barrier
	s_and_saveexec_b64 s[6:7], vcc
	s_cbranch_execz .LBB1215_175
; %bb.174:
	v_add_u32_e32 v30, -8, v45
	ds_read_b64 v[30:31], v30
.LBB1215_175:
	s_or_b64 exec, exec, s[6:7]
	v_cndmask_b32_e64 v33, 0, 1, s[18:19]
	v_cndmask_b32_e64 v32, 0, 1, s[38:39]
	;; [unrolled: 1-line block ×3, first 2 shown]
	v_lshlrev_b16_e32 v33, 8, v33
	v_cmp_gt_u32_e32 vcc, s3, v1
	v_lshlrev_b16_e32 v36, 8, v34
	v_or_b32_sdwa v37, v32, v33 dst_sel:WORD_1 dst_unused:UNUSED_PAD src0_sel:DWORD src1_sel:DWORD
	s_mov_b64 s[18:19], 0
	s_and_saveexec_b64 s[6:7], vcc
	s_cbranch_execz .LBB1215_186
; %bb.176:
	s_and_b64 vcc, exec, s[4:5]
	s_cbranch_vccnz .LBB1215_185
; %bb.177:
	s_waitcnt lgkmcnt(0)
	v_mul_lo_u32 v32, v31, s26
	v_mul_lo_u32 v33, v30, s27
	v_mad_u64_u32 v[30:31], s[4:5], v30, s26, 0
	v_add3_u32 v31, v31, v33, v32
	v_mul_lo_u32 v32, v23, s26
	v_mul_lo_u32 v33, v22, s27
	v_mad_u64_u32 v[34:35], s[4:5], v22, s26, 0
	v_add3_u32 v35, v35, v33, v32
	v_lshl_add_u64 v[32:33], v[30:31], 1, s[28:29]
	v_lshl_add_u64 v[30:31], v[34:35], 1, s[28:29]
	global_load_ushort v34, v[30:31], off
	global_load_ushort v35, v[32:33], off
	s_mov_b64 s[18:19], -1
	s_waitcnt vmcnt(1)
	v_lshlrev_b32_e32 v34, 16, v34
	s_waitcnt vmcnt(0)
	v_lshlrev_b32_e32 v35, 16, v35
	v_cmp_eq_f32_e32 vcc, v35, v34
	s_and_saveexec_b64 s[4:5], vcc
	s_cbranch_execz .LBB1215_184
; %bb.178:
	s_add_u32 s18, s26, -1
	v_lshl_add_u64 v[30:31], v[30:31], 0, 2
	v_lshl_add_u64 v[32:33], v[32:33], 0, 2
	s_addc_u32 s19, s27, -1
	s_mov_b64 s[36:37], 0
	s_mov_b64 s[40:41], 0
                                        ; implicit-def: $sgpr38_sgpr39
	s_branch .LBB1215_181
.LBB1215_179:                           ;   in Loop: Header=BB1215_181 Depth=1
	global_load_ushort v34, v[30:31], off
	global_load_ushort v35, v[32:33], off
	s_add_u32 s40, s40, 1
	s_addc_u32 s41, s41, 0
	s_andn2_b64 s[38:39], s[38:39], exec
	v_lshl_add_u64 v[30:31], v[30:31], 0, 2
	v_lshl_add_u64 v[32:33], v[32:33], 0, 2
	s_waitcnt vmcnt(1)
	v_lshlrev_b32_e32 v34, 16, v34
	s_waitcnt vmcnt(0)
	v_lshlrev_b32_e32 v35, 16, v35
	v_cmp_neq_f32_e32 vcc, v35, v34
	s_and_b64 s[42:43], vcc, exec
	s_or_b64 s[38:39], s[38:39], s[42:43]
.LBB1215_180:                           ;   in Loop: Header=BB1215_181 Depth=1
	s_and_b64 s[42:43], exec, s[38:39]
	s_or_b64 s[36:37], s[42:43], s[36:37]
	v_mov_b64_e32 v[34:35], s[40:41]
	s_andn2_b64 exec, exec, s[36:37]
	s_cbranch_execz .LBB1215_183
.LBB1215_181:                           ; =>This Inner Loop Header: Depth=1
	s_or_b64 s[38:39], s[38:39], exec
	s_cmp_eq_u64 s[18:19], s[40:41]
	s_cbranch_scc0 .LBB1215_179
; %bb.182:                              ;   in Loop: Header=BB1215_181 Depth=1
                                        ; implicit-def: $vgpr30_vgpr31
                                        ; implicit-def: $vgpr32_vgpr33
	s_mov_b64 s[40:41], s[26:27]
	s_branch .LBB1215_180
.LBB1215_183:
	s_or_b64 exec, exec, s[36:37]
	v_cmp_gt_i64_e32 vcc, s[26:27], v[34:35]
	s_orn2_b64 s[18:19], vcc, exec
.LBB1215_184:
	s_or_b64 exec, exec, s[4:5]
.LBB1215_185:
	s_and_b64 s[18:19], s[18:19], exec
.LBB1215_186:
	s_or_b64 exec, exec, s[6:7]
	v_cndmask_b32_e64 v46, 0, 1, s[14:15]
	v_cndmask_b32_e64 v47, 0, 1, s[12:13]
	v_cndmask_b32_e64 v48, 0, 1, s[10:11]
	v_or_b32_e32 v34, v36, v37
.LBB1215_187:
	s_mov_b64 s[10:11], -1
	s_cbranch_execnz .LBB1215_46
.LBB1215_188:
	s_movk_i32 s4, 0xffd0
	v_mad_i32_i24 v44, v0, s4, v44
	s_mov_b64 s[12:13], 0
	s_waitcnt lgkmcnt(0)
	v_cmp_gt_i64_e64 s[6:7], s[26:27], 0
	s_and_b64 vcc, exec, s[34:35]
	ds_write_b64 v44, v[28:29]
	s_cbranch_vccz .LBB1215_196
; %bb.189:
	v_mul_lo_u32 v32, v17, s26
	v_mul_lo_u32 v33, v16, s27
	v_mad_u64_u32 v[30:31], s[4:5], v16, s26, 0
	v_add3_u32 v31, v31, v33, v32
	v_cndmask_b32_e64 v32, 0, 1, s[6:7]
	v_cmp_ne_u32_e64 s[4:5], 1, v32
	s_andn2_b64 vcc, exec, s[6:7]
	v_lshl_add_u64 v[30:31], v[30:31], 1, s[28:29]
	s_cbranch_vccnz .LBB1215_199
; %bb.190:
	v_mul_lo_u32 v34, v29, s26
	v_mul_lo_u32 v35, v28, s27
	v_mad_u64_u32 v[32:33], s[12:13], v28, s26, 0
	v_add3_u32 v33, v33, v35, v34
	v_lshl_add_u64 v[32:33], v[32:33], 1, s[28:29]
	global_load_ushort v34, v[32:33], off
	global_load_ushort v35, v[30:31], off
	s_mov_b64 s[12:13], -1
	s_waitcnt vmcnt(1)
	v_lshlrev_b32_e32 v34, 16, v34
	s_waitcnt vmcnt(0)
	v_lshlrev_b32_e32 v35, 16, v35
	v_cmp_eq_f32_e32 vcc, v35, v34
	s_and_saveexec_b64 s[14:15], vcc
	s_cbranch_execz .LBB1215_198
; %bb.191:
	s_add_u32 s12, s26, -1
	v_lshl_add_u64 v[32:33], v[32:33], 0, 2
	v_lshl_add_u64 v[34:35], v[30:31], 0, 2
	s_addc_u32 s13, s27, -1
	s_mov_b64 s[18:19], 0
	s_mov_b64 s[38:39], 0
                                        ; implicit-def: $sgpr36_sgpr37
	s_branch .LBB1215_194
.LBB1215_192:                           ;   in Loop: Header=BB1215_194 Depth=1
	global_load_ushort v36, v[32:33], off
	global_load_ushort v37, v[34:35], off
	s_add_u32 s38, s38, 1
	s_addc_u32 s39, s39, 0
	s_andn2_b64 s[36:37], s[36:37], exec
	v_lshl_add_u64 v[32:33], v[32:33], 0, 2
	v_lshl_add_u64 v[34:35], v[34:35], 0, 2
	s_waitcnt vmcnt(1)
	v_lshlrev_b32_e32 v36, 16, v36
	s_waitcnt vmcnt(0)
	v_lshlrev_b32_e32 v37, 16, v37
	v_cmp_neq_f32_e32 vcc, v37, v36
	s_and_b64 s[40:41], vcc, exec
	s_or_b64 s[36:37], s[36:37], s[40:41]
.LBB1215_193:                           ;   in Loop: Header=BB1215_194 Depth=1
	s_and_b64 s[40:41], exec, s[36:37]
	s_or_b64 s[18:19], s[40:41], s[18:19]
	v_mov_b64_e32 v[36:37], s[38:39]
	s_andn2_b64 exec, exec, s[18:19]
	s_cbranch_execz .LBB1215_197
.LBB1215_194:                           ; =>This Inner Loop Header: Depth=1
	s_or_b64 s[36:37], s[36:37], exec
	s_cmp_eq_u64 s[12:13], s[38:39]
	s_cbranch_scc0 .LBB1215_192
; %bb.195:                              ;   in Loop: Header=BB1215_194 Depth=1
                                        ; implicit-def: $vgpr32_vgpr33
                                        ; implicit-def: $vgpr34_vgpr35
	s_mov_b64 s[38:39], s[26:27]
	s_branch .LBB1215_193
.LBB1215_196:
                                        ; implicit-def: $sgpr18_sgpr19
                                        ; implicit-def: $vgpr48
                                        ; implicit-def: $vgpr47
                                        ; implicit-def: $vgpr46
                                        ; implicit-def: $vgpr34
                                        ; implicit-def: $vgpr30_vgpr31
	s_cbranch_execnz .LBB1215_256
	s_branch .LBB1215_336
.LBB1215_197:
	s_or_b64 exec, exec, s[18:19]
	v_cmp_gt_i64_e32 vcc, s[26:27], v[36:37]
	s_orn2_b64 s[12:13], vcc, exec
.LBB1215_198:
	s_or_b64 exec, exec, s[14:15]
.LBB1215_199:
	v_mul_lo_u32 v34, v15, s26
	v_mul_lo_u32 v35, v14, s27
	v_mad_u64_u32 v[32:33], s[14:15], v14, s26, 0
	v_add3_u32 v33, v33, v35, v34
	s_mov_b64 s[14:15], 0
	s_and_b64 vcc, exec, s[4:5]
	v_lshl_add_u64 v[32:33], v[32:33], 1, s[28:29]
	s_mov_b64 s[18:19], 0
	s_cbranch_vccnz .LBB1215_208
; %bb.200:
	global_load_ushort v34, v[30:31], off
	global_load_ushort v35, v[32:33], off
	s_mov_b64 s[18:19], -1
	s_waitcnt vmcnt(1)
	v_lshlrev_b32_e32 v34, 16, v34
	s_waitcnt vmcnt(0)
	v_lshlrev_b32_e32 v35, 16, v35
	v_cmp_eq_f32_e32 vcc, v35, v34
	s_and_saveexec_b64 s[36:37], vcc
	s_cbranch_execz .LBB1215_207
; %bb.201:
	s_add_u32 s18, s26, -1
	v_lshl_add_u64 v[30:31], v[30:31], 0, 2
	v_lshl_add_u64 v[34:35], v[32:33], 0, 2
	s_addc_u32 s19, s27, -1
	s_mov_b64 s[38:39], 0
	s_mov_b64 s[42:43], 0
                                        ; implicit-def: $sgpr40_sgpr41
	s_branch .LBB1215_204
.LBB1215_202:                           ;   in Loop: Header=BB1215_204 Depth=1
	global_load_ushort v36, v[30:31], off
	global_load_ushort v37, v[34:35], off
	s_add_u32 s42, s42, 1
	s_addc_u32 s43, s43, 0
	s_andn2_b64 s[40:41], s[40:41], exec
	v_lshl_add_u64 v[30:31], v[30:31], 0, 2
	v_lshl_add_u64 v[34:35], v[34:35], 0, 2
	s_waitcnt vmcnt(1)
	v_lshlrev_b32_e32 v36, 16, v36
	s_waitcnt vmcnt(0)
	v_lshlrev_b32_e32 v37, 16, v37
	v_cmp_neq_f32_e32 vcc, v37, v36
	s_and_b64 s[44:45], vcc, exec
	s_or_b64 s[40:41], s[40:41], s[44:45]
.LBB1215_203:                           ;   in Loop: Header=BB1215_204 Depth=1
	s_and_b64 s[44:45], exec, s[40:41]
	s_or_b64 s[38:39], s[44:45], s[38:39]
	v_mov_b64_e32 v[36:37], s[42:43]
	s_andn2_b64 exec, exec, s[38:39]
	s_cbranch_execz .LBB1215_206
.LBB1215_204:                           ; =>This Inner Loop Header: Depth=1
	s_or_b64 s[40:41], s[40:41], exec
	s_cmp_eq_u64 s[18:19], s[42:43]
	s_cbranch_scc0 .LBB1215_202
; %bb.205:                              ;   in Loop: Header=BB1215_204 Depth=1
                                        ; implicit-def: $vgpr30_vgpr31
                                        ; implicit-def: $vgpr34_vgpr35
	s_mov_b64 s[42:43], s[26:27]
	s_branch .LBB1215_203
.LBB1215_206:
	s_or_b64 exec, exec, s[38:39]
	v_cmp_gt_i64_e32 vcc, s[26:27], v[36:37]
	s_orn2_b64 s[18:19], vcc, exec
.LBB1215_207:
	s_or_b64 exec, exec, s[36:37]
.LBB1215_208:
	v_mul_lo_u32 v34, v21, s26
	v_mul_lo_u32 v35, v20, s27
	v_mad_u64_u32 v[30:31], s[36:37], v20, s26, 0
	v_add3_u32 v31, v31, v35, v34
	s_and_b64 vcc, exec, s[4:5]
	v_lshl_add_u64 v[30:31], v[30:31], 1, s[28:29]
	s_cbranch_vccnz .LBB1215_217
; %bb.209:
	global_load_ushort v34, v[32:33], off
	global_load_ushort v35, v[30:31], off
	s_mov_b64 s[14:15], -1
	s_waitcnt vmcnt(1)
	v_lshlrev_b32_e32 v34, 16, v34
	s_waitcnt vmcnt(0)
	v_lshlrev_b32_e32 v35, 16, v35
	v_cmp_eq_f32_e32 vcc, v35, v34
	s_and_saveexec_b64 s[36:37], vcc
	s_cbranch_execz .LBB1215_216
; %bb.210:
	s_add_u32 s14, s26, -1
	v_lshl_add_u64 v[32:33], v[32:33], 0, 2
	v_lshl_add_u64 v[34:35], v[30:31], 0, 2
	s_addc_u32 s15, s27, -1
	s_mov_b64 s[38:39], 0
	s_mov_b64 s[42:43], 0
                                        ; implicit-def: $sgpr40_sgpr41
	s_branch .LBB1215_213
.LBB1215_211:                           ;   in Loop: Header=BB1215_213 Depth=1
	global_load_ushort v36, v[32:33], off
	global_load_ushort v37, v[34:35], off
	s_add_u32 s42, s42, 1
	s_addc_u32 s43, s43, 0
	s_andn2_b64 s[40:41], s[40:41], exec
	v_lshl_add_u64 v[32:33], v[32:33], 0, 2
	v_lshl_add_u64 v[34:35], v[34:35], 0, 2
	s_waitcnt vmcnt(1)
	v_lshlrev_b32_e32 v36, 16, v36
	s_waitcnt vmcnt(0)
	v_lshlrev_b32_e32 v37, 16, v37
	v_cmp_neq_f32_e32 vcc, v37, v36
	s_and_b64 s[44:45], vcc, exec
	s_or_b64 s[40:41], s[40:41], s[44:45]
.LBB1215_212:                           ;   in Loop: Header=BB1215_213 Depth=1
	s_and_b64 s[44:45], exec, s[40:41]
	s_or_b64 s[38:39], s[44:45], s[38:39]
	v_mov_b64_e32 v[36:37], s[42:43]
	s_andn2_b64 exec, exec, s[38:39]
	s_cbranch_execz .LBB1215_215
.LBB1215_213:                           ; =>This Inner Loop Header: Depth=1
	s_or_b64 s[40:41], s[40:41], exec
	s_cmp_eq_u64 s[14:15], s[42:43]
	s_cbranch_scc0 .LBB1215_211
; %bb.214:                              ;   in Loop: Header=BB1215_213 Depth=1
                                        ; implicit-def: $vgpr32_vgpr33
                                        ; implicit-def: $vgpr34_vgpr35
	s_mov_b64 s[42:43], s[26:27]
	s_branch .LBB1215_212
.LBB1215_215:
	s_or_b64 exec, exec, s[38:39]
	v_cmp_gt_i64_e32 vcc, s[26:27], v[36:37]
	s_orn2_b64 s[14:15], vcc, exec
.LBB1215_216:
	s_or_b64 exec, exec, s[36:37]
.LBB1215_217:
	v_mul_lo_u32 v34, v19, s26
	v_mul_lo_u32 v35, v18, s27
	v_mad_u64_u32 v[32:33], s[36:37], v18, s26, 0
	v_add3_u32 v33, v33, v35, v34
	s_mov_b64 s[36:37], 0
	s_and_b64 vcc, exec, s[4:5]
	v_lshl_add_u64 v[32:33], v[32:33], 1, s[28:29]
	s_mov_b64 s[38:39], 0
	s_cbranch_vccnz .LBB1215_226
; %bb.218:
	global_load_ushort v34, v[30:31], off
	global_load_ushort v35, v[32:33], off
	s_mov_b64 s[38:39], -1
	s_waitcnt vmcnt(1)
	v_lshlrev_b32_e32 v34, 16, v34
	s_waitcnt vmcnt(0)
	v_lshlrev_b32_e32 v35, 16, v35
	v_cmp_eq_f32_e32 vcc, v35, v34
	s_and_saveexec_b64 s[40:41], vcc
	s_cbranch_execz .LBB1215_225
; %bb.219:
	s_add_u32 s38, s26, -1
	v_lshl_add_u64 v[30:31], v[30:31], 0, 2
	v_lshl_add_u64 v[34:35], v[32:33], 0, 2
	s_addc_u32 s39, s27, -1
	s_mov_b64 s[42:43], 0
	s_mov_b64 s[46:47], 0
                                        ; implicit-def: $sgpr44_sgpr45
	s_branch .LBB1215_222
.LBB1215_220:                           ;   in Loop: Header=BB1215_222 Depth=1
	global_load_ushort v36, v[30:31], off
	global_load_ushort v37, v[34:35], off
	s_add_u32 s46, s46, 1
	s_addc_u32 s47, s47, 0
	s_andn2_b64 s[44:45], s[44:45], exec
	v_lshl_add_u64 v[30:31], v[30:31], 0, 2
	v_lshl_add_u64 v[34:35], v[34:35], 0, 2
	s_waitcnt vmcnt(1)
	v_lshlrev_b32_e32 v36, 16, v36
	s_waitcnt vmcnt(0)
	v_lshlrev_b32_e32 v37, 16, v37
	v_cmp_neq_f32_e32 vcc, v37, v36
	s_and_b64 s[48:49], vcc, exec
	s_or_b64 s[44:45], s[44:45], s[48:49]
.LBB1215_221:                           ;   in Loop: Header=BB1215_222 Depth=1
	s_and_b64 s[48:49], exec, s[44:45]
	s_or_b64 s[42:43], s[48:49], s[42:43]
	v_mov_b64_e32 v[36:37], s[46:47]
	s_andn2_b64 exec, exec, s[42:43]
	s_cbranch_execz .LBB1215_224
.LBB1215_222:                           ; =>This Inner Loop Header: Depth=1
	s_or_b64 s[44:45], s[44:45], exec
	s_cmp_eq_u64 s[38:39], s[46:47]
	s_cbranch_scc0 .LBB1215_220
; %bb.223:                              ;   in Loop: Header=BB1215_222 Depth=1
                                        ; implicit-def: $vgpr30_vgpr31
                                        ; implicit-def: $vgpr34_vgpr35
	s_mov_b64 s[46:47], s[26:27]
	s_branch .LBB1215_221
.LBB1215_224:
	s_or_b64 exec, exec, s[42:43]
	v_cmp_gt_i64_e32 vcc, s[26:27], v[36:37]
	s_orn2_b64 s[38:39], vcc, exec
.LBB1215_225:
	s_or_b64 exec, exec, s[40:41]
.LBB1215_226:
	v_mul_lo_u32 v34, v25, s26
	v_mul_lo_u32 v35, v24, s27
	v_mad_u64_u32 v[30:31], s[40:41], v24, s26, 0
	v_add3_u32 v31, v31, v35, v34
	s_and_b64 vcc, exec, s[4:5]
	v_lshl_add_u64 v[30:31], v[30:31], 1, s[28:29]
	s_cbranch_vccnz .LBB1215_235
; %bb.227:
	global_load_ushort v34, v[32:33], off
	global_load_ushort v35, v[30:31], off
	s_mov_b64 s[36:37], -1
	s_waitcnt vmcnt(1)
	v_lshlrev_b32_e32 v34, 16, v34
	s_waitcnt vmcnt(0)
	v_lshlrev_b32_e32 v35, 16, v35
	v_cmp_eq_f32_e32 vcc, v35, v34
	s_and_saveexec_b64 s[40:41], vcc
	s_cbranch_execz .LBB1215_234
; %bb.228:
	s_add_u32 s36, s26, -1
	v_lshl_add_u64 v[32:33], v[32:33], 0, 2
	v_lshl_add_u64 v[34:35], v[30:31], 0, 2
	s_addc_u32 s37, s27, -1
	s_mov_b64 s[42:43], 0
	s_mov_b64 s[46:47], 0
                                        ; implicit-def: $sgpr44_sgpr45
	s_branch .LBB1215_231
.LBB1215_229:                           ;   in Loop: Header=BB1215_231 Depth=1
	global_load_ushort v36, v[32:33], off
	global_load_ushort v37, v[34:35], off
	s_add_u32 s46, s46, 1
	s_addc_u32 s47, s47, 0
	s_andn2_b64 s[44:45], s[44:45], exec
	v_lshl_add_u64 v[32:33], v[32:33], 0, 2
	v_lshl_add_u64 v[34:35], v[34:35], 0, 2
	s_waitcnt vmcnt(1)
	v_lshlrev_b32_e32 v36, 16, v36
	s_waitcnt vmcnt(0)
	v_lshlrev_b32_e32 v37, 16, v37
	v_cmp_neq_f32_e32 vcc, v37, v36
	s_and_b64 s[48:49], vcc, exec
	s_or_b64 s[44:45], s[44:45], s[48:49]
.LBB1215_230:                           ;   in Loop: Header=BB1215_231 Depth=1
	s_and_b64 s[48:49], exec, s[44:45]
	s_or_b64 s[42:43], s[48:49], s[42:43]
	v_mov_b64_e32 v[36:37], s[46:47]
	s_andn2_b64 exec, exec, s[42:43]
	s_cbranch_execz .LBB1215_233
.LBB1215_231:                           ; =>This Inner Loop Header: Depth=1
	s_or_b64 s[44:45], s[44:45], exec
	s_cmp_eq_u64 s[36:37], s[46:47]
	s_cbranch_scc0 .LBB1215_229
; %bb.232:                              ;   in Loop: Header=BB1215_231 Depth=1
                                        ; implicit-def: $vgpr32_vgpr33
                                        ; implicit-def: $vgpr34_vgpr35
	s_mov_b64 s[46:47], s[26:27]
	s_branch .LBB1215_230
.LBB1215_233:
	s_or_b64 exec, exec, s[42:43]
	v_cmp_gt_i64_e32 vcc, s[26:27], v[36:37]
	s_orn2_b64 s[36:37], vcc, exec
.LBB1215_234:
	s_or_b64 exec, exec, s[40:41]
.LBB1215_235:
	v_mul_lo_u32 v34, v23, s26
	v_mul_lo_u32 v35, v22, s27
	v_mad_u64_u32 v[32:33], s[40:41], v22, s26, 0
	v_add3_u32 v33, v33, v35, v34
	s_and_b64 vcc, exec, s[4:5]
	s_mov_b64 s[42:43], 0
	s_cbranch_vccnz .LBB1215_244
; %bb.236:
	v_lshl_add_u64 v[34:35], v[32:33], 1, s[28:29]
	global_load_ushort v36, v[30:31], off
	global_load_ushort v37, v[34:35], off
	s_mov_b64 s[42:43], -1
	s_waitcnt vmcnt(1)
	v_lshlrev_b32_e32 v36, 16, v36
	s_waitcnt vmcnt(0)
	v_lshlrev_b32_e32 v37, 16, v37
	v_cmp_eq_f32_e32 vcc, v37, v36
	s_and_saveexec_b64 s[40:41], vcc
	s_cbranch_execz .LBB1215_243
; %bb.237:
	s_add_u32 s42, s26, -1
	v_lshl_add_u64 v[30:31], v[30:31], 0, 2
	v_lshl_add_u64 v[34:35], v[34:35], 0, 2
	s_addc_u32 s43, s27, -1
	s_mov_b64 s[44:45], 0
	s_mov_b64 s[48:49], 0
                                        ; implicit-def: $sgpr46_sgpr47
	s_branch .LBB1215_240
.LBB1215_238:                           ;   in Loop: Header=BB1215_240 Depth=1
	global_load_ushort v36, v[30:31], off
	global_load_ushort v37, v[34:35], off
	s_add_u32 s48, s48, 1
	s_addc_u32 s49, s49, 0
	s_andn2_b64 s[46:47], s[46:47], exec
	v_lshl_add_u64 v[30:31], v[30:31], 0, 2
	v_lshl_add_u64 v[34:35], v[34:35], 0, 2
	s_waitcnt vmcnt(1)
	v_lshlrev_b32_e32 v36, 16, v36
	s_waitcnt vmcnt(0)
	v_lshlrev_b32_e32 v37, 16, v37
	v_cmp_neq_f32_e32 vcc, v37, v36
	s_and_b64 s[50:51], vcc, exec
	s_or_b64 s[46:47], s[46:47], s[50:51]
.LBB1215_239:                           ;   in Loop: Header=BB1215_240 Depth=1
	s_and_b64 s[50:51], exec, s[46:47]
	s_or_b64 s[44:45], s[50:51], s[44:45]
	v_mov_b64_e32 v[36:37], s[48:49]
	s_andn2_b64 exec, exec, s[44:45]
	s_cbranch_execz .LBB1215_242
.LBB1215_240:                           ; =>This Inner Loop Header: Depth=1
	s_or_b64 s[46:47], s[46:47], exec
	s_cmp_eq_u64 s[42:43], s[48:49]
	s_cbranch_scc0 .LBB1215_238
; %bb.241:                              ;   in Loop: Header=BB1215_240 Depth=1
                                        ; implicit-def: $vgpr30_vgpr31
                                        ; implicit-def: $vgpr34_vgpr35
	s_mov_b64 s[48:49], s[26:27]
	s_branch .LBB1215_239
.LBB1215_242:
	s_or_b64 exec, exec, s[44:45]
	v_cmp_gt_i64_e32 vcc, s[26:27], v[36:37]
	s_orn2_b64 s[42:43], vcc, exec
.LBB1215_243:
	s_or_b64 exec, exec, s[40:41]
.LBB1215_244:
	v_cndmask_b32_e64 v31, 0, 1, s[38:39]
	v_cndmask_b32_e64 v30, 0, 1, s[36:37]
	;; [unrolled: 1-line block ×3, first 2 shown]
	v_lshlrev_b16_e32 v31, 8, v31
	v_cndmask_b32_e64 v46, 0, 1, s[14:15]
	v_cndmask_b32_e64 v34, 0, 1, s[42:43]
	v_or_b32_sdwa v30, v30, v31 dst_sel:WORD_1 dst_unused:UNUSED_PAD src0_sel:DWORD src1_sel:DWORD
	v_lshlrev_b16_e32 v31, 8, v47
	v_lshlrev_b16_e32 v34, 8, v34
	v_or_b32_e32 v31, v46, v31
	v_or_b32_e32 v34, 1, v34
	v_and_b32_e32 v31, 0xffff, v31
	v_cndmask_b32_e64 v48, 0, 1, s[12:13]
	v_or_b32_sdwa v30, v34, v30 dst_sel:DWORD dst_unused:UNUSED_PAD src0_sel:WORD_0 src1_sel:DWORD
	v_lshl_or_b32 v31, v48, 16, v31
	v_cmp_ne_u32_e32 vcc, 0, v0
	s_waitcnt lgkmcnt(0)
	s_barrier
	s_waitcnt lgkmcnt(0)
                                        ; implicit-def: $sgpr18_sgpr19
                                        ; implicit-def: $vgpr34
	s_and_saveexec_b64 s[12:13], vcc
	s_xor_b64 s[12:13], exec, s[12:13]
	s_cbranch_execz .LBB1215_255
; %bb.245:
	s_mov_b32 s33, 0x3020104
	s_and_b64 vcc, exec, s[4:5]
	s_mov_b64 s[14:15], 0
	s_cbranch_vccnz .LBB1215_254
; %bb.246:
	v_add_u32_e32 v31, -8, v44
	ds_read_b64 v[34:35], v31
	v_lshl_add_u64 v[32:33], v[32:33], 1, s[28:29]
	s_mov_b64 s[14:15], -1
	s_waitcnt lgkmcnt(0)
	v_mul_lo_u32 v31, v35, s26
	v_mul_lo_u32 v36, v34, s27
	v_mad_u64_u32 v[34:35], s[4:5], v34, s26, 0
	v_add3_u32 v35, v35, v36, v31
	v_lshl_add_u64 v[34:35], v[34:35], 1, s[28:29]
	global_load_ushort v31, v[34:35], off
	global_load_ushort v36, v[32:33], off
	s_waitcnt vmcnt(1)
	v_lshlrev_b32_e32 v31, 16, v31
	s_waitcnt vmcnt(0)
	v_lshlrev_b32_e32 v36, 16, v36
	v_cmp_eq_f32_e32 vcc, v31, v36
	s_and_saveexec_b64 s[4:5], vcc
	s_cbranch_execz .LBB1215_253
; %bb.247:
	s_add_u32 s14, s26, -1
	v_lshl_add_u64 v[32:33], v[32:33], 0, 2
	v_lshl_add_u64 v[34:35], v[34:35], 0, 2
	s_addc_u32 s15, s27, -1
	s_mov_b64 s[18:19], 0
	s_mov_b64 s[38:39], 0
                                        ; implicit-def: $sgpr36_sgpr37
	s_branch .LBB1215_250
.LBB1215_248:                           ;   in Loop: Header=BB1215_250 Depth=1
	global_load_ushort v31, v[32:33], off
	global_load_ushort v36, v[34:35], off
	s_add_u32 s38, s38, 1
	s_addc_u32 s39, s39, 0
	s_andn2_b64 s[36:37], s[36:37], exec
	v_lshl_add_u64 v[32:33], v[32:33], 0, 2
	v_lshl_add_u64 v[34:35], v[34:35], 0, 2
	s_waitcnt vmcnt(1)
	v_lshlrev_b32_e32 v31, 16, v31
	s_waitcnt vmcnt(0)
	v_lshlrev_b32_e32 v36, 16, v36
	v_cmp_neq_f32_e32 vcc, v36, v31
	s_and_b64 s[40:41], vcc, exec
	s_or_b64 s[36:37], s[36:37], s[40:41]
.LBB1215_249:                           ;   in Loop: Header=BB1215_250 Depth=1
	s_and_b64 s[40:41], exec, s[36:37]
	s_or_b64 s[18:19], s[40:41], s[18:19]
	v_mov_b64_e32 v[36:37], s[38:39]
	s_andn2_b64 exec, exec, s[18:19]
	s_cbranch_execz .LBB1215_252
.LBB1215_250:                           ; =>This Inner Loop Header: Depth=1
	s_or_b64 s[36:37], s[36:37], exec
	s_cmp_eq_u64 s[14:15], s[38:39]
	s_cbranch_scc0 .LBB1215_248
; %bb.251:                              ;   in Loop: Header=BB1215_250 Depth=1
                                        ; implicit-def: $vgpr32_vgpr33
                                        ; implicit-def: $vgpr34_vgpr35
	s_mov_b64 s[38:39], s[26:27]
	s_branch .LBB1215_249
.LBB1215_252:
	s_or_b64 exec, exec, s[18:19]
	v_cmp_gt_i64_e32 vcc, s[26:27], v[36:37]
	s_orn2_b64 s[14:15], vcc, exec
.LBB1215_253:
	s_or_b64 exec, exec, s[4:5]
.LBB1215_254:
	v_perm_b32 v34, v30, v30, s33
	s_and_b64 s[18:19], s[14:15], exec
	s_or_b64 s[10:11], s[10:11], exec
                                        ; implicit-def: $vgpr30_vgpr31
.LBB1215_255:
	s_or_b64 exec, exec, s[12:13]
	s_branch .LBB1215_336
.LBB1215_256:
	v_cmp_gt_u32_e32 vcc, s3, v40
	s_mov_b64 s[12:13], 0
	s_mov_b64 s[4:5], 0
	s_and_saveexec_b64 s[14:15], vcc
	s_cbranch_execz .LBB1215_267
; %bb.257:
	s_andn2_b64 vcc, exec, s[6:7]
	s_mov_b64 s[18:19], 0
	s_cbranch_vccnz .LBB1215_266
; %bb.258:
	v_mul_lo_u32 v32, v17, s26
	v_mul_lo_u32 v33, v16, s27
	v_mad_u64_u32 v[30:31], s[4:5], v16, s26, 0
	v_add3_u32 v31, v31, v33, v32
	v_mul_lo_u32 v32, v29, s26
	v_mul_lo_u32 v33, v28, s27
	v_mad_u64_u32 v[34:35], s[4:5], v28, s26, 0
	v_add3_u32 v35, v35, v33, v32
	v_lshl_add_u64 v[32:33], v[30:31], 1, s[28:29]
	v_lshl_add_u64 v[30:31], v[34:35], 1, s[28:29]
	global_load_ushort v34, v[30:31], off
	global_load_ushort v35, v[32:33], off
	s_mov_b64 s[18:19], -1
	s_waitcnt vmcnt(1)
	v_lshlrev_b32_e32 v34, 16, v34
	s_waitcnt vmcnt(0)
	v_lshlrev_b32_e32 v35, 16, v35
	v_cmp_eq_f32_e32 vcc, v35, v34
	s_and_saveexec_b64 s[4:5], vcc
	s_cbranch_execz .LBB1215_265
; %bb.259:
	s_add_u32 s18, s26, -1
	v_lshl_add_u64 v[30:31], v[30:31], 0, 2
	v_lshl_add_u64 v[32:33], v[32:33], 0, 2
	s_addc_u32 s19, s27, -1
	s_mov_b64 s[36:37], 0
	s_mov_b64 s[40:41], 0
                                        ; implicit-def: $sgpr38_sgpr39
	s_branch .LBB1215_262
.LBB1215_260:                           ;   in Loop: Header=BB1215_262 Depth=1
	global_load_ushort v34, v[30:31], off
	global_load_ushort v35, v[32:33], off
	s_add_u32 s40, s40, 1
	s_addc_u32 s41, s41, 0
	s_andn2_b64 s[38:39], s[38:39], exec
	v_lshl_add_u64 v[30:31], v[30:31], 0, 2
	v_lshl_add_u64 v[32:33], v[32:33], 0, 2
	s_waitcnt vmcnt(1)
	v_lshlrev_b32_e32 v34, 16, v34
	s_waitcnt vmcnt(0)
	v_lshlrev_b32_e32 v35, 16, v35
	v_cmp_neq_f32_e32 vcc, v35, v34
	s_and_b64 s[42:43], vcc, exec
	s_or_b64 s[38:39], s[38:39], s[42:43]
.LBB1215_261:                           ;   in Loop: Header=BB1215_262 Depth=1
	s_and_b64 s[42:43], exec, s[38:39]
	s_or_b64 s[36:37], s[42:43], s[36:37]
	v_mov_b64_e32 v[34:35], s[40:41]
	s_andn2_b64 exec, exec, s[36:37]
	s_cbranch_execz .LBB1215_264
.LBB1215_262:                           ; =>This Inner Loop Header: Depth=1
	s_or_b64 s[38:39], s[38:39], exec
	s_cmp_eq_u64 s[18:19], s[40:41]
	s_cbranch_scc0 .LBB1215_260
; %bb.263:                              ;   in Loop: Header=BB1215_262 Depth=1
                                        ; implicit-def: $vgpr30_vgpr31
                                        ; implicit-def: $vgpr32_vgpr33
	s_mov_b64 s[40:41], s[26:27]
	s_branch .LBB1215_261
.LBB1215_264:
	s_or_b64 exec, exec, s[36:37]
	v_cmp_gt_i64_e32 vcc, s[26:27], v[34:35]
	s_orn2_b64 s[18:19], vcc, exec
.LBB1215_265:
	s_or_b64 exec, exec, s[4:5]
.LBB1215_266:
	s_and_b64 s[4:5], s[18:19], exec
.LBB1215_267:
	s_or_b64 exec, exec, s[14:15]
	v_cmp_gt_u32_e32 vcc, s3, v43
	s_and_saveexec_b64 s[14:15], vcc
	s_cbranch_execz .LBB1215_278
; %bb.268:
	s_andn2_b64 vcc, exec, s[6:7]
	s_mov_b64 s[18:19], 0
	s_cbranch_vccnz .LBB1215_277
; %bb.269:
	v_mul_lo_u32 v32, v15, s26
	v_mul_lo_u32 v33, v14, s27
	v_mad_u64_u32 v[30:31], s[12:13], v14, s26, 0
	v_add3_u32 v31, v31, v33, v32
	v_mul_lo_u32 v32, v17, s26
	v_mul_lo_u32 v33, v16, s27
	v_mad_u64_u32 v[34:35], s[12:13], v16, s26, 0
	v_add3_u32 v35, v35, v33, v32
	v_lshl_add_u64 v[32:33], v[30:31], 1, s[28:29]
	v_lshl_add_u64 v[30:31], v[34:35], 1, s[28:29]
	global_load_ushort v34, v[30:31], off
	global_load_ushort v35, v[32:33], off
	s_mov_b64 s[18:19], -1
	s_waitcnt vmcnt(1)
	v_lshlrev_b32_e32 v34, 16, v34
	s_waitcnt vmcnt(0)
	v_lshlrev_b32_e32 v35, 16, v35
	v_cmp_eq_f32_e32 vcc, v35, v34
	s_and_saveexec_b64 s[12:13], vcc
	s_cbranch_execz .LBB1215_276
; %bb.270:
	s_add_u32 s18, s26, -1
	v_lshl_add_u64 v[30:31], v[30:31], 0, 2
	v_lshl_add_u64 v[32:33], v[32:33], 0, 2
	s_addc_u32 s19, s27, -1
	s_mov_b64 s[36:37], 0
	s_mov_b64 s[40:41], 0
                                        ; implicit-def: $sgpr38_sgpr39
	s_branch .LBB1215_273
.LBB1215_271:                           ;   in Loop: Header=BB1215_273 Depth=1
	global_load_ushort v34, v[30:31], off
	global_load_ushort v35, v[32:33], off
	s_add_u32 s40, s40, 1
	s_addc_u32 s41, s41, 0
	s_andn2_b64 s[38:39], s[38:39], exec
	v_lshl_add_u64 v[30:31], v[30:31], 0, 2
	v_lshl_add_u64 v[32:33], v[32:33], 0, 2
	s_waitcnt vmcnt(1)
	v_lshlrev_b32_e32 v34, 16, v34
	s_waitcnt vmcnt(0)
	v_lshlrev_b32_e32 v35, 16, v35
	v_cmp_neq_f32_e32 vcc, v35, v34
	s_and_b64 s[42:43], vcc, exec
	s_or_b64 s[38:39], s[38:39], s[42:43]
.LBB1215_272:                           ;   in Loop: Header=BB1215_273 Depth=1
	s_and_b64 s[42:43], exec, s[38:39]
	s_or_b64 s[36:37], s[42:43], s[36:37]
	v_mov_b64_e32 v[34:35], s[40:41]
	s_andn2_b64 exec, exec, s[36:37]
	s_cbranch_execz .LBB1215_275
.LBB1215_273:                           ; =>This Inner Loop Header: Depth=1
	s_or_b64 s[38:39], s[38:39], exec
	s_cmp_eq_u64 s[18:19], s[40:41]
	s_cbranch_scc0 .LBB1215_271
; %bb.274:                              ;   in Loop: Header=BB1215_273 Depth=1
                                        ; implicit-def: $vgpr30_vgpr31
                                        ; implicit-def: $vgpr32_vgpr33
	s_mov_b64 s[40:41], s[26:27]
	s_branch .LBB1215_272
.LBB1215_275:
	s_or_b64 exec, exec, s[36:37]
	v_cmp_gt_i64_e32 vcc, s[26:27], v[34:35]
	s_orn2_b64 s[18:19], vcc, exec
.LBB1215_276:
	s_or_b64 exec, exec, s[12:13]
.LBB1215_277:
	s_and_b64 s[12:13], s[18:19], exec
.LBB1215_278:
	s_or_b64 exec, exec, s[14:15]
	v_cmp_gt_u32_e32 vcc, s3, v39
	s_mov_b64 s[18:19], 0
	s_mov_b64 s[14:15], 0
	s_and_saveexec_b64 s[36:37], vcc
	s_cbranch_execz .LBB1215_289
; %bb.279:
	s_andn2_b64 vcc, exec, s[6:7]
	s_mov_b64 s[38:39], 0
	s_cbranch_vccnz .LBB1215_288
; %bb.280:
	v_mul_lo_u32 v32, v21, s26
	v_mul_lo_u32 v33, v20, s27
	v_mad_u64_u32 v[30:31], s[14:15], v20, s26, 0
	v_add3_u32 v31, v31, v33, v32
	v_mul_lo_u32 v32, v15, s26
	v_mul_lo_u32 v33, v14, s27
	v_mad_u64_u32 v[34:35], s[14:15], v14, s26, 0
	v_add3_u32 v35, v35, v33, v32
	v_lshl_add_u64 v[32:33], v[30:31], 1, s[28:29]
	v_lshl_add_u64 v[30:31], v[34:35], 1, s[28:29]
	global_load_ushort v34, v[30:31], off
	global_load_ushort v35, v[32:33], off
	s_mov_b64 s[38:39], -1
	s_waitcnt vmcnt(1)
	v_lshlrev_b32_e32 v34, 16, v34
	s_waitcnt vmcnt(0)
	v_lshlrev_b32_e32 v35, 16, v35
	v_cmp_eq_f32_e32 vcc, v35, v34
	s_and_saveexec_b64 s[14:15], vcc
	s_cbranch_execz .LBB1215_287
; %bb.281:
	s_add_u32 s38, s26, -1
	v_lshl_add_u64 v[30:31], v[30:31], 0, 2
	v_lshl_add_u64 v[32:33], v[32:33], 0, 2
	s_addc_u32 s39, s27, -1
	s_mov_b64 s[40:41], 0
	s_mov_b64 s[44:45], 0
                                        ; implicit-def: $sgpr42_sgpr43
	s_branch .LBB1215_284
.LBB1215_282:                           ;   in Loop: Header=BB1215_284 Depth=1
	global_load_ushort v34, v[30:31], off
	global_load_ushort v35, v[32:33], off
	s_add_u32 s44, s44, 1
	s_addc_u32 s45, s45, 0
	s_andn2_b64 s[42:43], s[42:43], exec
	v_lshl_add_u64 v[30:31], v[30:31], 0, 2
	v_lshl_add_u64 v[32:33], v[32:33], 0, 2
	s_waitcnt vmcnt(1)
	v_lshlrev_b32_e32 v34, 16, v34
	s_waitcnt vmcnt(0)
	v_lshlrev_b32_e32 v35, 16, v35
	v_cmp_neq_f32_e32 vcc, v35, v34
	s_and_b64 s[46:47], vcc, exec
	s_or_b64 s[42:43], s[42:43], s[46:47]
.LBB1215_283:                           ;   in Loop: Header=BB1215_284 Depth=1
	s_and_b64 s[46:47], exec, s[42:43]
	s_or_b64 s[40:41], s[46:47], s[40:41]
	v_mov_b64_e32 v[34:35], s[44:45]
	s_andn2_b64 exec, exec, s[40:41]
	s_cbranch_execz .LBB1215_286
.LBB1215_284:                           ; =>This Inner Loop Header: Depth=1
	s_or_b64 s[42:43], s[42:43], exec
	s_cmp_eq_u64 s[38:39], s[44:45]
	s_cbranch_scc0 .LBB1215_282
; %bb.285:                              ;   in Loop: Header=BB1215_284 Depth=1
                                        ; implicit-def: $vgpr30_vgpr31
                                        ; implicit-def: $vgpr32_vgpr33
	s_mov_b64 s[44:45], s[26:27]
	s_branch .LBB1215_283
.LBB1215_286:
	s_or_b64 exec, exec, s[40:41]
	v_cmp_gt_i64_e32 vcc, s[26:27], v[34:35]
	s_orn2_b64 s[38:39], vcc, exec
.LBB1215_287:
	s_or_b64 exec, exec, s[14:15]
.LBB1215_288:
	s_and_b64 s[14:15], s[38:39], exec
.LBB1215_289:
	s_or_b64 exec, exec, s[36:37]
	v_cmp_gt_u32_e32 vcc, s3, v42
	s_and_saveexec_b64 s[36:37], vcc
	s_cbranch_execz .LBB1215_300
; %bb.290:
	s_andn2_b64 vcc, exec, s[6:7]
	s_mov_b64 s[38:39], 0
	s_cbranch_vccnz .LBB1215_299
; %bb.291:
	v_mul_lo_u32 v32, v19, s26
	v_mul_lo_u32 v33, v18, s27
	v_mad_u64_u32 v[30:31], s[18:19], v18, s26, 0
	v_add3_u32 v31, v31, v33, v32
	v_mul_lo_u32 v32, v21, s26
	v_mul_lo_u32 v33, v20, s27
	v_mad_u64_u32 v[34:35], s[18:19], v20, s26, 0
	v_add3_u32 v35, v35, v33, v32
	v_lshl_add_u64 v[32:33], v[30:31], 1, s[28:29]
	v_lshl_add_u64 v[30:31], v[34:35], 1, s[28:29]
	global_load_ushort v34, v[30:31], off
	global_load_ushort v35, v[32:33], off
	s_mov_b64 s[38:39], -1
	s_waitcnt vmcnt(1)
	v_lshlrev_b32_e32 v34, 16, v34
	s_waitcnt vmcnt(0)
	v_lshlrev_b32_e32 v35, 16, v35
	v_cmp_eq_f32_e32 vcc, v35, v34
	s_and_saveexec_b64 s[18:19], vcc
	s_cbranch_execz .LBB1215_298
; %bb.292:
	s_add_u32 s38, s26, -1
	v_lshl_add_u64 v[30:31], v[30:31], 0, 2
	v_lshl_add_u64 v[32:33], v[32:33], 0, 2
	s_addc_u32 s39, s27, -1
	s_mov_b64 s[40:41], 0
	s_mov_b64 s[44:45], 0
                                        ; implicit-def: $sgpr42_sgpr43
	s_branch .LBB1215_295
.LBB1215_293:                           ;   in Loop: Header=BB1215_295 Depth=1
	global_load_ushort v34, v[30:31], off
	global_load_ushort v35, v[32:33], off
	s_add_u32 s44, s44, 1
	s_addc_u32 s45, s45, 0
	s_andn2_b64 s[42:43], s[42:43], exec
	v_lshl_add_u64 v[30:31], v[30:31], 0, 2
	v_lshl_add_u64 v[32:33], v[32:33], 0, 2
	s_waitcnt vmcnt(1)
	v_lshlrev_b32_e32 v34, 16, v34
	s_waitcnt vmcnt(0)
	v_lshlrev_b32_e32 v35, 16, v35
	v_cmp_neq_f32_e32 vcc, v35, v34
	s_and_b64 s[46:47], vcc, exec
	s_or_b64 s[42:43], s[42:43], s[46:47]
.LBB1215_294:                           ;   in Loop: Header=BB1215_295 Depth=1
	s_and_b64 s[46:47], exec, s[42:43]
	s_or_b64 s[40:41], s[46:47], s[40:41]
	v_mov_b64_e32 v[34:35], s[44:45]
	s_andn2_b64 exec, exec, s[40:41]
	s_cbranch_execz .LBB1215_297
.LBB1215_295:                           ; =>This Inner Loop Header: Depth=1
	s_or_b64 s[42:43], s[42:43], exec
	s_cmp_eq_u64 s[38:39], s[44:45]
	s_cbranch_scc0 .LBB1215_293
; %bb.296:                              ;   in Loop: Header=BB1215_295 Depth=1
                                        ; implicit-def: $vgpr30_vgpr31
                                        ; implicit-def: $vgpr32_vgpr33
	s_mov_b64 s[44:45], s[26:27]
	s_branch .LBB1215_294
.LBB1215_297:
	s_or_b64 exec, exec, s[40:41]
	v_cmp_gt_i64_e32 vcc, s[26:27], v[34:35]
	s_orn2_b64 s[38:39], vcc, exec
.LBB1215_298:
	s_or_b64 exec, exec, s[18:19]
.LBB1215_299:
	s_and_b64 s[18:19], s[38:39], exec
.LBB1215_300:
	s_or_b64 exec, exec, s[36:37]
	v_cmp_gt_u32_e32 vcc, s3, v38
	s_mov_b64 s[36:37], 0
	s_mov_b64 s[38:39], 0
	s_and_saveexec_b64 s[40:41], vcc
	s_cbranch_execz .LBB1215_311
; %bb.301:
	s_andn2_b64 vcc, exec, s[6:7]
	s_mov_b64 s[42:43], 0
	s_cbranch_vccnz .LBB1215_310
; %bb.302:
	v_mul_lo_u32 v32, v25, s26
	v_mul_lo_u32 v33, v24, s27
	v_mad_u64_u32 v[30:31], s[38:39], v24, s26, 0
	v_add3_u32 v31, v31, v33, v32
	v_mul_lo_u32 v32, v19, s26
	v_mul_lo_u32 v33, v18, s27
	v_mad_u64_u32 v[34:35], s[38:39], v18, s26, 0
	v_add3_u32 v35, v35, v33, v32
	v_lshl_add_u64 v[32:33], v[30:31], 1, s[28:29]
	v_lshl_add_u64 v[30:31], v[34:35], 1, s[28:29]
	global_load_ushort v34, v[30:31], off
	global_load_ushort v35, v[32:33], off
	s_mov_b64 s[42:43], -1
	s_waitcnt vmcnt(1)
	v_lshlrev_b32_e32 v34, 16, v34
	s_waitcnt vmcnt(0)
	v_lshlrev_b32_e32 v35, 16, v35
	v_cmp_eq_f32_e32 vcc, v35, v34
	s_and_saveexec_b64 s[38:39], vcc
	s_cbranch_execz .LBB1215_309
; %bb.303:
	s_add_u32 s42, s26, -1
	v_lshl_add_u64 v[30:31], v[30:31], 0, 2
	v_lshl_add_u64 v[32:33], v[32:33], 0, 2
	s_addc_u32 s43, s27, -1
	s_mov_b64 s[44:45], 0
	s_mov_b64 s[48:49], 0
                                        ; implicit-def: $sgpr46_sgpr47
	s_branch .LBB1215_306
.LBB1215_304:                           ;   in Loop: Header=BB1215_306 Depth=1
	global_load_ushort v34, v[30:31], off
	global_load_ushort v35, v[32:33], off
	s_add_u32 s48, s48, 1
	s_addc_u32 s49, s49, 0
	s_andn2_b64 s[46:47], s[46:47], exec
	v_lshl_add_u64 v[30:31], v[30:31], 0, 2
	v_lshl_add_u64 v[32:33], v[32:33], 0, 2
	s_waitcnt vmcnt(1)
	v_lshlrev_b32_e32 v34, 16, v34
	s_waitcnt vmcnt(0)
	v_lshlrev_b32_e32 v35, 16, v35
	v_cmp_neq_f32_e32 vcc, v35, v34
	s_and_b64 s[50:51], vcc, exec
	s_or_b64 s[46:47], s[46:47], s[50:51]
.LBB1215_305:                           ;   in Loop: Header=BB1215_306 Depth=1
	s_and_b64 s[50:51], exec, s[46:47]
	s_or_b64 s[44:45], s[50:51], s[44:45]
	v_mov_b64_e32 v[34:35], s[48:49]
	s_andn2_b64 exec, exec, s[44:45]
	s_cbranch_execz .LBB1215_308
.LBB1215_306:                           ; =>This Inner Loop Header: Depth=1
	s_or_b64 s[46:47], s[46:47], exec
	s_cmp_eq_u64 s[42:43], s[48:49]
	s_cbranch_scc0 .LBB1215_304
; %bb.307:                              ;   in Loop: Header=BB1215_306 Depth=1
                                        ; implicit-def: $vgpr30_vgpr31
                                        ; implicit-def: $vgpr32_vgpr33
	s_mov_b64 s[48:49], s[26:27]
	s_branch .LBB1215_305
.LBB1215_308:
	s_or_b64 exec, exec, s[44:45]
	v_cmp_gt_i64_e32 vcc, s[26:27], v[34:35]
	s_orn2_b64 s[42:43], vcc, exec
.LBB1215_309:
	s_or_b64 exec, exec, s[38:39]
.LBB1215_310:
	s_and_b64 s[38:39], s[42:43], exec
.LBB1215_311:
	s_or_b64 exec, exec, s[40:41]
	v_cmp_gt_u32_e32 vcc, s3, v41
	s_and_saveexec_b64 s[40:41], vcc
	s_cbranch_execz .LBB1215_322
; %bb.312:
	s_andn2_b64 vcc, exec, s[6:7]
	s_mov_b64 s[42:43], 0
	s_cbranch_vccnz .LBB1215_321
; %bb.313:
	v_mul_lo_u32 v32, v23, s26
	v_mul_lo_u32 v33, v22, s27
	v_mad_u64_u32 v[30:31], s[36:37], v22, s26, 0
	v_add3_u32 v31, v31, v33, v32
	v_mul_lo_u32 v32, v25, s26
	v_mul_lo_u32 v33, v24, s27
	v_mad_u64_u32 v[34:35], s[36:37], v24, s26, 0
	v_add3_u32 v35, v35, v33, v32
	v_lshl_add_u64 v[32:33], v[30:31], 1, s[28:29]
	v_lshl_add_u64 v[30:31], v[34:35], 1, s[28:29]
	global_load_ushort v34, v[30:31], off
	global_load_ushort v35, v[32:33], off
	s_mov_b64 s[42:43], -1
	s_waitcnt vmcnt(1)
	v_lshlrev_b32_e32 v34, 16, v34
	s_waitcnt vmcnt(0)
	v_lshlrev_b32_e32 v35, 16, v35
	v_cmp_eq_f32_e32 vcc, v35, v34
	s_and_saveexec_b64 s[36:37], vcc
	s_cbranch_execz .LBB1215_320
; %bb.314:
	s_add_u32 s42, s26, -1
	v_lshl_add_u64 v[30:31], v[30:31], 0, 2
	v_lshl_add_u64 v[32:33], v[32:33], 0, 2
	s_addc_u32 s43, s27, -1
	s_mov_b64 s[44:45], 0
	s_mov_b64 s[48:49], 0
                                        ; implicit-def: $sgpr46_sgpr47
	s_branch .LBB1215_317
.LBB1215_315:                           ;   in Loop: Header=BB1215_317 Depth=1
	global_load_ushort v34, v[30:31], off
	global_load_ushort v35, v[32:33], off
	s_add_u32 s48, s48, 1
	s_addc_u32 s49, s49, 0
	s_andn2_b64 s[46:47], s[46:47], exec
	v_lshl_add_u64 v[30:31], v[30:31], 0, 2
	v_lshl_add_u64 v[32:33], v[32:33], 0, 2
	s_waitcnt vmcnt(1)
	v_lshlrev_b32_e32 v34, 16, v34
	s_waitcnt vmcnt(0)
	v_lshlrev_b32_e32 v35, 16, v35
	v_cmp_neq_f32_e32 vcc, v35, v34
	s_and_b64 s[50:51], vcc, exec
	s_or_b64 s[46:47], s[46:47], s[50:51]
.LBB1215_316:                           ;   in Loop: Header=BB1215_317 Depth=1
	s_and_b64 s[50:51], exec, s[46:47]
	s_or_b64 s[44:45], s[50:51], s[44:45]
	v_mov_b64_e32 v[34:35], s[48:49]
	s_andn2_b64 exec, exec, s[44:45]
	s_cbranch_execz .LBB1215_319
.LBB1215_317:                           ; =>This Inner Loop Header: Depth=1
	s_or_b64 s[46:47], s[46:47], exec
	s_cmp_eq_u64 s[42:43], s[48:49]
	s_cbranch_scc0 .LBB1215_315
; %bb.318:                              ;   in Loop: Header=BB1215_317 Depth=1
                                        ; implicit-def: $vgpr30_vgpr31
                                        ; implicit-def: $vgpr32_vgpr33
	s_mov_b64 s[48:49], s[26:27]
	s_branch .LBB1215_316
.LBB1215_319:
	s_or_b64 exec, exec, s[44:45]
	v_cmp_gt_i64_e32 vcc, s[26:27], v[34:35]
	s_orn2_b64 s[42:43], vcc, exec
.LBB1215_320:
	s_or_b64 exec, exec, s[36:37]
.LBB1215_321:
	s_and_b64 s[36:37], s[42:43], exec
.LBB1215_322:
	s_or_b64 exec, exec, s[40:41]
	v_cndmask_b32_e64 v31, 0, 1, s[18:19]
	v_cndmask_b32_e64 v30, 0, 1, s[38:39]
	v_cndmask_b32_e64 v47, 0, 1, s[12:13]
	v_lshlrev_b16_e32 v31, 8, v31
	v_cndmask_b32_e64 v46, 0, 1, s[14:15]
	v_cndmask_b32_e64 v32, 0, 1, s[36:37]
	v_or_b32_sdwa v30, v30, v31 dst_sel:WORD_1 dst_unused:UNUSED_PAD src0_sel:DWORD src1_sel:DWORD
	v_lshlrev_b16_e32 v31, 8, v47
	v_lshlrev_b16_e32 v32, 8, v32
	v_or_b32_e32 v31, v46, v31
	v_or_b32_e32 v32, 1, v32
	v_and_b32_e32 v31, 0xffff, v31
	v_cndmask_b32_e64 v48, 0, 1, s[4:5]
	v_or_b32_sdwa v30, v32, v30 dst_sel:DWORD dst_unused:UNUSED_PAD src0_sel:WORD_0 src1_sel:DWORD
	v_lshl_or_b32 v31, v48, 16, v31
	v_cmp_ne_u32_e32 vcc, 0, v0
	s_waitcnt lgkmcnt(0)
	s_barrier
	s_waitcnt lgkmcnt(0)
                                        ; implicit-def: $sgpr18_sgpr19
                                        ; implicit-def: $vgpr34
	s_and_saveexec_b64 s[4:5], vcc
	s_cbranch_execz .LBB1215_335
; %bb.323:
	v_cmp_gt_u32_e32 vcc, s3, v1
	s_mov_b32 s33, 0x3020104
	s_mov_b64 s[14:15], 0
	s_and_saveexec_b64 s[12:13], vcc
	s_cbranch_execz .LBB1215_334
; %bb.324:
	s_andn2_b64 vcc, exec, s[6:7]
	s_cbranch_vccnz .LBB1215_333
; %bb.325:
	v_add_u32_e32 v31, -8, v44
	ds_read_b64 v[32:33], v31
	v_mul_lo_u32 v31, v23, s26
	v_mad_u64_u32 v[36:37], s[6:7], v22, s26, 0
	s_mov_b64 s[14:15], -1
	s_waitcnt lgkmcnt(0)
	v_mul_lo_u32 v34, v33, s26
	v_mul_lo_u32 v35, v32, s27
	v_mad_u64_u32 v[32:33], s[6:7], v32, s26, 0
	v_add3_u32 v33, v33, v35, v34
	v_mul_lo_u32 v34, v22, s27
	v_add3_u32 v37, v37, v34, v31
	v_lshl_add_u64 v[34:35], v[32:33], 1, s[28:29]
	v_lshl_add_u64 v[32:33], v[36:37], 1, s[28:29]
	global_load_ushort v31, v[32:33], off
	global_load_ushort v36, v[34:35], off
	s_waitcnt vmcnt(1)
	v_lshlrev_b32_e32 v31, 16, v31
	s_waitcnt vmcnt(0)
	v_lshlrev_b32_e32 v36, 16, v36
	v_cmp_eq_f32_e32 vcc, v36, v31
	s_and_saveexec_b64 s[6:7], vcc
	s_cbranch_execz .LBB1215_332
; %bb.326:
	s_add_u32 s14, s26, -1
	v_lshl_add_u64 v[32:33], v[32:33], 0, 2
	v_lshl_add_u64 v[34:35], v[34:35], 0, 2
	s_addc_u32 s15, s27, -1
	s_mov_b64 s[18:19], 0
	s_mov_b64 s[36:37], 0
                                        ; implicit-def: $sgpr28_sgpr29
	s_branch .LBB1215_329
.LBB1215_327:                           ;   in Loop: Header=BB1215_329 Depth=1
	global_load_ushort v31, v[32:33], off
	global_load_ushort v36, v[34:35], off
	s_add_u32 s36, s36, 1
	s_addc_u32 s37, s37, 0
	s_andn2_b64 s[28:29], s[28:29], exec
	v_lshl_add_u64 v[32:33], v[32:33], 0, 2
	v_lshl_add_u64 v[34:35], v[34:35], 0, 2
	s_waitcnt vmcnt(1)
	v_lshlrev_b32_e32 v31, 16, v31
	s_waitcnt vmcnt(0)
	v_lshlrev_b32_e32 v36, 16, v36
	v_cmp_neq_f32_e32 vcc, v36, v31
	s_and_b64 s[38:39], vcc, exec
	s_or_b64 s[28:29], s[28:29], s[38:39]
.LBB1215_328:                           ;   in Loop: Header=BB1215_329 Depth=1
	s_and_b64 s[38:39], exec, s[28:29]
	s_or_b64 s[18:19], s[38:39], s[18:19]
	v_mov_b64_e32 v[36:37], s[36:37]
	s_andn2_b64 exec, exec, s[18:19]
	s_cbranch_execz .LBB1215_331
.LBB1215_329:                           ; =>This Inner Loop Header: Depth=1
	s_or_b64 s[28:29], s[28:29], exec
	s_cmp_eq_u64 s[14:15], s[36:37]
	s_cbranch_scc0 .LBB1215_327
; %bb.330:                              ;   in Loop: Header=BB1215_329 Depth=1
                                        ; implicit-def: $vgpr32_vgpr33
                                        ; implicit-def: $vgpr34_vgpr35
	s_mov_b64 s[36:37], s[26:27]
	s_branch .LBB1215_328
.LBB1215_331:
	s_or_b64 exec, exec, s[18:19]
	v_cmp_gt_i64_e32 vcc, s[26:27], v[36:37]
	s_orn2_b64 s[14:15], vcc, exec
.LBB1215_332:
	s_or_b64 exec, exec, s[6:7]
.LBB1215_333:
	s_and_b64 s[14:15], s[14:15], exec
.LBB1215_334:
	s_or_b64 exec, exec, s[12:13]
	v_perm_b32 v34, v30, v30, s33
	s_and_b64 s[18:19], s[14:15], exec
	s_or_b64 s[10:11], s[10:11], exec
                                        ; implicit-def: $vgpr30_vgpr31
.LBB1215_335:
	s_or_b64 exec, exec, s[4:5]
.LBB1215_336:
	s_and_saveexec_b64 s[4:5], s[10:11]
	s_cbranch_execz .LBB1215_338
; %bb.337:
	s_waitcnt lgkmcnt(0)
	v_lshlrev_b16_e32 v31, 8, v47
	v_and_b32_e32 v32, 0xff, v48
	v_or_b32_sdwa v31, v46, v31 dst_sel:DWORD dst_unused:UNUSED_PAD src0_sel:BYTE_0 src1_sel:DWORD
	v_lshlrev_b32_e32 v32, 16, v32
	s_movk_i32 s6, 0xff
	v_or_b32_sdwa v31, v31, v32 dst_sel:DWORD dst_unused:UNUSED_PAD src0_sel:WORD_0 src1_sel:DWORD
	v_lshrrev_b32_e32 v32, 24, v34
	v_lshlrev_b16_e32 v32, 8, v32
	v_and_b32_sdwa v33, v34, s6 dst_sel:DWORD dst_unused:UNUSED_PAD src0_sel:WORD_1 src1_sel:DWORD
	v_or_b32_sdwa v32, v33, v32 dst_sel:WORD_1 dst_unused:UNUSED_PAD src0_sel:DWORD src1_sel:DWORD
	v_mov_b32_e32 v33, 8
	v_cndmask_b32_e64 v30, 0, 1, s[18:19]
	v_lshrrev_b32_sdwa v33, v33, v34 dst_sel:BYTE_1 dst_unused:UNUSED_PAD src0_sel:DWORD src1_sel:DWORD
	s_nop 0
	v_or_b32_e32 v30, v30, v33
	v_or_b32_sdwa v30, v30, v32 dst_sel:DWORD dst_unused:UNUSED_PAD src0_sel:WORD_0 src1_sel:DWORD
.LBB1215_338:
	s_or_b64 exec, exec, s[4:5]
	s_andn2_b64 vcc, exec, s[8:9]
	s_cbranch_vccnz .LBB1215_340
; %bb.339:
	s_waitcnt lgkmcnt(0)
	v_and_b32_e32 v32, 0xffff0000, v30
	v_cmp_gt_u32_e32 vcc, s3, v1
	s_mov_b32 s4, 0x40c0100
	s_nop 0
	v_cndmask_b32_e32 v1, v32, v30, vcc
	v_and_b32_e32 v1, 0xffff00ff, v1
	v_cmp_gt_u32_e32 vcc, s3, v41
	s_nop 1
	v_cndmask_b32_e32 v1, v1, v30, vcc
	v_lshrrev_b32_e32 v32, 24, v1
	v_perm_b32 v1, v32, v1, s4
	v_cmp_gt_u32_e32 vcc, s3, v38
	v_and_b32_e32 v32, 0xffffff00, v31
	s_nop 0
	v_cndmask_b32_e32 v1, v1, v30, vcc
	v_and_b32_e32 v1, 0xffffff, v1
	v_cmp_gt_u32_e32 vcc, s3, v42
	s_nop 1
	v_cndmask_b32_e32 v1, v1, v30, vcc
	v_cmp_gt_u32_e32 vcc, s3, v39
	s_nop 1
	v_cndmask_b32_e32 v32, v32, v31, vcc
	v_and_b32_e32 v32, 0xffff00ff, v32
	v_cndmask_b32_e32 v1, v1, v30, vcc
	v_cmp_gt_u32_e32 vcc, s3, v43
	s_nop 1
	v_cndmask_b32_e32 v32, v32, v31, vcc
	v_lshrrev_b32_e32 v33, 24, v32
	v_cndmask_b32_e32 v1, v1, v30, vcc
	v_perm_b32 v32, v33, v32, s4
	v_cmp_gt_u32_e32 vcc, s3, v40
	s_mov_b32 s3, 0x3020104
	s_nop 0
	v_cndmask_b32_e32 v1, v1, v30, vcc
	v_cndmask_b32_e32 v30, v32, v31, vcc
	v_mov_b32_e32 v31, 8
	v_lshrrev_b32_sdwa v31, v31, v30 dst_sel:BYTE_1 dst_unused:UNUSED_PAD src0_sel:DWORD src1_sel:DWORD
	s_nop 0
	v_or_b32_sdwa v31, v30, v31 dst_sel:DWORD dst_unused:UNUSED_PAD src0_sel:BYTE_0 src1_sel:DWORD
	v_and_b32_e32 v31, 0xffff, v31
	v_bfe_u32 v30, v30, 16, 8
	v_lshl_or_b32 v31, v30, 16, v31
	v_perm_b32 v30, v1, v1, s3
.LBB1215_340:
	s_waitcnt lgkmcnt(0)
	v_and_b32_e32 v1, 0xff, v30
	v_bfe_u32 v43, v30, 8, 8
	v_bfe_u32 v45, v30, 16, 8
	v_alignbit_b32 v32, v31, v30, 24
	v_and_b32_e32 v47, 0xff, v32
	v_and_b32_e32 v48, 0xff, v31
	v_add3_u32 v33, v43, v1, v45
	v_bfe_u32 v49, v31, 8, 8
	v_bfe_u32 v32, v31, 16, 8
	v_add3_u32 v33, v33, v47, v48
	v_add3_u32 v52, v33, v49, v32
	v_mbcnt_lo_u32_b32 v32, -1, 0
	v_mbcnt_hi_u32_b32 v50, -1, v32
	v_and_b32_e32 v32, 15, v50
	v_cmp_eq_u32_e64 s[14:15], 0, v32
	v_cmp_lt_u32_e64 s[12:13], 1, v32
	v_cmp_lt_u32_e64 s[10:11], 3, v32
	;; [unrolled: 1-line block ×3, first 2 shown]
	v_and_b32_e32 v32, 16, v50
	v_cmp_eq_u32_e64 s[6:7], 0, v32
	v_or_b32_e32 v32, 63, v0
	v_cmp_lt_u32_e64 s[18:19], 31, v50
	v_lshrrev_b32_e32 v51, 6, v0
	v_cmp_eq_u32_e64 s[4:5], v32, v0
	s_and_b64 vcc, exec, s[16:17]
	s_barrier
	s_cbranch_vccz .LBB1215_367
; %bb.341:
	v_mov_b32_dpp v32, v52 row_shr:1 row_mask:0xf bank_mask:0xf
	v_cndmask_b32_e64 v32, v32, 0, s[14:15]
	v_add_u32_e32 v32, v32, v52
	s_nop 1
	v_mov_b32_dpp v33, v32 row_shr:2 row_mask:0xf bank_mask:0xf
	v_cndmask_b32_e64 v33, 0, v33, s[12:13]
	v_add_u32_e32 v32, v32, v33
	s_nop 1
	;; [unrolled: 4-line block ×4, first 2 shown]
	v_mov_b32_dpp v33, v32 row_bcast:15 row_mask:0xf bank_mask:0xf
	v_cndmask_b32_e64 v33, v33, 0, s[6:7]
	v_add_u32_e32 v32, v32, v33
	s_nop 1
	v_mov_b32_dpp v33, v32 row_bcast:31 row_mask:0xf bank_mask:0xf
	v_cndmask_b32_e64 v33, 0, v33, s[18:19]
	v_add_u32_e32 v32, v32, v33
	s_and_saveexec_b64 s[16:17], s[4:5]
	s_cbranch_execz .LBB1215_343
; %bb.342:
	v_lshlrev_b32_e32 v33, 2, v51
	ds_write_b32 v33, v32
.LBB1215_343:
	s_or_b64 exec, exec, s[16:17]
	v_cmp_gt_u32_e32 vcc, 8, v0
	s_waitcnt lgkmcnt(0)
	s_barrier
	s_and_saveexec_b64 s[16:17], vcc
	s_cbranch_execz .LBB1215_345
; %bb.344:
	v_lshlrev_b32_e32 v33, 2, v0
	ds_read_b32 v34, v33
	v_and_b32_e32 v35, 7, v50
	v_cmp_ne_u32_e32 vcc, 0, v35
	s_waitcnt lgkmcnt(0)
	v_mov_b32_dpp v36, v34 row_shr:1 row_mask:0xf bank_mask:0xf
	v_cndmask_b32_e32 v36, 0, v36, vcc
	v_add_u32_e32 v34, v36, v34
	v_cmp_lt_u32_e32 vcc, 1, v35
	s_nop 0
	v_mov_b32_dpp v36, v34 row_shr:2 row_mask:0xf bank_mask:0xf
	v_cndmask_b32_e32 v36, 0, v36, vcc
	v_add_u32_e32 v34, v34, v36
	v_cmp_lt_u32_e32 vcc, 3, v35
	s_nop 0
	v_mov_b32_dpp v36, v34 row_shr:4 row_mask:0xf bank_mask:0xf
	v_cndmask_b32_e32 v35, 0, v36, vcc
	v_add_u32_e32 v34, v34, v35
	ds_write_b32 v33, v34
.LBB1215_345:
	s_or_b64 exec, exec, s[16:17]
	v_cmp_gt_u32_e32 vcc, 64, v0
	v_cmp_lt_u32_e64 s[16:17], 63, v0
	s_waitcnt lgkmcnt(0)
	s_barrier
	s_waitcnt lgkmcnt(0)
                                        ; implicit-def: $vgpr42
	s_and_saveexec_b64 s[26:27], s[16:17]
	s_cbranch_execz .LBB1215_347
; %bb.346:
	v_lshl_add_u32 v33, v51, 2, -4
	ds_read_b32 v42, v33
	s_waitcnt lgkmcnt(0)
	v_add_u32_e32 v32, v42, v32
.LBB1215_347:
	s_or_b64 exec, exec, s[26:27]
	v_add_u32_e32 v33, -1, v50
	v_and_b32_e32 v34, 64, v50
	v_cmp_lt_i32_e64 s[16:17], v33, v34
	s_nop 1
	v_cndmask_b32_e64 v33, v33, v50, s[16:17]
	v_lshlrev_b32_e32 v33, 2, v33
	ds_bpermute_b32 v44, v33, v32
	v_cmp_eq_u32_e64 s[16:17], 0, v50
	s_and_saveexec_b64 s[26:27], vcc
	s_cbranch_execz .LBB1215_366
; %bb.348:
	v_mov_b32_e32 v39, 0
	ds_read_b32 v32, v39 offset:28
	s_and_saveexec_b64 s[28:29], s[16:17]
	s_cbranch_execz .LBB1215_350
; %bb.349:
	s_add_i32 s36, s2, 64
	s_mov_b32 s37, 0
	s_lshl_b64 s[36:37], s[36:37], 3
	s_add_u32 s36, s30, s36
	v_mov_b32_e32 v33, 1
	s_addc_u32 s37, s31, s37
	s_waitcnt lgkmcnt(0)
	global_store_dwordx2 v39, v[32:33], s[36:37] sc1
.LBB1215_350:
	s_or_b64 exec, exec, s[28:29]
	v_xad_u32 v34, v50, -1, s2
	v_add_u32_e32 v38, 64, v34
	v_lshl_add_u64 v[40:41], v[38:39], 3, s[30:31]
	global_load_dwordx2 v[36:37], v[40:41], off sc1
	s_waitcnt vmcnt(0)
	v_cmp_eq_u16_sdwa s[36:37], v37, v39 src0_sel:BYTE_0 src1_sel:DWORD
	s_and_saveexec_b64 s[28:29], s[36:37]
	s_cbranch_execz .LBB1215_354
; %bb.351:
	s_mov_b64 s[36:37], 0
	v_mov_b32_e32 v33, 0
.LBB1215_352:                           ; =>This Inner Loop Header: Depth=1
	global_load_dwordx2 v[36:37], v[40:41], off sc1
	s_waitcnt vmcnt(0)
	v_cmp_ne_u16_sdwa s[38:39], v37, v33 src0_sel:BYTE_0 src1_sel:DWORD
	s_or_b64 s[36:37], s[38:39], s[36:37]
	s_andn2_b64 exec, exec, s[36:37]
	s_cbranch_execnz .LBB1215_352
; %bb.353:
	s_or_b64 exec, exec, s[36:37]
.LBB1215_354:
	s_or_b64 exec, exec, s[28:29]
	v_and_b32_e32 v46, 63, v50
	v_mov_b32_e32 v33, 2
	v_cmp_ne_u32_e32 vcc, 63, v46
	v_cmp_eq_u16_sdwa s[28:29], v37, v33 src0_sel:BYTE_0 src1_sel:DWORD
	v_lshlrev_b64 v[38:39], v50, -1
	v_addc_co_u32_e32 v41, vcc, 0, v50, vcc
	v_and_b32_e32 v35, s29, v39
	v_lshlrev_b32_e32 v53, 2, v41
	v_or_b32_e32 v35, 0x80000000, v35
	ds_bpermute_b32 v41, v53, v36
	v_and_b32_e32 v40, s28, v38
	v_ffbl_b32_e32 v35, v35
	v_add_u32_e32 v35, 32, v35
	v_ffbl_b32_e32 v40, v40
	v_min_u32_e32 v35, v40, v35
	v_cmp_lt_u32_e32 vcc, v46, v35
	v_add_u32_e32 v55, 2, v46
	v_add_u32_e32 v57, 4, v46
	s_waitcnt lgkmcnt(0)
	v_cndmask_b32_e32 v40, 0, v41, vcc
	v_cmp_gt_u32_e32 vcc, 62, v46
	v_add_u32_e32 v36, v40, v36
	v_add_u32_e32 v59, 8, v46
	v_cndmask_b32_e64 v40, 0, 1, vcc
	v_lshlrev_b32_e32 v40, 1, v40
	v_add_lshl_u32 v54, v40, v50, 2
	ds_bpermute_b32 v40, v54, v36
	v_cmp_le_u32_e32 vcc, v55, v35
	v_add_u32_e32 v62, 16, v46
	v_add_u32_e32 v64, 32, v46
	s_waitcnt lgkmcnt(0)
	v_cndmask_b32_e32 v40, 0, v40, vcc
	v_cmp_gt_u32_e32 vcc, 60, v46
	v_add_u32_e32 v36, v36, v40
	s_nop 0
	v_cndmask_b32_e64 v40, 0, 1, vcc
	v_lshlrev_b32_e32 v40, 2, v40
	v_add_lshl_u32 v56, v40, v50, 2
	ds_bpermute_b32 v40, v56, v36
	v_cmp_le_u32_e32 vcc, v57, v35
	s_waitcnt lgkmcnt(0)
	s_nop 0
	v_cndmask_b32_e32 v40, 0, v40, vcc
	v_cmp_gt_u32_e32 vcc, 56, v46
	v_add_u32_e32 v36, v36, v40
	s_nop 0
	v_cndmask_b32_e64 v40, 0, 1, vcc
	v_lshlrev_b32_e32 v40, 3, v40
	v_add_lshl_u32 v58, v40, v50, 2
	ds_bpermute_b32 v40, v58, v36
	v_cmp_le_u32_e32 vcc, v59, v35
	s_waitcnt lgkmcnt(0)
	s_nop 0
	;; [unrolled: 11-line block ×4, first 2 shown]
	v_cndmask_b32_e32 v35, 0, v40, vcc
	v_add_u32_e32 v36, v36, v35
	v_mov_b32_e32 v35, 0
	s_branch .LBB1215_356
.LBB1215_355:                           ;   in Loop: Header=BB1215_356 Depth=1
	s_or_b64 exec, exec, s[28:29]
	v_cmp_eq_u16_sdwa s[28:29], v37, v33 src0_sel:BYTE_0 src1_sel:DWORD
	ds_bpermute_b32 v65, v53, v36
	v_subrev_u32_e32 v34, 64, v34
	v_and_b32_e32 v40, s29, v39
	v_or_b32_e32 v40, 0x80000000, v40
	v_and_b32_e32 v41, s28, v38
	v_ffbl_b32_e32 v40, v40
	v_add_u32_e32 v40, 32, v40
	v_ffbl_b32_e32 v41, v41
	v_min_u32_e32 v40, v41, v40
	v_cmp_lt_u32_e32 vcc, v46, v40
	s_waitcnt lgkmcnt(0)
	s_nop 0
	v_cndmask_b32_e32 v41, 0, v65, vcc
	v_add_u32_e32 v36, v41, v36
	ds_bpermute_b32 v41, v54, v36
	v_cmp_le_u32_e32 vcc, v55, v40
	s_waitcnt lgkmcnt(0)
	s_nop 0
	v_cndmask_b32_e32 v41, 0, v41, vcc
	v_add_u32_e32 v36, v36, v41
	ds_bpermute_b32 v41, v56, v36
	v_cmp_le_u32_e32 vcc, v57, v40
	;; [unrolled: 6-line block ×5, first 2 shown]
	s_waitcnt lgkmcnt(0)
	s_nop 0
	v_cndmask_b32_e32 v40, 0, v41, vcc
	v_add3_u32 v36, v40, v60, v36
.LBB1215_356:                           ; =>This Loop Header: Depth=1
                                        ;     Child Loop BB1215_359 Depth 2
	v_cmp_ne_u16_sdwa s[28:29], v37, v33 src0_sel:BYTE_0 src1_sel:DWORD
	v_mov_b32_e32 v60, v36
	s_nop 0
	v_cndmask_b32_e64 v37, 0, 1, s[28:29]
	;;#ASMSTART
	;;#ASMEND
	s_nop 0
	v_cmp_ne_u32_e32 vcc, 0, v37
	s_cmp_lg_u64 vcc, exec
	s_cbranch_scc1 .LBB1215_361
; %bb.357:                              ;   in Loop: Header=BB1215_356 Depth=1
	v_lshl_add_u64 v[40:41], v[34:35], 3, s[30:31]
	global_load_dwordx2 v[36:37], v[40:41], off sc1
	s_waitcnt vmcnt(0)
	v_cmp_eq_u16_sdwa s[36:37], v37, v35 src0_sel:BYTE_0 src1_sel:DWORD
	s_and_saveexec_b64 s[28:29], s[36:37]
	s_cbranch_execz .LBB1215_355
; %bb.358:                              ;   in Loop: Header=BB1215_356 Depth=1
	s_mov_b64 s[36:37], 0
.LBB1215_359:                           ;   Parent Loop BB1215_356 Depth=1
                                        ; =>  This Inner Loop Header: Depth=2
	global_load_dwordx2 v[36:37], v[40:41], off sc1
	s_waitcnt vmcnt(0)
	v_cmp_ne_u16_sdwa s[38:39], v37, v35 src0_sel:BYTE_0 src1_sel:DWORD
	s_or_b64 s[36:37], s[38:39], s[36:37]
	s_andn2_b64 exec, exec, s[36:37]
	s_cbranch_execnz .LBB1215_359
; %bb.360:                              ;   in Loop: Header=BB1215_356 Depth=1
	s_or_b64 exec, exec, s[36:37]
	s_branch .LBB1215_355
.LBB1215_361:                           ;   in Loop: Header=BB1215_356 Depth=1
                                        ; implicit-def: $vgpr36
                                        ; implicit-def: $vgpr37
	s_cbranch_execz .LBB1215_356
; %bb.362:
	s_and_saveexec_b64 s[28:29], s[16:17]
	s_cbranch_execz .LBB1215_364
; %bb.363:
	s_add_i32 s2, s2, 64
	s_mov_b32 s3, 0
	s_lshl_b64 s[2:3], s[2:3], 3
	s_add_u32 s2, s30, s2
	v_add_u32_e32 v34, v60, v32
	v_mov_b32_e32 v35, 2
	s_addc_u32 s3, s31, s3
	v_mov_b32_e32 v33, 0
	global_store_dwordx2 v33, v[34:35], s[2:3] sc1
	s_movk_i32 s2, 0x7000
	v_add_u32_e64 v33, s2, 0
	ds_write2_b32 v33, v32, v60 offset1:2
.LBB1215_364:
	s_or_b64 exec, exec, s[28:29]
	v_cmp_eq_u32_e32 vcc, 0, v0
	s_and_b64 exec, exec, vcc
	s_cbranch_execz .LBB1215_366
; %bb.365:
	v_mov_b32_e32 v32, 0
	ds_write_b32 v32, v60 offset:28
.LBB1215_366:
	s_or_b64 exec, exec, s[26:27]
	v_mov_b32_e32 v32, 0
	s_waitcnt lgkmcnt(0)
	s_barrier
	ds_read_b32 v32, v32 offset:28
	v_cndmask_b32_e64 v33, v44, v42, s[16:17]
	v_cmp_ne_u32_e32 vcc, 0, v0
	s_movk_i32 s2, 0x7000
	s_waitcnt lgkmcnt(0)
	v_cndmask_b32_e32 v33, 0, v33, vcc
	v_add_u32_e32 v46, v32, v33
	v_add_u32_e64 v32, s2, 0
	v_add_u32_e32 v44, v46, v1
	s_barrier
	ds_read2_b32 v[32:33], v32 offset1:2
	v_add_u32_e32 v42, v44, v43
	v_add_u32_e32 v40, v42, v45
	;; [unrolled: 1-line block ×5, first 2 shown]
	s_waitcnt lgkmcnt(0)
	v_readfirstlane_b32 s26, v32
	v_readfirstlane_b32 s16, v33
	v_lshrrev_b64 v[32:33], 24, v[30:31]
	s_branch .LBB1215_377
.LBB1215_367:
                                        ; implicit-def: $vgpr34
                                        ; implicit-def: $vgpr36
                                        ; implicit-def: $vgpr38
                                        ; implicit-def: $vgpr40
                                        ; implicit-def: $vgpr42
                                        ; implicit-def: $vgpr44
                                        ; implicit-def: $vgpr46
                                        ; implicit-def: $sgpr16
                                        ; implicit-def: $sgpr26
	v_lshrrev_b64 v[32:33], 24, v[30:31]
	s_cbranch_execz .LBB1215_377
; %bb.368:
	s_nop 0
	v_mov_b32_dpp v33, v52 row_shr:1 row_mask:0xf bank_mask:0xf
	v_cndmask_b32_e64 v33, v33, 0, s[14:15]
	v_add_u32_e32 v33, v33, v52
	s_nop 1
	v_mov_b32_dpp v34, v33 row_shr:2 row_mask:0xf bank_mask:0xf
	v_cndmask_b32_e64 v34, 0, v34, s[12:13]
	v_add_u32_e32 v33, v33, v34
	;; [unrolled: 4-line block ×4, first 2 shown]
	s_nop 1
	v_mov_b32_dpp v34, v33 row_bcast:15 row_mask:0xf bank_mask:0xf
	v_cndmask_b32_e64 v34, v34, 0, s[6:7]
	v_add_u32_e32 v33, v33, v34
	s_nop 1
	v_mov_b32_dpp v34, v33 row_bcast:31 row_mask:0xf bank_mask:0xf
	v_cndmask_b32_e64 v34, 0, v34, s[18:19]
	v_add_u32_e32 v33, v33, v34
	s_and_saveexec_b64 s[2:3], s[4:5]
	s_cbranch_execz .LBB1215_370
; %bb.369:
	v_lshlrev_b32_e32 v34, 2, v51
	ds_write_b32 v34, v33
.LBB1215_370:
	s_or_b64 exec, exec, s[2:3]
	v_cmp_gt_u32_e32 vcc, 8, v0
	s_waitcnt lgkmcnt(0)
	s_barrier
	s_and_saveexec_b64 s[2:3], vcc
	s_cbranch_execz .LBB1215_372
; %bb.371:
	v_lshlrev_b32_e32 v34, 2, v0
	ds_read_b32 v35, v34
	v_and_b32_e32 v36, 7, v50
	v_cmp_ne_u32_e32 vcc, 0, v36
	s_waitcnt lgkmcnt(0)
	v_mov_b32_dpp v37, v35 row_shr:1 row_mask:0xf bank_mask:0xf
	v_cndmask_b32_e32 v37, 0, v37, vcc
	v_add_u32_e32 v35, v37, v35
	v_cmp_lt_u32_e32 vcc, 1, v36
	s_nop 0
	v_mov_b32_dpp v37, v35 row_shr:2 row_mask:0xf bank_mask:0xf
	v_cndmask_b32_e32 v37, 0, v37, vcc
	v_add_u32_e32 v35, v35, v37
	v_cmp_lt_u32_e32 vcc, 3, v36
	s_nop 0
	v_mov_b32_dpp v37, v35 row_shr:4 row_mask:0xf bank_mask:0xf
	v_cndmask_b32_e32 v36, 0, v37, vcc
	v_add_u32_e32 v35, v35, v36
	ds_write_b32 v34, v35
.LBB1215_372:
	s_or_b64 exec, exec, s[2:3]
	v_cmp_lt_u32_e32 vcc, 63, v0
	v_mov_b32_e32 v35, 0
	v_mov_b32_e32 v34, 0
	s_waitcnt lgkmcnt(0)
	s_barrier
	s_and_saveexec_b64 s[2:3], vcc
	s_cbranch_execz .LBB1215_374
; %bb.373:
	v_lshl_add_u32 v34, v51, 2, -4
	ds_read_b32 v34, v34
.LBB1215_374:
	s_or_b64 exec, exec, s[2:3]
	v_add_u32_e32 v36, -1, v50
	v_and_b32_e32 v37, 64, v50
	v_cmp_lt_i32_e32 vcc, v36, v37
	s_waitcnt lgkmcnt(0)
	v_add_u32_e32 v33, v34, v33
	ds_read_b32 v35, v35 offset:28
	v_cndmask_b32_e32 v36, v36, v50, vcc
	v_lshlrev_b32_e32 v36, 2, v36
	ds_bpermute_b32 v33, v36, v33
	s_mov_b32 s16, 0
	v_cmp_eq_u32_e32 vcc, 0, v0
	s_waitcnt lgkmcnt(1)
	v_readfirstlane_b32 s26, v35
	s_and_saveexec_b64 s[2:3], vcc
	s_cbranch_execz .LBB1215_376
; %bb.375:
	v_mov_b32_e32 v35, 0
	v_mov_b32_e32 v36, s26
	;; [unrolled: 1-line block ×3, first 2 shown]
	global_store_dwordx2 v35, v[36:37], s[30:31] offset:512 sc1
.LBB1215_376:
	s_or_b64 exec, exec, s[2:3]
	v_cmp_eq_u32_e64 s[2:3], 0, v50
	s_waitcnt lgkmcnt(0)
	s_barrier
	v_cndmask_b32_e64 v33, v33, v34, s[2:3]
	v_cndmask_b32_e64 v46, v33, 0, vcc
	v_add_u32_e32 v44, v46, v1
	v_add_u32_e32 v42, v44, v43
	;; [unrolled: 1-line block ×6, first 2 shown]
.LBB1215_377:
	s_load_dwordx4 s[4:7], s[0:1], 0x28
	s_cmpk_lt_u32 s26, 0x201
	s_cselect_b64 s[2:3], -1, 0
	v_lshrrev_b32_e32 v33, 8, v30
	v_lshrrev_b32_e32 v1, 8, v31
	s_mov_b64 s[0:1], -1
	s_and_b64 vcc, exec, s[2:3]
	s_cbranch_vccz .LBB1215_400
; %bb.378:
	s_add_i32 s8, s16, s26
	v_cmp_gt_u32_e32 vcc, s8, v46
	s_or_b64 s[10:11], s[34:35], vcc
	s_and_saveexec_b64 s[0:1], s[10:11]
	s_cbranch_execz .LBB1215_381
; %bb.379:
	v_and_b32_e32 v35, 1, v30
	v_cmp_eq_u32_e32 vcc, 1, v35
	s_and_b64 exec, exec, vcc
	s_cbranch_execz .LBB1215_381
; %bb.380:
	s_lshl_b64 s[10:11], s[22:23], 3
	s_waitcnt lgkmcnt(0)
	s_add_u32 s10, s4, s10
	s_addc_u32 s11, s5, s11
	v_mov_b32_e32 v47, 0
	v_lshl_add_u64 v[48:49], v[46:47], 3, s[10:11]
	global_store_dwordx2 v[48:49], v[22:23], off
.LBB1215_381:
	s_or_b64 exec, exec, s[0:1]
	v_cmp_gt_u32_e32 vcc, s8, v44
	s_or_b64 s[10:11], s[34:35], vcc
	s_and_saveexec_b64 s[0:1], s[10:11]
	s_cbranch_execz .LBB1215_384
; %bb.382:
	v_and_b32_e32 v35, 1, v33
	v_cmp_eq_u32_e32 vcc, 1, v35
	s_and_b64 exec, exec, vcc
	s_cbranch_execz .LBB1215_384
; %bb.383:
	s_lshl_b64 s[10:11], s[22:23], 3
	s_waitcnt lgkmcnt(0)
	s_add_u32 s10, s4, s10
	s_addc_u32 s11, s5, s11
	v_mov_b32_e32 v45, 0
	v_lshl_add_u64 v[48:49], v[44:45], 3, s[10:11]
	global_store_dwordx2 v[48:49], v[24:25], off
.LBB1215_384:
	s_or_b64 exec, exec, s[0:1]
	v_cmp_gt_u32_e32 vcc, s8, v42
	s_or_b64 s[10:11], s[34:35], vcc
	s_and_saveexec_b64 s[0:1], s[10:11]
	s_cbranch_execz .LBB1215_387
; %bb.385:
	v_mov_b32_e32 v35, 1
	v_and_b32_sdwa v35, v35, v30 dst_sel:DWORD dst_unused:UNUSED_PAD src0_sel:DWORD src1_sel:WORD_1
	v_cmp_eq_u32_e32 vcc, 1, v35
	s_and_b64 exec, exec, vcc
	s_cbranch_execz .LBB1215_387
; %bb.386:
	s_lshl_b64 s[10:11], s[22:23], 3
	s_waitcnt lgkmcnt(0)
	s_add_u32 s10, s4, s10
	s_addc_u32 s11, s5, s11
	v_mov_b32_e32 v43, 0
	v_lshl_add_u64 v[48:49], v[42:43], 3, s[10:11]
	global_store_dwordx2 v[48:49], v[18:19], off
.LBB1215_387:
	s_or_b64 exec, exec, s[0:1]
	v_cmp_gt_u32_e32 vcc, s8, v40
	s_or_b64 s[10:11], s[34:35], vcc
	s_and_saveexec_b64 s[0:1], s[10:11]
	s_cbranch_execz .LBB1215_390
; %bb.388:
	v_and_b32_e32 v35, 1, v32
	v_cmp_eq_u32_e32 vcc, 1, v35
	s_and_b64 exec, exec, vcc
	s_cbranch_execz .LBB1215_390
; %bb.389:
	s_lshl_b64 s[10:11], s[22:23], 3
	s_waitcnt lgkmcnt(0)
	s_add_u32 s10, s4, s10
	s_addc_u32 s11, s5, s11
	v_mov_b32_e32 v41, 0
	v_lshl_add_u64 v[48:49], v[40:41], 3, s[10:11]
	global_store_dwordx2 v[48:49], v[20:21], off
.LBB1215_390:
	s_or_b64 exec, exec, s[0:1]
	v_cmp_gt_u32_e32 vcc, s8, v38
	s_or_b64 s[10:11], s[34:35], vcc
	s_and_saveexec_b64 s[0:1], s[10:11]
	s_cbranch_execz .LBB1215_393
; %bb.391:
	v_and_b32_e32 v35, 1, v31
	v_cmp_eq_u32_e32 vcc, 1, v35
	s_and_b64 exec, exec, vcc
	s_cbranch_execz .LBB1215_393
; %bb.392:
	s_lshl_b64 s[10:11], s[22:23], 3
	s_waitcnt lgkmcnt(0)
	s_add_u32 s10, s4, s10
	s_addc_u32 s11, s5, s11
	v_mov_b32_e32 v39, 0
	v_lshl_add_u64 v[48:49], v[38:39], 3, s[10:11]
	global_store_dwordx2 v[48:49], v[14:15], off
.LBB1215_393:
	;; [unrolled: 19-line block ×3, first 2 shown]
	s_or_b64 exec, exec, s[0:1]
	v_cmp_gt_u32_e32 vcc, s8, v34
	s_or_b64 s[8:9], s[34:35], vcc
	s_and_saveexec_b64 s[0:1], s[8:9]
	s_cbranch_execz .LBB1215_399
; %bb.397:
	v_mov_b32_e32 v35, 1
	v_and_b32_sdwa v35, v35, v31 dst_sel:DWORD dst_unused:UNUSED_PAD src0_sel:DWORD src1_sel:WORD_1
	v_cmp_eq_u32_e32 vcc, 1, v35
	s_and_b64 exec, exec, vcc
	s_cbranch_execz .LBB1215_399
; %bb.398:
	s_lshl_b64 s[8:9], s[22:23], 3
	s_waitcnt lgkmcnt(0)
	s_add_u32 s8, s4, s8
	s_addc_u32 s9, s5, s9
	v_mov_b32_e32 v35, 0
	v_lshl_add_u64 v[48:49], v[34:35], 3, s[8:9]
	global_store_dwordx2 v[48:49], v[28:29], off
.LBB1215_399:
	s_or_b64 exec, exec, s[0:1]
	s_mov_b64 s[0:1], 0
.LBB1215_400:
	v_and_b32_e32 v48, 1, v30
	s_and_b64 vcc, exec, s[0:1]
	v_cmp_eq_u32_e64 s[0:1], 1, v48
	s_cbranch_vccz .LBB1215_419
; %bb.401:
	s_and_saveexec_b64 s[8:9], s[0:1]
	s_cbranch_execz .LBB1215_403
; %bb.402:
	v_subrev_u32_e32 v35, s16, v46
	v_lshlrev_b32_e32 v35, 3, v35
	ds_write_b64 v35, v[22:23]
.LBB1215_403:
	s_or_b64 exec, exec, s[8:9]
	v_and_b32_e32 v22, 1, v33
	v_cmp_eq_u32_e32 vcc, 1, v22
	s_and_saveexec_b64 s[0:1], vcc
	s_cbranch_execz .LBB1215_405
; %bb.404:
	v_subrev_u32_e32 v22, s16, v44
	v_lshlrev_b32_e32 v22, 3, v22
	ds_write_b64 v22, v[24:25]
.LBB1215_405:
	s_or_b64 exec, exec, s[0:1]
	v_mov_b32_e32 v22, 1
	v_and_b32_sdwa v22, v22, v30 dst_sel:DWORD dst_unused:UNUSED_PAD src0_sel:DWORD src1_sel:WORD_1
	v_cmp_eq_u32_e32 vcc, 1, v22
	s_and_saveexec_b64 s[0:1], vcc
	s_cbranch_execz .LBB1215_407
; %bb.406:
	v_subrev_u32_e32 v22, s16, v42
	v_lshlrev_b32_e32 v22, 3, v22
	ds_write_b64 v22, v[18:19]
.LBB1215_407:
	s_or_b64 exec, exec, s[0:1]
	v_and_b32_e32 v18, 1, v32
	v_cmp_eq_u32_e32 vcc, 1, v18
	s_and_saveexec_b64 s[0:1], vcc
	s_cbranch_execz .LBB1215_409
; %bb.408:
	v_subrev_u32_e32 v18, s16, v40
	v_lshlrev_b32_e32 v18, 3, v18
	ds_write_b64 v18, v[20:21]
.LBB1215_409:
	s_or_b64 exec, exec, s[0:1]
	v_and_b32_e32 v18, 1, v31
	;; [unrolled: 10-line block ×3, first 2 shown]
	v_cmp_eq_u32_e32 vcc, 1, v14
	s_and_saveexec_b64 s[0:1], vcc
	s_cbranch_execz .LBB1215_413
; %bb.412:
	v_subrev_u32_e32 v14, s16, v36
	v_lshlrev_b32_e32 v14, 3, v14
	ds_write_b64 v14, v[16:17]
.LBB1215_413:
	s_or_b64 exec, exec, s[0:1]
	v_mov_b32_e32 v14, 1
	v_and_b32_sdwa v14, v14, v31 dst_sel:DWORD dst_unused:UNUSED_PAD src0_sel:DWORD src1_sel:WORD_1
	v_cmp_eq_u32_e32 vcc, 1, v14
	s_and_saveexec_b64 s[0:1], vcc
	s_cbranch_execz .LBB1215_415
; %bb.414:
	v_subrev_u32_e32 v14, s16, v34
	v_lshlrev_b32_e32 v14, 3, v14
	ds_write_b64 v14, v[28:29]
.LBB1215_415:
	s_or_b64 exec, exec, s[0:1]
	v_cmp_gt_u32_e32 vcc, s26, v0
	s_waitcnt lgkmcnt(0)
	s_barrier
	s_and_saveexec_b64 s[0:1], vcc
	s_cbranch_execz .LBB1215_418
; %bb.416:
	s_mov_b32 s17, 0
	s_lshl_b64 s[8:9], s[22:23], 3
	s_lshl_b64 s[10:11], s[16:17], 3
	s_add_u32 s8, s8, s10
	s_addc_u32 s9, s9, s11
	s_add_u32 s4, s4, s8
	v_lshlrev_b32_e32 v14, 3, v0
	v_mov_b32_e32 v15, 0
	s_addc_u32 s5, s5, s9
	v_lshl_add_u64 v[16:17], s[4:5], 0, v[14:15]
	s_mov_b64 s[4:5], 0
	s_mov_b64 s[8:9], 0x1000
	v_mov_b32_e32 v15, v0
.LBB1215_417:                           ; =>This Inner Loop Header: Depth=1
	ds_read_b64 v[18:19], v14
	v_add_u32_e32 v15, 0x200, v15
	v_cmp_le_u32_e32 vcc, s26, v15
	v_add_u32_e32 v14, 0x1000, v14
	s_or_b64 s[4:5], vcc, s[4:5]
	s_waitcnt lgkmcnt(0)
	global_store_dwordx2 v[16:17], v[18:19], off
	v_lshl_add_u64 v[16:17], v[16:17], 0, s[8:9]
	s_andn2_b64 exec, exec, s[4:5]
	s_cbranch_execnz .LBB1215_417
.LBB1215_418:
	s_or_b64 exec, exec, s[0:1]
.LBB1215_419:
	s_mov_b64 s[0:1], -1
	s_and_b64 vcc, exec, s[2:3]
	s_waitcnt lgkmcnt(0)
	s_barrier
	s_cbranch_vccnz .LBB1215_423
; %bb.420:
	s_and_b64 vcc, exec, s[0:1]
	s_cbranch_vccnz .LBB1215_445
.LBB1215_421:
	v_cmp_eq_u32_e32 vcc, 0, v0
	s_and_b64 s[0:1], vcc, s[24:25]
	s_and_saveexec_b64 s[2:3], s[0:1]
	s_cbranch_execnz .LBB1215_463
.LBB1215_422:
	s_endpgm
.LBB1215_423:
	s_add_i32 s2, s16, s26
	v_cmp_gt_u32_e32 vcc, s2, v46
	s_or_b64 s[4:5], s[34:35], vcc
	s_and_saveexec_b64 s[0:1], s[4:5]
	s_cbranch_execz .LBB1215_426
; %bb.424:
	v_cmp_eq_u32_e32 vcc, 1, v48
	s_and_b64 exec, exec, vcc
	s_cbranch_execz .LBB1215_426
; %bb.425:
	s_lshl_b64 s[4:5], s[22:23], 3
	s_add_u32 s4, s6, s4
	s_addc_u32 s5, s7, s5
	v_mov_b32_e32 v47, 0
	v_lshl_add_u64 v[14:15], v[46:47], 3, s[4:5]
	global_store_dwordx2 v[14:15], v[10:11], off
.LBB1215_426:
	s_or_b64 exec, exec, s[0:1]
	v_cmp_gt_u32_e32 vcc, s2, v44
	s_or_b64 s[4:5], s[34:35], vcc
	s_and_saveexec_b64 s[0:1], s[4:5]
	s_cbranch_execz .LBB1215_429
; %bb.427:
	v_and_b32_e32 v14, 1, v33
	v_cmp_eq_u32_e32 vcc, 1, v14
	s_and_b64 exec, exec, vcc
	s_cbranch_execz .LBB1215_429
; %bb.428:
	s_lshl_b64 s[4:5], s[22:23], 3
	s_add_u32 s4, s6, s4
	s_addc_u32 s5, s7, s5
	v_mov_b32_e32 v45, 0
	v_lshl_add_u64 v[14:15], v[44:45], 3, s[4:5]
	global_store_dwordx2 v[14:15], v[12:13], off
.LBB1215_429:
	s_or_b64 exec, exec, s[0:1]
	v_cmp_gt_u32_e32 vcc, s2, v42
	s_or_b64 s[4:5], s[34:35], vcc
	s_and_saveexec_b64 s[0:1], s[4:5]
	s_cbranch_execz .LBB1215_432
; %bb.430:
	v_mov_b32_e32 v14, 1
	v_and_b32_sdwa v14, v14, v30 dst_sel:DWORD dst_unused:UNUSED_PAD src0_sel:DWORD src1_sel:WORD_1
	v_cmp_eq_u32_e32 vcc, 1, v14
	s_and_b64 exec, exec, vcc
	s_cbranch_execz .LBB1215_432
; %bb.431:
	s_lshl_b64 s[4:5], s[22:23], 3
	s_add_u32 s4, s6, s4
	s_addc_u32 s5, s7, s5
	v_mov_b32_e32 v43, 0
	v_lshl_add_u64 v[14:15], v[42:43], 3, s[4:5]
	global_store_dwordx2 v[14:15], v[6:7], off
.LBB1215_432:
	s_or_b64 exec, exec, s[0:1]
	v_cmp_gt_u32_e32 vcc, s2, v40
	s_or_b64 s[4:5], s[34:35], vcc
	s_and_saveexec_b64 s[0:1], s[4:5]
	s_cbranch_execz .LBB1215_435
; %bb.433:
	v_and_b32_e32 v14, 1, v32
	v_cmp_eq_u32_e32 vcc, 1, v14
	s_and_b64 exec, exec, vcc
	s_cbranch_execz .LBB1215_435
; %bb.434:
	s_lshl_b64 s[4:5], s[22:23], 3
	s_add_u32 s4, s6, s4
	s_addc_u32 s5, s7, s5
	v_mov_b32_e32 v41, 0
	v_lshl_add_u64 v[14:15], v[40:41], 3, s[4:5]
	global_store_dwordx2 v[14:15], v[8:9], off
.LBB1215_435:
	s_or_b64 exec, exec, s[0:1]
	v_cmp_gt_u32_e32 vcc, s2, v38
	s_or_b64 s[4:5], s[34:35], vcc
	s_and_saveexec_b64 s[0:1], s[4:5]
	s_cbranch_execz .LBB1215_438
; %bb.436:
	v_and_b32_e32 v14, 1, v31
	v_cmp_eq_u32_e32 vcc, 1, v14
	s_and_b64 exec, exec, vcc
	s_cbranch_execz .LBB1215_438
; %bb.437:
	s_lshl_b64 s[4:5], s[22:23], 3
	s_add_u32 s4, s6, s4
	s_addc_u32 s5, s7, s5
	v_mov_b32_e32 v39, 0
	v_lshl_add_u64 v[14:15], v[38:39], 3, s[4:5]
	global_store_dwordx2 v[14:15], v[2:3], off
.LBB1215_438:
	s_or_b64 exec, exec, s[0:1]
	v_cmp_gt_u32_e32 vcc, s2, v36
	s_or_b64 s[4:5], s[34:35], vcc
	s_and_saveexec_b64 s[0:1], s[4:5]
	s_cbranch_execz .LBB1215_441
; %bb.439:
	v_and_b32_e32 v14, 1, v1
	v_cmp_eq_u32_e32 vcc, 1, v14
	s_and_b64 exec, exec, vcc
	s_cbranch_execz .LBB1215_441
; %bb.440:
	s_lshl_b64 s[4:5], s[22:23], 3
	s_add_u32 s4, s6, s4
	s_addc_u32 s5, s7, s5
	v_mov_b32_e32 v37, 0
	v_lshl_add_u64 v[14:15], v[36:37], 3, s[4:5]
	global_store_dwordx2 v[14:15], v[4:5], off
.LBB1215_441:
	s_or_b64 exec, exec, s[0:1]
	v_cmp_gt_u32_e32 vcc, s2, v34
	s_or_b64 s[2:3], s[34:35], vcc
	s_and_saveexec_b64 s[0:1], s[2:3]
	s_cbranch_execz .LBB1215_444
; %bb.442:
	v_mov_b32_e32 v14, 1
	v_and_b32_sdwa v14, v14, v31 dst_sel:DWORD dst_unused:UNUSED_PAD src0_sel:DWORD src1_sel:WORD_1
	v_cmp_eq_u32_e32 vcc, 1, v14
	s_and_b64 exec, exec, vcc
	s_cbranch_execz .LBB1215_444
; %bb.443:
	s_lshl_b64 s[2:3], s[22:23], 3
	s_add_u32 s2, s6, s2
	s_addc_u32 s3, s7, s3
	v_mov_b32_e32 v35, 0
	v_lshl_add_u64 v[14:15], v[34:35], 3, s[2:3]
	global_store_dwordx2 v[14:15], v[26:27], off
.LBB1215_444:
	s_or_b64 exec, exec, s[0:1]
	s_branch .LBB1215_421
.LBB1215_445:
	v_cmp_eq_u32_e32 vcc, 1, v48
	s_and_saveexec_b64 s[0:1], vcc
	s_cbranch_execz .LBB1215_447
; %bb.446:
	v_subrev_u32_e32 v14, s16, v46
	v_lshlrev_b32_e32 v14, 3, v14
	ds_write_b64 v14, v[10:11]
.LBB1215_447:
	s_or_b64 exec, exec, s[0:1]
	v_and_b32_e32 v10, 1, v33
	v_cmp_eq_u32_e32 vcc, 1, v10
	s_and_saveexec_b64 s[0:1], vcc
	s_cbranch_execz .LBB1215_449
; %bb.448:
	v_subrev_u32_e32 v10, s16, v44
	v_lshlrev_b32_e32 v10, 3, v10
	ds_write_b64 v10, v[12:13]
.LBB1215_449:
	s_or_b64 exec, exec, s[0:1]
	v_mov_b32_e32 v10, 1
	v_and_b32_sdwa v10, v10, v30 dst_sel:DWORD dst_unused:UNUSED_PAD src0_sel:DWORD src1_sel:WORD_1
	v_cmp_eq_u32_e32 vcc, 1, v10
	s_and_saveexec_b64 s[0:1], vcc
	s_cbranch_execz .LBB1215_451
; %bb.450:
	v_subrev_u32_e32 v10, s16, v42
	v_lshlrev_b32_e32 v10, 3, v10
	ds_write_b64 v10, v[6:7]
.LBB1215_451:
	s_or_b64 exec, exec, s[0:1]
	v_and_b32_e32 v6, 1, v32
	v_cmp_eq_u32_e32 vcc, 1, v6
	s_and_saveexec_b64 s[0:1], vcc
	s_cbranch_execz .LBB1215_453
; %bb.452:
	v_subrev_u32_e32 v6, s16, v40
	v_lshlrev_b32_e32 v6, 3, v6
	ds_write_b64 v6, v[8:9]
.LBB1215_453:
	s_or_b64 exec, exec, s[0:1]
	v_and_b32_e32 v6, 1, v31
	;; [unrolled: 10-line block ×3, first 2 shown]
	v_cmp_eq_u32_e32 vcc, 1, v1
	s_and_saveexec_b64 s[0:1], vcc
	s_cbranch_execz .LBB1215_457
; %bb.456:
	v_subrev_u32_e32 v1, s16, v36
	v_lshlrev_b32_e32 v1, 3, v1
	ds_write_b64 v1, v[4:5]
.LBB1215_457:
	s_or_b64 exec, exec, s[0:1]
	v_mov_b32_e32 v1, 1
	v_and_b32_sdwa v1, v1, v31 dst_sel:DWORD dst_unused:UNUSED_PAD src0_sel:DWORD src1_sel:WORD_1
	v_cmp_eq_u32_e32 vcc, 1, v1
	s_and_saveexec_b64 s[0:1], vcc
	s_cbranch_execz .LBB1215_459
; %bb.458:
	v_subrev_u32_e32 v1, s16, v34
	v_lshlrev_b32_e32 v1, 3, v1
	ds_write_b64 v1, v[26:27]
.LBB1215_459:
	s_or_b64 exec, exec, s[0:1]
	v_cmp_gt_u32_e32 vcc, s26, v0
	s_waitcnt lgkmcnt(0)
	s_barrier
	s_and_saveexec_b64 s[0:1], vcc
	s_cbranch_execz .LBB1215_462
; %bb.460:
	s_mov_b32 s17, 0
	s_lshl_b64 s[2:3], s[22:23], 3
	s_lshl_b64 s[4:5], s[16:17], 3
	s_add_u32 s2, s2, s4
	s_addc_u32 s3, s3, s5
	s_add_u32 s2, s6, s2
	v_lshlrev_b32_e32 v2, 3, v0
	v_mov_b32_e32 v3, 0
	s_addc_u32 s3, s7, s3
	v_lshl_add_u64 v[4:5], s[2:3], 0, v[2:3]
	s_mov_b64 s[2:3], 0
	s_mov_b64 s[4:5], 0x1000
	v_mov_b32_e32 v1, v0
.LBB1215_461:                           ; =>This Inner Loop Header: Depth=1
	ds_read_b64 v[6:7], v2
	v_add_u32_e32 v1, 0x200, v1
	v_cmp_le_u32_e32 vcc, s26, v1
	v_add_u32_e32 v2, 0x1000, v2
	s_or_b64 s[2:3], vcc, s[2:3]
	s_waitcnt lgkmcnt(0)
	global_store_dwordx2 v[4:5], v[6:7], off
	v_lshl_add_u64 v[4:5], v[4:5], 0, s[4:5]
	s_andn2_b64 exec, exec, s[2:3]
	s_cbranch_execnz .LBB1215_461
.LBB1215_462:
	s_or_b64 exec, exec, s[0:1]
	v_cmp_eq_u32_e32 vcc, 0, v0
	s_and_b64 s[0:1], vcc, s[24:25]
	s_and_saveexec_b64 s[2:3], s[0:1]
	s_cbranch_execz .LBB1215_422
.LBB1215_463:
	s_add_u32 s0, s22, s26
	s_addc_u32 s1, s23, 0
	s_add_u32 s0, s0, s16
	s_addc_u32 s1, s1, 0
	v_mov_b32_e32 v2, 0
	v_mov_b64_e32 v[0:1], s[0:1]
	global_store_dwordx2 v2, v[0:1], s[20:21]
	s_endpgm
	.section	.rodata,"a",@progbits
	.p2align	6, 0x0
	.amdhsa_kernel _ZN7rocprim17ROCPRIM_400000_NS6detail17trampoline_kernelINS0_14default_configENS1_25partition_config_selectorILNS1_17partition_subalgoE9EllbEEZZNS1_14partition_implILS5_9ELb0ES3_jPlS8_PNS0_10empty_typeENS0_5tupleIJS8_S9_EEENSB_IJS8_SA_EEENS0_18inequality_wrapperIZN2at6native12_GLOBAL__N_124unique_dim_cuda_templateIN3c108BFloat16EEESt5tupleIJNSF_6TensorESM_SM_EERKSM_lbbbEUlllE0_EEPmJS9_EEE10hipError_tPvRmT3_T4_T5_T6_T7_T9_mT8_P12ihipStream_tbDpT10_ENKUlT_T0_E_clISt17integral_constantIbLb0EES1C_EEDaS17_S18_EUlS17_E_NS1_11comp_targetILNS1_3genE5ELNS1_11target_archE942ELNS1_3gpuE9ELNS1_3repE0EEENS1_30default_config_static_selectorELNS0_4arch9wavefront6targetE1EEEvT1_
		.amdhsa_group_segment_fixed_size 28684
		.amdhsa_private_segment_fixed_size 0
		.amdhsa_kernarg_size 120
		.amdhsa_user_sgpr_count 2
		.amdhsa_user_sgpr_dispatch_ptr 0
		.amdhsa_user_sgpr_queue_ptr 0
		.amdhsa_user_sgpr_kernarg_segment_ptr 1
		.amdhsa_user_sgpr_dispatch_id 0
		.amdhsa_user_sgpr_kernarg_preload_length 0
		.amdhsa_user_sgpr_kernarg_preload_offset 0
		.amdhsa_user_sgpr_private_segment_size 0
		.amdhsa_uses_dynamic_stack 0
		.amdhsa_enable_private_segment 0
		.amdhsa_system_sgpr_workgroup_id_x 1
		.amdhsa_system_sgpr_workgroup_id_y 0
		.amdhsa_system_sgpr_workgroup_id_z 0
		.amdhsa_system_sgpr_workgroup_info 0
		.amdhsa_system_vgpr_workitem_id 0
		.amdhsa_next_free_vgpr 66
		.amdhsa_next_free_sgpr 52
		.amdhsa_accum_offset 68
		.amdhsa_reserve_vcc 1
		.amdhsa_float_round_mode_32 0
		.amdhsa_float_round_mode_16_64 0
		.amdhsa_float_denorm_mode_32 3
		.amdhsa_float_denorm_mode_16_64 3
		.amdhsa_dx10_clamp 1
		.amdhsa_ieee_mode 1
		.amdhsa_fp16_overflow 0
		.amdhsa_tg_split 0
		.amdhsa_exception_fp_ieee_invalid_op 0
		.amdhsa_exception_fp_denorm_src 0
		.amdhsa_exception_fp_ieee_div_zero 0
		.amdhsa_exception_fp_ieee_overflow 0
		.amdhsa_exception_fp_ieee_underflow 0
		.amdhsa_exception_fp_ieee_inexact 0
		.amdhsa_exception_int_div_zero 0
	.end_amdhsa_kernel
	.section	.text._ZN7rocprim17ROCPRIM_400000_NS6detail17trampoline_kernelINS0_14default_configENS1_25partition_config_selectorILNS1_17partition_subalgoE9EllbEEZZNS1_14partition_implILS5_9ELb0ES3_jPlS8_PNS0_10empty_typeENS0_5tupleIJS8_S9_EEENSB_IJS8_SA_EEENS0_18inequality_wrapperIZN2at6native12_GLOBAL__N_124unique_dim_cuda_templateIN3c108BFloat16EEESt5tupleIJNSF_6TensorESM_SM_EERKSM_lbbbEUlllE0_EEPmJS9_EEE10hipError_tPvRmT3_T4_T5_T6_T7_T9_mT8_P12ihipStream_tbDpT10_ENKUlT_T0_E_clISt17integral_constantIbLb0EES1C_EEDaS17_S18_EUlS17_E_NS1_11comp_targetILNS1_3genE5ELNS1_11target_archE942ELNS1_3gpuE9ELNS1_3repE0EEENS1_30default_config_static_selectorELNS0_4arch9wavefront6targetE1EEEvT1_,"axG",@progbits,_ZN7rocprim17ROCPRIM_400000_NS6detail17trampoline_kernelINS0_14default_configENS1_25partition_config_selectorILNS1_17partition_subalgoE9EllbEEZZNS1_14partition_implILS5_9ELb0ES3_jPlS8_PNS0_10empty_typeENS0_5tupleIJS8_S9_EEENSB_IJS8_SA_EEENS0_18inequality_wrapperIZN2at6native12_GLOBAL__N_124unique_dim_cuda_templateIN3c108BFloat16EEESt5tupleIJNSF_6TensorESM_SM_EERKSM_lbbbEUlllE0_EEPmJS9_EEE10hipError_tPvRmT3_T4_T5_T6_T7_T9_mT8_P12ihipStream_tbDpT10_ENKUlT_T0_E_clISt17integral_constantIbLb0EES1C_EEDaS17_S18_EUlS17_E_NS1_11comp_targetILNS1_3genE5ELNS1_11target_archE942ELNS1_3gpuE9ELNS1_3repE0EEENS1_30default_config_static_selectorELNS0_4arch9wavefront6targetE1EEEvT1_,comdat
.Lfunc_end1215:
	.size	_ZN7rocprim17ROCPRIM_400000_NS6detail17trampoline_kernelINS0_14default_configENS1_25partition_config_selectorILNS1_17partition_subalgoE9EllbEEZZNS1_14partition_implILS5_9ELb0ES3_jPlS8_PNS0_10empty_typeENS0_5tupleIJS8_S9_EEENSB_IJS8_SA_EEENS0_18inequality_wrapperIZN2at6native12_GLOBAL__N_124unique_dim_cuda_templateIN3c108BFloat16EEESt5tupleIJNSF_6TensorESM_SM_EERKSM_lbbbEUlllE0_EEPmJS9_EEE10hipError_tPvRmT3_T4_T5_T6_T7_T9_mT8_P12ihipStream_tbDpT10_ENKUlT_T0_E_clISt17integral_constantIbLb0EES1C_EEDaS17_S18_EUlS17_E_NS1_11comp_targetILNS1_3genE5ELNS1_11target_archE942ELNS1_3gpuE9ELNS1_3repE0EEENS1_30default_config_static_selectorELNS0_4arch9wavefront6targetE1EEEvT1_, .Lfunc_end1215-_ZN7rocprim17ROCPRIM_400000_NS6detail17trampoline_kernelINS0_14default_configENS1_25partition_config_selectorILNS1_17partition_subalgoE9EllbEEZZNS1_14partition_implILS5_9ELb0ES3_jPlS8_PNS0_10empty_typeENS0_5tupleIJS8_S9_EEENSB_IJS8_SA_EEENS0_18inequality_wrapperIZN2at6native12_GLOBAL__N_124unique_dim_cuda_templateIN3c108BFloat16EEESt5tupleIJNSF_6TensorESM_SM_EERKSM_lbbbEUlllE0_EEPmJS9_EEE10hipError_tPvRmT3_T4_T5_T6_T7_T9_mT8_P12ihipStream_tbDpT10_ENKUlT_T0_E_clISt17integral_constantIbLb0EES1C_EEDaS17_S18_EUlS17_E_NS1_11comp_targetILNS1_3genE5ELNS1_11target_archE942ELNS1_3gpuE9ELNS1_3repE0EEENS1_30default_config_static_selectorELNS0_4arch9wavefront6targetE1EEEvT1_
                                        ; -- End function
	.section	.AMDGPU.csdata,"",@progbits
; Kernel info:
; codeLenInByte = 15064
; NumSgprs: 58
; NumVgprs: 66
; NumAgprs: 0
; TotalNumVgprs: 66
; ScratchSize: 0
; MemoryBound: 0
; FloatMode: 240
; IeeeMode: 1
; LDSByteSize: 28684 bytes/workgroup (compile time only)
; SGPRBlocks: 7
; VGPRBlocks: 8
; NumSGPRsForWavesPerEU: 58
; NumVGPRsForWavesPerEU: 66
; AccumOffset: 68
; Occupancy: 4
; WaveLimiterHint : 1
; COMPUTE_PGM_RSRC2:SCRATCH_EN: 0
; COMPUTE_PGM_RSRC2:USER_SGPR: 2
; COMPUTE_PGM_RSRC2:TRAP_HANDLER: 0
; COMPUTE_PGM_RSRC2:TGID_X_EN: 1
; COMPUTE_PGM_RSRC2:TGID_Y_EN: 0
; COMPUTE_PGM_RSRC2:TGID_Z_EN: 0
; COMPUTE_PGM_RSRC2:TIDIG_COMP_CNT: 0
; COMPUTE_PGM_RSRC3_GFX90A:ACCUM_OFFSET: 16
; COMPUTE_PGM_RSRC3_GFX90A:TG_SPLIT: 0
	.section	.text._ZN7rocprim17ROCPRIM_400000_NS6detail17trampoline_kernelINS0_14default_configENS1_25partition_config_selectorILNS1_17partition_subalgoE9EllbEEZZNS1_14partition_implILS5_9ELb0ES3_jPlS8_PNS0_10empty_typeENS0_5tupleIJS8_S9_EEENSB_IJS8_SA_EEENS0_18inequality_wrapperIZN2at6native12_GLOBAL__N_124unique_dim_cuda_templateIN3c108BFloat16EEESt5tupleIJNSF_6TensorESM_SM_EERKSM_lbbbEUlllE0_EEPmJS9_EEE10hipError_tPvRmT3_T4_T5_T6_T7_T9_mT8_P12ihipStream_tbDpT10_ENKUlT_T0_E_clISt17integral_constantIbLb0EES1C_EEDaS17_S18_EUlS17_E_NS1_11comp_targetILNS1_3genE4ELNS1_11target_archE910ELNS1_3gpuE8ELNS1_3repE0EEENS1_30default_config_static_selectorELNS0_4arch9wavefront6targetE1EEEvT1_,"axG",@progbits,_ZN7rocprim17ROCPRIM_400000_NS6detail17trampoline_kernelINS0_14default_configENS1_25partition_config_selectorILNS1_17partition_subalgoE9EllbEEZZNS1_14partition_implILS5_9ELb0ES3_jPlS8_PNS0_10empty_typeENS0_5tupleIJS8_S9_EEENSB_IJS8_SA_EEENS0_18inequality_wrapperIZN2at6native12_GLOBAL__N_124unique_dim_cuda_templateIN3c108BFloat16EEESt5tupleIJNSF_6TensorESM_SM_EERKSM_lbbbEUlllE0_EEPmJS9_EEE10hipError_tPvRmT3_T4_T5_T6_T7_T9_mT8_P12ihipStream_tbDpT10_ENKUlT_T0_E_clISt17integral_constantIbLb0EES1C_EEDaS17_S18_EUlS17_E_NS1_11comp_targetILNS1_3genE4ELNS1_11target_archE910ELNS1_3gpuE8ELNS1_3repE0EEENS1_30default_config_static_selectorELNS0_4arch9wavefront6targetE1EEEvT1_,comdat
	.globl	_ZN7rocprim17ROCPRIM_400000_NS6detail17trampoline_kernelINS0_14default_configENS1_25partition_config_selectorILNS1_17partition_subalgoE9EllbEEZZNS1_14partition_implILS5_9ELb0ES3_jPlS8_PNS0_10empty_typeENS0_5tupleIJS8_S9_EEENSB_IJS8_SA_EEENS0_18inequality_wrapperIZN2at6native12_GLOBAL__N_124unique_dim_cuda_templateIN3c108BFloat16EEESt5tupleIJNSF_6TensorESM_SM_EERKSM_lbbbEUlllE0_EEPmJS9_EEE10hipError_tPvRmT3_T4_T5_T6_T7_T9_mT8_P12ihipStream_tbDpT10_ENKUlT_T0_E_clISt17integral_constantIbLb0EES1C_EEDaS17_S18_EUlS17_E_NS1_11comp_targetILNS1_3genE4ELNS1_11target_archE910ELNS1_3gpuE8ELNS1_3repE0EEENS1_30default_config_static_selectorELNS0_4arch9wavefront6targetE1EEEvT1_ ; -- Begin function _ZN7rocprim17ROCPRIM_400000_NS6detail17trampoline_kernelINS0_14default_configENS1_25partition_config_selectorILNS1_17partition_subalgoE9EllbEEZZNS1_14partition_implILS5_9ELb0ES3_jPlS8_PNS0_10empty_typeENS0_5tupleIJS8_S9_EEENSB_IJS8_SA_EEENS0_18inequality_wrapperIZN2at6native12_GLOBAL__N_124unique_dim_cuda_templateIN3c108BFloat16EEESt5tupleIJNSF_6TensorESM_SM_EERKSM_lbbbEUlllE0_EEPmJS9_EEE10hipError_tPvRmT3_T4_T5_T6_T7_T9_mT8_P12ihipStream_tbDpT10_ENKUlT_T0_E_clISt17integral_constantIbLb0EES1C_EEDaS17_S18_EUlS17_E_NS1_11comp_targetILNS1_3genE4ELNS1_11target_archE910ELNS1_3gpuE8ELNS1_3repE0EEENS1_30default_config_static_selectorELNS0_4arch9wavefront6targetE1EEEvT1_
	.p2align	8
	.type	_ZN7rocprim17ROCPRIM_400000_NS6detail17trampoline_kernelINS0_14default_configENS1_25partition_config_selectorILNS1_17partition_subalgoE9EllbEEZZNS1_14partition_implILS5_9ELb0ES3_jPlS8_PNS0_10empty_typeENS0_5tupleIJS8_S9_EEENSB_IJS8_SA_EEENS0_18inequality_wrapperIZN2at6native12_GLOBAL__N_124unique_dim_cuda_templateIN3c108BFloat16EEESt5tupleIJNSF_6TensorESM_SM_EERKSM_lbbbEUlllE0_EEPmJS9_EEE10hipError_tPvRmT3_T4_T5_T6_T7_T9_mT8_P12ihipStream_tbDpT10_ENKUlT_T0_E_clISt17integral_constantIbLb0EES1C_EEDaS17_S18_EUlS17_E_NS1_11comp_targetILNS1_3genE4ELNS1_11target_archE910ELNS1_3gpuE8ELNS1_3repE0EEENS1_30default_config_static_selectorELNS0_4arch9wavefront6targetE1EEEvT1_,@function
_ZN7rocprim17ROCPRIM_400000_NS6detail17trampoline_kernelINS0_14default_configENS1_25partition_config_selectorILNS1_17partition_subalgoE9EllbEEZZNS1_14partition_implILS5_9ELb0ES3_jPlS8_PNS0_10empty_typeENS0_5tupleIJS8_S9_EEENSB_IJS8_SA_EEENS0_18inequality_wrapperIZN2at6native12_GLOBAL__N_124unique_dim_cuda_templateIN3c108BFloat16EEESt5tupleIJNSF_6TensorESM_SM_EERKSM_lbbbEUlllE0_EEPmJS9_EEE10hipError_tPvRmT3_T4_T5_T6_T7_T9_mT8_P12ihipStream_tbDpT10_ENKUlT_T0_E_clISt17integral_constantIbLb0EES1C_EEDaS17_S18_EUlS17_E_NS1_11comp_targetILNS1_3genE4ELNS1_11target_archE910ELNS1_3gpuE8ELNS1_3repE0EEENS1_30default_config_static_selectorELNS0_4arch9wavefront6targetE1EEEvT1_: ; @_ZN7rocprim17ROCPRIM_400000_NS6detail17trampoline_kernelINS0_14default_configENS1_25partition_config_selectorILNS1_17partition_subalgoE9EllbEEZZNS1_14partition_implILS5_9ELb0ES3_jPlS8_PNS0_10empty_typeENS0_5tupleIJS8_S9_EEENSB_IJS8_SA_EEENS0_18inequality_wrapperIZN2at6native12_GLOBAL__N_124unique_dim_cuda_templateIN3c108BFloat16EEESt5tupleIJNSF_6TensorESM_SM_EERKSM_lbbbEUlllE0_EEPmJS9_EEE10hipError_tPvRmT3_T4_T5_T6_T7_T9_mT8_P12ihipStream_tbDpT10_ENKUlT_T0_E_clISt17integral_constantIbLb0EES1C_EEDaS17_S18_EUlS17_E_NS1_11comp_targetILNS1_3genE4ELNS1_11target_archE910ELNS1_3gpuE8ELNS1_3repE0EEENS1_30default_config_static_selectorELNS0_4arch9wavefront6targetE1EEEvT1_
; %bb.0:
	.section	.rodata,"a",@progbits
	.p2align	6, 0x0
	.amdhsa_kernel _ZN7rocprim17ROCPRIM_400000_NS6detail17trampoline_kernelINS0_14default_configENS1_25partition_config_selectorILNS1_17partition_subalgoE9EllbEEZZNS1_14partition_implILS5_9ELb0ES3_jPlS8_PNS0_10empty_typeENS0_5tupleIJS8_S9_EEENSB_IJS8_SA_EEENS0_18inequality_wrapperIZN2at6native12_GLOBAL__N_124unique_dim_cuda_templateIN3c108BFloat16EEESt5tupleIJNSF_6TensorESM_SM_EERKSM_lbbbEUlllE0_EEPmJS9_EEE10hipError_tPvRmT3_T4_T5_T6_T7_T9_mT8_P12ihipStream_tbDpT10_ENKUlT_T0_E_clISt17integral_constantIbLb0EES1C_EEDaS17_S18_EUlS17_E_NS1_11comp_targetILNS1_3genE4ELNS1_11target_archE910ELNS1_3gpuE8ELNS1_3repE0EEENS1_30default_config_static_selectorELNS0_4arch9wavefront6targetE1EEEvT1_
		.amdhsa_group_segment_fixed_size 0
		.amdhsa_private_segment_fixed_size 0
		.amdhsa_kernarg_size 120
		.amdhsa_user_sgpr_count 2
		.amdhsa_user_sgpr_dispatch_ptr 0
		.amdhsa_user_sgpr_queue_ptr 0
		.amdhsa_user_sgpr_kernarg_segment_ptr 1
		.amdhsa_user_sgpr_dispatch_id 0
		.amdhsa_user_sgpr_kernarg_preload_length 0
		.amdhsa_user_sgpr_kernarg_preload_offset 0
		.amdhsa_user_sgpr_private_segment_size 0
		.amdhsa_uses_dynamic_stack 0
		.amdhsa_enable_private_segment 0
		.amdhsa_system_sgpr_workgroup_id_x 1
		.amdhsa_system_sgpr_workgroup_id_y 0
		.amdhsa_system_sgpr_workgroup_id_z 0
		.amdhsa_system_sgpr_workgroup_info 0
		.amdhsa_system_vgpr_workitem_id 0
		.amdhsa_next_free_vgpr 1
		.amdhsa_next_free_sgpr 0
		.amdhsa_accum_offset 4
		.amdhsa_reserve_vcc 0
		.amdhsa_float_round_mode_32 0
		.amdhsa_float_round_mode_16_64 0
		.amdhsa_float_denorm_mode_32 3
		.amdhsa_float_denorm_mode_16_64 3
		.amdhsa_dx10_clamp 1
		.amdhsa_ieee_mode 1
		.amdhsa_fp16_overflow 0
		.amdhsa_tg_split 0
		.amdhsa_exception_fp_ieee_invalid_op 0
		.amdhsa_exception_fp_denorm_src 0
		.amdhsa_exception_fp_ieee_div_zero 0
		.amdhsa_exception_fp_ieee_overflow 0
		.amdhsa_exception_fp_ieee_underflow 0
		.amdhsa_exception_fp_ieee_inexact 0
		.amdhsa_exception_int_div_zero 0
	.end_amdhsa_kernel
	.section	.text._ZN7rocprim17ROCPRIM_400000_NS6detail17trampoline_kernelINS0_14default_configENS1_25partition_config_selectorILNS1_17partition_subalgoE9EllbEEZZNS1_14partition_implILS5_9ELb0ES3_jPlS8_PNS0_10empty_typeENS0_5tupleIJS8_S9_EEENSB_IJS8_SA_EEENS0_18inequality_wrapperIZN2at6native12_GLOBAL__N_124unique_dim_cuda_templateIN3c108BFloat16EEESt5tupleIJNSF_6TensorESM_SM_EERKSM_lbbbEUlllE0_EEPmJS9_EEE10hipError_tPvRmT3_T4_T5_T6_T7_T9_mT8_P12ihipStream_tbDpT10_ENKUlT_T0_E_clISt17integral_constantIbLb0EES1C_EEDaS17_S18_EUlS17_E_NS1_11comp_targetILNS1_3genE4ELNS1_11target_archE910ELNS1_3gpuE8ELNS1_3repE0EEENS1_30default_config_static_selectorELNS0_4arch9wavefront6targetE1EEEvT1_,"axG",@progbits,_ZN7rocprim17ROCPRIM_400000_NS6detail17trampoline_kernelINS0_14default_configENS1_25partition_config_selectorILNS1_17partition_subalgoE9EllbEEZZNS1_14partition_implILS5_9ELb0ES3_jPlS8_PNS0_10empty_typeENS0_5tupleIJS8_S9_EEENSB_IJS8_SA_EEENS0_18inequality_wrapperIZN2at6native12_GLOBAL__N_124unique_dim_cuda_templateIN3c108BFloat16EEESt5tupleIJNSF_6TensorESM_SM_EERKSM_lbbbEUlllE0_EEPmJS9_EEE10hipError_tPvRmT3_T4_T5_T6_T7_T9_mT8_P12ihipStream_tbDpT10_ENKUlT_T0_E_clISt17integral_constantIbLb0EES1C_EEDaS17_S18_EUlS17_E_NS1_11comp_targetILNS1_3genE4ELNS1_11target_archE910ELNS1_3gpuE8ELNS1_3repE0EEENS1_30default_config_static_selectorELNS0_4arch9wavefront6targetE1EEEvT1_,comdat
.Lfunc_end1216:
	.size	_ZN7rocprim17ROCPRIM_400000_NS6detail17trampoline_kernelINS0_14default_configENS1_25partition_config_selectorILNS1_17partition_subalgoE9EllbEEZZNS1_14partition_implILS5_9ELb0ES3_jPlS8_PNS0_10empty_typeENS0_5tupleIJS8_S9_EEENSB_IJS8_SA_EEENS0_18inequality_wrapperIZN2at6native12_GLOBAL__N_124unique_dim_cuda_templateIN3c108BFloat16EEESt5tupleIJNSF_6TensorESM_SM_EERKSM_lbbbEUlllE0_EEPmJS9_EEE10hipError_tPvRmT3_T4_T5_T6_T7_T9_mT8_P12ihipStream_tbDpT10_ENKUlT_T0_E_clISt17integral_constantIbLb0EES1C_EEDaS17_S18_EUlS17_E_NS1_11comp_targetILNS1_3genE4ELNS1_11target_archE910ELNS1_3gpuE8ELNS1_3repE0EEENS1_30default_config_static_selectorELNS0_4arch9wavefront6targetE1EEEvT1_, .Lfunc_end1216-_ZN7rocprim17ROCPRIM_400000_NS6detail17trampoline_kernelINS0_14default_configENS1_25partition_config_selectorILNS1_17partition_subalgoE9EllbEEZZNS1_14partition_implILS5_9ELb0ES3_jPlS8_PNS0_10empty_typeENS0_5tupleIJS8_S9_EEENSB_IJS8_SA_EEENS0_18inequality_wrapperIZN2at6native12_GLOBAL__N_124unique_dim_cuda_templateIN3c108BFloat16EEESt5tupleIJNSF_6TensorESM_SM_EERKSM_lbbbEUlllE0_EEPmJS9_EEE10hipError_tPvRmT3_T4_T5_T6_T7_T9_mT8_P12ihipStream_tbDpT10_ENKUlT_T0_E_clISt17integral_constantIbLb0EES1C_EEDaS17_S18_EUlS17_E_NS1_11comp_targetILNS1_3genE4ELNS1_11target_archE910ELNS1_3gpuE8ELNS1_3repE0EEENS1_30default_config_static_selectorELNS0_4arch9wavefront6targetE1EEEvT1_
                                        ; -- End function
	.section	.AMDGPU.csdata,"",@progbits
; Kernel info:
; codeLenInByte = 0
; NumSgprs: 6
; NumVgprs: 0
; NumAgprs: 0
; TotalNumVgprs: 0
; ScratchSize: 0
; MemoryBound: 0
; FloatMode: 240
; IeeeMode: 1
; LDSByteSize: 0 bytes/workgroup (compile time only)
; SGPRBlocks: 0
; VGPRBlocks: 0
; NumSGPRsForWavesPerEU: 6
; NumVGPRsForWavesPerEU: 1
; AccumOffset: 4
; Occupancy: 8
; WaveLimiterHint : 0
; COMPUTE_PGM_RSRC2:SCRATCH_EN: 0
; COMPUTE_PGM_RSRC2:USER_SGPR: 2
; COMPUTE_PGM_RSRC2:TRAP_HANDLER: 0
; COMPUTE_PGM_RSRC2:TGID_X_EN: 1
; COMPUTE_PGM_RSRC2:TGID_Y_EN: 0
; COMPUTE_PGM_RSRC2:TGID_Z_EN: 0
; COMPUTE_PGM_RSRC2:TIDIG_COMP_CNT: 0
; COMPUTE_PGM_RSRC3_GFX90A:ACCUM_OFFSET: 0
; COMPUTE_PGM_RSRC3_GFX90A:TG_SPLIT: 0
	.section	.text._ZN7rocprim17ROCPRIM_400000_NS6detail17trampoline_kernelINS0_14default_configENS1_25partition_config_selectorILNS1_17partition_subalgoE9EllbEEZZNS1_14partition_implILS5_9ELb0ES3_jPlS8_PNS0_10empty_typeENS0_5tupleIJS8_S9_EEENSB_IJS8_SA_EEENS0_18inequality_wrapperIZN2at6native12_GLOBAL__N_124unique_dim_cuda_templateIN3c108BFloat16EEESt5tupleIJNSF_6TensorESM_SM_EERKSM_lbbbEUlllE0_EEPmJS9_EEE10hipError_tPvRmT3_T4_T5_T6_T7_T9_mT8_P12ihipStream_tbDpT10_ENKUlT_T0_E_clISt17integral_constantIbLb0EES1C_EEDaS17_S18_EUlS17_E_NS1_11comp_targetILNS1_3genE3ELNS1_11target_archE908ELNS1_3gpuE7ELNS1_3repE0EEENS1_30default_config_static_selectorELNS0_4arch9wavefront6targetE1EEEvT1_,"axG",@progbits,_ZN7rocprim17ROCPRIM_400000_NS6detail17trampoline_kernelINS0_14default_configENS1_25partition_config_selectorILNS1_17partition_subalgoE9EllbEEZZNS1_14partition_implILS5_9ELb0ES3_jPlS8_PNS0_10empty_typeENS0_5tupleIJS8_S9_EEENSB_IJS8_SA_EEENS0_18inequality_wrapperIZN2at6native12_GLOBAL__N_124unique_dim_cuda_templateIN3c108BFloat16EEESt5tupleIJNSF_6TensorESM_SM_EERKSM_lbbbEUlllE0_EEPmJS9_EEE10hipError_tPvRmT3_T4_T5_T6_T7_T9_mT8_P12ihipStream_tbDpT10_ENKUlT_T0_E_clISt17integral_constantIbLb0EES1C_EEDaS17_S18_EUlS17_E_NS1_11comp_targetILNS1_3genE3ELNS1_11target_archE908ELNS1_3gpuE7ELNS1_3repE0EEENS1_30default_config_static_selectorELNS0_4arch9wavefront6targetE1EEEvT1_,comdat
	.globl	_ZN7rocprim17ROCPRIM_400000_NS6detail17trampoline_kernelINS0_14default_configENS1_25partition_config_selectorILNS1_17partition_subalgoE9EllbEEZZNS1_14partition_implILS5_9ELb0ES3_jPlS8_PNS0_10empty_typeENS0_5tupleIJS8_S9_EEENSB_IJS8_SA_EEENS0_18inequality_wrapperIZN2at6native12_GLOBAL__N_124unique_dim_cuda_templateIN3c108BFloat16EEESt5tupleIJNSF_6TensorESM_SM_EERKSM_lbbbEUlllE0_EEPmJS9_EEE10hipError_tPvRmT3_T4_T5_T6_T7_T9_mT8_P12ihipStream_tbDpT10_ENKUlT_T0_E_clISt17integral_constantIbLb0EES1C_EEDaS17_S18_EUlS17_E_NS1_11comp_targetILNS1_3genE3ELNS1_11target_archE908ELNS1_3gpuE7ELNS1_3repE0EEENS1_30default_config_static_selectorELNS0_4arch9wavefront6targetE1EEEvT1_ ; -- Begin function _ZN7rocprim17ROCPRIM_400000_NS6detail17trampoline_kernelINS0_14default_configENS1_25partition_config_selectorILNS1_17partition_subalgoE9EllbEEZZNS1_14partition_implILS5_9ELb0ES3_jPlS8_PNS0_10empty_typeENS0_5tupleIJS8_S9_EEENSB_IJS8_SA_EEENS0_18inequality_wrapperIZN2at6native12_GLOBAL__N_124unique_dim_cuda_templateIN3c108BFloat16EEESt5tupleIJNSF_6TensorESM_SM_EERKSM_lbbbEUlllE0_EEPmJS9_EEE10hipError_tPvRmT3_T4_T5_T6_T7_T9_mT8_P12ihipStream_tbDpT10_ENKUlT_T0_E_clISt17integral_constantIbLb0EES1C_EEDaS17_S18_EUlS17_E_NS1_11comp_targetILNS1_3genE3ELNS1_11target_archE908ELNS1_3gpuE7ELNS1_3repE0EEENS1_30default_config_static_selectorELNS0_4arch9wavefront6targetE1EEEvT1_
	.p2align	8
	.type	_ZN7rocprim17ROCPRIM_400000_NS6detail17trampoline_kernelINS0_14default_configENS1_25partition_config_selectorILNS1_17partition_subalgoE9EllbEEZZNS1_14partition_implILS5_9ELb0ES3_jPlS8_PNS0_10empty_typeENS0_5tupleIJS8_S9_EEENSB_IJS8_SA_EEENS0_18inequality_wrapperIZN2at6native12_GLOBAL__N_124unique_dim_cuda_templateIN3c108BFloat16EEESt5tupleIJNSF_6TensorESM_SM_EERKSM_lbbbEUlllE0_EEPmJS9_EEE10hipError_tPvRmT3_T4_T5_T6_T7_T9_mT8_P12ihipStream_tbDpT10_ENKUlT_T0_E_clISt17integral_constantIbLb0EES1C_EEDaS17_S18_EUlS17_E_NS1_11comp_targetILNS1_3genE3ELNS1_11target_archE908ELNS1_3gpuE7ELNS1_3repE0EEENS1_30default_config_static_selectorELNS0_4arch9wavefront6targetE1EEEvT1_,@function
_ZN7rocprim17ROCPRIM_400000_NS6detail17trampoline_kernelINS0_14default_configENS1_25partition_config_selectorILNS1_17partition_subalgoE9EllbEEZZNS1_14partition_implILS5_9ELb0ES3_jPlS8_PNS0_10empty_typeENS0_5tupleIJS8_S9_EEENSB_IJS8_SA_EEENS0_18inequality_wrapperIZN2at6native12_GLOBAL__N_124unique_dim_cuda_templateIN3c108BFloat16EEESt5tupleIJNSF_6TensorESM_SM_EERKSM_lbbbEUlllE0_EEPmJS9_EEE10hipError_tPvRmT3_T4_T5_T6_T7_T9_mT8_P12ihipStream_tbDpT10_ENKUlT_T0_E_clISt17integral_constantIbLb0EES1C_EEDaS17_S18_EUlS17_E_NS1_11comp_targetILNS1_3genE3ELNS1_11target_archE908ELNS1_3gpuE7ELNS1_3repE0EEENS1_30default_config_static_selectorELNS0_4arch9wavefront6targetE1EEEvT1_: ; @_ZN7rocprim17ROCPRIM_400000_NS6detail17trampoline_kernelINS0_14default_configENS1_25partition_config_selectorILNS1_17partition_subalgoE9EllbEEZZNS1_14partition_implILS5_9ELb0ES3_jPlS8_PNS0_10empty_typeENS0_5tupleIJS8_S9_EEENSB_IJS8_SA_EEENS0_18inequality_wrapperIZN2at6native12_GLOBAL__N_124unique_dim_cuda_templateIN3c108BFloat16EEESt5tupleIJNSF_6TensorESM_SM_EERKSM_lbbbEUlllE0_EEPmJS9_EEE10hipError_tPvRmT3_T4_T5_T6_T7_T9_mT8_P12ihipStream_tbDpT10_ENKUlT_T0_E_clISt17integral_constantIbLb0EES1C_EEDaS17_S18_EUlS17_E_NS1_11comp_targetILNS1_3genE3ELNS1_11target_archE908ELNS1_3gpuE7ELNS1_3repE0EEENS1_30default_config_static_selectorELNS0_4arch9wavefront6targetE1EEEvT1_
; %bb.0:
	.section	.rodata,"a",@progbits
	.p2align	6, 0x0
	.amdhsa_kernel _ZN7rocprim17ROCPRIM_400000_NS6detail17trampoline_kernelINS0_14default_configENS1_25partition_config_selectorILNS1_17partition_subalgoE9EllbEEZZNS1_14partition_implILS5_9ELb0ES3_jPlS8_PNS0_10empty_typeENS0_5tupleIJS8_S9_EEENSB_IJS8_SA_EEENS0_18inequality_wrapperIZN2at6native12_GLOBAL__N_124unique_dim_cuda_templateIN3c108BFloat16EEESt5tupleIJNSF_6TensorESM_SM_EERKSM_lbbbEUlllE0_EEPmJS9_EEE10hipError_tPvRmT3_T4_T5_T6_T7_T9_mT8_P12ihipStream_tbDpT10_ENKUlT_T0_E_clISt17integral_constantIbLb0EES1C_EEDaS17_S18_EUlS17_E_NS1_11comp_targetILNS1_3genE3ELNS1_11target_archE908ELNS1_3gpuE7ELNS1_3repE0EEENS1_30default_config_static_selectorELNS0_4arch9wavefront6targetE1EEEvT1_
		.amdhsa_group_segment_fixed_size 0
		.amdhsa_private_segment_fixed_size 0
		.amdhsa_kernarg_size 120
		.amdhsa_user_sgpr_count 2
		.amdhsa_user_sgpr_dispatch_ptr 0
		.amdhsa_user_sgpr_queue_ptr 0
		.amdhsa_user_sgpr_kernarg_segment_ptr 1
		.amdhsa_user_sgpr_dispatch_id 0
		.amdhsa_user_sgpr_kernarg_preload_length 0
		.amdhsa_user_sgpr_kernarg_preload_offset 0
		.amdhsa_user_sgpr_private_segment_size 0
		.amdhsa_uses_dynamic_stack 0
		.amdhsa_enable_private_segment 0
		.amdhsa_system_sgpr_workgroup_id_x 1
		.amdhsa_system_sgpr_workgroup_id_y 0
		.amdhsa_system_sgpr_workgroup_id_z 0
		.amdhsa_system_sgpr_workgroup_info 0
		.amdhsa_system_vgpr_workitem_id 0
		.amdhsa_next_free_vgpr 1
		.amdhsa_next_free_sgpr 0
		.amdhsa_accum_offset 4
		.amdhsa_reserve_vcc 0
		.amdhsa_float_round_mode_32 0
		.amdhsa_float_round_mode_16_64 0
		.amdhsa_float_denorm_mode_32 3
		.amdhsa_float_denorm_mode_16_64 3
		.amdhsa_dx10_clamp 1
		.amdhsa_ieee_mode 1
		.amdhsa_fp16_overflow 0
		.amdhsa_tg_split 0
		.amdhsa_exception_fp_ieee_invalid_op 0
		.amdhsa_exception_fp_denorm_src 0
		.amdhsa_exception_fp_ieee_div_zero 0
		.amdhsa_exception_fp_ieee_overflow 0
		.amdhsa_exception_fp_ieee_underflow 0
		.amdhsa_exception_fp_ieee_inexact 0
		.amdhsa_exception_int_div_zero 0
	.end_amdhsa_kernel
	.section	.text._ZN7rocprim17ROCPRIM_400000_NS6detail17trampoline_kernelINS0_14default_configENS1_25partition_config_selectorILNS1_17partition_subalgoE9EllbEEZZNS1_14partition_implILS5_9ELb0ES3_jPlS8_PNS0_10empty_typeENS0_5tupleIJS8_S9_EEENSB_IJS8_SA_EEENS0_18inequality_wrapperIZN2at6native12_GLOBAL__N_124unique_dim_cuda_templateIN3c108BFloat16EEESt5tupleIJNSF_6TensorESM_SM_EERKSM_lbbbEUlllE0_EEPmJS9_EEE10hipError_tPvRmT3_T4_T5_T6_T7_T9_mT8_P12ihipStream_tbDpT10_ENKUlT_T0_E_clISt17integral_constantIbLb0EES1C_EEDaS17_S18_EUlS17_E_NS1_11comp_targetILNS1_3genE3ELNS1_11target_archE908ELNS1_3gpuE7ELNS1_3repE0EEENS1_30default_config_static_selectorELNS0_4arch9wavefront6targetE1EEEvT1_,"axG",@progbits,_ZN7rocprim17ROCPRIM_400000_NS6detail17trampoline_kernelINS0_14default_configENS1_25partition_config_selectorILNS1_17partition_subalgoE9EllbEEZZNS1_14partition_implILS5_9ELb0ES3_jPlS8_PNS0_10empty_typeENS0_5tupleIJS8_S9_EEENSB_IJS8_SA_EEENS0_18inequality_wrapperIZN2at6native12_GLOBAL__N_124unique_dim_cuda_templateIN3c108BFloat16EEESt5tupleIJNSF_6TensorESM_SM_EERKSM_lbbbEUlllE0_EEPmJS9_EEE10hipError_tPvRmT3_T4_T5_T6_T7_T9_mT8_P12ihipStream_tbDpT10_ENKUlT_T0_E_clISt17integral_constantIbLb0EES1C_EEDaS17_S18_EUlS17_E_NS1_11comp_targetILNS1_3genE3ELNS1_11target_archE908ELNS1_3gpuE7ELNS1_3repE0EEENS1_30default_config_static_selectorELNS0_4arch9wavefront6targetE1EEEvT1_,comdat
.Lfunc_end1217:
	.size	_ZN7rocprim17ROCPRIM_400000_NS6detail17trampoline_kernelINS0_14default_configENS1_25partition_config_selectorILNS1_17partition_subalgoE9EllbEEZZNS1_14partition_implILS5_9ELb0ES3_jPlS8_PNS0_10empty_typeENS0_5tupleIJS8_S9_EEENSB_IJS8_SA_EEENS0_18inequality_wrapperIZN2at6native12_GLOBAL__N_124unique_dim_cuda_templateIN3c108BFloat16EEESt5tupleIJNSF_6TensorESM_SM_EERKSM_lbbbEUlllE0_EEPmJS9_EEE10hipError_tPvRmT3_T4_T5_T6_T7_T9_mT8_P12ihipStream_tbDpT10_ENKUlT_T0_E_clISt17integral_constantIbLb0EES1C_EEDaS17_S18_EUlS17_E_NS1_11comp_targetILNS1_3genE3ELNS1_11target_archE908ELNS1_3gpuE7ELNS1_3repE0EEENS1_30default_config_static_selectorELNS0_4arch9wavefront6targetE1EEEvT1_, .Lfunc_end1217-_ZN7rocprim17ROCPRIM_400000_NS6detail17trampoline_kernelINS0_14default_configENS1_25partition_config_selectorILNS1_17partition_subalgoE9EllbEEZZNS1_14partition_implILS5_9ELb0ES3_jPlS8_PNS0_10empty_typeENS0_5tupleIJS8_S9_EEENSB_IJS8_SA_EEENS0_18inequality_wrapperIZN2at6native12_GLOBAL__N_124unique_dim_cuda_templateIN3c108BFloat16EEESt5tupleIJNSF_6TensorESM_SM_EERKSM_lbbbEUlllE0_EEPmJS9_EEE10hipError_tPvRmT3_T4_T5_T6_T7_T9_mT8_P12ihipStream_tbDpT10_ENKUlT_T0_E_clISt17integral_constantIbLb0EES1C_EEDaS17_S18_EUlS17_E_NS1_11comp_targetILNS1_3genE3ELNS1_11target_archE908ELNS1_3gpuE7ELNS1_3repE0EEENS1_30default_config_static_selectorELNS0_4arch9wavefront6targetE1EEEvT1_
                                        ; -- End function
	.section	.AMDGPU.csdata,"",@progbits
; Kernel info:
; codeLenInByte = 0
; NumSgprs: 6
; NumVgprs: 0
; NumAgprs: 0
; TotalNumVgprs: 0
; ScratchSize: 0
; MemoryBound: 0
; FloatMode: 240
; IeeeMode: 1
; LDSByteSize: 0 bytes/workgroup (compile time only)
; SGPRBlocks: 0
; VGPRBlocks: 0
; NumSGPRsForWavesPerEU: 6
; NumVGPRsForWavesPerEU: 1
; AccumOffset: 4
; Occupancy: 8
; WaveLimiterHint : 0
; COMPUTE_PGM_RSRC2:SCRATCH_EN: 0
; COMPUTE_PGM_RSRC2:USER_SGPR: 2
; COMPUTE_PGM_RSRC2:TRAP_HANDLER: 0
; COMPUTE_PGM_RSRC2:TGID_X_EN: 1
; COMPUTE_PGM_RSRC2:TGID_Y_EN: 0
; COMPUTE_PGM_RSRC2:TGID_Z_EN: 0
; COMPUTE_PGM_RSRC2:TIDIG_COMP_CNT: 0
; COMPUTE_PGM_RSRC3_GFX90A:ACCUM_OFFSET: 0
; COMPUTE_PGM_RSRC3_GFX90A:TG_SPLIT: 0
	.section	.text._ZN7rocprim17ROCPRIM_400000_NS6detail17trampoline_kernelINS0_14default_configENS1_25partition_config_selectorILNS1_17partition_subalgoE9EllbEEZZNS1_14partition_implILS5_9ELb0ES3_jPlS8_PNS0_10empty_typeENS0_5tupleIJS8_S9_EEENSB_IJS8_SA_EEENS0_18inequality_wrapperIZN2at6native12_GLOBAL__N_124unique_dim_cuda_templateIN3c108BFloat16EEESt5tupleIJNSF_6TensorESM_SM_EERKSM_lbbbEUlllE0_EEPmJS9_EEE10hipError_tPvRmT3_T4_T5_T6_T7_T9_mT8_P12ihipStream_tbDpT10_ENKUlT_T0_E_clISt17integral_constantIbLb0EES1C_EEDaS17_S18_EUlS17_E_NS1_11comp_targetILNS1_3genE2ELNS1_11target_archE906ELNS1_3gpuE6ELNS1_3repE0EEENS1_30default_config_static_selectorELNS0_4arch9wavefront6targetE1EEEvT1_,"axG",@progbits,_ZN7rocprim17ROCPRIM_400000_NS6detail17trampoline_kernelINS0_14default_configENS1_25partition_config_selectorILNS1_17partition_subalgoE9EllbEEZZNS1_14partition_implILS5_9ELb0ES3_jPlS8_PNS0_10empty_typeENS0_5tupleIJS8_S9_EEENSB_IJS8_SA_EEENS0_18inequality_wrapperIZN2at6native12_GLOBAL__N_124unique_dim_cuda_templateIN3c108BFloat16EEESt5tupleIJNSF_6TensorESM_SM_EERKSM_lbbbEUlllE0_EEPmJS9_EEE10hipError_tPvRmT3_T4_T5_T6_T7_T9_mT8_P12ihipStream_tbDpT10_ENKUlT_T0_E_clISt17integral_constantIbLb0EES1C_EEDaS17_S18_EUlS17_E_NS1_11comp_targetILNS1_3genE2ELNS1_11target_archE906ELNS1_3gpuE6ELNS1_3repE0EEENS1_30default_config_static_selectorELNS0_4arch9wavefront6targetE1EEEvT1_,comdat
	.globl	_ZN7rocprim17ROCPRIM_400000_NS6detail17trampoline_kernelINS0_14default_configENS1_25partition_config_selectorILNS1_17partition_subalgoE9EllbEEZZNS1_14partition_implILS5_9ELb0ES3_jPlS8_PNS0_10empty_typeENS0_5tupleIJS8_S9_EEENSB_IJS8_SA_EEENS0_18inequality_wrapperIZN2at6native12_GLOBAL__N_124unique_dim_cuda_templateIN3c108BFloat16EEESt5tupleIJNSF_6TensorESM_SM_EERKSM_lbbbEUlllE0_EEPmJS9_EEE10hipError_tPvRmT3_T4_T5_T6_T7_T9_mT8_P12ihipStream_tbDpT10_ENKUlT_T0_E_clISt17integral_constantIbLb0EES1C_EEDaS17_S18_EUlS17_E_NS1_11comp_targetILNS1_3genE2ELNS1_11target_archE906ELNS1_3gpuE6ELNS1_3repE0EEENS1_30default_config_static_selectorELNS0_4arch9wavefront6targetE1EEEvT1_ ; -- Begin function _ZN7rocprim17ROCPRIM_400000_NS6detail17trampoline_kernelINS0_14default_configENS1_25partition_config_selectorILNS1_17partition_subalgoE9EllbEEZZNS1_14partition_implILS5_9ELb0ES3_jPlS8_PNS0_10empty_typeENS0_5tupleIJS8_S9_EEENSB_IJS8_SA_EEENS0_18inequality_wrapperIZN2at6native12_GLOBAL__N_124unique_dim_cuda_templateIN3c108BFloat16EEESt5tupleIJNSF_6TensorESM_SM_EERKSM_lbbbEUlllE0_EEPmJS9_EEE10hipError_tPvRmT3_T4_T5_T6_T7_T9_mT8_P12ihipStream_tbDpT10_ENKUlT_T0_E_clISt17integral_constantIbLb0EES1C_EEDaS17_S18_EUlS17_E_NS1_11comp_targetILNS1_3genE2ELNS1_11target_archE906ELNS1_3gpuE6ELNS1_3repE0EEENS1_30default_config_static_selectorELNS0_4arch9wavefront6targetE1EEEvT1_
	.p2align	8
	.type	_ZN7rocprim17ROCPRIM_400000_NS6detail17trampoline_kernelINS0_14default_configENS1_25partition_config_selectorILNS1_17partition_subalgoE9EllbEEZZNS1_14partition_implILS5_9ELb0ES3_jPlS8_PNS0_10empty_typeENS0_5tupleIJS8_S9_EEENSB_IJS8_SA_EEENS0_18inequality_wrapperIZN2at6native12_GLOBAL__N_124unique_dim_cuda_templateIN3c108BFloat16EEESt5tupleIJNSF_6TensorESM_SM_EERKSM_lbbbEUlllE0_EEPmJS9_EEE10hipError_tPvRmT3_T4_T5_T6_T7_T9_mT8_P12ihipStream_tbDpT10_ENKUlT_T0_E_clISt17integral_constantIbLb0EES1C_EEDaS17_S18_EUlS17_E_NS1_11comp_targetILNS1_3genE2ELNS1_11target_archE906ELNS1_3gpuE6ELNS1_3repE0EEENS1_30default_config_static_selectorELNS0_4arch9wavefront6targetE1EEEvT1_,@function
_ZN7rocprim17ROCPRIM_400000_NS6detail17trampoline_kernelINS0_14default_configENS1_25partition_config_selectorILNS1_17partition_subalgoE9EllbEEZZNS1_14partition_implILS5_9ELb0ES3_jPlS8_PNS0_10empty_typeENS0_5tupleIJS8_S9_EEENSB_IJS8_SA_EEENS0_18inequality_wrapperIZN2at6native12_GLOBAL__N_124unique_dim_cuda_templateIN3c108BFloat16EEESt5tupleIJNSF_6TensorESM_SM_EERKSM_lbbbEUlllE0_EEPmJS9_EEE10hipError_tPvRmT3_T4_T5_T6_T7_T9_mT8_P12ihipStream_tbDpT10_ENKUlT_T0_E_clISt17integral_constantIbLb0EES1C_EEDaS17_S18_EUlS17_E_NS1_11comp_targetILNS1_3genE2ELNS1_11target_archE906ELNS1_3gpuE6ELNS1_3repE0EEENS1_30default_config_static_selectorELNS0_4arch9wavefront6targetE1EEEvT1_: ; @_ZN7rocprim17ROCPRIM_400000_NS6detail17trampoline_kernelINS0_14default_configENS1_25partition_config_selectorILNS1_17partition_subalgoE9EllbEEZZNS1_14partition_implILS5_9ELb0ES3_jPlS8_PNS0_10empty_typeENS0_5tupleIJS8_S9_EEENSB_IJS8_SA_EEENS0_18inequality_wrapperIZN2at6native12_GLOBAL__N_124unique_dim_cuda_templateIN3c108BFloat16EEESt5tupleIJNSF_6TensorESM_SM_EERKSM_lbbbEUlllE0_EEPmJS9_EEE10hipError_tPvRmT3_T4_T5_T6_T7_T9_mT8_P12ihipStream_tbDpT10_ENKUlT_T0_E_clISt17integral_constantIbLb0EES1C_EEDaS17_S18_EUlS17_E_NS1_11comp_targetILNS1_3genE2ELNS1_11target_archE906ELNS1_3gpuE6ELNS1_3repE0EEENS1_30default_config_static_selectorELNS0_4arch9wavefront6targetE1EEEvT1_
; %bb.0:
	.section	.rodata,"a",@progbits
	.p2align	6, 0x0
	.amdhsa_kernel _ZN7rocprim17ROCPRIM_400000_NS6detail17trampoline_kernelINS0_14default_configENS1_25partition_config_selectorILNS1_17partition_subalgoE9EllbEEZZNS1_14partition_implILS5_9ELb0ES3_jPlS8_PNS0_10empty_typeENS0_5tupleIJS8_S9_EEENSB_IJS8_SA_EEENS0_18inequality_wrapperIZN2at6native12_GLOBAL__N_124unique_dim_cuda_templateIN3c108BFloat16EEESt5tupleIJNSF_6TensorESM_SM_EERKSM_lbbbEUlllE0_EEPmJS9_EEE10hipError_tPvRmT3_T4_T5_T6_T7_T9_mT8_P12ihipStream_tbDpT10_ENKUlT_T0_E_clISt17integral_constantIbLb0EES1C_EEDaS17_S18_EUlS17_E_NS1_11comp_targetILNS1_3genE2ELNS1_11target_archE906ELNS1_3gpuE6ELNS1_3repE0EEENS1_30default_config_static_selectorELNS0_4arch9wavefront6targetE1EEEvT1_
		.amdhsa_group_segment_fixed_size 0
		.amdhsa_private_segment_fixed_size 0
		.amdhsa_kernarg_size 120
		.amdhsa_user_sgpr_count 2
		.amdhsa_user_sgpr_dispatch_ptr 0
		.amdhsa_user_sgpr_queue_ptr 0
		.amdhsa_user_sgpr_kernarg_segment_ptr 1
		.amdhsa_user_sgpr_dispatch_id 0
		.amdhsa_user_sgpr_kernarg_preload_length 0
		.amdhsa_user_sgpr_kernarg_preload_offset 0
		.amdhsa_user_sgpr_private_segment_size 0
		.amdhsa_uses_dynamic_stack 0
		.amdhsa_enable_private_segment 0
		.amdhsa_system_sgpr_workgroup_id_x 1
		.amdhsa_system_sgpr_workgroup_id_y 0
		.amdhsa_system_sgpr_workgroup_id_z 0
		.amdhsa_system_sgpr_workgroup_info 0
		.amdhsa_system_vgpr_workitem_id 0
		.amdhsa_next_free_vgpr 1
		.amdhsa_next_free_sgpr 0
		.amdhsa_accum_offset 4
		.amdhsa_reserve_vcc 0
		.amdhsa_float_round_mode_32 0
		.amdhsa_float_round_mode_16_64 0
		.amdhsa_float_denorm_mode_32 3
		.amdhsa_float_denorm_mode_16_64 3
		.amdhsa_dx10_clamp 1
		.amdhsa_ieee_mode 1
		.amdhsa_fp16_overflow 0
		.amdhsa_tg_split 0
		.amdhsa_exception_fp_ieee_invalid_op 0
		.amdhsa_exception_fp_denorm_src 0
		.amdhsa_exception_fp_ieee_div_zero 0
		.amdhsa_exception_fp_ieee_overflow 0
		.amdhsa_exception_fp_ieee_underflow 0
		.amdhsa_exception_fp_ieee_inexact 0
		.amdhsa_exception_int_div_zero 0
	.end_amdhsa_kernel
	.section	.text._ZN7rocprim17ROCPRIM_400000_NS6detail17trampoline_kernelINS0_14default_configENS1_25partition_config_selectorILNS1_17partition_subalgoE9EllbEEZZNS1_14partition_implILS5_9ELb0ES3_jPlS8_PNS0_10empty_typeENS0_5tupleIJS8_S9_EEENSB_IJS8_SA_EEENS0_18inequality_wrapperIZN2at6native12_GLOBAL__N_124unique_dim_cuda_templateIN3c108BFloat16EEESt5tupleIJNSF_6TensorESM_SM_EERKSM_lbbbEUlllE0_EEPmJS9_EEE10hipError_tPvRmT3_T4_T5_T6_T7_T9_mT8_P12ihipStream_tbDpT10_ENKUlT_T0_E_clISt17integral_constantIbLb0EES1C_EEDaS17_S18_EUlS17_E_NS1_11comp_targetILNS1_3genE2ELNS1_11target_archE906ELNS1_3gpuE6ELNS1_3repE0EEENS1_30default_config_static_selectorELNS0_4arch9wavefront6targetE1EEEvT1_,"axG",@progbits,_ZN7rocprim17ROCPRIM_400000_NS6detail17trampoline_kernelINS0_14default_configENS1_25partition_config_selectorILNS1_17partition_subalgoE9EllbEEZZNS1_14partition_implILS5_9ELb0ES3_jPlS8_PNS0_10empty_typeENS0_5tupleIJS8_S9_EEENSB_IJS8_SA_EEENS0_18inequality_wrapperIZN2at6native12_GLOBAL__N_124unique_dim_cuda_templateIN3c108BFloat16EEESt5tupleIJNSF_6TensorESM_SM_EERKSM_lbbbEUlllE0_EEPmJS9_EEE10hipError_tPvRmT3_T4_T5_T6_T7_T9_mT8_P12ihipStream_tbDpT10_ENKUlT_T0_E_clISt17integral_constantIbLb0EES1C_EEDaS17_S18_EUlS17_E_NS1_11comp_targetILNS1_3genE2ELNS1_11target_archE906ELNS1_3gpuE6ELNS1_3repE0EEENS1_30default_config_static_selectorELNS0_4arch9wavefront6targetE1EEEvT1_,comdat
.Lfunc_end1218:
	.size	_ZN7rocprim17ROCPRIM_400000_NS6detail17trampoline_kernelINS0_14default_configENS1_25partition_config_selectorILNS1_17partition_subalgoE9EllbEEZZNS1_14partition_implILS5_9ELb0ES3_jPlS8_PNS0_10empty_typeENS0_5tupleIJS8_S9_EEENSB_IJS8_SA_EEENS0_18inequality_wrapperIZN2at6native12_GLOBAL__N_124unique_dim_cuda_templateIN3c108BFloat16EEESt5tupleIJNSF_6TensorESM_SM_EERKSM_lbbbEUlllE0_EEPmJS9_EEE10hipError_tPvRmT3_T4_T5_T6_T7_T9_mT8_P12ihipStream_tbDpT10_ENKUlT_T0_E_clISt17integral_constantIbLb0EES1C_EEDaS17_S18_EUlS17_E_NS1_11comp_targetILNS1_3genE2ELNS1_11target_archE906ELNS1_3gpuE6ELNS1_3repE0EEENS1_30default_config_static_selectorELNS0_4arch9wavefront6targetE1EEEvT1_, .Lfunc_end1218-_ZN7rocprim17ROCPRIM_400000_NS6detail17trampoline_kernelINS0_14default_configENS1_25partition_config_selectorILNS1_17partition_subalgoE9EllbEEZZNS1_14partition_implILS5_9ELb0ES3_jPlS8_PNS0_10empty_typeENS0_5tupleIJS8_S9_EEENSB_IJS8_SA_EEENS0_18inequality_wrapperIZN2at6native12_GLOBAL__N_124unique_dim_cuda_templateIN3c108BFloat16EEESt5tupleIJNSF_6TensorESM_SM_EERKSM_lbbbEUlllE0_EEPmJS9_EEE10hipError_tPvRmT3_T4_T5_T6_T7_T9_mT8_P12ihipStream_tbDpT10_ENKUlT_T0_E_clISt17integral_constantIbLb0EES1C_EEDaS17_S18_EUlS17_E_NS1_11comp_targetILNS1_3genE2ELNS1_11target_archE906ELNS1_3gpuE6ELNS1_3repE0EEENS1_30default_config_static_selectorELNS0_4arch9wavefront6targetE1EEEvT1_
                                        ; -- End function
	.section	.AMDGPU.csdata,"",@progbits
; Kernel info:
; codeLenInByte = 0
; NumSgprs: 6
; NumVgprs: 0
; NumAgprs: 0
; TotalNumVgprs: 0
; ScratchSize: 0
; MemoryBound: 0
; FloatMode: 240
; IeeeMode: 1
; LDSByteSize: 0 bytes/workgroup (compile time only)
; SGPRBlocks: 0
; VGPRBlocks: 0
; NumSGPRsForWavesPerEU: 6
; NumVGPRsForWavesPerEU: 1
; AccumOffset: 4
; Occupancy: 8
; WaveLimiterHint : 0
; COMPUTE_PGM_RSRC2:SCRATCH_EN: 0
; COMPUTE_PGM_RSRC2:USER_SGPR: 2
; COMPUTE_PGM_RSRC2:TRAP_HANDLER: 0
; COMPUTE_PGM_RSRC2:TGID_X_EN: 1
; COMPUTE_PGM_RSRC2:TGID_Y_EN: 0
; COMPUTE_PGM_RSRC2:TGID_Z_EN: 0
; COMPUTE_PGM_RSRC2:TIDIG_COMP_CNT: 0
; COMPUTE_PGM_RSRC3_GFX90A:ACCUM_OFFSET: 0
; COMPUTE_PGM_RSRC3_GFX90A:TG_SPLIT: 0
	.section	.text._ZN7rocprim17ROCPRIM_400000_NS6detail17trampoline_kernelINS0_14default_configENS1_25partition_config_selectorILNS1_17partition_subalgoE9EllbEEZZNS1_14partition_implILS5_9ELb0ES3_jPlS8_PNS0_10empty_typeENS0_5tupleIJS8_S9_EEENSB_IJS8_SA_EEENS0_18inequality_wrapperIZN2at6native12_GLOBAL__N_124unique_dim_cuda_templateIN3c108BFloat16EEESt5tupleIJNSF_6TensorESM_SM_EERKSM_lbbbEUlllE0_EEPmJS9_EEE10hipError_tPvRmT3_T4_T5_T6_T7_T9_mT8_P12ihipStream_tbDpT10_ENKUlT_T0_E_clISt17integral_constantIbLb0EES1C_EEDaS17_S18_EUlS17_E_NS1_11comp_targetILNS1_3genE10ELNS1_11target_archE1200ELNS1_3gpuE4ELNS1_3repE0EEENS1_30default_config_static_selectorELNS0_4arch9wavefront6targetE1EEEvT1_,"axG",@progbits,_ZN7rocprim17ROCPRIM_400000_NS6detail17trampoline_kernelINS0_14default_configENS1_25partition_config_selectorILNS1_17partition_subalgoE9EllbEEZZNS1_14partition_implILS5_9ELb0ES3_jPlS8_PNS0_10empty_typeENS0_5tupleIJS8_S9_EEENSB_IJS8_SA_EEENS0_18inequality_wrapperIZN2at6native12_GLOBAL__N_124unique_dim_cuda_templateIN3c108BFloat16EEESt5tupleIJNSF_6TensorESM_SM_EERKSM_lbbbEUlllE0_EEPmJS9_EEE10hipError_tPvRmT3_T4_T5_T6_T7_T9_mT8_P12ihipStream_tbDpT10_ENKUlT_T0_E_clISt17integral_constantIbLb0EES1C_EEDaS17_S18_EUlS17_E_NS1_11comp_targetILNS1_3genE10ELNS1_11target_archE1200ELNS1_3gpuE4ELNS1_3repE0EEENS1_30default_config_static_selectorELNS0_4arch9wavefront6targetE1EEEvT1_,comdat
	.globl	_ZN7rocprim17ROCPRIM_400000_NS6detail17trampoline_kernelINS0_14default_configENS1_25partition_config_selectorILNS1_17partition_subalgoE9EllbEEZZNS1_14partition_implILS5_9ELb0ES3_jPlS8_PNS0_10empty_typeENS0_5tupleIJS8_S9_EEENSB_IJS8_SA_EEENS0_18inequality_wrapperIZN2at6native12_GLOBAL__N_124unique_dim_cuda_templateIN3c108BFloat16EEESt5tupleIJNSF_6TensorESM_SM_EERKSM_lbbbEUlllE0_EEPmJS9_EEE10hipError_tPvRmT3_T4_T5_T6_T7_T9_mT8_P12ihipStream_tbDpT10_ENKUlT_T0_E_clISt17integral_constantIbLb0EES1C_EEDaS17_S18_EUlS17_E_NS1_11comp_targetILNS1_3genE10ELNS1_11target_archE1200ELNS1_3gpuE4ELNS1_3repE0EEENS1_30default_config_static_selectorELNS0_4arch9wavefront6targetE1EEEvT1_ ; -- Begin function _ZN7rocprim17ROCPRIM_400000_NS6detail17trampoline_kernelINS0_14default_configENS1_25partition_config_selectorILNS1_17partition_subalgoE9EllbEEZZNS1_14partition_implILS5_9ELb0ES3_jPlS8_PNS0_10empty_typeENS0_5tupleIJS8_S9_EEENSB_IJS8_SA_EEENS0_18inequality_wrapperIZN2at6native12_GLOBAL__N_124unique_dim_cuda_templateIN3c108BFloat16EEESt5tupleIJNSF_6TensorESM_SM_EERKSM_lbbbEUlllE0_EEPmJS9_EEE10hipError_tPvRmT3_T4_T5_T6_T7_T9_mT8_P12ihipStream_tbDpT10_ENKUlT_T0_E_clISt17integral_constantIbLb0EES1C_EEDaS17_S18_EUlS17_E_NS1_11comp_targetILNS1_3genE10ELNS1_11target_archE1200ELNS1_3gpuE4ELNS1_3repE0EEENS1_30default_config_static_selectorELNS0_4arch9wavefront6targetE1EEEvT1_
	.p2align	8
	.type	_ZN7rocprim17ROCPRIM_400000_NS6detail17trampoline_kernelINS0_14default_configENS1_25partition_config_selectorILNS1_17partition_subalgoE9EllbEEZZNS1_14partition_implILS5_9ELb0ES3_jPlS8_PNS0_10empty_typeENS0_5tupleIJS8_S9_EEENSB_IJS8_SA_EEENS0_18inequality_wrapperIZN2at6native12_GLOBAL__N_124unique_dim_cuda_templateIN3c108BFloat16EEESt5tupleIJNSF_6TensorESM_SM_EERKSM_lbbbEUlllE0_EEPmJS9_EEE10hipError_tPvRmT3_T4_T5_T6_T7_T9_mT8_P12ihipStream_tbDpT10_ENKUlT_T0_E_clISt17integral_constantIbLb0EES1C_EEDaS17_S18_EUlS17_E_NS1_11comp_targetILNS1_3genE10ELNS1_11target_archE1200ELNS1_3gpuE4ELNS1_3repE0EEENS1_30default_config_static_selectorELNS0_4arch9wavefront6targetE1EEEvT1_,@function
_ZN7rocprim17ROCPRIM_400000_NS6detail17trampoline_kernelINS0_14default_configENS1_25partition_config_selectorILNS1_17partition_subalgoE9EllbEEZZNS1_14partition_implILS5_9ELb0ES3_jPlS8_PNS0_10empty_typeENS0_5tupleIJS8_S9_EEENSB_IJS8_SA_EEENS0_18inequality_wrapperIZN2at6native12_GLOBAL__N_124unique_dim_cuda_templateIN3c108BFloat16EEESt5tupleIJNSF_6TensorESM_SM_EERKSM_lbbbEUlllE0_EEPmJS9_EEE10hipError_tPvRmT3_T4_T5_T6_T7_T9_mT8_P12ihipStream_tbDpT10_ENKUlT_T0_E_clISt17integral_constantIbLb0EES1C_EEDaS17_S18_EUlS17_E_NS1_11comp_targetILNS1_3genE10ELNS1_11target_archE1200ELNS1_3gpuE4ELNS1_3repE0EEENS1_30default_config_static_selectorELNS0_4arch9wavefront6targetE1EEEvT1_: ; @_ZN7rocprim17ROCPRIM_400000_NS6detail17trampoline_kernelINS0_14default_configENS1_25partition_config_selectorILNS1_17partition_subalgoE9EllbEEZZNS1_14partition_implILS5_9ELb0ES3_jPlS8_PNS0_10empty_typeENS0_5tupleIJS8_S9_EEENSB_IJS8_SA_EEENS0_18inequality_wrapperIZN2at6native12_GLOBAL__N_124unique_dim_cuda_templateIN3c108BFloat16EEESt5tupleIJNSF_6TensorESM_SM_EERKSM_lbbbEUlllE0_EEPmJS9_EEE10hipError_tPvRmT3_T4_T5_T6_T7_T9_mT8_P12ihipStream_tbDpT10_ENKUlT_T0_E_clISt17integral_constantIbLb0EES1C_EEDaS17_S18_EUlS17_E_NS1_11comp_targetILNS1_3genE10ELNS1_11target_archE1200ELNS1_3gpuE4ELNS1_3repE0EEENS1_30default_config_static_selectorELNS0_4arch9wavefront6targetE1EEEvT1_
; %bb.0:
	.section	.rodata,"a",@progbits
	.p2align	6, 0x0
	.amdhsa_kernel _ZN7rocprim17ROCPRIM_400000_NS6detail17trampoline_kernelINS0_14default_configENS1_25partition_config_selectorILNS1_17partition_subalgoE9EllbEEZZNS1_14partition_implILS5_9ELb0ES3_jPlS8_PNS0_10empty_typeENS0_5tupleIJS8_S9_EEENSB_IJS8_SA_EEENS0_18inequality_wrapperIZN2at6native12_GLOBAL__N_124unique_dim_cuda_templateIN3c108BFloat16EEESt5tupleIJNSF_6TensorESM_SM_EERKSM_lbbbEUlllE0_EEPmJS9_EEE10hipError_tPvRmT3_T4_T5_T6_T7_T9_mT8_P12ihipStream_tbDpT10_ENKUlT_T0_E_clISt17integral_constantIbLb0EES1C_EEDaS17_S18_EUlS17_E_NS1_11comp_targetILNS1_3genE10ELNS1_11target_archE1200ELNS1_3gpuE4ELNS1_3repE0EEENS1_30default_config_static_selectorELNS0_4arch9wavefront6targetE1EEEvT1_
		.amdhsa_group_segment_fixed_size 0
		.amdhsa_private_segment_fixed_size 0
		.amdhsa_kernarg_size 120
		.amdhsa_user_sgpr_count 2
		.amdhsa_user_sgpr_dispatch_ptr 0
		.amdhsa_user_sgpr_queue_ptr 0
		.amdhsa_user_sgpr_kernarg_segment_ptr 1
		.amdhsa_user_sgpr_dispatch_id 0
		.amdhsa_user_sgpr_kernarg_preload_length 0
		.amdhsa_user_sgpr_kernarg_preload_offset 0
		.amdhsa_user_sgpr_private_segment_size 0
		.amdhsa_uses_dynamic_stack 0
		.amdhsa_enable_private_segment 0
		.amdhsa_system_sgpr_workgroup_id_x 1
		.amdhsa_system_sgpr_workgroup_id_y 0
		.amdhsa_system_sgpr_workgroup_id_z 0
		.amdhsa_system_sgpr_workgroup_info 0
		.amdhsa_system_vgpr_workitem_id 0
		.amdhsa_next_free_vgpr 1
		.amdhsa_next_free_sgpr 0
		.amdhsa_accum_offset 4
		.amdhsa_reserve_vcc 0
		.amdhsa_float_round_mode_32 0
		.amdhsa_float_round_mode_16_64 0
		.amdhsa_float_denorm_mode_32 3
		.amdhsa_float_denorm_mode_16_64 3
		.amdhsa_dx10_clamp 1
		.amdhsa_ieee_mode 1
		.amdhsa_fp16_overflow 0
		.amdhsa_tg_split 0
		.amdhsa_exception_fp_ieee_invalid_op 0
		.amdhsa_exception_fp_denorm_src 0
		.amdhsa_exception_fp_ieee_div_zero 0
		.amdhsa_exception_fp_ieee_overflow 0
		.amdhsa_exception_fp_ieee_underflow 0
		.amdhsa_exception_fp_ieee_inexact 0
		.amdhsa_exception_int_div_zero 0
	.end_amdhsa_kernel
	.section	.text._ZN7rocprim17ROCPRIM_400000_NS6detail17trampoline_kernelINS0_14default_configENS1_25partition_config_selectorILNS1_17partition_subalgoE9EllbEEZZNS1_14partition_implILS5_9ELb0ES3_jPlS8_PNS0_10empty_typeENS0_5tupleIJS8_S9_EEENSB_IJS8_SA_EEENS0_18inequality_wrapperIZN2at6native12_GLOBAL__N_124unique_dim_cuda_templateIN3c108BFloat16EEESt5tupleIJNSF_6TensorESM_SM_EERKSM_lbbbEUlllE0_EEPmJS9_EEE10hipError_tPvRmT3_T4_T5_T6_T7_T9_mT8_P12ihipStream_tbDpT10_ENKUlT_T0_E_clISt17integral_constantIbLb0EES1C_EEDaS17_S18_EUlS17_E_NS1_11comp_targetILNS1_3genE10ELNS1_11target_archE1200ELNS1_3gpuE4ELNS1_3repE0EEENS1_30default_config_static_selectorELNS0_4arch9wavefront6targetE1EEEvT1_,"axG",@progbits,_ZN7rocprim17ROCPRIM_400000_NS6detail17trampoline_kernelINS0_14default_configENS1_25partition_config_selectorILNS1_17partition_subalgoE9EllbEEZZNS1_14partition_implILS5_9ELb0ES3_jPlS8_PNS0_10empty_typeENS0_5tupleIJS8_S9_EEENSB_IJS8_SA_EEENS0_18inequality_wrapperIZN2at6native12_GLOBAL__N_124unique_dim_cuda_templateIN3c108BFloat16EEESt5tupleIJNSF_6TensorESM_SM_EERKSM_lbbbEUlllE0_EEPmJS9_EEE10hipError_tPvRmT3_T4_T5_T6_T7_T9_mT8_P12ihipStream_tbDpT10_ENKUlT_T0_E_clISt17integral_constantIbLb0EES1C_EEDaS17_S18_EUlS17_E_NS1_11comp_targetILNS1_3genE10ELNS1_11target_archE1200ELNS1_3gpuE4ELNS1_3repE0EEENS1_30default_config_static_selectorELNS0_4arch9wavefront6targetE1EEEvT1_,comdat
.Lfunc_end1219:
	.size	_ZN7rocprim17ROCPRIM_400000_NS6detail17trampoline_kernelINS0_14default_configENS1_25partition_config_selectorILNS1_17partition_subalgoE9EllbEEZZNS1_14partition_implILS5_9ELb0ES3_jPlS8_PNS0_10empty_typeENS0_5tupleIJS8_S9_EEENSB_IJS8_SA_EEENS0_18inequality_wrapperIZN2at6native12_GLOBAL__N_124unique_dim_cuda_templateIN3c108BFloat16EEESt5tupleIJNSF_6TensorESM_SM_EERKSM_lbbbEUlllE0_EEPmJS9_EEE10hipError_tPvRmT3_T4_T5_T6_T7_T9_mT8_P12ihipStream_tbDpT10_ENKUlT_T0_E_clISt17integral_constantIbLb0EES1C_EEDaS17_S18_EUlS17_E_NS1_11comp_targetILNS1_3genE10ELNS1_11target_archE1200ELNS1_3gpuE4ELNS1_3repE0EEENS1_30default_config_static_selectorELNS0_4arch9wavefront6targetE1EEEvT1_, .Lfunc_end1219-_ZN7rocprim17ROCPRIM_400000_NS6detail17trampoline_kernelINS0_14default_configENS1_25partition_config_selectorILNS1_17partition_subalgoE9EllbEEZZNS1_14partition_implILS5_9ELb0ES3_jPlS8_PNS0_10empty_typeENS0_5tupleIJS8_S9_EEENSB_IJS8_SA_EEENS0_18inequality_wrapperIZN2at6native12_GLOBAL__N_124unique_dim_cuda_templateIN3c108BFloat16EEESt5tupleIJNSF_6TensorESM_SM_EERKSM_lbbbEUlllE0_EEPmJS9_EEE10hipError_tPvRmT3_T4_T5_T6_T7_T9_mT8_P12ihipStream_tbDpT10_ENKUlT_T0_E_clISt17integral_constantIbLb0EES1C_EEDaS17_S18_EUlS17_E_NS1_11comp_targetILNS1_3genE10ELNS1_11target_archE1200ELNS1_3gpuE4ELNS1_3repE0EEENS1_30default_config_static_selectorELNS0_4arch9wavefront6targetE1EEEvT1_
                                        ; -- End function
	.section	.AMDGPU.csdata,"",@progbits
; Kernel info:
; codeLenInByte = 0
; NumSgprs: 6
; NumVgprs: 0
; NumAgprs: 0
; TotalNumVgprs: 0
; ScratchSize: 0
; MemoryBound: 0
; FloatMode: 240
; IeeeMode: 1
; LDSByteSize: 0 bytes/workgroup (compile time only)
; SGPRBlocks: 0
; VGPRBlocks: 0
; NumSGPRsForWavesPerEU: 6
; NumVGPRsForWavesPerEU: 1
; AccumOffset: 4
; Occupancy: 8
; WaveLimiterHint : 0
; COMPUTE_PGM_RSRC2:SCRATCH_EN: 0
; COMPUTE_PGM_RSRC2:USER_SGPR: 2
; COMPUTE_PGM_RSRC2:TRAP_HANDLER: 0
; COMPUTE_PGM_RSRC2:TGID_X_EN: 1
; COMPUTE_PGM_RSRC2:TGID_Y_EN: 0
; COMPUTE_PGM_RSRC2:TGID_Z_EN: 0
; COMPUTE_PGM_RSRC2:TIDIG_COMP_CNT: 0
; COMPUTE_PGM_RSRC3_GFX90A:ACCUM_OFFSET: 0
; COMPUTE_PGM_RSRC3_GFX90A:TG_SPLIT: 0
	.section	.text._ZN7rocprim17ROCPRIM_400000_NS6detail17trampoline_kernelINS0_14default_configENS1_25partition_config_selectorILNS1_17partition_subalgoE9EllbEEZZNS1_14partition_implILS5_9ELb0ES3_jPlS8_PNS0_10empty_typeENS0_5tupleIJS8_S9_EEENSB_IJS8_SA_EEENS0_18inequality_wrapperIZN2at6native12_GLOBAL__N_124unique_dim_cuda_templateIN3c108BFloat16EEESt5tupleIJNSF_6TensorESM_SM_EERKSM_lbbbEUlllE0_EEPmJS9_EEE10hipError_tPvRmT3_T4_T5_T6_T7_T9_mT8_P12ihipStream_tbDpT10_ENKUlT_T0_E_clISt17integral_constantIbLb0EES1C_EEDaS17_S18_EUlS17_E_NS1_11comp_targetILNS1_3genE9ELNS1_11target_archE1100ELNS1_3gpuE3ELNS1_3repE0EEENS1_30default_config_static_selectorELNS0_4arch9wavefront6targetE1EEEvT1_,"axG",@progbits,_ZN7rocprim17ROCPRIM_400000_NS6detail17trampoline_kernelINS0_14default_configENS1_25partition_config_selectorILNS1_17partition_subalgoE9EllbEEZZNS1_14partition_implILS5_9ELb0ES3_jPlS8_PNS0_10empty_typeENS0_5tupleIJS8_S9_EEENSB_IJS8_SA_EEENS0_18inequality_wrapperIZN2at6native12_GLOBAL__N_124unique_dim_cuda_templateIN3c108BFloat16EEESt5tupleIJNSF_6TensorESM_SM_EERKSM_lbbbEUlllE0_EEPmJS9_EEE10hipError_tPvRmT3_T4_T5_T6_T7_T9_mT8_P12ihipStream_tbDpT10_ENKUlT_T0_E_clISt17integral_constantIbLb0EES1C_EEDaS17_S18_EUlS17_E_NS1_11comp_targetILNS1_3genE9ELNS1_11target_archE1100ELNS1_3gpuE3ELNS1_3repE0EEENS1_30default_config_static_selectorELNS0_4arch9wavefront6targetE1EEEvT1_,comdat
	.globl	_ZN7rocprim17ROCPRIM_400000_NS6detail17trampoline_kernelINS0_14default_configENS1_25partition_config_selectorILNS1_17partition_subalgoE9EllbEEZZNS1_14partition_implILS5_9ELb0ES3_jPlS8_PNS0_10empty_typeENS0_5tupleIJS8_S9_EEENSB_IJS8_SA_EEENS0_18inequality_wrapperIZN2at6native12_GLOBAL__N_124unique_dim_cuda_templateIN3c108BFloat16EEESt5tupleIJNSF_6TensorESM_SM_EERKSM_lbbbEUlllE0_EEPmJS9_EEE10hipError_tPvRmT3_T4_T5_T6_T7_T9_mT8_P12ihipStream_tbDpT10_ENKUlT_T0_E_clISt17integral_constantIbLb0EES1C_EEDaS17_S18_EUlS17_E_NS1_11comp_targetILNS1_3genE9ELNS1_11target_archE1100ELNS1_3gpuE3ELNS1_3repE0EEENS1_30default_config_static_selectorELNS0_4arch9wavefront6targetE1EEEvT1_ ; -- Begin function _ZN7rocprim17ROCPRIM_400000_NS6detail17trampoline_kernelINS0_14default_configENS1_25partition_config_selectorILNS1_17partition_subalgoE9EllbEEZZNS1_14partition_implILS5_9ELb0ES3_jPlS8_PNS0_10empty_typeENS0_5tupleIJS8_S9_EEENSB_IJS8_SA_EEENS0_18inequality_wrapperIZN2at6native12_GLOBAL__N_124unique_dim_cuda_templateIN3c108BFloat16EEESt5tupleIJNSF_6TensorESM_SM_EERKSM_lbbbEUlllE0_EEPmJS9_EEE10hipError_tPvRmT3_T4_T5_T6_T7_T9_mT8_P12ihipStream_tbDpT10_ENKUlT_T0_E_clISt17integral_constantIbLb0EES1C_EEDaS17_S18_EUlS17_E_NS1_11comp_targetILNS1_3genE9ELNS1_11target_archE1100ELNS1_3gpuE3ELNS1_3repE0EEENS1_30default_config_static_selectorELNS0_4arch9wavefront6targetE1EEEvT1_
	.p2align	8
	.type	_ZN7rocprim17ROCPRIM_400000_NS6detail17trampoline_kernelINS0_14default_configENS1_25partition_config_selectorILNS1_17partition_subalgoE9EllbEEZZNS1_14partition_implILS5_9ELb0ES3_jPlS8_PNS0_10empty_typeENS0_5tupleIJS8_S9_EEENSB_IJS8_SA_EEENS0_18inequality_wrapperIZN2at6native12_GLOBAL__N_124unique_dim_cuda_templateIN3c108BFloat16EEESt5tupleIJNSF_6TensorESM_SM_EERKSM_lbbbEUlllE0_EEPmJS9_EEE10hipError_tPvRmT3_T4_T5_T6_T7_T9_mT8_P12ihipStream_tbDpT10_ENKUlT_T0_E_clISt17integral_constantIbLb0EES1C_EEDaS17_S18_EUlS17_E_NS1_11comp_targetILNS1_3genE9ELNS1_11target_archE1100ELNS1_3gpuE3ELNS1_3repE0EEENS1_30default_config_static_selectorELNS0_4arch9wavefront6targetE1EEEvT1_,@function
_ZN7rocprim17ROCPRIM_400000_NS6detail17trampoline_kernelINS0_14default_configENS1_25partition_config_selectorILNS1_17partition_subalgoE9EllbEEZZNS1_14partition_implILS5_9ELb0ES3_jPlS8_PNS0_10empty_typeENS0_5tupleIJS8_S9_EEENSB_IJS8_SA_EEENS0_18inequality_wrapperIZN2at6native12_GLOBAL__N_124unique_dim_cuda_templateIN3c108BFloat16EEESt5tupleIJNSF_6TensorESM_SM_EERKSM_lbbbEUlllE0_EEPmJS9_EEE10hipError_tPvRmT3_T4_T5_T6_T7_T9_mT8_P12ihipStream_tbDpT10_ENKUlT_T0_E_clISt17integral_constantIbLb0EES1C_EEDaS17_S18_EUlS17_E_NS1_11comp_targetILNS1_3genE9ELNS1_11target_archE1100ELNS1_3gpuE3ELNS1_3repE0EEENS1_30default_config_static_selectorELNS0_4arch9wavefront6targetE1EEEvT1_: ; @_ZN7rocprim17ROCPRIM_400000_NS6detail17trampoline_kernelINS0_14default_configENS1_25partition_config_selectorILNS1_17partition_subalgoE9EllbEEZZNS1_14partition_implILS5_9ELb0ES3_jPlS8_PNS0_10empty_typeENS0_5tupleIJS8_S9_EEENSB_IJS8_SA_EEENS0_18inequality_wrapperIZN2at6native12_GLOBAL__N_124unique_dim_cuda_templateIN3c108BFloat16EEESt5tupleIJNSF_6TensorESM_SM_EERKSM_lbbbEUlllE0_EEPmJS9_EEE10hipError_tPvRmT3_T4_T5_T6_T7_T9_mT8_P12ihipStream_tbDpT10_ENKUlT_T0_E_clISt17integral_constantIbLb0EES1C_EEDaS17_S18_EUlS17_E_NS1_11comp_targetILNS1_3genE9ELNS1_11target_archE1100ELNS1_3gpuE3ELNS1_3repE0EEENS1_30default_config_static_selectorELNS0_4arch9wavefront6targetE1EEEvT1_
; %bb.0:
	.section	.rodata,"a",@progbits
	.p2align	6, 0x0
	.amdhsa_kernel _ZN7rocprim17ROCPRIM_400000_NS6detail17trampoline_kernelINS0_14default_configENS1_25partition_config_selectorILNS1_17partition_subalgoE9EllbEEZZNS1_14partition_implILS5_9ELb0ES3_jPlS8_PNS0_10empty_typeENS0_5tupleIJS8_S9_EEENSB_IJS8_SA_EEENS0_18inequality_wrapperIZN2at6native12_GLOBAL__N_124unique_dim_cuda_templateIN3c108BFloat16EEESt5tupleIJNSF_6TensorESM_SM_EERKSM_lbbbEUlllE0_EEPmJS9_EEE10hipError_tPvRmT3_T4_T5_T6_T7_T9_mT8_P12ihipStream_tbDpT10_ENKUlT_T0_E_clISt17integral_constantIbLb0EES1C_EEDaS17_S18_EUlS17_E_NS1_11comp_targetILNS1_3genE9ELNS1_11target_archE1100ELNS1_3gpuE3ELNS1_3repE0EEENS1_30default_config_static_selectorELNS0_4arch9wavefront6targetE1EEEvT1_
		.amdhsa_group_segment_fixed_size 0
		.amdhsa_private_segment_fixed_size 0
		.amdhsa_kernarg_size 120
		.amdhsa_user_sgpr_count 2
		.amdhsa_user_sgpr_dispatch_ptr 0
		.amdhsa_user_sgpr_queue_ptr 0
		.amdhsa_user_sgpr_kernarg_segment_ptr 1
		.amdhsa_user_sgpr_dispatch_id 0
		.amdhsa_user_sgpr_kernarg_preload_length 0
		.amdhsa_user_sgpr_kernarg_preload_offset 0
		.amdhsa_user_sgpr_private_segment_size 0
		.amdhsa_uses_dynamic_stack 0
		.amdhsa_enable_private_segment 0
		.amdhsa_system_sgpr_workgroup_id_x 1
		.amdhsa_system_sgpr_workgroup_id_y 0
		.amdhsa_system_sgpr_workgroup_id_z 0
		.amdhsa_system_sgpr_workgroup_info 0
		.amdhsa_system_vgpr_workitem_id 0
		.amdhsa_next_free_vgpr 1
		.amdhsa_next_free_sgpr 0
		.amdhsa_accum_offset 4
		.amdhsa_reserve_vcc 0
		.amdhsa_float_round_mode_32 0
		.amdhsa_float_round_mode_16_64 0
		.amdhsa_float_denorm_mode_32 3
		.amdhsa_float_denorm_mode_16_64 3
		.amdhsa_dx10_clamp 1
		.amdhsa_ieee_mode 1
		.amdhsa_fp16_overflow 0
		.amdhsa_tg_split 0
		.amdhsa_exception_fp_ieee_invalid_op 0
		.amdhsa_exception_fp_denorm_src 0
		.amdhsa_exception_fp_ieee_div_zero 0
		.amdhsa_exception_fp_ieee_overflow 0
		.amdhsa_exception_fp_ieee_underflow 0
		.amdhsa_exception_fp_ieee_inexact 0
		.amdhsa_exception_int_div_zero 0
	.end_amdhsa_kernel
	.section	.text._ZN7rocprim17ROCPRIM_400000_NS6detail17trampoline_kernelINS0_14default_configENS1_25partition_config_selectorILNS1_17partition_subalgoE9EllbEEZZNS1_14partition_implILS5_9ELb0ES3_jPlS8_PNS0_10empty_typeENS0_5tupleIJS8_S9_EEENSB_IJS8_SA_EEENS0_18inequality_wrapperIZN2at6native12_GLOBAL__N_124unique_dim_cuda_templateIN3c108BFloat16EEESt5tupleIJNSF_6TensorESM_SM_EERKSM_lbbbEUlllE0_EEPmJS9_EEE10hipError_tPvRmT3_T4_T5_T6_T7_T9_mT8_P12ihipStream_tbDpT10_ENKUlT_T0_E_clISt17integral_constantIbLb0EES1C_EEDaS17_S18_EUlS17_E_NS1_11comp_targetILNS1_3genE9ELNS1_11target_archE1100ELNS1_3gpuE3ELNS1_3repE0EEENS1_30default_config_static_selectorELNS0_4arch9wavefront6targetE1EEEvT1_,"axG",@progbits,_ZN7rocprim17ROCPRIM_400000_NS6detail17trampoline_kernelINS0_14default_configENS1_25partition_config_selectorILNS1_17partition_subalgoE9EllbEEZZNS1_14partition_implILS5_9ELb0ES3_jPlS8_PNS0_10empty_typeENS0_5tupleIJS8_S9_EEENSB_IJS8_SA_EEENS0_18inequality_wrapperIZN2at6native12_GLOBAL__N_124unique_dim_cuda_templateIN3c108BFloat16EEESt5tupleIJNSF_6TensorESM_SM_EERKSM_lbbbEUlllE0_EEPmJS9_EEE10hipError_tPvRmT3_T4_T5_T6_T7_T9_mT8_P12ihipStream_tbDpT10_ENKUlT_T0_E_clISt17integral_constantIbLb0EES1C_EEDaS17_S18_EUlS17_E_NS1_11comp_targetILNS1_3genE9ELNS1_11target_archE1100ELNS1_3gpuE3ELNS1_3repE0EEENS1_30default_config_static_selectorELNS0_4arch9wavefront6targetE1EEEvT1_,comdat
.Lfunc_end1220:
	.size	_ZN7rocprim17ROCPRIM_400000_NS6detail17trampoline_kernelINS0_14default_configENS1_25partition_config_selectorILNS1_17partition_subalgoE9EllbEEZZNS1_14partition_implILS5_9ELb0ES3_jPlS8_PNS0_10empty_typeENS0_5tupleIJS8_S9_EEENSB_IJS8_SA_EEENS0_18inequality_wrapperIZN2at6native12_GLOBAL__N_124unique_dim_cuda_templateIN3c108BFloat16EEESt5tupleIJNSF_6TensorESM_SM_EERKSM_lbbbEUlllE0_EEPmJS9_EEE10hipError_tPvRmT3_T4_T5_T6_T7_T9_mT8_P12ihipStream_tbDpT10_ENKUlT_T0_E_clISt17integral_constantIbLb0EES1C_EEDaS17_S18_EUlS17_E_NS1_11comp_targetILNS1_3genE9ELNS1_11target_archE1100ELNS1_3gpuE3ELNS1_3repE0EEENS1_30default_config_static_selectorELNS0_4arch9wavefront6targetE1EEEvT1_, .Lfunc_end1220-_ZN7rocprim17ROCPRIM_400000_NS6detail17trampoline_kernelINS0_14default_configENS1_25partition_config_selectorILNS1_17partition_subalgoE9EllbEEZZNS1_14partition_implILS5_9ELb0ES3_jPlS8_PNS0_10empty_typeENS0_5tupleIJS8_S9_EEENSB_IJS8_SA_EEENS0_18inequality_wrapperIZN2at6native12_GLOBAL__N_124unique_dim_cuda_templateIN3c108BFloat16EEESt5tupleIJNSF_6TensorESM_SM_EERKSM_lbbbEUlllE0_EEPmJS9_EEE10hipError_tPvRmT3_T4_T5_T6_T7_T9_mT8_P12ihipStream_tbDpT10_ENKUlT_T0_E_clISt17integral_constantIbLb0EES1C_EEDaS17_S18_EUlS17_E_NS1_11comp_targetILNS1_3genE9ELNS1_11target_archE1100ELNS1_3gpuE3ELNS1_3repE0EEENS1_30default_config_static_selectorELNS0_4arch9wavefront6targetE1EEEvT1_
                                        ; -- End function
	.section	.AMDGPU.csdata,"",@progbits
; Kernel info:
; codeLenInByte = 0
; NumSgprs: 6
; NumVgprs: 0
; NumAgprs: 0
; TotalNumVgprs: 0
; ScratchSize: 0
; MemoryBound: 0
; FloatMode: 240
; IeeeMode: 1
; LDSByteSize: 0 bytes/workgroup (compile time only)
; SGPRBlocks: 0
; VGPRBlocks: 0
; NumSGPRsForWavesPerEU: 6
; NumVGPRsForWavesPerEU: 1
; AccumOffset: 4
; Occupancy: 8
; WaveLimiterHint : 0
; COMPUTE_PGM_RSRC2:SCRATCH_EN: 0
; COMPUTE_PGM_RSRC2:USER_SGPR: 2
; COMPUTE_PGM_RSRC2:TRAP_HANDLER: 0
; COMPUTE_PGM_RSRC2:TGID_X_EN: 1
; COMPUTE_PGM_RSRC2:TGID_Y_EN: 0
; COMPUTE_PGM_RSRC2:TGID_Z_EN: 0
; COMPUTE_PGM_RSRC2:TIDIG_COMP_CNT: 0
; COMPUTE_PGM_RSRC3_GFX90A:ACCUM_OFFSET: 0
; COMPUTE_PGM_RSRC3_GFX90A:TG_SPLIT: 0
	.section	.text._ZN7rocprim17ROCPRIM_400000_NS6detail17trampoline_kernelINS0_14default_configENS1_25partition_config_selectorILNS1_17partition_subalgoE9EllbEEZZNS1_14partition_implILS5_9ELb0ES3_jPlS8_PNS0_10empty_typeENS0_5tupleIJS8_S9_EEENSB_IJS8_SA_EEENS0_18inequality_wrapperIZN2at6native12_GLOBAL__N_124unique_dim_cuda_templateIN3c108BFloat16EEESt5tupleIJNSF_6TensorESM_SM_EERKSM_lbbbEUlllE0_EEPmJS9_EEE10hipError_tPvRmT3_T4_T5_T6_T7_T9_mT8_P12ihipStream_tbDpT10_ENKUlT_T0_E_clISt17integral_constantIbLb0EES1C_EEDaS17_S18_EUlS17_E_NS1_11comp_targetILNS1_3genE8ELNS1_11target_archE1030ELNS1_3gpuE2ELNS1_3repE0EEENS1_30default_config_static_selectorELNS0_4arch9wavefront6targetE1EEEvT1_,"axG",@progbits,_ZN7rocprim17ROCPRIM_400000_NS6detail17trampoline_kernelINS0_14default_configENS1_25partition_config_selectorILNS1_17partition_subalgoE9EllbEEZZNS1_14partition_implILS5_9ELb0ES3_jPlS8_PNS0_10empty_typeENS0_5tupleIJS8_S9_EEENSB_IJS8_SA_EEENS0_18inequality_wrapperIZN2at6native12_GLOBAL__N_124unique_dim_cuda_templateIN3c108BFloat16EEESt5tupleIJNSF_6TensorESM_SM_EERKSM_lbbbEUlllE0_EEPmJS9_EEE10hipError_tPvRmT3_T4_T5_T6_T7_T9_mT8_P12ihipStream_tbDpT10_ENKUlT_T0_E_clISt17integral_constantIbLb0EES1C_EEDaS17_S18_EUlS17_E_NS1_11comp_targetILNS1_3genE8ELNS1_11target_archE1030ELNS1_3gpuE2ELNS1_3repE0EEENS1_30default_config_static_selectorELNS0_4arch9wavefront6targetE1EEEvT1_,comdat
	.globl	_ZN7rocprim17ROCPRIM_400000_NS6detail17trampoline_kernelINS0_14default_configENS1_25partition_config_selectorILNS1_17partition_subalgoE9EllbEEZZNS1_14partition_implILS5_9ELb0ES3_jPlS8_PNS0_10empty_typeENS0_5tupleIJS8_S9_EEENSB_IJS8_SA_EEENS0_18inequality_wrapperIZN2at6native12_GLOBAL__N_124unique_dim_cuda_templateIN3c108BFloat16EEESt5tupleIJNSF_6TensorESM_SM_EERKSM_lbbbEUlllE0_EEPmJS9_EEE10hipError_tPvRmT3_T4_T5_T6_T7_T9_mT8_P12ihipStream_tbDpT10_ENKUlT_T0_E_clISt17integral_constantIbLb0EES1C_EEDaS17_S18_EUlS17_E_NS1_11comp_targetILNS1_3genE8ELNS1_11target_archE1030ELNS1_3gpuE2ELNS1_3repE0EEENS1_30default_config_static_selectorELNS0_4arch9wavefront6targetE1EEEvT1_ ; -- Begin function _ZN7rocprim17ROCPRIM_400000_NS6detail17trampoline_kernelINS0_14default_configENS1_25partition_config_selectorILNS1_17partition_subalgoE9EllbEEZZNS1_14partition_implILS5_9ELb0ES3_jPlS8_PNS0_10empty_typeENS0_5tupleIJS8_S9_EEENSB_IJS8_SA_EEENS0_18inequality_wrapperIZN2at6native12_GLOBAL__N_124unique_dim_cuda_templateIN3c108BFloat16EEESt5tupleIJNSF_6TensorESM_SM_EERKSM_lbbbEUlllE0_EEPmJS9_EEE10hipError_tPvRmT3_T4_T5_T6_T7_T9_mT8_P12ihipStream_tbDpT10_ENKUlT_T0_E_clISt17integral_constantIbLb0EES1C_EEDaS17_S18_EUlS17_E_NS1_11comp_targetILNS1_3genE8ELNS1_11target_archE1030ELNS1_3gpuE2ELNS1_3repE0EEENS1_30default_config_static_selectorELNS0_4arch9wavefront6targetE1EEEvT1_
	.p2align	8
	.type	_ZN7rocprim17ROCPRIM_400000_NS6detail17trampoline_kernelINS0_14default_configENS1_25partition_config_selectorILNS1_17partition_subalgoE9EllbEEZZNS1_14partition_implILS5_9ELb0ES3_jPlS8_PNS0_10empty_typeENS0_5tupleIJS8_S9_EEENSB_IJS8_SA_EEENS0_18inequality_wrapperIZN2at6native12_GLOBAL__N_124unique_dim_cuda_templateIN3c108BFloat16EEESt5tupleIJNSF_6TensorESM_SM_EERKSM_lbbbEUlllE0_EEPmJS9_EEE10hipError_tPvRmT3_T4_T5_T6_T7_T9_mT8_P12ihipStream_tbDpT10_ENKUlT_T0_E_clISt17integral_constantIbLb0EES1C_EEDaS17_S18_EUlS17_E_NS1_11comp_targetILNS1_3genE8ELNS1_11target_archE1030ELNS1_3gpuE2ELNS1_3repE0EEENS1_30default_config_static_selectorELNS0_4arch9wavefront6targetE1EEEvT1_,@function
_ZN7rocprim17ROCPRIM_400000_NS6detail17trampoline_kernelINS0_14default_configENS1_25partition_config_selectorILNS1_17partition_subalgoE9EllbEEZZNS1_14partition_implILS5_9ELb0ES3_jPlS8_PNS0_10empty_typeENS0_5tupleIJS8_S9_EEENSB_IJS8_SA_EEENS0_18inequality_wrapperIZN2at6native12_GLOBAL__N_124unique_dim_cuda_templateIN3c108BFloat16EEESt5tupleIJNSF_6TensorESM_SM_EERKSM_lbbbEUlllE0_EEPmJS9_EEE10hipError_tPvRmT3_T4_T5_T6_T7_T9_mT8_P12ihipStream_tbDpT10_ENKUlT_T0_E_clISt17integral_constantIbLb0EES1C_EEDaS17_S18_EUlS17_E_NS1_11comp_targetILNS1_3genE8ELNS1_11target_archE1030ELNS1_3gpuE2ELNS1_3repE0EEENS1_30default_config_static_selectorELNS0_4arch9wavefront6targetE1EEEvT1_: ; @_ZN7rocprim17ROCPRIM_400000_NS6detail17trampoline_kernelINS0_14default_configENS1_25partition_config_selectorILNS1_17partition_subalgoE9EllbEEZZNS1_14partition_implILS5_9ELb0ES3_jPlS8_PNS0_10empty_typeENS0_5tupleIJS8_S9_EEENSB_IJS8_SA_EEENS0_18inequality_wrapperIZN2at6native12_GLOBAL__N_124unique_dim_cuda_templateIN3c108BFloat16EEESt5tupleIJNSF_6TensorESM_SM_EERKSM_lbbbEUlllE0_EEPmJS9_EEE10hipError_tPvRmT3_T4_T5_T6_T7_T9_mT8_P12ihipStream_tbDpT10_ENKUlT_T0_E_clISt17integral_constantIbLb0EES1C_EEDaS17_S18_EUlS17_E_NS1_11comp_targetILNS1_3genE8ELNS1_11target_archE1030ELNS1_3gpuE2ELNS1_3repE0EEENS1_30default_config_static_selectorELNS0_4arch9wavefront6targetE1EEEvT1_
; %bb.0:
	.section	.rodata,"a",@progbits
	.p2align	6, 0x0
	.amdhsa_kernel _ZN7rocprim17ROCPRIM_400000_NS6detail17trampoline_kernelINS0_14default_configENS1_25partition_config_selectorILNS1_17partition_subalgoE9EllbEEZZNS1_14partition_implILS5_9ELb0ES3_jPlS8_PNS0_10empty_typeENS0_5tupleIJS8_S9_EEENSB_IJS8_SA_EEENS0_18inequality_wrapperIZN2at6native12_GLOBAL__N_124unique_dim_cuda_templateIN3c108BFloat16EEESt5tupleIJNSF_6TensorESM_SM_EERKSM_lbbbEUlllE0_EEPmJS9_EEE10hipError_tPvRmT3_T4_T5_T6_T7_T9_mT8_P12ihipStream_tbDpT10_ENKUlT_T0_E_clISt17integral_constantIbLb0EES1C_EEDaS17_S18_EUlS17_E_NS1_11comp_targetILNS1_3genE8ELNS1_11target_archE1030ELNS1_3gpuE2ELNS1_3repE0EEENS1_30default_config_static_selectorELNS0_4arch9wavefront6targetE1EEEvT1_
		.amdhsa_group_segment_fixed_size 0
		.amdhsa_private_segment_fixed_size 0
		.amdhsa_kernarg_size 120
		.amdhsa_user_sgpr_count 2
		.amdhsa_user_sgpr_dispatch_ptr 0
		.amdhsa_user_sgpr_queue_ptr 0
		.amdhsa_user_sgpr_kernarg_segment_ptr 1
		.amdhsa_user_sgpr_dispatch_id 0
		.amdhsa_user_sgpr_kernarg_preload_length 0
		.amdhsa_user_sgpr_kernarg_preload_offset 0
		.amdhsa_user_sgpr_private_segment_size 0
		.amdhsa_uses_dynamic_stack 0
		.amdhsa_enable_private_segment 0
		.amdhsa_system_sgpr_workgroup_id_x 1
		.amdhsa_system_sgpr_workgroup_id_y 0
		.amdhsa_system_sgpr_workgroup_id_z 0
		.amdhsa_system_sgpr_workgroup_info 0
		.amdhsa_system_vgpr_workitem_id 0
		.amdhsa_next_free_vgpr 1
		.amdhsa_next_free_sgpr 0
		.amdhsa_accum_offset 4
		.amdhsa_reserve_vcc 0
		.amdhsa_float_round_mode_32 0
		.amdhsa_float_round_mode_16_64 0
		.amdhsa_float_denorm_mode_32 3
		.amdhsa_float_denorm_mode_16_64 3
		.amdhsa_dx10_clamp 1
		.amdhsa_ieee_mode 1
		.amdhsa_fp16_overflow 0
		.amdhsa_tg_split 0
		.amdhsa_exception_fp_ieee_invalid_op 0
		.amdhsa_exception_fp_denorm_src 0
		.amdhsa_exception_fp_ieee_div_zero 0
		.amdhsa_exception_fp_ieee_overflow 0
		.amdhsa_exception_fp_ieee_underflow 0
		.amdhsa_exception_fp_ieee_inexact 0
		.amdhsa_exception_int_div_zero 0
	.end_amdhsa_kernel
	.section	.text._ZN7rocprim17ROCPRIM_400000_NS6detail17trampoline_kernelINS0_14default_configENS1_25partition_config_selectorILNS1_17partition_subalgoE9EllbEEZZNS1_14partition_implILS5_9ELb0ES3_jPlS8_PNS0_10empty_typeENS0_5tupleIJS8_S9_EEENSB_IJS8_SA_EEENS0_18inequality_wrapperIZN2at6native12_GLOBAL__N_124unique_dim_cuda_templateIN3c108BFloat16EEESt5tupleIJNSF_6TensorESM_SM_EERKSM_lbbbEUlllE0_EEPmJS9_EEE10hipError_tPvRmT3_T4_T5_T6_T7_T9_mT8_P12ihipStream_tbDpT10_ENKUlT_T0_E_clISt17integral_constantIbLb0EES1C_EEDaS17_S18_EUlS17_E_NS1_11comp_targetILNS1_3genE8ELNS1_11target_archE1030ELNS1_3gpuE2ELNS1_3repE0EEENS1_30default_config_static_selectorELNS0_4arch9wavefront6targetE1EEEvT1_,"axG",@progbits,_ZN7rocprim17ROCPRIM_400000_NS6detail17trampoline_kernelINS0_14default_configENS1_25partition_config_selectorILNS1_17partition_subalgoE9EllbEEZZNS1_14partition_implILS5_9ELb0ES3_jPlS8_PNS0_10empty_typeENS0_5tupleIJS8_S9_EEENSB_IJS8_SA_EEENS0_18inequality_wrapperIZN2at6native12_GLOBAL__N_124unique_dim_cuda_templateIN3c108BFloat16EEESt5tupleIJNSF_6TensorESM_SM_EERKSM_lbbbEUlllE0_EEPmJS9_EEE10hipError_tPvRmT3_T4_T5_T6_T7_T9_mT8_P12ihipStream_tbDpT10_ENKUlT_T0_E_clISt17integral_constantIbLb0EES1C_EEDaS17_S18_EUlS17_E_NS1_11comp_targetILNS1_3genE8ELNS1_11target_archE1030ELNS1_3gpuE2ELNS1_3repE0EEENS1_30default_config_static_selectorELNS0_4arch9wavefront6targetE1EEEvT1_,comdat
.Lfunc_end1221:
	.size	_ZN7rocprim17ROCPRIM_400000_NS6detail17trampoline_kernelINS0_14default_configENS1_25partition_config_selectorILNS1_17partition_subalgoE9EllbEEZZNS1_14partition_implILS5_9ELb0ES3_jPlS8_PNS0_10empty_typeENS0_5tupleIJS8_S9_EEENSB_IJS8_SA_EEENS0_18inequality_wrapperIZN2at6native12_GLOBAL__N_124unique_dim_cuda_templateIN3c108BFloat16EEESt5tupleIJNSF_6TensorESM_SM_EERKSM_lbbbEUlllE0_EEPmJS9_EEE10hipError_tPvRmT3_T4_T5_T6_T7_T9_mT8_P12ihipStream_tbDpT10_ENKUlT_T0_E_clISt17integral_constantIbLb0EES1C_EEDaS17_S18_EUlS17_E_NS1_11comp_targetILNS1_3genE8ELNS1_11target_archE1030ELNS1_3gpuE2ELNS1_3repE0EEENS1_30default_config_static_selectorELNS0_4arch9wavefront6targetE1EEEvT1_, .Lfunc_end1221-_ZN7rocprim17ROCPRIM_400000_NS6detail17trampoline_kernelINS0_14default_configENS1_25partition_config_selectorILNS1_17partition_subalgoE9EllbEEZZNS1_14partition_implILS5_9ELb0ES3_jPlS8_PNS0_10empty_typeENS0_5tupleIJS8_S9_EEENSB_IJS8_SA_EEENS0_18inequality_wrapperIZN2at6native12_GLOBAL__N_124unique_dim_cuda_templateIN3c108BFloat16EEESt5tupleIJNSF_6TensorESM_SM_EERKSM_lbbbEUlllE0_EEPmJS9_EEE10hipError_tPvRmT3_T4_T5_T6_T7_T9_mT8_P12ihipStream_tbDpT10_ENKUlT_T0_E_clISt17integral_constantIbLb0EES1C_EEDaS17_S18_EUlS17_E_NS1_11comp_targetILNS1_3genE8ELNS1_11target_archE1030ELNS1_3gpuE2ELNS1_3repE0EEENS1_30default_config_static_selectorELNS0_4arch9wavefront6targetE1EEEvT1_
                                        ; -- End function
	.section	.AMDGPU.csdata,"",@progbits
; Kernel info:
; codeLenInByte = 0
; NumSgprs: 6
; NumVgprs: 0
; NumAgprs: 0
; TotalNumVgprs: 0
; ScratchSize: 0
; MemoryBound: 0
; FloatMode: 240
; IeeeMode: 1
; LDSByteSize: 0 bytes/workgroup (compile time only)
; SGPRBlocks: 0
; VGPRBlocks: 0
; NumSGPRsForWavesPerEU: 6
; NumVGPRsForWavesPerEU: 1
; AccumOffset: 4
; Occupancy: 8
; WaveLimiterHint : 0
; COMPUTE_PGM_RSRC2:SCRATCH_EN: 0
; COMPUTE_PGM_RSRC2:USER_SGPR: 2
; COMPUTE_PGM_RSRC2:TRAP_HANDLER: 0
; COMPUTE_PGM_RSRC2:TGID_X_EN: 1
; COMPUTE_PGM_RSRC2:TGID_Y_EN: 0
; COMPUTE_PGM_RSRC2:TGID_Z_EN: 0
; COMPUTE_PGM_RSRC2:TIDIG_COMP_CNT: 0
; COMPUTE_PGM_RSRC3_GFX90A:ACCUM_OFFSET: 0
; COMPUTE_PGM_RSRC3_GFX90A:TG_SPLIT: 0
	.section	.text._ZN7rocprim17ROCPRIM_400000_NS6detail17trampoline_kernelINS0_14default_configENS1_25partition_config_selectorILNS1_17partition_subalgoE9EllbEEZZNS1_14partition_implILS5_9ELb0ES3_jPlS8_PNS0_10empty_typeENS0_5tupleIJS8_S9_EEENSB_IJS8_SA_EEENS0_18inequality_wrapperIZN2at6native12_GLOBAL__N_124unique_dim_cuda_templateIN3c108BFloat16EEESt5tupleIJNSF_6TensorESM_SM_EERKSM_lbbbEUlllE0_EEPmJS9_EEE10hipError_tPvRmT3_T4_T5_T6_T7_T9_mT8_P12ihipStream_tbDpT10_ENKUlT_T0_E_clISt17integral_constantIbLb1EES1C_EEDaS17_S18_EUlS17_E_NS1_11comp_targetILNS1_3genE0ELNS1_11target_archE4294967295ELNS1_3gpuE0ELNS1_3repE0EEENS1_30default_config_static_selectorELNS0_4arch9wavefront6targetE1EEEvT1_,"axG",@progbits,_ZN7rocprim17ROCPRIM_400000_NS6detail17trampoline_kernelINS0_14default_configENS1_25partition_config_selectorILNS1_17partition_subalgoE9EllbEEZZNS1_14partition_implILS5_9ELb0ES3_jPlS8_PNS0_10empty_typeENS0_5tupleIJS8_S9_EEENSB_IJS8_SA_EEENS0_18inequality_wrapperIZN2at6native12_GLOBAL__N_124unique_dim_cuda_templateIN3c108BFloat16EEESt5tupleIJNSF_6TensorESM_SM_EERKSM_lbbbEUlllE0_EEPmJS9_EEE10hipError_tPvRmT3_T4_T5_T6_T7_T9_mT8_P12ihipStream_tbDpT10_ENKUlT_T0_E_clISt17integral_constantIbLb1EES1C_EEDaS17_S18_EUlS17_E_NS1_11comp_targetILNS1_3genE0ELNS1_11target_archE4294967295ELNS1_3gpuE0ELNS1_3repE0EEENS1_30default_config_static_selectorELNS0_4arch9wavefront6targetE1EEEvT1_,comdat
	.globl	_ZN7rocprim17ROCPRIM_400000_NS6detail17trampoline_kernelINS0_14default_configENS1_25partition_config_selectorILNS1_17partition_subalgoE9EllbEEZZNS1_14partition_implILS5_9ELb0ES3_jPlS8_PNS0_10empty_typeENS0_5tupleIJS8_S9_EEENSB_IJS8_SA_EEENS0_18inequality_wrapperIZN2at6native12_GLOBAL__N_124unique_dim_cuda_templateIN3c108BFloat16EEESt5tupleIJNSF_6TensorESM_SM_EERKSM_lbbbEUlllE0_EEPmJS9_EEE10hipError_tPvRmT3_T4_T5_T6_T7_T9_mT8_P12ihipStream_tbDpT10_ENKUlT_T0_E_clISt17integral_constantIbLb1EES1C_EEDaS17_S18_EUlS17_E_NS1_11comp_targetILNS1_3genE0ELNS1_11target_archE4294967295ELNS1_3gpuE0ELNS1_3repE0EEENS1_30default_config_static_selectorELNS0_4arch9wavefront6targetE1EEEvT1_ ; -- Begin function _ZN7rocprim17ROCPRIM_400000_NS6detail17trampoline_kernelINS0_14default_configENS1_25partition_config_selectorILNS1_17partition_subalgoE9EllbEEZZNS1_14partition_implILS5_9ELb0ES3_jPlS8_PNS0_10empty_typeENS0_5tupleIJS8_S9_EEENSB_IJS8_SA_EEENS0_18inequality_wrapperIZN2at6native12_GLOBAL__N_124unique_dim_cuda_templateIN3c108BFloat16EEESt5tupleIJNSF_6TensorESM_SM_EERKSM_lbbbEUlllE0_EEPmJS9_EEE10hipError_tPvRmT3_T4_T5_T6_T7_T9_mT8_P12ihipStream_tbDpT10_ENKUlT_T0_E_clISt17integral_constantIbLb1EES1C_EEDaS17_S18_EUlS17_E_NS1_11comp_targetILNS1_3genE0ELNS1_11target_archE4294967295ELNS1_3gpuE0ELNS1_3repE0EEENS1_30default_config_static_selectorELNS0_4arch9wavefront6targetE1EEEvT1_
	.p2align	8
	.type	_ZN7rocprim17ROCPRIM_400000_NS6detail17trampoline_kernelINS0_14default_configENS1_25partition_config_selectorILNS1_17partition_subalgoE9EllbEEZZNS1_14partition_implILS5_9ELb0ES3_jPlS8_PNS0_10empty_typeENS0_5tupleIJS8_S9_EEENSB_IJS8_SA_EEENS0_18inequality_wrapperIZN2at6native12_GLOBAL__N_124unique_dim_cuda_templateIN3c108BFloat16EEESt5tupleIJNSF_6TensorESM_SM_EERKSM_lbbbEUlllE0_EEPmJS9_EEE10hipError_tPvRmT3_T4_T5_T6_T7_T9_mT8_P12ihipStream_tbDpT10_ENKUlT_T0_E_clISt17integral_constantIbLb1EES1C_EEDaS17_S18_EUlS17_E_NS1_11comp_targetILNS1_3genE0ELNS1_11target_archE4294967295ELNS1_3gpuE0ELNS1_3repE0EEENS1_30default_config_static_selectorELNS0_4arch9wavefront6targetE1EEEvT1_,@function
_ZN7rocprim17ROCPRIM_400000_NS6detail17trampoline_kernelINS0_14default_configENS1_25partition_config_selectorILNS1_17partition_subalgoE9EllbEEZZNS1_14partition_implILS5_9ELb0ES3_jPlS8_PNS0_10empty_typeENS0_5tupleIJS8_S9_EEENSB_IJS8_SA_EEENS0_18inequality_wrapperIZN2at6native12_GLOBAL__N_124unique_dim_cuda_templateIN3c108BFloat16EEESt5tupleIJNSF_6TensorESM_SM_EERKSM_lbbbEUlllE0_EEPmJS9_EEE10hipError_tPvRmT3_T4_T5_T6_T7_T9_mT8_P12ihipStream_tbDpT10_ENKUlT_T0_E_clISt17integral_constantIbLb1EES1C_EEDaS17_S18_EUlS17_E_NS1_11comp_targetILNS1_3genE0ELNS1_11target_archE4294967295ELNS1_3gpuE0ELNS1_3repE0EEENS1_30default_config_static_selectorELNS0_4arch9wavefront6targetE1EEEvT1_: ; @_ZN7rocprim17ROCPRIM_400000_NS6detail17trampoline_kernelINS0_14default_configENS1_25partition_config_selectorILNS1_17partition_subalgoE9EllbEEZZNS1_14partition_implILS5_9ELb0ES3_jPlS8_PNS0_10empty_typeENS0_5tupleIJS8_S9_EEENSB_IJS8_SA_EEENS0_18inequality_wrapperIZN2at6native12_GLOBAL__N_124unique_dim_cuda_templateIN3c108BFloat16EEESt5tupleIJNSF_6TensorESM_SM_EERKSM_lbbbEUlllE0_EEPmJS9_EEE10hipError_tPvRmT3_T4_T5_T6_T7_T9_mT8_P12ihipStream_tbDpT10_ENKUlT_T0_E_clISt17integral_constantIbLb1EES1C_EEDaS17_S18_EUlS17_E_NS1_11comp_targetILNS1_3genE0ELNS1_11target_archE4294967295ELNS1_3gpuE0ELNS1_3repE0EEENS1_30default_config_static_selectorELNS0_4arch9wavefront6targetE1EEEvT1_
; %bb.0:
	.section	.rodata,"a",@progbits
	.p2align	6, 0x0
	.amdhsa_kernel _ZN7rocprim17ROCPRIM_400000_NS6detail17trampoline_kernelINS0_14default_configENS1_25partition_config_selectorILNS1_17partition_subalgoE9EllbEEZZNS1_14partition_implILS5_9ELb0ES3_jPlS8_PNS0_10empty_typeENS0_5tupleIJS8_S9_EEENSB_IJS8_SA_EEENS0_18inequality_wrapperIZN2at6native12_GLOBAL__N_124unique_dim_cuda_templateIN3c108BFloat16EEESt5tupleIJNSF_6TensorESM_SM_EERKSM_lbbbEUlllE0_EEPmJS9_EEE10hipError_tPvRmT3_T4_T5_T6_T7_T9_mT8_P12ihipStream_tbDpT10_ENKUlT_T0_E_clISt17integral_constantIbLb1EES1C_EEDaS17_S18_EUlS17_E_NS1_11comp_targetILNS1_3genE0ELNS1_11target_archE4294967295ELNS1_3gpuE0ELNS1_3repE0EEENS1_30default_config_static_selectorELNS0_4arch9wavefront6targetE1EEEvT1_
		.amdhsa_group_segment_fixed_size 0
		.amdhsa_private_segment_fixed_size 0
		.amdhsa_kernarg_size 136
		.amdhsa_user_sgpr_count 2
		.amdhsa_user_sgpr_dispatch_ptr 0
		.amdhsa_user_sgpr_queue_ptr 0
		.amdhsa_user_sgpr_kernarg_segment_ptr 1
		.amdhsa_user_sgpr_dispatch_id 0
		.amdhsa_user_sgpr_kernarg_preload_length 0
		.amdhsa_user_sgpr_kernarg_preload_offset 0
		.amdhsa_user_sgpr_private_segment_size 0
		.amdhsa_uses_dynamic_stack 0
		.amdhsa_enable_private_segment 0
		.amdhsa_system_sgpr_workgroup_id_x 1
		.amdhsa_system_sgpr_workgroup_id_y 0
		.amdhsa_system_sgpr_workgroup_id_z 0
		.amdhsa_system_sgpr_workgroup_info 0
		.amdhsa_system_vgpr_workitem_id 0
		.amdhsa_next_free_vgpr 1
		.amdhsa_next_free_sgpr 0
		.amdhsa_accum_offset 4
		.amdhsa_reserve_vcc 0
		.amdhsa_float_round_mode_32 0
		.amdhsa_float_round_mode_16_64 0
		.amdhsa_float_denorm_mode_32 3
		.amdhsa_float_denorm_mode_16_64 3
		.amdhsa_dx10_clamp 1
		.amdhsa_ieee_mode 1
		.amdhsa_fp16_overflow 0
		.amdhsa_tg_split 0
		.amdhsa_exception_fp_ieee_invalid_op 0
		.amdhsa_exception_fp_denorm_src 0
		.amdhsa_exception_fp_ieee_div_zero 0
		.amdhsa_exception_fp_ieee_overflow 0
		.amdhsa_exception_fp_ieee_underflow 0
		.amdhsa_exception_fp_ieee_inexact 0
		.amdhsa_exception_int_div_zero 0
	.end_amdhsa_kernel
	.section	.text._ZN7rocprim17ROCPRIM_400000_NS6detail17trampoline_kernelINS0_14default_configENS1_25partition_config_selectorILNS1_17partition_subalgoE9EllbEEZZNS1_14partition_implILS5_9ELb0ES3_jPlS8_PNS0_10empty_typeENS0_5tupleIJS8_S9_EEENSB_IJS8_SA_EEENS0_18inequality_wrapperIZN2at6native12_GLOBAL__N_124unique_dim_cuda_templateIN3c108BFloat16EEESt5tupleIJNSF_6TensorESM_SM_EERKSM_lbbbEUlllE0_EEPmJS9_EEE10hipError_tPvRmT3_T4_T5_T6_T7_T9_mT8_P12ihipStream_tbDpT10_ENKUlT_T0_E_clISt17integral_constantIbLb1EES1C_EEDaS17_S18_EUlS17_E_NS1_11comp_targetILNS1_3genE0ELNS1_11target_archE4294967295ELNS1_3gpuE0ELNS1_3repE0EEENS1_30default_config_static_selectorELNS0_4arch9wavefront6targetE1EEEvT1_,"axG",@progbits,_ZN7rocprim17ROCPRIM_400000_NS6detail17trampoline_kernelINS0_14default_configENS1_25partition_config_selectorILNS1_17partition_subalgoE9EllbEEZZNS1_14partition_implILS5_9ELb0ES3_jPlS8_PNS0_10empty_typeENS0_5tupleIJS8_S9_EEENSB_IJS8_SA_EEENS0_18inequality_wrapperIZN2at6native12_GLOBAL__N_124unique_dim_cuda_templateIN3c108BFloat16EEESt5tupleIJNSF_6TensorESM_SM_EERKSM_lbbbEUlllE0_EEPmJS9_EEE10hipError_tPvRmT3_T4_T5_T6_T7_T9_mT8_P12ihipStream_tbDpT10_ENKUlT_T0_E_clISt17integral_constantIbLb1EES1C_EEDaS17_S18_EUlS17_E_NS1_11comp_targetILNS1_3genE0ELNS1_11target_archE4294967295ELNS1_3gpuE0ELNS1_3repE0EEENS1_30default_config_static_selectorELNS0_4arch9wavefront6targetE1EEEvT1_,comdat
.Lfunc_end1222:
	.size	_ZN7rocprim17ROCPRIM_400000_NS6detail17trampoline_kernelINS0_14default_configENS1_25partition_config_selectorILNS1_17partition_subalgoE9EllbEEZZNS1_14partition_implILS5_9ELb0ES3_jPlS8_PNS0_10empty_typeENS0_5tupleIJS8_S9_EEENSB_IJS8_SA_EEENS0_18inequality_wrapperIZN2at6native12_GLOBAL__N_124unique_dim_cuda_templateIN3c108BFloat16EEESt5tupleIJNSF_6TensorESM_SM_EERKSM_lbbbEUlllE0_EEPmJS9_EEE10hipError_tPvRmT3_T4_T5_T6_T7_T9_mT8_P12ihipStream_tbDpT10_ENKUlT_T0_E_clISt17integral_constantIbLb1EES1C_EEDaS17_S18_EUlS17_E_NS1_11comp_targetILNS1_3genE0ELNS1_11target_archE4294967295ELNS1_3gpuE0ELNS1_3repE0EEENS1_30default_config_static_selectorELNS0_4arch9wavefront6targetE1EEEvT1_, .Lfunc_end1222-_ZN7rocprim17ROCPRIM_400000_NS6detail17trampoline_kernelINS0_14default_configENS1_25partition_config_selectorILNS1_17partition_subalgoE9EllbEEZZNS1_14partition_implILS5_9ELb0ES3_jPlS8_PNS0_10empty_typeENS0_5tupleIJS8_S9_EEENSB_IJS8_SA_EEENS0_18inequality_wrapperIZN2at6native12_GLOBAL__N_124unique_dim_cuda_templateIN3c108BFloat16EEESt5tupleIJNSF_6TensorESM_SM_EERKSM_lbbbEUlllE0_EEPmJS9_EEE10hipError_tPvRmT3_T4_T5_T6_T7_T9_mT8_P12ihipStream_tbDpT10_ENKUlT_T0_E_clISt17integral_constantIbLb1EES1C_EEDaS17_S18_EUlS17_E_NS1_11comp_targetILNS1_3genE0ELNS1_11target_archE4294967295ELNS1_3gpuE0ELNS1_3repE0EEENS1_30default_config_static_selectorELNS0_4arch9wavefront6targetE1EEEvT1_
                                        ; -- End function
	.section	.AMDGPU.csdata,"",@progbits
; Kernel info:
; codeLenInByte = 0
; NumSgprs: 6
; NumVgprs: 0
; NumAgprs: 0
; TotalNumVgprs: 0
; ScratchSize: 0
; MemoryBound: 0
; FloatMode: 240
; IeeeMode: 1
; LDSByteSize: 0 bytes/workgroup (compile time only)
; SGPRBlocks: 0
; VGPRBlocks: 0
; NumSGPRsForWavesPerEU: 6
; NumVGPRsForWavesPerEU: 1
; AccumOffset: 4
; Occupancy: 8
; WaveLimiterHint : 0
; COMPUTE_PGM_RSRC2:SCRATCH_EN: 0
; COMPUTE_PGM_RSRC2:USER_SGPR: 2
; COMPUTE_PGM_RSRC2:TRAP_HANDLER: 0
; COMPUTE_PGM_RSRC2:TGID_X_EN: 1
; COMPUTE_PGM_RSRC2:TGID_Y_EN: 0
; COMPUTE_PGM_RSRC2:TGID_Z_EN: 0
; COMPUTE_PGM_RSRC2:TIDIG_COMP_CNT: 0
; COMPUTE_PGM_RSRC3_GFX90A:ACCUM_OFFSET: 0
; COMPUTE_PGM_RSRC3_GFX90A:TG_SPLIT: 0
	.section	.text._ZN7rocprim17ROCPRIM_400000_NS6detail17trampoline_kernelINS0_14default_configENS1_25partition_config_selectorILNS1_17partition_subalgoE9EllbEEZZNS1_14partition_implILS5_9ELb0ES3_jPlS8_PNS0_10empty_typeENS0_5tupleIJS8_S9_EEENSB_IJS8_SA_EEENS0_18inequality_wrapperIZN2at6native12_GLOBAL__N_124unique_dim_cuda_templateIN3c108BFloat16EEESt5tupleIJNSF_6TensorESM_SM_EERKSM_lbbbEUlllE0_EEPmJS9_EEE10hipError_tPvRmT3_T4_T5_T6_T7_T9_mT8_P12ihipStream_tbDpT10_ENKUlT_T0_E_clISt17integral_constantIbLb1EES1C_EEDaS17_S18_EUlS17_E_NS1_11comp_targetILNS1_3genE5ELNS1_11target_archE942ELNS1_3gpuE9ELNS1_3repE0EEENS1_30default_config_static_selectorELNS0_4arch9wavefront6targetE1EEEvT1_,"axG",@progbits,_ZN7rocprim17ROCPRIM_400000_NS6detail17trampoline_kernelINS0_14default_configENS1_25partition_config_selectorILNS1_17partition_subalgoE9EllbEEZZNS1_14partition_implILS5_9ELb0ES3_jPlS8_PNS0_10empty_typeENS0_5tupleIJS8_S9_EEENSB_IJS8_SA_EEENS0_18inequality_wrapperIZN2at6native12_GLOBAL__N_124unique_dim_cuda_templateIN3c108BFloat16EEESt5tupleIJNSF_6TensorESM_SM_EERKSM_lbbbEUlllE0_EEPmJS9_EEE10hipError_tPvRmT3_T4_T5_T6_T7_T9_mT8_P12ihipStream_tbDpT10_ENKUlT_T0_E_clISt17integral_constantIbLb1EES1C_EEDaS17_S18_EUlS17_E_NS1_11comp_targetILNS1_3genE5ELNS1_11target_archE942ELNS1_3gpuE9ELNS1_3repE0EEENS1_30default_config_static_selectorELNS0_4arch9wavefront6targetE1EEEvT1_,comdat
	.globl	_ZN7rocprim17ROCPRIM_400000_NS6detail17trampoline_kernelINS0_14default_configENS1_25partition_config_selectorILNS1_17partition_subalgoE9EllbEEZZNS1_14partition_implILS5_9ELb0ES3_jPlS8_PNS0_10empty_typeENS0_5tupleIJS8_S9_EEENSB_IJS8_SA_EEENS0_18inequality_wrapperIZN2at6native12_GLOBAL__N_124unique_dim_cuda_templateIN3c108BFloat16EEESt5tupleIJNSF_6TensorESM_SM_EERKSM_lbbbEUlllE0_EEPmJS9_EEE10hipError_tPvRmT3_T4_T5_T6_T7_T9_mT8_P12ihipStream_tbDpT10_ENKUlT_T0_E_clISt17integral_constantIbLb1EES1C_EEDaS17_S18_EUlS17_E_NS1_11comp_targetILNS1_3genE5ELNS1_11target_archE942ELNS1_3gpuE9ELNS1_3repE0EEENS1_30default_config_static_selectorELNS0_4arch9wavefront6targetE1EEEvT1_ ; -- Begin function _ZN7rocprim17ROCPRIM_400000_NS6detail17trampoline_kernelINS0_14default_configENS1_25partition_config_selectorILNS1_17partition_subalgoE9EllbEEZZNS1_14partition_implILS5_9ELb0ES3_jPlS8_PNS0_10empty_typeENS0_5tupleIJS8_S9_EEENSB_IJS8_SA_EEENS0_18inequality_wrapperIZN2at6native12_GLOBAL__N_124unique_dim_cuda_templateIN3c108BFloat16EEESt5tupleIJNSF_6TensorESM_SM_EERKSM_lbbbEUlllE0_EEPmJS9_EEE10hipError_tPvRmT3_T4_T5_T6_T7_T9_mT8_P12ihipStream_tbDpT10_ENKUlT_T0_E_clISt17integral_constantIbLb1EES1C_EEDaS17_S18_EUlS17_E_NS1_11comp_targetILNS1_3genE5ELNS1_11target_archE942ELNS1_3gpuE9ELNS1_3repE0EEENS1_30default_config_static_selectorELNS0_4arch9wavefront6targetE1EEEvT1_
	.p2align	8
	.type	_ZN7rocprim17ROCPRIM_400000_NS6detail17trampoline_kernelINS0_14default_configENS1_25partition_config_selectorILNS1_17partition_subalgoE9EllbEEZZNS1_14partition_implILS5_9ELb0ES3_jPlS8_PNS0_10empty_typeENS0_5tupleIJS8_S9_EEENSB_IJS8_SA_EEENS0_18inequality_wrapperIZN2at6native12_GLOBAL__N_124unique_dim_cuda_templateIN3c108BFloat16EEESt5tupleIJNSF_6TensorESM_SM_EERKSM_lbbbEUlllE0_EEPmJS9_EEE10hipError_tPvRmT3_T4_T5_T6_T7_T9_mT8_P12ihipStream_tbDpT10_ENKUlT_T0_E_clISt17integral_constantIbLb1EES1C_EEDaS17_S18_EUlS17_E_NS1_11comp_targetILNS1_3genE5ELNS1_11target_archE942ELNS1_3gpuE9ELNS1_3repE0EEENS1_30default_config_static_selectorELNS0_4arch9wavefront6targetE1EEEvT1_,@function
_ZN7rocprim17ROCPRIM_400000_NS6detail17trampoline_kernelINS0_14default_configENS1_25partition_config_selectorILNS1_17partition_subalgoE9EllbEEZZNS1_14partition_implILS5_9ELb0ES3_jPlS8_PNS0_10empty_typeENS0_5tupleIJS8_S9_EEENSB_IJS8_SA_EEENS0_18inequality_wrapperIZN2at6native12_GLOBAL__N_124unique_dim_cuda_templateIN3c108BFloat16EEESt5tupleIJNSF_6TensorESM_SM_EERKSM_lbbbEUlllE0_EEPmJS9_EEE10hipError_tPvRmT3_T4_T5_T6_T7_T9_mT8_P12ihipStream_tbDpT10_ENKUlT_T0_E_clISt17integral_constantIbLb1EES1C_EEDaS17_S18_EUlS17_E_NS1_11comp_targetILNS1_3genE5ELNS1_11target_archE942ELNS1_3gpuE9ELNS1_3repE0EEENS1_30default_config_static_selectorELNS0_4arch9wavefront6targetE1EEEvT1_: ; @_ZN7rocprim17ROCPRIM_400000_NS6detail17trampoline_kernelINS0_14default_configENS1_25partition_config_selectorILNS1_17partition_subalgoE9EllbEEZZNS1_14partition_implILS5_9ELb0ES3_jPlS8_PNS0_10empty_typeENS0_5tupleIJS8_S9_EEENSB_IJS8_SA_EEENS0_18inequality_wrapperIZN2at6native12_GLOBAL__N_124unique_dim_cuda_templateIN3c108BFloat16EEESt5tupleIJNSF_6TensorESM_SM_EERKSM_lbbbEUlllE0_EEPmJS9_EEE10hipError_tPvRmT3_T4_T5_T6_T7_T9_mT8_P12ihipStream_tbDpT10_ENKUlT_T0_E_clISt17integral_constantIbLb1EES1C_EEDaS17_S18_EUlS17_E_NS1_11comp_targetILNS1_3genE5ELNS1_11target_archE942ELNS1_3gpuE9ELNS1_3repE0EEENS1_30default_config_static_selectorELNS0_4arch9wavefront6targetE1EEEvT1_
; %bb.0:
	s_load_dwordx4 s[4:7], s[0:1], 0x8
	s_load_dwordx2 s[10:11], s[0:1], 0x18
	s_load_dwordx8 s[20:27], s[0:1], 0x40
	s_load_dwordx4 s[36:39], s[0:1], 0x60
	v_cmp_ne_u32_e64 s[2:3], 0, v0
	v_cmp_eq_u32_e64 s[18:19], 0, v0
	s_and_saveexec_b64 s[8:9], s[18:19]
	s_cbranch_execz .LBB1223_4
; %bb.1:
	s_mov_b64 s[14:15], exec
	v_mbcnt_lo_u32_b32 v1, s14, 0
	v_mbcnt_hi_u32_b32 v1, s15, v1
	v_cmp_eq_u32_e32 vcc, 0, v1
                                        ; implicit-def: $vgpr2
	s_and_saveexec_b64 s[12:13], vcc
	s_cbranch_execz .LBB1223_3
; %bb.2:
	s_load_dwordx2 s[16:17], s[0:1], 0x78
	s_bcnt1_i32_b64 s14, s[14:15]
	v_mov_b32_e32 v2, 0
	v_mov_b32_e32 v3, s14
	s_waitcnt lgkmcnt(0)
	global_atomic_add v2, v2, v3, s[16:17] sc0
.LBB1223_3:
	s_or_b64 exec, exec, s[12:13]
	s_waitcnt vmcnt(0)
	v_readfirstlane_b32 s12, v2
	v_mov_b32_e32 v2, 0
	s_nop 0
	v_add_u32_e32 v1, s12, v1
	ds_write_b32 v2, v1
.LBB1223_4:
	s_or_b64 exec, exec, s[8:9]
	v_mov_b32_e32 v3, 0
	s_load_dwordx4 s[28:31], s[0:1], 0x28
	s_load_dword s8, s[0:1], 0x70
	s_waitcnt lgkmcnt(0)
	s_barrier
	ds_read_b32 v1, v3
	s_waitcnt lgkmcnt(0)
	s_barrier
	global_load_dwordx2 v[4:5], v3, s[22:23]
	s_lshl_b64 s[12:13], s[6:7], 3
	s_mul_i32 s14, s8, 0xe00
	s_add_u32 s16, s4, s12
	s_addc_u32 s17, s5, s13
	s_add_i32 s4, s14, s6
	s_sub_i32 s54, s24, s4
	s_add_i32 s15, s8, -1
	s_addk_i32 s54, 0xe00
	s_add_u32 s4, s6, s14
	v_readfirstlane_b32 s33, v1
	s_addc_u32 s5, s7, 0
	v_mov_b32_e32 v6, s24
	v_mov_b32_e32 v7, s25
	s_cmp_eq_u32 s33, s15
	s_mov_b32 s9, 0
	s_mul_i32 s8, s33, 0xe00
	v_cmp_ge_u64_e32 vcc, s[4:5], v[6:7]
	s_cselect_b64 s[24:25], -1, 0
	s_lshl_b64 s[14:15], s[8:9], 3
	s_and_b64 s[8:9], vcc, s[24:25]
	s_xor_b64 s[34:35], s[8:9], -1
	s_add_u32 s4, s16, s14
	s_mov_b64 s[0:1], -1
	s_addc_u32 s5, s17, s15
	s_and_b64 vcc, exec, s[34:35]
	s_waitcnt vmcnt(0)
	v_readfirstlane_b32 s22, v4
	v_readfirstlane_b32 s23, v5
	s_cbranch_vccz .LBB1223_6
; %bb.5:
	v_lshlrev_b32_e32 v2, 3, v0
	v_lshl_add_u64 v[4:5], s[4:5], 0, v[2:3]
	v_add_co_u32_e32 v8, vcc, 0x1000, v4
	global_load_dwordx2 v[6:7], v2, s[4:5]
	s_nop 0
	v_addc_co_u32_e32 v9, vcc, 0, v5, vcc
	v_add_co_u32_e32 v10, vcc, 0x2000, v4
	s_mov_b64 s[0:1], 0
	s_nop 0
	v_addc_co_u32_e32 v11, vcc, 0, v5, vcc
	v_add_co_u32_e32 v12, vcc, 0x3000, v4
	s_nop 1
	v_addc_co_u32_e32 v13, vcc, 0, v5, vcc
	v_add_co_u32_e32 v14, vcc, 0x4000, v4
	s_nop 1
	v_addc_co_u32_e32 v15, vcc, 0, v5, vcc
	global_load_dwordx2 v[16:17], v[8:9], off
	global_load_dwordx2 v[18:19], v[10:11], off
	global_load_dwordx2 v[20:21], v[12:13], off
	global_load_dwordx2 v[22:23], v[14:15], off
	v_add_co_u32_e32 v8, vcc, 0x5000, v4
	s_nop 1
	v_addc_co_u32_e32 v9, vcc, 0, v5, vcc
	v_add_co_u32_e32 v4, vcc, 0x6000, v4
	global_load_dwordx2 v[8:9], v[8:9], off
	s_nop 0
	v_addc_co_u32_e32 v5, vcc, 0, v5, vcc
	global_load_dwordx2 v[4:5], v[4:5], off
	s_waitcnt vmcnt(5)
	ds_write2st64_b64 v2, v[6:7], v[16:17] offset1:8
	s_waitcnt vmcnt(3)
	ds_write2st64_b64 v2, v[18:19], v[20:21] offset0:16 offset1:24
	s_waitcnt vmcnt(1)
	ds_write2st64_b64 v2, v[22:23], v[8:9] offset0:32 offset1:40
	s_waitcnt vmcnt(0)
	ds_write_b64 v2, v[4:5] offset:24576
	s_waitcnt lgkmcnt(0)
	s_barrier
.LBB1223_6:
	s_andn2_b64 vcc, exec, s[0:1]
	v_cmp_gt_u32_e64 s[0:1], s54, v0
	s_cbranch_vccnz .LBB1223_22
; %bb.7:
                                        ; implicit-def: $vgpr2_vgpr3_vgpr4_vgpr5_vgpr6_vgpr7_vgpr8_vgpr9_vgpr10_vgpr11_vgpr12_vgpr13_vgpr14_vgpr15_vgpr16_vgpr17
	s_and_saveexec_b64 s[16:17], s[0:1]
	s_cbranch_execz .LBB1223_9
; %bb.8:
	v_lshlrev_b32_e32 v1, 3, v0
	global_load_dwordx2 v[2:3], v1, s[4:5]
.LBB1223_9:
	s_or_b64 exec, exec, s[16:17]
	v_or_b32_e32 v1, 0x200, v0
	v_cmp_gt_u32_e32 vcc, s54, v1
	s_and_saveexec_b64 s[0:1], vcc
	s_cbranch_execz .LBB1223_11
; %bb.10:
	v_lshlrev_b32_e32 v1, 3, v1
	global_load_dwordx2 v[4:5], v1, s[4:5]
.LBB1223_11:
	s_or_b64 exec, exec, s[0:1]
	v_or_b32_e32 v1, 0x400, v0
	v_cmp_gt_u32_e32 vcc, s54, v1
	s_and_saveexec_b64 s[0:1], vcc
	;; [unrolled: 9-line block ×6, first 2 shown]
	s_cbranch_execz .LBB1223_21
; %bb.20:
	v_lshlrev_b32_e32 v1, 3, v1
	global_load_dwordx2 v[14:15], v1, s[4:5]
.LBB1223_21:
	s_or_b64 exec, exec, s[0:1]
	v_lshlrev_b32_e32 v1, 3, v0
	s_waitcnt vmcnt(0)
	ds_write2st64_b64 v1, v[2:3], v[4:5] offset1:8
	ds_write2st64_b64 v1, v[6:7], v[8:9] offset0:16 offset1:24
	ds_write2st64_b64 v1, v[10:11], v[12:13] offset0:32 offset1:40
	ds_write_b64 v1, v[14:15] offset:24576
	s_waitcnt lgkmcnt(0)
	s_barrier
.LBB1223_22:
	v_mul_u32_u24_e32 v1, 7, v0
	v_lshlrev_b32_e32 v46, 3, v1
	ds_read2_b64 v[22:25], v46 offset1:1
	ds_read2_b64 v[18:21], v46 offset0:2 offset1:3
	ds_read2_b64 v[14:17], v46 offset0:4 offset1:5
	ds_read_b64 v[28:29], v46 offset:48
	s_add_u32 s0, s10, s12
	s_addc_u32 s1, s11, s13
	s_add_u32 s0, s0, s14
	s_addc_u32 s1, s1, s15
	s_mov_b64 s[10:11], -1
	s_and_b64 vcc, exec, s[34:35]
	s_waitcnt lgkmcnt(0)
	s_barrier
	s_cbranch_vccz .LBB1223_24
; %bb.23:
	v_lshlrev_b32_e32 v2, 3, v0
	v_mov_b32_e32 v3, 0
	v_lshl_add_u64 v[4:5], s[0:1], 0, v[2:3]
	v_add_co_u32_e32 v8, vcc, 0x1000, v4
	global_load_dwordx2 v[6:7], v2, s[0:1]
	s_nop 0
	v_addc_co_u32_e32 v9, vcc, 0, v5, vcc
	v_add_co_u32_e32 v10, vcc, 0x2000, v4
	s_mov_b64 s[10:11], 0
	s_nop 0
	v_addc_co_u32_e32 v11, vcc, 0, v5, vcc
	v_add_co_u32_e32 v12, vcc, 0x3000, v4
	s_nop 1
	v_addc_co_u32_e32 v13, vcc, 0, v5, vcc
	v_add_co_u32_e32 v26, vcc, 0x4000, v4
	s_nop 1
	v_addc_co_u32_e32 v27, vcc, 0, v5, vcc
	global_load_dwordx2 v[30:31], v[8:9], off
	global_load_dwordx2 v[32:33], v[10:11], off
	;; [unrolled: 1-line block ×4, first 2 shown]
	v_add_co_u32_e32 v8, vcc, 0x5000, v4
	s_nop 1
	v_addc_co_u32_e32 v9, vcc, 0, v5, vcc
	v_add_co_u32_e32 v4, vcc, 0x6000, v4
	global_load_dwordx2 v[8:9], v[8:9], off
	s_nop 0
	v_addc_co_u32_e32 v5, vcc, 0, v5, vcc
	global_load_dwordx2 v[4:5], v[4:5], off
	s_waitcnt vmcnt(5)
	ds_write2st64_b64 v2, v[6:7], v[30:31] offset1:8
	s_waitcnt vmcnt(3)
	ds_write2st64_b64 v2, v[32:33], v[34:35] offset0:16 offset1:24
	s_waitcnt vmcnt(1)
	ds_write2st64_b64 v2, v[36:37], v[8:9] offset0:32 offset1:40
	s_waitcnt vmcnt(0)
	ds_write_b64 v2, v[4:5] offset:24576
	s_waitcnt lgkmcnt(0)
	s_barrier
.LBB1223_24:
	s_andn2_b64 vcc, exec, s[10:11]
	s_cbranch_vccnz .LBB1223_40
; %bb.25:
	v_cmp_gt_u32_e32 vcc, s54, v0
                                        ; implicit-def: $vgpr2_vgpr3
	s_and_saveexec_b64 s[10:11], vcc
	s_cbranch_execz .LBB1223_27
; %bb.26:
	v_lshlrev_b32_e32 v2, 3, v0
	global_load_dwordx2 v[2:3], v2, s[0:1]
.LBB1223_27:
	s_or_b64 exec, exec, s[10:11]
	v_or_b32_e32 v6, 0x200, v0
	v_cmp_gt_u32_e32 vcc, s54, v6
                                        ; implicit-def: $vgpr4_vgpr5
	s_and_saveexec_b64 s[10:11], vcc
	s_cbranch_execz .LBB1223_29
; %bb.28:
	v_lshlrev_b32_e32 v4, 3, v6
	global_load_dwordx2 v[4:5], v4, s[0:1]
.LBB1223_29:
	s_or_b64 exec, exec, s[10:11]
	v_or_b32_e32 v8, 0x400, v0
	v_cmp_gt_u32_e32 vcc, s54, v8
                                        ; implicit-def: $vgpr6_vgpr7
	s_and_saveexec_b64 s[10:11], vcc
	s_cbranch_execz .LBB1223_31
; %bb.30:
	v_lshlrev_b32_e32 v6, 3, v8
	global_load_dwordx2 v[6:7], v6, s[0:1]
.LBB1223_31:
	s_or_b64 exec, exec, s[10:11]
	v_or_b32_e32 v10, 0x600, v0
	v_cmp_gt_u32_e32 vcc, s54, v10
                                        ; implicit-def: $vgpr8_vgpr9
	s_and_saveexec_b64 s[10:11], vcc
	s_cbranch_execz .LBB1223_33
; %bb.32:
	v_lshlrev_b32_e32 v8, 3, v10
	global_load_dwordx2 v[8:9], v8, s[0:1]
.LBB1223_33:
	s_or_b64 exec, exec, s[10:11]
	v_or_b32_e32 v12, 0x800, v0
	v_cmp_gt_u32_e32 vcc, s54, v12
                                        ; implicit-def: $vgpr10_vgpr11
	s_and_saveexec_b64 s[10:11], vcc
	s_cbranch_execz .LBB1223_35
; %bb.34:
	v_lshlrev_b32_e32 v10, 3, v12
	global_load_dwordx2 v[10:11], v10, s[0:1]
.LBB1223_35:
	s_or_b64 exec, exec, s[10:11]
	v_or_b32_e32 v26, 0xa00, v0
	v_cmp_gt_u32_e32 vcc, s54, v26
                                        ; implicit-def: $vgpr12_vgpr13
	s_and_saveexec_b64 s[10:11], vcc
	s_cbranch_execz .LBB1223_37
; %bb.36:
	v_lshlrev_b32_e32 v12, 3, v26
	global_load_dwordx2 v[12:13], v12, s[0:1]
.LBB1223_37:
	s_or_b64 exec, exec, s[10:11]
	v_or_b32_e32 v30, 0xc00, v0
	v_cmp_gt_u32_e32 vcc, s54, v30
                                        ; implicit-def: $vgpr26_vgpr27
	s_and_saveexec_b64 s[10:11], vcc
	s_cbranch_execz .LBB1223_39
; %bb.38:
	v_lshlrev_b32_e32 v26, 3, v30
	global_load_dwordx2 v[26:27], v26, s[0:1]
.LBB1223_39:
	s_or_b64 exec, exec, s[10:11]
	s_movk_i32 s0, 0xffd0
	v_mad_i32_i24 v30, v0, s0, v46
	s_waitcnt vmcnt(0)
	ds_write2st64_b64 v30, v[2:3], v[4:5] offset1:8
	ds_write2st64_b64 v30, v[6:7], v[8:9] offset0:16 offset1:24
	ds_write2st64_b64 v30, v[10:11], v[12:13] offset0:32 offset1:40
	ds_write_b64 v30, v[26:27] offset:24576
	s_waitcnt lgkmcnt(0)
	s_barrier
.LBB1223_40:
	ds_read2_b64 v[10:13], v46 offset1:1
	ds_read2_b64 v[6:9], v46 offset0:2 offset1:3
	ds_read2_b64 v[2:5], v46 offset0:4 offset1:5
	ds_read_b64 v[26:27], v46 offset:48
	s_cmp_lg_u32 s33, 0
	s_cselect_b64 s[0:1], -1, 0
	s_cmp_lg_u64 s[6:7], 0
	s_cselect_b64 s[6:7], -1, 0
	s_or_b64 s[6:7], s[6:7], s[0:1]
	v_add_u32_e32 v43, 1, v1
	v_add_u32_e32 v40, 2, v1
	;; [unrolled: 1-line block ×6, first 2 shown]
	s_mov_b64 s[10:11], 0
	s_and_b64 vcc, exec, s[6:7]
	v_cmp_gt_i64_e64 s[12:13], s[26:27], 0
	s_waitcnt lgkmcnt(0)
	s_barrier
	s_cbranch_vccz .LBB1223_49
; %bb.41:
	v_mov_b32_e32 v30, 0
	global_load_dwordx2 v[30:31], v30, s[4:5] offset:-8
	v_cndmask_b32_e64 v32, 0, 1, s[12:13]
	v_lshlrev_b32_e32 v47, 3, v0
	s_mov_b64 s[6:7], 0
	s_and_b64 vcc, exec, s[34:35]
	v_cmp_ne_u32_e64 s[4:5], 1, v32
	ds_write_b64 v47, v[28:29]
	s_cbranch_vccz .LBB1223_51
; %bb.42:
	v_mul_lo_u32 v34, v17, s26
	v_mul_lo_u32 v35, v16, s27
	v_mad_u64_u32 v[32:33], s[10:11], v16, s26, 0
	v_add3_u32 v33, v33, v35, v34
	s_and_b64 vcc, exec, s[4:5]
	v_lshl_add_u64 v[32:33], v[32:33], 1, s[36:37]
	s_cbranch_vccnz .LBB1223_54
; %bb.43:
	v_mul_lo_u32 v36, v29, s26
	v_mul_lo_u32 v37, v28, s27
	v_mad_u64_u32 v[34:35], s[6:7], v28, s26, 0
	v_add3_u32 v35, v35, v37, v36
	v_lshl_add_u64 v[34:35], v[34:35], 1, s[36:37]
	global_load_ushort v36, v[34:35], off
	global_load_ushort v37, v[32:33], off
	s_mov_b64 s[6:7], -1
	s_waitcnt vmcnt(1)
	v_lshlrev_b32_e32 v36, 16, v36
	s_waitcnt vmcnt(0)
	v_lshlrev_b32_e32 v37, 16, v37
	v_cmp_eq_f32_e32 vcc, v37, v36
	s_and_saveexec_b64 s[10:11], vcc
	s_cbranch_execz .LBB1223_53
; %bb.44:
	s_add_u32 s6, s26, -1
	v_lshl_add_u64 v[34:35], v[34:35], 0, 2
	v_lshl_add_u64 v[36:37], v[32:33], 0, 2
	s_addc_u32 s7, s27, -1
	s_mov_b64 s[12:13], 0
	s_mov_b64 s[16:17], 0
                                        ; implicit-def: $sgpr14_sgpr15
	s_branch .LBB1223_47
.LBB1223_45:                            ;   in Loop: Header=BB1223_47 Depth=1
	global_load_ushort v38, v[34:35], off
	global_load_ushort v39, v[36:37], off
	s_add_u32 s16, s16, 1
	s_addc_u32 s17, s17, 0
	s_andn2_b64 s[14:15], s[14:15], exec
	v_lshl_add_u64 v[34:35], v[34:35], 0, 2
	v_lshl_add_u64 v[36:37], v[36:37], 0, 2
	s_waitcnt vmcnt(1)
	v_lshlrev_b32_e32 v38, 16, v38
	s_waitcnt vmcnt(0)
	v_lshlrev_b32_e32 v39, 16, v39
	v_cmp_neq_f32_e32 vcc, v39, v38
	s_and_b64 s[40:41], vcc, exec
	s_or_b64 s[14:15], s[14:15], s[40:41]
.LBB1223_46:                            ;   in Loop: Header=BB1223_47 Depth=1
	s_and_b64 s[40:41], exec, s[14:15]
	s_or_b64 s[12:13], s[40:41], s[12:13]
	v_mov_b64_e32 v[38:39], s[16:17]
	s_andn2_b64 exec, exec, s[12:13]
	s_cbranch_execz .LBB1223_52
.LBB1223_47:                            ; =>This Inner Loop Header: Depth=1
	s_or_b64 s[14:15], s[14:15], exec
	s_cmp_eq_u64 s[6:7], s[16:17]
	s_cbranch_scc0 .LBB1223_45
; %bb.48:                               ;   in Loop: Header=BB1223_47 Depth=1
                                        ; implicit-def: $vgpr34_vgpr35
                                        ; implicit-def: $vgpr36_vgpr37
	s_mov_b64 s[16:17], s[26:27]
	s_branch .LBB1223_46
.LBB1223_49:
                                        ; implicit-def: $sgpr14_sgpr15
                                        ; implicit-def: $vgpr49
                                        ; implicit-def: $vgpr48
                                        ; implicit-def: $vgpr39
                                        ; implicit-def: $vgpr34
	s_branch .LBB1223_192
.LBB1223_50:
                                        ; implicit-def: $vgpr30_vgpr31
	s_branch .LBB1223_340
.LBB1223_51:
                                        ; implicit-def: $sgpr14_sgpr15
                                        ; implicit-def: $vgpr49
                                        ; implicit-def: $vgpr48
                                        ; implicit-def: $vgpr39
                                        ; implicit-def: $vgpr34
	s_cbranch_execnz .LBB1223_111
	s_branch .LBB1223_191
.LBB1223_52:
	s_or_b64 exec, exec, s[12:13]
	v_cmp_gt_i64_e32 vcc, s[26:27], v[38:39]
	s_orn2_b64 s[6:7], vcc, exec
.LBB1223_53:
	s_or_b64 exec, exec, s[10:11]
.LBB1223_54:
	v_mul_lo_u32 v36, v15, s26
	v_mul_lo_u32 v37, v14, s27
	v_mad_u64_u32 v[34:35], s[10:11], v14, s26, 0
	v_add3_u32 v35, v35, v37, v36
	s_mov_b64 s[10:11], 0
	s_and_b64 vcc, exec, s[4:5]
	v_lshl_add_u64 v[34:35], v[34:35], 1, s[36:37]
	s_mov_b64 s[12:13], 0
	s_cbranch_vccnz .LBB1223_63
; %bb.55:
	global_load_ushort v36, v[32:33], off
	global_load_ushort v37, v[34:35], off
	s_mov_b64 s[12:13], -1
	s_waitcnt vmcnt(1)
	v_lshlrev_b32_e32 v36, 16, v36
	s_waitcnt vmcnt(0)
	v_lshlrev_b32_e32 v37, 16, v37
	v_cmp_eq_f32_e32 vcc, v37, v36
	s_and_saveexec_b64 s[14:15], vcc
	s_cbranch_execz .LBB1223_62
; %bb.56:
	s_add_u32 s12, s26, -1
	v_lshl_add_u64 v[32:33], v[32:33], 0, 2
	v_lshl_add_u64 v[36:37], v[34:35], 0, 2
	s_addc_u32 s13, s27, -1
	s_mov_b64 s[16:17], 0
	s_mov_b64 s[42:43], 0
                                        ; implicit-def: $sgpr40_sgpr41
	s_branch .LBB1223_59
.LBB1223_57:                            ;   in Loop: Header=BB1223_59 Depth=1
	global_load_ushort v38, v[32:33], off
	global_load_ushort v39, v[36:37], off
	s_add_u32 s42, s42, 1
	s_addc_u32 s43, s43, 0
	s_andn2_b64 s[40:41], s[40:41], exec
	v_lshl_add_u64 v[32:33], v[32:33], 0, 2
	v_lshl_add_u64 v[36:37], v[36:37], 0, 2
	s_waitcnt vmcnt(1)
	v_lshlrev_b32_e32 v38, 16, v38
	s_waitcnt vmcnt(0)
	v_lshlrev_b32_e32 v39, 16, v39
	v_cmp_neq_f32_e32 vcc, v39, v38
	s_and_b64 s[44:45], vcc, exec
	s_or_b64 s[40:41], s[40:41], s[44:45]
.LBB1223_58:                            ;   in Loop: Header=BB1223_59 Depth=1
	s_and_b64 s[44:45], exec, s[40:41]
	s_or_b64 s[16:17], s[44:45], s[16:17]
	v_mov_b64_e32 v[38:39], s[42:43]
	s_andn2_b64 exec, exec, s[16:17]
	s_cbranch_execz .LBB1223_61
.LBB1223_59:                            ; =>This Inner Loop Header: Depth=1
	s_or_b64 s[40:41], s[40:41], exec
	s_cmp_eq_u64 s[12:13], s[42:43]
	s_cbranch_scc0 .LBB1223_57
; %bb.60:                               ;   in Loop: Header=BB1223_59 Depth=1
                                        ; implicit-def: $vgpr32_vgpr33
                                        ; implicit-def: $vgpr36_vgpr37
	s_mov_b64 s[42:43], s[26:27]
	s_branch .LBB1223_58
.LBB1223_61:
	s_or_b64 exec, exec, s[16:17]
	v_cmp_gt_i64_e32 vcc, s[26:27], v[38:39]
	s_orn2_b64 s[12:13], vcc, exec
.LBB1223_62:
	s_or_b64 exec, exec, s[14:15]
.LBB1223_63:
	v_mul_lo_u32 v36, v21, s26
	v_mul_lo_u32 v37, v20, s27
	v_mad_u64_u32 v[32:33], s[14:15], v20, s26, 0
	v_add3_u32 v33, v33, v37, v36
	s_and_b64 vcc, exec, s[4:5]
	v_lshl_add_u64 v[32:33], v[32:33], 1, s[36:37]
	s_cbranch_vccnz .LBB1223_72
; %bb.64:
	global_load_ushort v36, v[34:35], off
	global_load_ushort v37, v[32:33], off
	s_mov_b64 s[10:11], -1
	s_waitcnt vmcnt(1)
	v_lshlrev_b32_e32 v36, 16, v36
	s_waitcnt vmcnt(0)
	v_lshlrev_b32_e32 v37, 16, v37
	v_cmp_eq_f32_e32 vcc, v37, v36
	s_and_saveexec_b64 s[14:15], vcc
	s_cbranch_execz .LBB1223_71
; %bb.65:
	s_add_u32 s10, s26, -1
	v_lshl_add_u64 v[34:35], v[34:35], 0, 2
	v_lshl_add_u64 v[36:37], v[32:33], 0, 2
	s_addc_u32 s11, s27, -1
	s_mov_b64 s[16:17], 0
	s_mov_b64 s[42:43], 0
                                        ; implicit-def: $sgpr40_sgpr41
	s_branch .LBB1223_68
.LBB1223_66:                            ;   in Loop: Header=BB1223_68 Depth=1
	global_load_ushort v38, v[34:35], off
	global_load_ushort v39, v[36:37], off
	s_add_u32 s42, s42, 1
	s_addc_u32 s43, s43, 0
	s_andn2_b64 s[40:41], s[40:41], exec
	v_lshl_add_u64 v[34:35], v[34:35], 0, 2
	v_lshl_add_u64 v[36:37], v[36:37], 0, 2
	s_waitcnt vmcnt(1)
	v_lshlrev_b32_e32 v38, 16, v38
	s_waitcnt vmcnt(0)
	v_lshlrev_b32_e32 v39, 16, v39
	v_cmp_neq_f32_e32 vcc, v39, v38
	s_and_b64 s[44:45], vcc, exec
	s_or_b64 s[40:41], s[40:41], s[44:45]
.LBB1223_67:                            ;   in Loop: Header=BB1223_68 Depth=1
	s_and_b64 s[44:45], exec, s[40:41]
	s_or_b64 s[16:17], s[44:45], s[16:17]
	v_mov_b64_e32 v[38:39], s[42:43]
	s_andn2_b64 exec, exec, s[16:17]
	s_cbranch_execz .LBB1223_70
.LBB1223_68:                            ; =>This Inner Loop Header: Depth=1
	s_or_b64 s[40:41], s[40:41], exec
	s_cmp_eq_u64 s[10:11], s[42:43]
	s_cbranch_scc0 .LBB1223_66
; %bb.69:                               ;   in Loop: Header=BB1223_68 Depth=1
                                        ; implicit-def: $vgpr34_vgpr35
                                        ; implicit-def: $vgpr36_vgpr37
	s_mov_b64 s[42:43], s[26:27]
	s_branch .LBB1223_67
.LBB1223_70:
	s_or_b64 exec, exec, s[16:17]
	v_cmp_gt_i64_e32 vcc, s[26:27], v[38:39]
	s_orn2_b64 s[10:11], vcc, exec
.LBB1223_71:
	s_or_b64 exec, exec, s[14:15]
.LBB1223_72:
	v_mul_lo_u32 v36, v19, s26
	v_mul_lo_u32 v37, v18, s27
	v_mad_u64_u32 v[34:35], s[14:15], v18, s26, 0
	v_add3_u32 v35, v35, v37, v36
	s_mov_b64 s[14:15], 0
	s_and_b64 vcc, exec, s[4:5]
	v_lshl_add_u64 v[36:37], v[34:35], 1, s[36:37]
	s_mov_b64 s[16:17], 0
	s_cbranch_vccnz .LBB1223_81
; %bb.73:
	global_load_ushort v34, v[32:33], off
	global_load_ushort v35, v[36:37], off
	s_mov_b64 s[16:17], -1
	s_waitcnt vmcnt(1)
	v_lshlrev_b32_e32 v34, 16, v34
	s_waitcnt vmcnt(0)
	v_lshlrev_b32_e32 v35, 16, v35
	v_cmp_eq_f32_e32 vcc, v35, v34
	s_and_saveexec_b64 s[40:41], vcc
	s_cbranch_execz .LBB1223_80
; %bb.74:
	s_add_u32 s16, s26, -1
	v_lshl_add_u64 v[32:33], v[32:33], 0, 2
	v_lshl_add_u64 v[34:35], v[36:37], 0, 2
	s_addc_u32 s17, s27, -1
	s_mov_b64 s[42:43], 0
	s_mov_b64 s[46:47], 0
                                        ; implicit-def: $sgpr44_sgpr45
	s_branch .LBB1223_77
.LBB1223_75:                            ;   in Loop: Header=BB1223_77 Depth=1
	global_load_ushort v38, v[32:33], off
	global_load_ushort v39, v[34:35], off
	s_add_u32 s46, s46, 1
	s_addc_u32 s47, s47, 0
	s_andn2_b64 s[44:45], s[44:45], exec
	v_lshl_add_u64 v[32:33], v[32:33], 0, 2
	v_lshl_add_u64 v[34:35], v[34:35], 0, 2
	s_waitcnt vmcnt(1)
	v_lshlrev_b32_e32 v38, 16, v38
	s_waitcnt vmcnt(0)
	v_lshlrev_b32_e32 v39, 16, v39
	v_cmp_neq_f32_e32 vcc, v39, v38
	s_and_b64 s[48:49], vcc, exec
	s_or_b64 s[44:45], s[44:45], s[48:49]
.LBB1223_76:                            ;   in Loop: Header=BB1223_77 Depth=1
	s_and_b64 s[48:49], exec, s[44:45]
	s_or_b64 s[42:43], s[48:49], s[42:43]
	v_mov_b64_e32 v[38:39], s[46:47]
	s_andn2_b64 exec, exec, s[42:43]
	s_cbranch_execz .LBB1223_79
.LBB1223_77:                            ; =>This Inner Loop Header: Depth=1
	s_or_b64 s[44:45], s[44:45], exec
	s_cmp_eq_u64 s[16:17], s[46:47]
	s_cbranch_scc0 .LBB1223_75
; %bb.78:                               ;   in Loop: Header=BB1223_77 Depth=1
                                        ; implicit-def: $vgpr32_vgpr33
                                        ; implicit-def: $vgpr34_vgpr35
	s_mov_b64 s[46:47], s[26:27]
	s_branch .LBB1223_76
.LBB1223_79:
	s_or_b64 exec, exec, s[42:43]
	v_cmp_gt_i64_e32 vcc, s[26:27], v[38:39]
	s_orn2_b64 s[16:17], vcc, exec
.LBB1223_80:
	s_or_b64 exec, exec, s[40:41]
.LBB1223_81:
	v_mul_lo_u32 v34, v25, s26
	v_mul_lo_u32 v35, v24, s27
	v_mad_u64_u32 v[32:33], s[40:41], v24, s26, 0
	v_add3_u32 v33, v33, v35, v34
	s_and_b64 vcc, exec, s[4:5]
	v_lshl_add_u64 v[34:35], v[32:33], 1, s[36:37]
	s_cbranch_vccnz .LBB1223_90
; %bb.82:
	global_load_ushort v32, v[36:37], off
	global_load_ushort v33, v[34:35], off
	s_mov_b64 s[14:15], -1
	s_waitcnt vmcnt(1)
	v_lshlrev_b32_e32 v32, 16, v32
	s_waitcnt vmcnt(0)
	v_lshlrev_b32_e32 v33, 16, v33
	v_cmp_eq_f32_e32 vcc, v33, v32
	s_and_saveexec_b64 s[40:41], vcc
	s_cbranch_execz .LBB1223_89
; %bb.83:
	s_add_u32 s14, s26, -1
	v_lshl_add_u64 v[32:33], v[36:37], 0, 2
	v_lshl_add_u64 v[36:37], v[34:35], 0, 2
	s_addc_u32 s15, s27, -1
	s_mov_b64 s[42:43], 0
	s_mov_b64 s[46:47], 0
                                        ; implicit-def: $sgpr44_sgpr45
	s_branch .LBB1223_86
.LBB1223_84:                            ;   in Loop: Header=BB1223_86 Depth=1
	global_load_ushort v38, v[32:33], off
	global_load_ushort v39, v[36:37], off
	s_add_u32 s46, s46, 1
	s_addc_u32 s47, s47, 0
	s_andn2_b64 s[44:45], s[44:45], exec
	v_lshl_add_u64 v[32:33], v[32:33], 0, 2
	v_lshl_add_u64 v[36:37], v[36:37], 0, 2
	s_waitcnt vmcnt(1)
	v_lshlrev_b32_e32 v38, 16, v38
	s_waitcnt vmcnt(0)
	v_lshlrev_b32_e32 v39, 16, v39
	v_cmp_neq_f32_e32 vcc, v39, v38
	s_and_b64 s[48:49], vcc, exec
	s_or_b64 s[44:45], s[44:45], s[48:49]
.LBB1223_85:                            ;   in Loop: Header=BB1223_86 Depth=1
	s_and_b64 s[48:49], exec, s[44:45]
	s_or_b64 s[42:43], s[48:49], s[42:43]
	v_mov_b64_e32 v[38:39], s[46:47]
	s_andn2_b64 exec, exec, s[42:43]
	s_cbranch_execz .LBB1223_88
.LBB1223_86:                            ; =>This Inner Loop Header: Depth=1
	s_or_b64 s[44:45], s[44:45], exec
	s_cmp_eq_u64 s[14:15], s[46:47]
	s_cbranch_scc0 .LBB1223_84
; %bb.87:                               ;   in Loop: Header=BB1223_86 Depth=1
                                        ; implicit-def: $vgpr32_vgpr33
                                        ; implicit-def: $vgpr36_vgpr37
	s_mov_b64 s[46:47], s[26:27]
	s_branch .LBB1223_85
.LBB1223_88:
	s_or_b64 exec, exec, s[42:43]
	v_cmp_gt_i64_e32 vcc, s[26:27], v[38:39]
	s_orn2_b64 s[14:15], vcc, exec
.LBB1223_89:
	s_or_b64 exec, exec, s[40:41]
.LBB1223_90:
	v_mul_lo_u32 v36, v23, s26
	v_mul_lo_u32 v37, v22, s27
	v_mad_u64_u32 v[32:33], s[40:41], v22, s26, 0
	v_add3_u32 v33, v33, v37, v36
	s_mov_b64 s[42:43], 0
	s_and_b64 vcc, exec, s[4:5]
	v_lshl_add_u64 v[32:33], v[32:33], 1, s[36:37]
	s_cbranch_vccnz .LBB1223_99
; %bb.91:
	global_load_ushort v36, v[34:35], off
	global_load_ushort v37, v[32:33], off
	s_mov_b64 s[42:43], -1
	s_waitcnt vmcnt(1)
	v_lshlrev_b32_e32 v36, 16, v36
	s_waitcnt vmcnt(0)
	v_lshlrev_b32_e32 v37, 16, v37
	v_cmp_eq_f32_e32 vcc, v37, v36
	s_and_saveexec_b64 s[40:41], vcc
	s_cbranch_execz .LBB1223_98
; %bb.92:
	s_add_u32 s42, s26, -1
	v_lshl_add_u64 v[34:35], v[34:35], 0, 2
	v_lshl_add_u64 v[36:37], v[32:33], 0, 2
	s_addc_u32 s43, s27, -1
	s_mov_b64 s[44:45], 0
	s_mov_b64 s[48:49], 0
                                        ; implicit-def: $sgpr46_sgpr47
	s_branch .LBB1223_95
.LBB1223_93:                            ;   in Loop: Header=BB1223_95 Depth=1
	global_load_ushort v38, v[34:35], off
	global_load_ushort v39, v[36:37], off
	s_add_u32 s48, s48, 1
	s_addc_u32 s49, s49, 0
	s_andn2_b64 s[46:47], s[46:47], exec
	v_lshl_add_u64 v[34:35], v[34:35], 0, 2
	v_lshl_add_u64 v[36:37], v[36:37], 0, 2
	s_waitcnt vmcnt(1)
	v_lshlrev_b32_e32 v38, 16, v38
	s_waitcnt vmcnt(0)
	v_lshlrev_b32_e32 v39, 16, v39
	v_cmp_neq_f32_e32 vcc, v39, v38
	s_and_b64 s[50:51], vcc, exec
	s_or_b64 s[46:47], s[46:47], s[50:51]
.LBB1223_94:                            ;   in Loop: Header=BB1223_95 Depth=1
	s_and_b64 s[50:51], exec, s[46:47]
	s_or_b64 s[44:45], s[50:51], s[44:45]
	v_mov_b64_e32 v[38:39], s[48:49]
	s_andn2_b64 exec, exec, s[44:45]
	s_cbranch_execz .LBB1223_97
.LBB1223_95:                            ; =>This Inner Loop Header: Depth=1
	s_or_b64 s[46:47], s[46:47], exec
	s_cmp_eq_u64 s[42:43], s[48:49]
	s_cbranch_scc0 .LBB1223_93
; %bb.96:                               ;   in Loop: Header=BB1223_95 Depth=1
                                        ; implicit-def: $vgpr34_vgpr35
                                        ; implicit-def: $vgpr36_vgpr37
	s_mov_b64 s[48:49], s[26:27]
	s_branch .LBB1223_94
.LBB1223_97:
	s_or_b64 exec, exec, s[44:45]
	v_cmp_gt_i64_e32 vcc, s[26:27], v[38:39]
	s_orn2_b64 s[42:43], vcc, exec
.LBB1223_98:
	s_or_b64 exec, exec, s[40:41]
.LBB1223_99:
	s_waitcnt vmcnt(0)
	v_mov_b64_e32 v[34:35], v[30:31]
	s_waitcnt lgkmcnt(0)
	s_barrier
	s_and_saveexec_b64 s[40:41], s[2:3]
	s_cbranch_execz .LBB1223_101
; %bb.100:
	v_add_u32_e32 v34, -8, v47
	ds_read_b64 v[34:35], v34
.LBB1223_101:
	s_or_b64 exec, exec, s[40:41]
	v_cndmask_b32_e64 v37, 0, 1, s[16:17]
	v_cndmask_b32_e64 v36, 0, 1, s[14:15]
	;; [unrolled: 1-line block ×3, first 2 shown]
	v_lshlrev_b16_e32 v37, 8, v37
	v_lshlrev_b16_e32 v38, 8, v38
	v_or_b32_sdwa v50, v36, v37 dst_sel:WORD_1 dst_unused:UNUSED_PAD src0_sel:DWORD src1_sel:DWORD
	s_mov_b64 s[16:17], 0
	s_and_b64 vcc, exec, s[4:5]
	s_mov_b64 s[14:15], 0
	s_cbranch_vccnz .LBB1223_110
; %bb.102:
	s_waitcnt lgkmcnt(0)
	v_mul_lo_u32 v36, v35, s26
	v_mul_lo_u32 v37, v34, s27
	v_mad_u64_u32 v[34:35], s[14:15], v34, s26, 0
	v_add3_u32 v35, v35, v37, v36
	v_lshl_add_u64 v[34:35], v[34:35], 1, s[36:37]
	global_load_ushort v36, v[34:35], off
	global_load_ushort v37, v[32:33], off
	s_mov_b64 s[14:15], -1
	s_waitcnt vmcnt(1)
	v_lshlrev_b32_e32 v36, 16, v36
	s_waitcnt vmcnt(0)
	v_lshlrev_b32_e32 v37, 16, v37
	v_cmp_eq_f32_e32 vcc, v36, v37
	s_and_saveexec_b64 s[40:41], vcc
	s_cbranch_execz .LBB1223_109
; %bb.103:
	s_add_u32 s14, s26, -1
	v_lshl_add_u64 v[32:33], v[32:33], 0, 2
	v_lshl_add_u64 v[34:35], v[34:35], 0, 2
	s_addc_u32 s15, s27, -1
	s_mov_b64 s[42:43], 0
	s_mov_b64 s[46:47], 0
                                        ; implicit-def: $sgpr44_sgpr45
	s_branch .LBB1223_106
.LBB1223_104:                           ;   in Loop: Header=BB1223_106 Depth=1
	global_load_ushort v36, v[32:33], off
	global_load_ushort v37, v[34:35], off
	s_add_u32 s46, s46, 1
	s_addc_u32 s47, s47, 0
	s_andn2_b64 s[44:45], s[44:45], exec
	v_lshl_add_u64 v[32:33], v[32:33], 0, 2
	v_lshl_add_u64 v[34:35], v[34:35], 0, 2
	s_waitcnt vmcnt(1)
	v_lshlrev_b32_e32 v36, 16, v36
	s_waitcnt vmcnt(0)
	v_lshlrev_b32_e32 v37, 16, v37
	v_cmp_neq_f32_e32 vcc, v37, v36
	s_and_b64 s[48:49], vcc, exec
	s_or_b64 s[44:45], s[44:45], s[48:49]
.LBB1223_105:                           ;   in Loop: Header=BB1223_106 Depth=1
	s_and_b64 s[48:49], exec, s[44:45]
	s_or_b64 s[42:43], s[48:49], s[42:43]
	v_mov_b64_e32 v[36:37], s[46:47]
	s_andn2_b64 exec, exec, s[42:43]
	s_cbranch_execz .LBB1223_108
.LBB1223_106:                           ; =>This Inner Loop Header: Depth=1
	s_or_b64 s[44:45], s[44:45], exec
	s_cmp_eq_u64 s[14:15], s[46:47]
	s_cbranch_scc0 .LBB1223_104
; %bb.107:                              ;   in Loop: Header=BB1223_106 Depth=1
                                        ; implicit-def: $vgpr32_vgpr33
                                        ; implicit-def: $vgpr34_vgpr35
	s_mov_b64 s[46:47], s[26:27]
	s_branch .LBB1223_105
.LBB1223_108:
	s_or_b64 exec, exec, s[42:43]
	v_cmp_gt_i64_e32 vcc, s[26:27], v[36:37]
	s_orn2_b64 s[14:15], vcc, exec
.LBB1223_109:
	s_or_b64 exec, exec, s[40:41]
.LBB1223_110:
	v_cndmask_b32_e64 v39, 0, 1, s[10:11]
	v_cndmask_b32_e64 v48, 0, 1, s[12:13]
	;; [unrolled: 1-line block ×3, first 2 shown]
	s_waitcnt lgkmcnt(0)
	v_or_b32_e32 v34, v38, v50
	s_and_b64 vcc, exec, s[16:17]
	s_cbranch_vccz .LBB1223_191
.LBB1223_111:
	v_cmp_gt_u32_e32 vcc, s54, v42
	s_mov_b64 s[10:11], 0
	s_mov_b64 s[6:7], 0
	s_and_saveexec_b64 s[12:13], vcc
	s_cbranch_execz .LBB1223_122
; %bb.112:
	s_and_b64 vcc, exec, s[4:5]
	s_mov_b64 s[14:15], 0
	s_cbranch_vccnz .LBB1223_121
; %bb.113:
	v_mul_lo_u32 v34, v17, s26
	v_mul_lo_u32 v35, v16, s27
	v_mad_u64_u32 v[32:33], s[6:7], v16, s26, 0
	v_add3_u32 v33, v33, v35, v34
	v_mul_lo_u32 v34, v29, s26
	v_mul_lo_u32 v35, v28, s27
	v_mad_u64_u32 v[36:37], s[6:7], v28, s26, 0
	v_add3_u32 v37, v37, v35, v34
	v_lshl_add_u64 v[34:35], v[32:33], 1, s[36:37]
	v_lshl_add_u64 v[32:33], v[36:37], 1, s[36:37]
	global_load_ushort v36, v[32:33], off
	global_load_ushort v37, v[34:35], off
	s_mov_b64 s[14:15], -1
	s_waitcnt vmcnt(1)
	v_lshlrev_b32_e32 v36, 16, v36
	s_waitcnt vmcnt(0)
	v_lshlrev_b32_e32 v37, 16, v37
	v_cmp_eq_f32_e32 vcc, v37, v36
	s_and_saveexec_b64 s[6:7], vcc
	s_cbranch_execz .LBB1223_120
; %bb.114:
	s_add_u32 s14, s26, -1
	v_lshl_add_u64 v[32:33], v[32:33], 0, 2
	v_lshl_add_u64 v[34:35], v[34:35], 0, 2
	s_addc_u32 s15, s27, -1
	s_mov_b64 s[16:17], 0
	s_mov_b64 s[42:43], 0
                                        ; implicit-def: $sgpr40_sgpr41
	s_branch .LBB1223_117
.LBB1223_115:                           ;   in Loop: Header=BB1223_117 Depth=1
	global_load_ushort v36, v[32:33], off
	global_load_ushort v37, v[34:35], off
	s_add_u32 s42, s42, 1
	s_addc_u32 s43, s43, 0
	s_andn2_b64 s[40:41], s[40:41], exec
	v_lshl_add_u64 v[32:33], v[32:33], 0, 2
	v_lshl_add_u64 v[34:35], v[34:35], 0, 2
	s_waitcnt vmcnt(1)
	v_lshlrev_b32_e32 v36, 16, v36
	s_waitcnt vmcnt(0)
	v_lshlrev_b32_e32 v37, 16, v37
	v_cmp_neq_f32_e32 vcc, v37, v36
	s_and_b64 s[44:45], vcc, exec
	s_or_b64 s[40:41], s[40:41], s[44:45]
.LBB1223_116:                           ;   in Loop: Header=BB1223_117 Depth=1
	s_and_b64 s[44:45], exec, s[40:41]
	s_or_b64 s[16:17], s[44:45], s[16:17]
	v_mov_b64_e32 v[36:37], s[42:43]
	s_andn2_b64 exec, exec, s[16:17]
	s_cbranch_execz .LBB1223_119
.LBB1223_117:                           ; =>This Inner Loop Header: Depth=1
	s_or_b64 s[40:41], s[40:41], exec
	s_cmp_eq_u64 s[14:15], s[42:43]
	s_cbranch_scc0 .LBB1223_115
; %bb.118:                              ;   in Loop: Header=BB1223_117 Depth=1
                                        ; implicit-def: $vgpr32_vgpr33
                                        ; implicit-def: $vgpr34_vgpr35
	s_mov_b64 s[42:43], s[26:27]
	s_branch .LBB1223_116
.LBB1223_119:
	s_or_b64 exec, exec, s[16:17]
	v_cmp_gt_i64_e32 vcc, s[26:27], v[36:37]
	s_orn2_b64 s[14:15], vcc, exec
.LBB1223_120:
	s_or_b64 exec, exec, s[6:7]
.LBB1223_121:
	s_and_b64 s[6:7], s[14:15], exec
.LBB1223_122:
	s_or_b64 exec, exec, s[12:13]
	v_cmp_gt_u32_e32 vcc, s54, v45
	s_and_saveexec_b64 s[12:13], vcc
	s_cbranch_execz .LBB1223_133
; %bb.123:
	s_and_b64 vcc, exec, s[4:5]
	s_mov_b64 s[14:15], 0
	s_cbranch_vccnz .LBB1223_132
; %bb.124:
	v_mul_lo_u32 v34, v15, s26
	v_mul_lo_u32 v35, v14, s27
	v_mad_u64_u32 v[32:33], s[10:11], v14, s26, 0
	v_add3_u32 v33, v33, v35, v34
	v_mul_lo_u32 v34, v17, s26
	v_mul_lo_u32 v35, v16, s27
	v_mad_u64_u32 v[36:37], s[10:11], v16, s26, 0
	v_add3_u32 v37, v37, v35, v34
	v_lshl_add_u64 v[34:35], v[32:33], 1, s[36:37]
	v_lshl_add_u64 v[32:33], v[36:37], 1, s[36:37]
	global_load_ushort v36, v[32:33], off
	global_load_ushort v37, v[34:35], off
	s_mov_b64 s[14:15], -1
	s_waitcnt vmcnt(1)
	v_lshlrev_b32_e32 v36, 16, v36
	s_waitcnt vmcnt(0)
	v_lshlrev_b32_e32 v37, 16, v37
	v_cmp_eq_f32_e32 vcc, v37, v36
	s_and_saveexec_b64 s[10:11], vcc
	s_cbranch_execz .LBB1223_131
; %bb.125:
	s_add_u32 s14, s26, -1
	v_lshl_add_u64 v[32:33], v[32:33], 0, 2
	v_lshl_add_u64 v[34:35], v[34:35], 0, 2
	s_addc_u32 s15, s27, -1
	s_mov_b64 s[16:17], 0
	s_mov_b64 s[42:43], 0
                                        ; implicit-def: $sgpr40_sgpr41
	s_branch .LBB1223_128
.LBB1223_126:                           ;   in Loop: Header=BB1223_128 Depth=1
	global_load_ushort v36, v[32:33], off
	global_load_ushort v37, v[34:35], off
	s_add_u32 s42, s42, 1
	s_addc_u32 s43, s43, 0
	s_andn2_b64 s[40:41], s[40:41], exec
	v_lshl_add_u64 v[32:33], v[32:33], 0, 2
	v_lshl_add_u64 v[34:35], v[34:35], 0, 2
	s_waitcnt vmcnt(1)
	v_lshlrev_b32_e32 v36, 16, v36
	s_waitcnt vmcnt(0)
	v_lshlrev_b32_e32 v37, 16, v37
	v_cmp_neq_f32_e32 vcc, v37, v36
	s_and_b64 s[44:45], vcc, exec
	s_or_b64 s[40:41], s[40:41], s[44:45]
.LBB1223_127:                           ;   in Loop: Header=BB1223_128 Depth=1
	s_and_b64 s[44:45], exec, s[40:41]
	s_or_b64 s[16:17], s[44:45], s[16:17]
	v_mov_b64_e32 v[36:37], s[42:43]
	s_andn2_b64 exec, exec, s[16:17]
	s_cbranch_execz .LBB1223_130
.LBB1223_128:                           ; =>This Inner Loop Header: Depth=1
	s_or_b64 s[40:41], s[40:41], exec
	s_cmp_eq_u64 s[14:15], s[42:43]
	s_cbranch_scc0 .LBB1223_126
; %bb.129:                              ;   in Loop: Header=BB1223_128 Depth=1
                                        ; implicit-def: $vgpr32_vgpr33
                                        ; implicit-def: $vgpr34_vgpr35
	s_mov_b64 s[42:43], s[26:27]
	s_branch .LBB1223_127
.LBB1223_130:
	s_or_b64 exec, exec, s[16:17]
	v_cmp_gt_i64_e32 vcc, s[26:27], v[36:37]
	s_orn2_b64 s[14:15], vcc, exec
.LBB1223_131:
	s_or_b64 exec, exec, s[10:11]
.LBB1223_132:
	s_and_b64 s[10:11], s[14:15], exec
.LBB1223_133:
	s_or_b64 exec, exec, s[12:13]
	v_cmp_gt_u32_e32 vcc, s54, v41
	s_mov_b64 s[14:15], 0
	s_mov_b64 s[12:13], 0
	s_and_saveexec_b64 s[16:17], vcc
	s_cbranch_execz .LBB1223_144
; %bb.134:
	s_and_b64 vcc, exec, s[4:5]
	s_mov_b64 s[40:41], 0
	s_cbranch_vccnz .LBB1223_143
; %bb.135:
	v_mul_lo_u32 v34, v21, s26
	v_mul_lo_u32 v35, v20, s27
	v_mad_u64_u32 v[32:33], s[12:13], v20, s26, 0
	v_add3_u32 v33, v33, v35, v34
	v_mul_lo_u32 v34, v15, s26
	v_mul_lo_u32 v35, v14, s27
	v_mad_u64_u32 v[36:37], s[12:13], v14, s26, 0
	v_add3_u32 v37, v37, v35, v34
	v_lshl_add_u64 v[34:35], v[32:33], 1, s[36:37]
	v_lshl_add_u64 v[32:33], v[36:37], 1, s[36:37]
	global_load_ushort v36, v[32:33], off
	global_load_ushort v37, v[34:35], off
	s_mov_b64 s[40:41], -1
	s_waitcnt vmcnt(1)
	v_lshlrev_b32_e32 v36, 16, v36
	s_waitcnt vmcnt(0)
	v_lshlrev_b32_e32 v37, 16, v37
	v_cmp_eq_f32_e32 vcc, v37, v36
	s_and_saveexec_b64 s[12:13], vcc
	s_cbranch_execz .LBB1223_142
; %bb.136:
	s_add_u32 s40, s26, -1
	v_lshl_add_u64 v[32:33], v[32:33], 0, 2
	v_lshl_add_u64 v[34:35], v[34:35], 0, 2
	s_addc_u32 s41, s27, -1
	s_mov_b64 s[42:43], 0
	s_mov_b64 s[46:47], 0
                                        ; implicit-def: $sgpr44_sgpr45
	s_branch .LBB1223_139
.LBB1223_137:                           ;   in Loop: Header=BB1223_139 Depth=1
	global_load_ushort v36, v[32:33], off
	global_load_ushort v37, v[34:35], off
	s_add_u32 s46, s46, 1
	s_addc_u32 s47, s47, 0
	s_andn2_b64 s[44:45], s[44:45], exec
	v_lshl_add_u64 v[32:33], v[32:33], 0, 2
	v_lshl_add_u64 v[34:35], v[34:35], 0, 2
	s_waitcnt vmcnt(1)
	v_lshlrev_b32_e32 v36, 16, v36
	s_waitcnt vmcnt(0)
	v_lshlrev_b32_e32 v37, 16, v37
	v_cmp_neq_f32_e32 vcc, v37, v36
	s_and_b64 s[48:49], vcc, exec
	s_or_b64 s[44:45], s[44:45], s[48:49]
.LBB1223_138:                           ;   in Loop: Header=BB1223_139 Depth=1
	s_and_b64 s[48:49], exec, s[44:45]
	s_or_b64 s[42:43], s[48:49], s[42:43]
	v_mov_b64_e32 v[36:37], s[46:47]
	s_andn2_b64 exec, exec, s[42:43]
	s_cbranch_execz .LBB1223_141
.LBB1223_139:                           ; =>This Inner Loop Header: Depth=1
	s_or_b64 s[44:45], s[44:45], exec
	s_cmp_eq_u64 s[40:41], s[46:47]
	s_cbranch_scc0 .LBB1223_137
; %bb.140:                              ;   in Loop: Header=BB1223_139 Depth=1
                                        ; implicit-def: $vgpr32_vgpr33
                                        ; implicit-def: $vgpr34_vgpr35
	s_mov_b64 s[46:47], s[26:27]
	s_branch .LBB1223_138
.LBB1223_141:
	s_or_b64 exec, exec, s[42:43]
	v_cmp_gt_i64_e32 vcc, s[26:27], v[36:37]
	s_orn2_b64 s[40:41], vcc, exec
.LBB1223_142:
	s_or_b64 exec, exec, s[12:13]
.LBB1223_143:
	s_and_b64 s[12:13], s[40:41], exec
.LBB1223_144:
	s_or_b64 exec, exec, s[16:17]
	v_cmp_gt_u32_e32 vcc, s54, v44
	s_and_saveexec_b64 s[16:17], vcc
	s_cbranch_execz .LBB1223_155
; %bb.145:
	s_and_b64 vcc, exec, s[4:5]
	s_mov_b64 s[40:41], 0
	s_cbranch_vccnz .LBB1223_154
; %bb.146:
	v_mul_lo_u32 v34, v19, s26
	v_mul_lo_u32 v35, v18, s27
	v_mad_u64_u32 v[32:33], s[14:15], v18, s26, 0
	v_add3_u32 v33, v33, v35, v34
	v_mul_lo_u32 v34, v21, s26
	v_mul_lo_u32 v35, v20, s27
	v_mad_u64_u32 v[36:37], s[14:15], v20, s26, 0
	v_add3_u32 v37, v37, v35, v34
	v_lshl_add_u64 v[34:35], v[32:33], 1, s[36:37]
	v_lshl_add_u64 v[32:33], v[36:37], 1, s[36:37]
	global_load_ushort v36, v[32:33], off
	global_load_ushort v37, v[34:35], off
	s_mov_b64 s[40:41], -1
	s_waitcnt vmcnt(1)
	v_lshlrev_b32_e32 v36, 16, v36
	s_waitcnt vmcnt(0)
	v_lshlrev_b32_e32 v37, 16, v37
	v_cmp_eq_f32_e32 vcc, v37, v36
	s_and_saveexec_b64 s[14:15], vcc
	s_cbranch_execz .LBB1223_153
; %bb.147:
	s_add_u32 s40, s26, -1
	v_lshl_add_u64 v[32:33], v[32:33], 0, 2
	v_lshl_add_u64 v[34:35], v[34:35], 0, 2
	s_addc_u32 s41, s27, -1
	s_mov_b64 s[42:43], 0
	s_mov_b64 s[46:47], 0
                                        ; implicit-def: $sgpr44_sgpr45
	s_branch .LBB1223_150
.LBB1223_148:                           ;   in Loop: Header=BB1223_150 Depth=1
	global_load_ushort v36, v[32:33], off
	global_load_ushort v37, v[34:35], off
	s_add_u32 s46, s46, 1
	s_addc_u32 s47, s47, 0
	s_andn2_b64 s[44:45], s[44:45], exec
	v_lshl_add_u64 v[32:33], v[32:33], 0, 2
	v_lshl_add_u64 v[34:35], v[34:35], 0, 2
	s_waitcnt vmcnt(1)
	v_lshlrev_b32_e32 v36, 16, v36
	s_waitcnt vmcnt(0)
	v_lshlrev_b32_e32 v37, 16, v37
	v_cmp_neq_f32_e32 vcc, v37, v36
	s_and_b64 s[48:49], vcc, exec
	s_or_b64 s[44:45], s[44:45], s[48:49]
.LBB1223_149:                           ;   in Loop: Header=BB1223_150 Depth=1
	s_and_b64 s[48:49], exec, s[44:45]
	s_or_b64 s[42:43], s[48:49], s[42:43]
	v_mov_b64_e32 v[36:37], s[46:47]
	s_andn2_b64 exec, exec, s[42:43]
	s_cbranch_execz .LBB1223_152
.LBB1223_150:                           ; =>This Inner Loop Header: Depth=1
	s_or_b64 s[44:45], s[44:45], exec
	s_cmp_eq_u64 s[40:41], s[46:47]
	s_cbranch_scc0 .LBB1223_148
; %bb.151:                              ;   in Loop: Header=BB1223_150 Depth=1
                                        ; implicit-def: $vgpr32_vgpr33
                                        ; implicit-def: $vgpr34_vgpr35
	s_mov_b64 s[46:47], s[26:27]
	s_branch .LBB1223_149
.LBB1223_152:
	s_or_b64 exec, exec, s[42:43]
	v_cmp_gt_i64_e32 vcc, s[26:27], v[36:37]
	s_orn2_b64 s[40:41], vcc, exec
.LBB1223_153:
	s_or_b64 exec, exec, s[14:15]
.LBB1223_154:
	s_and_b64 s[14:15], s[40:41], exec
.LBB1223_155:
	s_or_b64 exec, exec, s[16:17]
	v_cmp_gt_u32_e32 vcc, s54, v40
	s_mov_b64 s[16:17], 0
	s_mov_b64 s[40:41], 0
	s_and_saveexec_b64 s[42:43], vcc
	s_cbranch_execz .LBB1223_166
; %bb.156:
	s_and_b64 vcc, exec, s[4:5]
	s_mov_b64 s[44:45], 0
	s_cbranch_vccnz .LBB1223_165
; %bb.157:
	v_mul_lo_u32 v34, v25, s26
	v_mul_lo_u32 v35, v24, s27
	v_mad_u64_u32 v[32:33], s[40:41], v24, s26, 0
	v_add3_u32 v33, v33, v35, v34
	v_mul_lo_u32 v34, v19, s26
	v_mul_lo_u32 v35, v18, s27
	v_mad_u64_u32 v[36:37], s[40:41], v18, s26, 0
	v_add3_u32 v37, v37, v35, v34
	v_lshl_add_u64 v[34:35], v[32:33], 1, s[36:37]
	v_lshl_add_u64 v[32:33], v[36:37], 1, s[36:37]
	global_load_ushort v36, v[32:33], off
	global_load_ushort v37, v[34:35], off
	s_mov_b64 s[44:45], -1
	s_waitcnt vmcnt(1)
	v_lshlrev_b32_e32 v36, 16, v36
	s_waitcnt vmcnt(0)
	v_lshlrev_b32_e32 v37, 16, v37
	v_cmp_eq_f32_e32 vcc, v37, v36
	s_and_saveexec_b64 s[40:41], vcc
	s_cbranch_execz .LBB1223_164
; %bb.158:
	s_add_u32 s44, s26, -1
	v_lshl_add_u64 v[32:33], v[32:33], 0, 2
	v_lshl_add_u64 v[34:35], v[34:35], 0, 2
	s_addc_u32 s45, s27, -1
	s_mov_b64 s[46:47], 0
	s_mov_b64 s[50:51], 0
                                        ; implicit-def: $sgpr48_sgpr49
	s_branch .LBB1223_161
.LBB1223_159:                           ;   in Loop: Header=BB1223_161 Depth=1
	global_load_ushort v36, v[32:33], off
	global_load_ushort v37, v[34:35], off
	s_add_u32 s50, s50, 1
	s_addc_u32 s51, s51, 0
	s_andn2_b64 s[48:49], s[48:49], exec
	v_lshl_add_u64 v[32:33], v[32:33], 0, 2
	v_lshl_add_u64 v[34:35], v[34:35], 0, 2
	s_waitcnt vmcnt(1)
	v_lshlrev_b32_e32 v36, 16, v36
	s_waitcnt vmcnt(0)
	v_lshlrev_b32_e32 v37, 16, v37
	v_cmp_neq_f32_e32 vcc, v37, v36
	s_and_b64 s[52:53], vcc, exec
	s_or_b64 s[48:49], s[48:49], s[52:53]
.LBB1223_160:                           ;   in Loop: Header=BB1223_161 Depth=1
	s_and_b64 s[52:53], exec, s[48:49]
	s_or_b64 s[46:47], s[52:53], s[46:47]
	v_mov_b64_e32 v[36:37], s[50:51]
	s_andn2_b64 exec, exec, s[46:47]
	s_cbranch_execz .LBB1223_163
.LBB1223_161:                           ; =>This Inner Loop Header: Depth=1
	s_or_b64 s[48:49], s[48:49], exec
	s_cmp_eq_u64 s[44:45], s[50:51]
	s_cbranch_scc0 .LBB1223_159
; %bb.162:                              ;   in Loop: Header=BB1223_161 Depth=1
                                        ; implicit-def: $vgpr32_vgpr33
                                        ; implicit-def: $vgpr34_vgpr35
	s_mov_b64 s[50:51], s[26:27]
	s_branch .LBB1223_160
.LBB1223_163:
	s_or_b64 exec, exec, s[46:47]
	v_cmp_gt_i64_e32 vcc, s[26:27], v[36:37]
	s_orn2_b64 s[44:45], vcc, exec
.LBB1223_164:
	s_or_b64 exec, exec, s[40:41]
.LBB1223_165:
	s_and_b64 s[40:41], s[44:45], exec
.LBB1223_166:
	s_or_b64 exec, exec, s[42:43]
	v_cmp_gt_u32_e32 vcc, s54, v43
	s_and_saveexec_b64 s[42:43], vcc
	s_cbranch_execz .LBB1223_177
; %bb.167:
	s_and_b64 vcc, exec, s[4:5]
	s_mov_b64 s[44:45], 0
	s_cbranch_vccnz .LBB1223_176
; %bb.168:
	v_mul_lo_u32 v34, v23, s26
	v_mul_lo_u32 v35, v22, s27
	v_mad_u64_u32 v[32:33], s[16:17], v22, s26, 0
	v_add3_u32 v33, v33, v35, v34
	v_mul_lo_u32 v34, v25, s26
	v_mul_lo_u32 v35, v24, s27
	v_mad_u64_u32 v[36:37], s[16:17], v24, s26, 0
	v_add3_u32 v37, v37, v35, v34
	v_lshl_add_u64 v[34:35], v[32:33], 1, s[36:37]
	v_lshl_add_u64 v[32:33], v[36:37], 1, s[36:37]
	global_load_ushort v36, v[32:33], off
	global_load_ushort v37, v[34:35], off
	s_mov_b64 s[44:45], -1
	s_waitcnt vmcnt(1)
	v_lshlrev_b32_e32 v36, 16, v36
	s_waitcnt vmcnt(0)
	v_lshlrev_b32_e32 v37, 16, v37
	v_cmp_eq_f32_e32 vcc, v37, v36
	s_and_saveexec_b64 s[16:17], vcc
	s_cbranch_execz .LBB1223_175
; %bb.169:
	s_add_u32 s44, s26, -1
	v_lshl_add_u64 v[32:33], v[32:33], 0, 2
	v_lshl_add_u64 v[34:35], v[34:35], 0, 2
	s_addc_u32 s45, s27, -1
	s_mov_b64 s[46:47], 0
	s_mov_b64 s[50:51], 0
                                        ; implicit-def: $sgpr48_sgpr49
	s_branch .LBB1223_172
.LBB1223_170:                           ;   in Loop: Header=BB1223_172 Depth=1
	global_load_ushort v36, v[32:33], off
	global_load_ushort v37, v[34:35], off
	s_add_u32 s50, s50, 1
	s_addc_u32 s51, s51, 0
	s_andn2_b64 s[48:49], s[48:49], exec
	v_lshl_add_u64 v[32:33], v[32:33], 0, 2
	v_lshl_add_u64 v[34:35], v[34:35], 0, 2
	s_waitcnt vmcnt(1)
	v_lshlrev_b32_e32 v36, 16, v36
	s_waitcnt vmcnt(0)
	v_lshlrev_b32_e32 v37, 16, v37
	v_cmp_neq_f32_e32 vcc, v37, v36
	s_and_b64 s[52:53], vcc, exec
	s_or_b64 s[48:49], s[48:49], s[52:53]
.LBB1223_171:                           ;   in Loop: Header=BB1223_172 Depth=1
	s_and_b64 s[52:53], exec, s[48:49]
	s_or_b64 s[46:47], s[52:53], s[46:47]
	v_mov_b64_e32 v[36:37], s[50:51]
	s_andn2_b64 exec, exec, s[46:47]
	s_cbranch_execz .LBB1223_174
.LBB1223_172:                           ; =>This Inner Loop Header: Depth=1
	s_or_b64 s[48:49], s[48:49], exec
	s_cmp_eq_u64 s[44:45], s[50:51]
	s_cbranch_scc0 .LBB1223_170
; %bb.173:                              ;   in Loop: Header=BB1223_172 Depth=1
                                        ; implicit-def: $vgpr32_vgpr33
                                        ; implicit-def: $vgpr34_vgpr35
	s_mov_b64 s[50:51], s[26:27]
	s_branch .LBB1223_171
.LBB1223_174:
	s_or_b64 exec, exec, s[46:47]
	v_cmp_gt_i64_e32 vcc, s[26:27], v[36:37]
	s_orn2_b64 s[44:45], vcc, exec
.LBB1223_175:
	s_or_b64 exec, exec, s[16:17]
.LBB1223_176:
	s_and_b64 s[16:17], s[44:45], exec
.LBB1223_177:
	s_or_b64 exec, exec, s[42:43]
	s_waitcnt lgkmcnt(0)
	s_barrier
	s_and_saveexec_b64 s[42:43], s[2:3]
	s_cbranch_execz .LBB1223_179
; %bb.178:
	s_waitcnt vmcnt(0)
	v_add_u32_e32 v30, -8, v47
	ds_read_b64 v[30:31], v30
.LBB1223_179:
	s_or_b64 exec, exec, s[42:43]
	v_cndmask_b32_e64 v33, 0, 1, s[14:15]
	v_cndmask_b32_e64 v32, 0, 1, s[40:41]
	;; [unrolled: 1-line block ×3, first 2 shown]
	v_lshlrev_b16_e32 v33, 8, v33
	v_cmp_gt_u32_e32 vcc, s54, v1
	v_lshlrev_b16_e32 v36, 8, v34
	v_or_b32_sdwa v37, v32, v33 dst_sel:WORD_1 dst_unused:UNUSED_PAD src0_sel:DWORD src1_sel:DWORD
	s_mov_b64 s[14:15], 0
	s_and_saveexec_b64 s[16:17], vcc
	s_cbranch_execz .LBB1223_190
; %bb.180:
	s_and_b64 vcc, exec, s[4:5]
	s_cbranch_vccnz .LBB1223_189
; %bb.181:
	s_waitcnt vmcnt(0) lgkmcnt(0)
	v_mul_lo_u32 v32, v31, s26
	v_mul_lo_u32 v33, v30, s27
	v_mad_u64_u32 v[30:31], s[4:5], v30, s26, 0
	v_add3_u32 v31, v31, v33, v32
	v_mul_lo_u32 v32, v23, s26
	v_mul_lo_u32 v33, v22, s27
	v_mad_u64_u32 v[34:35], s[4:5], v22, s26, 0
	v_add3_u32 v35, v35, v33, v32
	v_lshl_add_u64 v[32:33], v[30:31], 1, s[36:37]
	v_lshl_add_u64 v[30:31], v[34:35], 1, s[36:37]
	global_load_ushort v34, v[30:31], off
	global_load_ushort v35, v[32:33], off
	s_mov_b64 s[14:15], -1
	s_waitcnt vmcnt(1)
	v_lshlrev_b32_e32 v34, 16, v34
	s_waitcnt vmcnt(0)
	v_lshlrev_b32_e32 v35, 16, v35
	v_cmp_eq_f32_e32 vcc, v35, v34
	s_and_saveexec_b64 s[4:5], vcc
	s_cbranch_execz .LBB1223_188
; %bb.182:
	s_add_u32 s14, s26, -1
	v_lshl_add_u64 v[30:31], v[30:31], 0, 2
	v_lshl_add_u64 v[32:33], v[32:33], 0, 2
	s_addc_u32 s15, s27, -1
	s_mov_b64 s[40:41], 0
	s_mov_b64 s[44:45], 0
                                        ; implicit-def: $sgpr42_sgpr43
	s_branch .LBB1223_185
.LBB1223_183:                           ;   in Loop: Header=BB1223_185 Depth=1
	global_load_ushort v34, v[30:31], off
	global_load_ushort v35, v[32:33], off
	s_add_u32 s44, s44, 1
	s_addc_u32 s45, s45, 0
	s_andn2_b64 s[42:43], s[42:43], exec
	v_lshl_add_u64 v[30:31], v[30:31], 0, 2
	v_lshl_add_u64 v[32:33], v[32:33], 0, 2
	s_waitcnt vmcnt(1)
	v_lshlrev_b32_e32 v34, 16, v34
	s_waitcnt vmcnt(0)
	v_lshlrev_b32_e32 v35, 16, v35
	v_cmp_neq_f32_e32 vcc, v35, v34
	s_and_b64 s[46:47], vcc, exec
	s_or_b64 s[42:43], s[42:43], s[46:47]
.LBB1223_184:                           ;   in Loop: Header=BB1223_185 Depth=1
	s_and_b64 s[46:47], exec, s[42:43]
	s_or_b64 s[40:41], s[46:47], s[40:41]
	v_mov_b64_e32 v[34:35], s[44:45]
	s_andn2_b64 exec, exec, s[40:41]
	s_cbranch_execz .LBB1223_187
.LBB1223_185:                           ; =>This Inner Loop Header: Depth=1
	s_or_b64 s[42:43], s[42:43], exec
	s_cmp_eq_u64 s[14:15], s[44:45]
	s_cbranch_scc0 .LBB1223_183
; %bb.186:                              ;   in Loop: Header=BB1223_185 Depth=1
                                        ; implicit-def: $vgpr30_vgpr31
                                        ; implicit-def: $vgpr32_vgpr33
	s_mov_b64 s[44:45], s[26:27]
	s_branch .LBB1223_184
.LBB1223_187:
	s_or_b64 exec, exec, s[40:41]
	v_cmp_gt_i64_e32 vcc, s[26:27], v[34:35]
	s_orn2_b64 s[14:15], vcc, exec
.LBB1223_188:
	s_or_b64 exec, exec, s[4:5]
.LBB1223_189:
	s_and_b64 s[14:15], s[14:15], exec
.LBB1223_190:
	s_or_b64 exec, exec, s[16:17]
	v_cndmask_b32_e64 v39, 0, 1, s[12:13]
	v_cndmask_b32_e64 v48, 0, 1, s[10:11]
	;; [unrolled: 1-line block ×3, first 2 shown]
	v_or_b32_e32 v34, v36, v37
.LBB1223_191:
	s_mov_b64 s[10:11], -1
	s_cbranch_execnz .LBB1223_50
.LBB1223_192:
	s_movk_i32 s4, 0xffd0
	v_mad_i32_i24 v38, v0, s4, v46
	s_mov_b64 s[12:13], 0
	v_cmp_gt_i64_e64 s[6:7], s[26:27], 0
	s_and_b64 vcc, exec, s[34:35]
	ds_write_b64 v38, v[28:29]
	s_cbranch_vccz .LBB1223_200
; %bb.193:
	v_mul_lo_u32 v32, v17, s26
	v_mul_lo_u32 v33, v16, s27
	s_waitcnt vmcnt(0) lgkmcnt(1)
	v_mad_u64_u32 v[30:31], s[4:5], v16, s26, 0
	v_add3_u32 v31, v31, v33, v32
	v_cndmask_b32_e64 v32, 0, 1, s[6:7]
	v_cmp_ne_u32_e64 s[4:5], 1, v32
	s_andn2_b64 vcc, exec, s[6:7]
	v_lshl_add_u64 v[30:31], v[30:31], 1, s[36:37]
	s_cbranch_vccnz .LBB1223_203
; %bb.194:
	v_mul_lo_u32 v34, v29, s26
	v_mul_lo_u32 v35, v28, s27
	v_mad_u64_u32 v[32:33], s[12:13], v28, s26, 0
	v_add3_u32 v33, v33, v35, v34
	v_lshl_add_u64 v[32:33], v[32:33], 1, s[36:37]
	global_load_ushort v34, v[32:33], off
	global_load_ushort v35, v[30:31], off
	s_mov_b64 s[12:13], -1
	s_waitcnt vmcnt(1)
	v_lshlrev_b32_e32 v34, 16, v34
	s_waitcnt vmcnt(0)
	v_lshlrev_b32_e32 v35, 16, v35
	v_cmp_eq_f32_e32 vcc, v35, v34
	s_and_saveexec_b64 s[14:15], vcc
	s_cbranch_execz .LBB1223_202
; %bb.195:
	s_add_u32 s12, s26, -1
	v_lshl_add_u64 v[32:33], v[32:33], 0, 2
	v_lshl_add_u64 v[34:35], v[30:31], 0, 2
	s_addc_u32 s13, s27, -1
	s_mov_b64 s[16:17], 0
	s_mov_b64 s[42:43], 0
                                        ; implicit-def: $sgpr40_sgpr41
	s_branch .LBB1223_198
.LBB1223_196:                           ;   in Loop: Header=BB1223_198 Depth=1
	global_load_ushort v36, v[32:33], off
	global_load_ushort v37, v[34:35], off
	s_add_u32 s42, s42, 1
	s_addc_u32 s43, s43, 0
	s_andn2_b64 s[40:41], s[40:41], exec
	v_lshl_add_u64 v[32:33], v[32:33], 0, 2
	v_lshl_add_u64 v[34:35], v[34:35], 0, 2
	s_waitcnt vmcnt(1)
	v_lshlrev_b32_e32 v36, 16, v36
	s_waitcnt vmcnt(0)
	v_lshlrev_b32_e32 v37, 16, v37
	v_cmp_neq_f32_e32 vcc, v37, v36
	s_and_b64 s[44:45], vcc, exec
	s_or_b64 s[40:41], s[40:41], s[44:45]
.LBB1223_197:                           ;   in Loop: Header=BB1223_198 Depth=1
	s_and_b64 s[44:45], exec, s[40:41]
	s_or_b64 s[16:17], s[44:45], s[16:17]
	v_mov_b64_e32 v[36:37], s[42:43]
	s_andn2_b64 exec, exec, s[16:17]
	s_cbranch_execz .LBB1223_201
.LBB1223_198:                           ; =>This Inner Loop Header: Depth=1
	s_or_b64 s[40:41], s[40:41], exec
	s_cmp_eq_u64 s[12:13], s[42:43]
	s_cbranch_scc0 .LBB1223_196
; %bb.199:                              ;   in Loop: Header=BB1223_198 Depth=1
                                        ; implicit-def: $vgpr32_vgpr33
                                        ; implicit-def: $vgpr34_vgpr35
	s_mov_b64 s[42:43], s[26:27]
	s_branch .LBB1223_197
.LBB1223_200:
                                        ; implicit-def: $sgpr14_sgpr15
                                        ; implicit-def: $vgpr49
                                        ; implicit-def: $vgpr48
                                        ; implicit-def: $vgpr39
                                        ; implicit-def: $vgpr34
                                        ; implicit-def: $vgpr30_vgpr31
	s_cbranch_execnz .LBB1223_260
	s_branch .LBB1223_340
.LBB1223_201:
	s_or_b64 exec, exec, s[16:17]
	v_cmp_gt_i64_e32 vcc, s[26:27], v[36:37]
	s_orn2_b64 s[12:13], vcc, exec
.LBB1223_202:
	s_or_b64 exec, exec, s[14:15]
.LBB1223_203:
	v_mul_lo_u32 v34, v15, s26
	v_mul_lo_u32 v35, v14, s27
	v_mad_u64_u32 v[32:33], s[14:15], v14, s26, 0
	v_add3_u32 v33, v33, v35, v34
	s_mov_b64 s[14:15], 0
	s_and_b64 vcc, exec, s[4:5]
	v_lshl_add_u64 v[32:33], v[32:33], 1, s[36:37]
	s_mov_b64 s[16:17], 0
	s_cbranch_vccnz .LBB1223_212
; %bb.204:
	global_load_ushort v34, v[30:31], off
	global_load_ushort v35, v[32:33], off
	s_mov_b64 s[16:17], -1
	s_waitcnt vmcnt(1)
	v_lshlrev_b32_e32 v34, 16, v34
	s_waitcnt vmcnt(0)
	v_lshlrev_b32_e32 v35, 16, v35
	v_cmp_eq_f32_e32 vcc, v35, v34
	s_and_saveexec_b64 s[40:41], vcc
	s_cbranch_execz .LBB1223_211
; %bb.205:
	s_add_u32 s16, s26, -1
	v_lshl_add_u64 v[30:31], v[30:31], 0, 2
	v_lshl_add_u64 v[34:35], v[32:33], 0, 2
	s_addc_u32 s17, s27, -1
	s_mov_b64 s[42:43], 0
	s_mov_b64 s[46:47], 0
                                        ; implicit-def: $sgpr44_sgpr45
	s_branch .LBB1223_208
.LBB1223_206:                           ;   in Loop: Header=BB1223_208 Depth=1
	global_load_ushort v36, v[30:31], off
	global_load_ushort v37, v[34:35], off
	s_add_u32 s46, s46, 1
	s_addc_u32 s47, s47, 0
	s_andn2_b64 s[44:45], s[44:45], exec
	v_lshl_add_u64 v[30:31], v[30:31], 0, 2
	v_lshl_add_u64 v[34:35], v[34:35], 0, 2
	s_waitcnt vmcnt(1)
	v_lshlrev_b32_e32 v36, 16, v36
	s_waitcnt vmcnt(0)
	v_lshlrev_b32_e32 v37, 16, v37
	v_cmp_neq_f32_e32 vcc, v37, v36
	s_and_b64 s[48:49], vcc, exec
	s_or_b64 s[44:45], s[44:45], s[48:49]
.LBB1223_207:                           ;   in Loop: Header=BB1223_208 Depth=1
	s_and_b64 s[48:49], exec, s[44:45]
	s_or_b64 s[42:43], s[48:49], s[42:43]
	v_mov_b64_e32 v[36:37], s[46:47]
	s_andn2_b64 exec, exec, s[42:43]
	s_cbranch_execz .LBB1223_210
.LBB1223_208:                           ; =>This Inner Loop Header: Depth=1
	s_or_b64 s[44:45], s[44:45], exec
	s_cmp_eq_u64 s[16:17], s[46:47]
	s_cbranch_scc0 .LBB1223_206
; %bb.209:                              ;   in Loop: Header=BB1223_208 Depth=1
                                        ; implicit-def: $vgpr30_vgpr31
                                        ; implicit-def: $vgpr34_vgpr35
	s_mov_b64 s[46:47], s[26:27]
	s_branch .LBB1223_207
.LBB1223_210:
	s_or_b64 exec, exec, s[42:43]
	v_cmp_gt_i64_e32 vcc, s[26:27], v[36:37]
	s_orn2_b64 s[16:17], vcc, exec
.LBB1223_211:
	s_or_b64 exec, exec, s[40:41]
.LBB1223_212:
	v_mul_lo_u32 v34, v21, s26
	v_mul_lo_u32 v35, v20, s27
	v_mad_u64_u32 v[30:31], s[40:41], v20, s26, 0
	v_add3_u32 v31, v31, v35, v34
	s_and_b64 vcc, exec, s[4:5]
	v_lshl_add_u64 v[30:31], v[30:31], 1, s[36:37]
	s_cbranch_vccnz .LBB1223_221
; %bb.213:
	global_load_ushort v34, v[32:33], off
	global_load_ushort v35, v[30:31], off
	s_mov_b64 s[14:15], -1
	s_waitcnt vmcnt(1)
	v_lshlrev_b32_e32 v34, 16, v34
	s_waitcnt vmcnt(0)
	v_lshlrev_b32_e32 v35, 16, v35
	v_cmp_eq_f32_e32 vcc, v35, v34
	s_and_saveexec_b64 s[40:41], vcc
	s_cbranch_execz .LBB1223_220
; %bb.214:
	s_add_u32 s14, s26, -1
	v_lshl_add_u64 v[32:33], v[32:33], 0, 2
	v_lshl_add_u64 v[34:35], v[30:31], 0, 2
	s_addc_u32 s15, s27, -1
	s_mov_b64 s[42:43], 0
	s_mov_b64 s[46:47], 0
                                        ; implicit-def: $sgpr44_sgpr45
	s_branch .LBB1223_217
.LBB1223_215:                           ;   in Loop: Header=BB1223_217 Depth=1
	global_load_ushort v36, v[32:33], off
	global_load_ushort v37, v[34:35], off
	s_add_u32 s46, s46, 1
	s_addc_u32 s47, s47, 0
	s_andn2_b64 s[44:45], s[44:45], exec
	v_lshl_add_u64 v[32:33], v[32:33], 0, 2
	v_lshl_add_u64 v[34:35], v[34:35], 0, 2
	s_waitcnt vmcnt(1)
	v_lshlrev_b32_e32 v36, 16, v36
	s_waitcnt vmcnt(0)
	v_lshlrev_b32_e32 v37, 16, v37
	v_cmp_neq_f32_e32 vcc, v37, v36
	s_and_b64 s[48:49], vcc, exec
	s_or_b64 s[44:45], s[44:45], s[48:49]
.LBB1223_216:                           ;   in Loop: Header=BB1223_217 Depth=1
	s_and_b64 s[48:49], exec, s[44:45]
	s_or_b64 s[42:43], s[48:49], s[42:43]
	v_mov_b64_e32 v[36:37], s[46:47]
	s_andn2_b64 exec, exec, s[42:43]
	s_cbranch_execz .LBB1223_219
.LBB1223_217:                           ; =>This Inner Loop Header: Depth=1
	s_or_b64 s[44:45], s[44:45], exec
	s_cmp_eq_u64 s[14:15], s[46:47]
	s_cbranch_scc0 .LBB1223_215
; %bb.218:                              ;   in Loop: Header=BB1223_217 Depth=1
                                        ; implicit-def: $vgpr32_vgpr33
                                        ; implicit-def: $vgpr34_vgpr35
	s_mov_b64 s[46:47], s[26:27]
	s_branch .LBB1223_216
.LBB1223_219:
	s_or_b64 exec, exec, s[42:43]
	v_cmp_gt_i64_e32 vcc, s[26:27], v[36:37]
	s_orn2_b64 s[14:15], vcc, exec
.LBB1223_220:
	s_or_b64 exec, exec, s[40:41]
.LBB1223_221:
	v_mul_lo_u32 v34, v19, s26
	v_mul_lo_u32 v35, v18, s27
	v_mad_u64_u32 v[32:33], s[40:41], v18, s26, 0
	v_add3_u32 v33, v33, v35, v34
	s_mov_b64 s[40:41], 0
	s_and_b64 vcc, exec, s[4:5]
	v_lshl_add_u64 v[32:33], v[32:33], 1, s[36:37]
	s_mov_b64 s[42:43], 0
	s_cbranch_vccnz .LBB1223_230
; %bb.222:
	global_load_ushort v34, v[30:31], off
	global_load_ushort v35, v[32:33], off
	s_mov_b64 s[42:43], -1
	s_waitcnt vmcnt(1)
	v_lshlrev_b32_e32 v34, 16, v34
	s_waitcnt vmcnt(0)
	v_lshlrev_b32_e32 v35, 16, v35
	v_cmp_eq_f32_e32 vcc, v35, v34
	s_and_saveexec_b64 s[44:45], vcc
	s_cbranch_execz .LBB1223_229
; %bb.223:
	s_add_u32 s42, s26, -1
	v_lshl_add_u64 v[30:31], v[30:31], 0, 2
	v_lshl_add_u64 v[34:35], v[32:33], 0, 2
	s_addc_u32 s43, s27, -1
	s_mov_b64 s[46:47], 0
	s_mov_b64 s[50:51], 0
                                        ; implicit-def: $sgpr48_sgpr49
	s_branch .LBB1223_226
.LBB1223_224:                           ;   in Loop: Header=BB1223_226 Depth=1
	global_load_ushort v36, v[30:31], off
	global_load_ushort v37, v[34:35], off
	s_add_u32 s50, s50, 1
	s_addc_u32 s51, s51, 0
	s_andn2_b64 s[48:49], s[48:49], exec
	v_lshl_add_u64 v[30:31], v[30:31], 0, 2
	v_lshl_add_u64 v[34:35], v[34:35], 0, 2
	s_waitcnt vmcnt(1)
	v_lshlrev_b32_e32 v36, 16, v36
	s_waitcnt vmcnt(0)
	v_lshlrev_b32_e32 v37, 16, v37
	v_cmp_neq_f32_e32 vcc, v37, v36
	s_and_b64 s[52:53], vcc, exec
	s_or_b64 s[48:49], s[48:49], s[52:53]
.LBB1223_225:                           ;   in Loop: Header=BB1223_226 Depth=1
	s_and_b64 s[52:53], exec, s[48:49]
	s_or_b64 s[46:47], s[52:53], s[46:47]
	v_mov_b64_e32 v[36:37], s[50:51]
	s_andn2_b64 exec, exec, s[46:47]
	s_cbranch_execz .LBB1223_228
.LBB1223_226:                           ; =>This Inner Loop Header: Depth=1
	s_or_b64 s[48:49], s[48:49], exec
	s_cmp_eq_u64 s[42:43], s[50:51]
	s_cbranch_scc0 .LBB1223_224
; %bb.227:                              ;   in Loop: Header=BB1223_226 Depth=1
                                        ; implicit-def: $vgpr30_vgpr31
                                        ; implicit-def: $vgpr34_vgpr35
	s_mov_b64 s[50:51], s[26:27]
	s_branch .LBB1223_225
.LBB1223_228:
	s_or_b64 exec, exec, s[46:47]
	v_cmp_gt_i64_e32 vcc, s[26:27], v[36:37]
	s_orn2_b64 s[42:43], vcc, exec
.LBB1223_229:
	s_or_b64 exec, exec, s[44:45]
.LBB1223_230:
	v_mul_lo_u32 v34, v25, s26
	v_mul_lo_u32 v35, v24, s27
	v_mad_u64_u32 v[30:31], s[44:45], v24, s26, 0
	v_add3_u32 v31, v31, v35, v34
	s_and_b64 vcc, exec, s[4:5]
	v_lshl_add_u64 v[30:31], v[30:31], 1, s[36:37]
	s_cbranch_vccnz .LBB1223_239
; %bb.231:
	global_load_ushort v34, v[32:33], off
	global_load_ushort v35, v[30:31], off
	s_mov_b64 s[40:41], -1
	s_waitcnt vmcnt(1)
	v_lshlrev_b32_e32 v34, 16, v34
	s_waitcnt vmcnt(0)
	v_lshlrev_b32_e32 v35, 16, v35
	v_cmp_eq_f32_e32 vcc, v35, v34
	s_and_saveexec_b64 s[44:45], vcc
	s_cbranch_execz .LBB1223_238
; %bb.232:
	s_add_u32 s40, s26, -1
	v_lshl_add_u64 v[32:33], v[32:33], 0, 2
	v_lshl_add_u64 v[34:35], v[30:31], 0, 2
	s_addc_u32 s41, s27, -1
	s_mov_b64 s[46:47], 0
	s_mov_b64 s[50:51], 0
                                        ; implicit-def: $sgpr48_sgpr49
	s_branch .LBB1223_235
.LBB1223_233:                           ;   in Loop: Header=BB1223_235 Depth=1
	global_load_ushort v36, v[32:33], off
	global_load_ushort v37, v[34:35], off
	s_add_u32 s50, s50, 1
	s_addc_u32 s51, s51, 0
	s_andn2_b64 s[48:49], s[48:49], exec
	v_lshl_add_u64 v[32:33], v[32:33], 0, 2
	v_lshl_add_u64 v[34:35], v[34:35], 0, 2
	s_waitcnt vmcnt(1)
	v_lshlrev_b32_e32 v36, 16, v36
	s_waitcnt vmcnt(0)
	v_lshlrev_b32_e32 v37, 16, v37
	v_cmp_neq_f32_e32 vcc, v37, v36
	s_and_b64 s[52:53], vcc, exec
	s_or_b64 s[48:49], s[48:49], s[52:53]
.LBB1223_234:                           ;   in Loop: Header=BB1223_235 Depth=1
	s_and_b64 s[52:53], exec, s[48:49]
	s_or_b64 s[46:47], s[52:53], s[46:47]
	v_mov_b64_e32 v[36:37], s[50:51]
	s_andn2_b64 exec, exec, s[46:47]
	s_cbranch_execz .LBB1223_237
.LBB1223_235:                           ; =>This Inner Loop Header: Depth=1
	s_or_b64 s[48:49], s[48:49], exec
	s_cmp_eq_u64 s[40:41], s[50:51]
	s_cbranch_scc0 .LBB1223_233
; %bb.236:                              ;   in Loop: Header=BB1223_235 Depth=1
                                        ; implicit-def: $vgpr32_vgpr33
                                        ; implicit-def: $vgpr34_vgpr35
	s_mov_b64 s[50:51], s[26:27]
	s_branch .LBB1223_234
.LBB1223_237:
	s_or_b64 exec, exec, s[46:47]
	v_cmp_gt_i64_e32 vcc, s[26:27], v[36:37]
	s_orn2_b64 s[40:41], vcc, exec
.LBB1223_238:
	s_or_b64 exec, exec, s[44:45]
.LBB1223_239:
	v_mul_lo_u32 v34, v23, s26
	v_mul_lo_u32 v35, v22, s27
	v_mad_u64_u32 v[32:33], s[44:45], v22, s26, 0
	v_add3_u32 v33, v33, v35, v34
	s_and_b64 vcc, exec, s[4:5]
	s_mov_b64 s[46:47], 0
	s_cbranch_vccnz .LBB1223_248
; %bb.240:
	v_lshl_add_u64 v[34:35], v[32:33], 1, s[36:37]
	global_load_ushort v36, v[30:31], off
	global_load_ushort v37, v[34:35], off
	s_mov_b64 s[46:47], -1
	s_waitcnt vmcnt(1)
	v_lshlrev_b32_e32 v36, 16, v36
	s_waitcnt vmcnt(0)
	v_lshlrev_b32_e32 v37, 16, v37
	v_cmp_eq_f32_e32 vcc, v37, v36
	s_and_saveexec_b64 s[44:45], vcc
	s_cbranch_execz .LBB1223_247
; %bb.241:
	s_add_u32 s46, s26, -1
	v_lshl_add_u64 v[30:31], v[30:31], 0, 2
	v_lshl_add_u64 v[34:35], v[34:35], 0, 2
	s_addc_u32 s47, s27, -1
	s_mov_b64 s[48:49], 0
	s_mov_b64 s[52:53], 0
                                        ; implicit-def: $sgpr50_sgpr51
	s_branch .LBB1223_244
.LBB1223_242:                           ;   in Loop: Header=BB1223_244 Depth=1
	global_load_ushort v36, v[30:31], off
	global_load_ushort v37, v[34:35], off
	s_add_u32 s52, s52, 1
	s_addc_u32 s53, s53, 0
	s_andn2_b64 s[50:51], s[50:51], exec
	v_lshl_add_u64 v[30:31], v[30:31], 0, 2
	v_lshl_add_u64 v[34:35], v[34:35], 0, 2
	s_waitcnt vmcnt(1)
	v_lshlrev_b32_e32 v36, 16, v36
	s_waitcnt vmcnt(0)
	v_lshlrev_b32_e32 v37, 16, v37
	v_cmp_neq_f32_e32 vcc, v37, v36
	s_and_b64 s[56:57], vcc, exec
	s_or_b64 s[50:51], s[50:51], s[56:57]
.LBB1223_243:                           ;   in Loop: Header=BB1223_244 Depth=1
	s_and_b64 s[56:57], exec, s[50:51]
	s_or_b64 s[48:49], s[56:57], s[48:49]
	v_mov_b64_e32 v[36:37], s[52:53]
	s_andn2_b64 exec, exec, s[48:49]
	s_cbranch_execz .LBB1223_246
.LBB1223_244:                           ; =>This Inner Loop Header: Depth=1
	s_or_b64 s[50:51], s[50:51], exec
	s_cmp_eq_u64 s[46:47], s[52:53]
	s_cbranch_scc0 .LBB1223_242
; %bb.245:                              ;   in Loop: Header=BB1223_244 Depth=1
                                        ; implicit-def: $vgpr30_vgpr31
                                        ; implicit-def: $vgpr34_vgpr35
	s_mov_b64 s[52:53], s[26:27]
	s_branch .LBB1223_243
.LBB1223_246:
	s_or_b64 exec, exec, s[48:49]
	v_cmp_gt_i64_e32 vcc, s[26:27], v[36:37]
	s_orn2_b64 s[46:47], vcc, exec
.LBB1223_247:
	s_or_b64 exec, exec, s[44:45]
.LBB1223_248:
	v_cndmask_b32_e64 v31, 0, 1, s[42:43]
	v_cndmask_b32_e64 v30, 0, 1, s[40:41]
	;; [unrolled: 1-line block ×3, first 2 shown]
	v_lshlrev_b16_e32 v31, 8, v31
	v_cndmask_b32_e64 v39, 0, 1, s[14:15]
	v_cndmask_b32_e64 v34, 0, 1, s[46:47]
	v_or_b32_sdwa v30, v30, v31 dst_sel:WORD_1 dst_unused:UNUSED_PAD src0_sel:DWORD src1_sel:DWORD
	v_lshlrev_b16_e32 v31, 8, v48
	v_lshlrev_b16_e32 v34, 8, v34
	v_or_b32_e32 v31, v39, v31
	v_or_b32_e32 v34, 1, v34
	v_and_b32_e32 v31, 0xffff, v31
	v_cndmask_b32_e64 v49, 0, 1, s[12:13]
	v_or_b32_sdwa v30, v34, v30 dst_sel:DWORD dst_unused:UNUSED_PAD src0_sel:WORD_0 src1_sel:DWORD
	v_lshl_or_b32 v31, v49, 16, v31
	s_waitcnt lgkmcnt(0)
	s_barrier
	s_waitcnt lgkmcnt(0)
                                        ; implicit-def: $sgpr14_sgpr15
                                        ; implicit-def: $vgpr34
	s_and_saveexec_b64 s[12:13], s[2:3]
	s_xor_b64 s[12:13], exec, s[12:13]
	s_cbranch_execz .LBB1223_259
; %bb.249:
	s_mov_b32 s44, 0x3020104
	s_and_b64 vcc, exec, s[4:5]
	s_mov_b64 s[14:15], 0
	s_cbranch_vccnz .LBB1223_258
; %bb.250:
	v_add_u32_e32 v31, -8, v38
	ds_read_b64 v[34:35], v31
	v_lshl_add_u64 v[32:33], v[32:33], 1, s[36:37]
	s_mov_b64 s[14:15], -1
	s_waitcnt lgkmcnt(0)
	v_mul_lo_u32 v31, v35, s26
	v_mul_lo_u32 v36, v34, s27
	v_mad_u64_u32 v[34:35], s[4:5], v34, s26, 0
	v_add3_u32 v35, v35, v36, v31
	v_lshl_add_u64 v[34:35], v[34:35], 1, s[36:37]
	global_load_ushort v31, v[34:35], off
	global_load_ushort v36, v[32:33], off
	s_waitcnt vmcnt(1)
	v_lshlrev_b32_e32 v31, 16, v31
	s_waitcnt vmcnt(0)
	v_lshlrev_b32_e32 v36, 16, v36
	v_cmp_eq_f32_e32 vcc, v31, v36
	s_and_saveexec_b64 s[4:5], vcc
	s_cbranch_execz .LBB1223_257
; %bb.251:
	s_add_u32 s14, s26, -1
	v_lshl_add_u64 v[32:33], v[32:33], 0, 2
	v_lshl_add_u64 v[34:35], v[34:35], 0, 2
	s_addc_u32 s15, s27, -1
	s_mov_b64 s[16:17], 0
	s_mov_b64 s[42:43], 0
                                        ; implicit-def: $sgpr40_sgpr41
	s_branch .LBB1223_254
.LBB1223_252:                           ;   in Loop: Header=BB1223_254 Depth=1
	global_load_ushort v31, v[32:33], off
	global_load_ushort v36, v[34:35], off
	s_add_u32 s42, s42, 1
	s_addc_u32 s43, s43, 0
	s_andn2_b64 s[40:41], s[40:41], exec
	v_lshl_add_u64 v[32:33], v[32:33], 0, 2
	v_lshl_add_u64 v[34:35], v[34:35], 0, 2
	s_waitcnt vmcnt(1)
	v_lshlrev_b32_e32 v31, 16, v31
	s_waitcnt vmcnt(0)
	v_lshlrev_b32_e32 v36, 16, v36
	v_cmp_neq_f32_e32 vcc, v36, v31
	s_and_b64 s[46:47], vcc, exec
	s_or_b64 s[40:41], s[40:41], s[46:47]
.LBB1223_253:                           ;   in Loop: Header=BB1223_254 Depth=1
	s_and_b64 s[46:47], exec, s[40:41]
	s_or_b64 s[16:17], s[46:47], s[16:17]
	v_mov_b64_e32 v[36:37], s[42:43]
	s_andn2_b64 exec, exec, s[16:17]
	s_cbranch_execz .LBB1223_256
.LBB1223_254:                           ; =>This Inner Loop Header: Depth=1
	s_or_b64 s[40:41], s[40:41], exec
	s_cmp_eq_u64 s[14:15], s[42:43]
	s_cbranch_scc0 .LBB1223_252
; %bb.255:                              ;   in Loop: Header=BB1223_254 Depth=1
                                        ; implicit-def: $vgpr32_vgpr33
                                        ; implicit-def: $vgpr34_vgpr35
	s_mov_b64 s[42:43], s[26:27]
	s_branch .LBB1223_253
.LBB1223_256:
	s_or_b64 exec, exec, s[16:17]
	v_cmp_gt_i64_e32 vcc, s[26:27], v[36:37]
	s_orn2_b64 s[14:15], vcc, exec
.LBB1223_257:
	s_or_b64 exec, exec, s[4:5]
.LBB1223_258:
	v_perm_b32 v34, v30, v30, s44
	s_and_b64 s[14:15], s[14:15], exec
	s_or_b64 s[10:11], s[10:11], exec
                                        ; implicit-def: $vgpr30_vgpr31
.LBB1223_259:
	s_or_b64 exec, exec, s[12:13]
	s_branch .LBB1223_340
.LBB1223_260:
	v_cmp_gt_u32_e32 vcc, s54, v42
	s_mov_b64 s[12:13], 0
	s_mov_b64 s[4:5], 0
	s_and_saveexec_b64 s[14:15], vcc
	s_cbranch_execz .LBB1223_271
; %bb.261:
	s_andn2_b64 vcc, exec, s[6:7]
	s_mov_b64 s[16:17], 0
	s_cbranch_vccnz .LBB1223_270
; %bb.262:
	v_mul_lo_u32 v32, v17, s26
	v_mul_lo_u32 v33, v16, s27
	s_waitcnt vmcnt(0) lgkmcnt(1)
	v_mad_u64_u32 v[30:31], s[4:5], v16, s26, 0
	v_add3_u32 v31, v31, v33, v32
	v_mul_lo_u32 v32, v29, s26
	v_mul_lo_u32 v33, v28, s27
	v_mad_u64_u32 v[34:35], s[4:5], v28, s26, 0
	v_add3_u32 v35, v35, v33, v32
	v_lshl_add_u64 v[32:33], v[30:31], 1, s[36:37]
	v_lshl_add_u64 v[30:31], v[34:35], 1, s[36:37]
	global_load_ushort v34, v[30:31], off
	global_load_ushort v35, v[32:33], off
	s_mov_b64 s[16:17], -1
	s_waitcnt vmcnt(1)
	v_lshlrev_b32_e32 v34, 16, v34
	s_waitcnt vmcnt(0)
	v_lshlrev_b32_e32 v35, 16, v35
	v_cmp_eq_f32_e32 vcc, v35, v34
	s_and_saveexec_b64 s[4:5], vcc
	s_cbranch_execz .LBB1223_269
; %bb.263:
	s_add_u32 s16, s26, -1
	v_lshl_add_u64 v[30:31], v[30:31], 0, 2
	v_lshl_add_u64 v[32:33], v[32:33], 0, 2
	s_addc_u32 s17, s27, -1
	s_mov_b64 s[40:41], 0
	s_mov_b64 s[44:45], 0
                                        ; implicit-def: $sgpr42_sgpr43
	s_branch .LBB1223_266
.LBB1223_264:                           ;   in Loop: Header=BB1223_266 Depth=1
	global_load_ushort v34, v[30:31], off
	global_load_ushort v35, v[32:33], off
	s_add_u32 s44, s44, 1
	s_addc_u32 s45, s45, 0
	s_andn2_b64 s[42:43], s[42:43], exec
	v_lshl_add_u64 v[30:31], v[30:31], 0, 2
	v_lshl_add_u64 v[32:33], v[32:33], 0, 2
	s_waitcnt vmcnt(1)
	v_lshlrev_b32_e32 v34, 16, v34
	s_waitcnt vmcnt(0)
	v_lshlrev_b32_e32 v35, 16, v35
	v_cmp_neq_f32_e32 vcc, v35, v34
	s_and_b64 s[46:47], vcc, exec
	s_or_b64 s[42:43], s[42:43], s[46:47]
.LBB1223_265:                           ;   in Loop: Header=BB1223_266 Depth=1
	s_and_b64 s[46:47], exec, s[42:43]
	s_or_b64 s[40:41], s[46:47], s[40:41]
	v_mov_b64_e32 v[34:35], s[44:45]
	s_andn2_b64 exec, exec, s[40:41]
	s_cbranch_execz .LBB1223_268
.LBB1223_266:                           ; =>This Inner Loop Header: Depth=1
	s_or_b64 s[42:43], s[42:43], exec
	s_cmp_eq_u64 s[16:17], s[44:45]
	s_cbranch_scc0 .LBB1223_264
; %bb.267:                              ;   in Loop: Header=BB1223_266 Depth=1
                                        ; implicit-def: $vgpr30_vgpr31
                                        ; implicit-def: $vgpr32_vgpr33
	s_mov_b64 s[44:45], s[26:27]
	s_branch .LBB1223_265
.LBB1223_268:
	s_or_b64 exec, exec, s[40:41]
	v_cmp_gt_i64_e32 vcc, s[26:27], v[34:35]
	s_orn2_b64 s[16:17], vcc, exec
.LBB1223_269:
	s_or_b64 exec, exec, s[4:5]
.LBB1223_270:
	s_and_b64 s[4:5], s[16:17], exec
.LBB1223_271:
	s_or_b64 exec, exec, s[14:15]
	v_cmp_gt_u32_e32 vcc, s54, v45
	s_and_saveexec_b64 s[14:15], vcc
	s_cbranch_execz .LBB1223_282
; %bb.272:
	s_andn2_b64 vcc, exec, s[6:7]
	s_mov_b64 s[16:17], 0
	s_cbranch_vccnz .LBB1223_281
; %bb.273:
	v_mul_lo_u32 v32, v15, s26
	v_mul_lo_u32 v33, v14, s27
	s_waitcnt vmcnt(0) lgkmcnt(1)
	v_mad_u64_u32 v[30:31], s[12:13], v14, s26, 0
	v_add3_u32 v31, v31, v33, v32
	v_mul_lo_u32 v32, v17, s26
	v_mul_lo_u32 v33, v16, s27
	v_mad_u64_u32 v[34:35], s[12:13], v16, s26, 0
	v_add3_u32 v35, v35, v33, v32
	v_lshl_add_u64 v[32:33], v[30:31], 1, s[36:37]
	v_lshl_add_u64 v[30:31], v[34:35], 1, s[36:37]
	global_load_ushort v34, v[30:31], off
	global_load_ushort v35, v[32:33], off
	s_mov_b64 s[16:17], -1
	s_waitcnt vmcnt(1)
	v_lshlrev_b32_e32 v34, 16, v34
	s_waitcnt vmcnt(0)
	v_lshlrev_b32_e32 v35, 16, v35
	v_cmp_eq_f32_e32 vcc, v35, v34
	s_and_saveexec_b64 s[12:13], vcc
	s_cbranch_execz .LBB1223_280
; %bb.274:
	s_add_u32 s16, s26, -1
	v_lshl_add_u64 v[30:31], v[30:31], 0, 2
	v_lshl_add_u64 v[32:33], v[32:33], 0, 2
	s_addc_u32 s17, s27, -1
	s_mov_b64 s[40:41], 0
	s_mov_b64 s[44:45], 0
                                        ; implicit-def: $sgpr42_sgpr43
	s_branch .LBB1223_277
.LBB1223_275:                           ;   in Loop: Header=BB1223_277 Depth=1
	global_load_ushort v34, v[30:31], off
	global_load_ushort v35, v[32:33], off
	s_add_u32 s44, s44, 1
	s_addc_u32 s45, s45, 0
	s_andn2_b64 s[42:43], s[42:43], exec
	v_lshl_add_u64 v[30:31], v[30:31], 0, 2
	v_lshl_add_u64 v[32:33], v[32:33], 0, 2
	s_waitcnt vmcnt(1)
	v_lshlrev_b32_e32 v34, 16, v34
	s_waitcnt vmcnt(0)
	v_lshlrev_b32_e32 v35, 16, v35
	v_cmp_neq_f32_e32 vcc, v35, v34
	s_and_b64 s[46:47], vcc, exec
	s_or_b64 s[42:43], s[42:43], s[46:47]
.LBB1223_276:                           ;   in Loop: Header=BB1223_277 Depth=1
	s_and_b64 s[46:47], exec, s[42:43]
	s_or_b64 s[40:41], s[46:47], s[40:41]
	v_mov_b64_e32 v[34:35], s[44:45]
	s_andn2_b64 exec, exec, s[40:41]
	s_cbranch_execz .LBB1223_279
.LBB1223_277:                           ; =>This Inner Loop Header: Depth=1
	s_or_b64 s[42:43], s[42:43], exec
	s_cmp_eq_u64 s[16:17], s[44:45]
	s_cbranch_scc0 .LBB1223_275
; %bb.278:                              ;   in Loop: Header=BB1223_277 Depth=1
                                        ; implicit-def: $vgpr30_vgpr31
                                        ; implicit-def: $vgpr32_vgpr33
	s_mov_b64 s[44:45], s[26:27]
	s_branch .LBB1223_276
.LBB1223_279:
	s_or_b64 exec, exec, s[40:41]
	v_cmp_gt_i64_e32 vcc, s[26:27], v[34:35]
	s_orn2_b64 s[16:17], vcc, exec
.LBB1223_280:
	s_or_b64 exec, exec, s[12:13]
.LBB1223_281:
	s_and_b64 s[12:13], s[16:17], exec
.LBB1223_282:
	s_or_b64 exec, exec, s[14:15]
	v_cmp_gt_u32_e32 vcc, s54, v41
	s_mov_b64 s[16:17], 0
	s_mov_b64 s[14:15], 0
	s_and_saveexec_b64 s[40:41], vcc
	s_cbranch_execz .LBB1223_293
; %bb.283:
	s_andn2_b64 vcc, exec, s[6:7]
	s_mov_b64 s[42:43], 0
	s_cbranch_vccnz .LBB1223_292
; %bb.284:
	v_mul_lo_u32 v32, v21, s26
	v_mul_lo_u32 v33, v20, s27
	s_waitcnt vmcnt(0) lgkmcnt(1)
	v_mad_u64_u32 v[30:31], s[14:15], v20, s26, 0
	v_add3_u32 v31, v31, v33, v32
	v_mul_lo_u32 v32, v15, s26
	v_mul_lo_u32 v33, v14, s27
	v_mad_u64_u32 v[34:35], s[14:15], v14, s26, 0
	v_add3_u32 v35, v35, v33, v32
	v_lshl_add_u64 v[32:33], v[30:31], 1, s[36:37]
	v_lshl_add_u64 v[30:31], v[34:35], 1, s[36:37]
	global_load_ushort v34, v[30:31], off
	global_load_ushort v35, v[32:33], off
	s_mov_b64 s[42:43], -1
	s_waitcnt vmcnt(1)
	v_lshlrev_b32_e32 v34, 16, v34
	s_waitcnt vmcnt(0)
	v_lshlrev_b32_e32 v35, 16, v35
	v_cmp_eq_f32_e32 vcc, v35, v34
	s_and_saveexec_b64 s[14:15], vcc
	s_cbranch_execz .LBB1223_291
; %bb.285:
	s_add_u32 s42, s26, -1
	v_lshl_add_u64 v[30:31], v[30:31], 0, 2
	v_lshl_add_u64 v[32:33], v[32:33], 0, 2
	s_addc_u32 s43, s27, -1
	s_mov_b64 s[44:45], 0
	s_mov_b64 s[48:49], 0
                                        ; implicit-def: $sgpr46_sgpr47
	s_branch .LBB1223_288
.LBB1223_286:                           ;   in Loop: Header=BB1223_288 Depth=1
	global_load_ushort v34, v[30:31], off
	global_load_ushort v35, v[32:33], off
	s_add_u32 s48, s48, 1
	s_addc_u32 s49, s49, 0
	s_andn2_b64 s[46:47], s[46:47], exec
	v_lshl_add_u64 v[30:31], v[30:31], 0, 2
	v_lshl_add_u64 v[32:33], v[32:33], 0, 2
	s_waitcnt vmcnt(1)
	v_lshlrev_b32_e32 v34, 16, v34
	s_waitcnt vmcnt(0)
	v_lshlrev_b32_e32 v35, 16, v35
	v_cmp_neq_f32_e32 vcc, v35, v34
	s_and_b64 s[50:51], vcc, exec
	s_or_b64 s[46:47], s[46:47], s[50:51]
.LBB1223_287:                           ;   in Loop: Header=BB1223_288 Depth=1
	s_and_b64 s[50:51], exec, s[46:47]
	s_or_b64 s[44:45], s[50:51], s[44:45]
	v_mov_b64_e32 v[34:35], s[48:49]
	s_andn2_b64 exec, exec, s[44:45]
	s_cbranch_execz .LBB1223_290
.LBB1223_288:                           ; =>This Inner Loop Header: Depth=1
	s_or_b64 s[46:47], s[46:47], exec
	s_cmp_eq_u64 s[42:43], s[48:49]
	s_cbranch_scc0 .LBB1223_286
; %bb.289:                              ;   in Loop: Header=BB1223_288 Depth=1
                                        ; implicit-def: $vgpr30_vgpr31
                                        ; implicit-def: $vgpr32_vgpr33
	s_mov_b64 s[48:49], s[26:27]
	s_branch .LBB1223_287
.LBB1223_290:
	s_or_b64 exec, exec, s[44:45]
	v_cmp_gt_i64_e32 vcc, s[26:27], v[34:35]
	s_orn2_b64 s[42:43], vcc, exec
.LBB1223_291:
	s_or_b64 exec, exec, s[14:15]
.LBB1223_292:
	s_and_b64 s[14:15], s[42:43], exec
.LBB1223_293:
	s_or_b64 exec, exec, s[40:41]
	v_cmp_gt_u32_e32 vcc, s54, v44
	s_and_saveexec_b64 s[40:41], vcc
	s_cbranch_execz .LBB1223_304
; %bb.294:
	s_andn2_b64 vcc, exec, s[6:7]
	s_mov_b64 s[42:43], 0
	s_cbranch_vccnz .LBB1223_303
; %bb.295:
	v_mul_lo_u32 v32, v19, s26
	v_mul_lo_u32 v33, v18, s27
	s_waitcnt vmcnt(0) lgkmcnt(1)
	v_mad_u64_u32 v[30:31], s[16:17], v18, s26, 0
	v_add3_u32 v31, v31, v33, v32
	v_mul_lo_u32 v32, v21, s26
	v_mul_lo_u32 v33, v20, s27
	v_mad_u64_u32 v[34:35], s[16:17], v20, s26, 0
	v_add3_u32 v35, v35, v33, v32
	v_lshl_add_u64 v[32:33], v[30:31], 1, s[36:37]
	v_lshl_add_u64 v[30:31], v[34:35], 1, s[36:37]
	global_load_ushort v34, v[30:31], off
	global_load_ushort v35, v[32:33], off
	s_mov_b64 s[42:43], -1
	s_waitcnt vmcnt(1)
	v_lshlrev_b32_e32 v34, 16, v34
	s_waitcnt vmcnt(0)
	v_lshlrev_b32_e32 v35, 16, v35
	v_cmp_eq_f32_e32 vcc, v35, v34
	s_and_saveexec_b64 s[16:17], vcc
	s_cbranch_execz .LBB1223_302
; %bb.296:
	s_add_u32 s42, s26, -1
	v_lshl_add_u64 v[30:31], v[30:31], 0, 2
	v_lshl_add_u64 v[32:33], v[32:33], 0, 2
	s_addc_u32 s43, s27, -1
	s_mov_b64 s[44:45], 0
	s_mov_b64 s[48:49], 0
                                        ; implicit-def: $sgpr46_sgpr47
	s_branch .LBB1223_299
.LBB1223_297:                           ;   in Loop: Header=BB1223_299 Depth=1
	global_load_ushort v34, v[30:31], off
	global_load_ushort v35, v[32:33], off
	s_add_u32 s48, s48, 1
	s_addc_u32 s49, s49, 0
	s_andn2_b64 s[46:47], s[46:47], exec
	v_lshl_add_u64 v[30:31], v[30:31], 0, 2
	v_lshl_add_u64 v[32:33], v[32:33], 0, 2
	s_waitcnt vmcnt(1)
	v_lshlrev_b32_e32 v34, 16, v34
	s_waitcnt vmcnt(0)
	v_lshlrev_b32_e32 v35, 16, v35
	v_cmp_neq_f32_e32 vcc, v35, v34
	s_and_b64 s[50:51], vcc, exec
	s_or_b64 s[46:47], s[46:47], s[50:51]
.LBB1223_298:                           ;   in Loop: Header=BB1223_299 Depth=1
	s_and_b64 s[50:51], exec, s[46:47]
	s_or_b64 s[44:45], s[50:51], s[44:45]
	v_mov_b64_e32 v[34:35], s[48:49]
	s_andn2_b64 exec, exec, s[44:45]
	s_cbranch_execz .LBB1223_301
.LBB1223_299:                           ; =>This Inner Loop Header: Depth=1
	s_or_b64 s[46:47], s[46:47], exec
	s_cmp_eq_u64 s[42:43], s[48:49]
	s_cbranch_scc0 .LBB1223_297
; %bb.300:                              ;   in Loop: Header=BB1223_299 Depth=1
                                        ; implicit-def: $vgpr30_vgpr31
                                        ; implicit-def: $vgpr32_vgpr33
	s_mov_b64 s[48:49], s[26:27]
	s_branch .LBB1223_298
.LBB1223_301:
	s_or_b64 exec, exec, s[44:45]
	v_cmp_gt_i64_e32 vcc, s[26:27], v[34:35]
	s_orn2_b64 s[42:43], vcc, exec
.LBB1223_302:
	s_or_b64 exec, exec, s[16:17]
.LBB1223_303:
	s_and_b64 s[16:17], s[42:43], exec
.LBB1223_304:
	s_or_b64 exec, exec, s[40:41]
	v_cmp_gt_u32_e32 vcc, s54, v40
	s_mov_b64 s[40:41], 0
	s_mov_b64 s[42:43], 0
	s_and_saveexec_b64 s[44:45], vcc
	s_cbranch_execz .LBB1223_315
; %bb.305:
	s_andn2_b64 vcc, exec, s[6:7]
	s_mov_b64 s[46:47], 0
	s_cbranch_vccnz .LBB1223_314
; %bb.306:
	v_mul_lo_u32 v32, v25, s26
	v_mul_lo_u32 v33, v24, s27
	s_waitcnt vmcnt(0) lgkmcnt(1)
	v_mad_u64_u32 v[30:31], s[42:43], v24, s26, 0
	v_add3_u32 v31, v31, v33, v32
	v_mul_lo_u32 v32, v19, s26
	v_mul_lo_u32 v33, v18, s27
	v_mad_u64_u32 v[34:35], s[42:43], v18, s26, 0
	v_add3_u32 v35, v35, v33, v32
	v_lshl_add_u64 v[32:33], v[30:31], 1, s[36:37]
	v_lshl_add_u64 v[30:31], v[34:35], 1, s[36:37]
	global_load_ushort v34, v[30:31], off
	global_load_ushort v35, v[32:33], off
	s_mov_b64 s[46:47], -1
	s_waitcnt vmcnt(1)
	v_lshlrev_b32_e32 v34, 16, v34
	s_waitcnt vmcnt(0)
	v_lshlrev_b32_e32 v35, 16, v35
	v_cmp_eq_f32_e32 vcc, v35, v34
	s_and_saveexec_b64 s[42:43], vcc
	s_cbranch_execz .LBB1223_313
; %bb.307:
	s_add_u32 s46, s26, -1
	v_lshl_add_u64 v[30:31], v[30:31], 0, 2
	v_lshl_add_u64 v[32:33], v[32:33], 0, 2
	s_addc_u32 s47, s27, -1
	s_mov_b64 s[48:49], 0
	s_mov_b64 s[52:53], 0
                                        ; implicit-def: $sgpr50_sgpr51
	s_branch .LBB1223_310
.LBB1223_308:                           ;   in Loop: Header=BB1223_310 Depth=1
	global_load_ushort v34, v[30:31], off
	global_load_ushort v35, v[32:33], off
	s_add_u32 s52, s52, 1
	s_addc_u32 s53, s53, 0
	s_andn2_b64 s[50:51], s[50:51], exec
	v_lshl_add_u64 v[30:31], v[30:31], 0, 2
	v_lshl_add_u64 v[32:33], v[32:33], 0, 2
	s_waitcnt vmcnt(1)
	v_lshlrev_b32_e32 v34, 16, v34
	s_waitcnt vmcnt(0)
	v_lshlrev_b32_e32 v35, 16, v35
	v_cmp_neq_f32_e32 vcc, v35, v34
	s_and_b64 s[56:57], vcc, exec
	s_or_b64 s[50:51], s[50:51], s[56:57]
.LBB1223_309:                           ;   in Loop: Header=BB1223_310 Depth=1
	s_and_b64 s[56:57], exec, s[50:51]
	s_or_b64 s[48:49], s[56:57], s[48:49]
	v_mov_b64_e32 v[34:35], s[52:53]
	s_andn2_b64 exec, exec, s[48:49]
	s_cbranch_execz .LBB1223_312
.LBB1223_310:                           ; =>This Inner Loop Header: Depth=1
	s_or_b64 s[50:51], s[50:51], exec
	s_cmp_eq_u64 s[46:47], s[52:53]
	s_cbranch_scc0 .LBB1223_308
; %bb.311:                              ;   in Loop: Header=BB1223_310 Depth=1
                                        ; implicit-def: $vgpr30_vgpr31
                                        ; implicit-def: $vgpr32_vgpr33
	s_mov_b64 s[52:53], s[26:27]
	s_branch .LBB1223_309
.LBB1223_312:
	s_or_b64 exec, exec, s[48:49]
	v_cmp_gt_i64_e32 vcc, s[26:27], v[34:35]
	s_orn2_b64 s[46:47], vcc, exec
.LBB1223_313:
	s_or_b64 exec, exec, s[42:43]
.LBB1223_314:
	s_and_b64 s[42:43], s[46:47], exec
.LBB1223_315:
	s_or_b64 exec, exec, s[44:45]
	v_cmp_gt_u32_e32 vcc, s54, v43
	s_and_saveexec_b64 s[44:45], vcc
	s_cbranch_execz .LBB1223_326
; %bb.316:
	s_andn2_b64 vcc, exec, s[6:7]
	s_mov_b64 s[46:47], 0
	s_cbranch_vccnz .LBB1223_325
; %bb.317:
	v_mul_lo_u32 v32, v23, s26
	v_mul_lo_u32 v33, v22, s27
	s_waitcnt vmcnt(0) lgkmcnt(1)
	v_mad_u64_u32 v[30:31], s[40:41], v22, s26, 0
	v_add3_u32 v31, v31, v33, v32
	v_mul_lo_u32 v32, v25, s26
	v_mul_lo_u32 v33, v24, s27
	v_mad_u64_u32 v[34:35], s[40:41], v24, s26, 0
	v_add3_u32 v35, v35, v33, v32
	v_lshl_add_u64 v[32:33], v[30:31], 1, s[36:37]
	v_lshl_add_u64 v[30:31], v[34:35], 1, s[36:37]
	global_load_ushort v34, v[30:31], off
	global_load_ushort v35, v[32:33], off
	s_mov_b64 s[46:47], -1
	s_waitcnt vmcnt(1)
	v_lshlrev_b32_e32 v34, 16, v34
	s_waitcnt vmcnt(0)
	v_lshlrev_b32_e32 v35, 16, v35
	v_cmp_eq_f32_e32 vcc, v35, v34
	s_and_saveexec_b64 s[40:41], vcc
	s_cbranch_execz .LBB1223_324
; %bb.318:
	s_add_u32 s46, s26, -1
	v_lshl_add_u64 v[30:31], v[30:31], 0, 2
	v_lshl_add_u64 v[32:33], v[32:33], 0, 2
	s_addc_u32 s47, s27, -1
	s_mov_b64 s[48:49], 0
	s_mov_b64 s[52:53], 0
                                        ; implicit-def: $sgpr50_sgpr51
	s_branch .LBB1223_321
.LBB1223_319:                           ;   in Loop: Header=BB1223_321 Depth=1
	global_load_ushort v34, v[30:31], off
	global_load_ushort v35, v[32:33], off
	s_add_u32 s52, s52, 1
	s_addc_u32 s53, s53, 0
	s_andn2_b64 s[50:51], s[50:51], exec
	v_lshl_add_u64 v[30:31], v[30:31], 0, 2
	v_lshl_add_u64 v[32:33], v[32:33], 0, 2
	s_waitcnt vmcnt(1)
	v_lshlrev_b32_e32 v34, 16, v34
	s_waitcnt vmcnt(0)
	v_lshlrev_b32_e32 v35, 16, v35
	v_cmp_neq_f32_e32 vcc, v35, v34
	s_and_b64 s[56:57], vcc, exec
	s_or_b64 s[50:51], s[50:51], s[56:57]
.LBB1223_320:                           ;   in Loop: Header=BB1223_321 Depth=1
	s_and_b64 s[56:57], exec, s[50:51]
	s_or_b64 s[48:49], s[56:57], s[48:49]
	v_mov_b64_e32 v[34:35], s[52:53]
	s_andn2_b64 exec, exec, s[48:49]
	s_cbranch_execz .LBB1223_323
.LBB1223_321:                           ; =>This Inner Loop Header: Depth=1
	s_or_b64 s[50:51], s[50:51], exec
	s_cmp_eq_u64 s[46:47], s[52:53]
	s_cbranch_scc0 .LBB1223_319
; %bb.322:                              ;   in Loop: Header=BB1223_321 Depth=1
                                        ; implicit-def: $vgpr30_vgpr31
                                        ; implicit-def: $vgpr32_vgpr33
	s_mov_b64 s[52:53], s[26:27]
	s_branch .LBB1223_320
.LBB1223_323:
	s_or_b64 exec, exec, s[48:49]
	v_cmp_gt_i64_e32 vcc, s[26:27], v[34:35]
	s_orn2_b64 s[46:47], vcc, exec
.LBB1223_324:
	s_or_b64 exec, exec, s[40:41]
.LBB1223_325:
	s_and_b64 s[40:41], s[46:47], exec
.LBB1223_326:
	s_or_b64 exec, exec, s[44:45]
	s_waitcnt vmcnt(0) lgkmcnt(1)
	v_cndmask_b32_e64 v31, 0, 1, s[16:17]
	v_cndmask_b32_e64 v30, 0, 1, s[42:43]
	;; [unrolled: 1-line block ×3, first 2 shown]
	v_lshlrev_b16_e32 v31, 8, v31
	v_cndmask_b32_e64 v39, 0, 1, s[14:15]
	v_cndmask_b32_e64 v32, 0, 1, s[40:41]
	v_or_b32_sdwa v30, v30, v31 dst_sel:WORD_1 dst_unused:UNUSED_PAD src0_sel:DWORD src1_sel:DWORD
	v_lshlrev_b16_e32 v31, 8, v48
	v_lshlrev_b16_e32 v32, 8, v32
	v_or_b32_e32 v31, v39, v31
	v_or_b32_e32 v32, 1, v32
	v_and_b32_e32 v31, 0xffff, v31
	v_cndmask_b32_e64 v49, 0, 1, s[4:5]
	v_or_b32_sdwa v30, v32, v30 dst_sel:DWORD dst_unused:UNUSED_PAD src0_sel:WORD_0 src1_sel:DWORD
	v_lshl_or_b32 v31, v49, 16, v31
	s_waitcnt lgkmcnt(0)
	s_barrier
	s_waitcnt lgkmcnt(0)
                                        ; implicit-def: $sgpr14_sgpr15
                                        ; implicit-def: $vgpr34
	s_and_saveexec_b64 s[4:5], s[2:3]
	s_cbranch_execz .LBB1223_339
; %bb.327:
	v_cmp_gt_u32_e32 vcc, s54, v1
	s_mov_b32 s40, 0x3020104
	s_mov_b64 s[12:13], 0
	s_and_saveexec_b64 s[2:3], vcc
	s_cbranch_execz .LBB1223_338
; %bb.328:
	s_andn2_b64 vcc, exec, s[6:7]
	s_cbranch_vccnz .LBB1223_337
; %bb.329:
	v_add_u32_e32 v31, -8, v38
	ds_read_b64 v[32:33], v31
	v_mul_lo_u32 v31, v23, s26
	v_mad_u64_u32 v[36:37], s[6:7], v22, s26, 0
	s_mov_b64 s[12:13], -1
	s_waitcnt lgkmcnt(0)
	v_mul_lo_u32 v34, v33, s26
	v_mul_lo_u32 v35, v32, s27
	v_mad_u64_u32 v[32:33], s[6:7], v32, s26, 0
	v_add3_u32 v33, v33, v35, v34
	v_mul_lo_u32 v34, v22, s27
	v_add3_u32 v37, v37, v34, v31
	v_lshl_add_u64 v[34:35], v[32:33], 1, s[36:37]
	v_lshl_add_u64 v[32:33], v[36:37], 1, s[36:37]
	global_load_ushort v31, v[32:33], off
	global_load_ushort v36, v[34:35], off
	s_waitcnt vmcnt(1)
	v_lshlrev_b32_e32 v31, 16, v31
	s_waitcnt vmcnt(0)
	v_lshlrev_b32_e32 v36, 16, v36
	v_cmp_eq_f32_e32 vcc, v36, v31
	s_and_saveexec_b64 s[6:7], vcc
	s_cbranch_execz .LBB1223_336
; %bb.330:
	s_add_u32 s12, s26, -1
	v_lshl_add_u64 v[32:33], v[32:33], 0, 2
	v_lshl_add_u64 v[34:35], v[34:35], 0, 2
	s_addc_u32 s13, s27, -1
	s_mov_b64 s[14:15], 0
	s_mov_b64 s[36:37], 0
                                        ; implicit-def: $sgpr16_sgpr17
	s_branch .LBB1223_333
.LBB1223_331:                           ;   in Loop: Header=BB1223_333 Depth=1
	global_load_ushort v31, v[32:33], off
	global_load_ushort v36, v[34:35], off
	s_add_u32 s36, s36, 1
	s_addc_u32 s37, s37, 0
	s_andn2_b64 s[16:17], s[16:17], exec
	v_lshl_add_u64 v[32:33], v[32:33], 0, 2
	v_lshl_add_u64 v[34:35], v[34:35], 0, 2
	s_waitcnt vmcnt(1)
	v_lshlrev_b32_e32 v31, 16, v31
	s_waitcnt vmcnt(0)
	v_lshlrev_b32_e32 v36, 16, v36
	v_cmp_neq_f32_e32 vcc, v36, v31
	s_and_b64 s[42:43], vcc, exec
	s_or_b64 s[16:17], s[16:17], s[42:43]
.LBB1223_332:                           ;   in Loop: Header=BB1223_333 Depth=1
	s_and_b64 s[42:43], exec, s[16:17]
	s_or_b64 s[14:15], s[42:43], s[14:15]
	v_mov_b64_e32 v[36:37], s[36:37]
	s_andn2_b64 exec, exec, s[14:15]
	s_cbranch_execz .LBB1223_335
.LBB1223_333:                           ; =>This Inner Loop Header: Depth=1
	s_or_b64 s[16:17], s[16:17], exec
	s_cmp_eq_u64 s[12:13], s[36:37]
	s_cbranch_scc0 .LBB1223_331
; %bb.334:                              ;   in Loop: Header=BB1223_333 Depth=1
                                        ; implicit-def: $vgpr32_vgpr33
                                        ; implicit-def: $vgpr34_vgpr35
	s_mov_b64 s[36:37], s[26:27]
	s_branch .LBB1223_332
.LBB1223_335:
	s_or_b64 exec, exec, s[14:15]
	v_cmp_gt_i64_e32 vcc, s[26:27], v[36:37]
	s_orn2_b64 s[12:13], vcc, exec
.LBB1223_336:
	s_or_b64 exec, exec, s[6:7]
.LBB1223_337:
	s_and_b64 s[12:13], s[12:13], exec
.LBB1223_338:
	s_or_b64 exec, exec, s[2:3]
	v_perm_b32 v34, v30, v30, s40
	s_and_b64 s[14:15], s[12:13], exec
	s_or_b64 s[10:11], s[10:11], exec
                                        ; implicit-def: $vgpr30_vgpr31
.LBB1223_339:
	s_or_b64 exec, exec, s[4:5]
.LBB1223_340:
	s_and_saveexec_b64 s[2:3], s[10:11]
	s_cbranch_execz .LBB1223_342
; %bb.341:
	s_waitcnt vmcnt(0) lgkmcnt(0)
	v_lshlrev_b16_e32 v31, 8, v48
	v_and_b32_e32 v32, 0xff, v49
	v_or_b32_sdwa v31, v39, v31 dst_sel:DWORD dst_unused:UNUSED_PAD src0_sel:BYTE_0 src1_sel:DWORD
	v_lshlrev_b32_e32 v32, 16, v32
	s_movk_i32 s4, 0xff
	v_or_b32_sdwa v31, v31, v32 dst_sel:DWORD dst_unused:UNUSED_PAD src0_sel:WORD_0 src1_sel:DWORD
	v_lshrrev_b32_e32 v32, 24, v34
	v_lshlrev_b16_e32 v32, 8, v32
	v_and_b32_sdwa v33, v34, s4 dst_sel:DWORD dst_unused:UNUSED_PAD src0_sel:WORD_1 src1_sel:DWORD
	v_or_b32_sdwa v32, v33, v32 dst_sel:WORD_1 dst_unused:UNUSED_PAD src0_sel:DWORD src1_sel:DWORD
	v_mov_b32_e32 v33, 8
	v_cndmask_b32_e64 v30, 0, 1, s[14:15]
	v_lshrrev_b32_sdwa v33, v33, v34 dst_sel:BYTE_1 dst_unused:UNUSED_PAD src0_sel:DWORD src1_sel:DWORD
	s_nop 0
	v_or_b32_e32 v30, v30, v33
	v_or_b32_sdwa v30, v30, v32 dst_sel:DWORD dst_unused:UNUSED_PAD src0_sel:WORD_0 src1_sel:DWORD
.LBB1223_342:
	s_or_b64 exec, exec, s[2:3]
	s_andn2_b64 vcc, exec, s[8:9]
	s_cbranch_vccnz .LBB1223_344
; %bb.343:
	s_waitcnt vmcnt(0) lgkmcnt(0)
	v_and_b32_e32 v32, 0xffff0000, v30
	v_cmp_gt_u32_e32 vcc, s54, v1
	s_mov_b32 s2, 0x40c0100
	s_nop 0
	v_cndmask_b32_e32 v1, v32, v30, vcc
	v_and_b32_e32 v1, 0xffff00ff, v1
	v_cmp_gt_u32_e32 vcc, s54, v43
	s_nop 1
	v_cndmask_b32_e32 v1, v1, v30, vcc
	v_lshrrev_b32_e32 v32, 24, v1
	v_perm_b32 v1, v32, v1, s2
	v_cmp_gt_u32_e32 vcc, s54, v40
	v_and_b32_e32 v32, 0xffffff00, v31
	s_nop 0
	v_cndmask_b32_e32 v1, v1, v30, vcc
	v_and_b32_e32 v1, 0xffffff, v1
	v_cmp_gt_u32_e32 vcc, s54, v44
	s_nop 1
	v_cndmask_b32_e32 v1, v1, v30, vcc
	v_cmp_gt_u32_e32 vcc, s54, v41
	s_nop 1
	v_cndmask_b32_e32 v32, v32, v31, vcc
	v_and_b32_e32 v32, 0xffff00ff, v32
	v_cndmask_b32_e32 v1, v1, v30, vcc
	v_cmp_gt_u32_e32 vcc, s54, v45
	s_nop 1
	v_cndmask_b32_e32 v32, v32, v31, vcc
	v_lshrrev_b32_e32 v33, 24, v32
	v_cndmask_b32_e32 v1, v1, v30, vcc
	v_perm_b32 v32, v33, v32, s2
	v_cmp_gt_u32_e32 vcc, s54, v42
	s_mov_b32 s2, 0x3020104
	s_nop 0
	v_cndmask_b32_e32 v1, v1, v30, vcc
	v_cndmask_b32_e32 v30, v32, v31, vcc
	v_mov_b32_e32 v31, 8
	v_lshrrev_b32_sdwa v31, v31, v30 dst_sel:BYTE_1 dst_unused:UNUSED_PAD src0_sel:DWORD src1_sel:DWORD
	s_nop 0
	v_or_b32_sdwa v31, v30, v31 dst_sel:DWORD dst_unused:UNUSED_PAD src0_sel:BYTE_0 src1_sel:DWORD
	v_and_b32_e32 v31, 0xffff, v31
	v_bfe_u32 v30, v30, 16, 8
	v_lshl_or_b32 v31, v30, 16, v31
	v_perm_b32 v30, v1, v1, s2
.LBB1223_344:
	s_waitcnt vmcnt(0) lgkmcnt(0)
	v_and_b32_e32 v1, 0xff, v30
	v_bfe_u32 v43, v30, 8, 8
	v_bfe_u32 v45, v30, 16, 8
	v_alignbit_b32 v32, v31, v30, 24
	v_and_b32_e32 v47, 0xff, v32
	v_and_b32_e32 v48, 0xff, v31
	v_add3_u32 v33, v43, v1, v45
	v_bfe_u32 v49, v31, 8, 8
	v_bfe_u32 v32, v31, 16, 8
	v_add3_u32 v33, v33, v47, v48
	v_add3_u32 v52, v33, v49, v32
	v_mbcnt_lo_u32_b32 v32, -1, 0
	v_mbcnt_hi_u32_b32 v50, -1, v32
	v_and_b32_e32 v32, 15, v50
	v_cmp_eq_u32_e64 s[14:15], 0, v32
	v_cmp_lt_u32_e64 s[12:13], 1, v32
	v_cmp_lt_u32_e64 s[10:11], 3, v32
	;; [unrolled: 1-line block ×3, first 2 shown]
	v_and_b32_e32 v32, 16, v50
	v_cmp_eq_u32_e64 s[6:7], 0, v32
	v_or_b32_e32 v32, 63, v0
	v_cmp_lt_u32_e64 s[2:3], 31, v50
	v_lshrrev_b32_e32 v51, 6, v0
	v_cmp_eq_u32_e64 s[4:5], v32, v0
	s_and_b64 vcc, exec, s[0:1]
	s_barrier
	s_cbranch_vccz .LBB1223_375
; %bb.345:
	v_mov_b32_dpp v32, v52 row_shr:1 row_mask:0xf bank_mask:0xf
	v_cndmask_b32_e64 v32, v32, 0, s[14:15]
	v_add_u32_e32 v32, v32, v52
	s_nop 1
	v_mov_b32_dpp v33, v32 row_shr:2 row_mask:0xf bank_mask:0xf
	v_cndmask_b32_e64 v33, 0, v33, s[12:13]
	v_add_u32_e32 v32, v32, v33
	s_nop 1
	;; [unrolled: 4-line block ×4, first 2 shown]
	v_mov_b32_dpp v33, v32 row_bcast:15 row_mask:0xf bank_mask:0xf
	v_cndmask_b32_e64 v33, v33, 0, s[6:7]
	v_add_u32_e32 v32, v32, v33
	s_nop 1
	v_mov_b32_dpp v33, v32 row_bcast:31 row_mask:0xf bank_mask:0xf
	v_cndmask_b32_e64 v33, 0, v33, s[2:3]
	v_add_u32_e32 v32, v32, v33
	s_and_saveexec_b64 s[0:1], s[4:5]
	s_cbranch_execz .LBB1223_347
; %bb.346:
	v_lshlrev_b32_e32 v33, 2, v51
	ds_write_b32 v33, v32
.LBB1223_347:
	s_or_b64 exec, exec, s[0:1]
	v_cmp_gt_u32_e32 vcc, 8, v0
	s_waitcnt lgkmcnt(0)
	s_barrier
	s_and_saveexec_b64 s[0:1], vcc
	s_cbranch_execz .LBB1223_349
; %bb.348:
	v_lshlrev_b32_e32 v33, 2, v0
	ds_read_b32 v34, v33
	v_and_b32_e32 v35, 7, v50
	v_cmp_ne_u32_e32 vcc, 0, v35
	s_waitcnt lgkmcnt(0)
	v_mov_b32_dpp v36, v34 row_shr:1 row_mask:0xf bank_mask:0xf
	v_cndmask_b32_e32 v36, 0, v36, vcc
	v_add_u32_e32 v34, v36, v34
	v_cmp_lt_u32_e32 vcc, 1, v35
	s_nop 0
	v_mov_b32_dpp v36, v34 row_shr:2 row_mask:0xf bank_mask:0xf
	v_cndmask_b32_e32 v36, 0, v36, vcc
	v_add_u32_e32 v34, v34, v36
	v_cmp_lt_u32_e32 vcc, 3, v35
	s_nop 0
	v_mov_b32_dpp v36, v34 row_shr:4 row_mask:0xf bank_mask:0xf
	v_cndmask_b32_e32 v35, 0, v36, vcc
	v_add_u32_e32 v34, v34, v35
	ds_write_b32 v33, v34
.LBB1223_349:
	s_or_b64 exec, exec, s[0:1]
	v_cmp_gt_u32_e32 vcc, 64, v0
	v_cmp_lt_u32_e64 s[0:1], 63, v0
	s_waitcnt lgkmcnt(0)
	s_barrier
	s_waitcnt lgkmcnt(0)
                                        ; implicit-def: $vgpr42
	s_and_saveexec_b64 s[16:17], s[0:1]
	s_cbranch_execz .LBB1223_351
; %bb.350:
	v_lshl_add_u32 v33, v51, 2, -4
	ds_read_b32 v42, v33
	s_waitcnt lgkmcnt(0)
	v_add_u32_e32 v32, v42, v32
.LBB1223_351:
	s_or_b64 exec, exec, s[16:17]
	v_add_u32_e32 v33, -1, v50
	v_and_b32_e32 v34, 64, v50
	v_cmp_lt_i32_e64 s[0:1], v33, v34
	v_cmp_eq_u32_e64 s[16:17], 0, v50
	s_nop 0
	v_cndmask_b32_e64 v33, v33, v50, s[0:1]
	v_lshlrev_b32_e32 v33, 2, v33
	ds_bpermute_b32 v44, v33, v32
	s_and_saveexec_b64 s[0:1], vcc
	s_cbranch_execz .LBB1223_374
; %bb.352:
	v_mov_b32_e32 v41, 0
	ds_read_b32 v32, v41 offset:28
	s_and_saveexec_b64 s[26:27], s[16:17]
	s_cbranch_execz .LBB1223_354
; %bb.353:
	s_add_i32 s36, s33, 64
	s_mov_b32 s37, 0
	s_lshl_b64 s[36:37], s[36:37], 3
	s_add_u32 s36, s38, s36
	v_mov_b32_e32 v33, 1
	s_addc_u32 s37, s39, s37
	s_waitcnt lgkmcnt(0)
	global_store_dwordx2 v41, v[32:33], s[36:37] sc1
.LBB1223_354:
	s_or_b64 exec, exec, s[26:27]
	v_xad_u32 v34, v50, -1, s33
	v_add_u32_e32 v40, 64, v34
	v_lshl_add_u64 v[36:37], v[40:41], 3, s[38:39]
	global_load_dwordx2 v[38:39], v[36:37], off sc1
	s_waitcnt vmcnt(0)
	v_cmp_eq_u16_sdwa s[36:37], v39, v41 src0_sel:BYTE_0 src1_sel:DWORD
	s_and_saveexec_b64 s[26:27], s[36:37]
	s_cbranch_execz .LBB1223_360
; %bb.355:
	s_mov_b32 s40, 1
	s_mov_b64 s[36:37], 0
	v_mov_b32_e32 v33, 0
.LBB1223_356:                           ; =>This Loop Header: Depth=1
                                        ;     Child Loop BB1223_357 Depth 2
	s_max_u32 s41, s40, 1
.LBB1223_357:                           ;   Parent Loop BB1223_356 Depth=1
                                        ; =>  This Inner Loop Header: Depth=2
	s_add_i32 s41, s41, -1
	s_cmp_eq_u32 s41, 0
	s_sleep 1
	s_cbranch_scc0 .LBB1223_357
; %bb.358:                              ;   in Loop: Header=BB1223_356 Depth=1
	global_load_dwordx2 v[38:39], v[36:37], off sc1
	s_cmp_lt_u32 s40, 32
	s_cselect_b64 s[42:43], -1, 0
	s_cmp_lg_u64 s[42:43], 0
	s_addc_u32 s40, s40, 0
	s_waitcnt vmcnt(0)
	v_cmp_ne_u16_sdwa s[42:43], v39, v33 src0_sel:BYTE_0 src1_sel:DWORD
	s_or_b64 s[36:37], s[42:43], s[36:37]
	s_andn2_b64 exec, exec, s[36:37]
	s_cbranch_execnz .LBB1223_356
; %bb.359:
	s_or_b64 exec, exec, s[36:37]
.LBB1223_360:
	s_or_b64 exec, exec, s[26:27]
	v_and_b32_e32 v46, 63, v50
	v_mov_b32_e32 v33, 2
	v_cmp_ne_u32_e32 vcc, 63, v46
	v_cmp_eq_u16_sdwa s[26:27], v39, v33 src0_sel:BYTE_0 src1_sel:DWORD
	v_lshlrev_b64 v[36:37], v50, -1
	v_addc_co_u32_e32 v41, vcc, 0, v50, vcc
	v_and_b32_e32 v35, s27, v37
	v_lshlrev_b32_e32 v53, 2, v41
	v_or_b32_e32 v35, 0x80000000, v35
	ds_bpermute_b32 v41, v53, v38
	v_and_b32_e32 v40, s26, v36
	v_ffbl_b32_e32 v35, v35
	v_add_u32_e32 v35, 32, v35
	v_ffbl_b32_e32 v40, v40
	v_min_u32_e32 v35, v40, v35
	v_cmp_lt_u32_e32 vcc, v46, v35
	v_add_u32_e32 v55, 2, v46
	v_add_u32_e32 v57, 4, v46
	s_waitcnt lgkmcnt(0)
	v_cndmask_b32_e32 v40, 0, v41, vcc
	v_cmp_gt_u32_e32 vcc, 62, v46
	v_add_u32_e32 v38, v40, v38
	v_add_u32_e32 v59, 8, v46
	v_cndmask_b32_e64 v40, 0, 1, vcc
	v_lshlrev_b32_e32 v40, 1, v40
	v_add_lshl_u32 v54, v40, v50, 2
	ds_bpermute_b32 v40, v54, v38
	v_cmp_le_u32_e32 vcc, v55, v35
	v_add_u32_e32 v62, 16, v46
	v_add_u32_e32 v64, 32, v46
	s_waitcnt lgkmcnt(0)
	v_cndmask_b32_e32 v40, 0, v40, vcc
	v_cmp_gt_u32_e32 vcc, 60, v46
	v_add_u32_e32 v38, v38, v40
	s_nop 0
	v_cndmask_b32_e64 v40, 0, 1, vcc
	v_lshlrev_b32_e32 v40, 2, v40
	v_add_lshl_u32 v56, v40, v50, 2
	ds_bpermute_b32 v40, v56, v38
	v_cmp_le_u32_e32 vcc, v57, v35
	s_waitcnt lgkmcnt(0)
	s_nop 0
	v_cndmask_b32_e32 v40, 0, v40, vcc
	v_cmp_gt_u32_e32 vcc, 56, v46
	v_add_u32_e32 v38, v38, v40
	s_nop 0
	v_cndmask_b32_e64 v40, 0, 1, vcc
	v_lshlrev_b32_e32 v40, 3, v40
	v_add_lshl_u32 v58, v40, v50, 2
	ds_bpermute_b32 v40, v58, v38
	v_cmp_le_u32_e32 vcc, v59, v35
	s_waitcnt lgkmcnt(0)
	s_nop 0
	;; [unrolled: 11-line block ×4, first 2 shown]
	v_cndmask_b32_e32 v35, 0, v40, vcc
	v_add_u32_e32 v38, v38, v35
	v_mov_b32_e32 v35, 0
	s_branch .LBB1223_362
.LBB1223_361:                           ;   in Loop: Header=BB1223_362 Depth=1
	s_or_b64 exec, exec, s[26:27]
	v_cmp_eq_u16_sdwa s[26:27], v39, v33 src0_sel:BYTE_0 src1_sel:DWORD
	ds_bpermute_b32 v65, v53, v38
	v_subrev_u32_e32 v34, 64, v34
	v_and_b32_e32 v40, s27, v37
	v_or_b32_e32 v40, 0x80000000, v40
	v_and_b32_e32 v41, s26, v36
	v_ffbl_b32_e32 v40, v40
	v_add_u32_e32 v40, 32, v40
	v_ffbl_b32_e32 v41, v41
	v_min_u32_e32 v40, v41, v40
	v_cmp_lt_u32_e32 vcc, v46, v40
	s_waitcnt lgkmcnt(0)
	s_nop 0
	v_cndmask_b32_e32 v41, 0, v65, vcc
	v_add_u32_e32 v38, v41, v38
	ds_bpermute_b32 v41, v54, v38
	v_cmp_le_u32_e32 vcc, v55, v40
	s_waitcnt lgkmcnt(0)
	s_nop 0
	v_cndmask_b32_e32 v41, 0, v41, vcc
	v_add_u32_e32 v38, v38, v41
	ds_bpermute_b32 v41, v56, v38
	v_cmp_le_u32_e32 vcc, v57, v40
	;; [unrolled: 6-line block ×5, first 2 shown]
	s_waitcnt lgkmcnt(0)
	s_nop 0
	v_cndmask_b32_e32 v40, 0, v41, vcc
	v_add3_u32 v38, v40, v60, v38
.LBB1223_362:                           ; =>This Loop Header: Depth=1
                                        ;     Child Loop BB1223_365 Depth 2
                                        ;       Child Loop BB1223_366 Depth 3
	v_cmp_ne_u16_sdwa s[26:27], v39, v33 src0_sel:BYTE_0 src1_sel:DWORD
	v_mov_b32_e32 v60, v38
	s_nop 0
	v_cndmask_b32_e64 v39, 0, 1, s[26:27]
	;;#ASMSTART
	;;#ASMEND
	s_nop 0
	v_cmp_ne_u32_e32 vcc, 0, v39
	s_cmp_lg_u64 vcc, exec
	s_cbranch_scc1 .LBB1223_369
; %bb.363:                              ;   in Loop: Header=BB1223_362 Depth=1
	v_lshl_add_u64 v[40:41], v[34:35], 3, s[38:39]
	global_load_dwordx2 v[38:39], v[40:41], off sc1
	s_waitcnt vmcnt(0)
	v_cmp_eq_u16_sdwa s[36:37], v39, v35 src0_sel:BYTE_0 src1_sel:DWORD
	s_and_saveexec_b64 s[26:27], s[36:37]
	s_cbranch_execz .LBB1223_361
; %bb.364:                              ;   in Loop: Header=BB1223_362 Depth=1
	s_mov_b32 s40, 1
	s_mov_b64 s[36:37], 0
.LBB1223_365:                           ;   Parent Loop BB1223_362 Depth=1
                                        ; =>  This Loop Header: Depth=2
                                        ;       Child Loop BB1223_366 Depth 3
	s_max_u32 s41, s40, 1
.LBB1223_366:                           ;   Parent Loop BB1223_362 Depth=1
                                        ;     Parent Loop BB1223_365 Depth=2
                                        ; =>    This Inner Loop Header: Depth=3
	s_add_i32 s41, s41, -1
	s_cmp_eq_u32 s41, 0
	s_sleep 1
	s_cbranch_scc0 .LBB1223_366
; %bb.367:                              ;   in Loop: Header=BB1223_365 Depth=2
	global_load_dwordx2 v[38:39], v[40:41], off sc1
	s_cmp_lt_u32 s40, 32
	s_cselect_b64 s[42:43], -1, 0
	s_cmp_lg_u64 s[42:43], 0
	s_addc_u32 s40, s40, 0
	s_waitcnt vmcnt(0)
	v_cmp_ne_u16_sdwa s[42:43], v39, v35 src0_sel:BYTE_0 src1_sel:DWORD
	s_or_b64 s[36:37], s[42:43], s[36:37]
	s_andn2_b64 exec, exec, s[36:37]
	s_cbranch_execnz .LBB1223_365
; %bb.368:                              ;   in Loop: Header=BB1223_362 Depth=1
	s_or_b64 exec, exec, s[36:37]
	s_branch .LBB1223_361
.LBB1223_369:                           ;   in Loop: Header=BB1223_362 Depth=1
                                        ; implicit-def: $vgpr38
                                        ; implicit-def: $vgpr39
	s_cbranch_execz .LBB1223_362
; %bb.370:
	s_and_saveexec_b64 s[26:27], s[16:17]
	s_cbranch_execz .LBB1223_372
; %bb.371:
	s_add_i32 s36, s33, 64
	s_mov_b32 s37, 0
	s_lshl_b64 s[36:37], s[36:37], 3
	s_add_u32 s36, s38, s36
	v_add_u32_e32 v34, v60, v32
	v_mov_b32_e32 v35, 2
	s_addc_u32 s37, s39, s37
	v_mov_b32_e32 v33, 0
	s_movk_i32 s33, 0x7000
	global_store_dwordx2 v33, v[34:35], s[36:37] sc1
	v_add_u32_e64 v33, s33, 0
	ds_write2_b32 v33, v32, v60 offset1:2
.LBB1223_372:
	s_or_b64 exec, exec, s[26:27]
	s_and_b64 exec, exec, s[18:19]
	s_cbranch_execz .LBB1223_374
; %bb.373:
	v_mov_b32_e32 v32, 0
	ds_write_b32 v32, v60 offset:28
.LBB1223_374:
	s_or_b64 exec, exec, s[0:1]
	v_mov_b32_e32 v32, 0
	s_waitcnt lgkmcnt(0)
	s_barrier
	ds_read_b32 v32, v32 offset:28
	v_cndmask_b32_e64 v33, v44, v42, s[16:17]
	v_cndmask_b32_e64 v33, v33, 0, s[18:19]
	s_movk_i32 s0, 0x7000
	s_waitcnt lgkmcnt(0)
	v_add_u32_e32 v46, v32, v33
	v_add_u32_e64 v32, s0, 0
	v_add_u32_e32 v44, v46, v1
	s_barrier
	ds_read2_b32 v[32:33], v32 offset1:2
	v_add_u32_e32 v42, v44, v43
	v_add_u32_e32 v40, v42, v45
	;; [unrolled: 1-line block ×5, first 2 shown]
	s_waitcnt lgkmcnt(0)
	v_readfirstlane_b32 s26, v32
	v_readfirstlane_b32 s16, v33
	v_lshrrev_b64 v[32:33], 24, v[30:31]
	s_branch .LBB1223_385
.LBB1223_375:
                                        ; implicit-def: $vgpr34
                                        ; implicit-def: $vgpr36
                                        ; implicit-def: $vgpr38
                                        ; implicit-def: $vgpr40
                                        ; implicit-def: $vgpr42
                                        ; implicit-def: $vgpr44
                                        ; implicit-def: $vgpr46
                                        ; implicit-def: $sgpr16
                                        ; implicit-def: $sgpr26
	v_lshrrev_b64 v[32:33], 24, v[30:31]
	s_cbranch_execz .LBB1223_385
; %bb.376:
	s_nop 0
	v_mov_b32_dpp v33, v52 row_shr:1 row_mask:0xf bank_mask:0xf
	v_cndmask_b32_e64 v33, v33, 0, s[14:15]
	v_add_u32_e32 v33, v33, v52
	s_nop 1
	v_mov_b32_dpp v34, v33 row_shr:2 row_mask:0xf bank_mask:0xf
	v_cndmask_b32_e64 v34, 0, v34, s[12:13]
	v_add_u32_e32 v33, v33, v34
	;; [unrolled: 4-line block ×4, first 2 shown]
	s_nop 1
	v_mov_b32_dpp v34, v33 row_bcast:15 row_mask:0xf bank_mask:0xf
	v_cndmask_b32_e64 v34, v34, 0, s[6:7]
	v_add_u32_e32 v33, v33, v34
	s_nop 1
	v_mov_b32_dpp v34, v33 row_bcast:31 row_mask:0xf bank_mask:0xf
	v_cndmask_b32_e64 v34, 0, v34, s[2:3]
	v_add_u32_e32 v33, v33, v34
	s_and_saveexec_b64 s[0:1], s[4:5]
	s_cbranch_execz .LBB1223_378
; %bb.377:
	v_lshlrev_b32_e32 v34, 2, v51
	ds_write_b32 v34, v33
.LBB1223_378:
	s_or_b64 exec, exec, s[0:1]
	v_cmp_gt_u32_e32 vcc, 8, v0
	s_waitcnt lgkmcnt(0)
	s_barrier
	s_and_saveexec_b64 s[0:1], vcc
	s_cbranch_execz .LBB1223_380
; %bb.379:
	v_lshlrev_b32_e32 v34, 2, v0
	ds_read_b32 v35, v34
	v_and_b32_e32 v36, 7, v50
	v_cmp_ne_u32_e32 vcc, 0, v36
	s_waitcnt lgkmcnt(0)
	v_mov_b32_dpp v37, v35 row_shr:1 row_mask:0xf bank_mask:0xf
	v_cndmask_b32_e32 v37, 0, v37, vcc
	v_add_u32_e32 v35, v37, v35
	v_cmp_lt_u32_e32 vcc, 1, v36
	s_nop 0
	v_mov_b32_dpp v37, v35 row_shr:2 row_mask:0xf bank_mask:0xf
	v_cndmask_b32_e32 v37, 0, v37, vcc
	v_add_u32_e32 v35, v35, v37
	v_cmp_lt_u32_e32 vcc, 3, v36
	s_nop 0
	v_mov_b32_dpp v37, v35 row_shr:4 row_mask:0xf bank_mask:0xf
	v_cndmask_b32_e32 v36, 0, v37, vcc
	v_add_u32_e32 v35, v35, v36
	ds_write_b32 v34, v35
.LBB1223_380:
	s_or_b64 exec, exec, s[0:1]
	v_cmp_lt_u32_e32 vcc, 63, v0
	v_mov_b32_e32 v35, 0
	v_mov_b32_e32 v34, 0
	s_waitcnt lgkmcnt(0)
	s_barrier
	s_and_saveexec_b64 s[0:1], vcc
	s_cbranch_execz .LBB1223_382
; %bb.381:
	v_lshl_add_u32 v34, v51, 2, -4
	ds_read_b32 v34, v34
.LBB1223_382:
	s_or_b64 exec, exec, s[0:1]
	v_add_u32_e32 v36, -1, v50
	v_and_b32_e32 v37, 64, v50
	v_cmp_lt_i32_e32 vcc, v36, v37
	s_waitcnt lgkmcnt(0)
	v_add_u32_e32 v33, v34, v33
	ds_read_b32 v35, v35 offset:28
	v_cndmask_b32_e32 v36, v36, v50, vcc
	v_lshlrev_b32_e32 v36, 2, v36
	ds_bpermute_b32 v33, v36, v33
	s_waitcnt lgkmcnt(1)
	v_readfirstlane_b32 s26, v35
	s_and_saveexec_b64 s[0:1], s[18:19]
	s_cbranch_execz .LBB1223_384
; %bb.383:
	v_mov_b32_e32 v35, 0
	v_mov_b32_e32 v36, s26
	;; [unrolled: 1-line block ×3, first 2 shown]
	global_store_dwordx2 v35, v[36:37], s[38:39] offset:512 sc1
.LBB1223_384:
	s_or_b64 exec, exec, s[0:1]
	v_cmp_eq_u32_e32 vcc, 0, v50
	s_mov_b32 s16, 0
	s_waitcnt lgkmcnt(0)
	v_cndmask_b32_e32 v33, v33, v34, vcc
	v_cndmask_b32_e64 v46, v33, 0, s[18:19]
	v_add_u32_e32 v44, v46, v1
	v_add_u32_e32 v42, v44, v43
	;; [unrolled: 1-line block ×6, first 2 shown]
	s_barrier
.LBB1223_385:
	s_cmpk_lt_u32 s26, 0x201
	s_cselect_b64 s[2:3], -1, 0
	v_lshrrev_b32_e32 v33, 8, v30
	v_lshrrev_b32_e32 v1, 8, v31
	s_mov_b64 s[0:1], -1
	s_and_b64 vcc, exec, s[2:3]
	s_cbranch_vccz .LBB1223_408
; %bb.386:
	s_add_i32 s4, s16, s26
	v_cmp_gt_u32_e32 vcc, s4, v46
	s_or_b64 s[6:7], s[34:35], vcc
	s_and_saveexec_b64 s[0:1], s[6:7]
	s_cbranch_execz .LBB1223_389
; %bb.387:
	v_and_b32_e32 v35, 1, v30
	v_cmp_eq_u32_e32 vcc, 1, v35
	s_and_b64 exec, exec, vcc
	s_cbranch_execz .LBB1223_389
; %bb.388:
	s_lshl_b64 s[6:7], s[22:23], 3
	s_add_u32 s6, s28, s6
	s_addc_u32 s7, s29, s7
	v_mov_b32_e32 v47, 0
	v_lshl_add_u64 v[48:49], v[46:47], 3, s[6:7]
	global_store_dwordx2 v[48:49], v[22:23], off
.LBB1223_389:
	s_or_b64 exec, exec, s[0:1]
	v_cmp_gt_u32_e32 vcc, s4, v44
	s_or_b64 s[6:7], s[34:35], vcc
	s_and_saveexec_b64 s[0:1], s[6:7]
	s_cbranch_execz .LBB1223_392
; %bb.390:
	v_and_b32_e32 v35, 1, v33
	v_cmp_eq_u32_e32 vcc, 1, v35
	s_and_b64 exec, exec, vcc
	s_cbranch_execz .LBB1223_392
; %bb.391:
	s_lshl_b64 s[6:7], s[22:23], 3
	s_add_u32 s6, s28, s6
	s_addc_u32 s7, s29, s7
	v_mov_b32_e32 v45, 0
	v_lshl_add_u64 v[48:49], v[44:45], 3, s[6:7]
	global_store_dwordx2 v[48:49], v[24:25], off
.LBB1223_392:
	s_or_b64 exec, exec, s[0:1]
	v_cmp_gt_u32_e32 vcc, s4, v42
	s_or_b64 s[6:7], s[34:35], vcc
	s_and_saveexec_b64 s[0:1], s[6:7]
	s_cbranch_execz .LBB1223_395
; %bb.393:
	v_mov_b32_e32 v35, 1
	v_and_b32_sdwa v35, v35, v30 dst_sel:DWORD dst_unused:UNUSED_PAD src0_sel:DWORD src1_sel:WORD_1
	v_cmp_eq_u32_e32 vcc, 1, v35
	s_and_b64 exec, exec, vcc
	s_cbranch_execz .LBB1223_395
; %bb.394:
	s_lshl_b64 s[6:7], s[22:23], 3
	s_add_u32 s6, s28, s6
	s_addc_u32 s7, s29, s7
	v_mov_b32_e32 v43, 0
	v_lshl_add_u64 v[48:49], v[42:43], 3, s[6:7]
	global_store_dwordx2 v[48:49], v[18:19], off
.LBB1223_395:
	s_or_b64 exec, exec, s[0:1]
	v_cmp_gt_u32_e32 vcc, s4, v40
	s_or_b64 s[6:7], s[34:35], vcc
	s_and_saveexec_b64 s[0:1], s[6:7]
	s_cbranch_execz .LBB1223_398
; %bb.396:
	v_and_b32_e32 v35, 1, v32
	v_cmp_eq_u32_e32 vcc, 1, v35
	s_and_b64 exec, exec, vcc
	s_cbranch_execz .LBB1223_398
; %bb.397:
	s_lshl_b64 s[6:7], s[22:23], 3
	s_add_u32 s6, s28, s6
	s_addc_u32 s7, s29, s7
	v_mov_b32_e32 v41, 0
	v_lshl_add_u64 v[48:49], v[40:41], 3, s[6:7]
	global_store_dwordx2 v[48:49], v[20:21], off
.LBB1223_398:
	s_or_b64 exec, exec, s[0:1]
	v_cmp_gt_u32_e32 vcc, s4, v38
	s_or_b64 s[6:7], s[34:35], vcc
	s_and_saveexec_b64 s[0:1], s[6:7]
	s_cbranch_execz .LBB1223_401
; %bb.399:
	v_and_b32_e32 v35, 1, v31
	v_cmp_eq_u32_e32 vcc, 1, v35
	s_and_b64 exec, exec, vcc
	s_cbranch_execz .LBB1223_401
; %bb.400:
	s_lshl_b64 s[6:7], s[22:23], 3
	s_add_u32 s6, s28, s6
	s_addc_u32 s7, s29, s7
	v_mov_b32_e32 v39, 0
	v_lshl_add_u64 v[48:49], v[38:39], 3, s[6:7]
	global_store_dwordx2 v[48:49], v[14:15], off
.LBB1223_401:
	;; [unrolled: 18-line block ×3, first 2 shown]
	s_or_b64 exec, exec, s[0:1]
	v_cmp_gt_u32_e32 vcc, s4, v34
	s_or_b64 s[4:5], s[34:35], vcc
	s_and_saveexec_b64 s[0:1], s[4:5]
	s_cbranch_execz .LBB1223_407
; %bb.405:
	v_mov_b32_e32 v35, 1
	v_and_b32_sdwa v35, v35, v31 dst_sel:DWORD dst_unused:UNUSED_PAD src0_sel:DWORD src1_sel:WORD_1
	v_cmp_eq_u32_e32 vcc, 1, v35
	s_and_b64 exec, exec, vcc
	s_cbranch_execz .LBB1223_407
; %bb.406:
	s_lshl_b64 s[4:5], s[22:23], 3
	s_add_u32 s4, s28, s4
	s_addc_u32 s5, s29, s5
	v_mov_b32_e32 v35, 0
	v_lshl_add_u64 v[48:49], v[34:35], 3, s[4:5]
	global_store_dwordx2 v[48:49], v[28:29], off
.LBB1223_407:
	s_or_b64 exec, exec, s[0:1]
	s_mov_b64 s[0:1], 0
.LBB1223_408:
	v_and_b32_e32 v48, 1, v30
	s_and_b64 vcc, exec, s[0:1]
	v_cmp_eq_u32_e64 s[0:1], 1, v48
	s_cbranch_vccz .LBB1223_427
; %bb.409:
	s_and_saveexec_b64 s[4:5], s[0:1]
	s_cbranch_execz .LBB1223_411
; %bb.410:
	v_subrev_u32_e32 v35, s16, v46
	v_lshlrev_b32_e32 v35, 3, v35
	ds_write_b64 v35, v[22:23]
.LBB1223_411:
	s_or_b64 exec, exec, s[4:5]
	v_and_b32_e32 v22, 1, v33
	v_cmp_eq_u32_e32 vcc, 1, v22
	s_and_saveexec_b64 s[0:1], vcc
	s_cbranch_execz .LBB1223_413
; %bb.412:
	v_subrev_u32_e32 v22, s16, v44
	v_lshlrev_b32_e32 v22, 3, v22
	ds_write_b64 v22, v[24:25]
.LBB1223_413:
	s_or_b64 exec, exec, s[0:1]
	v_mov_b32_e32 v22, 1
	v_and_b32_sdwa v22, v22, v30 dst_sel:DWORD dst_unused:UNUSED_PAD src0_sel:DWORD src1_sel:WORD_1
	v_cmp_eq_u32_e32 vcc, 1, v22
	s_and_saveexec_b64 s[0:1], vcc
	s_cbranch_execz .LBB1223_415
; %bb.414:
	v_subrev_u32_e32 v22, s16, v42
	v_lshlrev_b32_e32 v22, 3, v22
	ds_write_b64 v22, v[18:19]
.LBB1223_415:
	s_or_b64 exec, exec, s[0:1]
	v_and_b32_e32 v18, 1, v32
	v_cmp_eq_u32_e32 vcc, 1, v18
	s_and_saveexec_b64 s[0:1], vcc
	s_cbranch_execz .LBB1223_417
; %bb.416:
	v_subrev_u32_e32 v18, s16, v40
	v_lshlrev_b32_e32 v18, 3, v18
	ds_write_b64 v18, v[20:21]
.LBB1223_417:
	s_or_b64 exec, exec, s[0:1]
	v_and_b32_e32 v18, 1, v31
	;; [unrolled: 10-line block ×3, first 2 shown]
	v_cmp_eq_u32_e32 vcc, 1, v14
	s_and_saveexec_b64 s[0:1], vcc
	s_cbranch_execz .LBB1223_421
; %bb.420:
	v_subrev_u32_e32 v14, s16, v36
	v_lshlrev_b32_e32 v14, 3, v14
	ds_write_b64 v14, v[16:17]
.LBB1223_421:
	s_or_b64 exec, exec, s[0:1]
	v_mov_b32_e32 v14, 1
	v_and_b32_sdwa v14, v14, v31 dst_sel:DWORD dst_unused:UNUSED_PAD src0_sel:DWORD src1_sel:WORD_1
	v_cmp_eq_u32_e32 vcc, 1, v14
	s_and_saveexec_b64 s[0:1], vcc
	s_cbranch_execz .LBB1223_423
; %bb.422:
	v_subrev_u32_e32 v14, s16, v34
	v_lshlrev_b32_e32 v14, 3, v14
	ds_write_b64 v14, v[28:29]
.LBB1223_423:
	s_or_b64 exec, exec, s[0:1]
	v_cmp_gt_u32_e32 vcc, s26, v0
	s_waitcnt lgkmcnt(0)
	s_barrier
	s_and_saveexec_b64 s[0:1], vcc
	s_cbranch_execz .LBB1223_426
; %bb.424:
	s_mov_b32 s17, 0
	s_lshl_b64 s[4:5], s[22:23], 3
	s_lshl_b64 s[6:7], s[16:17], 3
	s_add_u32 s4, s4, s6
	s_addc_u32 s5, s5, s7
	s_add_u32 s4, s28, s4
	v_lshlrev_b32_e32 v14, 3, v0
	v_mov_b32_e32 v15, 0
	s_addc_u32 s5, s29, s5
	v_lshl_add_u64 v[16:17], s[4:5], 0, v[14:15]
	s_mov_b64 s[4:5], 0
	s_mov_b64 s[6:7], 0x1000
	v_mov_b32_e32 v15, v0
.LBB1223_425:                           ; =>This Inner Loop Header: Depth=1
	ds_read_b64 v[18:19], v14
	v_add_u32_e32 v15, 0x200, v15
	v_cmp_le_u32_e32 vcc, s26, v15
	v_add_u32_e32 v14, 0x1000, v14
	s_or_b64 s[4:5], vcc, s[4:5]
	s_waitcnt lgkmcnt(0)
	global_store_dwordx2 v[16:17], v[18:19], off
	v_lshl_add_u64 v[16:17], v[16:17], 0, s[6:7]
	s_andn2_b64 exec, exec, s[4:5]
	s_cbranch_execnz .LBB1223_425
.LBB1223_426:
	s_or_b64 exec, exec, s[0:1]
.LBB1223_427:
	s_mov_b64 s[0:1], -1
	s_and_b64 vcc, exec, s[2:3]
	s_barrier
	s_cbranch_vccnz .LBB1223_431
; %bb.428:
	s_and_b64 vcc, exec, s[0:1]
	s_cbranch_vccnz .LBB1223_453
.LBB1223_429:
	s_and_b64 s[0:1], s[18:19], s[24:25]
	s_and_saveexec_b64 s[2:3], s[0:1]
	s_cbranch_execnz .LBB1223_471
.LBB1223_430:
	s_endpgm
.LBB1223_431:
	s_add_i32 s2, s16, s26
	v_cmp_gt_u32_e32 vcc, s2, v46
	s_or_b64 s[4:5], s[34:35], vcc
	s_and_saveexec_b64 s[0:1], s[4:5]
	s_cbranch_execz .LBB1223_434
; %bb.432:
	v_cmp_eq_u32_e32 vcc, 1, v48
	s_and_b64 exec, exec, vcc
	s_cbranch_execz .LBB1223_434
; %bb.433:
	s_lshl_b64 s[4:5], s[22:23], 3
	s_add_u32 s4, s30, s4
	s_addc_u32 s5, s31, s5
	v_mov_b32_e32 v47, 0
	v_lshl_add_u64 v[14:15], v[46:47], 3, s[4:5]
	global_store_dwordx2 v[14:15], v[10:11], off
.LBB1223_434:
	s_or_b64 exec, exec, s[0:1]
	v_cmp_gt_u32_e32 vcc, s2, v44
	s_or_b64 s[4:5], s[34:35], vcc
	s_and_saveexec_b64 s[0:1], s[4:5]
	s_cbranch_execz .LBB1223_437
; %bb.435:
	v_and_b32_e32 v14, 1, v33
	v_cmp_eq_u32_e32 vcc, 1, v14
	s_and_b64 exec, exec, vcc
	s_cbranch_execz .LBB1223_437
; %bb.436:
	s_lshl_b64 s[4:5], s[22:23], 3
	s_add_u32 s4, s30, s4
	s_addc_u32 s5, s31, s5
	v_mov_b32_e32 v45, 0
	v_lshl_add_u64 v[14:15], v[44:45], 3, s[4:5]
	global_store_dwordx2 v[14:15], v[12:13], off
.LBB1223_437:
	s_or_b64 exec, exec, s[0:1]
	v_cmp_gt_u32_e32 vcc, s2, v42
	s_or_b64 s[4:5], s[34:35], vcc
	s_and_saveexec_b64 s[0:1], s[4:5]
	s_cbranch_execz .LBB1223_440
; %bb.438:
	v_mov_b32_e32 v14, 1
	v_and_b32_sdwa v14, v14, v30 dst_sel:DWORD dst_unused:UNUSED_PAD src0_sel:DWORD src1_sel:WORD_1
	v_cmp_eq_u32_e32 vcc, 1, v14
	s_and_b64 exec, exec, vcc
	s_cbranch_execz .LBB1223_440
; %bb.439:
	s_lshl_b64 s[4:5], s[22:23], 3
	s_add_u32 s4, s30, s4
	s_addc_u32 s5, s31, s5
	v_mov_b32_e32 v43, 0
	v_lshl_add_u64 v[14:15], v[42:43], 3, s[4:5]
	global_store_dwordx2 v[14:15], v[6:7], off
.LBB1223_440:
	s_or_b64 exec, exec, s[0:1]
	v_cmp_gt_u32_e32 vcc, s2, v40
	s_or_b64 s[4:5], s[34:35], vcc
	s_and_saveexec_b64 s[0:1], s[4:5]
	s_cbranch_execz .LBB1223_443
; %bb.441:
	v_and_b32_e32 v14, 1, v32
	v_cmp_eq_u32_e32 vcc, 1, v14
	s_and_b64 exec, exec, vcc
	s_cbranch_execz .LBB1223_443
; %bb.442:
	s_lshl_b64 s[4:5], s[22:23], 3
	s_add_u32 s4, s30, s4
	s_addc_u32 s5, s31, s5
	v_mov_b32_e32 v41, 0
	v_lshl_add_u64 v[14:15], v[40:41], 3, s[4:5]
	global_store_dwordx2 v[14:15], v[8:9], off
.LBB1223_443:
	s_or_b64 exec, exec, s[0:1]
	v_cmp_gt_u32_e32 vcc, s2, v38
	s_or_b64 s[4:5], s[34:35], vcc
	s_and_saveexec_b64 s[0:1], s[4:5]
	s_cbranch_execz .LBB1223_446
; %bb.444:
	v_and_b32_e32 v14, 1, v31
	v_cmp_eq_u32_e32 vcc, 1, v14
	s_and_b64 exec, exec, vcc
	s_cbranch_execz .LBB1223_446
; %bb.445:
	s_lshl_b64 s[4:5], s[22:23], 3
	s_add_u32 s4, s30, s4
	s_addc_u32 s5, s31, s5
	v_mov_b32_e32 v39, 0
	v_lshl_add_u64 v[14:15], v[38:39], 3, s[4:5]
	global_store_dwordx2 v[14:15], v[2:3], off
.LBB1223_446:
	;; [unrolled: 18-line block ×3, first 2 shown]
	s_or_b64 exec, exec, s[0:1]
	v_cmp_gt_u32_e32 vcc, s2, v34
	s_or_b64 s[2:3], s[34:35], vcc
	s_and_saveexec_b64 s[0:1], s[2:3]
	s_cbranch_execz .LBB1223_452
; %bb.450:
	v_mov_b32_e32 v14, 1
	v_and_b32_sdwa v14, v14, v31 dst_sel:DWORD dst_unused:UNUSED_PAD src0_sel:DWORD src1_sel:WORD_1
	v_cmp_eq_u32_e32 vcc, 1, v14
	s_and_b64 exec, exec, vcc
	s_cbranch_execz .LBB1223_452
; %bb.451:
	s_lshl_b64 s[2:3], s[22:23], 3
	s_add_u32 s2, s30, s2
	s_addc_u32 s3, s31, s3
	v_mov_b32_e32 v35, 0
	v_lshl_add_u64 v[14:15], v[34:35], 3, s[2:3]
	global_store_dwordx2 v[14:15], v[26:27], off
.LBB1223_452:
	s_or_b64 exec, exec, s[0:1]
	s_branch .LBB1223_429
.LBB1223_453:
	v_cmp_eq_u32_e32 vcc, 1, v48
	s_and_saveexec_b64 s[0:1], vcc
	s_cbranch_execz .LBB1223_455
; %bb.454:
	v_subrev_u32_e32 v14, s16, v46
	v_lshlrev_b32_e32 v14, 3, v14
	ds_write_b64 v14, v[10:11]
.LBB1223_455:
	s_or_b64 exec, exec, s[0:1]
	v_and_b32_e32 v10, 1, v33
	v_cmp_eq_u32_e32 vcc, 1, v10
	s_and_saveexec_b64 s[0:1], vcc
	s_cbranch_execz .LBB1223_457
; %bb.456:
	v_subrev_u32_e32 v10, s16, v44
	v_lshlrev_b32_e32 v10, 3, v10
	ds_write_b64 v10, v[12:13]
.LBB1223_457:
	s_or_b64 exec, exec, s[0:1]
	v_mov_b32_e32 v10, 1
	v_and_b32_sdwa v10, v10, v30 dst_sel:DWORD dst_unused:UNUSED_PAD src0_sel:DWORD src1_sel:WORD_1
	v_cmp_eq_u32_e32 vcc, 1, v10
	s_and_saveexec_b64 s[0:1], vcc
	s_cbranch_execz .LBB1223_459
; %bb.458:
	v_subrev_u32_e32 v10, s16, v42
	v_lshlrev_b32_e32 v10, 3, v10
	ds_write_b64 v10, v[6:7]
.LBB1223_459:
	s_or_b64 exec, exec, s[0:1]
	v_and_b32_e32 v6, 1, v32
	v_cmp_eq_u32_e32 vcc, 1, v6
	s_and_saveexec_b64 s[0:1], vcc
	s_cbranch_execz .LBB1223_461
; %bb.460:
	v_subrev_u32_e32 v6, s16, v40
	v_lshlrev_b32_e32 v6, 3, v6
	ds_write_b64 v6, v[8:9]
.LBB1223_461:
	s_or_b64 exec, exec, s[0:1]
	v_and_b32_e32 v6, 1, v31
	;; [unrolled: 10-line block ×3, first 2 shown]
	v_cmp_eq_u32_e32 vcc, 1, v1
	s_and_saveexec_b64 s[0:1], vcc
	s_cbranch_execz .LBB1223_465
; %bb.464:
	v_subrev_u32_e32 v1, s16, v36
	v_lshlrev_b32_e32 v1, 3, v1
	ds_write_b64 v1, v[4:5]
.LBB1223_465:
	s_or_b64 exec, exec, s[0:1]
	v_mov_b32_e32 v1, 1
	v_and_b32_sdwa v1, v1, v31 dst_sel:DWORD dst_unused:UNUSED_PAD src0_sel:DWORD src1_sel:WORD_1
	v_cmp_eq_u32_e32 vcc, 1, v1
	s_and_saveexec_b64 s[0:1], vcc
	s_cbranch_execz .LBB1223_467
; %bb.466:
	v_subrev_u32_e32 v1, s16, v34
	v_lshlrev_b32_e32 v1, 3, v1
	ds_write_b64 v1, v[26:27]
.LBB1223_467:
	s_or_b64 exec, exec, s[0:1]
	v_cmp_gt_u32_e32 vcc, s26, v0
	s_waitcnt lgkmcnt(0)
	s_barrier
	s_and_saveexec_b64 s[0:1], vcc
	s_cbranch_execz .LBB1223_470
; %bb.468:
	s_mov_b32 s17, 0
	s_lshl_b64 s[2:3], s[22:23], 3
	s_lshl_b64 s[4:5], s[16:17], 3
	s_add_u32 s2, s2, s4
	s_addc_u32 s3, s3, s5
	s_add_u32 s2, s30, s2
	v_lshlrev_b32_e32 v2, 3, v0
	v_mov_b32_e32 v3, 0
	s_addc_u32 s3, s31, s3
	v_lshl_add_u64 v[4:5], s[2:3], 0, v[2:3]
	s_mov_b64 s[2:3], 0
	s_mov_b64 s[4:5], 0x1000
.LBB1223_469:                           ; =>This Inner Loop Header: Depth=1
	ds_read_b64 v[6:7], v2
	v_add_u32_e32 v0, 0x200, v0
	v_cmp_le_u32_e32 vcc, s26, v0
	v_add_u32_e32 v2, 0x1000, v2
	s_or_b64 s[2:3], vcc, s[2:3]
	s_waitcnt lgkmcnt(0)
	global_store_dwordx2 v[4:5], v[6:7], off
	v_lshl_add_u64 v[4:5], v[4:5], 0, s[4:5]
	s_andn2_b64 exec, exec, s[2:3]
	s_cbranch_execnz .LBB1223_469
.LBB1223_470:
	s_or_b64 exec, exec, s[0:1]
	s_and_b64 s[0:1], s[18:19], s[24:25]
	s_and_saveexec_b64 s[2:3], s[0:1]
	s_cbranch_execz .LBB1223_430
.LBB1223_471:
	s_add_u32 s0, s22, s26
	s_addc_u32 s1, s23, 0
	s_add_u32 s0, s0, s16
	s_addc_u32 s1, s1, 0
	v_mov_b32_e32 v2, 0
	v_mov_b64_e32 v[0:1], s[0:1]
	global_store_dwordx2 v2, v[0:1], s[20:21]
	s_endpgm
	.section	.rodata,"a",@progbits
	.p2align	6, 0x0
	.amdhsa_kernel _ZN7rocprim17ROCPRIM_400000_NS6detail17trampoline_kernelINS0_14default_configENS1_25partition_config_selectorILNS1_17partition_subalgoE9EllbEEZZNS1_14partition_implILS5_9ELb0ES3_jPlS8_PNS0_10empty_typeENS0_5tupleIJS8_S9_EEENSB_IJS8_SA_EEENS0_18inequality_wrapperIZN2at6native12_GLOBAL__N_124unique_dim_cuda_templateIN3c108BFloat16EEESt5tupleIJNSF_6TensorESM_SM_EERKSM_lbbbEUlllE0_EEPmJS9_EEE10hipError_tPvRmT3_T4_T5_T6_T7_T9_mT8_P12ihipStream_tbDpT10_ENKUlT_T0_E_clISt17integral_constantIbLb1EES1C_EEDaS17_S18_EUlS17_E_NS1_11comp_targetILNS1_3genE5ELNS1_11target_archE942ELNS1_3gpuE9ELNS1_3repE0EEENS1_30default_config_static_selectorELNS0_4arch9wavefront6targetE1EEEvT1_
		.amdhsa_group_segment_fixed_size 28684
		.amdhsa_private_segment_fixed_size 0
		.amdhsa_kernarg_size 136
		.amdhsa_user_sgpr_count 2
		.amdhsa_user_sgpr_dispatch_ptr 0
		.amdhsa_user_sgpr_queue_ptr 0
		.amdhsa_user_sgpr_kernarg_segment_ptr 1
		.amdhsa_user_sgpr_dispatch_id 0
		.amdhsa_user_sgpr_kernarg_preload_length 0
		.amdhsa_user_sgpr_kernarg_preload_offset 0
		.amdhsa_user_sgpr_private_segment_size 0
		.amdhsa_uses_dynamic_stack 0
		.amdhsa_enable_private_segment 0
		.amdhsa_system_sgpr_workgroup_id_x 1
		.amdhsa_system_sgpr_workgroup_id_y 0
		.amdhsa_system_sgpr_workgroup_id_z 0
		.amdhsa_system_sgpr_workgroup_info 0
		.amdhsa_system_vgpr_workitem_id 0
		.amdhsa_next_free_vgpr 66
		.amdhsa_next_free_sgpr 58
		.amdhsa_accum_offset 68
		.amdhsa_reserve_vcc 1
		.amdhsa_float_round_mode_32 0
		.amdhsa_float_round_mode_16_64 0
		.amdhsa_float_denorm_mode_32 3
		.amdhsa_float_denorm_mode_16_64 3
		.amdhsa_dx10_clamp 1
		.amdhsa_ieee_mode 1
		.amdhsa_fp16_overflow 0
		.amdhsa_tg_split 0
		.amdhsa_exception_fp_ieee_invalid_op 0
		.amdhsa_exception_fp_denorm_src 0
		.amdhsa_exception_fp_ieee_div_zero 0
		.amdhsa_exception_fp_ieee_overflow 0
		.amdhsa_exception_fp_ieee_underflow 0
		.amdhsa_exception_fp_ieee_inexact 0
		.amdhsa_exception_int_div_zero 0
	.end_amdhsa_kernel
	.section	.text._ZN7rocprim17ROCPRIM_400000_NS6detail17trampoline_kernelINS0_14default_configENS1_25partition_config_selectorILNS1_17partition_subalgoE9EllbEEZZNS1_14partition_implILS5_9ELb0ES3_jPlS8_PNS0_10empty_typeENS0_5tupleIJS8_S9_EEENSB_IJS8_SA_EEENS0_18inequality_wrapperIZN2at6native12_GLOBAL__N_124unique_dim_cuda_templateIN3c108BFloat16EEESt5tupleIJNSF_6TensorESM_SM_EERKSM_lbbbEUlllE0_EEPmJS9_EEE10hipError_tPvRmT3_T4_T5_T6_T7_T9_mT8_P12ihipStream_tbDpT10_ENKUlT_T0_E_clISt17integral_constantIbLb1EES1C_EEDaS17_S18_EUlS17_E_NS1_11comp_targetILNS1_3genE5ELNS1_11target_archE942ELNS1_3gpuE9ELNS1_3repE0EEENS1_30default_config_static_selectorELNS0_4arch9wavefront6targetE1EEEvT1_,"axG",@progbits,_ZN7rocprim17ROCPRIM_400000_NS6detail17trampoline_kernelINS0_14default_configENS1_25partition_config_selectorILNS1_17partition_subalgoE9EllbEEZZNS1_14partition_implILS5_9ELb0ES3_jPlS8_PNS0_10empty_typeENS0_5tupleIJS8_S9_EEENSB_IJS8_SA_EEENS0_18inequality_wrapperIZN2at6native12_GLOBAL__N_124unique_dim_cuda_templateIN3c108BFloat16EEESt5tupleIJNSF_6TensorESM_SM_EERKSM_lbbbEUlllE0_EEPmJS9_EEE10hipError_tPvRmT3_T4_T5_T6_T7_T9_mT8_P12ihipStream_tbDpT10_ENKUlT_T0_E_clISt17integral_constantIbLb1EES1C_EEDaS17_S18_EUlS17_E_NS1_11comp_targetILNS1_3genE5ELNS1_11target_archE942ELNS1_3gpuE9ELNS1_3repE0EEENS1_30default_config_static_selectorELNS0_4arch9wavefront6targetE1EEEvT1_,comdat
.Lfunc_end1223:
	.size	_ZN7rocprim17ROCPRIM_400000_NS6detail17trampoline_kernelINS0_14default_configENS1_25partition_config_selectorILNS1_17partition_subalgoE9EllbEEZZNS1_14partition_implILS5_9ELb0ES3_jPlS8_PNS0_10empty_typeENS0_5tupleIJS8_S9_EEENSB_IJS8_SA_EEENS0_18inequality_wrapperIZN2at6native12_GLOBAL__N_124unique_dim_cuda_templateIN3c108BFloat16EEESt5tupleIJNSF_6TensorESM_SM_EERKSM_lbbbEUlllE0_EEPmJS9_EEE10hipError_tPvRmT3_T4_T5_T6_T7_T9_mT8_P12ihipStream_tbDpT10_ENKUlT_T0_E_clISt17integral_constantIbLb1EES1C_EEDaS17_S18_EUlS17_E_NS1_11comp_targetILNS1_3genE5ELNS1_11target_archE942ELNS1_3gpuE9ELNS1_3repE0EEENS1_30default_config_static_selectorELNS0_4arch9wavefront6targetE1EEEvT1_, .Lfunc_end1223-_ZN7rocprim17ROCPRIM_400000_NS6detail17trampoline_kernelINS0_14default_configENS1_25partition_config_selectorILNS1_17partition_subalgoE9EllbEEZZNS1_14partition_implILS5_9ELb0ES3_jPlS8_PNS0_10empty_typeENS0_5tupleIJS8_S9_EEENSB_IJS8_SA_EEENS0_18inequality_wrapperIZN2at6native12_GLOBAL__N_124unique_dim_cuda_templateIN3c108BFloat16EEESt5tupleIJNSF_6TensorESM_SM_EERKSM_lbbbEUlllE0_EEPmJS9_EEE10hipError_tPvRmT3_T4_T5_T6_T7_T9_mT8_P12ihipStream_tbDpT10_ENKUlT_T0_E_clISt17integral_constantIbLb1EES1C_EEDaS17_S18_EUlS17_E_NS1_11comp_targetILNS1_3genE5ELNS1_11target_archE942ELNS1_3gpuE9ELNS1_3repE0EEENS1_30default_config_static_selectorELNS0_4arch9wavefront6targetE1EEEvT1_
                                        ; -- End function
	.section	.AMDGPU.csdata,"",@progbits
; Kernel info:
; codeLenInByte = 15236
; NumSgprs: 64
; NumVgprs: 66
; NumAgprs: 0
; TotalNumVgprs: 66
; ScratchSize: 0
; MemoryBound: 0
; FloatMode: 240
; IeeeMode: 1
; LDSByteSize: 28684 bytes/workgroup (compile time only)
; SGPRBlocks: 7
; VGPRBlocks: 8
; NumSGPRsForWavesPerEU: 64
; NumVGPRsForWavesPerEU: 66
; AccumOffset: 68
; Occupancy: 4
; WaveLimiterHint : 1
; COMPUTE_PGM_RSRC2:SCRATCH_EN: 0
; COMPUTE_PGM_RSRC2:USER_SGPR: 2
; COMPUTE_PGM_RSRC2:TRAP_HANDLER: 0
; COMPUTE_PGM_RSRC2:TGID_X_EN: 1
; COMPUTE_PGM_RSRC2:TGID_Y_EN: 0
; COMPUTE_PGM_RSRC2:TGID_Z_EN: 0
; COMPUTE_PGM_RSRC2:TIDIG_COMP_CNT: 0
; COMPUTE_PGM_RSRC3_GFX90A:ACCUM_OFFSET: 16
; COMPUTE_PGM_RSRC3_GFX90A:TG_SPLIT: 0
	.section	.text._ZN7rocprim17ROCPRIM_400000_NS6detail17trampoline_kernelINS0_14default_configENS1_25partition_config_selectorILNS1_17partition_subalgoE9EllbEEZZNS1_14partition_implILS5_9ELb0ES3_jPlS8_PNS0_10empty_typeENS0_5tupleIJS8_S9_EEENSB_IJS8_SA_EEENS0_18inequality_wrapperIZN2at6native12_GLOBAL__N_124unique_dim_cuda_templateIN3c108BFloat16EEESt5tupleIJNSF_6TensorESM_SM_EERKSM_lbbbEUlllE0_EEPmJS9_EEE10hipError_tPvRmT3_T4_T5_T6_T7_T9_mT8_P12ihipStream_tbDpT10_ENKUlT_T0_E_clISt17integral_constantIbLb1EES1C_EEDaS17_S18_EUlS17_E_NS1_11comp_targetILNS1_3genE4ELNS1_11target_archE910ELNS1_3gpuE8ELNS1_3repE0EEENS1_30default_config_static_selectorELNS0_4arch9wavefront6targetE1EEEvT1_,"axG",@progbits,_ZN7rocprim17ROCPRIM_400000_NS6detail17trampoline_kernelINS0_14default_configENS1_25partition_config_selectorILNS1_17partition_subalgoE9EllbEEZZNS1_14partition_implILS5_9ELb0ES3_jPlS8_PNS0_10empty_typeENS0_5tupleIJS8_S9_EEENSB_IJS8_SA_EEENS0_18inequality_wrapperIZN2at6native12_GLOBAL__N_124unique_dim_cuda_templateIN3c108BFloat16EEESt5tupleIJNSF_6TensorESM_SM_EERKSM_lbbbEUlllE0_EEPmJS9_EEE10hipError_tPvRmT3_T4_T5_T6_T7_T9_mT8_P12ihipStream_tbDpT10_ENKUlT_T0_E_clISt17integral_constantIbLb1EES1C_EEDaS17_S18_EUlS17_E_NS1_11comp_targetILNS1_3genE4ELNS1_11target_archE910ELNS1_3gpuE8ELNS1_3repE0EEENS1_30default_config_static_selectorELNS0_4arch9wavefront6targetE1EEEvT1_,comdat
	.globl	_ZN7rocprim17ROCPRIM_400000_NS6detail17trampoline_kernelINS0_14default_configENS1_25partition_config_selectorILNS1_17partition_subalgoE9EllbEEZZNS1_14partition_implILS5_9ELb0ES3_jPlS8_PNS0_10empty_typeENS0_5tupleIJS8_S9_EEENSB_IJS8_SA_EEENS0_18inequality_wrapperIZN2at6native12_GLOBAL__N_124unique_dim_cuda_templateIN3c108BFloat16EEESt5tupleIJNSF_6TensorESM_SM_EERKSM_lbbbEUlllE0_EEPmJS9_EEE10hipError_tPvRmT3_T4_T5_T6_T7_T9_mT8_P12ihipStream_tbDpT10_ENKUlT_T0_E_clISt17integral_constantIbLb1EES1C_EEDaS17_S18_EUlS17_E_NS1_11comp_targetILNS1_3genE4ELNS1_11target_archE910ELNS1_3gpuE8ELNS1_3repE0EEENS1_30default_config_static_selectorELNS0_4arch9wavefront6targetE1EEEvT1_ ; -- Begin function _ZN7rocprim17ROCPRIM_400000_NS6detail17trampoline_kernelINS0_14default_configENS1_25partition_config_selectorILNS1_17partition_subalgoE9EllbEEZZNS1_14partition_implILS5_9ELb0ES3_jPlS8_PNS0_10empty_typeENS0_5tupleIJS8_S9_EEENSB_IJS8_SA_EEENS0_18inequality_wrapperIZN2at6native12_GLOBAL__N_124unique_dim_cuda_templateIN3c108BFloat16EEESt5tupleIJNSF_6TensorESM_SM_EERKSM_lbbbEUlllE0_EEPmJS9_EEE10hipError_tPvRmT3_T4_T5_T6_T7_T9_mT8_P12ihipStream_tbDpT10_ENKUlT_T0_E_clISt17integral_constantIbLb1EES1C_EEDaS17_S18_EUlS17_E_NS1_11comp_targetILNS1_3genE4ELNS1_11target_archE910ELNS1_3gpuE8ELNS1_3repE0EEENS1_30default_config_static_selectorELNS0_4arch9wavefront6targetE1EEEvT1_
	.p2align	8
	.type	_ZN7rocprim17ROCPRIM_400000_NS6detail17trampoline_kernelINS0_14default_configENS1_25partition_config_selectorILNS1_17partition_subalgoE9EllbEEZZNS1_14partition_implILS5_9ELb0ES3_jPlS8_PNS0_10empty_typeENS0_5tupleIJS8_S9_EEENSB_IJS8_SA_EEENS0_18inequality_wrapperIZN2at6native12_GLOBAL__N_124unique_dim_cuda_templateIN3c108BFloat16EEESt5tupleIJNSF_6TensorESM_SM_EERKSM_lbbbEUlllE0_EEPmJS9_EEE10hipError_tPvRmT3_T4_T5_T6_T7_T9_mT8_P12ihipStream_tbDpT10_ENKUlT_T0_E_clISt17integral_constantIbLb1EES1C_EEDaS17_S18_EUlS17_E_NS1_11comp_targetILNS1_3genE4ELNS1_11target_archE910ELNS1_3gpuE8ELNS1_3repE0EEENS1_30default_config_static_selectorELNS0_4arch9wavefront6targetE1EEEvT1_,@function
_ZN7rocprim17ROCPRIM_400000_NS6detail17trampoline_kernelINS0_14default_configENS1_25partition_config_selectorILNS1_17partition_subalgoE9EllbEEZZNS1_14partition_implILS5_9ELb0ES3_jPlS8_PNS0_10empty_typeENS0_5tupleIJS8_S9_EEENSB_IJS8_SA_EEENS0_18inequality_wrapperIZN2at6native12_GLOBAL__N_124unique_dim_cuda_templateIN3c108BFloat16EEESt5tupleIJNSF_6TensorESM_SM_EERKSM_lbbbEUlllE0_EEPmJS9_EEE10hipError_tPvRmT3_T4_T5_T6_T7_T9_mT8_P12ihipStream_tbDpT10_ENKUlT_T0_E_clISt17integral_constantIbLb1EES1C_EEDaS17_S18_EUlS17_E_NS1_11comp_targetILNS1_3genE4ELNS1_11target_archE910ELNS1_3gpuE8ELNS1_3repE0EEENS1_30default_config_static_selectorELNS0_4arch9wavefront6targetE1EEEvT1_: ; @_ZN7rocprim17ROCPRIM_400000_NS6detail17trampoline_kernelINS0_14default_configENS1_25partition_config_selectorILNS1_17partition_subalgoE9EllbEEZZNS1_14partition_implILS5_9ELb0ES3_jPlS8_PNS0_10empty_typeENS0_5tupleIJS8_S9_EEENSB_IJS8_SA_EEENS0_18inequality_wrapperIZN2at6native12_GLOBAL__N_124unique_dim_cuda_templateIN3c108BFloat16EEESt5tupleIJNSF_6TensorESM_SM_EERKSM_lbbbEUlllE0_EEPmJS9_EEE10hipError_tPvRmT3_T4_T5_T6_T7_T9_mT8_P12ihipStream_tbDpT10_ENKUlT_T0_E_clISt17integral_constantIbLb1EES1C_EEDaS17_S18_EUlS17_E_NS1_11comp_targetILNS1_3genE4ELNS1_11target_archE910ELNS1_3gpuE8ELNS1_3repE0EEENS1_30default_config_static_selectorELNS0_4arch9wavefront6targetE1EEEvT1_
; %bb.0:
	.section	.rodata,"a",@progbits
	.p2align	6, 0x0
	.amdhsa_kernel _ZN7rocprim17ROCPRIM_400000_NS6detail17trampoline_kernelINS0_14default_configENS1_25partition_config_selectorILNS1_17partition_subalgoE9EllbEEZZNS1_14partition_implILS5_9ELb0ES3_jPlS8_PNS0_10empty_typeENS0_5tupleIJS8_S9_EEENSB_IJS8_SA_EEENS0_18inequality_wrapperIZN2at6native12_GLOBAL__N_124unique_dim_cuda_templateIN3c108BFloat16EEESt5tupleIJNSF_6TensorESM_SM_EERKSM_lbbbEUlllE0_EEPmJS9_EEE10hipError_tPvRmT3_T4_T5_T6_T7_T9_mT8_P12ihipStream_tbDpT10_ENKUlT_T0_E_clISt17integral_constantIbLb1EES1C_EEDaS17_S18_EUlS17_E_NS1_11comp_targetILNS1_3genE4ELNS1_11target_archE910ELNS1_3gpuE8ELNS1_3repE0EEENS1_30default_config_static_selectorELNS0_4arch9wavefront6targetE1EEEvT1_
		.amdhsa_group_segment_fixed_size 0
		.amdhsa_private_segment_fixed_size 0
		.amdhsa_kernarg_size 136
		.amdhsa_user_sgpr_count 2
		.amdhsa_user_sgpr_dispatch_ptr 0
		.amdhsa_user_sgpr_queue_ptr 0
		.amdhsa_user_sgpr_kernarg_segment_ptr 1
		.amdhsa_user_sgpr_dispatch_id 0
		.amdhsa_user_sgpr_kernarg_preload_length 0
		.amdhsa_user_sgpr_kernarg_preload_offset 0
		.amdhsa_user_sgpr_private_segment_size 0
		.amdhsa_uses_dynamic_stack 0
		.amdhsa_enable_private_segment 0
		.amdhsa_system_sgpr_workgroup_id_x 1
		.amdhsa_system_sgpr_workgroup_id_y 0
		.amdhsa_system_sgpr_workgroup_id_z 0
		.amdhsa_system_sgpr_workgroup_info 0
		.amdhsa_system_vgpr_workitem_id 0
		.amdhsa_next_free_vgpr 1
		.amdhsa_next_free_sgpr 0
		.amdhsa_accum_offset 4
		.amdhsa_reserve_vcc 0
		.amdhsa_float_round_mode_32 0
		.amdhsa_float_round_mode_16_64 0
		.amdhsa_float_denorm_mode_32 3
		.amdhsa_float_denorm_mode_16_64 3
		.amdhsa_dx10_clamp 1
		.amdhsa_ieee_mode 1
		.amdhsa_fp16_overflow 0
		.amdhsa_tg_split 0
		.amdhsa_exception_fp_ieee_invalid_op 0
		.amdhsa_exception_fp_denorm_src 0
		.amdhsa_exception_fp_ieee_div_zero 0
		.amdhsa_exception_fp_ieee_overflow 0
		.amdhsa_exception_fp_ieee_underflow 0
		.amdhsa_exception_fp_ieee_inexact 0
		.amdhsa_exception_int_div_zero 0
	.end_amdhsa_kernel
	.section	.text._ZN7rocprim17ROCPRIM_400000_NS6detail17trampoline_kernelINS0_14default_configENS1_25partition_config_selectorILNS1_17partition_subalgoE9EllbEEZZNS1_14partition_implILS5_9ELb0ES3_jPlS8_PNS0_10empty_typeENS0_5tupleIJS8_S9_EEENSB_IJS8_SA_EEENS0_18inequality_wrapperIZN2at6native12_GLOBAL__N_124unique_dim_cuda_templateIN3c108BFloat16EEESt5tupleIJNSF_6TensorESM_SM_EERKSM_lbbbEUlllE0_EEPmJS9_EEE10hipError_tPvRmT3_T4_T5_T6_T7_T9_mT8_P12ihipStream_tbDpT10_ENKUlT_T0_E_clISt17integral_constantIbLb1EES1C_EEDaS17_S18_EUlS17_E_NS1_11comp_targetILNS1_3genE4ELNS1_11target_archE910ELNS1_3gpuE8ELNS1_3repE0EEENS1_30default_config_static_selectorELNS0_4arch9wavefront6targetE1EEEvT1_,"axG",@progbits,_ZN7rocprim17ROCPRIM_400000_NS6detail17trampoline_kernelINS0_14default_configENS1_25partition_config_selectorILNS1_17partition_subalgoE9EllbEEZZNS1_14partition_implILS5_9ELb0ES3_jPlS8_PNS0_10empty_typeENS0_5tupleIJS8_S9_EEENSB_IJS8_SA_EEENS0_18inequality_wrapperIZN2at6native12_GLOBAL__N_124unique_dim_cuda_templateIN3c108BFloat16EEESt5tupleIJNSF_6TensorESM_SM_EERKSM_lbbbEUlllE0_EEPmJS9_EEE10hipError_tPvRmT3_T4_T5_T6_T7_T9_mT8_P12ihipStream_tbDpT10_ENKUlT_T0_E_clISt17integral_constantIbLb1EES1C_EEDaS17_S18_EUlS17_E_NS1_11comp_targetILNS1_3genE4ELNS1_11target_archE910ELNS1_3gpuE8ELNS1_3repE0EEENS1_30default_config_static_selectorELNS0_4arch9wavefront6targetE1EEEvT1_,comdat
.Lfunc_end1224:
	.size	_ZN7rocprim17ROCPRIM_400000_NS6detail17trampoline_kernelINS0_14default_configENS1_25partition_config_selectorILNS1_17partition_subalgoE9EllbEEZZNS1_14partition_implILS5_9ELb0ES3_jPlS8_PNS0_10empty_typeENS0_5tupleIJS8_S9_EEENSB_IJS8_SA_EEENS0_18inequality_wrapperIZN2at6native12_GLOBAL__N_124unique_dim_cuda_templateIN3c108BFloat16EEESt5tupleIJNSF_6TensorESM_SM_EERKSM_lbbbEUlllE0_EEPmJS9_EEE10hipError_tPvRmT3_T4_T5_T6_T7_T9_mT8_P12ihipStream_tbDpT10_ENKUlT_T0_E_clISt17integral_constantIbLb1EES1C_EEDaS17_S18_EUlS17_E_NS1_11comp_targetILNS1_3genE4ELNS1_11target_archE910ELNS1_3gpuE8ELNS1_3repE0EEENS1_30default_config_static_selectorELNS0_4arch9wavefront6targetE1EEEvT1_, .Lfunc_end1224-_ZN7rocprim17ROCPRIM_400000_NS6detail17trampoline_kernelINS0_14default_configENS1_25partition_config_selectorILNS1_17partition_subalgoE9EllbEEZZNS1_14partition_implILS5_9ELb0ES3_jPlS8_PNS0_10empty_typeENS0_5tupleIJS8_S9_EEENSB_IJS8_SA_EEENS0_18inequality_wrapperIZN2at6native12_GLOBAL__N_124unique_dim_cuda_templateIN3c108BFloat16EEESt5tupleIJNSF_6TensorESM_SM_EERKSM_lbbbEUlllE0_EEPmJS9_EEE10hipError_tPvRmT3_T4_T5_T6_T7_T9_mT8_P12ihipStream_tbDpT10_ENKUlT_T0_E_clISt17integral_constantIbLb1EES1C_EEDaS17_S18_EUlS17_E_NS1_11comp_targetILNS1_3genE4ELNS1_11target_archE910ELNS1_3gpuE8ELNS1_3repE0EEENS1_30default_config_static_selectorELNS0_4arch9wavefront6targetE1EEEvT1_
                                        ; -- End function
	.section	.AMDGPU.csdata,"",@progbits
; Kernel info:
; codeLenInByte = 0
; NumSgprs: 6
; NumVgprs: 0
; NumAgprs: 0
; TotalNumVgprs: 0
; ScratchSize: 0
; MemoryBound: 0
; FloatMode: 240
; IeeeMode: 1
; LDSByteSize: 0 bytes/workgroup (compile time only)
; SGPRBlocks: 0
; VGPRBlocks: 0
; NumSGPRsForWavesPerEU: 6
; NumVGPRsForWavesPerEU: 1
; AccumOffset: 4
; Occupancy: 8
; WaveLimiterHint : 0
; COMPUTE_PGM_RSRC2:SCRATCH_EN: 0
; COMPUTE_PGM_RSRC2:USER_SGPR: 2
; COMPUTE_PGM_RSRC2:TRAP_HANDLER: 0
; COMPUTE_PGM_RSRC2:TGID_X_EN: 1
; COMPUTE_PGM_RSRC2:TGID_Y_EN: 0
; COMPUTE_PGM_RSRC2:TGID_Z_EN: 0
; COMPUTE_PGM_RSRC2:TIDIG_COMP_CNT: 0
; COMPUTE_PGM_RSRC3_GFX90A:ACCUM_OFFSET: 0
; COMPUTE_PGM_RSRC3_GFX90A:TG_SPLIT: 0
	.section	.text._ZN7rocprim17ROCPRIM_400000_NS6detail17trampoline_kernelINS0_14default_configENS1_25partition_config_selectorILNS1_17partition_subalgoE9EllbEEZZNS1_14partition_implILS5_9ELb0ES3_jPlS8_PNS0_10empty_typeENS0_5tupleIJS8_S9_EEENSB_IJS8_SA_EEENS0_18inequality_wrapperIZN2at6native12_GLOBAL__N_124unique_dim_cuda_templateIN3c108BFloat16EEESt5tupleIJNSF_6TensorESM_SM_EERKSM_lbbbEUlllE0_EEPmJS9_EEE10hipError_tPvRmT3_T4_T5_T6_T7_T9_mT8_P12ihipStream_tbDpT10_ENKUlT_T0_E_clISt17integral_constantIbLb1EES1C_EEDaS17_S18_EUlS17_E_NS1_11comp_targetILNS1_3genE3ELNS1_11target_archE908ELNS1_3gpuE7ELNS1_3repE0EEENS1_30default_config_static_selectorELNS0_4arch9wavefront6targetE1EEEvT1_,"axG",@progbits,_ZN7rocprim17ROCPRIM_400000_NS6detail17trampoline_kernelINS0_14default_configENS1_25partition_config_selectorILNS1_17partition_subalgoE9EllbEEZZNS1_14partition_implILS5_9ELb0ES3_jPlS8_PNS0_10empty_typeENS0_5tupleIJS8_S9_EEENSB_IJS8_SA_EEENS0_18inequality_wrapperIZN2at6native12_GLOBAL__N_124unique_dim_cuda_templateIN3c108BFloat16EEESt5tupleIJNSF_6TensorESM_SM_EERKSM_lbbbEUlllE0_EEPmJS9_EEE10hipError_tPvRmT3_T4_T5_T6_T7_T9_mT8_P12ihipStream_tbDpT10_ENKUlT_T0_E_clISt17integral_constantIbLb1EES1C_EEDaS17_S18_EUlS17_E_NS1_11comp_targetILNS1_3genE3ELNS1_11target_archE908ELNS1_3gpuE7ELNS1_3repE0EEENS1_30default_config_static_selectorELNS0_4arch9wavefront6targetE1EEEvT1_,comdat
	.globl	_ZN7rocprim17ROCPRIM_400000_NS6detail17trampoline_kernelINS0_14default_configENS1_25partition_config_selectorILNS1_17partition_subalgoE9EllbEEZZNS1_14partition_implILS5_9ELb0ES3_jPlS8_PNS0_10empty_typeENS0_5tupleIJS8_S9_EEENSB_IJS8_SA_EEENS0_18inequality_wrapperIZN2at6native12_GLOBAL__N_124unique_dim_cuda_templateIN3c108BFloat16EEESt5tupleIJNSF_6TensorESM_SM_EERKSM_lbbbEUlllE0_EEPmJS9_EEE10hipError_tPvRmT3_T4_T5_T6_T7_T9_mT8_P12ihipStream_tbDpT10_ENKUlT_T0_E_clISt17integral_constantIbLb1EES1C_EEDaS17_S18_EUlS17_E_NS1_11comp_targetILNS1_3genE3ELNS1_11target_archE908ELNS1_3gpuE7ELNS1_3repE0EEENS1_30default_config_static_selectorELNS0_4arch9wavefront6targetE1EEEvT1_ ; -- Begin function _ZN7rocprim17ROCPRIM_400000_NS6detail17trampoline_kernelINS0_14default_configENS1_25partition_config_selectorILNS1_17partition_subalgoE9EllbEEZZNS1_14partition_implILS5_9ELb0ES3_jPlS8_PNS0_10empty_typeENS0_5tupleIJS8_S9_EEENSB_IJS8_SA_EEENS0_18inequality_wrapperIZN2at6native12_GLOBAL__N_124unique_dim_cuda_templateIN3c108BFloat16EEESt5tupleIJNSF_6TensorESM_SM_EERKSM_lbbbEUlllE0_EEPmJS9_EEE10hipError_tPvRmT3_T4_T5_T6_T7_T9_mT8_P12ihipStream_tbDpT10_ENKUlT_T0_E_clISt17integral_constantIbLb1EES1C_EEDaS17_S18_EUlS17_E_NS1_11comp_targetILNS1_3genE3ELNS1_11target_archE908ELNS1_3gpuE7ELNS1_3repE0EEENS1_30default_config_static_selectorELNS0_4arch9wavefront6targetE1EEEvT1_
	.p2align	8
	.type	_ZN7rocprim17ROCPRIM_400000_NS6detail17trampoline_kernelINS0_14default_configENS1_25partition_config_selectorILNS1_17partition_subalgoE9EllbEEZZNS1_14partition_implILS5_9ELb0ES3_jPlS8_PNS0_10empty_typeENS0_5tupleIJS8_S9_EEENSB_IJS8_SA_EEENS0_18inequality_wrapperIZN2at6native12_GLOBAL__N_124unique_dim_cuda_templateIN3c108BFloat16EEESt5tupleIJNSF_6TensorESM_SM_EERKSM_lbbbEUlllE0_EEPmJS9_EEE10hipError_tPvRmT3_T4_T5_T6_T7_T9_mT8_P12ihipStream_tbDpT10_ENKUlT_T0_E_clISt17integral_constantIbLb1EES1C_EEDaS17_S18_EUlS17_E_NS1_11comp_targetILNS1_3genE3ELNS1_11target_archE908ELNS1_3gpuE7ELNS1_3repE0EEENS1_30default_config_static_selectorELNS0_4arch9wavefront6targetE1EEEvT1_,@function
_ZN7rocprim17ROCPRIM_400000_NS6detail17trampoline_kernelINS0_14default_configENS1_25partition_config_selectorILNS1_17partition_subalgoE9EllbEEZZNS1_14partition_implILS5_9ELb0ES3_jPlS8_PNS0_10empty_typeENS0_5tupleIJS8_S9_EEENSB_IJS8_SA_EEENS0_18inequality_wrapperIZN2at6native12_GLOBAL__N_124unique_dim_cuda_templateIN3c108BFloat16EEESt5tupleIJNSF_6TensorESM_SM_EERKSM_lbbbEUlllE0_EEPmJS9_EEE10hipError_tPvRmT3_T4_T5_T6_T7_T9_mT8_P12ihipStream_tbDpT10_ENKUlT_T0_E_clISt17integral_constantIbLb1EES1C_EEDaS17_S18_EUlS17_E_NS1_11comp_targetILNS1_3genE3ELNS1_11target_archE908ELNS1_3gpuE7ELNS1_3repE0EEENS1_30default_config_static_selectorELNS0_4arch9wavefront6targetE1EEEvT1_: ; @_ZN7rocprim17ROCPRIM_400000_NS6detail17trampoline_kernelINS0_14default_configENS1_25partition_config_selectorILNS1_17partition_subalgoE9EllbEEZZNS1_14partition_implILS5_9ELb0ES3_jPlS8_PNS0_10empty_typeENS0_5tupleIJS8_S9_EEENSB_IJS8_SA_EEENS0_18inequality_wrapperIZN2at6native12_GLOBAL__N_124unique_dim_cuda_templateIN3c108BFloat16EEESt5tupleIJNSF_6TensorESM_SM_EERKSM_lbbbEUlllE0_EEPmJS9_EEE10hipError_tPvRmT3_T4_T5_T6_T7_T9_mT8_P12ihipStream_tbDpT10_ENKUlT_T0_E_clISt17integral_constantIbLb1EES1C_EEDaS17_S18_EUlS17_E_NS1_11comp_targetILNS1_3genE3ELNS1_11target_archE908ELNS1_3gpuE7ELNS1_3repE0EEENS1_30default_config_static_selectorELNS0_4arch9wavefront6targetE1EEEvT1_
; %bb.0:
	.section	.rodata,"a",@progbits
	.p2align	6, 0x0
	.amdhsa_kernel _ZN7rocprim17ROCPRIM_400000_NS6detail17trampoline_kernelINS0_14default_configENS1_25partition_config_selectorILNS1_17partition_subalgoE9EllbEEZZNS1_14partition_implILS5_9ELb0ES3_jPlS8_PNS0_10empty_typeENS0_5tupleIJS8_S9_EEENSB_IJS8_SA_EEENS0_18inequality_wrapperIZN2at6native12_GLOBAL__N_124unique_dim_cuda_templateIN3c108BFloat16EEESt5tupleIJNSF_6TensorESM_SM_EERKSM_lbbbEUlllE0_EEPmJS9_EEE10hipError_tPvRmT3_T4_T5_T6_T7_T9_mT8_P12ihipStream_tbDpT10_ENKUlT_T0_E_clISt17integral_constantIbLb1EES1C_EEDaS17_S18_EUlS17_E_NS1_11comp_targetILNS1_3genE3ELNS1_11target_archE908ELNS1_3gpuE7ELNS1_3repE0EEENS1_30default_config_static_selectorELNS0_4arch9wavefront6targetE1EEEvT1_
		.amdhsa_group_segment_fixed_size 0
		.amdhsa_private_segment_fixed_size 0
		.amdhsa_kernarg_size 136
		.amdhsa_user_sgpr_count 2
		.amdhsa_user_sgpr_dispatch_ptr 0
		.amdhsa_user_sgpr_queue_ptr 0
		.amdhsa_user_sgpr_kernarg_segment_ptr 1
		.amdhsa_user_sgpr_dispatch_id 0
		.amdhsa_user_sgpr_kernarg_preload_length 0
		.amdhsa_user_sgpr_kernarg_preload_offset 0
		.amdhsa_user_sgpr_private_segment_size 0
		.amdhsa_uses_dynamic_stack 0
		.amdhsa_enable_private_segment 0
		.amdhsa_system_sgpr_workgroup_id_x 1
		.amdhsa_system_sgpr_workgroup_id_y 0
		.amdhsa_system_sgpr_workgroup_id_z 0
		.amdhsa_system_sgpr_workgroup_info 0
		.amdhsa_system_vgpr_workitem_id 0
		.amdhsa_next_free_vgpr 1
		.amdhsa_next_free_sgpr 0
		.amdhsa_accum_offset 4
		.amdhsa_reserve_vcc 0
		.amdhsa_float_round_mode_32 0
		.amdhsa_float_round_mode_16_64 0
		.amdhsa_float_denorm_mode_32 3
		.amdhsa_float_denorm_mode_16_64 3
		.amdhsa_dx10_clamp 1
		.amdhsa_ieee_mode 1
		.amdhsa_fp16_overflow 0
		.amdhsa_tg_split 0
		.amdhsa_exception_fp_ieee_invalid_op 0
		.amdhsa_exception_fp_denorm_src 0
		.amdhsa_exception_fp_ieee_div_zero 0
		.amdhsa_exception_fp_ieee_overflow 0
		.amdhsa_exception_fp_ieee_underflow 0
		.amdhsa_exception_fp_ieee_inexact 0
		.amdhsa_exception_int_div_zero 0
	.end_amdhsa_kernel
	.section	.text._ZN7rocprim17ROCPRIM_400000_NS6detail17trampoline_kernelINS0_14default_configENS1_25partition_config_selectorILNS1_17partition_subalgoE9EllbEEZZNS1_14partition_implILS5_9ELb0ES3_jPlS8_PNS0_10empty_typeENS0_5tupleIJS8_S9_EEENSB_IJS8_SA_EEENS0_18inequality_wrapperIZN2at6native12_GLOBAL__N_124unique_dim_cuda_templateIN3c108BFloat16EEESt5tupleIJNSF_6TensorESM_SM_EERKSM_lbbbEUlllE0_EEPmJS9_EEE10hipError_tPvRmT3_T4_T5_T6_T7_T9_mT8_P12ihipStream_tbDpT10_ENKUlT_T0_E_clISt17integral_constantIbLb1EES1C_EEDaS17_S18_EUlS17_E_NS1_11comp_targetILNS1_3genE3ELNS1_11target_archE908ELNS1_3gpuE7ELNS1_3repE0EEENS1_30default_config_static_selectorELNS0_4arch9wavefront6targetE1EEEvT1_,"axG",@progbits,_ZN7rocprim17ROCPRIM_400000_NS6detail17trampoline_kernelINS0_14default_configENS1_25partition_config_selectorILNS1_17partition_subalgoE9EllbEEZZNS1_14partition_implILS5_9ELb0ES3_jPlS8_PNS0_10empty_typeENS0_5tupleIJS8_S9_EEENSB_IJS8_SA_EEENS0_18inequality_wrapperIZN2at6native12_GLOBAL__N_124unique_dim_cuda_templateIN3c108BFloat16EEESt5tupleIJNSF_6TensorESM_SM_EERKSM_lbbbEUlllE0_EEPmJS9_EEE10hipError_tPvRmT3_T4_T5_T6_T7_T9_mT8_P12ihipStream_tbDpT10_ENKUlT_T0_E_clISt17integral_constantIbLb1EES1C_EEDaS17_S18_EUlS17_E_NS1_11comp_targetILNS1_3genE3ELNS1_11target_archE908ELNS1_3gpuE7ELNS1_3repE0EEENS1_30default_config_static_selectorELNS0_4arch9wavefront6targetE1EEEvT1_,comdat
.Lfunc_end1225:
	.size	_ZN7rocprim17ROCPRIM_400000_NS6detail17trampoline_kernelINS0_14default_configENS1_25partition_config_selectorILNS1_17partition_subalgoE9EllbEEZZNS1_14partition_implILS5_9ELb0ES3_jPlS8_PNS0_10empty_typeENS0_5tupleIJS8_S9_EEENSB_IJS8_SA_EEENS0_18inequality_wrapperIZN2at6native12_GLOBAL__N_124unique_dim_cuda_templateIN3c108BFloat16EEESt5tupleIJNSF_6TensorESM_SM_EERKSM_lbbbEUlllE0_EEPmJS9_EEE10hipError_tPvRmT3_T4_T5_T6_T7_T9_mT8_P12ihipStream_tbDpT10_ENKUlT_T0_E_clISt17integral_constantIbLb1EES1C_EEDaS17_S18_EUlS17_E_NS1_11comp_targetILNS1_3genE3ELNS1_11target_archE908ELNS1_3gpuE7ELNS1_3repE0EEENS1_30default_config_static_selectorELNS0_4arch9wavefront6targetE1EEEvT1_, .Lfunc_end1225-_ZN7rocprim17ROCPRIM_400000_NS6detail17trampoline_kernelINS0_14default_configENS1_25partition_config_selectorILNS1_17partition_subalgoE9EllbEEZZNS1_14partition_implILS5_9ELb0ES3_jPlS8_PNS0_10empty_typeENS0_5tupleIJS8_S9_EEENSB_IJS8_SA_EEENS0_18inequality_wrapperIZN2at6native12_GLOBAL__N_124unique_dim_cuda_templateIN3c108BFloat16EEESt5tupleIJNSF_6TensorESM_SM_EERKSM_lbbbEUlllE0_EEPmJS9_EEE10hipError_tPvRmT3_T4_T5_T6_T7_T9_mT8_P12ihipStream_tbDpT10_ENKUlT_T0_E_clISt17integral_constantIbLb1EES1C_EEDaS17_S18_EUlS17_E_NS1_11comp_targetILNS1_3genE3ELNS1_11target_archE908ELNS1_3gpuE7ELNS1_3repE0EEENS1_30default_config_static_selectorELNS0_4arch9wavefront6targetE1EEEvT1_
                                        ; -- End function
	.section	.AMDGPU.csdata,"",@progbits
; Kernel info:
; codeLenInByte = 0
; NumSgprs: 6
; NumVgprs: 0
; NumAgprs: 0
; TotalNumVgprs: 0
; ScratchSize: 0
; MemoryBound: 0
; FloatMode: 240
; IeeeMode: 1
; LDSByteSize: 0 bytes/workgroup (compile time only)
; SGPRBlocks: 0
; VGPRBlocks: 0
; NumSGPRsForWavesPerEU: 6
; NumVGPRsForWavesPerEU: 1
; AccumOffset: 4
; Occupancy: 8
; WaveLimiterHint : 0
; COMPUTE_PGM_RSRC2:SCRATCH_EN: 0
; COMPUTE_PGM_RSRC2:USER_SGPR: 2
; COMPUTE_PGM_RSRC2:TRAP_HANDLER: 0
; COMPUTE_PGM_RSRC2:TGID_X_EN: 1
; COMPUTE_PGM_RSRC2:TGID_Y_EN: 0
; COMPUTE_PGM_RSRC2:TGID_Z_EN: 0
; COMPUTE_PGM_RSRC2:TIDIG_COMP_CNT: 0
; COMPUTE_PGM_RSRC3_GFX90A:ACCUM_OFFSET: 0
; COMPUTE_PGM_RSRC3_GFX90A:TG_SPLIT: 0
	.section	.text._ZN7rocprim17ROCPRIM_400000_NS6detail17trampoline_kernelINS0_14default_configENS1_25partition_config_selectorILNS1_17partition_subalgoE9EllbEEZZNS1_14partition_implILS5_9ELb0ES3_jPlS8_PNS0_10empty_typeENS0_5tupleIJS8_S9_EEENSB_IJS8_SA_EEENS0_18inequality_wrapperIZN2at6native12_GLOBAL__N_124unique_dim_cuda_templateIN3c108BFloat16EEESt5tupleIJNSF_6TensorESM_SM_EERKSM_lbbbEUlllE0_EEPmJS9_EEE10hipError_tPvRmT3_T4_T5_T6_T7_T9_mT8_P12ihipStream_tbDpT10_ENKUlT_T0_E_clISt17integral_constantIbLb1EES1C_EEDaS17_S18_EUlS17_E_NS1_11comp_targetILNS1_3genE2ELNS1_11target_archE906ELNS1_3gpuE6ELNS1_3repE0EEENS1_30default_config_static_selectorELNS0_4arch9wavefront6targetE1EEEvT1_,"axG",@progbits,_ZN7rocprim17ROCPRIM_400000_NS6detail17trampoline_kernelINS0_14default_configENS1_25partition_config_selectorILNS1_17partition_subalgoE9EllbEEZZNS1_14partition_implILS5_9ELb0ES3_jPlS8_PNS0_10empty_typeENS0_5tupleIJS8_S9_EEENSB_IJS8_SA_EEENS0_18inequality_wrapperIZN2at6native12_GLOBAL__N_124unique_dim_cuda_templateIN3c108BFloat16EEESt5tupleIJNSF_6TensorESM_SM_EERKSM_lbbbEUlllE0_EEPmJS9_EEE10hipError_tPvRmT3_T4_T5_T6_T7_T9_mT8_P12ihipStream_tbDpT10_ENKUlT_T0_E_clISt17integral_constantIbLb1EES1C_EEDaS17_S18_EUlS17_E_NS1_11comp_targetILNS1_3genE2ELNS1_11target_archE906ELNS1_3gpuE6ELNS1_3repE0EEENS1_30default_config_static_selectorELNS0_4arch9wavefront6targetE1EEEvT1_,comdat
	.globl	_ZN7rocprim17ROCPRIM_400000_NS6detail17trampoline_kernelINS0_14default_configENS1_25partition_config_selectorILNS1_17partition_subalgoE9EllbEEZZNS1_14partition_implILS5_9ELb0ES3_jPlS8_PNS0_10empty_typeENS0_5tupleIJS8_S9_EEENSB_IJS8_SA_EEENS0_18inequality_wrapperIZN2at6native12_GLOBAL__N_124unique_dim_cuda_templateIN3c108BFloat16EEESt5tupleIJNSF_6TensorESM_SM_EERKSM_lbbbEUlllE0_EEPmJS9_EEE10hipError_tPvRmT3_T4_T5_T6_T7_T9_mT8_P12ihipStream_tbDpT10_ENKUlT_T0_E_clISt17integral_constantIbLb1EES1C_EEDaS17_S18_EUlS17_E_NS1_11comp_targetILNS1_3genE2ELNS1_11target_archE906ELNS1_3gpuE6ELNS1_3repE0EEENS1_30default_config_static_selectorELNS0_4arch9wavefront6targetE1EEEvT1_ ; -- Begin function _ZN7rocprim17ROCPRIM_400000_NS6detail17trampoline_kernelINS0_14default_configENS1_25partition_config_selectorILNS1_17partition_subalgoE9EllbEEZZNS1_14partition_implILS5_9ELb0ES3_jPlS8_PNS0_10empty_typeENS0_5tupleIJS8_S9_EEENSB_IJS8_SA_EEENS0_18inequality_wrapperIZN2at6native12_GLOBAL__N_124unique_dim_cuda_templateIN3c108BFloat16EEESt5tupleIJNSF_6TensorESM_SM_EERKSM_lbbbEUlllE0_EEPmJS9_EEE10hipError_tPvRmT3_T4_T5_T6_T7_T9_mT8_P12ihipStream_tbDpT10_ENKUlT_T0_E_clISt17integral_constantIbLb1EES1C_EEDaS17_S18_EUlS17_E_NS1_11comp_targetILNS1_3genE2ELNS1_11target_archE906ELNS1_3gpuE6ELNS1_3repE0EEENS1_30default_config_static_selectorELNS0_4arch9wavefront6targetE1EEEvT1_
	.p2align	8
	.type	_ZN7rocprim17ROCPRIM_400000_NS6detail17trampoline_kernelINS0_14default_configENS1_25partition_config_selectorILNS1_17partition_subalgoE9EllbEEZZNS1_14partition_implILS5_9ELb0ES3_jPlS8_PNS0_10empty_typeENS0_5tupleIJS8_S9_EEENSB_IJS8_SA_EEENS0_18inequality_wrapperIZN2at6native12_GLOBAL__N_124unique_dim_cuda_templateIN3c108BFloat16EEESt5tupleIJNSF_6TensorESM_SM_EERKSM_lbbbEUlllE0_EEPmJS9_EEE10hipError_tPvRmT3_T4_T5_T6_T7_T9_mT8_P12ihipStream_tbDpT10_ENKUlT_T0_E_clISt17integral_constantIbLb1EES1C_EEDaS17_S18_EUlS17_E_NS1_11comp_targetILNS1_3genE2ELNS1_11target_archE906ELNS1_3gpuE6ELNS1_3repE0EEENS1_30default_config_static_selectorELNS0_4arch9wavefront6targetE1EEEvT1_,@function
_ZN7rocprim17ROCPRIM_400000_NS6detail17trampoline_kernelINS0_14default_configENS1_25partition_config_selectorILNS1_17partition_subalgoE9EllbEEZZNS1_14partition_implILS5_9ELb0ES3_jPlS8_PNS0_10empty_typeENS0_5tupleIJS8_S9_EEENSB_IJS8_SA_EEENS0_18inequality_wrapperIZN2at6native12_GLOBAL__N_124unique_dim_cuda_templateIN3c108BFloat16EEESt5tupleIJNSF_6TensorESM_SM_EERKSM_lbbbEUlllE0_EEPmJS9_EEE10hipError_tPvRmT3_T4_T5_T6_T7_T9_mT8_P12ihipStream_tbDpT10_ENKUlT_T0_E_clISt17integral_constantIbLb1EES1C_EEDaS17_S18_EUlS17_E_NS1_11comp_targetILNS1_3genE2ELNS1_11target_archE906ELNS1_3gpuE6ELNS1_3repE0EEENS1_30default_config_static_selectorELNS0_4arch9wavefront6targetE1EEEvT1_: ; @_ZN7rocprim17ROCPRIM_400000_NS6detail17trampoline_kernelINS0_14default_configENS1_25partition_config_selectorILNS1_17partition_subalgoE9EllbEEZZNS1_14partition_implILS5_9ELb0ES3_jPlS8_PNS0_10empty_typeENS0_5tupleIJS8_S9_EEENSB_IJS8_SA_EEENS0_18inequality_wrapperIZN2at6native12_GLOBAL__N_124unique_dim_cuda_templateIN3c108BFloat16EEESt5tupleIJNSF_6TensorESM_SM_EERKSM_lbbbEUlllE0_EEPmJS9_EEE10hipError_tPvRmT3_T4_T5_T6_T7_T9_mT8_P12ihipStream_tbDpT10_ENKUlT_T0_E_clISt17integral_constantIbLb1EES1C_EEDaS17_S18_EUlS17_E_NS1_11comp_targetILNS1_3genE2ELNS1_11target_archE906ELNS1_3gpuE6ELNS1_3repE0EEENS1_30default_config_static_selectorELNS0_4arch9wavefront6targetE1EEEvT1_
; %bb.0:
	.section	.rodata,"a",@progbits
	.p2align	6, 0x0
	.amdhsa_kernel _ZN7rocprim17ROCPRIM_400000_NS6detail17trampoline_kernelINS0_14default_configENS1_25partition_config_selectorILNS1_17partition_subalgoE9EllbEEZZNS1_14partition_implILS5_9ELb0ES3_jPlS8_PNS0_10empty_typeENS0_5tupleIJS8_S9_EEENSB_IJS8_SA_EEENS0_18inequality_wrapperIZN2at6native12_GLOBAL__N_124unique_dim_cuda_templateIN3c108BFloat16EEESt5tupleIJNSF_6TensorESM_SM_EERKSM_lbbbEUlllE0_EEPmJS9_EEE10hipError_tPvRmT3_T4_T5_T6_T7_T9_mT8_P12ihipStream_tbDpT10_ENKUlT_T0_E_clISt17integral_constantIbLb1EES1C_EEDaS17_S18_EUlS17_E_NS1_11comp_targetILNS1_3genE2ELNS1_11target_archE906ELNS1_3gpuE6ELNS1_3repE0EEENS1_30default_config_static_selectorELNS0_4arch9wavefront6targetE1EEEvT1_
		.amdhsa_group_segment_fixed_size 0
		.amdhsa_private_segment_fixed_size 0
		.amdhsa_kernarg_size 136
		.amdhsa_user_sgpr_count 2
		.amdhsa_user_sgpr_dispatch_ptr 0
		.amdhsa_user_sgpr_queue_ptr 0
		.amdhsa_user_sgpr_kernarg_segment_ptr 1
		.amdhsa_user_sgpr_dispatch_id 0
		.amdhsa_user_sgpr_kernarg_preload_length 0
		.amdhsa_user_sgpr_kernarg_preload_offset 0
		.amdhsa_user_sgpr_private_segment_size 0
		.amdhsa_uses_dynamic_stack 0
		.amdhsa_enable_private_segment 0
		.amdhsa_system_sgpr_workgroup_id_x 1
		.amdhsa_system_sgpr_workgroup_id_y 0
		.amdhsa_system_sgpr_workgroup_id_z 0
		.amdhsa_system_sgpr_workgroup_info 0
		.amdhsa_system_vgpr_workitem_id 0
		.amdhsa_next_free_vgpr 1
		.amdhsa_next_free_sgpr 0
		.amdhsa_accum_offset 4
		.amdhsa_reserve_vcc 0
		.amdhsa_float_round_mode_32 0
		.amdhsa_float_round_mode_16_64 0
		.amdhsa_float_denorm_mode_32 3
		.amdhsa_float_denorm_mode_16_64 3
		.amdhsa_dx10_clamp 1
		.amdhsa_ieee_mode 1
		.amdhsa_fp16_overflow 0
		.amdhsa_tg_split 0
		.amdhsa_exception_fp_ieee_invalid_op 0
		.amdhsa_exception_fp_denorm_src 0
		.amdhsa_exception_fp_ieee_div_zero 0
		.amdhsa_exception_fp_ieee_overflow 0
		.amdhsa_exception_fp_ieee_underflow 0
		.amdhsa_exception_fp_ieee_inexact 0
		.amdhsa_exception_int_div_zero 0
	.end_amdhsa_kernel
	.section	.text._ZN7rocprim17ROCPRIM_400000_NS6detail17trampoline_kernelINS0_14default_configENS1_25partition_config_selectorILNS1_17partition_subalgoE9EllbEEZZNS1_14partition_implILS5_9ELb0ES3_jPlS8_PNS0_10empty_typeENS0_5tupleIJS8_S9_EEENSB_IJS8_SA_EEENS0_18inequality_wrapperIZN2at6native12_GLOBAL__N_124unique_dim_cuda_templateIN3c108BFloat16EEESt5tupleIJNSF_6TensorESM_SM_EERKSM_lbbbEUlllE0_EEPmJS9_EEE10hipError_tPvRmT3_T4_T5_T6_T7_T9_mT8_P12ihipStream_tbDpT10_ENKUlT_T0_E_clISt17integral_constantIbLb1EES1C_EEDaS17_S18_EUlS17_E_NS1_11comp_targetILNS1_3genE2ELNS1_11target_archE906ELNS1_3gpuE6ELNS1_3repE0EEENS1_30default_config_static_selectorELNS0_4arch9wavefront6targetE1EEEvT1_,"axG",@progbits,_ZN7rocprim17ROCPRIM_400000_NS6detail17trampoline_kernelINS0_14default_configENS1_25partition_config_selectorILNS1_17partition_subalgoE9EllbEEZZNS1_14partition_implILS5_9ELb0ES3_jPlS8_PNS0_10empty_typeENS0_5tupleIJS8_S9_EEENSB_IJS8_SA_EEENS0_18inequality_wrapperIZN2at6native12_GLOBAL__N_124unique_dim_cuda_templateIN3c108BFloat16EEESt5tupleIJNSF_6TensorESM_SM_EERKSM_lbbbEUlllE0_EEPmJS9_EEE10hipError_tPvRmT3_T4_T5_T6_T7_T9_mT8_P12ihipStream_tbDpT10_ENKUlT_T0_E_clISt17integral_constantIbLb1EES1C_EEDaS17_S18_EUlS17_E_NS1_11comp_targetILNS1_3genE2ELNS1_11target_archE906ELNS1_3gpuE6ELNS1_3repE0EEENS1_30default_config_static_selectorELNS0_4arch9wavefront6targetE1EEEvT1_,comdat
.Lfunc_end1226:
	.size	_ZN7rocprim17ROCPRIM_400000_NS6detail17trampoline_kernelINS0_14default_configENS1_25partition_config_selectorILNS1_17partition_subalgoE9EllbEEZZNS1_14partition_implILS5_9ELb0ES3_jPlS8_PNS0_10empty_typeENS0_5tupleIJS8_S9_EEENSB_IJS8_SA_EEENS0_18inequality_wrapperIZN2at6native12_GLOBAL__N_124unique_dim_cuda_templateIN3c108BFloat16EEESt5tupleIJNSF_6TensorESM_SM_EERKSM_lbbbEUlllE0_EEPmJS9_EEE10hipError_tPvRmT3_T4_T5_T6_T7_T9_mT8_P12ihipStream_tbDpT10_ENKUlT_T0_E_clISt17integral_constantIbLb1EES1C_EEDaS17_S18_EUlS17_E_NS1_11comp_targetILNS1_3genE2ELNS1_11target_archE906ELNS1_3gpuE6ELNS1_3repE0EEENS1_30default_config_static_selectorELNS0_4arch9wavefront6targetE1EEEvT1_, .Lfunc_end1226-_ZN7rocprim17ROCPRIM_400000_NS6detail17trampoline_kernelINS0_14default_configENS1_25partition_config_selectorILNS1_17partition_subalgoE9EllbEEZZNS1_14partition_implILS5_9ELb0ES3_jPlS8_PNS0_10empty_typeENS0_5tupleIJS8_S9_EEENSB_IJS8_SA_EEENS0_18inequality_wrapperIZN2at6native12_GLOBAL__N_124unique_dim_cuda_templateIN3c108BFloat16EEESt5tupleIJNSF_6TensorESM_SM_EERKSM_lbbbEUlllE0_EEPmJS9_EEE10hipError_tPvRmT3_T4_T5_T6_T7_T9_mT8_P12ihipStream_tbDpT10_ENKUlT_T0_E_clISt17integral_constantIbLb1EES1C_EEDaS17_S18_EUlS17_E_NS1_11comp_targetILNS1_3genE2ELNS1_11target_archE906ELNS1_3gpuE6ELNS1_3repE0EEENS1_30default_config_static_selectorELNS0_4arch9wavefront6targetE1EEEvT1_
                                        ; -- End function
	.section	.AMDGPU.csdata,"",@progbits
; Kernel info:
; codeLenInByte = 0
; NumSgprs: 6
; NumVgprs: 0
; NumAgprs: 0
; TotalNumVgprs: 0
; ScratchSize: 0
; MemoryBound: 0
; FloatMode: 240
; IeeeMode: 1
; LDSByteSize: 0 bytes/workgroup (compile time only)
; SGPRBlocks: 0
; VGPRBlocks: 0
; NumSGPRsForWavesPerEU: 6
; NumVGPRsForWavesPerEU: 1
; AccumOffset: 4
; Occupancy: 8
; WaveLimiterHint : 0
; COMPUTE_PGM_RSRC2:SCRATCH_EN: 0
; COMPUTE_PGM_RSRC2:USER_SGPR: 2
; COMPUTE_PGM_RSRC2:TRAP_HANDLER: 0
; COMPUTE_PGM_RSRC2:TGID_X_EN: 1
; COMPUTE_PGM_RSRC2:TGID_Y_EN: 0
; COMPUTE_PGM_RSRC2:TGID_Z_EN: 0
; COMPUTE_PGM_RSRC2:TIDIG_COMP_CNT: 0
; COMPUTE_PGM_RSRC3_GFX90A:ACCUM_OFFSET: 0
; COMPUTE_PGM_RSRC3_GFX90A:TG_SPLIT: 0
	.section	.text._ZN7rocprim17ROCPRIM_400000_NS6detail17trampoline_kernelINS0_14default_configENS1_25partition_config_selectorILNS1_17partition_subalgoE9EllbEEZZNS1_14partition_implILS5_9ELb0ES3_jPlS8_PNS0_10empty_typeENS0_5tupleIJS8_S9_EEENSB_IJS8_SA_EEENS0_18inequality_wrapperIZN2at6native12_GLOBAL__N_124unique_dim_cuda_templateIN3c108BFloat16EEESt5tupleIJNSF_6TensorESM_SM_EERKSM_lbbbEUlllE0_EEPmJS9_EEE10hipError_tPvRmT3_T4_T5_T6_T7_T9_mT8_P12ihipStream_tbDpT10_ENKUlT_T0_E_clISt17integral_constantIbLb1EES1C_EEDaS17_S18_EUlS17_E_NS1_11comp_targetILNS1_3genE10ELNS1_11target_archE1200ELNS1_3gpuE4ELNS1_3repE0EEENS1_30default_config_static_selectorELNS0_4arch9wavefront6targetE1EEEvT1_,"axG",@progbits,_ZN7rocprim17ROCPRIM_400000_NS6detail17trampoline_kernelINS0_14default_configENS1_25partition_config_selectorILNS1_17partition_subalgoE9EllbEEZZNS1_14partition_implILS5_9ELb0ES3_jPlS8_PNS0_10empty_typeENS0_5tupleIJS8_S9_EEENSB_IJS8_SA_EEENS0_18inequality_wrapperIZN2at6native12_GLOBAL__N_124unique_dim_cuda_templateIN3c108BFloat16EEESt5tupleIJNSF_6TensorESM_SM_EERKSM_lbbbEUlllE0_EEPmJS9_EEE10hipError_tPvRmT3_T4_T5_T6_T7_T9_mT8_P12ihipStream_tbDpT10_ENKUlT_T0_E_clISt17integral_constantIbLb1EES1C_EEDaS17_S18_EUlS17_E_NS1_11comp_targetILNS1_3genE10ELNS1_11target_archE1200ELNS1_3gpuE4ELNS1_3repE0EEENS1_30default_config_static_selectorELNS0_4arch9wavefront6targetE1EEEvT1_,comdat
	.globl	_ZN7rocprim17ROCPRIM_400000_NS6detail17trampoline_kernelINS0_14default_configENS1_25partition_config_selectorILNS1_17partition_subalgoE9EllbEEZZNS1_14partition_implILS5_9ELb0ES3_jPlS8_PNS0_10empty_typeENS0_5tupleIJS8_S9_EEENSB_IJS8_SA_EEENS0_18inequality_wrapperIZN2at6native12_GLOBAL__N_124unique_dim_cuda_templateIN3c108BFloat16EEESt5tupleIJNSF_6TensorESM_SM_EERKSM_lbbbEUlllE0_EEPmJS9_EEE10hipError_tPvRmT3_T4_T5_T6_T7_T9_mT8_P12ihipStream_tbDpT10_ENKUlT_T0_E_clISt17integral_constantIbLb1EES1C_EEDaS17_S18_EUlS17_E_NS1_11comp_targetILNS1_3genE10ELNS1_11target_archE1200ELNS1_3gpuE4ELNS1_3repE0EEENS1_30default_config_static_selectorELNS0_4arch9wavefront6targetE1EEEvT1_ ; -- Begin function _ZN7rocprim17ROCPRIM_400000_NS6detail17trampoline_kernelINS0_14default_configENS1_25partition_config_selectorILNS1_17partition_subalgoE9EllbEEZZNS1_14partition_implILS5_9ELb0ES3_jPlS8_PNS0_10empty_typeENS0_5tupleIJS8_S9_EEENSB_IJS8_SA_EEENS0_18inequality_wrapperIZN2at6native12_GLOBAL__N_124unique_dim_cuda_templateIN3c108BFloat16EEESt5tupleIJNSF_6TensorESM_SM_EERKSM_lbbbEUlllE0_EEPmJS9_EEE10hipError_tPvRmT3_T4_T5_T6_T7_T9_mT8_P12ihipStream_tbDpT10_ENKUlT_T0_E_clISt17integral_constantIbLb1EES1C_EEDaS17_S18_EUlS17_E_NS1_11comp_targetILNS1_3genE10ELNS1_11target_archE1200ELNS1_3gpuE4ELNS1_3repE0EEENS1_30default_config_static_selectorELNS0_4arch9wavefront6targetE1EEEvT1_
	.p2align	8
	.type	_ZN7rocprim17ROCPRIM_400000_NS6detail17trampoline_kernelINS0_14default_configENS1_25partition_config_selectorILNS1_17partition_subalgoE9EllbEEZZNS1_14partition_implILS5_9ELb0ES3_jPlS8_PNS0_10empty_typeENS0_5tupleIJS8_S9_EEENSB_IJS8_SA_EEENS0_18inequality_wrapperIZN2at6native12_GLOBAL__N_124unique_dim_cuda_templateIN3c108BFloat16EEESt5tupleIJNSF_6TensorESM_SM_EERKSM_lbbbEUlllE0_EEPmJS9_EEE10hipError_tPvRmT3_T4_T5_T6_T7_T9_mT8_P12ihipStream_tbDpT10_ENKUlT_T0_E_clISt17integral_constantIbLb1EES1C_EEDaS17_S18_EUlS17_E_NS1_11comp_targetILNS1_3genE10ELNS1_11target_archE1200ELNS1_3gpuE4ELNS1_3repE0EEENS1_30default_config_static_selectorELNS0_4arch9wavefront6targetE1EEEvT1_,@function
_ZN7rocprim17ROCPRIM_400000_NS6detail17trampoline_kernelINS0_14default_configENS1_25partition_config_selectorILNS1_17partition_subalgoE9EllbEEZZNS1_14partition_implILS5_9ELb0ES3_jPlS8_PNS0_10empty_typeENS0_5tupleIJS8_S9_EEENSB_IJS8_SA_EEENS0_18inequality_wrapperIZN2at6native12_GLOBAL__N_124unique_dim_cuda_templateIN3c108BFloat16EEESt5tupleIJNSF_6TensorESM_SM_EERKSM_lbbbEUlllE0_EEPmJS9_EEE10hipError_tPvRmT3_T4_T5_T6_T7_T9_mT8_P12ihipStream_tbDpT10_ENKUlT_T0_E_clISt17integral_constantIbLb1EES1C_EEDaS17_S18_EUlS17_E_NS1_11comp_targetILNS1_3genE10ELNS1_11target_archE1200ELNS1_3gpuE4ELNS1_3repE0EEENS1_30default_config_static_selectorELNS0_4arch9wavefront6targetE1EEEvT1_: ; @_ZN7rocprim17ROCPRIM_400000_NS6detail17trampoline_kernelINS0_14default_configENS1_25partition_config_selectorILNS1_17partition_subalgoE9EllbEEZZNS1_14partition_implILS5_9ELb0ES3_jPlS8_PNS0_10empty_typeENS0_5tupleIJS8_S9_EEENSB_IJS8_SA_EEENS0_18inequality_wrapperIZN2at6native12_GLOBAL__N_124unique_dim_cuda_templateIN3c108BFloat16EEESt5tupleIJNSF_6TensorESM_SM_EERKSM_lbbbEUlllE0_EEPmJS9_EEE10hipError_tPvRmT3_T4_T5_T6_T7_T9_mT8_P12ihipStream_tbDpT10_ENKUlT_T0_E_clISt17integral_constantIbLb1EES1C_EEDaS17_S18_EUlS17_E_NS1_11comp_targetILNS1_3genE10ELNS1_11target_archE1200ELNS1_3gpuE4ELNS1_3repE0EEENS1_30default_config_static_selectorELNS0_4arch9wavefront6targetE1EEEvT1_
; %bb.0:
	.section	.rodata,"a",@progbits
	.p2align	6, 0x0
	.amdhsa_kernel _ZN7rocprim17ROCPRIM_400000_NS6detail17trampoline_kernelINS0_14default_configENS1_25partition_config_selectorILNS1_17partition_subalgoE9EllbEEZZNS1_14partition_implILS5_9ELb0ES3_jPlS8_PNS0_10empty_typeENS0_5tupleIJS8_S9_EEENSB_IJS8_SA_EEENS0_18inequality_wrapperIZN2at6native12_GLOBAL__N_124unique_dim_cuda_templateIN3c108BFloat16EEESt5tupleIJNSF_6TensorESM_SM_EERKSM_lbbbEUlllE0_EEPmJS9_EEE10hipError_tPvRmT3_T4_T5_T6_T7_T9_mT8_P12ihipStream_tbDpT10_ENKUlT_T0_E_clISt17integral_constantIbLb1EES1C_EEDaS17_S18_EUlS17_E_NS1_11comp_targetILNS1_3genE10ELNS1_11target_archE1200ELNS1_3gpuE4ELNS1_3repE0EEENS1_30default_config_static_selectorELNS0_4arch9wavefront6targetE1EEEvT1_
		.amdhsa_group_segment_fixed_size 0
		.amdhsa_private_segment_fixed_size 0
		.amdhsa_kernarg_size 136
		.amdhsa_user_sgpr_count 2
		.amdhsa_user_sgpr_dispatch_ptr 0
		.amdhsa_user_sgpr_queue_ptr 0
		.amdhsa_user_sgpr_kernarg_segment_ptr 1
		.amdhsa_user_sgpr_dispatch_id 0
		.amdhsa_user_sgpr_kernarg_preload_length 0
		.amdhsa_user_sgpr_kernarg_preload_offset 0
		.amdhsa_user_sgpr_private_segment_size 0
		.amdhsa_uses_dynamic_stack 0
		.amdhsa_enable_private_segment 0
		.amdhsa_system_sgpr_workgroup_id_x 1
		.amdhsa_system_sgpr_workgroup_id_y 0
		.amdhsa_system_sgpr_workgroup_id_z 0
		.amdhsa_system_sgpr_workgroup_info 0
		.amdhsa_system_vgpr_workitem_id 0
		.amdhsa_next_free_vgpr 1
		.amdhsa_next_free_sgpr 0
		.amdhsa_accum_offset 4
		.amdhsa_reserve_vcc 0
		.amdhsa_float_round_mode_32 0
		.amdhsa_float_round_mode_16_64 0
		.amdhsa_float_denorm_mode_32 3
		.amdhsa_float_denorm_mode_16_64 3
		.amdhsa_dx10_clamp 1
		.amdhsa_ieee_mode 1
		.amdhsa_fp16_overflow 0
		.amdhsa_tg_split 0
		.amdhsa_exception_fp_ieee_invalid_op 0
		.amdhsa_exception_fp_denorm_src 0
		.amdhsa_exception_fp_ieee_div_zero 0
		.amdhsa_exception_fp_ieee_overflow 0
		.amdhsa_exception_fp_ieee_underflow 0
		.amdhsa_exception_fp_ieee_inexact 0
		.amdhsa_exception_int_div_zero 0
	.end_amdhsa_kernel
	.section	.text._ZN7rocprim17ROCPRIM_400000_NS6detail17trampoline_kernelINS0_14default_configENS1_25partition_config_selectorILNS1_17partition_subalgoE9EllbEEZZNS1_14partition_implILS5_9ELb0ES3_jPlS8_PNS0_10empty_typeENS0_5tupleIJS8_S9_EEENSB_IJS8_SA_EEENS0_18inequality_wrapperIZN2at6native12_GLOBAL__N_124unique_dim_cuda_templateIN3c108BFloat16EEESt5tupleIJNSF_6TensorESM_SM_EERKSM_lbbbEUlllE0_EEPmJS9_EEE10hipError_tPvRmT3_T4_T5_T6_T7_T9_mT8_P12ihipStream_tbDpT10_ENKUlT_T0_E_clISt17integral_constantIbLb1EES1C_EEDaS17_S18_EUlS17_E_NS1_11comp_targetILNS1_3genE10ELNS1_11target_archE1200ELNS1_3gpuE4ELNS1_3repE0EEENS1_30default_config_static_selectorELNS0_4arch9wavefront6targetE1EEEvT1_,"axG",@progbits,_ZN7rocprim17ROCPRIM_400000_NS6detail17trampoline_kernelINS0_14default_configENS1_25partition_config_selectorILNS1_17partition_subalgoE9EllbEEZZNS1_14partition_implILS5_9ELb0ES3_jPlS8_PNS0_10empty_typeENS0_5tupleIJS8_S9_EEENSB_IJS8_SA_EEENS0_18inequality_wrapperIZN2at6native12_GLOBAL__N_124unique_dim_cuda_templateIN3c108BFloat16EEESt5tupleIJNSF_6TensorESM_SM_EERKSM_lbbbEUlllE0_EEPmJS9_EEE10hipError_tPvRmT3_T4_T5_T6_T7_T9_mT8_P12ihipStream_tbDpT10_ENKUlT_T0_E_clISt17integral_constantIbLb1EES1C_EEDaS17_S18_EUlS17_E_NS1_11comp_targetILNS1_3genE10ELNS1_11target_archE1200ELNS1_3gpuE4ELNS1_3repE0EEENS1_30default_config_static_selectorELNS0_4arch9wavefront6targetE1EEEvT1_,comdat
.Lfunc_end1227:
	.size	_ZN7rocprim17ROCPRIM_400000_NS6detail17trampoline_kernelINS0_14default_configENS1_25partition_config_selectorILNS1_17partition_subalgoE9EllbEEZZNS1_14partition_implILS5_9ELb0ES3_jPlS8_PNS0_10empty_typeENS0_5tupleIJS8_S9_EEENSB_IJS8_SA_EEENS0_18inequality_wrapperIZN2at6native12_GLOBAL__N_124unique_dim_cuda_templateIN3c108BFloat16EEESt5tupleIJNSF_6TensorESM_SM_EERKSM_lbbbEUlllE0_EEPmJS9_EEE10hipError_tPvRmT3_T4_T5_T6_T7_T9_mT8_P12ihipStream_tbDpT10_ENKUlT_T0_E_clISt17integral_constantIbLb1EES1C_EEDaS17_S18_EUlS17_E_NS1_11comp_targetILNS1_3genE10ELNS1_11target_archE1200ELNS1_3gpuE4ELNS1_3repE0EEENS1_30default_config_static_selectorELNS0_4arch9wavefront6targetE1EEEvT1_, .Lfunc_end1227-_ZN7rocprim17ROCPRIM_400000_NS6detail17trampoline_kernelINS0_14default_configENS1_25partition_config_selectorILNS1_17partition_subalgoE9EllbEEZZNS1_14partition_implILS5_9ELb0ES3_jPlS8_PNS0_10empty_typeENS0_5tupleIJS8_S9_EEENSB_IJS8_SA_EEENS0_18inequality_wrapperIZN2at6native12_GLOBAL__N_124unique_dim_cuda_templateIN3c108BFloat16EEESt5tupleIJNSF_6TensorESM_SM_EERKSM_lbbbEUlllE0_EEPmJS9_EEE10hipError_tPvRmT3_T4_T5_T6_T7_T9_mT8_P12ihipStream_tbDpT10_ENKUlT_T0_E_clISt17integral_constantIbLb1EES1C_EEDaS17_S18_EUlS17_E_NS1_11comp_targetILNS1_3genE10ELNS1_11target_archE1200ELNS1_3gpuE4ELNS1_3repE0EEENS1_30default_config_static_selectorELNS0_4arch9wavefront6targetE1EEEvT1_
                                        ; -- End function
	.section	.AMDGPU.csdata,"",@progbits
; Kernel info:
; codeLenInByte = 0
; NumSgprs: 6
; NumVgprs: 0
; NumAgprs: 0
; TotalNumVgprs: 0
; ScratchSize: 0
; MemoryBound: 0
; FloatMode: 240
; IeeeMode: 1
; LDSByteSize: 0 bytes/workgroup (compile time only)
; SGPRBlocks: 0
; VGPRBlocks: 0
; NumSGPRsForWavesPerEU: 6
; NumVGPRsForWavesPerEU: 1
; AccumOffset: 4
; Occupancy: 8
; WaveLimiterHint : 0
; COMPUTE_PGM_RSRC2:SCRATCH_EN: 0
; COMPUTE_PGM_RSRC2:USER_SGPR: 2
; COMPUTE_PGM_RSRC2:TRAP_HANDLER: 0
; COMPUTE_PGM_RSRC2:TGID_X_EN: 1
; COMPUTE_PGM_RSRC2:TGID_Y_EN: 0
; COMPUTE_PGM_RSRC2:TGID_Z_EN: 0
; COMPUTE_PGM_RSRC2:TIDIG_COMP_CNT: 0
; COMPUTE_PGM_RSRC3_GFX90A:ACCUM_OFFSET: 0
; COMPUTE_PGM_RSRC3_GFX90A:TG_SPLIT: 0
	.section	.text._ZN7rocprim17ROCPRIM_400000_NS6detail17trampoline_kernelINS0_14default_configENS1_25partition_config_selectorILNS1_17partition_subalgoE9EllbEEZZNS1_14partition_implILS5_9ELb0ES3_jPlS8_PNS0_10empty_typeENS0_5tupleIJS8_S9_EEENSB_IJS8_SA_EEENS0_18inequality_wrapperIZN2at6native12_GLOBAL__N_124unique_dim_cuda_templateIN3c108BFloat16EEESt5tupleIJNSF_6TensorESM_SM_EERKSM_lbbbEUlllE0_EEPmJS9_EEE10hipError_tPvRmT3_T4_T5_T6_T7_T9_mT8_P12ihipStream_tbDpT10_ENKUlT_T0_E_clISt17integral_constantIbLb1EES1C_EEDaS17_S18_EUlS17_E_NS1_11comp_targetILNS1_3genE9ELNS1_11target_archE1100ELNS1_3gpuE3ELNS1_3repE0EEENS1_30default_config_static_selectorELNS0_4arch9wavefront6targetE1EEEvT1_,"axG",@progbits,_ZN7rocprim17ROCPRIM_400000_NS6detail17trampoline_kernelINS0_14default_configENS1_25partition_config_selectorILNS1_17partition_subalgoE9EllbEEZZNS1_14partition_implILS5_9ELb0ES3_jPlS8_PNS0_10empty_typeENS0_5tupleIJS8_S9_EEENSB_IJS8_SA_EEENS0_18inequality_wrapperIZN2at6native12_GLOBAL__N_124unique_dim_cuda_templateIN3c108BFloat16EEESt5tupleIJNSF_6TensorESM_SM_EERKSM_lbbbEUlllE0_EEPmJS9_EEE10hipError_tPvRmT3_T4_T5_T6_T7_T9_mT8_P12ihipStream_tbDpT10_ENKUlT_T0_E_clISt17integral_constantIbLb1EES1C_EEDaS17_S18_EUlS17_E_NS1_11comp_targetILNS1_3genE9ELNS1_11target_archE1100ELNS1_3gpuE3ELNS1_3repE0EEENS1_30default_config_static_selectorELNS0_4arch9wavefront6targetE1EEEvT1_,comdat
	.globl	_ZN7rocprim17ROCPRIM_400000_NS6detail17trampoline_kernelINS0_14default_configENS1_25partition_config_selectorILNS1_17partition_subalgoE9EllbEEZZNS1_14partition_implILS5_9ELb0ES3_jPlS8_PNS0_10empty_typeENS0_5tupleIJS8_S9_EEENSB_IJS8_SA_EEENS0_18inequality_wrapperIZN2at6native12_GLOBAL__N_124unique_dim_cuda_templateIN3c108BFloat16EEESt5tupleIJNSF_6TensorESM_SM_EERKSM_lbbbEUlllE0_EEPmJS9_EEE10hipError_tPvRmT3_T4_T5_T6_T7_T9_mT8_P12ihipStream_tbDpT10_ENKUlT_T0_E_clISt17integral_constantIbLb1EES1C_EEDaS17_S18_EUlS17_E_NS1_11comp_targetILNS1_3genE9ELNS1_11target_archE1100ELNS1_3gpuE3ELNS1_3repE0EEENS1_30default_config_static_selectorELNS0_4arch9wavefront6targetE1EEEvT1_ ; -- Begin function _ZN7rocprim17ROCPRIM_400000_NS6detail17trampoline_kernelINS0_14default_configENS1_25partition_config_selectorILNS1_17partition_subalgoE9EllbEEZZNS1_14partition_implILS5_9ELb0ES3_jPlS8_PNS0_10empty_typeENS0_5tupleIJS8_S9_EEENSB_IJS8_SA_EEENS0_18inequality_wrapperIZN2at6native12_GLOBAL__N_124unique_dim_cuda_templateIN3c108BFloat16EEESt5tupleIJNSF_6TensorESM_SM_EERKSM_lbbbEUlllE0_EEPmJS9_EEE10hipError_tPvRmT3_T4_T5_T6_T7_T9_mT8_P12ihipStream_tbDpT10_ENKUlT_T0_E_clISt17integral_constantIbLb1EES1C_EEDaS17_S18_EUlS17_E_NS1_11comp_targetILNS1_3genE9ELNS1_11target_archE1100ELNS1_3gpuE3ELNS1_3repE0EEENS1_30default_config_static_selectorELNS0_4arch9wavefront6targetE1EEEvT1_
	.p2align	8
	.type	_ZN7rocprim17ROCPRIM_400000_NS6detail17trampoline_kernelINS0_14default_configENS1_25partition_config_selectorILNS1_17partition_subalgoE9EllbEEZZNS1_14partition_implILS5_9ELb0ES3_jPlS8_PNS0_10empty_typeENS0_5tupleIJS8_S9_EEENSB_IJS8_SA_EEENS0_18inequality_wrapperIZN2at6native12_GLOBAL__N_124unique_dim_cuda_templateIN3c108BFloat16EEESt5tupleIJNSF_6TensorESM_SM_EERKSM_lbbbEUlllE0_EEPmJS9_EEE10hipError_tPvRmT3_T4_T5_T6_T7_T9_mT8_P12ihipStream_tbDpT10_ENKUlT_T0_E_clISt17integral_constantIbLb1EES1C_EEDaS17_S18_EUlS17_E_NS1_11comp_targetILNS1_3genE9ELNS1_11target_archE1100ELNS1_3gpuE3ELNS1_3repE0EEENS1_30default_config_static_selectorELNS0_4arch9wavefront6targetE1EEEvT1_,@function
_ZN7rocprim17ROCPRIM_400000_NS6detail17trampoline_kernelINS0_14default_configENS1_25partition_config_selectorILNS1_17partition_subalgoE9EllbEEZZNS1_14partition_implILS5_9ELb0ES3_jPlS8_PNS0_10empty_typeENS0_5tupleIJS8_S9_EEENSB_IJS8_SA_EEENS0_18inequality_wrapperIZN2at6native12_GLOBAL__N_124unique_dim_cuda_templateIN3c108BFloat16EEESt5tupleIJNSF_6TensorESM_SM_EERKSM_lbbbEUlllE0_EEPmJS9_EEE10hipError_tPvRmT3_T4_T5_T6_T7_T9_mT8_P12ihipStream_tbDpT10_ENKUlT_T0_E_clISt17integral_constantIbLb1EES1C_EEDaS17_S18_EUlS17_E_NS1_11comp_targetILNS1_3genE9ELNS1_11target_archE1100ELNS1_3gpuE3ELNS1_3repE0EEENS1_30default_config_static_selectorELNS0_4arch9wavefront6targetE1EEEvT1_: ; @_ZN7rocprim17ROCPRIM_400000_NS6detail17trampoline_kernelINS0_14default_configENS1_25partition_config_selectorILNS1_17partition_subalgoE9EllbEEZZNS1_14partition_implILS5_9ELb0ES3_jPlS8_PNS0_10empty_typeENS0_5tupleIJS8_S9_EEENSB_IJS8_SA_EEENS0_18inequality_wrapperIZN2at6native12_GLOBAL__N_124unique_dim_cuda_templateIN3c108BFloat16EEESt5tupleIJNSF_6TensorESM_SM_EERKSM_lbbbEUlllE0_EEPmJS9_EEE10hipError_tPvRmT3_T4_T5_T6_T7_T9_mT8_P12ihipStream_tbDpT10_ENKUlT_T0_E_clISt17integral_constantIbLb1EES1C_EEDaS17_S18_EUlS17_E_NS1_11comp_targetILNS1_3genE9ELNS1_11target_archE1100ELNS1_3gpuE3ELNS1_3repE0EEENS1_30default_config_static_selectorELNS0_4arch9wavefront6targetE1EEEvT1_
; %bb.0:
	.section	.rodata,"a",@progbits
	.p2align	6, 0x0
	.amdhsa_kernel _ZN7rocprim17ROCPRIM_400000_NS6detail17trampoline_kernelINS0_14default_configENS1_25partition_config_selectorILNS1_17partition_subalgoE9EllbEEZZNS1_14partition_implILS5_9ELb0ES3_jPlS8_PNS0_10empty_typeENS0_5tupleIJS8_S9_EEENSB_IJS8_SA_EEENS0_18inequality_wrapperIZN2at6native12_GLOBAL__N_124unique_dim_cuda_templateIN3c108BFloat16EEESt5tupleIJNSF_6TensorESM_SM_EERKSM_lbbbEUlllE0_EEPmJS9_EEE10hipError_tPvRmT3_T4_T5_T6_T7_T9_mT8_P12ihipStream_tbDpT10_ENKUlT_T0_E_clISt17integral_constantIbLb1EES1C_EEDaS17_S18_EUlS17_E_NS1_11comp_targetILNS1_3genE9ELNS1_11target_archE1100ELNS1_3gpuE3ELNS1_3repE0EEENS1_30default_config_static_selectorELNS0_4arch9wavefront6targetE1EEEvT1_
		.amdhsa_group_segment_fixed_size 0
		.amdhsa_private_segment_fixed_size 0
		.amdhsa_kernarg_size 136
		.amdhsa_user_sgpr_count 2
		.amdhsa_user_sgpr_dispatch_ptr 0
		.amdhsa_user_sgpr_queue_ptr 0
		.amdhsa_user_sgpr_kernarg_segment_ptr 1
		.amdhsa_user_sgpr_dispatch_id 0
		.amdhsa_user_sgpr_kernarg_preload_length 0
		.amdhsa_user_sgpr_kernarg_preload_offset 0
		.amdhsa_user_sgpr_private_segment_size 0
		.amdhsa_uses_dynamic_stack 0
		.amdhsa_enable_private_segment 0
		.amdhsa_system_sgpr_workgroup_id_x 1
		.amdhsa_system_sgpr_workgroup_id_y 0
		.amdhsa_system_sgpr_workgroup_id_z 0
		.amdhsa_system_sgpr_workgroup_info 0
		.amdhsa_system_vgpr_workitem_id 0
		.amdhsa_next_free_vgpr 1
		.amdhsa_next_free_sgpr 0
		.amdhsa_accum_offset 4
		.amdhsa_reserve_vcc 0
		.amdhsa_float_round_mode_32 0
		.amdhsa_float_round_mode_16_64 0
		.amdhsa_float_denorm_mode_32 3
		.amdhsa_float_denorm_mode_16_64 3
		.amdhsa_dx10_clamp 1
		.amdhsa_ieee_mode 1
		.amdhsa_fp16_overflow 0
		.amdhsa_tg_split 0
		.amdhsa_exception_fp_ieee_invalid_op 0
		.amdhsa_exception_fp_denorm_src 0
		.amdhsa_exception_fp_ieee_div_zero 0
		.amdhsa_exception_fp_ieee_overflow 0
		.amdhsa_exception_fp_ieee_underflow 0
		.amdhsa_exception_fp_ieee_inexact 0
		.amdhsa_exception_int_div_zero 0
	.end_amdhsa_kernel
	.section	.text._ZN7rocprim17ROCPRIM_400000_NS6detail17trampoline_kernelINS0_14default_configENS1_25partition_config_selectorILNS1_17partition_subalgoE9EllbEEZZNS1_14partition_implILS5_9ELb0ES3_jPlS8_PNS0_10empty_typeENS0_5tupleIJS8_S9_EEENSB_IJS8_SA_EEENS0_18inequality_wrapperIZN2at6native12_GLOBAL__N_124unique_dim_cuda_templateIN3c108BFloat16EEESt5tupleIJNSF_6TensorESM_SM_EERKSM_lbbbEUlllE0_EEPmJS9_EEE10hipError_tPvRmT3_T4_T5_T6_T7_T9_mT8_P12ihipStream_tbDpT10_ENKUlT_T0_E_clISt17integral_constantIbLb1EES1C_EEDaS17_S18_EUlS17_E_NS1_11comp_targetILNS1_3genE9ELNS1_11target_archE1100ELNS1_3gpuE3ELNS1_3repE0EEENS1_30default_config_static_selectorELNS0_4arch9wavefront6targetE1EEEvT1_,"axG",@progbits,_ZN7rocprim17ROCPRIM_400000_NS6detail17trampoline_kernelINS0_14default_configENS1_25partition_config_selectorILNS1_17partition_subalgoE9EllbEEZZNS1_14partition_implILS5_9ELb0ES3_jPlS8_PNS0_10empty_typeENS0_5tupleIJS8_S9_EEENSB_IJS8_SA_EEENS0_18inequality_wrapperIZN2at6native12_GLOBAL__N_124unique_dim_cuda_templateIN3c108BFloat16EEESt5tupleIJNSF_6TensorESM_SM_EERKSM_lbbbEUlllE0_EEPmJS9_EEE10hipError_tPvRmT3_T4_T5_T6_T7_T9_mT8_P12ihipStream_tbDpT10_ENKUlT_T0_E_clISt17integral_constantIbLb1EES1C_EEDaS17_S18_EUlS17_E_NS1_11comp_targetILNS1_3genE9ELNS1_11target_archE1100ELNS1_3gpuE3ELNS1_3repE0EEENS1_30default_config_static_selectorELNS0_4arch9wavefront6targetE1EEEvT1_,comdat
.Lfunc_end1228:
	.size	_ZN7rocprim17ROCPRIM_400000_NS6detail17trampoline_kernelINS0_14default_configENS1_25partition_config_selectorILNS1_17partition_subalgoE9EllbEEZZNS1_14partition_implILS5_9ELb0ES3_jPlS8_PNS0_10empty_typeENS0_5tupleIJS8_S9_EEENSB_IJS8_SA_EEENS0_18inequality_wrapperIZN2at6native12_GLOBAL__N_124unique_dim_cuda_templateIN3c108BFloat16EEESt5tupleIJNSF_6TensorESM_SM_EERKSM_lbbbEUlllE0_EEPmJS9_EEE10hipError_tPvRmT3_T4_T5_T6_T7_T9_mT8_P12ihipStream_tbDpT10_ENKUlT_T0_E_clISt17integral_constantIbLb1EES1C_EEDaS17_S18_EUlS17_E_NS1_11comp_targetILNS1_3genE9ELNS1_11target_archE1100ELNS1_3gpuE3ELNS1_3repE0EEENS1_30default_config_static_selectorELNS0_4arch9wavefront6targetE1EEEvT1_, .Lfunc_end1228-_ZN7rocprim17ROCPRIM_400000_NS6detail17trampoline_kernelINS0_14default_configENS1_25partition_config_selectorILNS1_17partition_subalgoE9EllbEEZZNS1_14partition_implILS5_9ELb0ES3_jPlS8_PNS0_10empty_typeENS0_5tupleIJS8_S9_EEENSB_IJS8_SA_EEENS0_18inequality_wrapperIZN2at6native12_GLOBAL__N_124unique_dim_cuda_templateIN3c108BFloat16EEESt5tupleIJNSF_6TensorESM_SM_EERKSM_lbbbEUlllE0_EEPmJS9_EEE10hipError_tPvRmT3_T4_T5_T6_T7_T9_mT8_P12ihipStream_tbDpT10_ENKUlT_T0_E_clISt17integral_constantIbLb1EES1C_EEDaS17_S18_EUlS17_E_NS1_11comp_targetILNS1_3genE9ELNS1_11target_archE1100ELNS1_3gpuE3ELNS1_3repE0EEENS1_30default_config_static_selectorELNS0_4arch9wavefront6targetE1EEEvT1_
                                        ; -- End function
	.section	.AMDGPU.csdata,"",@progbits
; Kernel info:
; codeLenInByte = 0
; NumSgprs: 6
; NumVgprs: 0
; NumAgprs: 0
; TotalNumVgprs: 0
; ScratchSize: 0
; MemoryBound: 0
; FloatMode: 240
; IeeeMode: 1
; LDSByteSize: 0 bytes/workgroup (compile time only)
; SGPRBlocks: 0
; VGPRBlocks: 0
; NumSGPRsForWavesPerEU: 6
; NumVGPRsForWavesPerEU: 1
; AccumOffset: 4
; Occupancy: 8
; WaveLimiterHint : 0
; COMPUTE_PGM_RSRC2:SCRATCH_EN: 0
; COMPUTE_PGM_RSRC2:USER_SGPR: 2
; COMPUTE_PGM_RSRC2:TRAP_HANDLER: 0
; COMPUTE_PGM_RSRC2:TGID_X_EN: 1
; COMPUTE_PGM_RSRC2:TGID_Y_EN: 0
; COMPUTE_PGM_RSRC2:TGID_Z_EN: 0
; COMPUTE_PGM_RSRC2:TIDIG_COMP_CNT: 0
; COMPUTE_PGM_RSRC3_GFX90A:ACCUM_OFFSET: 0
; COMPUTE_PGM_RSRC3_GFX90A:TG_SPLIT: 0
	.section	.text._ZN7rocprim17ROCPRIM_400000_NS6detail17trampoline_kernelINS0_14default_configENS1_25partition_config_selectorILNS1_17partition_subalgoE9EllbEEZZNS1_14partition_implILS5_9ELb0ES3_jPlS8_PNS0_10empty_typeENS0_5tupleIJS8_S9_EEENSB_IJS8_SA_EEENS0_18inequality_wrapperIZN2at6native12_GLOBAL__N_124unique_dim_cuda_templateIN3c108BFloat16EEESt5tupleIJNSF_6TensorESM_SM_EERKSM_lbbbEUlllE0_EEPmJS9_EEE10hipError_tPvRmT3_T4_T5_T6_T7_T9_mT8_P12ihipStream_tbDpT10_ENKUlT_T0_E_clISt17integral_constantIbLb1EES1C_EEDaS17_S18_EUlS17_E_NS1_11comp_targetILNS1_3genE8ELNS1_11target_archE1030ELNS1_3gpuE2ELNS1_3repE0EEENS1_30default_config_static_selectorELNS0_4arch9wavefront6targetE1EEEvT1_,"axG",@progbits,_ZN7rocprim17ROCPRIM_400000_NS6detail17trampoline_kernelINS0_14default_configENS1_25partition_config_selectorILNS1_17partition_subalgoE9EllbEEZZNS1_14partition_implILS5_9ELb0ES3_jPlS8_PNS0_10empty_typeENS0_5tupleIJS8_S9_EEENSB_IJS8_SA_EEENS0_18inequality_wrapperIZN2at6native12_GLOBAL__N_124unique_dim_cuda_templateIN3c108BFloat16EEESt5tupleIJNSF_6TensorESM_SM_EERKSM_lbbbEUlllE0_EEPmJS9_EEE10hipError_tPvRmT3_T4_T5_T6_T7_T9_mT8_P12ihipStream_tbDpT10_ENKUlT_T0_E_clISt17integral_constantIbLb1EES1C_EEDaS17_S18_EUlS17_E_NS1_11comp_targetILNS1_3genE8ELNS1_11target_archE1030ELNS1_3gpuE2ELNS1_3repE0EEENS1_30default_config_static_selectorELNS0_4arch9wavefront6targetE1EEEvT1_,comdat
	.globl	_ZN7rocprim17ROCPRIM_400000_NS6detail17trampoline_kernelINS0_14default_configENS1_25partition_config_selectorILNS1_17partition_subalgoE9EllbEEZZNS1_14partition_implILS5_9ELb0ES3_jPlS8_PNS0_10empty_typeENS0_5tupleIJS8_S9_EEENSB_IJS8_SA_EEENS0_18inequality_wrapperIZN2at6native12_GLOBAL__N_124unique_dim_cuda_templateIN3c108BFloat16EEESt5tupleIJNSF_6TensorESM_SM_EERKSM_lbbbEUlllE0_EEPmJS9_EEE10hipError_tPvRmT3_T4_T5_T6_T7_T9_mT8_P12ihipStream_tbDpT10_ENKUlT_T0_E_clISt17integral_constantIbLb1EES1C_EEDaS17_S18_EUlS17_E_NS1_11comp_targetILNS1_3genE8ELNS1_11target_archE1030ELNS1_3gpuE2ELNS1_3repE0EEENS1_30default_config_static_selectorELNS0_4arch9wavefront6targetE1EEEvT1_ ; -- Begin function _ZN7rocprim17ROCPRIM_400000_NS6detail17trampoline_kernelINS0_14default_configENS1_25partition_config_selectorILNS1_17partition_subalgoE9EllbEEZZNS1_14partition_implILS5_9ELb0ES3_jPlS8_PNS0_10empty_typeENS0_5tupleIJS8_S9_EEENSB_IJS8_SA_EEENS0_18inequality_wrapperIZN2at6native12_GLOBAL__N_124unique_dim_cuda_templateIN3c108BFloat16EEESt5tupleIJNSF_6TensorESM_SM_EERKSM_lbbbEUlllE0_EEPmJS9_EEE10hipError_tPvRmT3_T4_T5_T6_T7_T9_mT8_P12ihipStream_tbDpT10_ENKUlT_T0_E_clISt17integral_constantIbLb1EES1C_EEDaS17_S18_EUlS17_E_NS1_11comp_targetILNS1_3genE8ELNS1_11target_archE1030ELNS1_3gpuE2ELNS1_3repE0EEENS1_30default_config_static_selectorELNS0_4arch9wavefront6targetE1EEEvT1_
	.p2align	8
	.type	_ZN7rocprim17ROCPRIM_400000_NS6detail17trampoline_kernelINS0_14default_configENS1_25partition_config_selectorILNS1_17partition_subalgoE9EllbEEZZNS1_14partition_implILS5_9ELb0ES3_jPlS8_PNS0_10empty_typeENS0_5tupleIJS8_S9_EEENSB_IJS8_SA_EEENS0_18inequality_wrapperIZN2at6native12_GLOBAL__N_124unique_dim_cuda_templateIN3c108BFloat16EEESt5tupleIJNSF_6TensorESM_SM_EERKSM_lbbbEUlllE0_EEPmJS9_EEE10hipError_tPvRmT3_T4_T5_T6_T7_T9_mT8_P12ihipStream_tbDpT10_ENKUlT_T0_E_clISt17integral_constantIbLb1EES1C_EEDaS17_S18_EUlS17_E_NS1_11comp_targetILNS1_3genE8ELNS1_11target_archE1030ELNS1_3gpuE2ELNS1_3repE0EEENS1_30default_config_static_selectorELNS0_4arch9wavefront6targetE1EEEvT1_,@function
_ZN7rocprim17ROCPRIM_400000_NS6detail17trampoline_kernelINS0_14default_configENS1_25partition_config_selectorILNS1_17partition_subalgoE9EllbEEZZNS1_14partition_implILS5_9ELb0ES3_jPlS8_PNS0_10empty_typeENS0_5tupleIJS8_S9_EEENSB_IJS8_SA_EEENS0_18inequality_wrapperIZN2at6native12_GLOBAL__N_124unique_dim_cuda_templateIN3c108BFloat16EEESt5tupleIJNSF_6TensorESM_SM_EERKSM_lbbbEUlllE0_EEPmJS9_EEE10hipError_tPvRmT3_T4_T5_T6_T7_T9_mT8_P12ihipStream_tbDpT10_ENKUlT_T0_E_clISt17integral_constantIbLb1EES1C_EEDaS17_S18_EUlS17_E_NS1_11comp_targetILNS1_3genE8ELNS1_11target_archE1030ELNS1_3gpuE2ELNS1_3repE0EEENS1_30default_config_static_selectorELNS0_4arch9wavefront6targetE1EEEvT1_: ; @_ZN7rocprim17ROCPRIM_400000_NS6detail17trampoline_kernelINS0_14default_configENS1_25partition_config_selectorILNS1_17partition_subalgoE9EllbEEZZNS1_14partition_implILS5_9ELb0ES3_jPlS8_PNS0_10empty_typeENS0_5tupleIJS8_S9_EEENSB_IJS8_SA_EEENS0_18inequality_wrapperIZN2at6native12_GLOBAL__N_124unique_dim_cuda_templateIN3c108BFloat16EEESt5tupleIJNSF_6TensorESM_SM_EERKSM_lbbbEUlllE0_EEPmJS9_EEE10hipError_tPvRmT3_T4_T5_T6_T7_T9_mT8_P12ihipStream_tbDpT10_ENKUlT_T0_E_clISt17integral_constantIbLb1EES1C_EEDaS17_S18_EUlS17_E_NS1_11comp_targetILNS1_3genE8ELNS1_11target_archE1030ELNS1_3gpuE2ELNS1_3repE0EEENS1_30default_config_static_selectorELNS0_4arch9wavefront6targetE1EEEvT1_
; %bb.0:
	.section	.rodata,"a",@progbits
	.p2align	6, 0x0
	.amdhsa_kernel _ZN7rocprim17ROCPRIM_400000_NS6detail17trampoline_kernelINS0_14default_configENS1_25partition_config_selectorILNS1_17partition_subalgoE9EllbEEZZNS1_14partition_implILS5_9ELb0ES3_jPlS8_PNS0_10empty_typeENS0_5tupleIJS8_S9_EEENSB_IJS8_SA_EEENS0_18inequality_wrapperIZN2at6native12_GLOBAL__N_124unique_dim_cuda_templateIN3c108BFloat16EEESt5tupleIJNSF_6TensorESM_SM_EERKSM_lbbbEUlllE0_EEPmJS9_EEE10hipError_tPvRmT3_T4_T5_T6_T7_T9_mT8_P12ihipStream_tbDpT10_ENKUlT_T0_E_clISt17integral_constantIbLb1EES1C_EEDaS17_S18_EUlS17_E_NS1_11comp_targetILNS1_3genE8ELNS1_11target_archE1030ELNS1_3gpuE2ELNS1_3repE0EEENS1_30default_config_static_selectorELNS0_4arch9wavefront6targetE1EEEvT1_
		.amdhsa_group_segment_fixed_size 0
		.amdhsa_private_segment_fixed_size 0
		.amdhsa_kernarg_size 136
		.amdhsa_user_sgpr_count 2
		.amdhsa_user_sgpr_dispatch_ptr 0
		.amdhsa_user_sgpr_queue_ptr 0
		.amdhsa_user_sgpr_kernarg_segment_ptr 1
		.amdhsa_user_sgpr_dispatch_id 0
		.amdhsa_user_sgpr_kernarg_preload_length 0
		.amdhsa_user_sgpr_kernarg_preload_offset 0
		.amdhsa_user_sgpr_private_segment_size 0
		.amdhsa_uses_dynamic_stack 0
		.amdhsa_enable_private_segment 0
		.amdhsa_system_sgpr_workgroup_id_x 1
		.amdhsa_system_sgpr_workgroup_id_y 0
		.amdhsa_system_sgpr_workgroup_id_z 0
		.amdhsa_system_sgpr_workgroup_info 0
		.amdhsa_system_vgpr_workitem_id 0
		.amdhsa_next_free_vgpr 1
		.amdhsa_next_free_sgpr 0
		.amdhsa_accum_offset 4
		.amdhsa_reserve_vcc 0
		.amdhsa_float_round_mode_32 0
		.amdhsa_float_round_mode_16_64 0
		.amdhsa_float_denorm_mode_32 3
		.amdhsa_float_denorm_mode_16_64 3
		.amdhsa_dx10_clamp 1
		.amdhsa_ieee_mode 1
		.amdhsa_fp16_overflow 0
		.amdhsa_tg_split 0
		.amdhsa_exception_fp_ieee_invalid_op 0
		.amdhsa_exception_fp_denorm_src 0
		.amdhsa_exception_fp_ieee_div_zero 0
		.amdhsa_exception_fp_ieee_overflow 0
		.amdhsa_exception_fp_ieee_underflow 0
		.amdhsa_exception_fp_ieee_inexact 0
		.amdhsa_exception_int_div_zero 0
	.end_amdhsa_kernel
	.section	.text._ZN7rocprim17ROCPRIM_400000_NS6detail17trampoline_kernelINS0_14default_configENS1_25partition_config_selectorILNS1_17partition_subalgoE9EllbEEZZNS1_14partition_implILS5_9ELb0ES3_jPlS8_PNS0_10empty_typeENS0_5tupleIJS8_S9_EEENSB_IJS8_SA_EEENS0_18inequality_wrapperIZN2at6native12_GLOBAL__N_124unique_dim_cuda_templateIN3c108BFloat16EEESt5tupleIJNSF_6TensorESM_SM_EERKSM_lbbbEUlllE0_EEPmJS9_EEE10hipError_tPvRmT3_T4_T5_T6_T7_T9_mT8_P12ihipStream_tbDpT10_ENKUlT_T0_E_clISt17integral_constantIbLb1EES1C_EEDaS17_S18_EUlS17_E_NS1_11comp_targetILNS1_3genE8ELNS1_11target_archE1030ELNS1_3gpuE2ELNS1_3repE0EEENS1_30default_config_static_selectorELNS0_4arch9wavefront6targetE1EEEvT1_,"axG",@progbits,_ZN7rocprim17ROCPRIM_400000_NS6detail17trampoline_kernelINS0_14default_configENS1_25partition_config_selectorILNS1_17partition_subalgoE9EllbEEZZNS1_14partition_implILS5_9ELb0ES3_jPlS8_PNS0_10empty_typeENS0_5tupleIJS8_S9_EEENSB_IJS8_SA_EEENS0_18inequality_wrapperIZN2at6native12_GLOBAL__N_124unique_dim_cuda_templateIN3c108BFloat16EEESt5tupleIJNSF_6TensorESM_SM_EERKSM_lbbbEUlllE0_EEPmJS9_EEE10hipError_tPvRmT3_T4_T5_T6_T7_T9_mT8_P12ihipStream_tbDpT10_ENKUlT_T0_E_clISt17integral_constantIbLb1EES1C_EEDaS17_S18_EUlS17_E_NS1_11comp_targetILNS1_3genE8ELNS1_11target_archE1030ELNS1_3gpuE2ELNS1_3repE0EEENS1_30default_config_static_selectorELNS0_4arch9wavefront6targetE1EEEvT1_,comdat
.Lfunc_end1229:
	.size	_ZN7rocprim17ROCPRIM_400000_NS6detail17trampoline_kernelINS0_14default_configENS1_25partition_config_selectorILNS1_17partition_subalgoE9EllbEEZZNS1_14partition_implILS5_9ELb0ES3_jPlS8_PNS0_10empty_typeENS0_5tupleIJS8_S9_EEENSB_IJS8_SA_EEENS0_18inequality_wrapperIZN2at6native12_GLOBAL__N_124unique_dim_cuda_templateIN3c108BFloat16EEESt5tupleIJNSF_6TensorESM_SM_EERKSM_lbbbEUlllE0_EEPmJS9_EEE10hipError_tPvRmT3_T4_T5_T6_T7_T9_mT8_P12ihipStream_tbDpT10_ENKUlT_T0_E_clISt17integral_constantIbLb1EES1C_EEDaS17_S18_EUlS17_E_NS1_11comp_targetILNS1_3genE8ELNS1_11target_archE1030ELNS1_3gpuE2ELNS1_3repE0EEENS1_30default_config_static_selectorELNS0_4arch9wavefront6targetE1EEEvT1_, .Lfunc_end1229-_ZN7rocprim17ROCPRIM_400000_NS6detail17trampoline_kernelINS0_14default_configENS1_25partition_config_selectorILNS1_17partition_subalgoE9EllbEEZZNS1_14partition_implILS5_9ELb0ES3_jPlS8_PNS0_10empty_typeENS0_5tupleIJS8_S9_EEENSB_IJS8_SA_EEENS0_18inequality_wrapperIZN2at6native12_GLOBAL__N_124unique_dim_cuda_templateIN3c108BFloat16EEESt5tupleIJNSF_6TensorESM_SM_EERKSM_lbbbEUlllE0_EEPmJS9_EEE10hipError_tPvRmT3_T4_T5_T6_T7_T9_mT8_P12ihipStream_tbDpT10_ENKUlT_T0_E_clISt17integral_constantIbLb1EES1C_EEDaS17_S18_EUlS17_E_NS1_11comp_targetILNS1_3genE8ELNS1_11target_archE1030ELNS1_3gpuE2ELNS1_3repE0EEENS1_30default_config_static_selectorELNS0_4arch9wavefront6targetE1EEEvT1_
                                        ; -- End function
	.section	.AMDGPU.csdata,"",@progbits
; Kernel info:
; codeLenInByte = 0
; NumSgprs: 6
; NumVgprs: 0
; NumAgprs: 0
; TotalNumVgprs: 0
; ScratchSize: 0
; MemoryBound: 0
; FloatMode: 240
; IeeeMode: 1
; LDSByteSize: 0 bytes/workgroup (compile time only)
; SGPRBlocks: 0
; VGPRBlocks: 0
; NumSGPRsForWavesPerEU: 6
; NumVGPRsForWavesPerEU: 1
; AccumOffset: 4
; Occupancy: 8
; WaveLimiterHint : 0
; COMPUTE_PGM_RSRC2:SCRATCH_EN: 0
; COMPUTE_PGM_RSRC2:USER_SGPR: 2
; COMPUTE_PGM_RSRC2:TRAP_HANDLER: 0
; COMPUTE_PGM_RSRC2:TGID_X_EN: 1
; COMPUTE_PGM_RSRC2:TGID_Y_EN: 0
; COMPUTE_PGM_RSRC2:TGID_Z_EN: 0
; COMPUTE_PGM_RSRC2:TIDIG_COMP_CNT: 0
; COMPUTE_PGM_RSRC3_GFX90A:ACCUM_OFFSET: 0
; COMPUTE_PGM_RSRC3_GFX90A:TG_SPLIT: 0
	.section	.text._ZN7rocprim17ROCPRIM_400000_NS6detail17trampoline_kernelINS0_14default_configENS1_25partition_config_selectorILNS1_17partition_subalgoE9EllbEEZZNS1_14partition_implILS5_9ELb0ES3_jPlS8_PNS0_10empty_typeENS0_5tupleIJS8_S9_EEENSB_IJS8_SA_EEENS0_18inequality_wrapperIZN2at6native12_GLOBAL__N_124unique_dim_cuda_templateIN3c108BFloat16EEESt5tupleIJNSF_6TensorESM_SM_EERKSM_lbbbEUlllE0_EEPmJS9_EEE10hipError_tPvRmT3_T4_T5_T6_T7_T9_mT8_P12ihipStream_tbDpT10_ENKUlT_T0_E_clISt17integral_constantIbLb1EES1B_IbLb0EEEEDaS17_S18_EUlS17_E_NS1_11comp_targetILNS1_3genE0ELNS1_11target_archE4294967295ELNS1_3gpuE0ELNS1_3repE0EEENS1_30default_config_static_selectorELNS0_4arch9wavefront6targetE1EEEvT1_,"axG",@progbits,_ZN7rocprim17ROCPRIM_400000_NS6detail17trampoline_kernelINS0_14default_configENS1_25partition_config_selectorILNS1_17partition_subalgoE9EllbEEZZNS1_14partition_implILS5_9ELb0ES3_jPlS8_PNS0_10empty_typeENS0_5tupleIJS8_S9_EEENSB_IJS8_SA_EEENS0_18inequality_wrapperIZN2at6native12_GLOBAL__N_124unique_dim_cuda_templateIN3c108BFloat16EEESt5tupleIJNSF_6TensorESM_SM_EERKSM_lbbbEUlllE0_EEPmJS9_EEE10hipError_tPvRmT3_T4_T5_T6_T7_T9_mT8_P12ihipStream_tbDpT10_ENKUlT_T0_E_clISt17integral_constantIbLb1EES1B_IbLb0EEEEDaS17_S18_EUlS17_E_NS1_11comp_targetILNS1_3genE0ELNS1_11target_archE4294967295ELNS1_3gpuE0ELNS1_3repE0EEENS1_30default_config_static_selectorELNS0_4arch9wavefront6targetE1EEEvT1_,comdat
	.globl	_ZN7rocprim17ROCPRIM_400000_NS6detail17trampoline_kernelINS0_14default_configENS1_25partition_config_selectorILNS1_17partition_subalgoE9EllbEEZZNS1_14partition_implILS5_9ELb0ES3_jPlS8_PNS0_10empty_typeENS0_5tupleIJS8_S9_EEENSB_IJS8_SA_EEENS0_18inequality_wrapperIZN2at6native12_GLOBAL__N_124unique_dim_cuda_templateIN3c108BFloat16EEESt5tupleIJNSF_6TensorESM_SM_EERKSM_lbbbEUlllE0_EEPmJS9_EEE10hipError_tPvRmT3_T4_T5_T6_T7_T9_mT8_P12ihipStream_tbDpT10_ENKUlT_T0_E_clISt17integral_constantIbLb1EES1B_IbLb0EEEEDaS17_S18_EUlS17_E_NS1_11comp_targetILNS1_3genE0ELNS1_11target_archE4294967295ELNS1_3gpuE0ELNS1_3repE0EEENS1_30default_config_static_selectorELNS0_4arch9wavefront6targetE1EEEvT1_ ; -- Begin function _ZN7rocprim17ROCPRIM_400000_NS6detail17trampoline_kernelINS0_14default_configENS1_25partition_config_selectorILNS1_17partition_subalgoE9EllbEEZZNS1_14partition_implILS5_9ELb0ES3_jPlS8_PNS0_10empty_typeENS0_5tupleIJS8_S9_EEENSB_IJS8_SA_EEENS0_18inequality_wrapperIZN2at6native12_GLOBAL__N_124unique_dim_cuda_templateIN3c108BFloat16EEESt5tupleIJNSF_6TensorESM_SM_EERKSM_lbbbEUlllE0_EEPmJS9_EEE10hipError_tPvRmT3_T4_T5_T6_T7_T9_mT8_P12ihipStream_tbDpT10_ENKUlT_T0_E_clISt17integral_constantIbLb1EES1B_IbLb0EEEEDaS17_S18_EUlS17_E_NS1_11comp_targetILNS1_3genE0ELNS1_11target_archE4294967295ELNS1_3gpuE0ELNS1_3repE0EEENS1_30default_config_static_selectorELNS0_4arch9wavefront6targetE1EEEvT1_
	.p2align	8
	.type	_ZN7rocprim17ROCPRIM_400000_NS6detail17trampoline_kernelINS0_14default_configENS1_25partition_config_selectorILNS1_17partition_subalgoE9EllbEEZZNS1_14partition_implILS5_9ELb0ES3_jPlS8_PNS0_10empty_typeENS0_5tupleIJS8_S9_EEENSB_IJS8_SA_EEENS0_18inequality_wrapperIZN2at6native12_GLOBAL__N_124unique_dim_cuda_templateIN3c108BFloat16EEESt5tupleIJNSF_6TensorESM_SM_EERKSM_lbbbEUlllE0_EEPmJS9_EEE10hipError_tPvRmT3_T4_T5_T6_T7_T9_mT8_P12ihipStream_tbDpT10_ENKUlT_T0_E_clISt17integral_constantIbLb1EES1B_IbLb0EEEEDaS17_S18_EUlS17_E_NS1_11comp_targetILNS1_3genE0ELNS1_11target_archE4294967295ELNS1_3gpuE0ELNS1_3repE0EEENS1_30default_config_static_selectorELNS0_4arch9wavefront6targetE1EEEvT1_,@function
_ZN7rocprim17ROCPRIM_400000_NS6detail17trampoline_kernelINS0_14default_configENS1_25partition_config_selectorILNS1_17partition_subalgoE9EllbEEZZNS1_14partition_implILS5_9ELb0ES3_jPlS8_PNS0_10empty_typeENS0_5tupleIJS8_S9_EEENSB_IJS8_SA_EEENS0_18inequality_wrapperIZN2at6native12_GLOBAL__N_124unique_dim_cuda_templateIN3c108BFloat16EEESt5tupleIJNSF_6TensorESM_SM_EERKSM_lbbbEUlllE0_EEPmJS9_EEE10hipError_tPvRmT3_T4_T5_T6_T7_T9_mT8_P12ihipStream_tbDpT10_ENKUlT_T0_E_clISt17integral_constantIbLb1EES1B_IbLb0EEEEDaS17_S18_EUlS17_E_NS1_11comp_targetILNS1_3genE0ELNS1_11target_archE4294967295ELNS1_3gpuE0ELNS1_3repE0EEENS1_30default_config_static_selectorELNS0_4arch9wavefront6targetE1EEEvT1_: ; @_ZN7rocprim17ROCPRIM_400000_NS6detail17trampoline_kernelINS0_14default_configENS1_25partition_config_selectorILNS1_17partition_subalgoE9EllbEEZZNS1_14partition_implILS5_9ELb0ES3_jPlS8_PNS0_10empty_typeENS0_5tupleIJS8_S9_EEENSB_IJS8_SA_EEENS0_18inequality_wrapperIZN2at6native12_GLOBAL__N_124unique_dim_cuda_templateIN3c108BFloat16EEESt5tupleIJNSF_6TensorESM_SM_EERKSM_lbbbEUlllE0_EEPmJS9_EEE10hipError_tPvRmT3_T4_T5_T6_T7_T9_mT8_P12ihipStream_tbDpT10_ENKUlT_T0_E_clISt17integral_constantIbLb1EES1B_IbLb0EEEEDaS17_S18_EUlS17_E_NS1_11comp_targetILNS1_3genE0ELNS1_11target_archE4294967295ELNS1_3gpuE0ELNS1_3repE0EEENS1_30default_config_static_selectorELNS0_4arch9wavefront6targetE1EEEvT1_
; %bb.0:
	.section	.rodata,"a",@progbits
	.p2align	6, 0x0
	.amdhsa_kernel _ZN7rocprim17ROCPRIM_400000_NS6detail17trampoline_kernelINS0_14default_configENS1_25partition_config_selectorILNS1_17partition_subalgoE9EllbEEZZNS1_14partition_implILS5_9ELb0ES3_jPlS8_PNS0_10empty_typeENS0_5tupleIJS8_S9_EEENSB_IJS8_SA_EEENS0_18inequality_wrapperIZN2at6native12_GLOBAL__N_124unique_dim_cuda_templateIN3c108BFloat16EEESt5tupleIJNSF_6TensorESM_SM_EERKSM_lbbbEUlllE0_EEPmJS9_EEE10hipError_tPvRmT3_T4_T5_T6_T7_T9_mT8_P12ihipStream_tbDpT10_ENKUlT_T0_E_clISt17integral_constantIbLb1EES1B_IbLb0EEEEDaS17_S18_EUlS17_E_NS1_11comp_targetILNS1_3genE0ELNS1_11target_archE4294967295ELNS1_3gpuE0ELNS1_3repE0EEENS1_30default_config_static_selectorELNS0_4arch9wavefront6targetE1EEEvT1_
		.amdhsa_group_segment_fixed_size 0
		.amdhsa_private_segment_fixed_size 0
		.amdhsa_kernarg_size 120
		.amdhsa_user_sgpr_count 2
		.amdhsa_user_sgpr_dispatch_ptr 0
		.amdhsa_user_sgpr_queue_ptr 0
		.amdhsa_user_sgpr_kernarg_segment_ptr 1
		.amdhsa_user_sgpr_dispatch_id 0
		.amdhsa_user_sgpr_kernarg_preload_length 0
		.amdhsa_user_sgpr_kernarg_preload_offset 0
		.amdhsa_user_sgpr_private_segment_size 0
		.amdhsa_uses_dynamic_stack 0
		.amdhsa_enable_private_segment 0
		.amdhsa_system_sgpr_workgroup_id_x 1
		.amdhsa_system_sgpr_workgroup_id_y 0
		.amdhsa_system_sgpr_workgroup_id_z 0
		.amdhsa_system_sgpr_workgroup_info 0
		.amdhsa_system_vgpr_workitem_id 0
		.amdhsa_next_free_vgpr 1
		.amdhsa_next_free_sgpr 0
		.amdhsa_accum_offset 4
		.amdhsa_reserve_vcc 0
		.amdhsa_float_round_mode_32 0
		.amdhsa_float_round_mode_16_64 0
		.amdhsa_float_denorm_mode_32 3
		.amdhsa_float_denorm_mode_16_64 3
		.amdhsa_dx10_clamp 1
		.amdhsa_ieee_mode 1
		.amdhsa_fp16_overflow 0
		.amdhsa_tg_split 0
		.amdhsa_exception_fp_ieee_invalid_op 0
		.amdhsa_exception_fp_denorm_src 0
		.amdhsa_exception_fp_ieee_div_zero 0
		.amdhsa_exception_fp_ieee_overflow 0
		.amdhsa_exception_fp_ieee_underflow 0
		.amdhsa_exception_fp_ieee_inexact 0
		.amdhsa_exception_int_div_zero 0
	.end_amdhsa_kernel
	.section	.text._ZN7rocprim17ROCPRIM_400000_NS6detail17trampoline_kernelINS0_14default_configENS1_25partition_config_selectorILNS1_17partition_subalgoE9EllbEEZZNS1_14partition_implILS5_9ELb0ES3_jPlS8_PNS0_10empty_typeENS0_5tupleIJS8_S9_EEENSB_IJS8_SA_EEENS0_18inequality_wrapperIZN2at6native12_GLOBAL__N_124unique_dim_cuda_templateIN3c108BFloat16EEESt5tupleIJNSF_6TensorESM_SM_EERKSM_lbbbEUlllE0_EEPmJS9_EEE10hipError_tPvRmT3_T4_T5_T6_T7_T9_mT8_P12ihipStream_tbDpT10_ENKUlT_T0_E_clISt17integral_constantIbLb1EES1B_IbLb0EEEEDaS17_S18_EUlS17_E_NS1_11comp_targetILNS1_3genE0ELNS1_11target_archE4294967295ELNS1_3gpuE0ELNS1_3repE0EEENS1_30default_config_static_selectorELNS0_4arch9wavefront6targetE1EEEvT1_,"axG",@progbits,_ZN7rocprim17ROCPRIM_400000_NS6detail17trampoline_kernelINS0_14default_configENS1_25partition_config_selectorILNS1_17partition_subalgoE9EllbEEZZNS1_14partition_implILS5_9ELb0ES3_jPlS8_PNS0_10empty_typeENS0_5tupleIJS8_S9_EEENSB_IJS8_SA_EEENS0_18inequality_wrapperIZN2at6native12_GLOBAL__N_124unique_dim_cuda_templateIN3c108BFloat16EEESt5tupleIJNSF_6TensorESM_SM_EERKSM_lbbbEUlllE0_EEPmJS9_EEE10hipError_tPvRmT3_T4_T5_T6_T7_T9_mT8_P12ihipStream_tbDpT10_ENKUlT_T0_E_clISt17integral_constantIbLb1EES1B_IbLb0EEEEDaS17_S18_EUlS17_E_NS1_11comp_targetILNS1_3genE0ELNS1_11target_archE4294967295ELNS1_3gpuE0ELNS1_3repE0EEENS1_30default_config_static_selectorELNS0_4arch9wavefront6targetE1EEEvT1_,comdat
.Lfunc_end1230:
	.size	_ZN7rocprim17ROCPRIM_400000_NS6detail17trampoline_kernelINS0_14default_configENS1_25partition_config_selectorILNS1_17partition_subalgoE9EllbEEZZNS1_14partition_implILS5_9ELb0ES3_jPlS8_PNS0_10empty_typeENS0_5tupleIJS8_S9_EEENSB_IJS8_SA_EEENS0_18inequality_wrapperIZN2at6native12_GLOBAL__N_124unique_dim_cuda_templateIN3c108BFloat16EEESt5tupleIJNSF_6TensorESM_SM_EERKSM_lbbbEUlllE0_EEPmJS9_EEE10hipError_tPvRmT3_T4_T5_T6_T7_T9_mT8_P12ihipStream_tbDpT10_ENKUlT_T0_E_clISt17integral_constantIbLb1EES1B_IbLb0EEEEDaS17_S18_EUlS17_E_NS1_11comp_targetILNS1_3genE0ELNS1_11target_archE4294967295ELNS1_3gpuE0ELNS1_3repE0EEENS1_30default_config_static_selectorELNS0_4arch9wavefront6targetE1EEEvT1_, .Lfunc_end1230-_ZN7rocprim17ROCPRIM_400000_NS6detail17trampoline_kernelINS0_14default_configENS1_25partition_config_selectorILNS1_17partition_subalgoE9EllbEEZZNS1_14partition_implILS5_9ELb0ES3_jPlS8_PNS0_10empty_typeENS0_5tupleIJS8_S9_EEENSB_IJS8_SA_EEENS0_18inequality_wrapperIZN2at6native12_GLOBAL__N_124unique_dim_cuda_templateIN3c108BFloat16EEESt5tupleIJNSF_6TensorESM_SM_EERKSM_lbbbEUlllE0_EEPmJS9_EEE10hipError_tPvRmT3_T4_T5_T6_T7_T9_mT8_P12ihipStream_tbDpT10_ENKUlT_T0_E_clISt17integral_constantIbLb1EES1B_IbLb0EEEEDaS17_S18_EUlS17_E_NS1_11comp_targetILNS1_3genE0ELNS1_11target_archE4294967295ELNS1_3gpuE0ELNS1_3repE0EEENS1_30default_config_static_selectorELNS0_4arch9wavefront6targetE1EEEvT1_
                                        ; -- End function
	.section	.AMDGPU.csdata,"",@progbits
; Kernel info:
; codeLenInByte = 0
; NumSgprs: 6
; NumVgprs: 0
; NumAgprs: 0
; TotalNumVgprs: 0
; ScratchSize: 0
; MemoryBound: 0
; FloatMode: 240
; IeeeMode: 1
; LDSByteSize: 0 bytes/workgroup (compile time only)
; SGPRBlocks: 0
; VGPRBlocks: 0
; NumSGPRsForWavesPerEU: 6
; NumVGPRsForWavesPerEU: 1
; AccumOffset: 4
; Occupancy: 8
; WaveLimiterHint : 0
; COMPUTE_PGM_RSRC2:SCRATCH_EN: 0
; COMPUTE_PGM_RSRC2:USER_SGPR: 2
; COMPUTE_PGM_RSRC2:TRAP_HANDLER: 0
; COMPUTE_PGM_RSRC2:TGID_X_EN: 1
; COMPUTE_PGM_RSRC2:TGID_Y_EN: 0
; COMPUTE_PGM_RSRC2:TGID_Z_EN: 0
; COMPUTE_PGM_RSRC2:TIDIG_COMP_CNT: 0
; COMPUTE_PGM_RSRC3_GFX90A:ACCUM_OFFSET: 0
; COMPUTE_PGM_RSRC3_GFX90A:TG_SPLIT: 0
	.section	.text._ZN7rocprim17ROCPRIM_400000_NS6detail17trampoline_kernelINS0_14default_configENS1_25partition_config_selectorILNS1_17partition_subalgoE9EllbEEZZNS1_14partition_implILS5_9ELb0ES3_jPlS8_PNS0_10empty_typeENS0_5tupleIJS8_S9_EEENSB_IJS8_SA_EEENS0_18inequality_wrapperIZN2at6native12_GLOBAL__N_124unique_dim_cuda_templateIN3c108BFloat16EEESt5tupleIJNSF_6TensorESM_SM_EERKSM_lbbbEUlllE0_EEPmJS9_EEE10hipError_tPvRmT3_T4_T5_T6_T7_T9_mT8_P12ihipStream_tbDpT10_ENKUlT_T0_E_clISt17integral_constantIbLb1EES1B_IbLb0EEEEDaS17_S18_EUlS17_E_NS1_11comp_targetILNS1_3genE5ELNS1_11target_archE942ELNS1_3gpuE9ELNS1_3repE0EEENS1_30default_config_static_selectorELNS0_4arch9wavefront6targetE1EEEvT1_,"axG",@progbits,_ZN7rocprim17ROCPRIM_400000_NS6detail17trampoline_kernelINS0_14default_configENS1_25partition_config_selectorILNS1_17partition_subalgoE9EllbEEZZNS1_14partition_implILS5_9ELb0ES3_jPlS8_PNS0_10empty_typeENS0_5tupleIJS8_S9_EEENSB_IJS8_SA_EEENS0_18inequality_wrapperIZN2at6native12_GLOBAL__N_124unique_dim_cuda_templateIN3c108BFloat16EEESt5tupleIJNSF_6TensorESM_SM_EERKSM_lbbbEUlllE0_EEPmJS9_EEE10hipError_tPvRmT3_T4_T5_T6_T7_T9_mT8_P12ihipStream_tbDpT10_ENKUlT_T0_E_clISt17integral_constantIbLb1EES1B_IbLb0EEEEDaS17_S18_EUlS17_E_NS1_11comp_targetILNS1_3genE5ELNS1_11target_archE942ELNS1_3gpuE9ELNS1_3repE0EEENS1_30default_config_static_selectorELNS0_4arch9wavefront6targetE1EEEvT1_,comdat
	.globl	_ZN7rocprim17ROCPRIM_400000_NS6detail17trampoline_kernelINS0_14default_configENS1_25partition_config_selectorILNS1_17partition_subalgoE9EllbEEZZNS1_14partition_implILS5_9ELb0ES3_jPlS8_PNS0_10empty_typeENS0_5tupleIJS8_S9_EEENSB_IJS8_SA_EEENS0_18inequality_wrapperIZN2at6native12_GLOBAL__N_124unique_dim_cuda_templateIN3c108BFloat16EEESt5tupleIJNSF_6TensorESM_SM_EERKSM_lbbbEUlllE0_EEPmJS9_EEE10hipError_tPvRmT3_T4_T5_T6_T7_T9_mT8_P12ihipStream_tbDpT10_ENKUlT_T0_E_clISt17integral_constantIbLb1EES1B_IbLb0EEEEDaS17_S18_EUlS17_E_NS1_11comp_targetILNS1_3genE5ELNS1_11target_archE942ELNS1_3gpuE9ELNS1_3repE0EEENS1_30default_config_static_selectorELNS0_4arch9wavefront6targetE1EEEvT1_ ; -- Begin function _ZN7rocprim17ROCPRIM_400000_NS6detail17trampoline_kernelINS0_14default_configENS1_25partition_config_selectorILNS1_17partition_subalgoE9EllbEEZZNS1_14partition_implILS5_9ELb0ES3_jPlS8_PNS0_10empty_typeENS0_5tupleIJS8_S9_EEENSB_IJS8_SA_EEENS0_18inequality_wrapperIZN2at6native12_GLOBAL__N_124unique_dim_cuda_templateIN3c108BFloat16EEESt5tupleIJNSF_6TensorESM_SM_EERKSM_lbbbEUlllE0_EEPmJS9_EEE10hipError_tPvRmT3_T4_T5_T6_T7_T9_mT8_P12ihipStream_tbDpT10_ENKUlT_T0_E_clISt17integral_constantIbLb1EES1B_IbLb0EEEEDaS17_S18_EUlS17_E_NS1_11comp_targetILNS1_3genE5ELNS1_11target_archE942ELNS1_3gpuE9ELNS1_3repE0EEENS1_30default_config_static_selectorELNS0_4arch9wavefront6targetE1EEEvT1_
	.p2align	8
	.type	_ZN7rocprim17ROCPRIM_400000_NS6detail17trampoline_kernelINS0_14default_configENS1_25partition_config_selectorILNS1_17partition_subalgoE9EllbEEZZNS1_14partition_implILS5_9ELb0ES3_jPlS8_PNS0_10empty_typeENS0_5tupleIJS8_S9_EEENSB_IJS8_SA_EEENS0_18inequality_wrapperIZN2at6native12_GLOBAL__N_124unique_dim_cuda_templateIN3c108BFloat16EEESt5tupleIJNSF_6TensorESM_SM_EERKSM_lbbbEUlllE0_EEPmJS9_EEE10hipError_tPvRmT3_T4_T5_T6_T7_T9_mT8_P12ihipStream_tbDpT10_ENKUlT_T0_E_clISt17integral_constantIbLb1EES1B_IbLb0EEEEDaS17_S18_EUlS17_E_NS1_11comp_targetILNS1_3genE5ELNS1_11target_archE942ELNS1_3gpuE9ELNS1_3repE0EEENS1_30default_config_static_selectorELNS0_4arch9wavefront6targetE1EEEvT1_,@function
_ZN7rocprim17ROCPRIM_400000_NS6detail17trampoline_kernelINS0_14default_configENS1_25partition_config_selectorILNS1_17partition_subalgoE9EllbEEZZNS1_14partition_implILS5_9ELb0ES3_jPlS8_PNS0_10empty_typeENS0_5tupleIJS8_S9_EEENSB_IJS8_SA_EEENS0_18inequality_wrapperIZN2at6native12_GLOBAL__N_124unique_dim_cuda_templateIN3c108BFloat16EEESt5tupleIJNSF_6TensorESM_SM_EERKSM_lbbbEUlllE0_EEPmJS9_EEE10hipError_tPvRmT3_T4_T5_T6_T7_T9_mT8_P12ihipStream_tbDpT10_ENKUlT_T0_E_clISt17integral_constantIbLb1EES1B_IbLb0EEEEDaS17_S18_EUlS17_E_NS1_11comp_targetILNS1_3genE5ELNS1_11target_archE942ELNS1_3gpuE9ELNS1_3repE0EEENS1_30default_config_static_selectorELNS0_4arch9wavefront6targetE1EEEvT1_: ; @_ZN7rocprim17ROCPRIM_400000_NS6detail17trampoline_kernelINS0_14default_configENS1_25partition_config_selectorILNS1_17partition_subalgoE9EllbEEZZNS1_14partition_implILS5_9ELb0ES3_jPlS8_PNS0_10empty_typeENS0_5tupleIJS8_S9_EEENSB_IJS8_SA_EEENS0_18inequality_wrapperIZN2at6native12_GLOBAL__N_124unique_dim_cuda_templateIN3c108BFloat16EEESt5tupleIJNSF_6TensorESM_SM_EERKSM_lbbbEUlllE0_EEPmJS9_EEE10hipError_tPvRmT3_T4_T5_T6_T7_T9_mT8_P12ihipStream_tbDpT10_ENKUlT_T0_E_clISt17integral_constantIbLb1EES1B_IbLb0EEEEDaS17_S18_EUlS17_E_NS1_11comp_targetILNS1_3genE5ELNS1_11target_archE942ELNS1_3gpuE9ELNS1_3repE0EEENS1_30default_config_static_selectorELNS0_4arch9wavefront6targetE1EEEvT1_
; %bb.0:
	s_load_dwordx8 s[20:27], s[0:1], 0x40
	s_load_dwordx4 s[4:7], s[0:1], 0x8
	s_load_dwordx2 s[10:11], s[0:1], 0x18
	s_load_dword s3, s[0:1], 0x70
	s_mul_i32 s12, s2, 0xe00
	s_waitcnt lgkmcnt(0)
	v_mov_b32_e32 v2, s24
	s_lshl_b64 s[14:15], s[6:7], 3
	s_add_u32 s18, s4, s14
	s_mul_i32 s4, s3, 0xe00
	s_addc_u32 s19, s5, s15
	s_add_i32 s8, s3, -1
	s_add_i32 s3, s4, s6
	s_sub_i32 s3, s24, s3
	s_addk_i32 s3, 0xe00
	s_add_u32 s4, s6, s4
	s_addc_u32 s5, s7, 0
	v_mov_b32_e32 v3, s25
	s_cmp_eq_u32 s2, s8
	s_load_dwordx2 s[22:23], s[22:23], 0x0
	v_cmp_ge_u64_e32 vcc, s[4:5], v[2:3]
	s_cselect_b64 s[24:25], -1, 0
	s_mov_b32 s13, 0
	s_and_b64 s[8:9], s[24:25], vcc
	s_xor_b64 s[34:35], s[8:9], -1
	s_lshl_b64 s[16:17], s[12:13], 3
	s_add_u32 s12, s18, s16
	s_mov_b64 s[4:5], -1
	s_addc_u32 s13, s19, s17
	s_and_b64 vcc, exec, s[34:35]
	s_cbranch_vccz .LBB1231_2
; %bb.1:
	v_lshlrev_b32_e32 v2, 3, v0
	v_mov_b32_e32 v3, 0
	v_lshl_add_u64 v[4:5], s[12:13], 0, v[2:3]
	v_add_co_u32_e32 v8, vcc, 0x1000, v4
	global_load_dwordx2 v[6:7], v2, s[12:13]
	s_nop 0
	v_addc_co_u32_e32 v9, vcc, 0, v5, vcc
	v_add_co_u32_e32 v10, vcc, 0x2000, v4
	s_mov_b64 s[4:5], 0
	s_nop 0
	v_addc_co_u32_e32 v11, vcc, 0, v5, vcc
	v_add_co_u32_e32 v12, vcc, 0x3000, v4
	s_nop 1
	v_addc_co_u32_e32 v13, vcc, 0, v5, vcc
	v_add_co_u32_e32 v14, vcc, 0x4000, v4
	s_nop 1
	v_addc_co_u32_e32 v15, vcc, 0, v5, vcc
	global_load_dwordx2 v[16:17], v[8:9], off
	global_load_dwordx2 v[18:19], v[10:11], off
	;; [unrolled: 1-line block ×4, first 2 shown]
	v_add_co_u32_e32 v8, vcc, 0x5000, v4
	s_nop 1
	v_addc_co_u32_e32 v9, vcc, 0, v5, vcc
	v_add_co_u32_e32 v4, vcc, 0x6000, v4
	global_load_dwordx2 v[8:9], v[8:9], off
	s_nop 0
	v_addc_co_u32_e32 v5, vcc, 0, v5, vcc
	global_load_dwordx2 v[4:5], v[4:5], off
	s_waitcnt vmcnt(5)
	ds_write2st64_b64 v2, v[6:7], v[16:17] offset1:8
	s_waitcnt vmcnt(3)
	ds_write2st64_b64 v2, v[18:19], v[20:21] offset0:16 offset1:24
	s_waitcnt vmcnt(1)
	ds_write2st64_b64 v2, v[22:23], v[8:9] offset0:32 offset1:40
	s_waitcnt vmcnt(0)
	ds_write_b64 v2, v[4:5] offset:24576
	s_waitcnt lgkmcnt(0)
	s_barrier
.LBB1231_2:
	s_load_dwordx4 s[28:31], s[0:1], 0x60
	s_andn2_b64 vcc, exec, s[4:5]
	v_cmp_gt_u32_e64 s[4:5], s3, v0
	s_cbranch_vccnz .LBB1231_18
; %bb.3:
                                        ; implicit-def: $vgpr2_vgpr3_vgpr4_vgpr5_vgpr6_vgpr7_vgpr8_vgpr9_vgpr10_vgpr11_vgpr12_vgpr13_vgpr14_vgpr15_vgpr16_vgpr17
	s_and_saveexec_b64 s[18:19], s[4:5]
	s_cbranch_execz .LBB1231_5
; %bb.4:
	v_lshlrev_b32_e32 v1, 3, v0
	global_load_dwordx2 v[2:3], v1, s[12:13]
.LBB1231_5:
	s_or_b64 exec, exec, s[18:19]
	v_or_b32_e32 v1, 0x200, v0
	v_cmp_gt_u32_e32 vcc, s3, v1
	s_and_saveexec_b64 s[4:5], vcc
	s_cbranch_execz .LBB1231_7
; %bb.6:
	v_lshlrev_b32_e32 v1, 3, v1
	global_load_dwordx2 v[4:5], v1, s[12:13]
.LBB1231_7:
	s_or_b64 exec, exec, s[4:5]
	v_or_b32_e32 v1, 0x400, v0
	v_cmp_gt_u32_e32 vcc, s3, v1
	s_and_saveexec_b64 s[4:5], vcc
	;; [unrolled: 9-line block ×6, first 2 shown]
	s_cbranch_execz .LBB1231_17
; %bb.16:
	v_lshlrev_b32_e32 v1, 3, v1
	global_load_dwordx2 v[14:15], v1, s[12:13]
.LBB1231_17:
	s_or_b64 exec, exec, s[4:5]
	v_lshlrev_b32_e32 v1, 3, v0
	s_waitcnt vmcnt(0)
	ds_write2st64_b64 v1, v[2:3], v[4:5] offset1:8
	ds_write2st64_b64 v1, v[6:7], v[8:9] offset0:16 offset1:24
	ds_write2st64_b64 v1, v[10:11], v[12:13] offset0:32 offset1:40
	ds_write_b64 v1, v[14:15] offset:24576
	s_waitcnt lgkmcnt(0)
	s_barrier
.LBB1231_18:
	v_mul_u32_u24_e32 v1, 7, v0
	v_lshlrev_b32_e32 v44, 3, v1
	s_waitcnt lgkmcnt(0)
	ds_read2_b64 v[22:25], v44 offset1:1
	ds_read2_b64 v[18:21], v44 offset0:2 offset1:3
	ds_read2_b64 v[14:17], v44 offset0:4 offset1:5
	ds_read_b64 v[28:29], v44 offset:48
	s_add_u32 s4, s10, s14
	s_addc_u32 s5, s11, s15
	s_add_u32 s4, s4, s16
	s_addc_u32 s5, s5, s17
	s_mov_b64 s[10:11], -1
	s_and_b64 vcc, exec, s[34:35]
	s_waitcnt lgkmcnt(0)
	s_barrier
	s_cbranch_vccz .LBB1231_20
; %bb.19:
	v_lshlrev_b32_e32 v2, 3, v0
	v_mov_b32_e32 v3, 0
	v_lshl_add_u64 v[4:5], s[4:5], 0, v[2:3]
	v_add_co_u32_e32 v8, vcc, 0x1000, v4
	global_load_dwordx2 v[6:7], v2, s[4:5]
	s_nop 0
	v_addc_co_u32_e32 v9, vcc, 0, v5, vcc
	v_add_co_u32_e32 v10, vcc, 0x2000, v4
	s_mov_b64 s[10:11], 0
	s_nop 0
	v_addc_co_u32_e32 v11, vcc, 0, v5, vcc
	v_add_co_u32_e32 v12, vcc, 0x3000, v4
	s_nop 1
	v_addc_co_u32_e32 v13, vcc, 0, v5, vcc
	v_add_co_u32_e32 v26, vcc, 0x4000, v4
	s_nop 1
	v_addc_co_u32_e32 v27, vcc, 0, v5, vcc
	global_load_dwordx2 v[30:31], v[8:9], off
	global_load_dwordx2 v[32:33], v[10:11], off
	;; [unrolled: 1-line block ×4, first 2 shown]
	v_add_co_u32_e32 v8, vcc, 0x5000, v4
	s_nop 1
	v_addc_co_u32_e32 v9, vcc, 0, v5, vcc
	v_add_co_u32_e32 v4, vcc, 0x6000, v4
	global_load_dwordx2 v[8:9], v[8:9], off
	s_nop 0
	v_addc_co_u32_e32 v5, vcc, 0, v5, vcc
	global_load_dwordx2 v[4:5], v[4:5], off
	s_waitcnt vmcnt(5)
	ds_write2st64_b64 v2, v[6:7], v[30:31] offset1:8
	s_waitcnt vmcnt(3)
	ds_write2st64_b64 v2, v[32:33], v[34:35] offset0:16 offset1:24
	s_waitcnt vmcnt(1)
	ds_write2st64_b64 v2, v[36:37], v[8:9] offset0:32 offset1:40
	s_waitcnt vmcnt(0)
	ds_write_b64 v2, v[4:5] offset:24576
	s_waitcnt lgkmcnt(0)
	s_barrier
.LBB1231_20:
	s_andn2_b64 vcc, exec, s[10:11]
	s_cbranch_vccnz .LBB1231_36
; %bb.21:
	v_cmp_gt_u32_e32 vcc, s3, v0
                                        ; implicit-def: $vgpr2_vgpr3
	s_and_saveexec_b64 s[10:11], vcc
	s_cbranch_execz .LBB1231_23
; %bb.22:
	v_lshlrev_b32_e32 v2, 3, v0
	global_load_dwordx2 v[2:3], v2, s[4:5]
.LBB1231_23:
	s_or_b64 exec, exec, s[10:11]
	v_or_b32_e32 v6, 0x200, v0
	v_cmp_gt_u32_e32 vcc, s3, v6
                                        ; implicit-def: $vgpr4_vgpr5
	s_and_saveexec_b64 s[10:11], vcc
	s_cbranch_execz .LBB1231_25
; %bb.24:
	v_lshlrev_b32_e32 v4, 3, v6
	global_load_dwordx2 v[4:5], v4, s[4:5]
.LBB1231_25:
	s_or_b64 exec, exec, s[10:11]
	v_or_b32_e32 v8, 0x400, v0
	v_cmp_gt_u32_e32 vcc, s3, v8
                                        ; implicit-def: $vgpr6_vgpr7
	s_and_saveexec_b64 s[10:11], vcc
	s_cbranch_execz .LBB1231_27
; %bb.26:
	v_lshlrev_b32_e32 v6, 3, v8
	global_load_dwordx2 v[6:7], v6, s[4:5]
.LBB1231_27:
	s_or_b64 exec, exec, s[10:11]
	v_or_b32_e32 v10, 0x600, v0
	v_cmp_gt_u32_e32 vcc, s3, v10
                                        ; implicit-def: $vgpr8_vgpr9
	s_and_saveexec_b64 s[10:11], vcc
	s_cbranch_execz .LBB1231_29
; %bb.28:
	v_lshlrev_b32_e32 v8, 3, v10
	global_load_dwordx2 v[8:9], v8, s[4:5]
.LBB1231_29:
	s_or_b64 exec, exec, s[10:11]
	v_or_b32_e32 v12, 0x800, v0
	v_cmp_gt_u32_e32 vcc, s3, v12
                                        ; implicit-def: $vgpr10_vgpr11
	s_and_saveexec_b64 s[10:11], vcc
	s_cbranch_execz .LBB1231_31
; %bb.30:
	v_lshlrev_b32_e32 v10, 3, v12
	global_load_dwordx2 v[10:11], v10, s[4:5]
.LBB1231_31:
	s_or_b64 exec, exec, s[10:11]
	v_or_b32_e32 v26, 0xa00, v0
	v_cmp_gt_u32_e32 vcc, s3, v26
                                        ; implicit-def: $vgpr12_vgpr13
	s_and_saveexec_b64 s[10:11], vcc
	s_cbranch_execz .LBB1231_33
; %bb.32:
	v_lshlrev_b32_e32 v12, 3, v26
	global_load_dwordx2 v[12:13], v12, s[4:5]
.LBB1231_33:
	s_or_b64 exec, exec, s[10:11]
	v_or_b32_e32 v30, 0xc00, v0
	v_cmp_gt_u32_e32 vcc, s3, v30
                                        ; implicit-def: $vgpr26_vgpr27
	s_and_saveexec_b64 s[10:11], vcc
	s_cbranch_execz .LBB1231_35
; %bb.34:
	v_lshlrev_b32_e32 v26, 3, v30
	global_load_dwordx2 v[26:27], v26, s[4:5]
.LBB1231_35:
	s_or_b64 exec, exec, s[10:11]
	s_movk_i32 s4, 0xffd0
	v_mad_i32_i24 v30, v0, s4, v44
	s_waitcnt vmcnt(0)
	ds_write2st64_b64 v30, v[2:3], v[4:5] offset1:8
	ds_write2st64_b64 v30, v[6:7], v[8:9] offset0:16 offset1:24
	ds_write2st64_b64 v30, v[10:11], v[12:13] offset0:32 offset1:40
	ds_write_b64 v30, v[26:27] offset:24576
	s_waitcnt lgkmcnt(0)
	s_barrier
.LBB1231_36:
	ds_read2_b64 v[10:13], v44 offset1:1
	ds_read2_b64 v[6:9], v44 offset0:2 offset1:3
	ds_read2_b64 v[2:5], v44 offset0:4 offset1:5
	ds_read_b64 v[26:27], v44 offset:48
	s_cmp_lg_u32 s2, 0
	s_cselect_b64 s[16:17], -1, 0
	s_cmp_lg_u64 s[6:7], 0
	s_cselect_b64 s[4:5], -1, 0
	s_or_b64 s[4:5], s[16:17], s[4:5]
	v_add_u32_e32 v41, 1, v1
	v_add_u32_e32 v38, 2, v1
	;; [unrolled: 1-line block ×6, first 2 shown]
	s_mov_b64 s[10:11], 0
	s_and_b64 vcc, exec, s[4:5]
	v_cmp_gt_i64_e64 s[4:5], s[26:27], 0
	s_waitcnt lgkmcnt(0)
	s_barrier
	s_cbranch_vccz .LBB1231_45
; %bb.37:
	s_add_u32 s6, s12, -8
	s_addc_u32 s7, s13, -1
	s_load_dwordx2 s[6:7], s[6:7], 0x0
	v_cndmask_b32_e64 v30, 0, 1, s[4:5]
	v_lshlrev_b32_e32 v45, 3, v0
	s_and_b64 vcc, exec, s[34:35]
	v_cmp_ne_u32_e64 s[4:5], 1, v30
	ds_write_b64 v45, v[28:29]
	s_cbranch_vccz .LBB1231_47
; %bb.38:
	v_mul_lo_u32 v32, v17, s26
	v_mul_lo_u32 v33, v16, s27
	v_mad_u64_u32 v[30:31], s[12:13], v16, s26, 0
	v_add3_u32 v31, v31, v33, v32
	s_and_b64 vcc, exec, s[4:5]
	v_lshl_add_u64 v[30:31], v[30:31], 1, s[28:29]
	s_cbranch_vccnz .LBB1231_50
; %bb.39:
	v_mul_lo_u32 v34, v29, s26
	v_mul_lo_u32 v35, v28, s27
	v_mad_u64_u32 v[32:33], s[10:11], v28, s26, 0
	v_add3_u32 v33, v33, v35, v34
	v_lshl_add_u64 v[32:33], v[32:33], 1, s[28:29]
	global_load_ushort v34, v[32:33], off
	global_load_ushort v35, v[30:31], off
	s_mov_b64 s[10:11], -1
	s_waitcnt vmcnt(1)
	v_lshlrev_b32_e32 v34, 16, v34
	s_waitcnt vmcnt(0)
	v_lshlrev_b32_e32 v35, 16, v35
	v_cmp_eq_f32_e32 vcc, v35, v34
	s_and_saveexec_b64 s[12:13], vcc
	s_cbranch_execz .LBB1231_49
; %bb.40:
	s_add_u32 s10, s26, -1
	v_lshl_add_u64 v[32:33], v[32:33], 0, 2
	v_lshl_add_u64 v[34:35], v[30:31], 0, 2
	s_addc_u32 s11, s27, -1
	s_mov_b64 s[14:15], 0
	s_mov_b64 s[36:37], 0
                                        ; implicit-def: $sgpr18_sgpr19
	s_branch .LBB1231_43
.LBB1231_41:                            ;   in Loop: Header=BB1231_43 Depth=1
	global_load_ushort v36, v[32:33], off
	global_load_ushort v37, v[34:35], off
	s_add_u32 s36, s36, 1
	s_addc_u32 s37, s37, 0
	s_andn2_b64 s[18:19], s[18:19], exec
	v_lshl_add_u64 v[32:33], v[32:33], 0, 2
	v_lshl_add_u64 v[34:35], v[34:35], 0, 2
	s_waitcnt vmcnt(1)
	v_lshlrev_b32_e32 v36, 16, v36
	s_waitcnt vmcnt(0)
	v_lshlrev_b32_e32 v37, 16, v37
	v_cmp_neq_f32_e32 vcc, v37, v36
	s_and_b64 s[38:39], vcc, exec
	s_or_b64 s[18:19], s[18:19], s[38:39]
.LBB1231_42:                            ;   in Loop: Header=BB1231_43 Depth=1
	s_and_b64 s[38:39], exec, s[18:19]
	s_or_b64 s[14:15], s[38:39], s[14:15]
	v_mov_b64_e32 v[36:37], s[36:37]
	s_andn2_b64 exec, exec, s[14:15]
	s_cbranch_execz .LBB1231_48
.LBB1231_43:                            ; =>This Inner Loop Header: Depth=1
	s_or_b64 s[18:19], s[18:19], exec
	s_cmp_eq_u64 s[10:11], s[36:37]
	s_cbranch_scc0 .LBB1231_41
; %bb.44:                               ;   in Loop: Header=BB1231_43 Depth=1
                                        ; implicit-def: $vgpr32_vgpr33
                                        ; implicit-def: $vgpr34_vgpr35
	s_mov_b64 s[36:37], s[26:27]
	s_branch .LBB1231_42
.LBB1231_45:
                                        ; implicit-def: $sgpr18_sgpr19
                                        ; implicit-def: $vgpr48
                                        ; implicit-def: $vgpr47
                                        ; implicit-def: $vgpr46
                                        ; implicit-def: $vgpr34
	s_branch .LBB1231_188
.LBB1231_46:
                                        ; implicit-def: $vgpr30_vgpr31
	s_branch .LBB1231_336
.LBB1231_47:
                                        ; implicit-def: $sgpr18_sgpr19
                                        ; implicit-def: $vgpr48
                                        ; implicit-def: $vgpr47
                                        ; implicit-def: $vgpr46
                                        ; implicit-def: $vgpr34
	s_cbranch_execnz .LBB1231_107
	s_branch .LBB1231_187
.LBB1231_48:
	s_or_b64 exec, exec, s[14:15]
	v_cmp_gt_i64_e32 vcc, s[26:27], v[36:37]
	s_orn2_b64 s[10:11], vcc, exec
.LBB1231_49:
	s_or_b64 exec, exec, s[12:13]
.LBB1231_50:
	v_mul_lo_u32 v34, v15, s26
	v_mul_lo_u32 v35, v14, s27
	v_mad_u64_u32 v[32:33], s[12:13], v14, s26, 0
	v_add3_u32 v33, v33, v35, v34
	s_mov_b64 s[12:13], 0
	s_and_b64 vcc, exec, s[4:5]
	v_lshl_add_u64 v[32:33], v[32:33], 1, s[28:29]
	s_mov_b64 s[14:15], 0
	s_cbranch_vccnz .LBB1231_59
; %bb.51:
	global_load_ushort v34, v[30:31], off
	global_load_ushort v35, v[32:33], off
	s_mov_b64 s[14:15], -1
	s_waitcnt vmcnt(1)
	v_lshlrev_b32_e32 v34, 16, v34
	s_waitcnt vmcnt(0)
	v_lshlrev_b32_e32 v35, 16, v35
	v_cmp_eq_f32_e32 vcc, v35, v34
	s_and_saveexec_b64 s[18:19], vcc
	s_cbranch_execz .LBB1231_58
; %bb.52:
	s_add_u32 s14, s26, -1
	v_lshl_add_u64 v[30:31], v[30:31], 0, 2
	v_lshl_add_u64 v[34:35], v[32:33], 0, 2
	s_addc_u32 s15, s27, -1
	s_mov_b64 s[36:37], 0
	s_mov_b64 s[40:41], 0
                                        ; implicit-def: $sgpr38_sgpr39
	s_branch .LBB1231_55
.LBB1231_53:                            ;   in Loop: Header=BB1231_55 Depth=1
	global_load_ushort v36, v[30:31], off
	global_load_ushort v37, v[34:35], off
	s_add_u32 s40, s40, 1
	s_addc_u32 s41, s41, 0
	s_andn2_b64 s[38:39], s[38:39], exec
	v_lshl_add_u64 v[30:31], v[30:31], 0, 2
	v_lshl_add_u64 v[34:35], v[34:35], 0, 2
	s_waitcnt vmcnt(1)
	v_lshlrev_b32_e32 v36, 16, v36
	s_waitcnt vmcnt(0)
	v_lshlrev_b32_e32 v37, 16, v37
	v_cmp_neq_f32_e32 vcc, v37, v36
	s_and_b64 s[42:43], vcc, exec
	s_or_b64 s[38:39], s[38:39], s[42:43]
.LBB1231_54:                            ;   in Loop: Header=BB1231_55 Depth=1
	s_and_b64 s[42:43], exec, s[38:39]
	s_or_b64 s[36:37], s[42:43], s[36:37]
	v_mov_b64_e32 v[36:37], s[40:41]
	s_andn2_b64 exec, exec, s[36:37]
	s_cbranch_execz .LBB1231_57
.LBB1231_55:                            ; =>This Inner Loop Header: Depth=1
	s_or_b64 s[38:39], s[38:39], exec
	s_cmp_eq_u64 s[14:15], s[40:41]
	s_cbranch_scc0 .LBB1231_53
; %bb.56:                               ;   in Loop: Header=BB1231_55 Depth=1
                                        ; implicit-def: $vgpr30_vgpr31
                                        ; implicit-def: $vgpr34_vgpr35
	s_mov_b64 s[40:41], s[26:27]
	s_branch .LBB1231_54
.LBB1231_57:
	s_or_b64 exec, exec, s[36:37]
	v_cmp_gt_i64_e32 vcc, s[26:27], v[36:37]
	s_orn2_b64 s[14:15], vcc, exec
.LBB1231_58:
	s_or_b64 exec, exec, s[18:19]
.LBB1231_59:
	v_mul_lo_u32 v34, v21, s26
	v_mul_lo_u32 v35, v20, s27
	v_mad_u64_u32 v[30:31], s[18:19], v20, s26, 0
	v_add3_u32 v31, v31, v35, v34
	s_and_b64 vcc, exec, s[4:5]
	v_lshl_add_u64 v[30:31], v[30:31], 1, s[28:29]
	s_cbranch_vccnz .LBB1231_68
; %bb.60:
	global_load_ushort v34, v[32:33], off
	global_load_ushort v35, v[30:31], off
	s_mov_b64 s[12:13], -1
	s_waitcnt vmcnt(1)
	v_lshlrev_b32_e32 v34, 16, v34
	s_waitcnt vmcnt(0)
	v_lshlrev_b32_e32 v35, 16, v35
	v_cmp_eq_f32_e32 vcc, v35, v34
	s_and_saveexec_b64 s[18:19], vcc
	s_cbranch_execz .LBB1231_67
; %bb.61:
	s_add_u32 s12, s26, -1
	v_lshl_add_u64 v[32:33], v[32:33], 0, 2
	v_lshl_add_u64 v[34:35], v[30:31], 0, 2
	s_addc_u32 s13, s27, -1
	s_mov_b64 s[36:37], 0
	s_mov_b64 s[40:41], 0
                                        ; implicit-def: $sgpr38_sgpr39
	s_branch .LBB1231_64
.LBB1231_62:                            ;   in Loop: Header=BB1231_64 Depth=1
	global_load_ushort v36, v[32:33], off
	global_load_ushort v37, v[34:35], off
	s_add_u32 s40, s40, 1
	s_addc_u32 s41, s41, 0
	s_andn2_b64 s[38:39], s[38:39], exec
	v_lshl_add_u64 v[32:33], v[32:33], 0, 2
	v_lshl_add_u64 v[34:35], v[34:35], 0, 2
	s_waitcnt vmcnt(1)
	v_lshlrev_b32_e32 v36, 16, v36
	s_waitcnt vmcnt(0)
	v_lshlrev_b32_e32 v37, 16, v37
	v_cmp_neq_f32_e32 vcc, v37, v36
	s_and_b64 s[42:43], vcc, exec
	s_or_b64 s[38:39], s[38:39], s[42:43]
.LBB1231_63:                            ;   in Loop: Header=BB1231_64 Depth=1
	s_and_b64 s[42:43], exec, s[38:39]
	s_or_b64 s[36:37], s[42:43], s[36:37]
	v_mov_b64_e32 v[36:37], s[40:41]
	s_andn2_b64 exec, exec, s[36:37]
	s_cbranch_execz .LBB1231_66
.LBB1231_64:                            ; =>This Inner Loop Header: Depth=1
	s_or_b64 s[38:39], s[38:39], exec
	s_cmp_eq_u64 s[12:13], s[40:41]
	s_cbranch_scc0 .LBB1231_62
; %bb.65:                               ;   in Loop: Header=BB1231_64 Depth=1
                                        ; implicit-def: $vgpr32_vgpr33
                                        ; implicit-def: $vgpr34_vgpr35
	s_mov_b64 s[40:41], s[26:27]
	s_branch .LBB1231_63
.LBB1231_66:
	s_or_b64 exec, exec, s[36:37]
	v_cmp_gt_i64_e32 vcc, s[26:27], v[36:37]
	s_orn2_b64 s[12:13], vcc, exec
.LBB1231_67:
	s_or_b64 exec, exec, s[18:19]
.LBB1231_68:
	v_mul_lo_u32 v34, v19, s26
	v_mul_lo_u32 v35, v18, s27
	v_mad_u64_u32 v[32:33], s[18:19], v18, s26, 0
	v_add3_u32 v33, v33, v35, v34
	s_mov_b64 s[18:19], 0
	s_and_b64 vcc, exec, s[4:5]
	v_lshl_add_u64 v[34:35], v[32:33], 1, s[28:29]
	s_mov_b64 s[36:37], 0
	s_cbranch_vccnz .LBB1231_77
; %bb.69:
	global_load_ushort v32, v[30:31], off
	global_load_ushort v33, v[34:35], off
	s_mov_b64 s[36:37], -1
	s_waitcnt vmcnt(1)
	v_lshlrev_b32_e32 v32, 16, v32
	s_waitcnt vmcnt(0)
	v_lshlrev_b32_e32 v33, 16, v33
	v_cmp_eq_f32_e32 vcc, v33, v32
	s_and_saveexec_b64 s[38:39], vcc
	s_cbranch_execz .LBB1231_76
; %bb.70:
	s_add_u32 s36, s26, -1
	v_lshl_add_u64 v[30:31], v[30:31], 0, 2
	v_lshl_add_u64 v[32:33], v[34:35], 0, 2
	s_addc_u32 s37, s27, -1
	s_mov_b64 s[40:41], 0
	s_mov_b64 s[44:45], 0
                                        ; implicit-def: $sgpr42_sgpr43
	s_branch .LBB1231_73
.LBB1231_71:                            ;   in Loop: Header=BB1231_73 Depth=1
	global_load_ushort v36, v[30:31], off
	global_load_ushort v37, v[32:33], off
	s_add_u32 s44, s44, 1
	s_addc_u32 s45, s45, 0
	s_andn2_b64 s[42:43], s[42:43], exec
	v_lshl_add_u64 v[30:31], v[30:31], 0, 2
	v_lshl_add_u64 v[32:33], v[32:33], 0, 2
	s_waitcnt vmcnt(1)
	v_lshlrev_b32_e32 v36, 16, v36
	s_waitcnt vmcnt(0)
	v_lshlrev_b32_e32 v37, 16, v37
	v_cmp_neq_f32_e32 vcc, v37, v36
	s_and_b64 s[46:47], vcc, exec
	s_or_b64 s[42:43], s[42:43], s[46:47]
.LBB1231_72:                            ;   in Loop: Header=BB1231_73 Depth=1
	s_and_b64 s[46:47], exec, s[42:43]
	s_or_b64 s[40:41], s[46:47], s[40:41]
	v_mov_b64_e32 v[36:37], s[44:45]
	s_andn2_b64 exec, exec, s[40:41]
	s_cbranch_execz .LBB1231_75
.LBB1231_73:                            ; =>This Inner Loop Header: Depth=1
	s_or_b64 s[42:43], s[42:43], exec
	s_cmp_eq_u64 s[36:37], s[44:45]
	s_cbranch_scc0 .LBB1231_71
; %bb.74:                               ;   in Loop: Header=BB1231_73 Depth=1
                                        ; implicit-def: $vgpr30_vgpr31
                                        ; implicit-def: $vgpr32_vgpr33
	s_mov_b64 s[44:45], s[26:27]
	s_branch .LBB1231_72
.LBB1231_75:
	s_or_b64 exec, exec, s[40:41]
	v_cmp_gt_i64_e32 vcc, s[26:27], v[36:37]
	s_orn2_b64 s[36:37], vcc, exec
.LBB1231_76:
	s_or_b64 exec, exec, s[38:39]
.LBB1231_77:
	v_mul_lo_u32 v32, v25, s26
	v_mul_lo_u32 v33, v24, s27
	v_mad_u64_u32 v[30:31], s[38:39], v24, s26, 0
	v_add3_u32 v31, v31, v33, v32
	s_and_b64 vcc, exec, s[4:5]
	v_lshl_add_u64 v[32:33], v[30:31], 1, s[28:29]
	s_cbranch_vccnz .LBB1231_86
; %bb.78:
	global_load_ushort v30, v[34:35], off
	global_load_ushort v31, v[32:33], off
	s_mov_b64 s[18:19], -1
	s_waitcnt vmcnt(1)
	v_lshlrev_b32_e32 v30, 16, v30
	s_waitcnt vmcnt(0)
	v_lshlrev_b32_e32 v31, 16, v31
	v_cmp_eq_f32_e32 vcc, v31, v30
	s_and_saveexec_b64 s[38:39], vcc
	s_cbranch_execz .LBB1231_85
; %bb.79:
	s_add_u32 s18, s26, -1
	v_lshl_add_u64 v[30:31], v[34:35], 0, 2
	v_lshl_add_u64 v[34:35], v[32:33], 0, 2
	s_addc_u32 s19, s27, -1
	s_mov_b64 s[40:41], 0
	s_mov_b64 s[44:45], 0
                                        ; implicit-def: $sgpr42_sgpr43
	s_branch .LBB1231_82
.LBB1231_80:                            ;   in Loop: Header=BB1231_82 Depth=1
	global_load_ushort v36, v[30:31], off
	global_load_ushort v37, v[34:35], off
	s_add_u32 s44, s44, 1
	s_addc_u32 s45, s45, 0
	s_andn2_b64 s[42:43], s[42:43], exec
	v_lshl_add_u64 v[30:31], v[30:31], 0, 2
	v_lshl_add_u64 v[34:35], v[34:35], 0, 2
	s_waitcnt vmcnt(1)
	v_lshlrev_b32_e32 v36, 16, v36
	s_waitcnt vmcnt(0)
	v_lshlrev_b32_e32 v37, 16, v37
	v_cmp_neq_f32_e32 vcc, v37, v36
	s_and_b64 s[46:47], vcc, exec
	s_or_b64 s[42:43], s[42:43], s[46:47]
.LBB1231_81:                            ;   in Loop: Header=BB1231_82 Depth=1
	s_and_b64 s[46:47], exec, s[42:43]
	s_or_b64 s[40:41], s[46:47], s[40:41]
	v_mov_b64_e32 v[36:37], s[44:45]
	s_andn2_b64 exec, exec, s[40:41]
	s_cbranch_execz .LBB1231_84
.LBB1231_82:                            ; =>This Inner Loop Header: Depth=1
	s_or_b64 s[42:43], s[42:43], exec
	s_cmp_eq_u64 s[18:19], s[44:45]
	s_cbranch_scc0 .LBB1231_80
; %bb.83:                               ;   in Loop: Header=BB1231_82 Depth=1
                                        ; implicit-def: $vgpr30_vgpr31
                                        ; implicit-def: $vgpr34_vgpr35
	s_mov_b64 s[44:45], s[26:27]
	s_branch .LBB1231_81
.LBB1231_84:
	s_or_b64 exec, exec, s[40:41]
	v_cmp_gt_i64_e32 vcc, s[26:27], v[36:37]
	s_orn2_b64 s[18:19], vcc, exec
.LBB1231_85:
	s_or_b64 exec, exec, s[38:39]
.LBB1231_86:
	v_mul_lo_u32 v34, v23, s26
	v_mul_lo_u32 v35, v22, s27
	v_mad_u64_u32 v[30:31], s[38:39], v22, s26, 0
	v_add3_u32 v31, v31, v35, v34
	s_mov_b64 s[40:41], 0
	s_and_b64 vcc, exec, s[4:5]
	v_lshl_add_u64 v[30:31], v[30:31], 1, s[28:29]
	s_cbranch_vccnz .LBB1231_95
; %bb.87:
	global_load_ushort v34, v[32:33], off
	global_load_ushort v35, v[30:31], off
	s_mov_b64 s[40:41], -1
	s_waitcnt vmcnt(1)
	v_lshlrev_b32_e32 v34, 16, v34
	s_waitcnt vmcnt(0)
	v_lshlrev_b32_e32 v35, 16, v35
	v_cmp_eq_f32_e32 vcc, v35, v34
	s_and_saveexec_b64 s[38:39], vcc
	s_cbranch_execz .LBB1231_94
; %bb.88:
	s_add_u32 s40, s26, -1
	v_lshl_add_u64 v[32:33], v[32:33], 0, 2
	v_lshl_add_u64 v[34:35], v[30:31], 0, 2
	s_addc_u32 s41, s27, -1
	s_mov_b64 s[42:43], 0
	s_mov_b64 s[46:47], 0
                                        ; implicit-def: $sgpr44_sgpr45
	s_branch .LBB1231_91
.LBB1231_89:                            ;   in Loop: Header=BB1231_91 Depth=1
	global_load_ushort v36, v[32:33], off
	global_load_ushort v37, v[34:35], off
	s_add_u32 s46, s46, 1
	s_addc_u32 s47, s47, 0
	s_andn2_b64 s[44:45], s[44:45], exec
	v_lshl_add_u64 v[32:33], v[32:33], 0, 2
	v_lshl_add_u64 v[34:35], v[34:35], 0, 2
	s_waitcnt vmcnt(1)
	v_lshlrev_b32_e32 v36, 16, v36
	s_waitcnt vmcnt(0)
	v_lshlrev_b32_e32 v37, 16, v37
	v_cmp_neq_f32_e32 vcc, v37, v36
	s_and_b64 s[48:49], vcc, exec
	s_or_b64 s[44:45], s[44:45], s[48:49]
.LBB1231_90:                            ;   in Loop: Header=BB1231_91 Depth=1
	s_and_b64 s[48:49], exec, s[44:45]
	s_or_b64 s[42:43], s[48:49], s[42:43]
	v_mov_b64_e32 v[36:37], s[46:47]
	s_andn2_b64 exec, exec, s[42:43]
	s_cbranch_execz .LBB1231_93
.LBB1231_91:                            ; =>This Inner Loop Header: Depth=1
	s_or_b64 s[44:45], s[44:45], exec
	s_cmp_eq_u64 s[40:41], s[46:47]
	s_cbranch_scc0 .LBB1231_89
; %bb.92:                               ;   in Loop: Header=BB1231_91 Depth=1
                                        ; implicit-def: $vgpr32_vgpr33
                                        ; implicit-def: $vgpr34_vgpr35
	s_mov_b64 s[46:47], s[26:27]
	s_branch .LBB1231_90
.LBB1231_93:
	s_or_b64 exec, exec, s[42:43]
	v_cmp_gt_i64_e32 vcc, s[26:27], v[36:37]
	s_orn2_b64 s[40:41], vcc, exec
.LBB1231_94:
	s_or_b64 exec, exec, s[38:39]
.LBB1231_95:
	v_cmp_ne_u32_e32 vcc, 0, v0
	s_waitcnt lgkmcnt(0)
	v_mov_b64_e32 v[32:33], s[6:7]
	s_barrier
	s_and_saveexec_b64 s[38:39], vcc
	s_cbranch_execz .LBB1231_97
; %bb.96:
	v_add_u32_e32 v32, -8, v45
	ds_read_b64 v[32:33], v32
.LBB1231_97:
	s_or_b64 exec, exec, s[38:39]
	v_cndmask_b32_e64 v35, 0, 1, s[36:37]
	v_cndmask_b32_e64 v34, 0, 1, s[18:19]
	;; [unrolled: 1-line block ×3, first 2 shown]
	v_lshlrev_b16_e32 v35, 8, v35
	v_lshlrev_b16_e32 v36, 8, v36
	v_or_b32_sdwa v37, v34, v35 dst_sel:WORD_1 dst_unused:UNUSED_PAD src0_sel:DWORD src1_sel:DWORD
	s_mov_b64 s[36:37], 0
	s_and_b64 vcc, exec, s[4:5]
	s_mov_b64 s[18:19], 0
	s_cbranch_vccnz .LBB1231_106
; %bb.98:
	s_waitcnt lgkmcnt(0)
	v_mul_lo_u32 v34, v33, s26
	v_mul_lo_u32 v35, v32, s27
	v_mad_u64_u32 v[32:33], s[18:19], v32, s26, 0
	v_add3_u32 v33, v33, v35, v34
	v_lshl_add_u64 v[32:33], v[32:33], 1, s[28:29]
	global_load_ushort v34, v[32:33], off
	global_load_ushort v35, v[30:31], off
	s_mov_b64 s[18:19], -1
	s_waitcnt vmcnt(1)
	v_lshlrev_b32_e32 v34, 16, v34
	s_waitcnt vmcnt(0)
	v_lshlrev_b32_e32 v35, 16, v35
	v_cmp_eq_f32_e32 vcc, v34, v35
	s_and_saveexec_b64 s[38:39], vcc
	s_cbranch_execz .LBB1231_105
; %bb.99:
	s_add_u32 s18, s26, -1
	v_lshl_add_u64 v[30:31], v[30:31], 0, 2
	v_lshl_add_u64 v[32:33], v[32:33], 0, 2
	s_addc_u32 s19, s27, -1
	s_mov_b64 s[40:41], 0
	s_mov_b64 s[44:45], 0
                                        ; implicit-def: $sgpr42_sgpr43
	s_branch .LBB1231_102
.LBB1231_100:                           ;   in Loop: Header=BB1231_102 Depth=1
	global_load_ushort v34, v[30:31], off
	global_load_ushort v35, v[32:33], off
	s_add_u32 s44, s44, 1
	s_addc_u32 s45, s45, 0
	s_andn2_b64 s[42:43], s[42:43], exec
	v_lshl_add_u64 v[30:31], v[30:31], 0, 2
	v_lshl_add_u64 v[32:33], v[32:33], 0, 2
	s_waitcnt vmcnt(1)
	v_lshlrev_b32_e32 v34, 16, v34
	s_waitcnt vmcnt(0)
	v_lshlrev_b32_e32 v35, 16, v35
	v_cmp_neq_f32_e32 vcc, v35, v34
	s_and_b64 s[46:47], vcc, exec
	s_or_b64 s[42:43], s[42:43], s[46:47]
.LBB1231_101:                           ;   in Loop: Header=BB1231_102 Depth=1
	s_and_b64 s[46:47], exec, s[42:43]
	s_or_b64 s[40:41], s[46:47], s[40:41]
	v_mov_b64_e32 v[34:35], s[44:45]
	s_andn2_b64 exec, exec, s[40:41]
	s_cbranch_execz .LBB1231_104
.LBB1231_102:                           ; =>This Inner Loop Header: Depth=1
	s_or_b64 s[42:43], s[42:43], exec
	s_cmp_eq_u64 s[18:19], s[44:45]
	s_cbranch_scc0 .LBB1231_100
; %bb.103:                              ;   in Loop: Header=BB1231_102 Depth=1
                                        ; implicit-def: $vgpr30_vgpr31
                                        ; implicit-def: $vgpr32_vgpr33
	s_mov_b64 s[44:45], s[26:27]
	s_branch .LBB1231_101
.LBB1231_104:
	s_or_b64 exec, exec, s[40:41]
	v_cmp_gt_i64_e32 vcc, s[26:27], v[34:35]
	s_orn2_b64 s[18:19], vcc, exec
.LBB1231_105:
	s_or_b64 exec, exec, s[38:39]
.LBB1231_106:
	v_cndmask_b32_e64 v46, 0, 1, s[12:13]
	v_cndmask_b32_e64 v47, 0, 1, s[14:15]
	;; [unrolled: 1-line block ×3, first 2 shown]
	v_or_b32_e32 v34, v36, v37
	s_and_b64 vcc, exec, s[36:37]
	s_cbranch_vccz .LBB1231_187
.LBB1231_107:
	v_cmp_gt_u32_e32 vcc, s3, v40
	s_mov_b64 s[12:13], 0
	s_mov_b64 s[10:11], 0
	s_and_saveexec_b64 s[14:15], vcc
	s_cbranch_execz .LBB1231_118
; %bb.108:
	s_and_b64 vcc, exec, s[4:5]
	s_mov_b64 s[18:19], 0
	s_cbranch_vccnz .LBB1231_117
; %bb.109:
	s_waitcnt lgkmcnt(0)
	v_mul_lo_u32 v32, v17, s26
	v_mul_lo_u32 v33, v16, s27
	v_mad_u64_u32 v[30:31], s[10:11], v16, s26, 0
	v_add3_u32 v31, v31, v33, v32
	v_mul_lo_u32 v32, v29, s26
	v_mul_lo_u32 v33, v28, s27
	v_mad_u64_u32 v[34:35], s[10:11], v28, s26, 0
	v_add3_u32 v35, v35, v33, v32
	v_lshl_add_u64 v[32:33], v[30:31], 1, s[28:29]
	v_lshl_add_u64 v[30:31], v[34:35], 1, s[28:29]
	global_load_ushort v34, v[30:31], off
	global_load_ushort v35, v[32:33], off
	s_mov_b64 s[18:19], -1
	s_waitcnt vmcnt(1)
	v_lshlrev_b32_e32 v34, 16, v34
	s_waitcnt vmcnt(0)
	v_lshlrev_b32_e32 v35, 16, v35
	v_cmp_eq_f32_e32 vcc, v35, v34
	s_and_saveexec_b64 s[10:11], vcc
	s_cbranch_execz .LBB1231_116
; %bb.110:
	s_add_u32 s18, s26, -1
	v_lshl_add_u64 v[30:31], v[30:31], 0, 2
	v_lshl_add_u64 v[32:33], v[32:33], 0, 2
	s_addc_u32 s19, s27, -1
	s_mov_b64 s[36:37], 0
	s_mov_b64 s[40:41], 0
                                        ; implicit-def: $sgpr38_sgpr39
	s_branch .LBB1231_113
.LBB1231_111:                           ;   in Loop: Header=BB1231_113 Depth=1
	global_load_ushort v34, v[30:31], off
	global_load_ushort v35, v[32:33], off
	s_add_u32 s40, s40, 1
	s_addc_u32 s41, s41, 0
	s_andn2_b64 s[38:39], s[38:39], exec
	v_lshl_add_u64 v[30:31], v[30:31], 0, 2
	v_lshl_add_u64 v[32:33], v[32:33], 0, 2
	s_waitcnt vmcnt(1)
	v_lshlrev_b32_e32 v34, 16, v34
	s_waitcnt vmcnt(0)
	v_lshlrev_b32_e32 v35, 16, v35
	v_cmp_neq_f32_e32 vcc, v35, v34
	s_and_b64 s[42:43], vcc, exec
	s_or_b64 s[38:39], s[38:39], s[42:43]
.LBB1231_112:                           ;   in Loop: Header=BB1231_113 Depth=1
	s_and_b64 s[42:43], exec, s[38:39]
	s_or_b64 s[36:37], s[42:43], s[36:37]
	v_mov_b64_e32 v[34:35], s[40:41]
	s_andn2_b64 exec, exec, s[36:37]
	s_cbranch_execz .LBB1231_115
.LBB1231_113:                           ; =>This Inner Loop Header: Depth=1
	s_or_b64 s[38:39], s[38:39], exec
	s_cmp_eq_u64 s[18:19], s[40:41]
	s_cbranch_scc0 .LBB1231_111
; %bb.114:                              ;   in Loop: Header=BB1231_113 Depth=1
                                        ; implicit-def: $vgpr30_vgpr31
                                        ; implicit-def: $vgpr32_vgpr33
	s_mov_b64 s[40:41], s[26:27]
	s_branch .LBB1231_112
.LBB1231_115:
	s_or_b64 exec, exec, s[36:37]
	v_cmp_gt_i64_e32 vcc, s[26:27], v[34:35]
	s_orn2_b64 s[18:19], vcc, exec
.LBB1231_116:
	s_or_b64 exec, exec, s[10:11]
.LBB1231_117:
	s_and_b64 s[10:11], s[18:19], exec
.LBB1231_118:
	s_or_b64 exec, exec, s[14:15]
	v_cmp_gt_u32_e32 vcc, s3, v43
	s_and_saveexec_b64 s[14:15], vcc
	s_cbranch_execz .LBB1231_129
; %bb.119:
	s_and_b64 vcc, exec, s[4:5]
	s_mov_b64 s[18:19], 0
	s_cbranch_vccnz .LBB1231_128
; %bb.120:
	s_waitcnt lgkmcnt(0)
	v_mul_lo_u32 v32, v15, s26
	v_mul_lo_u32 v33, v14, s27
	v_mad_u64_u32 v[30:31], s[12:13], v14, s26, 0
	v_add3_u32 v31, v31, v33, v32
	v_mul_lo_u32 v32, v17, s26
	v_mul_lo_u32 v33, v16, s27
	v_mad_u64_u32 v[34:35], s[12:13], v16, s26, 0
	v_add3_u32 v35, v35, v33, v32
	v_lshl_add_u64 v[32:33], v[30:31], 1, s[28:29]
	v_lshl_add_u64 v[30:31], v[34:35], 1, s[28:29]
	global_load_ushort v34, v[30:31], off
	global_load_ushort v35, v[32:33], off
	s_mov_b64 s[18:19], -1
	s_waitcnt vmcnt(1)
	v_lshlrev_b32_e32 v34, 16, v34
	s_waitcnt vmcnt(0)
	v_lshlrev_b32_e32 v35, 16, v35
	v_cmp_eq_f32_e32 vcc, v35, v34
	s_and_saveexec_b64 s[12:13], vcc
	s_cbranch_execz .LBB1231_127
; %bb.121:
	s_add_u32 s18, s26, -1
	v_lshl_add_u64 v[30:31], v[30:31], 0, 2
	v_lshl_add_u64 v[32:33], v[32:33], 0, 2
	s_addc_u32 s19, s27, -1
	s_mov_b64 s[36:37], 0
	s_mov_b64 s[40:41], 0
                                        ; implicit-def: $sgpr38_sgpr39
	s_branch .LBB1231_124
.LBB1231_122:                           ;   in Loop: Header=BB1231_124 Depth=1
	global_load_ushort v34, v[30:31], off
	global_load_ushort v35, v[32:33], off
	s_add_u32 s40, s40, 1
	s_addc_u32 s41, s41, 0
	s_andn2_b64 s[38:39], s[38:39], exec
	v_lshl_add_u64 v[30:31], v[30:31], 0, 2
	v_lshl_add_u64 v[32:33], v[32:33], 0, 2
	s_waitcnt vmcnt(1)
	v_lshlrev_b32_e32 v34, 16, v34
	s_waitcnt vmcnt(0)
	v_lshlrev_b32_e32 v35, 16, v35
	v_cmp_neq_f32_e32 vcc, v35, v34
	s_and_b64 s[42:43], vcc, exec
	s_or_b64 s[38:39], s[38:39], s[42:43]
.LBB1231_123:                           ;   in Loop: Header=BB1231_124 Depth=1
	s_and_b64 s[42:43], exec, s[38:39]
	s_or_b64 s[36:37], s[42:43], s[36:37]
	v_mov_b64_e32 v[34:35], s[40:41]
	s_andn2_b64 exec, exec, s[36:37]
	s_cbranch_execz .LBB1231_126
.LBB1231_124:                           ; =>This Inner Loop Header: Depth=1
	s_or_b64 s[38:39], s[38:39], exec
	s_cmp_eq_u64 s[18:19], s[40:41]
	s_cbranch_scc0 .LBB1231_122
; %bb.125:                              ;   in Loop: Header=BB1231_124 Depth=1
                                        ; implicit-def: $vgpr30_vgpr31
                                        ; implicit-def: $vgpr32_vgpr33
	s_mov_b64 s[40:41], s[26:27]
	s_branch .LBB1231_123
.LBB1231_126:
	s_or_b64 exec, exec, s[36:37]
	v_cmp_gt_i64_e32 vcc, s[26:27], v[34:35]
	s_orn2_b64 s[18:19], vcc, exec
.LBB1231_127:
	s_or_b64 exec, exec, s[12:13]
.LBB1231_128:
	s_and_b64 s[12:13], s[18:19], exec
.LBB1231_129:
	s_or_b64 exec, exec, s[14:15]
	v_cmp_gt_u32_e32 vcc, s3, v39
	s_mov_b64 s[18:19], 0
	s_mov_b64 s[14:15], 0
	s_and_saveexec_b64 s[36:37], vcc
	s_cbranch_execz .LBB1231_140
; %bb.130:
	s_and_b64 vcc, exec, s[4:5]
	s_mov_b64 s[38:39], 0
	s_cbranch_vccnz .LBB1231_139
; %bb.131:
	s_waitcnt lgkmcnt(0)
	v_mul_lo_u32 v32, v21, s26
	v_mul_lo_u32 v33, v20, s27
	v_mad_u64_u32 v[30:31], s[14:15], v20, s26, 0
	v_add3_u32 v31, v31, v33, v32
	v_mul_lo_u32 v32, v15, s26
	v_mul_lo_u32 v33, v14, s27
	v_mad_u64_u32 v[34:35], s[14:15], v14, s26, 0
	v_add3_u32 v35, v35, v33, v32
	v_lshl_add_u64 v[32:33], v[30:31], 1, s[28:29]
	v_lshl_add_u64 v[30:31], v[34:35], 1, s[28:29]
	global_load_ushort v34, v[30:31], off
	global_load_ushort v35, v[32:33], off
	s_mov_b64 s[38:39], -1
	s_waitcnt vmcnt(1)
	v_lshlrev_b32_e32 v34, 16, v34
	s_waitcnt vmcnt(0)
	v_lshlrev_b32_e32 v35, 16, v35
	v_cmp_eq_f32_e32 vcc, v35, v34
	s_and_saveexec_b64 s[14:15], vcc
	s_cbranch_execz .LBB1231_138
; %bb.132:
	s_add_u32 s38, s26, -1
	v_lshl_add_u64 v[30:31], v[30:31], 0, 2
	v_lshl_add_u64 v[32:33], v[32:33], 0, 2
	s_addc_u32 s39, s27, -1
	s_mov_b64 s[40:41], 0
	s_mov_b64 s[44:45], 0
                                        ; implicit-def: $sgpr42_sgpr43
	s_branch .LBB1231_135
.LBB1231_133:                           ;   in Loop: Header=BB1231_135 Depth=1
	global_load_ushort v34, v[30:31], off
	global_load_ushort v35, v[32:33], off
	s_add_u32 s44, s44, 1
	s_addc_u32 s45, s45, 0
	s_andn2_b64 s[42:43], s[42:43], exec
	v_lshl_add_u64 v[30:31], v[30:31], 0, 2
	v_lshl_add_u64 v[32:33], v[32:33], 0, 2
	s_waitcnt vmcnt(1)
	v_lshlrev_b32_e32 v34, 16, v34
	s_waitcnt vmcnt(0)
	v_lshlrev_b32_e32 v35, 16, v35
	v_cmp_neq_f32_e32 vcc, v35, v34
	s_and_b64 s[46:47], vcc, exec
	s_or_b64 s[42:43], s[42:43], s[46:47]
.LBB1231_134:                           ;   in Loop: Header=BB1231_135 Depth=1
	s_and_b64 s[46:47], exec, s[42:43]
	s_or_b64 s[40:41], s[46:47], s[40:41]
	v_mov_b64_e32 v[34:35], s[44:45]
	s_andn2_b64 exec, exec, s[40:41]
	s_cbranch_execz .LBB1231_137
.LBB1231_135:                           ; =>This Inner Loop Header: Depth=1
	s_or_b64 s[42:43], s[42:43], exec
	s_cmp_eq_u64 s[38:39], s[44:45]
	s_cbranch_scc0 .LBB1231_133
; %bb.136:                              ;   in Loop: Header=BB1231_135 Depth=1
                                        ; implicit-def: $vgpr30_vgpr31
                                        ; implicit-def: $vgpr32_vgpr33
	s_mov_b64 s[44:45], s[26:27]
	s_branch .LBB1231_134
.LBB1231_137:
	s_or_b64 exec, exec, s[40:41]
	v_cmp_gt_i64_e32 vcc, s[26:27], v[34:35]
	s_orn2_b64 s[38:39], vcc, exec
.LBB1231_138:
	s_or_b64 exec, exec, s[14:15]
.LBB1231_139:
	s_and_b64 s[14:15], s[38:39], exec
.LBB1231_140:
	s_or_b64 exec, exec, s[36:37]
	v_cmp_gt_u32_e32 vcc, s3, v42
	s_and_saveexec_b64 s[36:37], vcc
	s_cbranch_execz .LBB1231_151
; %bb.141:
	s_and_b64 vcc, exec, s[4:5]
	s_mov_b64 s[38:39], 0
	s_cbranch_vccnz .LBB1231_150
; %bb.142:
	s_waitcnt lgkmcnt(0)
	v_mul_lo_u32 v32, v19, s26
	v_mul_lo_u32 v33, v18, s27
	v_mad_u64_u32 v[30:31], s[18:19], v18, s26, 0
	v_add3_u32 v31, v31, v33, v32
	v_mul_lo_u32 v32, v21, s26
	v_mul_lo_u32 v33, v20, s27
	v_mad_u64_u32 v[34:35], s[18:19], v20, s26, 0
	v_add3_u32 v35, v35, v33, v32
	v_lshl_add_u64 v[32:33], v[30:31], 1, s[28:29]
	v_lshl_add_u64 v[30:31], v[34:35], 1, s[28:29]
	global_load_ushort v34, v[30:31], off
	global_load_ushort v35, v[32:33], off
	s_mov_b64 s[38:39], -1
	s_waitcnt vmcnt(1)
	v_lshlrev_b32_e32 v34, 16, v34
	s_waitcnt vmcnt(0)
	v_lshlrev_b32_e32 v35, 16, v35
	v_cmp_eq_f32_e32 vcc, v35, v34
	s_and_saveexec_b64 s[18:19], vcc
	s_cbranch_execz .LBB1231_149
; %bb.143:
	s_add_u32 s38, s26, -1
	v_lshl_add_u64 v[30:31], v[30:31], 0, 2
	v_lshl_add_u64 v[32:33], v[32:33], 0, 2
	s_addc_u32 s39, s27, -1
	s_mov_b64 s[40:41], 0
	s_mov_b64 s[44:45], 0
                                        ; implicit-def: $sgpr42_sgpr43
	s_branch .LBB1231_146
.LBB1231_144:                           ;   in Loop: Header=BB1231_146 Depth=1
	global_load_ushort v34, v[30:31], off
	global_load_ushort v35, v[32:33], off
	s_add_u32 s44, s44, 1
	s_addc_u32 s45, s45, 0
	s_andn2_b64 s[42:43], s[42:43], exec
	v_lshl_add_u64 v[30:31], v[30:31], 0, 2
	v_lshl_add_u64 v[32:33], v[32:33], 0, 2
	s_waitcnt vmcnt(1)
	v_lshlrev_b32_e32 v34, 16, v34
	s_waitcnt vmcnt(0)
	v_lshlrev_b32_e32 v35, 16, v35
	v_cmp_neq_f32_e32 vcc, v35, v34
	s_and_b64 s[46:47], vcc, exec
	s_or_b64 s[42:43], s[42:43], s[46:47]
.LBB1231_145:                           ;   in Loop: Header=BB1231_146 Depth=1
	s_and_b64 s[46:47], exec, s[42:43]
	s_or_b64 s[40:41], s[46:47], s[40:41]
	v_mov_b64_e32 v[34:35], s[44:45]
	s_andn2_b64 exec, exec, s[40:41]
	s_cbranch_execz .LBB1231_148
.LBB1231_146:                           ; =>This Inner Loop Header: Depth=1
	s_or_b64 s[42:43], s[42:43], exec
	s_cmp_eq_u64 s[38:39], s[44:45]
	s_cbranch_scc0 .LBB1231_144
; %bb.147:                              ;   in Loop: Header=BB1231_146 Depth=1
                                        ; implicit-def: $vgpr30_vgpr31
                                        ; implicit-def: $vgpr32_vgpr33
	s_mov_b64 s[44:45], s[26:27]
	s_branch .LBB1231_145
.LBB1231_148:
	s_or_b64 exec, exec, s[40:41]
	v_cmp_gt_i64_e32 vcc, s[26:27], v[34:35]
	s_orn2_b64 s[38:39], vcc, exec
.LBB1231_149:
	s_or_b64 exec, exec, s[18:19]
.LBB1231_150:
	s_and_b64 s[18:19], s[38:39], exec
.LBB1231_151:
	s_or_b64 exec, exec, s[36:37]
	v_cmp_gt_u32_e32 vcc, s3, v38
	s_mov_b64 s[36:37], 0
	s_mov_b64 s[38:39], 0
	s_and_saveexec_b64 s[40:41], vcc
	s_cbranch_execz .LBB1231_162
; %bb.152:
	s_and_b64 vcc, exec, s[4:5]
	s_mov_b64 s[42:43], 0
	s_cbranch_vccnz .LBB1231_161
; %bb.153:
	s_waitcnt lgkmcnt(0)
	v_mul_lo_u32 v32, v25, s26
	v_mul_lo_u32 v33, v24, s27
	v_mad_u64_u32 v[30:31], s[38:39], v24, s26, 0
	v_add3_u32 v31, v31, v33, v32
	v_mul_lo_u32 v32, v19, s26
	v_mul_lo_u32 v33, v18, s27
	v_mad_u64_u32 v[34:35], s[38:39], v18, s26, 0
	v_add3_u32 v35, v35, v33, v32
	v_lshl_add_u64 v[32:33], v[30:31], 1, s[28:29]
	v_lshl_add_u64 v[30:31], v[34:35], 1, s[28:29]
	global_load_ushort v34, v[30:31], off
	global_load_ushort v35, v[32:33], off
	s_mov_b64 s[42:43], -1
	s_waitcnt vmcnt(1)
	v_lshlrev_b32_e32 v34, 16, v34
	s_waitcnt vmcnt(0)
	v_lshlrev_b32_e32 v35, 16, v35
	v_cmp_eq_f32_e32 vcc, v35, v34
	s_and_saveexec_b64 s[38:39], vcc
	s_cbranch_execz .LBB1231_160
; %bb.154:
	s_add_u32 s42, s26, -1
	v_lshl_add_u64 v[30:31], v[30:31], 0, 2
	v_lshl_add_u64 v[32:33], v[32:33], 0, 2
	s_addc_u32 s43, s27, -1
	s_mov_b64 s[44:45], 0
	s_mov_b64 s[48:49], 0
                                        ; implicit-def: $sgpr46_sgpr47
	s_branch .LBB1231_157
.LBB1231_155:                           ;   in Loop: Header=BB1231_157 Depth=1
	global_load_ushort v34, v[30:31], off
	global_load_ushort v35, v[32:33], off
	s_add_u32 s48, s48, 1
	s_addc_u32 s49, s49, 0
	s_andn2_b64 s[46:47], s[46:47], exec
	v_lshl_add_u64 v[30:31], v[30:31], 0, 2
	v_lshl_add_u64 v[32:33], v[32:33], 0, 2
	s_waitcnt vmcnt(1)
	v_lshlrev_b32_e32 v34, 16, v34
	s_waitcnt vmcnt(0)
	v_lshlrev_b32_e32 v35, 16, v35
	v_cmp_neq_f32_e32 vcc, v35, v34
	s_and_b64 s[50:51], vcc, exec
	s_or_b64 s[46:47], s[46:47], s[50:51]
.LBB1231_156:                           ;   in Loop: Header=BB1231_157 Depth=1
	s_and_b64 s[50:51], exec, s[46:47]
	s_or_b64 s[44:45], s[50:51], s[44:45]
	v_mov_b64_e32 v[34:35], s[48:49]
	s_andn2_b64 exec, exec, s[44:45]
	s_cbranch_execz .LBB1231_159
.LBB1231_157:                           ; =>This Inner Loop Header: Depth=1
	s_or_b64 s[46:47], s[46:47], exec
	s_cmp_eq_u64 s[42:43], s[48:49]
	s_cbranch_scc0 .LBB1231_155
; %bb.158:                              ;   in Loop: Header=BB1231_157 Depth=1
                                        ; implicit-def: $vgpr30_vgpr31
                                        ; implicit-def: $vgpr32_vgpr33
	s_mov_b64 s[48:49], s[26:27]
	s_branch .LBB1231_156
.LBB1231_159:
	s_or_b64 exec, exec, s[44:45]
	v_cmp_gt_i64_e32 vcc, s[26:27], v[34:35]
	s_orn2_b64 s[42:43], vcc, exec
.LBB1231_160:
	s_or_b64 exec, exec, s[38:39]
.LBB1231_161:
	s_and_b64 s[38:39], s[42:43], exec
.LBB1231_162:
	s_or_b64 exec, exec, s[40:41]
	v_cmp_gt_u32_e32 vcc, s3, v41
	s_and_saveexec_b64 s[40:41], vcc
	s_cbranch_execz .LBB1231_173
; %bb.163:
	s_and_b64 vcc, exec, s[4:5]
	s_mov_b64 s[42:43], 0
	s_cbranch_vccnz .LBB1231_172
; %bb.164:
	s_waitcnt lgkmcnt(0)
	v_mul_lo_u32 v32, v23, s26
	v_mul_lo_u32 v33, v22, s27
	v_mad_u64_u32 v[30:31], s[36:37], v22, s26, 0
	v_add3_u32 v31, v31, v33, v32
	v_mul_lo_u32 v32, v25, s26
	v_mul_lo_u32 v33, v24, s27
	v_mad_u64_u32 v[34:35], s[36:37], v24, s26, 0
	v_add3_u32 v35, v35, v33, v32
	v_lshl_add_u64 v[32:33], v[30:31], 1, s[28:29]
	v_lshl_add_u64 v[30:31], v[34:35], 1, s[28:29]
	global_load_ushort v34, v[30:31], off
	global_load_ushort v35, v[32:33], off
	s_mov_b64 s[42:43], -1
	s_waitcnt vmcnt(1)
	v_lshlrev_b32_e32 v34, 16, v34
	s_waitcnt vmcnt(0)
	v_lshlrev_b32_e32 v35, 16, v35
	v_cmp_eq_f32_e32 vcc, v35, v34
	s_and_saveexec_b64 s[36:37], vcc
	s_cbranch_execz .LBB1231_171
; %bb.165:
	s_add_u32 s42, s26, -1
	v_lshl_add_u64 v[30:31], v[30:31], 0, 2
	v_lshl_add_u64 v[32:33], v[32:33], 0, 2
	s_addc_u32 s43, s27, -1
	s_mov_b64 s[44:45], 0
	s_mov_b64 s[48:49], 0
                                        ; implicit-def: $sgpr46_sgpr47
	s_branch .LBB1231_168
.LBB1231_166:                           ;   in Loop: Header=BB1231_168 Depth=1
	global_load_ushort v34, v[30:31], off
	global_load_ushort v35, v[32:33], off
	s_add_u32 s48, s48, 1
	s_addc_u32 s49, s49, 0
	s_andn2_b64 s[46:47], s[46:47], exec
	v_lshl_add_u64 v[30:31], v[30:31], 0, 2
	v_lshl_add_u64 v[32:33], v[32:33], 0, 2
	s_waitcnt vmcnt(1)
	v_lshlrev_b32_e32 v34, 16, v34
	s_waitcnt vmcnt(0)
	v_lshlrev_b32_e32 v35, 16, v35
	v_cmp_neq_f32_e32 vcc, v35, v34
	s_and_b64 s[50:51], vcc, exec
	s_or_b64 s[46:47], s[46:47], s[50:51]
.LBB1231_167:                           ;   in Loop: Header=BB1231_168 Depth=1
	s_and_b64 s[50:51], exec, s[46:47]
	s_or_b64 s[44:45], s[50:51], s[44:45]
	v_mov_b64_e32 v[34:35], s[48:49]
	s_andn2_b64 exec, exec, s[44:45]
	s_cbranch_execz .LBB1231_170
.LBB1231_168:                           ; =>This Inner Loop Header: Depth=1
	s_or_b64 s[46:47], s[46:47], exec
	s_cmp_eq_u64 s[42:43], s[48:49]
	s_cbranch_scc0 .LBB1231_166
; %bb.169:                              ;   in Loop: Header=BB1231_168 Depth=1
                                        ; implicit-def: $vgpr30_vgpr31
                                        ; implicit-def: $vgpr32_vgpr33
	s_mov_b64 s[48:49], s[26:27]
	s_branch .LBB1231_167
.LBB1231_170:
	s_or_b64 exec, exec, s[44:45]
	v_cmp_gt_i64_e32 vcc, s[26:27], v[34:35]
	s_orn2_b64 s[42:43], vcc, exec
.LBB1231_171:
	s_or_b64 exec, exec, s[36:37]
.LBB1231_172:
	s_and_b64 s[36:37], s[42:43], exec
.LBB1231_173:
	s_or_b64 exec, exec, s[40:41]
	v_cmp_ne_u32_e32 vcc, 0, v0
	s_waitcnt lgkmcnt(0)
	v_mov_b64_e32 v[30:31], s[6:7]
	s_barrier
	s_and_saveexec_b64 s[6:7], vcc
	s_cbranch_execz .LBB1231_175
; %bb.174:
	v_add_u32_e32 v30, -8, v45
	ds_read_b64 v[30:31], v30
.LBB1231_175:
	s_or_b64 exec, exec, s[6:7]
	v_cndmask_b32_e64 v33, 0, 1, s[18:19]
	v_cndmask_b32_e64 v32, 0, 1, s[38:39]
	;; [unrolled: 1-line block ×3, first 2 shown]
	v_lshlrev_b16_e32 v33, 8, v33
	v_cmp_gt_u32_e32 vcc, s3, v1
	v_lshlrev_b16_e32 v36, 8, v34
	v_or_b32_sdwa v37, v32, v33 dst_sel:WORD_1 dst_unused:UNUSED_PAD src0_sel:DWORD src1_sel:DWORD
	s_mov_b64 s[18:19], 0
	s_and_saveexec_b64 s[6:7], vcc
	s_cbranch_execz .LBB1231_186
; %bb.176:
	s_and_b64 vcc, exec, s[4:5]
	s_cbranch_vccnz .LBB1231_185
; %bb.177:
	s_waitcnt lgkmcnt(0)
	v_mul_lo_u32 v32, v31, s26
	v_mul_lo_u32 v33, v30, s27
	v_mad_u64_u32 v[30:31], s[4:5], v30, s26, 0
	v_add3_u32 v31, v31, v33, v32
	v_mul_lo_u32 v32, v23, s26
	v_mul_lo_u32 v33, v22, s27
	v_mad_u64_u32 v[34:35], s[4:5], v22, s26, 0
	v_add3_u32 v35, v35, v33, v32
	v_lshl_add_u64 v[32:33], v[30:31], 1, s[28:29]
	v_lshl_add_u64 v[30:31], v[34:35], 1, s[28:29]
	global_load_ushort v34, v[30:31], off
	global_load_ushort v35, v[32:33], off
	s_mov_b64 s[18:19], -1
	s_waitcnt vmcnt(1)
	v_lshlrev_b32_e32 v34, 16, v34
	s_waitcnt vmcnt(0)
	v_lshlrev_b32_e32 v35, 16, v35
	v_cmp_eq_f32_e32 vcc, v35, v34
	s_and_saveexec_b64 s[4:5], vcc
	s_cbranch_execz .LBB1231_184
; %bb.178:
	s_add_u32 s18, s26, -1
	v_lshl_add_u64 v[30:31], v[30:31], 0, 2
	v_lshl_add_u64 v[32:33], v[32:33], 0, 2
	s_addc_u32 s19, s27, -1
	s_mov_b64 s[36:37], 0
	s_mov_b64 s[40:41], 0
                                        ; implicit-def: $sgpr38_sgpr39
	s_branch .LBB1231_181
.LBB1231_179:                           ;   in Loop: Header=BB1231_181 Depth=1
	global_load_ushort v34, v[30:31], off
	global_load_ushort v35, v[32:33], off
	s_add_u32 s40, s40, 1
	s_addc_u32 s41, s41, 0
	s_andn2_b64 s[38:39], s[38:39], exec
	v_lshl_add_u64 v[30:31], v[30:31], 0, 2
	v_lshl_add_u64 v[32:33], v[32:33], 0, 2
	s_waitcnt vmcnt(1)
	v_lshlrev_b32_e32 v34, 16, v34
	s_waitcnt vmcnt(0)
	v_lshlrev_b32_e32 v35, 16, v35
	v_cmp_neq_f32_e32 vcc, v35, v34
	s_and_b64 s[42:43], vcc, exec
	s_or_b64 s[38:39], s[38:39], s[42:43]
.LBB1231_180:                           ;   in Loop: Header=BB1231_181 Depth=1
	s_and_b64 s[42:43], exec, s[38:39]
	s_or_b64 s[36:37], s[42:43], s[36:37]
	v_mov_b64_e32 v[34:35], s[40:41]
	s_andn2_b64 exec, exec, s[36:37]
	s_cbranch_execz .LBB1231_183
.LBB1231_181:                           ; =>This Inner Loop Header: Depth=1
	s_or_b64 s[38:39], s[38:39], exec
	s_cmp_eq_u64 s[18:19], s[40:41]
	s_cbranch_scc0 .LBB1231_179
; %bb.182:                              ;   in Loop: Header=BB1231_181 Depth=1
                                        ; implicit-def: $vgpr30_vgpr31
                                        ; implicit-def: $vgpr32_vgpr33
	s_mov_b64 s[40:41], s[26:27]
	s_branch .LBB1231_180
.LBB1231_183:
	s_or_b64 exec, exec, s[36:37]
	v_cmp_gt_i64_e32 vcc, s[26:27], v[34:35]
	s_orn2_b64 s[18:19], vcc, exec
.LBB1231_184:
	s_or_b64 exec, exec, s[4:5]
.LBB1231_185:
	s_and_b64 s[18:19], s[18:19], exec
.LBB1231_186:
	s_or_b64 exec, exec, s[6:7]
	v_cndmask_b32_e64 v46, 0, 1, s[14:15]
	v_cndmask_b32_e64 v47, 0, 1, s[12:13]
	;; [unrolled: 1-line block ×3, first 2 shown]
	v_or_b32_e32 v34, v36, v37
.LBB1231_187:
	s_mov_b64 s[10:11], -1
	s_cbranch_execnz .LBB1231_46
.LBB1231_188:
	s_movk_i32 s4, 0xffd0
	v_mad_i32_i24 v44, v0, s4, v44
	s_mov_b64 s[12:13], 0
	s_waitcnt lgkmcnt(0)
	v_cmp_gt_i64_e64 s[6:7], s[26:27], 0
	s_and_b64 vcc, exec, s[34:35]
	ds_write_b64 v44, v[28:29]
	s_cbranch_vccz .LBB1231_196
; %bb.189:
	v_mul_lo_u32 v32, v17, s26
	v_mul_lo_u32 v33, v16, s27
	v_mad_u64_u32 v[30:31], s[4:5], v16, s26, 0
	v_add3_u32 v31, v31, v33, v32
	v_cndmask_b32_e64 v32, 0, 1, s[6:7]
	v_cmp_ne_u32_e64 s[4:5], 1, v32
	s_andn2_b64 vcc, exec, s[6:7]
	v_lshl_add_u64 v[30:31], v[30:31], 1, s[28:29]
	s_cbranch_vccnz .LBB1231_199
; %bb.190:
	v_mul_lo_u32 v34, v29, s26
	v_mul_lo_u32 v35, v28, s27
	v_mad_u64_u32 v[32:33], s[12:13], v28, s26, 0
	v_add3_u32 v33, v33, v35, v34
	v_lshl_add_u64 v[32:33], v[32:33], 1, s[28:29]
	global_load_ushort v34, v[32:33], off
	global_load_ushort v35, v[30:31], off
	s_mov_b64 s[12:13], -1
	s_waitcnt vmcnt(1)
	v_lshlrev_b32_e32 v34, 16, v34
	s_waitcnt vmcnt(0)
	v_lshlrev_b32_e32 v35, 16, v35
	v_cmp_eq_f32_e32 vcc, v35, v34
	s_and_saveexec_b64 s[14:15], vcc
	s_cbranch_execz .LBB1231_198
; %bb.191:
	s_add_u32 s12, s26, -1
	v_lshl_add_u64 v[32:33], v[32:33], 0, 2
	v_lshl_add_u64 v[34:35], v[30:31], 0, 2
	s_addc_u32 s13, s27, -1
	s_mov_b64 s[18:19], 0
	s_mov_b64 s[38:39], 0
                                        ; implicit-def: $sgpr36_sgpr37
	s_branch .LBB1231_194
.LBB1231_192:                           ;   in Loop: Header=BB1231_194 Depth=1
	global_load_ushort v36, v[32:33], off
	global_load_ushort v37, v[34:35], off
	s_add_u32 s38, s38, 1
	s_addc_u32 s39, s39, 0
	s_andn2_b64 s[36:37], s[36:37], exec
	v_lshl_add_u64 v[32:33], v[32:33], 0, 2
	v_lshl_add_u64 v[34:35], v[34:35], 0, 2
	s_waitcnt vmcnt(1)
	v_lshlrev_b32_e32 v36, 16, v36
	s_waitcnt vmcnt(0)
	v_lshlrev_b32_e32 v37, 16, v37
	v_cmp_neq_f32_e32 vcc, v37, v36
	s_and_b64 s[40:41], vcc, exec
	s_or_b64 s[36:37], s[36:37], s[40:41]
.LBB1231_193:                           ;   in Loop: Header=BB1231_194 Depth=1
	s_and_b64 s[40:41], exec, s[36:37]
	s_or_b64 s[18:19], s[40:41], s[18:19]
	v_mov_b64_e32 v[36:37], s[38:39]
	s_andn2_b64 exec, exec, s[18:19]
	s_cbranch_execz .LBB1231_197
.LBB1231_194:                           ; =>This Inner Loop Header: Depth=1
	s_or_b64 s[36:37], s[36:37], exec
	s_cmp_eq_u64 s[12:13], s[38:39]
	s_cbranch_scc0 .LBB1231_192
; %bb.195:                              ;   in Loop: Header=BB1231_194 Depth=1
                                        ; implicit-def: $vgpr32_vgpr33
                                        ; implicit-def: $vgpr34_vgpr35
	s_mov_b64 s[38:39], s[26:27]
	s_branch .LBB1231_193
.LBB1231_196:
                                        ; implicit-def: $sgpr18_sgpr19
                                        ; implicit-def: $vgpr48
                                        ; implicit-def: $vgpr47
                                        ; implicit-def: $vgpr46
                                        ; implicit-def: $vgpr34
                                        ; implicit-def: $vgpr30_vgpr31
	s_cbranch_execnz .LBB1231_256
	s_branch .LBB1231_336
.LBB1231_197:
	s_or_b64 exec, exec, s[18:19]
	v_cmp_gt_i64_e32 vcc, s[26:27], v[36:37]
	s_orn2_b64 s[12:13], vcc, exec
.LBB1231_198:
	s_or_b64 exec, exec, s[14:15]
.LBB1231_199:
	v_mul_lo_u32 v34, v15, s26
	v_mul_lo_u32 v35, v14, s27
	v_mad_u64_u32 v[32:33], s[14:15], v14, s26, 0
	v_add3_u32 v33, v33, v35, v34
	s_mov_b64 s[14:15], 0
	s_and_b64 vcc, exec, s[4:5]
	v_lshl_add_u64 v[32:33], v[32:33], 1, s[28:29]
	s_mov_b64 s[18:19], 0
	s_cbranch_vccnz .LBB1231_208
; %bb.200:
	global_load_ushort v34, v[30:31], off
	global_load_ushort v35, v[32:33], off
	s_mov_b64 s[18:19], -1
	s_waitcnt vmcnt(1)
	v_lshlrev_b32_e32 v34, 16, v34
	s_waitcnt vmcnt(0)
	v_lshlrev_b32_e32 v35, 16, v35
	v_cmp_eq_f32_e32 vcc, v35, v34
	s_and_saveexec_b64 s[36:37], vcc
	s_cbranch_execz .LBB1231_207
; %bb.201:
	s_add_u32 s18, s26, -1
	v_lshl_add_u64 v[30:31], v[30:31], 0, 2
	v_lshl_add_u64 v[34:35], v[32:33], 0, 2
	s_addc_u32 s19, s27, -1
	s_mov_b64 s[38:39], 0
	s_mov_b64 s[42:43], 0
                                        ; implicit-def: $sgpr40_sgpr41
	s_branch .LBB1231_204
.LBB1231_202:                           ;   in Loop: Header=BB1231_204 Depth=1
	global_load_ushort v36, v[30:31], off
	global_load_ushort v37, v[34:35], off
	s_add_u32 s42, s42, 1
	s_addc_u32 s43, s43, 0
	s_andn2_b64 s[40:41], s[40:41], exec
	v_lshl_add_u64 v[30:31], v[30:31], 0, 2
	v_lshl_add_u64 v[34:35], v[34:35], 0, 2
	s_waitcnt vmcnt(1)
	v_lshlrev_b32_e32 v36, 16, v36
	s_waitcnt vmcnt(0)
	v_lshlrev_b32_e32 v37, 16, v37
	v_cmp_neq_f32_e32 vcc, v37, v36
	s_and_b64 s[44:45], vcc, exec
	s_or_b64 s[40:41], s[40:41], s[44:45]
.LBB1231_203:                           ;   in Loop: Header=BB1231_204 Depth=1
	s_and_b64 s[44:45], exec, s[40:41]
	s_or_b64 s[38:39], s[44:45], s[38:39]
	v_mov_b64_e32 v[36:37], s[42:43]
	s_andn2_b64 exec, exec, s[38:39]
	s_cbranch_execz .LBB1231_206
.LBB1231_204:                           ; =>This Inner Loop Header: Depth=1
	s_or_b64 s[40:41], s[40:41], exec
	s_cmp_eq_u64 s[18:19], s[42:43]
	s_cbranch_scc0 .LBB1231_202
; %bb.205:                              ;   in Loop: Header=BB1231_204 Depth=1
                                        ; implicit-def: $vgpr30_vgpr31
                                        ; implicit-def: $vgpr34_vgpr35
	s_mov_b64 s[42:43], s[26:27]
	s_branch .LBB1231_203
.LBB1231_206:
	s_or_b64 exec, exec, s[38:39]
	v_cmp_gt_i64_e32 vcc, s[26:27], v[36:37]
	s_orn2_b64 s[18:19], vcc, exec
.LBB1231_207:
	s_or_b64 exec, exec, s[36:37]
.LBB1231_208:
	v_mul_lo_u32 v34, v21, s26
	v_mul_lo_u32 v35, v20, s27
	v_mad_u64_u32 v[30:31], s[36:37], v20, s26, 0
	v_add3_u32 v31, v31, v35, v34
	s_and_b64 vcc, exec, s[4:5]
	v_lshl_add_u64 v[30:31], v[30:31], 1, s[28:29]
	s_cbranch_vccnz .LBB1231_217
; %bb.209:
	global_load_ushort v34, v[32:33], off
	global_load_ushort v35, v[30:31], off
	s_mov_b64 s[14:15], -1
	s_waitcnt vmcnt(1)
	v_lshlrev_b32_e32 v34, 16, v34
	s_waitcnt vmcnt(0)
	v_lshlrev_b32_e32 v35, 16, v35
	v_cmp_eq_f32_e32 vcc, v35, v34
	s_and_saveexec_b64 s[36:37], vcc
	s_cbranch_execz .LBB1231_216
; %bb.210:
	s_add_u32 s14, s26, -1
	v_lshl_add_u64 v[32:33], v[32:33], 0, 2
	v_lshl_add_u64 v[34:35], v[30:31], 0, 2
	s_addc_u32 s15, s27, -1
	s_mov_b64 s[38:39], 0
	s_mov_b64 s[42:43], 0
                                        ; implicit-def: $sgpr40_sgpr41
	s_branch .LBB1231_213
.LBB1231_211:                           ;   in Loop: Header=BB1231_213 Depth=1
	global_load_ushort v36, v[32:33], off
	global_load_ushort v37, v[34:35], off
	s_add_u32 s42, s42, 1
	s_addc_u32 s43, s43, 0
	s_andn2_b64 s[40:41], s[40:41], exec
	v_lshl_add_u64 v[32:33], v[32:33], 0, 2
	v_lshl_add_u64 v[34:35], v[34:35], 0, 2
	s_waitcnt vmcnt(1)
	v_lshlrev_b32_e32 v36, 16, v36
	s_waitcnt vmcnt(0)
	v_lshlrev_b32_e32 v37, 16, v37
	v_cmp_neq_f32_e32 vcc, v37, v36
	s_and_b64 s[44:45], vcc, exec
	s_or_b64 s[40:41], s[40:41], s[44:45]
.LBB1231_212:                           ;   in Loop: Header=BB1231_213 Depth=1
	s_and_b64 s[44:45], exec, s[40:41]
	s_or_b64 s[38:39], s[44:45], s[38:39]
	v_mov_b64_e32 v[36:37], s[42:43]
	s_andn2_b64 exec, exec, s[38:39]
	s_cbranch_execz .LBB1231_215
.LBB1231_213:                           ; =>This Inner Loop Header: Depth=1
	s_or_b64 s[40:41], s[40:41], exec
	s_cmp_eq_u64 s[14:15], s[42:43]
	s_cbranch_scc0 .LBB1231_211
; %bb.214:                              ;   in Loop: Header=BB1231_213 Depth=1
                                        ; implicit-def: $vgpr32_vgpr33
                                        ; implicit-def: $vgpr34_vgpr35
	s_mov_b64 s[42:43], s[26:27]
	s_branch .LBB1231_212
.LBB1231_215:
	s_or_b64 exec, exec, s[38:39]
	v_cmp_gt_i64_e32 vcc, s[26:27], v[36:37]
	s_orn2_b64 s[14:15], vcc, exec
.LBB1231_216:
	s_or_b64 exec, exec, s[36:37]
.LBB1231_217:
	v_mul_lo_u32 v34, v19, s26
	v_mul_lo_u32 v35, v18, s27
	v_mad_u64_u32 v[32:33], s[36:37], v18, s26, 0
	v_add3_u32 v33, v33, v35, v34
	s_mov_b64 s[36:37], 0
	s_and_b64 vcc, exec, s[4:5]
	v_lshl_add_u64 v[32:33], v[32:33], 1, s[28:29]
	s_mov_b64 s[38:39], 0
	s_cbranch_vccnz .LBB1231_226
; %bb.218:
	global_load_ushort v34, v[30:31], off
	global_load_ushort v35, v[32:33], off
	s_mov_b64 s[38:39], -1
	s_waitcnt vmcnt(1)
	v_lshlrev_b32_e32 v34, 16, v34
	s_waitcnt vmcnt(0)
	v_lshlrev_b32_e32 v35, 16, v35
	v_cmp_eq_f32_e32 vcc, v35, v34
	s_and_saveexec_b64 s[40:41], vcc
	s_cbranch_execz .LBB1231_225
; %bb.219:
	s_add_u32 s38, s26, -1
	v_lshl_add_u64 v[30:31], v[30:31], 0, 2
	v_lshl_add_u64 v[34:35], v[32:33], 0, 2
	s_addc_u32 s39, s27, -1
	s_mov_b64 s[42:43], 0
	s_mov_b64 s[46:47], 0
                                        ; implicit-def: $sgpr44_sgpr45
	s_branch .LBB1231_222
.LBB1231_220:                           ;   in Loop: Header=BB1231_222 Depth=1
	global_load_ushort v36, v[30:31], off
	global_load_ushort v37, v[34:35], off
	s_add_u32 s46, s46, 1
	s_addc_u32 s47, s47, 0
	s_andn2_b64 s[44:45], s[44:45], exec
	v_lshl_add_u64 v[30:31], v[30:31], 0, 2
	v_lshl_add_u64 v[34:35], v[34:35], 0, 2
	s_waitcnt vmcnt(1)
	v_lshlrev_b32_e32 v36, 16, v36
	s_waitcnt vmcnt(0)
	v_lshlrev_b32_e32 v37, 16, v37
	v_cmp_neq_f32_e32 vcc, v37, v36
	s_and_b64 s[48:49], vcc, exec
	s_or_b64 s[44:45], s[44:45], s[48:49]
.LBB1231_221:                           ;   in Loop: Header=BB1231_222 Depth=1
	s_and_b64 s[48:49], exec, s[44:45]
	s_or_b64 s[42:43], s[48:49], s[42:43]
	v_mov_b64_e32 v[36:37], s[46:47]
	s_andn2_b64 exec, exec, s[42:43]
	s_cbranch_execz .LBB1231_224
.LBB1231_222:                           ; =>This Inner Loop Header: Depth=1
	s_or_b64 s[44:45], s[44:45], exec
	s_cmp_eq_u64 s[38:39], s[46:47]
	s_cbranch_scc0 .LBB1231_220
; %bb.223:                              ;   in Loop: Header=BB1231_222 Depth=1
                                        ; implicit-def: $vgpr30_vgpr31
                                        ; implicit-def: $vgpr34_vgpr35
	s_mov_b64 s[46:47], s[26:27]
	s_branch .LBB1231_221
.LBB1231_224:
	s_or_b64 exec, exec, s[42:43]
	v_cmp_gt_i64_e32 vcc, s[26:27], v[36:37]
	s_orn2_b64 s[38:39], vcc, exec
.LBB1231_225:
	s_or_b64 exec, exec, s[40:41]
.LBB1231_226:
	v_mul_lo_u32 v34, v25, s26
	v_mul_lo_u32 v35, v24, s27
	v_mad_u64_u32 v[30:31], s[40:41], v24, s26, 0
	v_add3_u32 v31, v31, v35, v34
	s_and_b64 vcc, exec, s[4:5]
	v_lshl_add_u64 v[30:31], v[30:31], 1, s[28:29]
	s_cbranch_vccnz .LBB1231_235
; %bb.227:
	global_load_ushort v34, v[32:33], off
	global_load_ushort v35, v[30:31], off
	s_mov_b64 s[36:37], -1
	s_waitcnt vmcnt(1)
	v_lshlrev_b32_e32 v34, 16, v34
	s_waitcnt vmcnt(0)
	v_lshlrev_b32_e32 v35, 16, v35
	v_cmp_eq_f32_e32 vcc, v35, v34
	s_and_saveexec_b64 s[40:41], vcc
	s_cbranch_execz .LBB1231_234
; %bb.228:
	s_add_u32 s36, s26, -1
	v_lshl_add_u64 v[32:33], v[32:33], 0, 2
	v_lshl_add_u64 v[34:35], v[30:31], 0, 2
	s_addc_u32 s37, s27, -1
	s_mov_b64 s[42:43], 0
	s_mov_b64 s[46:47], 0
                                        ; implicit-def: $sgpr44_sgpr45
	s_branch .LBB1231_231
.LBB1231_229:                           ;   in Loop: Header=BB1231_231 Depth=1
	global_load_ushort v36, v[32:33], off
	global_load_ushort v37, v[34:35], off
	s_add_u32 s46, s46, 1
	s_addc_u32 s47, s47, 0
	s_andn2_b64 s[44:45], s[44:45], exec
	v_lshl_add_u64 v[32:33], v[32:33], 0, 2
	v_lshl_add_u64 v[34:35], v[34:35], 0, 2
	s_waitcnt vmcnt(1)
	v_lshlrev_b32_e32 v36, 16, v36
	s_waitcnt vmcnt(0)
	v_lshlrev_b32_e32 v37, 16, v37
	v_cmp_neq_f32_e32 vcc, v37, v36
	s_and_b64 s[48:49], vcc, exec
	s_or_b64 s[44:45], s[44:45], s[48:49]
.LBB1231_230:                           ;   in Loop: Header=BB1231_231 Depth=1
	s_and_b64 s[48:49], exec, s[44:45]
	s_or_b64 s[42:43], s[48:49], s[42:43]
	v_mov_b64_e32 v[36:37], s[46:47]
	s_andn2_b64 exec, exec, s[42:43]
	s_cbranch_execz .LBB1231_233
.LBB1231_231:                           ; =>This Inner Loop Header: Depth=1
	s_or_b64 s[44:45], s[44:45], exec
	s_cmp_eq_u64 s[36:37], s[46:47]
	s_cbranch_scc0 .LBB1231_229
; %bb.232:                              ;   in Loop: Header=BB1231_231 Depth=1
                                        ; implicit-def: $vgpr32_vgpr33
                                        ; implicit-def: $vgpr34_vgpr35
	s_mov_b64 s[46:47], s[26:27]
	s_branch .LBB1231_230
.LBB1231_233:
	s_or_b64 exec, exec, s[42:43]
	v_cmp_gt_i64_e32 vcc, s[26:27], v[36:37]
	s_orn2_b64 s[36:37], vcc, exec
.LBB1231_234:
	s_or_b64 exec, exec, s[40:41]
.LBB1231_235:
	v_mul_lo_u32 v34, v23, s26
	v_mul_lo_u32 v35, v22, s27
	v_mad_u64_u32 v[32:33], s[40:41], v22, s26, 0
	v_add3_u32 v33, v33, v35, v34
	s_and_b64 vcc, exec, s[4:5]
	s_mov_b64 s[42:43], 0
	s_cbranch_vccnz .LBB1231_244
; %bb.236:
	v_lshl_add_u64 v[34:35], v[32:33], 1, s[28:29]
	global_load_ushort v36, v[30:31], off
	global_load_ushort v37, v[34:35], off
	s_mov_b64 s[42:43], -1
	s_waitcnt vmcnt(1)
	v_lshlrev_b32_e32 v36, 16, v36
	s_waitcnt vmcnt(0)
	v_lshlrev_b32_e32 v37, 16, v37
	v_cmp_eq_f32_e32 vcc, v37, v36
	s_and_saveexec_b64 s[40:41], vcc
	s_cbranch_execz .LBB1231_243
; %bb.237:
	s_add_u32 s42, s26, -1
	v_lshl_add_u64 v[30:31], v[30:31], 0, 2
	v_lshl_add_u64 v[34:35], v[34:35], 0, 2
	s_addc_u32 s43, s27, -1
	s_mov_b64 s[44:45], 0
	s_mov_b64 s[48:49], 0
                                        ; implicit-def: $sgpr46_sgpr47
	s_branch .LBB1231_240
.LBB1231_238:                           ;   in Loop: Header=BB1231_240 Depth=1
	global_load_ushort v36, v[30:31], off
	global_load_ushort v37, v[34:35], off
	s_add_u32 s48, s48, 1
	s_addc_u32 s49, s49, 0
	s_andn2_b64 s[46:47], s[46:47], exec
	v_lshl_add_u64 v[30:31], v[30:31], 0, 2
	v_lshl_add_u64 v[34:35], v[34:35], 0, 2
	s_waitcnt vmcnt(1)
	v_lshlrev_b32_e32 v36, 16, v36
	s_waitcnt vmcnt(0)
	v_lshlrev_b32_e32 v37, 16, v37
	v_cmp_neq_f32_e32 vcc, v37, v36
	s_and_b64 s[50:51], vcc, exec
	s_or_b64 s[46:47], s[46:47], s[50:51]
.LBB1231_239:                           ;   in Loop: Header=BB1231_240 Depth=1
	s_and_b64 s[50:51], exec, s[46:47]
	s_or_b64 s[44:45], s[50:51], s[44:45]
	v_mov_b64_e32 v[36:37], s[48:49]
	s_andn2_b64 exec, exec, s[44:45]
	s_cbranch_execz .LBB1231_242
.LBB1231_240:                           ; =>This Inner Loop Header: Depth=1
	s_or_b64 s[46:47], s[46:47], exec
	s_cmp_eq_u64 s[42:43], s[48:49]
	s_cbranch_scc0 .LBB1231_238
; %bb.241:                              ;   in Loop: Header=BB1231_240 Depth=1
                                        ; implicit-def: $vgpr30_vgpr31
                                        ; implicit-def: $vgpr34_vgpr35
	s_mov_b64 s[48:49], s[26:27]
	s_branch .LBB1231_239
.LBB1231_242:
	s_or_b64 exec, exec, s[44:45]
	v_cmp_gt_i64_e32 vcc, s[26:27], v[36:37]
	s_orn2_b64 s[42:43], vcc, exec
.LBB1231_243:
	s_or_b64 exec, exec, s[40:41]
.LBB1231_244:
	v_cndmask_b32_e64 v31, 0, 1, s[38:39]
	v_cndmask_b32_e64 v30, 0, 1, s[36:37]
	;; [unrolled: 1-line block ×3, first 2 shown]
	v_lshlrev_b16_e32 v31, 8, v31
	v_cndmask_b32_e64 v46, 0, 1, s[14:15]
	v_cndmask_b32_e64 v34, 0, 1, s[42:43]
	v_or_b32_sdwa v30, v30, v31 dst_sel:WORD_1 dst_unused:UNUSED_PAD src0_sel:DWORD src1_sel:DWORD
	v_lshlrev_b16_e32 v31, 8, v47
	v_lshlrev_b16_e32 v34, 8, v34
	v_or_b32_e32 v31, v46, v31
	v_or_b32_e32 v34, 1, v34
	v_and_b32_e32 v31, 0xffff, v31
	v_cndmask_b32_e64 v48, 0, 1, s[12:13]
	v_or_b32_sdwa v30, v34, v30 dst_sel:DWORD dst_unused:UNUSED_PAD src0_sel:WORD_0 src1_sel:DWORD
	v_lshl_or_b32 v31, v48, 16, v31
	v_cmp_ne_u32_e32 vcc, 0, v0
	s_waitcnt lgkmcnt(0)
	s_barrier
	s_waitcnt lgkmcnt(0)
                                        ; implicit-def: $sgpr18_sgpr19
                                        ; implicit-def: $vgpr34
	s_and_saveexec_b64 s[12:13], vcc
	s_xor_b64 s[12:13], exec, s[12:13]
	s_cbranch_execz .LBB1231_255
; %bb.245:
	s_mov_b32 s33, 0x3020104
	s_and_b64 vcc, exec, s[4:5]
	s_mov_b64 s[14:15], 0
	s_cbranch_vccnz .LBB1231_254
; %bb.246:
	v_add_u32_e32 v31, -8, v44
	ds_read_b64 v[34:35], v31
	v_lshl_add_u64 v[32:33], v[32:33], 1, s[28:29]
	s_mov_b64 s[14:15], -1
	s_waitcnt lgkmcnt(0)
	v_mul_lo_u32 v31, v35, s26
	v_mul_lo_u32 v36, v34, s27
	v_mad_u64_u32 v[34:35], s[4:5], v34, s26, 0
	v_add3_u32 v35, v35, v36, v31
	v_lshl_add_u64 v[34:35], v[34:35], 1, s[28:29]
	global_load_ushort v31, v[34:35], off
	global_load_ushort v36, v[32:33], off
	s_waitcnt vmcnt(1)
	v_lshlrev_b32_e32 v31, 16, v31
	s_waitcnt vmcnt(0)
	v_lshlrev_b32_e32 v36, 16, v36
	v_cmp_eq_f32_e32 vcc, v31, v36
	s_and_saveexec_b64 s[4:5], vcc
	s_cbranch_execz .LBB1231_253
; %bb.247:
	s_add_u32 s14, s26, -1
	v_lshl_add_u64 v[32:33], v[32:33], 0, 2
	v_lshl_add_u64 v[34:35], v[34:35], 0, 2
	s_addc_u32 s15, s27, -1
	s_mov_b64 s[18:19], 0
	s_mov_b64 s[38:39], 0
                                        ; implicit-def: $sgpr36_sgpr37
	s_branch .LBB1231_250
.LBB1231_248:                           ;   in Loop: Header=BB1231_250 Depth=1
	global_load_ushort v31, v[32:33], off
	global_load_ushort v36, v[34:35], off
	s_add_u32 s38, s38, 1
	s_addc_u32 s39, s39, 0
	s_andn2_b64 s[36:37], s[36:37], exec
	v_lshl_add_u64 v[32:33], v[32:33], 0, 2
	v_lshl_add_u64 v[34:35], v[34:35], 0, 2
	s_waitcnt vmcnt(1)
	v_lshlrev_b32_e32 v31, 16, v31
	s_waitcnt vmcnt(0)
	v_lshlrev_b32_e32 v36, 16, v36
	v_cmp_neq_f32_e32 vcc, v36, v31
	s_and_b64 s[40:41], vcc, exec
	s_or_b64 s[36:37], s[36:37], s[40:41]
.LBB1231_249:                           ;   in Loop: Header=BB1231_250 Depth=1
	s_and_b64 s[40:41], exec, s[36:37]
	s_or_b64 s[18:19], s[40:41], s[18:19]
	v_mov_b64_e32 v[36:37], s[38:39]
	s_andn2_b64 exec, exec, s[18:19]
	s_cbranch_execz .LBB1231_252
.LBB1231_250:                           ; =>This Inner Loop Header: Depth=1
	s_or_b64 s[36:37], s[36:37], exec
	s_cmp_eq_u64 s[14:15], s[38:39]
	s_cbranch_scc0 .LBB1231_248
; %bb.251:                              ;   in Loop: Header=BB1231_250 Depth=1
                                        ; implicit-def: $vgpr32_vgpr33
                                        ; implicit-def: $vgpr34_vgpr35
	s_mov_b64 s[38:39], s[26:27]
	s_branch .LBB1231_249
.LBB1231_252:
	s_or_b64 exec, exec, s[18:19]
	v_cmp_gt_i64_e32 vcc, s[26:27], v[36:37]
	s_orn2_b64 s[14:15], vcc, exec
.LBB1231_253:
	s_or_b64 exec, exec, s[4:5]
.LBB1231_254:
	v_perm_b32 v34, v30, v30, s33
	s_and_b64 s[18:19], s[14:15], exec
	s_or_b64 s[10:11], s[10:11], exec
                                        ; implicit-def: $vgpr30_vgpr31
.LBB1231_255:
	s_or_b64 exec, exec, s[12:13]
	s_branch .LBB1231_336
.LBB1231_256:
	v_cmp_gt_u32_e32 vcc, s3, v40
	s_mov_b64 s[12:13], 0
	s_mov_b64 s[4:5], 0
	s_and_saveexec_b64 s[14:15], vcc
	s_cbranch_execz .LBB1231_267
; %bb.257:
	s_andn2_b64 vcc, exec, s[6:7]
	s_mov_b64 s[18:19], 0
	s_cbranch_vccnz .LBB1231_266
; %bb.258:
	v_mul_lo_u32 v32, v17, s26
	v_mul_lo_u32 v33, v16, s27
	v_mad_u64_u32 v[30:31], s[4:5], v16, s26, 0
	v_add3_u32 v31, v31, v33, v32
	v_mul_lo_u32 v32, v29, s26
	v_mul_lo_u32 v33, v28, s27
	v_mad_u64_u32 v[34:35], s[4:5], v28, s26, 0
	v_add3_u32 v35, v35, v33, v32
	v_lshl_add_u64 v[32:33], v[30:31], 1, s[28:29]
	v_lshl_add_u64 v[30:31], v[34:35], 1, s[28:29]
	global_load_ushort v34, v[30:31], off
	global_load_ushort v35, v[32:33], off
	s_mov_b64 s[18:19], -1
	s_waitcnt vmcnt(1)
	v_lshlrev_b32_e32 v34, 16, v34
	s_waitcnt vmcnt(0)
	v_lshlrev_b32_e32 v35, 16, v35
	v_cmp_eq_f32_e32 vcc, v35, v34
	s_and_saveexec_b64 s[4:5], vcc
	s_cbranch_execz .LBB1231_265
; %bb.259:
	s_add_u32 s18, s26, -1
	v_lshl_add_u64 v[30:31], v[30:31], 0, 2
	v_lshl_add_u64 v[32:33], v[32:33], 0, 2
	s_addc_u32 s19, s27, -1
	s_mov_b64 s[36:37], 0
	s_mov_b64 s[40:41], 0
                                        ; implicit-def: $sgpr38_sgpr39
	s_branch .LBB1231_262
.LBB1231_260:                           ;   in Loop: Header=BB1231_262 Depth=1
	global_load_ushort v34, v[30:31], off
	global_load_ushort v35, v[32:33], off
	s_add_u32 s40, s40, 1
	s_addc_u32 s41, s41, 0
	s_andn2_b64 s[38:39], s[38:39], exec
	v_lshl_add_u64 v[30:31], v[30:31], 0, 2
	v_lshl_add_u64 v[32:33], v[32:33], 0, 2
	s_waitcnt vmcnt(1)
	v_lshlrev_b32_e32 v34, 16, v34
	s_waitcnt vmcnt(0)
	v_lshlrev_b32_e32 v35, 16, v35
	v_cmp_neq_f32_e32 vcc, v35, v34
	s_and_b64 s[42:43], vcc, exec
	s_or_b64 s[38:39], s[38:39], s[42:43]
.LBB1231_261:                           ;   in Loop: Header=BB1231_262 Depth=1
	s_and_b64 s[42:43], exec, s[38:39]
	s_or_b64 s[36:37], s[42:43], s[36:37]
	v_mov_b64_e32 v[34:35], s[40:41]
	s_andn2_b64 exec, exec, s[36:37]
	s_cbranch_execz .LBB1231_264
.LBB1231_262:                           ; =>This Inner Loop Header: Depth=1
	s_or_b64 s[38:39], s[38:39], exec
	s_cmp_eq_u64 s[18:19], s[40:41]
	s_cbranch_scc0 .LBB1231_260
; %bb.263:                              ;   in Loop: Header=BB1231_262 Depth=1
                                        ; implicit-def: $vgpr30_vgpr31
                                        ; implicit-def: $vgpr32_vgpr33
	s_mov_b64 s[40:41], s[26:27]
	s_branch .LBB1231_261
.LBB1231_264:
	s_or_b64 exec, exec, s[36:37]
	v_cmp_gt_i64_e32 vcc, s[26:27], v[34:35]
	s_orn2_b64 s[18:19], vcc, exec
.LBB1231_265:
	s_or_b64 exec, exec, s[4:5]
.LBB1231_266:
	s_and_b64 s[4:5], s[18:19], exec
.LBB1231_267:
	s_or_b64 exec, exec, s[14:15]
	v_cmp_gt_u32_e32 vcc, s3, v43
	s_and_saveexec_b64 s[14:15], vcc
	s_cbranch_execz .LBB1231_278
; %bb.268:
	s_andn2_b64 vcc, exec, s[6:7]
	s_mov_b64 s[18:19], 0
	s_cbranch_vccnz .LBB1231_277
; %bb.269:
	v_mul_lo_u32 v32, v15, s26
	v_mul_lo_u32 v33, v14, s27
	v_mad_u64_u32 v[30:31], s[12:13], v14, s26, 0
	v_add3_u32 v31, v31, v33, v32
	v_mul_lo_u32 v32, v17, s26
	v_mul_lo_u32 v33, v16, s27
	v_mad_u64_u32 v[34:35], s[12:13], v16, s26, 0
	v_add3_u32 v35, v35, v33, v32
	v_lshl_add_u64 v[32:33], v[30:31], 1, s[28:29]
	v_lshl_add_u64 v[30:31], v[34:35], 1, s[28:29]
	global_load_ushort v34, v[30:31], off
	global_load_ushort v35, v[32:33], off
	s_mov_b64 s[18:19], -1
	s_waitcnt vmcnt(1)
	v_lshlrev_b32_e32 v34, 16, v34
	s_waitcnt vmcnt(0)
	v_lshlrev_b32_e32 v35, 16, v35
	v_cmp_eq_f32_e32 vcc, v35, v34
	s_and_saveexec_b64 s[12:13], vcc
	s_cbranch_execz .LBB1231_276
; %bb.270:
	s_add_u32 s18, s26, -1
	v_lshl_add_u64 v[30:31], v[30:31], 0, 2
	v_lshl_add_u64 v[32:33], v[32:33], 0, 2
	s_addc_u32 s19, s27, -1
	s_mov_b64 s[36:37], 0
	s_mov_b64 s[40:41], 0
                                        ; implicit-def: $sgpr38_sgpr39
	s_branch .LBB1231_273
.LBB1231_271:                           ;   in Loop: Header=BB1231_273 Depth=1
	global_load_ushort v34, v[30:31], off
	global_load_ushort v35, v[32:33], off
	s_add_u32 s40, s40, 1
	s_addc_u32 s41, s41, 0
	s_andn2_b64 s[38:39], s[38:39], exec
	v_lshl_add_u64 v[30:31], v[30:31], 0, 2
	v_lshl_add_u64 v[32:33], v[32:33], 0, 2
	s_waitcnt vmcnt(1)
	v_lshlrev_b32_e32 v34, 16, v34
	s_waitcnt vmcnt(0)
	v_lshlrev_b32_e32 v35, 16, v35
	v_cmp_neq_f32_e32 vcc, v35, v34
	s_and_b64 s[42:43], vcc, exec
	s_or_b64 s[38:39], s[38:39], s[42:43]
.LBB1231_272:                           ;   in Loop: Header=BB1231_273 Depth=1
	s_and_b64 s[42:43], exec, s[38:39]
	s_or_b64 s[36:37], s[42:43], s[36:37]
	v_mov_b64_e32 v[34:35], s[40:41]
	s_andn2_b64 exec, exec, s[36:37]
	s_cbranch_execz .LBB1231_275
.LBB1231_273:                           ; =>This Inner Loop Header: Depth=1
	s_or_b64 s[38:39], s[38:39], exec
	s_cmp_eq_u64 s[18:19], s[40:41]
	s_cbranch_scc0 .LBB1231_271
; %bb.274:                              ;   in Loop: Header=BB1231_273 Depth=1
                                        ; implicit-def: $vgpr30_vgpr31
                                        ; implicit-def: $vgpr32_vgpr33
	s_mov_b64 s[40:41], s[26:27]
	s_branch .LBB1231_272
.LBB1231_275:
	s_or_b64 exec, exec, s[36:37]
	v_cmp_gt_i64_e32 vcc, s[26:27], v[34:35]
	s_orn2_b64 s[18:19], vcc, exec
.LBB1231_276:
	s_or_b64 exec, exec, s[12:13]
.LBB1231_277:
	s_and_b64 s[12:13], s[18:19], exec
.LBB1231_278:
	s_or_b64 exec, exec, s[14:15]
	v_cmp_gt_u32_e32 vcc, s3, v39
	s_mov_b64 s[18:19], 0
	s_mov_b64 s[14:15], 0
	s_and_saveexec_b64 s[36:37], vcc
	s_cbranch_execz .LBB1231_289
; %bb.279:
	s_andn2_b64 vcc, exec, s[6:7]
	s_mov_b64 s[38:39], 0
	s_cbranch_vccnz .LBB1231_288
; %bb.280:
	v_mul_lo_u32 v32, v21, s26
	v_mul_lo_u32 v33, v20, s27
	v_mad_u64_u32 v[30:31], s[14:15], v20, s26, 0
	v_add3_u32 v31, v31, v33, v32
	v_mul_lo_u32 v32, v15, s26
	v_mul_lo_u32 v33, v14, s27
	v_mad_u64_u32 v[34:35], s[14:15], v14, s26, 0
	v_add3_u32 v35, v35, v33, v32
	v_lshl_add_u64 v[32:33], v[30:31], 1, s[28:29]
	v_lshl_add_u64 v[30:31], v[34:35], 1, s[28:29]
	global_load_ushort v34, v[30:31], off
	global_load_ushort v35, v[32:33], off
	s_mov_b64 s[38:39], -1
	s_waitcnt vmcnt(1)
	v_lshlrev_b32_e32 v34, 16, v34
	s_waitcnt vmcnt(0)
	v_lshlrev_b32_e32 v35, 16, v35
	v_cmp_eq_f32_e32 vcc, v35, v34
	s_and_saveexec_b64 s[14:15], vcc
	s_cbranch_execz .LBB1231_287
; %bb.281:
	s_add_u32 s38, s26, -1
	v_lshl_add_u64 v[30:31], v[30:31], 0, 2
	v_lshl_add_u64 v[32:33], v[32:33], 0, 2
	s_addc_u32 s39, s27, -1
	s_mov_b64 s[40:41], 0
	s_mov_b64 s[44:45], 0
                                        ; implicit-def: $sgpr42_sgpr43
	s_branch .LBB1231_284
.LBB1231_282:                           ;   in Loop: Header=BB1231_284 Depth=1
	global_load_ushort v34, v[30:31], off
	global_load_ushort v35, v[32:33], off
	s_add_u32 s44, s44, 1
	s_addc_u32 s45, s45, 0
	s_andn2_b64 s[42:43], s[42:43], exec
	v_lshl_add_u64 v[30:31], v[30:31], 0, 2
	v_lshl_add_u64 v[32:33], v[32:33], 0, 2
	s_waitcnt vmcnt(1)
	v_lshlrev_b32_e32 v34, 16, v34
	s_waitcnt vmcnt(0)
	v_lshlrev_b32_e32 v35, 16, v35
	v_cmp_neq_f32_e32 vcc, v35, v34
	s_and_b64 s[46:47], vcc, exec
	s_or_b64 s[42:43], s[42:43], s[46:47]
.LBB1231_283:                           ;   in Loop: Header=BB1231_284 Depth=1
	s_and_b64 s[46:47], exec, s[42:43]
	s_or_b64 s[40:41], s[46:47], s[40:41]
	v_mov_b64_e32 v[34:35], s[44:45]
	s_andn2_b64 exec, exec, s[40:41]
	s_cbranch_execz .LBB1231_286
.LBB1231_284:                           ; =>This Inner Loop Header: Depth=1
	s_or_b64 s[42:43], s[42:43], exec
	s_cmp_eq_u64 s[38:39], s[44:45]
	s_cbranch_scc0 .LBB1231_282
; %bb.285:                              ;   in Loop: Header=BB1231_284 Depth=1
                                        ; implicit-def: $vgpr30_vgpr31
                                        ; implicit-def: $vgpr32_vgpr33
	s_mov_b64 s[44:45], s[26:27]
	s_branch .LBB1231_283
.LBB1231_286:
	s_or_b64 exec, exec, s[40:41]
	v_cmp_gt_i64_e32 vcc, s[26:27], v[34:35]
	s_orn2_b64 s[38:39], vcc, exec
.LBB1231_287:
	s_or_b64 exec, exec, s[14:15]
.LBB1231_288:
	s_and_b64 s[14:15], s[38:39], exec
.LBB1231_289:
	s_or_b64 exec, exec, s[36:37]
	v_cmp_gt_u32_e32 vcc, s3, v42
	s_and_saveexec_b64 s[36:37], vcc
	s_cbranch_execz .LBB1231_300
; %bb.290:
	s_andn2_b64 vcc, exec, s[6:7]
	s_mov_b64 s[38:39], 0
	s_cbranch_vccnz .LBB1231_299
; %bb.291:
	v_mul_lo_u32 v32, v19, s26
	v_mul_lo_u32 v33, v18, s27
	v_mad_u64_u32 v[30:31], s[18:19], v18, s26, 0
	v_add3_u32 v31, v31, v33, v32
	v_mul_lo_u32 v32, v21, s26
	v_mul_lo_u32 v33, v20, s27
	v_mad_u64_u32 v[34:35], s[18:19], v20, s26, 0
	v_add3_u32 v35, v35, v33, v32
	v_lshl_add_u64 v[32:33], v[30:31], 1, s[28:29]
	v_lshl_add_u64 v[30:31], v[34:35], 1, s[28:29]
	global_load_ushort v34, v[30:31], off
	global_load_ushort v35, v[32:33], off
	s_mov_b64 s[38:39], -1
	s_waitcnt vmcnt(1)
	v_lshlrev_b32_e32 v34, 16, v34
	s_waitcnt vmcnt(0)
	v_lshlrev_b32_e32 v35, 16, v35
	v_cmp_eq_f32_e32 vcc, v35, v34
	s_and_saveexec_b64 s[18:19], vcc
	s_cbranch_execz .LBB1231_298
; %bb.292:
	s_add_u32 s38, s26, -1
	v_lshl_add_u64 v[30:31], v[30:31], 0, 2
	v_lshl_add_u64 v[32:33], v[32:33], 0, 2
	s_addc_u32 s39, s27, -1
	s_mov_b64 s[40:41], 0
	s_mov_b64 s[44:45], 0
                                        ; implicit-def: $sgpr42_sgpr43
	s_branch .LBB1231_295
.LBB1231_293:                           ;   in Loop: Header=BB1231_295 Depth=1
	global_load_ushort v34, v[30:31], off
	global_load_ushort v35, v[32:33], off
	s_add_u32 s44, s44, 1
	s_addc_u32 s45, s45, 0
	s_andn2_b64 s[42:43], s[42:43], exec
	v_lshl_add_u64 v[30:31], v[30:31], 0, 2
	v_lshl_add_u64 v[32:33], v[32:33], 0, 2
	s_waitcnt vmcnt(1)
	v_lshlrev_b32_e32 v34, 16, v34
	s_waitcnt vmcnt(0)
	v_lshlrev_b32_e32 v35, 16, v35
	v_cmp_neq_f32_e32 vcc, v35, v34
	s_and_b64 s[46:47], vcc, exec
	s_or_b64 s[42:43], s[42:43], s[46:47]
.LBB1231_294:                           ;   in Loop: Header=BB1231_295 Depth=1
	s_and_b64 s[46:47], exec, s[42:43]
	s_or_b64 s[40:41], s[46:47], s[40:41]
	v_mov_b64_e32 v[34:35], s[44:45]
	s_andn2_b64 exec, exec, s[40:41]
	s_cbranch_execz .LBB1231_297
.LBB1231_295:                           ; =>This Inner Loop Header: Depth=1
	s_or_b64 s[42:43], s[42:43], exec
	s_cmp_eq_u64 s[38:39], s[44:45]
	s_cbranch_scc0 .LBB1231_293
; %bb.296:                              ;   in Loop: Header=BB1231_295 Depth=1
                                        ; implicit-def: $vgpr30_vgpr31
                                        ; implicit-def: $vgpr32_vgpr33
	s_mov_b64 s[44:45], s[26:27]
	s_branch .LBB1231_294
.LBB1231_297:
	s_or_b64 exec, exec, s[40:41]
	v_cmp_gt_i64_e32 vcc, s[26:27], v[34:35]
	s_orn2_b64 s[38:39], vcc, exec
.LBB1231_298:
	s_or_b64 exec, exec, s[18:19]
.LBB1231_299:
	s_and_b64 s[18:19], s[38:39], exec
.LBB1231_300:
	s_or_b64 exec, exec, s[36:37]
	v_cmp_gt_u32_e32 vcc, s3, v38
	s_mov_b64 s[36:37], 0
	s_mov_b64 s[38:39], 0
	s_and_saveexec_b64 s[40:41], vcc
	s_cbranch_execz .LBB1231_311
; %bb.301:
	s_andn2_b64 vcc, exec, s[6:7]
	s_mov_b64 s[42:43], 0
	s_cbranch_vccnz .LBB1231_310
; %bb.302:
	v_mul_lo_u32 v32, v25, s26
	v_mul_lo_u32 v33, v24, s27
	v_mad_u64_u32 v[30:31], s[38:39], v24, s26, 0
	v_add3_u32 v31, v31, v33, v32
	v_mul_lo_u32 v32, v19, s26
	v_mul_lo_u32 v33, v18, s27
	v_mad_u64_u32 v[34:35], s[38:39], v18, s26, 0
	v_add3_u32 v35, v35, v33, v32
	v_lshl_add_u64 v[32:33], v[30:31], 1, s[28:29]
	v_lshl_add_u64 v[30:31], v[34:35], 1, s[28:29]
	global_load_ushort v34, v[30:31], off
	global_load_ushort v35, v[32:33], off
	s_mov_b64 s[42:43], -1
	s_waitcnt vmcnt(1)
	v_lshlrev_b32_e32 v34, 16, v34
	s_waitcnt vmcnt(0)
	v_lshlrev_b32_e32 v35, 16, v35
	v_cmp_eq_f32_e32 vcc, v35, v34
	s_and_saveexec_b64 s[38:39], vcc
	s_cbranch_execz .LBB1231_309
; %bb.303:
	s_add_u32 s42, s26, -1
	v_lshl_add_u64 v[30:31], v[30:31], 0, 2
	v_lshl_add_u64 v[32:33], v[32:33], 0, 2
	s_addc_u32 s43, s27, -1
	s_mov_b64 s[44:45], 0
	s_mov_b64 s[48:49], 0
                                        ; implicit-def: $sgpr46_sgpr47
	s_branch .LBB1231_306
.LBB1231_304:                           ;   in Loop: Header=BB1231_306 Depth=1
	global_load_ushort v34, v[30:31], off
	global_load_ushort v35, v[32:33], off
	s_add_u32 s48, s48, 1
	s_addc_u32 s49, s49, 0
	s_andn2_b64 s[46:47], s[46:47], exec
	v_lshl_add_u64 v[30:31], v[30:31], 0, 2
	v_lshl_add_u64 v[32:33], v[32:33], 0, 2
	s_waitcnt vmcnt(1)
	v_lshlrev_b32_e32 v34, 16, v34
	s_waitcnt vmcnt(0)
	v_lshlrev_b32_e32 v35, 16, v35
	v_cmp_neq_f32_e32 vcc, v35, v34
	s_and_b64 s[50:51], vcc, exec
	s_or_b64 s[46:47], s[46:47], s[50:51]
.LBB1231_305:                           ;   in Loop: Header=BB1231_306 Depth=1
	s_and_b64 s[50:51], exec, s[46:47]
	s_or_b64 s[44:45], s[50:51], s[44:45]
	v_mov_b64_e32 v[34:35], s[48:49]
	s_andn2_b64 exec, exec, s[44:45]
	s_cbranch_execz .LBB1231_308
.LBB1231_306:                           ; =>This Inner Loop Header: Depth=1
	s_or_b64 s[46:47], s[46:47], exec
	s_cmp_eq_u64 s[42:43], s[48:49]
	s_cbranch_scc0 .LBB1231_304
; %bb.307:                              ;   in Loop: Header=BB1231_306 Depth=1
                                        ; implicit-def: $vgpr30_vgpr31
                                        ; implicit-def: $vgpr32_vgpr33
	s_mov_b64 s[48:49], s[26:27]
	s_branch .LBB1231_305
.LBB1231_308:
	s_or_b64 exec, exec, s[44:45]
	v_cmp_gt_i64_e32 vcc, s[26:27], v[34:35]
	s_orn2_b64 s[42:43], vcc, exec
.LBB1231_309:
	s_or_b64 exec, exec, s[38:39]
.LBB1231_310:
	s_and_b64 s[38:39], s[42:43], exec
.LBB1231_311:
	s_or_b64 exec, exec, s[40:41]
	v_cmp_gt_u32_e32 vcc, s3, v41
	s_and_saveexec_b64 s[40:41], vcc
	s_cbranch_execz .LBB1231_322
; %bb.312:
	s_andn2_b64 vcc, exec, s[6:7]
	s_mov_b64 s[42:43], 0
	s_cbranch_vccnz .LBB1231_321
; %bb.313:
	v_mul_lo_u32 v32, v23, s26
	v_mul_lo_u32 v33, v22, s27
	v_mad_u64_u32 v[30:31], s[36:37], v22, s26, 0
	v_add3_u32 v31, v31, v33, v32
	v_mul_lo_u32 v32, v25, s26
	v_mul_lo_u32 v33, v24, s27
	v_mad_u64_u32 v[34:35], s[36:37], v24, s26, 0
	v_add3_u32 v35, v35, v33, v32
	v_lshl_add_u64 v[32:33], v[30:31], 1, s[28:29]
	v_lshl_add_u64 v[30:31], v[34:35], 1, s[28:29]
	global_load_ushort v34, v[30:31], off
	global_load_ushort v35, v[32:33], off
	s_mov_b64 s[42:43], -1
	s_waitcnt vmcnt(1)
	v_lshlrev_b32_e32 v34, 16, v34
	s_waitcnt vmcnt(0)
	v_lshlrev_b32_e32 v35, 16, v35
	v_cmp_eq_f32_e32 vcc, v35, v34
	s_and_saveexec_b64 s[36:37], vcc
	s_cbranch_execz .LBB1231_320
; %bb.314:
	s_add_u32 s42, s26, -1
	v_lshl_add_u64 v[30:31], v[30:31], 0, 2
	v_lshl_add_u64 v[32:33], v[32:33], 0, 2
	s_addc_u32 s43, s27, -1
	s_mov_b64 s[44:45], 0
	s_mov_b64 s[48:49], 0
                                        ; implicit-def: $sgpr46_sgpr47
	s_branch .LBB1231_317
.LBB1231_315:                           ;   in Loop: Header=BB1231_317 Depth=1
	global_load_ushort v34, v[30:31], off
	global_load_ushort v35, v[32:33], off
	s_add_u32 s48, s48, 1
	s_addc_u32 s49, s49, 0
	s_andn2_b64 s[46:47], s[46:47], exec
	v_lshl_add_u64 v[30:31], v[30:31], 0, 2
	v_lshl_add_u64 v[32:33], v[32:33], 0, 2
	s_waitcnt vmcnt(1)
	v_lshlrev_b32_e32 v34, 16, v34
	s_waitcnt vmcnt(0)
	v_lshlrev_b32_e32 v35, 16, v35
	v_cmp_neq_f32_e32 vcc, v35, v34
	s_and_b64 s[50:51], vcc, exec
	s_or_b64 s[46:47], s[46:47], s[50:51]
.LBB1231_316:                           ;   in Loop: Header=BB1231_317 Depth=1
	s_and_b64 s[50:51], exec, s[46:47]
	s_or_b64 s[44:45], s[50:51], s[44:45]
	v_mov_b64_e32 v[34:35], s[48:49]
	s_andn2_b64 exec, exec, s[44:45]
	s_cbranch_execz .LBB1231_319
.LBB1231_317:                           ; =>This Inner Loop Header: Depth=1
	s_or_b64 s[46:47], s[46:47], exec
	s_cmp_eq_u64 s[42:43], s[48:49]
	s_cbranch_scc0 .LBB1231_315
; %bb.318:                              ;   in Loop: Header=BB1231_317 Depth=1
                                        ; implicit-def: $vgpr30_vgpr31
                                        ; implicit-def: $vgpr32_vgpr33
	s_mov_b64 s[48:49], s[26:27]
	s_branch .LBB1231_316
.LBB1231_319:
	s_or_b64 exec, exec, s[44:45]
	v_cmp_gt_i64_e32 vcc, s[26:27], v[34:35]
	s_orn2_b64 s[42:43], vcc, exec
.LBB1231_320:
	s_or_b64 exec, exec, s[36:37]
.LBB1231_321:
	s_and_b64 s[36:37], s[42:43], exec
.LBB1231_322:
	s_or_b64 exec, exec, s[40:41]
	v_cndmask_b32_e64 v31, 0, 1, s[18:19]
	v_cndmask_b32_e64 v30, 0, 1, s[38:39]
	v_cndmask_b32_e64 v47, 0, 1, s[12:13]
	v_lshlrev_b16_e32 v31, 8, v31
	v_cndmask_b32_e64 v46, 0, 1, s[14:15]
	v_cndmask_b32_e64 v32, 0, 1, s[36:37]
	v_or_b32_sdwa v30, v30, v31 dst_sel:WORD_1 dst_unused:UNUSED_PAD src0_sel:DWORD src1_sel:DWORD
	v_lshlrev_b16_e32 v31, 8, v47
	v_lshlrev_b16_e32 v32, 8, v32
	v_or_b32_e32 v31, v46, v31
	v_or_b32_e32 v32, 1, v32
	v_and_b32_e32 v31, 0xffff, v31
	v_cndmask_b32_e64 v48, 0, 1, s[4:5]
	v_or_b32_sdwa v30, v32, v30 dst_sel:DWORD dst_unused:UNUSED_PAD src0_sel:WORD_0 src1_sel:DWORD
	v_lshl_or_b32 v31, v48, 16, v31
	v_cmp_ne_u32_e32 vcc, 0, v0
	s_waitcnt lgkmcnt(0)
	s_barrier
	s_waitcnt lgkmcnt(0)
                                        ; implicit-def: $sgpr18_sgpr19
                                        ; implicit-def: $vgpr34
	s_and_saveexec_b64 s[4:5], vcc
	s_cbranch_execz .LBB1231_335
; %bb.323:
	v_cmp_gt_u32_e32 vcc, s3, v1
	s_mov_b32 s33, 0x3020104
	s_mov_b64 s[14:15], 0
	s_and_saveexec_b64 s[12:13], vcc
	s_cbranch_execz .LBB1231_334
; %bb.324:
	s_andn2_b64 vcc, exec, s[6:7]
	s_cbranch_vccnz .LBB1231_333
; %bb.325:
	v_add_u32_e32 v31, -8, v44
	ds_read_b64 v[32:33], v31
	v_mul_lo_u32 v31, v23, s26
	v_mad_u64_u32 v[36:37], s[6:7], v22, s26, 0
	s_mov_b64 s[14:15], -1
	s_waitcnt lgkmcnt(0)
	v_mul_lo_u32 v34, v33, s26
	v_mul_lo_u32 v35, v32, s27
	v_mad_u64_u32 v[32:33], s[6:7], v32, s26, 0
	v_add3_u32 v33, v33, v35, v34
	v_mul_lo_u32 v34, v22, s27
	v_add3_u32 v37, v37, v34, v31
	v_lshl_add_u64 v[34:35], v[32:33], 1, s[28:29]
	v_lshl_add_u64 v[32:33], v[36:37], 1, s[28:29]
	global_load_ushort v31, v[32:33], off
	global_load_ushort v36, v[34:35], off
	s_waitcnt vmcnt(1)
	v_lshlrev_b32_e32 v31, 16, v31
	s_waitcnt vmcnt(0)
	v_lshlrev_b32_e32 v36, 16, v36
	v_cmp_eq_f32_e32 vcc, v36, v31
	s_and_saveexec_b64 s[6:7], vcc
	s_cbranch_execz .LBB1231_332
; %bb.326:
	s_add_u32 s14, s26, -1
	v_lshl_add_u64 v[32:33], v[32:33], 0, 2
	v_lshl_add_u64 v[34:35], v[34:35], 0, 2
	s_addc_u32 s15, s27, -1
	s_mov_b64 s[18:19], 0
	s_mov_b64 s[36:37], 0
                                        ; implicit-def: $sgpr28_sgpr29
	s_branch .LBB1231_329
.LBB1231_327:                           ;   in Loop: Header=BB1231_329 Depth=1
	global_load_ushort v31, v[32:33], off
	global_load_ushort v36, v[34:35], off
	s_add_u32 s36, s36, 1
	s_addc_u32 s37, s37, 0
	s_andn2_b64 s[28:29], s[28:29], exec
	v_lshl_add_u64 v[32:33], v[32:33], 0, 2
	v_lshl_add_u64 v[34:35], v[34:35], 0, 2
	s_waitcnt vmcnt(1)
	v_lshlrev_b32_e32 v31, 16, v31
	s_waitcnt vmcnt(0)
	v_lshlrev_b32_e32 v36, 16, v36
	v_cmp_neq_f32_e32 vcc, v36, v31
	s_and_b64 s[38:39], vcc, exec
	s_or_b64 s[28:29], s[28:29], s[38:39]
.LBB1231_328:                           ;   in Loop: Header=BB1231_329 Depth=1
	s_and_b64 s[38:39], exec, s[28:29]
	s_or_b64 s[18:19], s[38:39], s[18:19]
	v_mov_b64_e32 v[36:37], s[36:37]
	s_andn2_b64 exec, exec, s[18:19]
	s_cbranch_execz .LBB1231_331
.LBB1231_329:                           ; =>This Inner Loop Header: Depth=1
	s_or_b64 s[28:29], s[28:29], exec
	s_cmp_eq_u64 s[14:15], s[36:37]
	s_cbranch_scc0 .LBB1231_327
; %bb.330:                              ;   in Loop: Header=BB1231_329 Depth=1
                                        ; implicit-def: $vgpr32_vgpr33
                                        ; implicit-def: $vgpr34_vgpr35
	s_mov_b64 s[36:37], s[26:27]
	s_branch .LBB1231_328
.LBB1231_331:
	s_or_b64 exec, exec, s[18:19]
	v_cmp_gt_i64_e32 vcc, s[26:27], v[36:37]
	s_orn2_b64 s[14:15], vcc, exec
.LBB1231_332:
	s_or_b64 exec, exec, s[6:7]
.LBB1231_333:
	s_and_b64 s[14:15], s[14:15], exec
.LBB1231_334:
	s_or_b64 exec, exec, s[12:13]
	v_perm_b32 v34, v30, v30, s33
	s_and_b64 s[18:19], s[14:15], exec
	s_or_b64 s[10:11], s[10:11], exec
                                        ; implicit-def: $vgpr30_vgpr31
.LBB1231_335:
	s_or_b64 exec, exec, s[4:5]
.LBB1231_336:
	s_and_saveexec_b64 s[4:5], s[10:11]
	s_cbranch_execz .LBB1231_338
; %bb.337:
	s_waitcnt lgkmcnt(0)
	v_lshlrev_b16_e32 v31, 8, v47
	v_and_b32_e32 v32, 0xff, v48
	v_or_b32_sdwa v31, v46, v31 dst_sel:DWORD dst_unused:UNUSED_PAD src0_sel:BYTE_0 src1_sel:DWORD
	v_lshlrev_b32_e32 v32, 16, v32
	s_movk_i32 s6, 0xff
	v_or_b32_sdwa v31, v31, v32 dst_sel:DWORD dst_unused:UNUSED_PAD src0_sel:WORD_0 src1_sel:DWORD
	v_lshrrev_b32_e32 v32, 24, v34
	v_lshlrev_b16_e32 v32, 8, v32
	v_and_b32_sdwa v33, v34, s6 dst_sel:DWORD dst_unused:UNUSED_PAD src0_sel:WORD_1 src1_sel:DWORD
	v_or_b32_sdwa v32, v33, v32 dst_sel:WORD_1 dst_unused:UNUSED_PAD src0_sel:DWORD src1_sel:DWORD
	v_mov_b32_e32 v33, 8
	v_cndmask_b32_e64 v30, 0, 1, s[18:19]
	v_lshrrev_b32_sdwa v33, v33, v34 dst_sel:BYTE_1 dst_unused:UNUSED_PAD src0_sel:DWORD src1_sel:DWORD
	s_nop 0
	v_or_b32_e32 v30, v30, v33
	v_or_b32_sdwa v30, v30, v32 dst_sel:DWORD dst_unused:UNUSED_PAD src0_sel:WORD_0 src1_sel:DWORD
.LBB1231_338:
	s_or_b64 exec, exec, s[4:5]
	s_andn2_b64 vcc, exec, s[8:9]
	s_cbranch_vccnz .LBB1231_340
; %bb.339:
	s_waitcnt lgkmcnt(0)
	v_and_b32_e32 v32, 0xffff0000, v30
	v_cmp_gt_u32_e32 vcc, s3, v1
	s_mov_b32 s4, 0x40c0100
	s_nop 0
	v_cndmask_b32_e32 v1, v32, v30, vcc
	v_and_b32_e32 v1, 0xffff00ff, v1
	v_cmp_gt_u32_e32 vcc, s3, v41
	s_nop 1
	v_cndmask_b32_e32 v1, v1, v30, vcc
	v_lshrrev_b32_e32 v32, 24, v1
	v_perm_b32 v1, v32, v1, s4
	v_cmp_gt_u32_e32 vcc, s3, v38
	v_and_b32_e32 v32, 0xffffff00, v31
	s_nop 0
	v_cndmask_b32_e32 v1, v1, v30, vcc
	v_and_b32_e32 v1, 0xffffff, v1
	v_cmp_gt_u32_e32 vcc, s3, v42
	s_nop 1
	v_cndmask_b32_e32 v1, v1, v30, vcc
	v_cmp_gt_u32_e32 vcc, s3, v39
	s_nop 1
	v_cndmask_b32_e32 v32, v32, v31, vcc
	v_and_b32_e32 v32, 0xffff00ff, v32
	v_cndmask_b32_e32 v1, v1, v30, vcc
	v_cmp_gt_u32_e32 vcc, s3, v43
	s_nop 1
	v_cndmask_b32_e32 v32, v32, v31, vcc
	v_lshrrev_b32_e32 v33, 24, v32
	v_cndmask_b32_e32 v1, v1, v30, vcc
	v_perm_b32 v32, v33, v32, s4
	v_cmp_gt_u32_e32 vcc, s3, v40
	s_mov_b32 s3, 0x3020104
	s_nop 0
	v_cndmask_b32_e32 v1, v1, v30, vcc
	v_cndmask_b32_e32 v30, v32, v31, vcc
	v_mov_b32_e32 v31, 8
	v_lshrrev_b32_sdwa v31, v31, v30 dst_sel:BYTE_1 dst_unused:UNUSED_PAD src0_sel:DWORD src1_sel:DWORD
	s_nop 0
	v_or_b32_sdwa v31, v30, v31 dst_sel:DWORD dst_unused:UNUSED_PAD src0_sel:BYTE_0 src1_sel:DWORD
	v_and_b32_e32 v31, 0xffff, v31
	v_bfe_u32 v30, v30, 16, 8
	v_lshl_or_b32 v31, v30, 16, v31
	v_perm_b32 v30, v1, v1, s3
.LBB1231_340:
	s_waitcnt lgkmcnt(0)
	v_and_b32_e32 v1, 0xff, v30
	v_bfe_u32 v43, v30, 8, 8
	v_bfe_u32 v45, v30, 16, 8
	v_alignbit_b32 v32, v31, v30, 24
	v_and_b32_e32 v47, 0xff, v32
	v_and_b32_e32 v48, 0xff, v31
	v_add3_u32 v33, v43, v1, v45
	v_bfe_u32 v49, v31, 8, 8
	v_bfe_u32 v32, v31, 16, 8
	v_add3_u32 v33, v33, v47, v48
	v_add3_u32 v52, v33, v49, v32
	v_mbcnt_lo_u32_b32 v32, -1, 0
	v_mbcnt_hi_u32_b32 v50, -1, v32
	v_and_b32_e32 v32, 15, v50
	v_cmp_eq_u32_e64 s[14:15], 0, v32
	v_cmp_lt_u32_e64 s[12:13], 1, v32
	v_cmp_lt_u32_e64 s[10:11], 3, v32
	;; [unrolled: 1-line block ×3, first 2 shown]
	v_and_b32_e32 v32, 16, v50
	v_cmp_eq_u32_e64 s[6:7], 0, v32
	v_or_b32_e32 v32, 63, v0
	v_cmp_lt_u32_e64 s[18:19], 31, v50
	v_lshrrev_b32_e32 v51, 6, v0
	v_cmp_eq_u32_e64 s[4:5], v32, v0
	s_and_b64 vcc, exec, s[16:17]
	s_barrier
	s_cbranch_vccz .LBB1231_371
; %bb.341:
	v_mov_b32_dpp v32, v52 row_shr:1 row_mask:0xf bank_mask:0xf
	v_cndmask_b32_e64 v32, v32, 0, s[14:15]
	v_add_u32_e32 v32, v32, v52
	s_nop 1
	v_mov_b32_dpp v33, v32 row_shr:2 row_mask:0xf bank_mask:0xf
	v_cndmask_b32_e64 v33, 0, v33, s[12:13]
	v_add_u32_e32 v32, v32, v33
	s_nop 1
	;; [unrolled: 4-line block ×4, first 2 shown]
	v_mov_b32_dpp v33, v32 row_bcast:15 row_mask:0xf bank_mask:0xf
	v_cndmask_b32_e64 v33, v33, 0, s[6:7]
	v_add_u32_e32 v32, v32, v33
	s_nop 1
	v_mov_b32_dpp v33, v32 row_bcast:31 row_mask:0xf bank_mask:0xf
	v_cndmask_b32_e64 v33, 0, v33, s[18:19]
	v_add_u32_e32 v32, v32, v33
	s_and_saveexec_b64 s[16:17], s[4:5]
	s_cbranch_execz .LBB1231_343
; %bb.342:
	v_lshlrev_b32_e32 v33, 2, v51
	ds_write_b32 v33, v32
.LBB1231_343:
	s_or_b64 exec, exec, s[16:17]
	v_cmp_gt_u32_e32 vcc, 8, v0
	s_waitcnt lgkmcnt(0)
	s_barrier
	s_and_saveexec_b64 s[16:17], vcc
	s_cbranch_execz .LBB1231_345
; %bb.344:
	v_lshlrev_b32_e32 v33, 2, v0
	ds_read_b32 v34, v33
	v_and_b32_e32 v35, 7, v50
	v_cmp_ne_u32_e32 vcc, 0, v35
	s_waitcnt lgkmcnt(0)
	v_mov_b32_dpp v36, v34 row_shr:1 row_mask:0xf bank_mask:0xf
	v_cndmask_b32_e32 v36, 0, v36, vcc
	v_add_u32_e32 v34, v36, v34
	v_cmp_lt_u32_e32 vcc, 1, v35
	s_nop 0
	v_mov_b32_dpp v36, v34 row_shr:2 row_mask:0xf bank_mask:0xf
	v_cndmask_b32_e32 v36, 0, v36, vcc
	v_add_u32_e32 v34, v34, v36
	v_cmp_lt_u32_e32 vcc, 3, v35
	s_nop 0
	v_mov_b32_dpp v36, v34 row_shr:4 row_mask:0xf bank_mask:0xf
	v_cndmask_b32_e32 v35, 0, v36, vcc
	v_add_u32_e32 v34, v34, v35
	ds_write_b32 v33, v34
.LBB1231_345:
	s_or_b64 exec, exec, s[16:17]
	v_cmp_gt_u32_e32 vcc, 64, v0
	v_cmp_lt_u32_e64 s[16:17], 63, v0
	s_waitcnt lgkmcnt(0)
	s_barrier
	s_waitcnt lgkmcnt(0)
                                        ; implicit-def: $vgpr42
	s_and_saveexec_b64 s[26:27], s[16:17]
	s_cbranch_execz .LBB1231_347
; %bb.346:
	v_lshl_add_u32 v33, v51, 2, -4
	ds_read_b32 v42, v33
	s_waitcnt lgkmcnt(0)
	v_add_u32_e32 v32, v42, v32
.LBB1231_347:
	s_or_b64 exec, exec, s[26:27]
	v_add_u32_e32 v33, -1, v50
	v_and_b32_e32 v34, 64, v50
	v_cmp_lt_i32_e64 s[16:17], v33, v34
	s_nop 1
	v_cndmask_b32_e64 v33, v33, v50, s[16:17]
	v_lshlrev_b32_e32 v33, 2, v33
	ds_bpermute_b32 v44, v33, v32
	v_cmp_eq_u32_e64 s[16:17], 0, v50
	s_and_saveexec_b64 s[26:27], vcc
	s_cbranch_execz .LBB1231_370
; %bb.348:
	v_mov_b32_e32 v41, 0
	ds_read_b32 v32, v41 offset:28
	s_and_saveexec_b64 s[28:29], s[16:17]
	s_cbranch_execz .LBB1231_350
; %bb.349:
	s_add_i32 s36, s2, 64
	s_mov_b32 s37, 0
	s_lshl_b64 s[36:37], s[36:37], 3
	s_add_u32 s36, s30, s36
	v_mov_b32_e32 v33, 1
	s_addc_u32 s37, s31, s37
	s_waitcnt lgkmcnt(0)
	global_store_dwordx2 v41, v[32:33], s[36:37] sc1
.LBB1231_350:
	s_or_b64 exec, exec, s[28:29]
	v_xad_u32 v34, v50, -1, s2
	v_add_u32_e32 v40, 64, v34
	v_lshl_add_u64 v[36:37], v[40:41], 3, s[30:31]
	global_load_dwordx2 v[38:39], v[36:37], off sc1
	s_waitcnt vmcnt(0)
	v_cmp_eq_u16_sdwa s[36:37], v39, v41 src0_sel:BYTE_0 src1_sel:DWORD
	s_and_saveexec_b64 s[28:29], s[36:37]
	s_cbranch_execz .LBB1231_356
; %bb.351:
	s_mov_b32 s3, 1
	s_mov_b64 s[36:37], 0
	v_mov_b32_e32 v33, 0
.LBB1231_352:                           ; =>This Loop Header: Depth=1
                                        ;     Child Loop BB1231_353 Depth 2
	s_max_u32 s33, s3, 1
.LBB1231_353:                           ;   Parent Loop BB1231_352 Depth=1
                                        ; =>  This Inner Loop Header: Depth=2
	s_add_i32 s33, s33, -1
	s_cmp_eq_u32 s33, 0
	s_sleep 1
	s_cbranch_scc0 .LBB1231_353
; %bb.354:                              ;   in Loop: Header=BB1231_352 Depth=1
	global_load_dwordx2 v[38:39], v[36:37], off sc1
	s_cmp_lt_u32 s3, 32
	s_cselect_b64 s[38:39], -1, 0
	s_cmp_lg_u64 s[38:39], 0
	s_addc_u32 s3, s3, 0
	s_waitcnt vmcnt(0)
	v_cmp_ne_u16_sdwa s[38:39], v39, v33 src0_sel:BYTE_0 src1_sel:DWORD
	s_or_b64 s[36:37], s[38:39], s[36:37]
	s_andn2_b64 exec, exec, s[36:37]
	s_cbranch_execnz .LBB1231_352
; %bb.355:
	s_or_b64 exec, exec, s[36:37]
.LBB1231_356:
	s_or_b64 exec, exec, s[28:29]
	v_and_b32_e32 v46, 63, v50
	v_mov_b32_e32 v33, 2
	v_cmp_ne_u32_e32 vcc, 63, v46
	v_cmp_eq_u16_sdwa s[28:29], v39, v33 src0_sel:BYTE_0 src1_sel:DWORD
	v_lshlrev_b64 v[36:37], v50, -1
	v_addc_co_u32_e32 v41, vcc, 0, v50, vcc
	v_and_b32_e32 v35, s29, v37
	v_lshlrev_b32_e32 v53, 2, v41
	v_or_b32_e32 v35, 0x80000000, v35
	ds_bpermute_b32 v41, v53, v38
	v_and_b32_e32 v40, s28, v36
	v_ffbl_b32_e32 v35, v35
	v_add_u32_e32 v35, 32, v35
	v_ffbl_b32_e32 v40, v40
	v_min_u32_e32 v35, v40, v35
	v_cmp_lt_u32_e32 vcc, v46, v35
	v_add_u32_e32 v55, 2, v46
	v_add_u32_e32 v57, 4, v46
	s_waitcnt lgkmcnt(0)
	v_cndmask_b32_e32 v40, 0, v41, vcc
	v_cmp_gt_u32_e32 vcc, 62, v46
	v_add_u32_e32 v38, v40, v38
	v_add_u32_e32 v59, 8, v46
	v_cndmask_b32_e64 v40, 0, 1, vcc
	v_lshlrev_b32_e32 v40, 1, v40
	v_add_lshl_u32 v54, v40, v50, 2
	ds_bpermute_b32 v40, v54, v38
	v_cmp_le_u32_e32 vcc, v55, v35
	v_add_u32_e32 v62, 16, v46
	v_add_u32_e32 v64, 32, v46
	s_waitcnt lgkmcnt(0)
	v_cndmask_b32_e32 v40, 0, v40, vcc
	v_cmp_gt_u32_e32 vcc, 60, v46
	v_add_u32_e32 v38, v38, v40
	s_nop 0
	v_cndmask_b32_e64 v40, 0, 1, vcc
	v_lshlrev_b32_e32 v40, 2, v40
	v_add_lshl_u32 v56, v40, v50, 2
	ds_bpermute_b32 v40, v56, v38
	v_cmp_le_u32_e32 vcc, v57, v35
	s_waitcnt lgkmcnt(0)
	s_nop 0
	v_cndmask_b32_e32 v40, 0, v40, vcc
	v_cmp_gt_u32_e32 vcc, 56, v46
	v_add_u32_e32 v38, v38, v40
	s_nop 0
	v_cndmask_b32_e64 v40, 0, 1, vcc
	v_lshlrev_b32_e32 v40, 3, v40
	v_add_lshl_u32 v58, v40, v50, 2
	ds_bpermute_b32 v40, v58, v38
	v_cmp_le_u32_e32 vcc, v59, v35
	s_waitcnt lgkmcnt(0)
	s_nop 0
	;; [unrolled: 11-line block ×4, first 2 shown]
	v_cndmask_b32_e32 v35, 0, v40, vcc
	v_add_u32_e32 v38, v38, v35
	v_mov_b32_e32 v35, 0
	s_branch .LBB1231_358
.LBB1231_357:                           ;   in Loop: Header=BB1231_358 Depth=1
	s_or_b64 exec, exec, s[28:29]
	v_cmp_eq_u16_sdwa s[28:29], v39, v33 src0_sel:BYTE_0 src1_sel:DWORD
	ds_bpermute_b32 v65, v53, v38
	v_subrev_u32_e32 v34, 64, v34
	v_and_b32_e32 v40, s29, v37
	v_or_b32_e32 v40, 0x80000000, v40
	v_and_b32_e32 v41, s28, v36
	v_ffbl_b32_e32 v40, v40
	v_add_u32_e32 v40, 32, v40
	v_ffbl_b32_e32 v41, v41
	v_min_u32_e32 v40, v41, v40
	v_cmp_lt_u32_e32 vcc, v46, v40
	s_waitcnt lgkmcnt(0)
	s_nop 0
	v_cndmask_b32_e32 v41, 0, v65, vcc
	v_add_u32_e32 v38, v41, v38
	ds_bpermute_b32 v41, v54, v38
	v_cmp_le_u32_e32 vcc, v55, v40
	s_waitcnt lgkmcnt(0)
	s_nop 0
	v_cndmask_b32_e32 v41, 0, v41, vcc
	v_add_u32_e32 v38, v38, v41
	ds_bpermute_b32 v41, v56, v38
	v_cmp_le_u32_e32 vcc, v57, v40
	s_waitcnt lgkmcnt(0)
	s_nop 0
	v_cndmask_b32_e32 v41, 0, v41, vcc
	v_add_u32_e32 v38, v38, v41
	ds_bpermute_b32 v41, v58, v38
	v_cmp_le_u32_e32 vcc, v59, v40
	s_waitcnt lgkmcnt(0)
	s_nop 0
	v_cndmask_b32_e32 v41, 0, v41, vcc
	v_add_u32_e32 v38, v38, v41
	ds_bpermute_b32 v41, v61, v38
	v_cmp_le_u32_e32 vcc, v62, v40
	s_waitcnt lgkmcnt(0)
	s_nop 0
	v_cndmask_b32_e32 v41, 0, v41, vcc
	v_add_u32_e32 v38, v38, v41
	ds_bpermute_b32 v41, v63, v38
	v_cmp_le_u32_e32 vcc, v64, v40
	s_waitcnt lgkmcnt(0)
	s_nop 0
	v_cndmask_b32_e32 v40, 0, v41, vcc
	v_add3_u32 v38, v40, v60, v38
.LBB1231_358:                           ; =>This Loop Header: Depth=1
                                        ;     Child Loop BB1231_361 Depth 2
                                        ;       Child Loop BB1231_362 Depth 3
	v_cmp_ne_u16_sdwa s[28:29], v39, v33 src0_sel:BYTE_0 src1_sel:DWORD
	v_mov_b32_e32 v60, v38
	s_nop 0
	v_cndmask_b32_e64 v39, 0, 1, s[28:29]
	;;#ASMSTART
	;;#ASMEND
	s_nop 0
	v_cmp_ne_u32_e32 vcc, 0, v39
	s_cmp_lg_u64 vcc, exec
	s_cbranch_scc1 .LBB1231_365
; %bb.359:                              ;   in Loop: Header=BB1231_358 Depth=1
	v_lshl_add_u64 v[40:41], v[34:35], 3, s[30:31]
	global_load_dwordx2 v[38:39], v[40:41], off sc1
	s_waitcnt vmcnt(0)
	v_cmp_eq_u16_sdwa s[36:37], v39, v35 src0_sel:BYTE_0 src1_sel:DWORD
	s_and_saveexec_b64 s[28:29], s[36:37]
	s_cbranch_execz .LBB1231_357
; %bb.360:                              ;   in Loop: Header=BB1231_358 Depth=1
	s_mov_b32 s3, 1
	s_mov_b64 s[36:37], 0
.LBB1231_361:                           ;   Parent Loop BB1231_358 Depth=1
                                        ; =>  This Loop Header: Depth=2
                                        ;       Child Loop BB1231_362 Depth 3
	s_max_u32 s33, s3, 1
.LBB1231_362:                           ;   Parent Loop BB1231_358 Depth=1
                                        ;     Parent Loop BB1231_361 Depth=2
                                        ; =>    This Inner Loop Header: Depth=3
	s_add_i32 s33, s33, -1
	s_cmp_eq_u32 s33, 0
	s_sleep 1
	s_cbranch_scc0 .LBB1231_362
; %bb.363:                              ;   in Loop: Header=BB1231_361 Depth=2
	global_load_dwordx2 v[38:39], v[40:41], off sc1
	s_cmp_lt_u32 s3, 32
	s_cselect_b64 s[38:39], -1, 0
	s_cmp_lg_u64 s[38:39], 0
	s_addc_u32 s3, s3, 0
	s_waitcnt vmcnt(0)
	v_cmp_ne_u16_sdwa s[38:39], v39, v35 src0_sel:BYTE_0 src1_sel:DWORD
	s_or_b64 s[36:37], s[38:39], s[36:37]
	s_andn2_b64 exec, exec, s[36:37]
	s_cbranch_execnz .LBB1231_361
; %bb.364:                              ;   in Loop: Header=BB1231_358 Depth=1
	s_or_b64 exec, exec, s[36:37]
	s_branch .LBB1231_357
.LBB1231_365:                           ;   in Loop: Header=BB1231_358 Depth=1
                                        ; implicit-def: $vgpr38
                                        ; implicit-def: $vgpr39
	s_cbranch_execz .LBB1231_358
; %bb.366:
	s_and_saveexec_b64 s[28:29], s[16:17]
	s_cbranch_execz .LBB1231_368
; %bb.367:
	s_add_i32 s2, s2, 64
	s_mov_b32 s3, 0
	s_lshl_b64 s[2:3], s[2:3], 3
	s_add_u32 s2, s30, s2
	v_add_u32_e32 v34, v60, v32
	v_mov_b32_e32 v35, 2
	s_addc_u32 s3, s31, s3
	v_mov_b32_e32 v33, 0
	global_store_dwordx2 v33, v[34:35], s[2:3] sc1
	s_movk_i32 s2, 0x7000
	v_add_u32_e64 v33, s2, 0
	ds_write2_b32 v33, v32, v60 offset1:2
.LBB1231_368:
	s_or_b64 exec, exec, s[28:29]
	v_cmp_eq_u32_e32 vcc, 0, v0
	s_and_b64 exec, exec, vcc
	s_cbranch_execz .LBB1231_370
; %bb.369:
	v_mov_b32_e32 v32, 0
	ds_write_b32 v32, v60 offset:28
.LBB1231_370:
	s_or_b64 exec, exec, s[26:27]
	v_mov_b32_e32 v32, 0
	s_waitcnt lgkmcnt(0)
	s_barrier
	ds_read_b32 v32, v32 offset:28
	v_cndmask_b32_e64 v33, v44, v42, s[16:17]
	v_cmp_ne_u32_e32 vcc, 0, v0
	s_movk_i32 s2, 0x7000
	s_waitcnt lgkmcnt(0)
	v_cndmask_b32_e32 v33, 0, v33, vcc
	v_add_u32_e32 v46, v32, v33
	v_add_u32_e64 v32, s2, 0
	v_add_u32_e32 v44, v46, v1
	s_barrier
	ds_read2_b32 v[32:33], v32 offset1:2
	v_add_u32_e32 v42, v44, v43
	v_add_u32_e32 v40, v42, v45
	;; [unrolled: 1-line block ×5, first 2 shown]
	s_waitcnt lgkmcnt(0)
	v_readfirstlane_b32 s26, v32
	v_readfirstlane_b32 s16, v33
	v_lshrrev_b64 v[32:33], 24, v[30:31]
	s_branch .LBB1231_381
.LBB1231_371:
                                        ; implicit-def: $vgpr34
                                        ; implicit-def: $vgpr36
                                        ; implicit-def: $vgpr38
                                        ; implicit-def: $vgpr40
                                        ; implicit-def: $vgpr42
                                        ; implicit-def: $vgpr44
                                        ; implicit-def: $vgpr46
                                        ; implicit-def: $sgpr16
                                        ; implicit-def: $sgpr26
	v_lshrrev_b64 v[32:33], 24, v[30:31]
	s_cbranch_execz .LBB1231_381
; %bb.372:
	s_nop 0
	v_mov_b32_dpp v33, v52 row_shr:1 row_mask:0xf bank_mask:0xf
	v_cndmask_b32_e64 v33, v33, 0, s[14:15]
	v_add_u32_e32 v33, v33, v52
	s_nop 1
	v_mov_b32_dpp v34, v33 row_shr:2 row_mask:0xf bank_mask:0xf
	v_cndmask_b32_e64 v34, 0, v34, s[12:13]
	v_add_u32_e32 v33, v33, v34
	;; [unrolled: 4-line block ×4, first 2 shown]
	s_nop 1
	v_mov_b32_dpp v34, v33 row_bcast:15 row_mask:0xf bank_mask:0xf
	v_cndmask_b32_e64 v34, v34, 0, s[6:7]
	v_add_u32_e32 v33, v33, v34
	s_nop 1
	v_mov_b32_dpp v34, v33 row_bcast:31 row_mask:0xf bank_mask:0xf
	v_cndmask_b32_e64 v34, 0, v34, s[18:19]
	v_add_u32_e32 v33, v33, v34
	s_and_saveexec_b64 s[2:3], s[4:5]
	s_cbranch_execz .LBB1231_374
; %bb.373:
	v_lshlrev_b32_e32 v34, 2, v51
	ds_write_b32 v34, v33
.LBB1231_374:
	s_or_b64 exec, exec, s[2:3]
	v_cmp_gt_u32_e32 vcc, 8, v0
	s_waitcnt lgkmcnt(0)
	s_barrier
	s_and_saveexec_b64 s[2:3], vcc
	s_cbranch_execz .LBB1231_376
; %bb.375:
	v_lshlrev_b32_e32 v34, 2, v0
	ds_read_b32 v35, v34
	v_and_b32_e32 v36, 7, v50
	v_cmp_ne_u32_e32 vcc, 0, v36
	s_waitcnt lgkmcnt(0)
	v_mov_b32_dpp v37, v35 row_shr:1 row_mask:0xf bank_mask:0xf
	v_cndmask_b32_e32 v37, 0, v37, vcc
	v_add_u32_e32 v35, v37, v35
	v_cmp_lt_u32_e32 vcc, 1, v36
	s_nop 0
	v_mov_b32_dpp v37, v35 row_shr:2 row_mask:0xf bank_mask:0xf
	v_cndmask_b32_e32 v37, 0, v37, vcc
	v_add_u32_e32 v35, v35, v37
	v_cmp_lt_u32_e32 vcc, 3, v36
	s_nop 0
	v_mov_b32_dpp v37, v35 row_shr:4 row_mask:0xf bank_mask:0xf
	v_cndmask_b32_e32 v36, 0, v37, vcc
	v_add_u32_e32 v35, v35, v36
	ds_write_b32 v34, v35
.LBB1231_376:
	s_or_b64 exec, exec, s[2:3]
	v_cmp_lt_u32_e32 vcc, 63, v0
	v_mov_b32_e32 v35, 0
	v_mov_b32_e32 v34, 0
	s_waitcnt lgkmcnt(0)
	s_barrier
	s_and_saveexec_b64 s[2:3], vcc
	s_cbranch_execz .LBB1231_378
; %bb.377:
	v_lshl_add_u32 v34, v51, 2, -4
	ds_read_b32 v34, v34
.LBB1231_378:
	s_or_b64 exec, exec, s[2:3]
	v_add_u32_e32 v36, -1, v50
	v_and_b32_e32 v37, 64, v50
	v_cmp_lt_i32_e32 vcc, v36, v37
	s_waitcnt lgkmcnt(0)
	v_add_u32_e32 v33, v34, v33
	ds_read_b32 v35, v35 offset:28
	v_cndmask_b32_e32 v36, v36, v50, vcc
	v_lshlrev_b32_e32 v36, 2, v36
	ds_bpermute_b32 v33, v36, v33
	s_mov_b32 s16, 0
	v_cmp_eq_u32_e32 vcc, 0, v0
	s_waitcnt lgkmcnt(1)
	v_readfirstlane_b32 s26, v35
	s_and_saveexec_b64 s[2:3], vcc
	s_cbranch_execz .LBB1231_380
; %bb.379:
	v_mov_b32_e32 v35, 0
	v_mov_b32_e32 v36, s26
	;; [unrolled: 1-line block ×3, first 2 shown]
	global_store_dwordx2 v35, v[36:37], s[30:31] offset:512 sc1
.LBB1231_380:
	s_or_b64 exec, exec, s[2:3]
	v_cmp_eq_u32_e64 s[2:3], 0, v50
	s_waitcnt lgkmcnt(0)
	s_barrier
	v_cndmask_b32_e64 v33, v33, v34, s[2:3]
	v_cndmask_b32_e64 v46, v33, 0, vcc
	v_add_u32_e32 v44, v46, v1
	v_add_u32_e32 v42, v44, v43
	;; [unrolled: 1-line block ×6, first 2 shown]
.LBB1231_381:
	s_load_dwordx4 s[4:7], s[0:1], 0x28
	s_cmpk_lt_u32 s26, 0x201
	s_cselect_b64 s[2:3], -1, 0
	v_lshrrev_b32_e32 v33, 8, v30
	v_lshrrev_b32_e32 v1, 8, v31
	s_mov_b64 s[0:1], -1
	s_and_b64 vcc, exec, s[2:3]
	s_cbranch_vccz .LBB1231_404
; %bb.382:
	s_add_i32 s8, s16, s26
	v_cmp_gt_u32_e32 vcc, s8, v46
	s_or_b64 s[10:11], s[34:35], vcc
	s_and_saveexec_b64 s[0:1], s[10:11]
	s_cbranch_execz .LBB1231_385
; %bb.383:
	v_and_b32_e32 v35, 1, v30
	v_cmp_eq_u32_e32 vcc, 1, v35
	s_and_b64 exec, exec, vcc
	s_cbranch_execz .LBB1231_385
; %bb.384:
	s_lshl_b64 s[10:11], s[22:23], 3
	s_waitcnt lgkmcnt(0)
	s_add_u32 s10, s4, s10
	s_addc_u32 s11, s5, s11
	v_mov_b32_e32 v47, 0
	v_lshl_add_u64 v[48:49], v[46:47], 3, s[10:11]
	global_store_dwordx2 v[48:49], v[22:23], off
.LBB1231_385:
	s_or_b64 exec, exec, s[0:1]
	v_cmp_gt_u32_e32 vcc, s8, v44
	s_or_b64 s[10:11], s[34:35], vcc
	s_and_saveexec_b64 s[0:1], s[10:11]
	s_cbranch_execz .LBB1231_388
; %bb.386:
	v_and_b32_e32 v35, 1, v33
	v_cmp_eq_u32_e32 vcc, 1, v35
	s_and_b64 exec, exec, vcc
	s_cbranch_execz .LBB1231_388
; %bb.387:
	s_lshl_b64 s[10:11], s[22:23], 3
	s_waitcnt lgkmcnt(0)
	s_add_u32 s10, s4, s10
	s_addc_u32 s11, s5, s11
	v_mov_b32_e32 v45, 0
	v_lshl_add_u64 v[48:49], v[44:45], 3, s[10:11]
	global_store_dwordx2 v[48:49], v[24:25], off
.LBB1231_388:
	s_or_b64 exec, exec, s[0:1]
	v_cmp_gt_u32_e32 vcc, s8, v42
	s_or_b64 s[10:11], s[34:35], vcc
	s_and_saveexec_b64 s[0:1], s[10:11]
	s_cbranch_execz .LBB1231_391
; %bb.389:
	v_mov_b32_e32 v35, 1
	v_and_b32_sdwa v35, v35, v30 dst_sel:DWORD dst_unused:UNUSED_PAD src0_sel:DWORD src1_sel:WORD_1
	v_cmp_eq_u32_e32 vcc, 1, v35
	s_and_b64 exec, exec, vcc
	s_cbranch_execz .LBB1231_391
; %bb.390:
	s_lshl_b64 s[10:11], s[22:23], 3
	s_waitcnt lgkmcnt(0)
	s_add_u32 s10, s4, s10
	s_addc_u32 s11, s5, s11
	v_mov_b32_e32 v43, 0
	v_lshl_add_u64 v[48:49], v[42:43], 3, s[10:11]
	global_store_dwordx2 v[48:49], v[18:19], off
.LBB1231_391:
	s_or_b64 exec, exec, s[0:1]
	v_cmp_gt_u32_e32 vcc, s8, v40
	s_or_b64 s[10:11], s[34:35], vcc
	s_and_saveexec_b64 s[0:1], s[10:11]
	s_cbranch_execz .LBB1231_394
; %bb.392:
	v_and_b32_e32 v35, 1, v32
	v_cmp_eq_u32_e32 vcc, 1, v35
	s_and_b64 exec, exec, vcc
	s_cbranch_execz .LBB1231_394
; %bb.393:
	s_lshl_b64 s[10:11], s[22:23], 3
	s_waitcnt lgkmcnt(0)
	s_add_u32 s10, s4, s10
	s_addc_u32 s11, s5, s11
	v_mov_b32_e32 v41, 0
	v_lshl_add_u64 v[48:49], v[40:41], 3, s[10:11]
	global_store_dwordx2 v[48:49], v[20:21], off
.LBB1231_394:
	s_or_b64 exec, exec, s[0:1]
	v_cmp_gt_u32_e32 vcc, s8, v38
	s_or_b64 s[10:11], s[34:35], vcc
	s_and_saveexec_b64 s[0:1], s[10:11]
	s_cbranch_execz .LBB1231_397
; %bb.395:
	v_and_b32_e32 v35, 1, v31
	v_cmp_eq_u32_e32 vcc, 1, v35
	s_and_b64 exec, exec, vcc
	s_cbranch_execz .LBB1231_397
; %bb.396:
	s_lshl_b64 s[10:11], s[22:23], 3
	s_waitcnt lgkmcnt(0)
	s_add_u32 s10, s4, s10
	s_addc_u32 s11, s5, s11
	v_mov_b32_e32 v39, 0
	v_lshl_add_u64 v[48:49], v[38:39], 3, s[10:11]
	global_store_dwordx2 v[48:49], v[14:15], off
.LBB1231_397:
	s_or_b64 exec, exec, s[0:1]
	v_cmp_gt_u32_e32 vcc, s8, v36
	s_or_b64 s[10:11], s[34:35], vcc
	s_and_saveexec_b64 s[0:1], s[10:11]
	s_cbranch_execz .LBB1231_400
; %bb.398:
	v_and_b32_e32 v35, 1, v1
	v_cmp_eq_u32_e32 vcc, 1, v35
	s_and_b64 exec, exec, vcc
	s_cbranch_execz .LBB1231_400
; %bb.399:
	s_lshl_b64 s[10:11], s[22:23], 3
	s_waitcnt lgkmcnt(0)
	s_add_u32 s10, s4, s10
	s_addc_u32 s11, s5, s11
	v_mov_b32_e32 v37, 0
	v_lshl_add_u64 v[48:49], v[36:37], 3, s[10:11]
	global_store_dwordx2 v[48:49], v[16:17], off
.LBB1231_400:
	s_or_b64 exec, exec, s[0:1]
	v_cmp_gt_u32_e32 vcc, s8, v34
	s_or_b64 s[8:9], s[34:35], vcc
	s_and_saveexec_b64 s[0:1], s[8:9]
	s_cbranch_execz .LBB1231_403
; %bb.401:
	v_mov_b32_e32 v35, 1
	v_and_b32_sdwa v35, v35, v31 dst_sel:DWORD dst_unused:UNUSED_PAD src0_sel:DWORD src1_sel:WORD_1
	v_cmp_eq_u32_e32 vcc, 1, v35
	s_and_b64 exec, exec, vcc
	s_cbranch_execz .LBB1231_403
; %bb.402:
	s_lshl_b64 s[8:9], s[22:23], 3
	s_waitcnt lgkmcnt(0)
	s_add_u32 s8, s4, s8
	s_addc_u32 s9, s5, s9
	v_mov_b32_e32 v35, 0
	v_lshl_add_u64 v[48:49], v[34:35], 3, s[8:9]
	global_store_dwordx2 v[48:49], v[28:29], off
.LBB1231_403:
	s_or_b64 exec, exec, s[0:1]
	s_mov_b64 s[0:1], 0
.LBB1231_404:
	v_and_b32_e32 v48, 1, v30
	s_and_b64 vcc, exec, s[0:1]
	v_cmp_eq_u32_e64 s[0:1], 1, v48
	s_cbranch_vccz .LBB1231_423
; %bb.405:
	s_and_saveexec_b64 s[8:9], s[0:1]
	s_cbranch_execz .LBB1231_407
; %bb.406:
	v_subrev_u32_e32 v35, s16, v46
	v_lshlrev_b32_e32 v35, 3, v35
	ds_write_b64 v35, v[22:23]
.LBB1231_407:
	s_or_b64 exec, exec, s[8:9]
	v_and_b32_e32 v22, 1, v33
	v_cmp_eq_u32_e32 vcc, 1, v22
	s_and_saveexec_b64 s[0:1], vcc
	s_cbranch_execz .LBB1231_409
; %bb.408:
	v_subrev_u32_e32 v22, s16, v44
	v_lshlrev_b32_e32 v22, 3, v22
	ds_write_b64 v22, v[24:25]
.LBB1231_409:
	s_or_b64 exec, exec, s[0:1]
	v_mov_b32_e32 v22, 1
	v_and_b32_sdwa v22, v22, v30 dst_sel:DWORD dst_unused:UNUSED_PAD src0_sel:DWORD src1_sel:WORD_1
	v_cmp_eq_u32_e32 vcc, 1, v22
	s_and_saveexec_b64 s[0:1], vcc
	s_cbranch_execz .LBB1231_411
; %bb.410:
	v_subrev_u32_e32 v22, s16, v42
	v_lshlrev_b32_e32 v22, 3, v22
	ds_write_b64 v22, v[18:19]
.LBB1231_411:
	s_or_b64 exec, exec, s[0:1]
	v_and_b32_e32 v18, 1, v32
	v_cmp_eq_u32_e32 vcc, 1, v18
	s_and_saveexec_b64 s[0:1], vcc
	s_cbranch_execz .LBB1231_413
; %bb.412:
	v_subrev_u32_e32 v18, s16, v40
	v_lshlrev_b32_e32 v18, 3, v18
	ds_write_b64 v18, v[20:21]
.LBB1231_413:
	s_or_b64 exec, exec, s[0:1]
	v_and_b32_e32 v18, 1, v31
	;; [unrolled: 10-line block ×3, first 2 shown]
	v_cmp_eq_u32_e32 vcc, 1, v14
	s_and_saveexec_b64 s[0:1], vcc
	s_cbranch_execz .LBB1231_417
; %bb.416:
	v_subrev_u32_e32 v14, s16, v36
	v_lshlrev_b32_e32 v14, 3, v14
	ds_write_b64 v14, v[16:17]
.LBB1231_417:
	s_or_b64 exec, exec, s[0:1]
	v_mov_b32_e32 v14, 1
	v_and_b32_sdwa v14, v14, v31 dst_sel:DWORD dst_unused:UNUSED_PAD src0_sel:DWORD src1_sel:WORD_1
	v_cmp_eq_u32_e32 vcc, 1, v14
	s_and_saveexec_b64 s[0:1], vcc
	s_cbranch_execz .LBB1231_419
; %bb.418:
	v_subrev_u32_e32 v14, s16, v34
	v_lshlrev_b32_e32 v14, 3, v14
	ds_write_b64 v14, v[28:29]
.LBB1231_419:
	s_or_b64 exec, exec, s[0:1]
	v_cmp_gt_u32_e32 vcc, s26, v0
	s_waitcnt lgkmcnt(0)
	s_barrier
	s_and_saveexec_b64 s[0:1], vcc
	s_cbranch_execz .LBB1231_422
; %bb.420:
	s_mov_b32 s17, 0
	s_lshl_b64 s[8:9], s[22:23], 3
	s_lshl_b64 s[10:11], s[16:17], 3
	s_add_u32 s8, s8, s10
	s_addc_u32 s9, s9, s11
	s_add_u32 s4, s4, s8
	v_lshlrev_b32_e32 v14, 3, v0
	v_mov_b32_e32 v15, 0
	s_addc_u32 s5, s5, s9
	v_lshl_add_u64 v[16:17], s[4:5], 0, v[14:15]
	s_mov_b64 s[4:5], 0
	s_mov_b64 s[8:9], 0x1000
	v_mov_b32_e32 v15, v0
.LBB1231_421:                           ; =>This Inner Loop Header: Depth=1
	ds_read_b64 v[18:19], v14
	v_add_u32_e32 v15, 0x200, v15
	v_cmp_le_u32_e32 vcc, s26, v15
	v_add_u32_e32 v14, 0x1000, v14
	s_or_b64 s[4:5], vcc, s[4:5]
	s_waitcnt lgkmcnt(0)
	global_store_dwordx2 v[16:17], v[18:19], off
	v_lshl_add_u64 v[16:17], v[16:17], 0, s[8:9]
	s_andn2_b64 exec, exec, s[4:5]
	s_cbranch_execnz .LBB1231_421
.LBB1231_422:
	s_or_b64 exec, exec, s[0:1]
.LBB1231_423:
	s_mov_b64 s[0:1], -1
	s_and_b64 vcc, exec, s[2:3]
	s_waitcnt lgkmcnt(0)
	s_barrier
	s_cbranch_vccnz .LBB1231_427
; %bb.424:
	s_and_b64 vcc, exec, s[0:1]
	s_cbranch_vccnz .LBB1231_449
.LBB1231_425:
	v_cmp_eq_u32_e32 vcc, 0, v0
	s_and_b64 s[0:1], vcc, s[24:25]
	s_and_saveexec_b64 s[2:3], s[0:1]
	s_cbranch_execnz .LBB1231_467
.LBB1231_426:
	s_endpgm
.LBB1231_427:
	s_add_i32 s2, s16, s26
	v_cmp_gt_u32_e32 vcc, s2, v46
	s_or_b64 s[4:5], s[34:35], vcc
	s_and_saveexec_b64 s[0:1], s[4:5]
	s_cbranch_execz .LBB1231_430
; %bb.428:
	v_cmp_eq_u32_e32 vcc, 1, v48
	s_and_b64 exec, exec, vcc
	s_cbranch_execz .LBB1231_430
; %bb.429:
	s_lshl_b64 s[4:5], s[22:23], 3
	s_add_u32 s4, s6, s4
	s_addc_u32 s5, s7, s5
	v_mov_b32_e32 v47, 0
	v_lshl_add_u64 v[14:15], v[46:47], 3, s[4:5]
	global_store_dwordx2 v[14:15], v[10:11], off
.LBB1231_430:
	s_or_b64 exec, exec, s[0:1]
	v_cmp_gt_u32_e32 vcc, s2, v44
	s_or_b64 s[4:5], s[34:35], vcc
	s_and_saveexec_b64 s[0:1], s[4:5]
	s_cbranch_execz .LBB1231_433
; %bb.431:
	v_and_b32_e32 v14, 1, v33
	v_cmp_eq_u32_e32 vcc, 1, v14
	s_and_b64 exec, exec, vcc
	s_cbranch_execz .LBB1231_433
; %bb.432:
	s_lshl_b64 s[4:5], s[22:23], 3
	s_add_u32 s4, s6, s4
	s_addc_u32 s5, s7, s5
	v_mov_b32_e32 v45, 0
	v_lshl_add_u64 v[14:15], v[44:45], 3, s[4:5]
	global_store_dwordx2 v[14:15], v[12:13], off
.LBB1231_433:
	s_or_b64 exec, exec, s[0:1]
	v_cmp_gt_u32_e32 vcc, s2, v42
	s_or_b64 s[4:5], s[34:35], vcc
	s_and_saveexec_b64 s[0:1], s[4:5]
	s_cbranch_execz .LBB1231_436
; %bb.434:
	v_mov_b32_e32 v14, 1
	v_and_b32_sdwa v14, v14, v30 dst_sel:DWORD dst_unused:UNUSED_PAD src0_sel:DWORD src1_sel:WORD_1
	v_cmp_eq_u32_e32 vcc, 1, v14
	s_and_b64 exec, exec, vcc
	s_cbranch_execz .LBB1231_436
; %bb.435:
	s_lshl_b64 s[4:5], s[22:23], 3
	s_add_u32 s4, s6, s4
	s_addc_u32 s5, s7, s5
	v_mov_b32_e32 v43, 0
	v_lshl_add_u64 v[14:15], v[42:43], 3, s[4:5]
	global_store_dwordx2 v[14:15], v[6:7], off
.LBB1231_436:
	s_or_b64 exec, exec, s[0:1]
	v_cmp_gt_u32_e32 vcc, s2, v40
	s_or_b64 s[4:5], s[34:35], vcc
	s_and_saveexec_b64 s[0:1], s[4:5]
	s_cbranch_execz .LBB1231_439
; %bb.437:
	v_and_b32_e32 v14, 1, v32
	v_cmp_eq_u32_e32 vcc, 1, v14
	s_and_b64 exec, exec, vcc
	s_cbranch_execz .LBB1231_439
; %bb.438:
	s_lshl_b64 s[4:5], s[22:23], 3
	s_add_u32 s4, s6, s4
	s_addc_u32 s5, s7, s5
	v_mov_b32_e32 v41, 0
	v_lshl_add_u64 v[14:15], v[40:41], 3, s[4:5]
	global_store_dwordx2 v[14:15], v[8:9], off
.LBB1231_439:
	s_or_b64 exec, exec, s[0:1]
	v_cmp_gt_u32_e32 vcc, s2, v38
	s_or_b64 s[4:5], s[34:35], vcc
	s_and_saveexec_b64 s[0:1], s[4:5]
	s_cbranch_execz .LBB1231_442
; %bb.440:
	v_and_b32_e32 v14, 1, v31
	v_cmp_eq_u32_e32 vcc, 1, v14
	s_and_b64 exec, exec, vcc
	s_cbranch_execz .LBB1231_442
; %bb.441:
	s_lshl_b64 s[4:5], s[22:23], 3
	s_add_u32 s4, s6, s4
	s_addc_u32 s5, s7, s5
	v_mov_b32_e32 v39, 0
	v_lshl_add_u64 v[14:15], v[38:39], 3, s[4:5]
	global_store_dwordx2 v[14:15], v[2:3], off
.LBB1231_442:
	;; [unrolled: 18-line block ×3, first 2 shown]
	s_or_b64 exec, exec, s[0:1]
	v_cmp_gt_u32_e32 vcc, s2, v34
	s_or_b64 s[2:3], s[34:35], vcc
	s_and_saveexec_b64 s[0:1], s[2:3]
	s_cbranch_execz .LBB1231_448
; %bb.446:
	v_mov_b32_e32 v14, 1
	v_and_b32_sdwa v14, v14, v31 dst_sel:DWORD dst_unused:UNUSED_PAD src0_sel:DWORD src1_sel:WORD_1
	v_cmp_eq_u32_e32 vcc, 1, v14
	s_and_b64 exec, exec, vcc
	s_cbranch_execz .LBB1231_448
; %bb.447:
	s_lshl_b64 s[2:3], s[22:23], 3
	s_add_u32 s2, s6, s2
	s_addc_u32 s3, s7, s3
	v_mov_b32_e32 v35, 0
	v_lshl_add_u64 v[14:15], v[34:35], 3, s[2:3]
	global_store_dwordx2 v[14:15], v[26:27], off
.LBB1231_448:
	s_or_b64 exec, exec, s[0:1]
	s_branch .LBB1231_425
.LBB1231_449:
	v_cmp_eq_u32_e32 vcc, 1, v48
	s_and_saveexec_b64 s[0:1], vcc
	s_cbranch_execz .LBB1231_451
; %bb.450:
	v_subrev_u32_e32 v14, s16, v46
	v_lshlrev_b32_e32 v14, 3, v14
	ds_write_b64 v14, v[10:11]
.LBB1231_451:
	s_or_b64 exec, exec, s[0:1]
	v_and_b32_e32 v10, 1, v33
	v_cmp_eq_u32_e32 vcc, 1, v10
	s_and_saveexec_b64 s[0:1], vcc
	s_cbranch_execz .LBB1231_453
; %bb.452:
	v_subrev_u32_e32 v10, s16, v44
	v_lshlrev_b32_e32 v10, 3, v10
	ds_write_b64 v10, v[12:13]
.LBB1231_453:
	s_or_b64 exec, exec, s[0:1]
	v_mov_b32_e32 v10, 1
	v_and_b32_sdwa v10, v10, v30 dst_sel:DWORD dst_unused:UNUSED_PAD src0_sel:DWORD src1_sel:WORD_1
	v_cmp_eq_u32_e32 vcc, 1, v10
	s_and_saveexec_b64 s[0:1], vcc
	s_cbranch_execz .LBB1231_455
; %bb.454:
	v_subrev_u32_e32 v10, s16, v42
	v_lshlrev_b32_e32 v10, 3, v10
	ds_write_b64 v10, v[6:7]
.LBB1231_455:
	s_or_b64 exec, exec, s[0:1]
	v_and_b32_e32 v6, 1, v32
	v_cmp_eq_u32_e32 vcc, 1, v6
	s_and_saveexec_b64 s[0:1], vcc
	s_cbranch_execz .LBB1231_457
; %bb.456:
	v_subrev_u32_e32 v6, s16, v40
	v_lshlrev_b32_e32 v6, 3, v6
	ds_write_b64 v6, v[8:9]
.LBB1231_457:
	s_or_b64 exec, exec, s[0:1]
	v_and_b32_e32 v6, 1, v31
	;; [unrolled: 10-line block ×3, first 2 shown]
	v_cmp_eq_u32_e32 vcc, 1, v1
	s_and_saveexec_b64 s[0:1], vcc
	s_cbranch_execz .LBB1231_461
; %bb.460:
	v_subrev_u32_e32 v1, s16, v36
	v_lshlrev_b32_e32 v1, 3, v1
	ds_write_b64 v1, v[4:5]
.LBB1231_461:
	s_or_b64 exec, exec, s[0:1]
	v_mov_b32_e32 v1, 1
	v_and_b32_sdwa v1, v1, v31 dst_sel:DWORD dst_unused:UNUSED_PAD src0_sel:DWORD src1_sel:WORD_1
	v_cmp_eq_u32_e32 vcc, 1, v1
	s_and_saveexec_b64 s[0:1], vcc
	s_cbranch_execz .LBB1231_463
; %bb.462:
	v_subrev_u32_e32 v1, s16, v34
	v_lshlrev_b32_e32 v1, 3, v1
	ds_write_b64 v1, v[26:27]
.LBB1231_463:
	s_or_b64 exec, exec, s[0:1]
	v_cmp_gt_u32_e32 vcc, s26, v0
	s_waitcnt lgkmcnt(0)
	s_barrier
	s_and_saveexec_b64 s[0:1], vcc
	s_cbranch_execz .LBB1231_466
; %bb.464:
	s_mov_b32 s17, 0
	s_lshl_b64 s[2:3], s[22:23], 3
	s_lshl_b64 s[4:5], s[16:17], 3
	s_add_u32 s2, s2, s4
	s_addc_u32 s3, s3, s5
	s_add_u32 s2, s6, s2
	v_lshlrev_b32_e32 v2, 3, v0
	v_mov_b32_e32 v3, 0
	s_addc_u32 s3, s7, s3
	v_lshl_add_u64 v[4:5], s[2:3], 0, v[2:3]
	s_mov_b64 s[2:3], 0
	s_mov_b64 s[4:5], 0x1000
	v_mov_b32_e32 v1, v0
.LBB1231_465:                           ; =>This Inner Loop Header: Depth=1
	ds_read_b64 v[6:7], v2
	v_add_u32_e32 v1, 0x200, v1
	v_cmp_le_u32_e32 vcc, s26, v1
	v_add_u32_e32 v2, 0x1000, v2
	s_or_b64 s[2:3], vcc, s[2:3]
	s_waitcnt lgkmcnt(0)
	global_store_dwordx2 v[4:5], v[6:7], off
	v_lshl_add_u64 v[4:5], v[4:5], 0, s[4:5]
	s_andn2_b64 exec, exec, s[2:3]
	s_cbranch_execnz .LBB1231_465
.LBB1231_466:
	s_or_b64 exec, exec, s[0:1]
	v_cmp_eq_u32_e32 vcc, 0, v0
	s_and_b64 s[0:1], vcc, s[24:25]
	s_and_saveexec_b64 s[2:3], s[0:1]
	s_cbranch_execz .LBB1231_426
.LBB1231_467:
	s_add_u32 s0, s22, s26
	s_addc_u32 s1, s23, 0
	s_add_u32 s0, s0, s16
	s_addc_u32 s1, s1, 0
	v_mov_b32_e32 v2, 0
	v_mov_b64_e32 v[0:1], s[0:1]
	global_store_dwordx2 v2, v[0:1], s[20:21]
	s_endpgm
	.section	.rodata,"a",@progbits
	.p2align	6, 0x0
	.amdhsa_kernel _ZN7rocprim17ROCPRIM_400000_NS6detail17trampoline_kernelINS0_14default_configENS1_25partition_config_selectorILNS1_17partition_subalgoE9EllbEEZZNS1_14partition_implILS5_9ELb0ES3_jPlS8_PNS0_10empty_typeENS0_5tupleIJS8_S9_EEENSB_IJS8_SA_EEENS0_18inequality_wrapperIZN2at6native12_GLOBAL__N_124unique_dim_cuda_templateIN3c108BFloat16EEESt5tupleIJNSF_6TensorESM_SM_EERKSM_lbbbEUlllE0_EEPmJS9_EEE10hipError_tPvRmT3_T4_T5_T6_T7_T9_mT8_P12ihipStream_tbDpT10_ENKUlT_T0_E_clISt17integral_constantIbLb1EES1B_IbLb0EEEEDaS17_S18_EUlS17_E_NS1_11comp_targetILNS1_3genE5ELNS1_11target_archE942ELNS1_3gpuE9ELNS1_3repE0EEENS1_30default_config_static_selectorELNS0_4arch9wavefront6targetE1EEEvT1_
		.amdhsa_group_segment_fixed_size 28684
		.amdhsa_private_segment_fixed_size 0
		.amdhsa_kernarg_size 120
		.amdhsa_user_sgpr_count 2
		.amdhsa_user_sgpr_dispatch_ptr 0
		.amdhsa_user_sgpr_queue_ptr 0
		.amdhsa_user_sgpr_kernarg_segment_ptr 1
		.amdhsa_user_sgpr_dispatch_id 0
		.amdhsa_user_sgpr_kernarg_preload_length 0
		.amdhsa_user_sgpr_kernarg_preload_offset 0
		.amdhsa_user_sgpr_private_segment_size 0
		.amdhsa_uses_dynamic_stack 0
		.amdhsa_enable_private_segment 0
		.amdhsa_system_sgpr_workgroup_id_x 1
		.amdhsa_system_sgpr_workgroup_id_y 0
		.amdhsa_system_sgpr_workgroup_id_z 0
		.amdhsa_system_sgpr_workgroup_info 0
		.amdhsa_system_vgpr_workitem_id 0
		.amdhsa_next_free_vgpr 66
		.amdhsa_next_free_sgpr 52
		.amdhsa_accum_offset 68
		.amdhsa_reserve_vcc 1
		.amdhsa_float_round_mode_32 0
		.amdhsa_float_round_mode_16_64 0
		.amdhsa_float_denorm_mode_32 3
		.amdhsa_float_denorm_mode_16_64 3
		.amdhsa_dx10_clamp 1
		.amdhsa_ieee_mode 1
		.amdhsa_fp16_overflow 0
		.amdhsa_tg_split 0
		.amdhsa_exception_fp_ieee_invalid_op 0
		.amdhsa_exception_fp_denorm_src 0
		.amdhsa_exception_fp_ieee_div_zero 0
		.amdhsa_exception_fp_ieee_overflow 0
		.amdhsa_exception_fp_ieee_underflow 0
		.amdhsa_exception_fp_ieee_inexact 0
		.amdhsa_exception_int_div_zero 0
	.end_amdhsa_kernel
	.section	.text._ZN7rocprim17ROCPRIM_400000_NS6detail17trampoline_kernelINS0_14default_configENS1_25partition_config_selectorILNS1_17partition_subalgoE9EllbEEZZNS1_14partition_implILS5_9ELb0ES3_jPlS8_PNS0_10empty_typeENS0_5tupleIJS8_S9_EEENSB_IJS8_SA_EEENS0_18inequality_wrapperIZN2at6native12_GLOBAL__N_124unique_dim_cuda_templateIN3c108BFloat16EEESt5tupleIJNSF_6TensorESM_SM_EERKSM_lbbbEUlllE0_EEPmJS9_EEE10hipError_tPvRmT3_T4_T5_T6_T7_T9_mT8_P12ihipStream_tbDpT10_ENKUlT_T0_E_clISt17integral_constantIbLb1EES1B_IbLb0EEEEDaS17_S18_EUlS17_E_NS1_11comp_targetILNS1_3genE5ELNS1_11target_archE942ELNS1_3gpuE9ELNS1_3repE0EEENS1_30default_config_static_selectorELNS0_4arch9wavefront6targetE1EEEvT1_,"axG",@progbits,_ZN7rocprim17ROCPRIM_400000_NS6detail17trampoline_kernelINS0_14default_configENS1_25partition_config_selectorILNS1_17partition_subalgoE9EllbEEZZNS1_14partition_implILS5_9ELb0ES3_jPlS8_PNS0_10empty_typeENS0_5tupleIJS8_S9_EEENSB_IJS8_SA_EEENS0_18inequality_wrapperIZN2at6native12_GLOBAL__N_124unique_dim_cuda_templateIN3c108BFloat16EEESt5tupleIJNSF_6TensorESM_SM_EERKSM_lbbbEUlllE0_EEPmJS9_EEE10hipError_tPvRmT3_T4_T5_T6_T7_T9_mT8_P12ihipStream_tbDpT10_ENKUlT_T0_E_clISt17integral_constantIbLb1EES1B_IbLb0EEEEDaS17_S18_EUlS17_E_NS1_11comp_targetILNS1_3genE5ELNS1_11target_archE942ELNS1_3gpuE9ELNS1_3repE0EEENS1_30default_config_static_selectorELNS0_4arch9wavefront6targetE1EEEvT1_,comdat
.Lfunc_end1231:
	.size	_ZN7rocprim17ROCPRIM_400000_NS6detail17trampoline_kernelINS0_14default_configENS1_25partition_config_selectorILNS1_17partition_subalgoE9EllbEEZZNS1_14partition_implILS5_9ELb0ES3_jPlS8_PNS0_10empty_typeENS0_5tupleIJS8_S9_EEENSB_IJS8_SA_EEENS0_18inequality_wrapperIZN2at6native12_GLOBAL__N_124unique_dim_cuda_templateIN3c108BFloat16EEESt5tupleIJNSF_6TensorESM_SM_EERKSM_lbbbEUlllE0_EEPmJS9_EEE10hipError_tPvRmT3_T4_T5_T6_T7_T9_mT8_P12ihipStream_tbDpT10_ENKUlT_T0_E_clISt17integral_constantIbLb1EES1B_IbLb0EEEEDaS17_S18_EUlS17_E_NS1_11comp_targetILNS1_3genE5ELNS1_11target_archE942ELNS1_3gpuE9ELNS1_3repE0EEENS1_30default_config_static_selectorELNS0_4arch9wavefront6targetE1EEEvT1_, .Lfunc_end1231-_ZN7rocprim17ROCPRIM_400000_NS6detail17trampoline_kernelINS0_14default_configENS1_25partition_config_selectorILNS1_17partition_subalgoE9EllbEEZZNS1_14partition_implILS5_9ELb0ES3_jPlS8_PNS0_10empty_typeENS0_5tupleIJS8_S9_EEENSB_IJS8_SA_EEENS0_18inequality_wrapperIZN2at6native12_GLOBAL__N_124unique_dim_cuda_templateIN3c108BFloat16EEESt5tupleIJNSF_6TensorESM_SM_EERKSM_lbbbEUlllE0_EEPmJS9_EEE10hipError_tPvRmT3_T4_T5_T6_T7_T9_mT8_P12ihipStream_tbDpT10_ENKUlT_T0_E_clISt17integral_constantIbLb1EES1B_IbLb0EEEEDaS17_S18_EUlS17_E_NS1_11comp_targetILNS1_3genE5ELNS1_11target_archE942ELNS1_3gpuE9ELNS1_3repE0EEENS1_30default_config_static_selectorELNS0_4arch9wavefront6targetE1EEEvT1_
                                        ; -- End function
	.section	.AMDGPU.csdata,"",@progbits
; Kernel info:
; codeLenInByte = 15144
; NumSgprs: 58
; NumVgprs: 66
; NumAgprs: 0
; TotalNumVgprs: 66
; ScratchSize: 0
; MemoryBound: 0
; FloatMode: 240
; IeeeMode: 1
; LDSByteSize: 28684 bytes/workgroup (compile time only)
; SGPRBlocks: 7
; VGPRBlocks: 8
; NumSGPRsForWavesPerEU: 58
; NumVGPRsForWavesPerEU: 66
; AccumOffset: 68
; Occupancy: 4
; WaveLimiterHint : 1
; COMPUTE_PGM_RSRC2:SCRATCH_EN: 0
; COMPUTE_PGM_RSRC2:USER_SGPR: 2
; COMPUTE_PGM_RSRC2:TRAP_HANDLER: 0
; COMPUTE_PGM_RSRC2:TGID_X_EN: 1
; COMPUTE_PGM_RSRC2:TGID_Y_EN: 0
; COMPUTE_PGM_RSRC2:TGID_Z_EN: 0
; COMPUTE_PGM_RSRC2:TIDIG_COMP_CNT: 0
; COMPUTE_PGM_RSRC3_GFX90A:ACCUM_OFFSET: 16
; COMPUTE_PGM_RSRC3_GFX90A:TG_SPLIT: 0
	.section	.text._ZN7rocprim17ROCPRIM_400000_NS6detail17trampoline_kernelINS0_14default_configENS1_25partition_config_selectorILNS1_17partition_subalgoE9EllbEEZZNS1_14partition_implILS5_9ELb0ES3_jPlS8_PNS0_10empty_typeENS0_5tupleIJS8_S9_EEENSB_IJS8_SA_EEENS0_18inequality_wrapperIZN2at6native12_GLOBAL__N_124unique_dim_cuda_templateIN3c108BFloat16EEESt5tupleIJNSF_6TensorESM_SM_EERKSM_lbbbEUlllE0_EEPmJS9_EEE10hipError_tPvRmT3_T4_T5_T6_T7_T9_mT8_P12ihipStream_tbDpT10_ENKUlT_T0_E_clISt17integral_constantIbLb1EES1B_IbLb0EEEEDaS17_S18_EUlS17_E_NS1_11comp_targetILNS1_3genE4ELNS1_11target_archE910ELNS1_3gpuE8ELNS1_3repE0EEENS1_30default_config_static_selectorELNS0_4arch9wavefront6targetE1EEEvT1_,"axG",@progbits,_ZN7rocprim17ROCPRIM_400000_NS6detail17trampoline_kernelINS0_14default_configENS1_25partition_config_selectorILNS1_17partition_subalgoE9EllbEEZZNS1_14partition_implILS5_9ELb0ES3_jPlS8_PNS0_10empty_typeENS0_5tupleIJS8_S9_EEENSB_IJS8_SA_EEENS0_18inequality_wrapperIZN2at6native12_GLOBAL__N_124unique_dim_cuda_templateIN3c108BFloat16EEESt5tupleIJNSF_6TensorESM_SM_EERKSM_lbbbEUlllE0_EEPmJS9_EEE10hipError_tPvRmT3_T4_T5_T6_T7_T9_mT8_P12ihipStream_tbDpT10_ENKUlT_T0_E_clISt17integral_constantIbLb1EES1B_IbLb0EEEEDaS17_S18_EUlS17_E_NS1_11comp_targetILNS1_3genE4ELNS1_11target_archE910ELNS1_3gpuE8ELNS1_3repE0EEENS1_30default_config_static_selectorELNS0_4arch9wavefront6targetE1EEEvT1_,comdat
	.globl	_ZN7rocprim17ROCPRIM_400000_NS6detail17trampoline_kernelINS0_14default_configENS1_25partition_config_selectorILNS1_17partition_subalgoE9EllbEEZZNS1_14partition_implILS5_9ELb0ES3_jPlS8_PNS0_10empty_typeENS0_5tupleIJS8_S9_EEENSB_IJS8_SA_EEENS0_18inequality_wrapperIZN2at6native12_GLOBAL__N_124unique_dim_cuda_templateIN3c108BFloat16EEESt5tupleIJNSF_6TensorESM_SM_EERKSM_lbbbEUlllE0_EEPmJS9_EEE10hipError_tPvRmT3_T4_T5_T6_T7_T9_mT8_P12ihipStream_tbDpT10_ENKUlT_T0_E_clISt17integral_constantIbLb1EES1B_IbLb0EEEEDaS17_S18_EUlS17_E_NS1_11comp_targetILNS1_3genE4ELNS1_11target_archE910ELNS1_3gpuE8ELNS1_3repE0EEENS1_30default_config_static_selectorELNS0_4arch9wavefront6targetE1EEEvT1_ ; -- Begin function _ZN7rocprim17ROCPRIM_400000_NS6detail17trampoline_kernelINS0_14default_configENS1_25partition_config_selectorILNS1_17partition_subalgoE9EllbEEZZNS1_14partition_implILS5_9ELb0ES3_jPlS8_PNS0_10empty_typeENS0_5tupleIJS8_S9_EEENSB_IJS8_SA_EEENS0_18inequality_wrapperIZN2at6native12_GLOBAL__N_124unique_dim_cuda_templateIN3c108BFloat16EEESt5tupleIJNSF_6TensorESM_SM_EERKSM_lbbbEUlllE0_EEPmJS9_EEE10hipError_tPvRmT3_T4_T5_T6_T7_T9_mT8_P12ihipStream_tbDpT10_ENKUlT_T0_E_clISt17integral_constantIbLb1EES1B_IbLb0EEEEDaS17_S18_EUlS17_E_NS1_11comp_targetILNS1_3genE4ELNS1_11target_archE910ELNS1_3gpuE8ELNS1_3repE0EEENS1_30default_config_static_selectorELNS0_4arch9wavefront6targetE1EEEvT1_
	.p2align	8
	.type	_ZN7rocprim17ROCPRIM_400000_NS6detail17trampoline_kernelINS0_14default_configENS1_25partition_config_selectorILNS1_17partition_subalgoE9EllbEEZZNS1_14partition_implILS5_9ELb0ES3_jPlS8_PNS0_10empty_typeENS0_5tupleIJS8_S9_EEENSB_IJS8_SA_EEENS0_18inequality_wrapperIZN2at6native12_GLOBAL__N_124unique_dim_cuda_templateIN3c108BFloat16EEESt5tupleIJNSF_6TensorESM_SM_EERKSM_lbbbEUlllE0_EEPmJS9_EEE10hipError_tPvRmT3_T4_T5_T6_T7_T9_mT8_P12ihipStream_tbDpT10_ENKUlT_T0_E_clISt17integral_constantIbLb1EES1B_IbLb0EEEEDaS17_S18_EUlS17_E_NS1_11comp_targetILNS1_3genE4ELNS1_11target_archE910ELNS1_3gpuE8ELNS1_3repE0EEENS1_30default_config_static_selectorELNS0_4arch9wavefront6targetE1EEEvT1_,@function
_ZN7rocprim17ROCPRIM_400000_NS6detail17trampoline_kernelINS0_14default_configENS1_25partition_config_selectorILNS1_17partition_subalgoE9EllbEEZZNS1_14partition_implILS5_9ELb0ES3_jPlS8_PNS0_10empty_typeENS0_5tupleIJS8_S9_EEENSB_IJS8_SA_EEENS0_18inequality_wrapperIZN2at6native12_GLOBAL__N_124unique_dim_cuda_templateIN3c108BFloat16EEESt5tupleIJNSF_6TensorESM_SM_EERKSM_lbbbEUlllE0_EEPmJS9_EEE10hipError_tPvRmT3_T4_T5_T6_T7_T9_mT8_P12ihipStream_tbDpT10_ENKUlT_T0_E_clISt17integral_constantIbLb1EES1B_IbLb0EEEEDaS17_S18_EUlS17_E_NS1_11comp_targetILNS1_3genE4ELNS1_11target_archE910ELNS1_3gpuE8ELNS1_3repE0EEENS1_30default_config_static_selectorELNS0_4arch9wavefront6targetE1EEEvT1_: ; @_ZN7rocprim17ROCPRIM_400000_NS6detail17trampoline_kernelINS0_14default_configENS1_25partition_config_selectorILNS1_17partition_subalgoE9EllbEEZZNS1_14partition_implILS5_9ELb0ES3_jPlS8_PNS0_10empty_typeENS0_5tupleIJS8_S9_EEENSB_IJS8_SA_EEENS0_18inequality_wrapperIZN2at6native12_GLOBAL__N_124unique_dim_cuda_templateIN3c108BFloat16EEESt5tupleIJNSF_6TensorESM_SM_EERKSM_lbbbEUlllE0_EEPmJS9_EEE10hipError_tPvRmT3_T4_T5_T6_T7_T9_mT8_P12ihipStream_tbDpT10_ENKUlT_T0_E_clISt17integral_constantIbLb1EES1B_IbLb0EEEEDaS17_S18_EUlS17_E_NS1_11comp_targetILNS1_3genE4ELNS1_11target_archE910ELNS1_3gpuE8ELNS1_3repE0EEENS1_30default_config_static_selectorELNS0_4arch9wavefront6targetE1EEEvT1_
; %bb.0:
	.section	.rodata,"a",@progbits
	.p2align	6, 0x0
	.amdhsa_kernel _ZN7rocprim17ROCPRIM_400000_NS6detail17trampoline_kernelINS0_14default_configENS1_25partition_config_selectorILNS1_17partition_subalgoE9EllbEEZZNS1_14partition_implILS5_9ELb0ES3_jPlS8_PNS0_10empty_typeENS0_5tupleIJS8_S9_EEENSB_IJS8_SA_EEENS0_18inequality_wrapperIZN2at6native12_GLOBAL__N_124unique_dim_cuda_templateIN3c108BFloat16EEESt5tupleIJNSF_6TensorESM_SM_EERKSM_lbbbEUlllE0_EEPmJS9_EEE10hipError_tPvRmT3_T4_T5_T6_T7_T9_mT8_P12ihipStream_tbDpT10_ENKUlT_T0_E_clISt17integral_constantIbLb1EES1B_IbLb0EEEEDaS17_S18_EUlS17_E_NS1_11comp_targetILNS1_3genE4ELNS1_11target_archE910ELNS1_3gpuE8ELNS1_3repE0EEENS1_30default_config_static_selectorELNS0_4arch9wavefront6targetE1EEEvT1_
		.amdhsa_group_segment_fixed_size 0
		.amdhsa_private_segment_fixed_size 0
		.amdhsa_kernarg_size 120
		.amdhsa_user_sgpr_count 2
		.amdhsa_user_sgpr_dispatch_ptr 0
		.amdhsa_user_sgpr_queue_ptr 0
		.amdhsa_user_sgpr_kernarg_segment_ptr 1
		.amdhsa_user_sgpr_dispatch_id 0
		.amdhsa_user_sgpr_kernarg_preload_length 0
		.amdhsa_user_sgpr_kernarg_preload_offset 0
		.amdhsa_user_sgpr_private_segment_size 0
		.amdhsa_uses_dynamic_stack 0
		.amdhsa_enable_private_segment 0
		.amdhsa_system_sgpr_workgroup_id_x 1
		.amdhsa_system_sgpr_workgroup_id_y 0
		.amdhsa_system_sgpr_workgroup_id_z 0
		.amdhsa_system_sgpr_workgroup_info 0
		.amdhsa_system_vgpr_workitem_id 0
		.amdhsa_next_free_vgpr 1
		.amdhsa_next_free_sgpr 0
		.amdhsa_accum_offset 4
		.amdhsa_reserve_vcc 0
		.amdhsa_float_round_mode_32 0
		.amdhsa_float_round_mode_16_64 0
		.amdhsa_float_denorm_mode_32 3
		.amdhsa_float_denorm_mode_16_64 3
		.amdhsa_dx10_clamp 1
		.amdhsa_ieee_mode 1
		.amdhsa_fp16_overflow 0
		.amdhsa_tg_split 0
		.amdhsa_exception_fp_ieee_invalid_op 0
		.amdhsa_exception_fp_denorm_src 0
		.amdhsa_exception_fp_ieee_div_zero 0
		.amdhsa_exception_fp_ieee_overflow 0
		.amdhsa_exception_fp_ieee_underflow 0
		.amdhsa_exception_fp_ieee_inexact 0
		.amdhsa_exception_int_div_zero 0
	.end_amdhsa_kernel
	.section	.text._ZN7rocprim17ROCPRIM_400000_NS6detail17trampoline_kernelINS0_14default_configENS1_25partition_config_selectorILNS1_17partition_subalgoE9EllbEEZZNS1_14partition_implILS5_9ELb0ES3_jPlS8_PNS0_10empty_typeENS0_5tupleIJS8_S9_EEENSB_IJS8_SA_EEENS0_18inequality_wrapperIZN2at6native12_GLOBAL__N_124unique_dim_cuda_templateIN3c108BFloat16EEESt5tupleIJNSF_6TensorESM_SM_EERKSM_lbbbEUlllE0_EEPmJS9_EEE10hipError_tPvRmT3_T4_T5_T6_T7_T9_mT8_P12ihipStream_tbDpT10_ENKUlT_T0_E_clISt17integral_constantIbLb1EES1B_IbLb0EEEEDaS17_S18_EUlS17_E_NS1_11comp_targetILNS1_3genE4ELNS1_11target_archE910ELNS1_3gpuE8ELNS1_3repE0EEENS1_30default_config_static_selectorELNS0_4arch9wavefront6targetE1EEEvT1_,"axG",@progbits,_ZN7rocprim17ROCPRIM_400000_NS6detail17trampoline_kernelINS0_14default_configENS1_25partition_config_selectorILNS1_17partition_subalgoE9EllbEEZZNS1_14partition_implILS5_9ELb0ES3_jPlS8_PNS0_10empty_typeENS0_5tupleIJS8_S9_EEENSB_IJS8_SA_EEENS0_18inequality_wrapperIZN2at6native12_GLOBAL__N_124unique_dim_cuda_templateIN3c108BFloat16EEESt5tupleIJNSF_6TensorESM_SM_EERKSM_lbbbEUlllE0_EEPmJS9_EEE10hipError_tPvRmT3_T4_T5_T6_T7_T9_mT8_P12ihipStream_tbDpT10_ENKUlT_T0_E_clISt17integral_constantIbLb1EES1B_IbLb0EEEEDaS17_S18_EUlS17_E_NS1_11comp_targetILNS1_3genE4ELNS1_11target_archE910ELNS1_3gpuE8ELNS1_3repE0EEENS1_30default_config_static_selectorELNS0_4arch9wavefront6targetE1EEEvT1_,comdat
.Lfunc_end1232:
	.size	_ZN7rocprim17ROCPRIM_400000_NS6detail17trampoline_kernelINS0_14default_configENS1_25partition_config_selectorILNS1_17partition_subalgoE9EllbEEZZNS1_14partition_implILS5_9ELb0ES3_jPlS8_PNS0_10empty_typeENS0_5tupleIJS8_S9_EEENSB_IJS8_SA_EEENS0_18inequality_wrapperIZN2at6native12_GLOBAL__N_124unique_dim_cuda_templateIN3c108BFloat16EEESt5tupleIJNSF_6TensorESM_SM_EERKSM_lbbbEUlllE0_EEPmJS9_EEE10hipError_tPvRmT3_T4_T5_T6_T7_T9_mT8_P12ihipStream_tbDpT10_ENKUlT_T0_E_clISt17integral_constantIbLb1EES1B_IbLb0EEEEDaS17_S18_EUlS17_E_NS1_11comp_targetILNS1_3genE4ELNS1_11target_archE910ELNS1_3gpuE8ELNS1_3repE0EEENS1_30default_config_static_selectorELNS0_4arch9wavefront6targetE1EEEvT1_, .Lfunc_end1232-_ZN7rocprim17ROCPRIM_400000_NS6detail17trampoline_kernelINS0_14default_configENS1_25partition_config_selectorILNS1_17partition_subalgoE9EllbEEZZNS1_14partition_implILS5_9ELb0ES3_jPlS8_PNS0_10empty_typeENS0_5tupleIJS8_S9_EEENSB_IJS8_SA_EEENS0_18inequality_wrapperIZN2at6native12_GLOBAL__N_124unique_dim_cuda_templateIN3c108BFloat16EEESt5tupleIJNSF_6TensorESM_SM_EERKSM_lbbbEUlllE0_EEPmJS9_EEE10hipError_tPvRmT3_T4_T5_T6_T7_T9_mT8_P12ihipStream_tbDpT10_ENKUlT_T0_E_clISt17integral_constantIbLb1EES1B_IbLb0EEEEDaS17_S18_EUlS17_E_NS1_11comp_targetILNS1_3genE4ELNS1_11target_archE910ELNS1_3gpuE8ELNS1_3repE0EEENS1_30default_config_static_selectorELNS0_4arch9wavefront6targetE1EEEvT1_
                                        ; -- End function
	.section	.AMDGPU.csdata,"",@progbits
; Kernel info:
; codeLenInByte = 0
; NumSgprs: 6
; NumVgprs: 0
; NumAgprs: 0
; TotalNumVgprs: 0
; ScratchSize: 0
; MemoryBound: 0
; FloatMode: 240
; IeeeMode: 1
; LDSByteSize: 0 bytes/workgroup (compile time only)
; SGPRBlocks: 0
; VGPRBlocks: 0
; NumSGPRsForWavesPerEU: 6
; NumVGPRsForWavesPerEU: 1
; AccumOffset: 4
; Occupancy: 8
; WaveLimiterHint : 0
; COMPUTE_PGM_RSRC2:SCRATCH_EN: 0
; COMPUTE_PGM_RSRC2:USER_SGPR: 2
; COMPUTE_PGM_RSRC2:TRAP_HANDLER: 0
; COMPUTE_PGM_RSRC2:TGID_X_EN: 1
; COMPUTE_PGM_RSRC2:TGID_Y_EN: 0
; COMPUTE_PGM_RSRC2:TGID_Z_EN: 0
; COMPUTE_PGM_RSRC2:TIDIG_COMP_CNT: 0
; COMPUTE_PGM_RSRC3_GFX90A:ACCUM_OFFSET: 0
; COMPUTE_PGM_RSRC3_GFX90A:TG_SPLIT: 0
	.section	.text._ZN7rocprim17ROCPRIM_400000_NS6detail17trampoline_kernelINS0_14default_configENS1_25partition_config_selectorILNS1_17partition_subalgoE9EllbEEZZNS1_14partition_implILS5_9ELb0ES3_jPlS8_PNS0_10empty_typeENS0_5tupleIJS8_S9_EEENSB_IJS8_SA_EEENS0_18inequality_wrapperIZN2at6native12_GLOBAL__N_124unique_dim_cuda_templateIN3c108BFloat16EEESt5tupleIJNSF_6TensorESM_SM_EERKSM_lbbbEUlllE0_EEPmJS9_EEE10hipError_tPvRmT3_T4_T5_T6_T7_T9_mT8_P12ihipStream_tbDpT10_ENKUlT_T0_E_clISt17integral_constantIbLb1EES1B_IbLb0EEEEDaS17_S18_EUlS17_E_NS1_11comp_targetILNS1_3genE3ELNS1_11target_archE908ELNS1_3gpuE7ELNS1_3repE0EEENS1_30default_config_static_selectorELNS0_4arch9wavefront6targetE1EEEvT1_,"axG",@progbits,_ZN7rocprim17ROCPRIM_400000_NS6detail17trampoline_kernelINS0_14default_configENS1_25partition_config_selectorILNS1_17partition_subalgoE9EllbEEZZNS1_14partition_implILS5_9ELb0ES3_jPlS8_PNS0_10empty_typeENS0_5tupleIJS8_S9_EEENSB_IJS8_SA_EEENS0_18inequality_wrapperIZN2at6native12_GLOBAL__N_124unique_dim_cuda_templateIN3c108BFloat16EEESt5tupleIJNSF_6TensorESM_SM_EERKSM_lbbbEUlllE0_EEPmJS9_EEE10hipError_tPvRmT3_T4_T5_T6_T7_T9_mT8_P12ihipStream_tbDpT10_ENKUlT_T0_E_clISt17integral_constantIbLb1EES1B_IbLb0EEEEDaS17_S18_EUlS17_E_NS1_11comp_targetILNS1_3genE3ELNS1_11target_archE908ELNS1_3gpuE7ELNS1_3repE0EEENS1_30default_config_static_selectorELNS0_4arch9wavefront6targetE1EEEvT1_,comdat
	.globl	_ZN7rocprim17ROCPRIM_400000_NS6detail17trampoline_kernelINS0_14default_configENS1_25partition_config_selectorILNS1_17partition_subalgoE9EllbEEZZNS1_14partition_implILS5_9ELb0ES3_jPlS8_PNS0_10empty_typeENS0_5tupleIJS8_S9_EEENSB_IJS8_SA_EEENS0_18inequality_wrapperIZN2at6native12_GLOBAL__N_124unique_dim_cuda_templateIN3c108BFloat16EEESt5tupleIJNSF_6TensorESM_SM_EERKSM_lbbbEUlllE0_EEPmJS9_EEE10hipError_tPvRmT3_T4_T5_T6_T7_T9_mT8_P12ihipStream_tbDpT10_ENKUlT_T0_E_clISt17integral_constantIbLb1EES1B_IbLb0EEEEDaS17_S18_EUlS17_E_NS1_11comp_targetILNS1_3genE3ELNS1_11target_archE908ELNS1_3gpuE7ELNS1_3repE0EEENS1_30default_config_static_selectorELNS0_4arch9wavefront6targetE1EEEvT1_ ; -- Begin function _ZN7rocprim17ROCPRIM_400000_NS6detail17trampoline_kernelINS0_14default_configENS1_25partition_config_selectorILNS1_17partition_subalgoE9EllbEEZZNS1_14partition_implILS5_9ELb0ES3_jPlS8_PNS0_10empty_typeENS0_5tupleIJS8_S9_EEENSB_IJS8_SA_EEENS0_18inequality_wrapperIZN2at6native12_GLOBAL__N_124unique_dim_cuda_templateIN3c108BFloat16EEESt5tupleIJNSF_6TensorESM_SM_EERKSM_lbbbEUlllE0_EEPmJS9_EEE10hipError_tPvRmT3_T4_T5_T6_T7_T9_mT8_P12ihipStream_tbDpT10_ENKUlT_T0_E_clISt17integral_constantIbLb1EES1B_IbLb0EEEEDaS17_S18_EUlS17_E_NS1_11comp_targetILNS1_3genE3ELNS1_11target_archE908ELNS1_3gpuE7ELNS1_3repE0EEENS1_30default_config_static_selectorELNS0_4arch9wavefront6targetE1EEEvT1_
	.p2align	8
	.type	_ZN7rocprim17ROCPRIM_400000_NS6detail17trampoline_kernelINS0_14default_configENS1_25partition_config_selectorILNS1_17partition_subalgoE9EllbEEZZNS1_14partition_implILS5_9ELb0ES3_jPlS8_PNS0_10empty_typeENS0_5tupleIJS8_S9_EEENSB_IJS8_SA_EEENS0_18inequality_wrapperIZN2at6native12_GLOBAL__N_124unique_dim_cuda_templateIN3c108BFloat16EEESt5tupleIJNSF_6TensorESM_SM_EERKSM_lbbbEUlllE0_EEPmJS9_EEE10hipError_tPvRmT3_T4_T5_T6_T7_T9_mT8_P12ihipStream_tbDpT10_ENKUlT_T0_E_clISt17integral_constantIbLb1EES1B_IbLb0EEEEDaS17_S18_EUlS17_E_NS1_11comp_targetILNS1_3genE3ELNS1_11target_archE908ELNS1_3gpuE7ELNS1_3repE0EEENS1_30default_config_static_selectorELNS0_4arch9wavefront6targetE1EEEvT1_,@function
_ZN7rocprim17ROCPRIM_400000_NS6detail17trampoline_kernelINS0_14default_configENS1_25partition_config_selectorILNS1_17partition_subalgoE9EllbEEZZNS1_14partition_implILS5_9ELb0ES3_jPlS8_PNS0_10empty_typeENS0_5tupleIJS8_S9_EEENSB_IJS8_SA_EEENS0_18inequality_wrapperIZN2at6native12_GLOBAL__N_124unique_dim_cuda_templateIN3c108BFloat16EEESt5tupleIJNSF_6TensorESM_SM_EERKSM_lbbbEUlllE0_EEPmJS9_EEE10hipError_tPvRmT3_T4_T5_T6_T7_T9_mT8_P12ihipStream_tbDpT10_ENKUlT_T0_E_clISt17integral_constantIbLb1EES1B_IbLb0EEEEDaS17_S18_EUlS17_E_NS1_11comp_targetILNS1_3genE3ELNS1_11target_archE908ELNS1_3gpuE7ELNS1_3repE0EEENS1_30default_config_static_selectorELNS0_4arch9wavefront6targetE1EEEvT1_: ; @_ZN7rocprim17ROCPRIM_400000_NS6detail17trampoline_kernelINS0_14default_configENS1_25partition_config_selectorILNS1_17partition_subalgoE9EllbEEZZNS1_14partition_implILS5_9ELb0ES3_jPlS8_PNS0_10empty_typeENS0_5tupleIJS8_S9_EEENSB_IJS8_SA_EEENS0_18inequality_wrapperIZN2at6native12_GLOBAL__N_124unique_dim_cuda_templateIN3c108BFloat16EEESt5tupleIJNSF_6TensorESM_SM_EERKSM_lbbbEUlllE0_EEPmJS9_EEE10hipError_tPvRmT3_T4_T5_T6_T7_T9_mT8_P12ihipStream_tbDpT10_ENKUlT_T0_E_clISt17integral_constantIbLb1EES1B_IbLb0EEEEDaS17_S18_EUlS17_E_NS1_11comp_targetILNS1_3genE3ELNS1_11target_archE908ELNS1_3gpuE7ELNS1_3repE0EEENS1_30default_config_static_selectorELNS0_4arch9wavefront6targetE1EEEvT1_
; %bb.0:
	.section	.rodata,"a",@progbits
	.p2align	6, 0x0
	.amdhsa_kernel _ZN7rocprim17ROCPRIM_400000_NS6detail17trampoline_kernelINS0_14default_configENS1_25partition_config_selectorILNS1_17partition_subalgoE9EllbEEZZNS1_14partition_implILS5_9ELb0ES3_jPlS8_PNS0_10empty_typeENS0_5tupleIJS8_S9_EEENSB_IJS8_SA_EEENS0_18inequality_wrapperIZN2at6native12_GLOBAL__N_124unique_dim_cuda_templateIN3c108BFloat16EEESt5tupleIJNSF_6TensorESM_SM_EERKSM_lbbbEUlllE0_EEPmJS9_EEE10hipError_tPvRmT3_T4_T5_T6_T7_T9_mT8_P12ihipStream_tbDpT10_ENKUlT_T0_E_clISt17integral_constantIbLb1EES1B_IbLb0EEEEDaS17_S18_EUlS17_E_NS1_11comp_targetILNS1_3genE3ELNS1_11target_archE908ELNS1_3gpuE7ELNS1_3repE0EEENS1_30default_config_static_selectorELNS0_4arch9wavefront6targetE1EEEvT1_
		.amdhsa_group_segment_fixed_size 0
		.amdhsa_private_segment_fixed_size 0
		.amdhsa_kernarg_size 120
		.amdhsa_user_sgpr_count 2
		.amdhsa_user_sgpr_dispatch_ptr 0
		.amdhsa_user_sgpr_queue_ptr 0
		.amdhsa_user_sgpr_kernarg_segment_ptr 1
		.amdhsa_user_sgpr_dispatch_id 0
		.amdhsa_user_sgpr_kernarg_preload_length 0
		.amdhsa_user_sgpr_kernarg_preload_offset 0
		.amdhsa_user_sgpr_private_segment_size 0
		.amdhsa_uses_dynamic_stack 0
		.amdhsa_enable_private_segment 0
		.amdhsa_system_sgpr_workgroup_id_x 1
		.amdhsa_system_sgpr_workgroup_id_y 0
		.amdhsa_system_sgpr_workgroup_id_z 0
		.amdhsa_system_sgpr_workgroup_info 0
		.amdhsa_system_vgpr_workitem_id 0
		.amdhsa_next_free_vgpr 1
		.amdhsa_next_free_sgpr 0
		.amdhsa_accum_offset 4
		.amdhsa_reserve_vcc 0
		.amdhsa_float_round_mode_32 0
		.amdhsa_float_round_mode_16_64 0
		.amdhsa_float_denorm_mode_32 3
		.amdhsa_float_denorm_mode_16_64 3
		.amdhsa_dx10_clamp 1
		.amdhsa_ieee_mode 1
		.amdhsa_fp16_overflow 0
		.amdhsa_tg_split 0
		.amdhsa_exception_fp_ieee_invalid_op 0
		.amdhsa_exception_fp_denorm_src 0
		.amdhsa_exception_fp_ieee_div_zero 0
		.amdhsa_exception_fp_ieee_overflow 0
		.amdhsa_exception_fp_ieee_underflow 0
		.amdhsa_exception_fp_ieee_inexact 0
		.amdhsa_exception_int_div_zero 0
	.end_amdhsa_kernel
	.section	.text._ZN7rocprim17ROCPRIM_400000_NS6detail17trampoline_kernelINS0_14default_configENS1_25partition_config_selectorILNS1_17partition_subalgoE9EllbEEZZNS1_14partition_implILS5_9ELb0ES3_jPlS8_PNS0_10empty_typeENS0_5tupleIJS8_S9_EEENSB_IJS8_SA_EEENS0_18inequality_wrapperIZN2at6native12_GLOBAL__N_124unique_dim_cuda_templateIN3c108BFloat16EEESt5tupleIJNSF_6TensorESM_SM_EERKSM_lbbbEUlllE0_EEPmJS9_EEE10hipError_tPvRmT3_T4_T5_T6_T7_T9_mT8_P12ihipStream_tbDpT10_ENKUlT_T0_E_clISt17integral_constantIbLb1EES1B_IbLb0EEEEDaS17_S18_EUlS17_E_NS1_11comp_targetILNS1_3genE3ELNS1_11target_archE908ELNS1_3gpuE7ELNS1_3repE0EEENS1_30default_config_static_selectorELNS0_4arch9wavefront6targetE1EEEvT1_,"axG",@progbits,_ZN7rocprim17ROCPRIM_400000_NS6detail17trampoline_kernelINS0_14default_configENS1_25partition_config_selectorILNS1_17partition_subalgoE9EllbEEZZNS1_14partition_implILS5_9ELb0ES3_jPlS8_PNS0_10empty_typeENS0_5tupleIJS8_S9_EEENSB_IJS8_SA_EEENS0_18inequality_wrapperIZN2at6native12_GLOBAL__N_124unique_dim_cuda_templateIN3c108BFloat16EEESt5tupleIJNSF_6TensorESM_SM_EERKSM_lbbbEUlllE0_EEPmJS9_EEE10hipError_tPvRmT3_T4_T5_T6_T7_T9_mT8_P12ihipStream_tbDpT10_ENKUlT_T0_E_clISt17integral_constantIbLb1EES1B_IbLb0EEEEDaS17_S18_EUlS17_E_NS1_11comp_targetILNS1_3genE3ELNS1_11target_archE908ELNS1_3gpuE7ELNS1_3repE0EEENS1_30default_config_static_selectorELNS0_4arch9wavefront6targetE1EEEvT1_,comdat
.Lfunc_end1233:
	.size	_ZN7rocprim17ROCPRIM_400000_NS6detail17trampoline_kernelINS0_14default_configENS1_25partition_config_selectorILNS1_17partition_subalgoE9EllbEEZZNS1_14partition_implILS5_9ELb0ES3_jPlS8_PNS0_10empty_typeENS0_5tupleIJS8_S9_EEENSB_IJS8_SA_EEENS0_18inequality_wrapperIZN2at6native12_GLOBAL__N_124unique_dim_cuda_templateIN3c108BFloat16EEESt5tupleIJNSF_6TensorESM_SM_EERKSM_lbbbEUlllE0_EEPmJS9_EEE10hipError_tPvRmT3_T4_T5_T6_T7_T9_mT8_P12ihipStream_tbDpT10_ENKUlT_T0_E_clISt17integral_constantIbLb1EES1B_IbLb0EEEEDaS17_S18_EUlS17_E_NS1_11comp_targetILNS1_3genE3ELNS1_11target_archE908ELNS1_3gpuE7ELNS1_3repE0EEENS1_30default_config_static_selectorELNS0_4arch9wavefront6targetE1EEEvT1_, .Lfunc_end1233-_ZN7rocprim17ROCPRIM_400000_NS6detail17trampoline_kernelINS0_14default_configENS1_25partition_config_selectorILNS1_17partition_subalgoE9EllbEEZZNS1_14partition_implILS5_9ELb0ES3_jPlS8_PNS0_10empty_typeENS0_5tupleIJS8_S9_EEENSB_IJS8_SA_EEENS0_18inequality_wrapperIZN2at6native12_GLOBAL__N_124unique_dim_cuda_templateIN3c108BFloat16EEESt5tupleIJNSF_6TensorESM_SM_EERKSM_lbbbEUlllE0_EEPmJS9_EEE10hipError_tPvRmT3_T4_T5_T6_T7_T9_mT8_P12ihipStream_tbDpT10_ENKUlT_T0_E_clISt17integral_constantIbLb1EES1B_IbLb0EEEEDaS17_S18_EUlS17_E_NS1_11comp_targetILNS1_3genE3ELNS1_11target_archE908ELNS1_3gpuE7ELNS1_3repE0EEENS1_30default_config_static_selectorELNS0_4arch9wavefront6targetE1EEEvT1_
                                        ; -- End function
	.section	.AMDGPU.csdata,"",@progbits
; Kernel info:
; codeLenInByte = 0
; NumSgprs: 6
; NumVgprs: 0
; NumAgprs: 0
; TotalNumVgprs: 0
; ScratchSize: 0
; MemoryBound: 0
; FloatMode: 240
; IeeeMode: 1
; LDSByteSize: 0 bytes/workgroup (compile time only)
; SGPRBlocks: 0
; VGPRBlocks: 0
; NumSGPRsForWavesPerEU: 6
; NumVGPRsForWavesPerEU: 1
; AccumOffset: 4
; Occupancy: 8
; WaveLimiterHint : 0
; COMPUTE_PGM_RSRC2:SCRATCH_EN: 0
; COMPUTE_PGM_RSRC2:USER_SGPR: 2
; COMPUTE_PGM_RSRC2:TRAP_HANDLER: 0
; COMPUTE_PGM_RSRC2:TGID_X_EN: 1
; COMPUTE_PGM_RSRC2:TGID_Y_EN: 0
; COMPUTE_PGM_RSRC2:TGID_Z_EN: 0
; COMPUTE_PGM_RSRC2:TIDIG_COMP_CNT: 0
; COMPUTE_PGM_RSRC3_GFX90A:ACCUM_OFFSET: 0
; COMPUTE_PGM_RSRC3_GFX90A:TG_SPLIT: 0
	.section	.text._ZN7rocprim17ROCPRIM_400000_NS6detail17trampoline_kernelINS0_14default_configENS1_25partition_config_selectorILNS1_17partition_subalgoE9EllbEEZZNS1_14partition_implILS5_9ELb0ES3_jPlS8_PNS0_10empty_typeENS0_5tupleIJS8_S9_EEENSB_IJS8_SA_EEENS0_18inequality_wrapperIZN2at6native12_GLOBAL__N_124unique_dim_cuda_templateIN3c108BFloat16EEESt5tupleIJNSF_6TensorESM_SM_EERKSM_lbbbEUlllE0_EEPmJS9_EEE10hipError_tPvRmT3_T4_T5_T6_T7_T9_mT8_P12ihipStream_tbDpT10_ENKUlT_T0_E_clISt17integral_constantIbLb1EES1B_IbLb0EEEEDaS17_S18_EUlS17_E_NS1_11comp_targetILNS1_3genE2ELNS1_11target_archE906ELNS1_3gpuE6ELNS1_3repE0EEENS1_30default_config_static_selectorELNS0_4arch9wavefront6targetE1EEEvT1_,"axG",@progbits,_ZN7rocprim17ROCPRIM_400000_NS6detail17trampoline_kernelINS0_14default_configENS1_25partition_config_selectorILNS1_17partition_subalgoE9EllbEEZZNS1_14partition_implILS5_9ELb0ES3_jPlS8_PNS0_10empty_typeENS0_5tupleIJS8_S9_EEENSB_IJS8_SA_EEENS0_18inequality_wrapperIZN2at6native12_GLOBAL__N_124unique_dim_cuda_templateIN3c108BFloat16EEESt5tupleIJNSF_6TensorESM_SM_EERKSM_lbbbEUlllE0_EEPmJS9_EEE10hipError_tPvRmT3_T4_T5_T6_T7_T9_mT8_P12ihipStream_tbDpT10_ENKUlT_T0_E_clISt17integral_constantIbLb1EES1B_IbLb0EEEEDaS17_S18_EUlS17_E_NS1_11comp_targetILNS1_3genE2ELNS1_11target_archE906ELNS1_3gpuE6ELNS1_3repE0EEENS1_30default_config_static_selectorELNS0_4arch9wavefront6targetE1EEEvT1_,comdat
	.globl	_ZN7rocprim17ROCPRIM_400000_NS6detail17trampoline_kernelINS0_14default_configENS1_25partition_config_selectorILNS1_17partition_subalgoE9EllbEEZZNS1_14partition_implILS5_9ELb0ES3_jPlS8_PNS0_10empty_typeENS0_5tupleIJS8_S9_EEENSB_IJS8_SA_EEENS0_18inequality_wrapperIZN2at6native12_GLOBAL__N_124unique_dim_cuda_templateIN3c108BFloat16EEESt5tupleIJNSF_6TensorESM_SM_EERKSM_lbbbEUlllE0_EEPmJS9_EEE10hipError_tPvRmT3_T4_T5_T6_T7_T9_mT8_P12ihipStream_tbDpT10_ENKUlT_T0_E_clISt17integral_constantIbLb1EES1B_IbLb0EEEEDaS17_S18_EUlS17_E_NS1_11comp_targetILNS1_3genE2ELNS1_11target_archE906ELNS1_3gpuE6ELNS1_3repE0EEENS1_30default_config_static_selectorELNS0_4arch9wavefront6targetE1EEEvT1_ ; -- Begin function _ZN7rocprim17ROCPRIM_400000_NS6detail17trampoline_kernelINS0_14default_configENS1_25partition_config_selectorILNS1_17partition_subalgoE9EllbEEZZNS1_14partition_implILS5_9ELb0ES3_jPlS8_PNS0_10empty_typeENS0_5tupleIJS8_S9_EEENSB_IJS8_SA_EEENS0_18inequality_wrapperIZN2at6native12_GLOBAL__N_124unique_dim_cuda_templateIN3c108BFloat16EEESt5tupleIJNSF_6TensorESM_SM_EERKSM_lbbbEUlllE0_EEPmJS9_EEE10hipError_tPvRmT3_T4_T5_T6_T7_T9_mT8_P12ihipStream_tbDpT10_ENKUlT_T0_E_clISt17integral_constantIbLb1EES1B_IbLb0EEEEDaS17_S18_EUlS17_E_NS1_11comp_targetILNS1_3genE2ELNS1_11target_archE906ELNS1_3gpuE6ELNS1_3repE0EEENS1_30default_config_static_selectorELNS0_4arch9wavefront6targetE1EEEvT1_
	.p2align	8
	.type	_ZN7rocprim17ROCPRIM_400000_NS6detail17trampoline_kernelINS0_14default_configENS1_25partition_config_selectorILNS1_17partition_subalgoE9EllbEEZZNS1_14partition_implILS5_9ELb0ES3_jPlS8_PNS0_10empty_typeENS0_5tupleIJS8_S9_EEENSB_IJS8_SA_EEENS0_18inequality_wrapperIZN2at6native12_GLOBAL__N_124unique_dim_cuda_templateIN3c108BFloat16EEESt5tupleIJNSF_6TensorESM_SM_EERKSM_lbbbEUlllE0_EEPmJS9_EEE10hipError_tPvRmT3_T4_T5_T6_T7_T9_mT8_P12ihipStream_tbDpT10_ENKUlT_T0_E_clISt17integral_constantIbLb1EES1B_IbLb0EEEEDaS17_S18_EUlS17_E_NS1_11comp_targetILNS1_3genE2ELNS1_11target_archE906ELNS1_3gpuE6ELNS1_3repE0EEENS1_30default_config_static_selectorELNS0_4arch9wavefront6targetE1EEEvT1_,@function
_ZN7rocprim17ROCPRIM_400000_NS6detail17trampoline_kernelINS0_14default_configENS1_25partition_config_selectorILNS1_17partition_subalgoE9EllbEEZZNS1_14partition_implILS5_9ELb0ES3_jPlS8_PNS0_10empty_typeENS0_5tupleIJS8_S9_EEENSB_IJS8_SA_EEENS0_18inequality_wrapperIZN2at6native12_GLOBAL__N_124unique_dim_cuda_templateIN3c108BFloat16EEESt5tupleIJNSF_6TensorESM_SM_EERKSM_lbbbEUlllE0_EEPmJS9_EEE10hipError_tPvRmT3_T4_T5_T6_T7_T9_mT8_P12ihipStream_tbDpT10_ENKUlT_T0_E_clISt17integral_constantIbLb1EES1B_IbLb0EEEEDaS17_S18_EUlS17_E_NS1_11comp_targetILNS1_3genE2ELNS1_11target_archE906ELNS1_3gpuE6ELNS1_3repE0EEENS1_30default_config_static_selectorELNS0_4arch9wavefront6targetE1EEEvT1_: ; @_ZN7rocprim17ROCPRIM_400000_NS6detail17trampoline_kernelINS0_14default_configENS1_25partition_config_selectorILNS1_17partition_subalgoE9EllbEEZZNS1_14partition_implILS5_9ELb0ES3_jPlS8_PNS0_10empty_typeENS0_5tupleIJS8_S9_EEENSB_IJS8_SA_EEENS0_18inequality_wrapperIZN2at6native12_GLOBAL__N_124unique_dim_cuda_templateIN3c108BFloat16EEESt5tupleIJNSF_6TensorESM_SM_EERKSM_lbbbEUlllE0_EEPmJS9_EEE10hipError_tPvRmT3_T4_T5_T6_T7_T9_mT8_P12ihipStream_tbDpT10_ENKUlT_T0_E_clISt17integral_constantIbLb1EES1B_IbLb0EEEEDaS17_S18_EUlS17_E_NS1_11comp_targetILNS1_3genE2ELNS1_11target_archE906ELNS1_3gpuE6ELNS1_3repE0EEENS1_30default_config_static_selectorELNS0_4arch9wavefront6targetE1EEEvT1_
; %bb.0:
	.section	.rodata,"a",@progbits
	.p2align	6, 0x0
	.amdhsa_kernel _ZN7rocprim17ROCPRIM_400000_NS6detail17trampoline_kernelINS0_14default_configENS1_25partition_config_selectorILNS1_17partition_subalgoE9EllbEEZZNS1_14partition_implILS5_9ELb0ES3_jPlS8_PNS0_10empty_typeENS0_5tupleIJS8_S9_EEENSB_IJS8_SA_EEENS0_18inequality_wrapperIZN2at6native12_GLOBAL__N_124unique_dim_cuda_templateIN3c108BFloat16EEESt5tupleIJNSF_6TensorESM_SM_EERKSM_lbbbEUlllE0_EEPmJS9_EEE10hipError_tPvRmT3_T4_T5_T6_T7_T9_mT8_P12ihipStream_tbDpT10_ENKUlT_T0_E_clISt17integral_constantIbLb1EES1B_IbLb0EEEEDaS17_S18_EUlS17_E_NS1_11comp_targetILNS1_3genE2ELNS1_11target_archE906ELNS1_3gpuE6ELNS1_3repE0EEENS1_30default_config_static_selectorELNS0_4arch9wavefront6targetE1EEEvT1_
		.amdhsa_group_segment_fixed_size 0
		.amdhsa_private_segment_fixed_size 0
		.amdhsa_kernarg_size 120
		.amdhsa_user_sgpr_count 2
		.amdhsa_user_sgpr_dispatch_ptr 0
		.amdhsa_user_sgpr_queue_ptr 0
		.amdhsa_user_sgpr_kernarg_segment_ptr 1
		.amdhsa_user_sgpr_dispatch_id 0
		.amdhsa_user_sgpr_kernarg_preload_length 0
		.amdhsa_user_sgpr_kernarg_preload_offset 0
		.amdhsa_user_sgpr_private_segment_size 0
		.amdhsa_uses_dynamic_stack 0
		.amdhsa_enable_private_segment 0
		.amdhsa_system_sgpr_workgroup_id_x 1
		.amdhsa_system_sgpr_workgroup_id_y 0
		.amdhsa_system_sgpr_workgroup_id_z 0
		.amdhsa_system_sgpr_workgroup_info 0
		.amdhsa_system_vgpr_workitem_id 0
		.amdhsa_next_free_vgpr 1
		.amdhsa_next_free_sgpr 0
		.amdhsa_accum_offset 4
		.amdhsa_reserve_vcc 0
		.amdhsa_float_round_mode_32 0
		.amdhsa_float_round_mode_16_64 0
		.amdhsa_float_denorm_mode_32 3
		.amdhsa_float_denorm_mode_16_64 3
		.amdhsa_dx10_clamp 1
		.amdhsa_ieee_mode 1
		.amdhsa_fp16_overflow 0
		.amdhsa_tg_split 0
		.amdhsa_exception_fp_ieee_invalid_op 0
		.amdhsa_exception_fp_denorm_src 0
		.amdhsa_exception_fp_ieee_div_zero 0
		.amdhsa_exception_fp_ieee_overflow 0
		.amdhsa_exception_fp_ieee_underflow 0
		.amdhsa_exception_fp_ieee_inexact 0
		.amdhsa_exception_int_div_zero 0
	.end_amdhsa_kernel
	.section	.text._ZN7rocprim17ROCPRIM_400000_NS6detail17trampoline_kernelINS0_14default_configENS1_25partition_config_selectorILNS1_17partition_subalgoE9EllbEEZZNS1_14partition_implILS5_9ELb0ES3_jPlS8_PNS0_10empty_typeENS0_5tupleIJS8_S9_EEENSB_IJS8_SA_EEENS0_18inequality_wrapperIZN2at6native12_GLOBAL__N_124unique_dim_cuda_templateIN3c108BFloat16EEESt5tupleIJNSF_6TensorESM_SM_EERKSM_lbbbEUlllE0_EEPmJS9_EEE10hipError_tPvRmT3_T4_T5_T6_T7_T9_mT8_P12ihipStream_tbDpT10_ENKUlT_T0_E_clISt17integral_constantIbLb1EES1B_IbLb0EEEEDaS17_S18_EUlS17_E_NS1_11comp_targetILNS1_3genE2ELNS1_11target_archE906ELNS1_3gpuE6ELNS1_3repE0EEENS1_30default_config_static_selectorELNS0_4arch9wavefront6targetE1EEEvT1_,"axG",@progbits,_ZN7rocprim17ROCPRIM_400000_NS6detail17trampoline_kernelINS0_14default_configENS1_25partition_config_selectorILNS1_17partition_subalgoE9EllbEEZZNS1_14partition_implILS5_9ELb0ES3_jPlS8_PNS0_10empty_typeENS0_5tupleIJS8_S9_EEENSB_IJS8_SA_EEENS0_18inequality_wrapperIZN2at6native12_GLOBAL__N_124unique_dim_cuda_templateIN3c108BFloat16EEESt5tupleIJNSF_6TensorESM_SM_EERKSM_lbbbEUlllE0_EEPmJS9_EEE10hipError_tPvRmT3_T4_T5_T6_T7_T9_mT8_P12ihipStream_tbDpT10_ENKUlT_T0_E_clISt17integral_constantIbLb1EES1B_IbLb0EEEEDaS17_S18_EUlS17_E_NS1_11comp_targetILNS1_3genE2ELNS1_11target_archE906ELNS1_3gpuE6ELNS1_3repE0EEENS1_30default_config_static_selectorELNS0_4arch9wavefront6targetE1EEEvT1_,comdat
.Lfunc_end1234:
	.size	_ZN7rocprim17ROCPRIM_400000_NS6detail17trampoline_kernelINS0_14default_configENS1_25partition_config_selectorILNS1_17partition_subalgoE9EllbEEZZNS1_14partition_implILS5_9ELb0ES3_jPlS8_PNS0_10empty_typeENS0_5tupleIJS8_S9_EEENSB_IJS8_SA_EEENS0_18inequality_wrapperIZN2at6native12_GLOBAL__N_124unique_dim_cuda_templateIN3c108BFloat16EEESt5tupleIJNSF_6TensorESM_SM_EERKSM_lbbbEUlllE0_EEPmJS9_EEE10hipError_tPvRmT3_T4_T5_T6_T7_T9_mT8_P12ihipStream_tbDpT10_ENKUlT_T0_E_clISt17integral_constantIbLb1EES1B_IbLb0EEEEDaS17_S18_EUlS17_E_NS1_11comp_targetILNS1_3genE2ELNS1_11target_archE906ELNS1_3gpuE6ELNS1_3repE0EEENS1_30default_config_static_selectorELNS0_4arch9wavefront6targetE1EEEvT1_, .Lfunc_end1234-_ZN7rocprim17ROCPRIM_400000_NS6detail17trampoline_kernelINS0_14default_configENS1_25partition_config_selectorILNS1_17partition_subalgoE9EllbEEZZNS1_14partition_implILS5_9ELb0ES3_jPlS8_PNS0_10empty_typeENS0_5tupleIJS8_S9_EEENSB_IJS8_SA_EEENS0_18inequality_wrapperIZN2at6native12_GLOBAL__N_124unique_dim_cuda_templateIN3c108BFloat16EEESt5tupleIJNSF_6TensorESM_SM_EERKSM_lbbbEUlllE0_EEPmJS9_EEE10hipError_tPvRmT3_T4_T5_T6_T7_T9_mT8_P12ihipStream_tbDpT10_ENKUlT_T0_E_clISt17integral_constantIbLb1EES1B_IbLb0EEEEDaS17_S18_EUlS17_E_NS1_11comp_targetILNS1_3genE2ELNS1_11target_archE906ELNS1_3gpuE6ELNS1_3repE0EEENS1_30default_config_static_selectorELNS0_4arch9wavefront6targetE1EEEvT1_
                                        ; -- End function
	.section	.AMDGPU.csdata,"",@progbits
; Kernel info:
; codeLenInByte = 0
; NumSgprs: 6
; NumVgprs: 0
; NumAgprs: 0
; TotalNumVgprs: 0
; ScratchSize: 0
; MemoryBound: 0
; FloatMode: 240
; IeeeMode: 1
; LDSByteSize: 0 bytes/workgroup (compile time only)
; SGPRBlocks: 0
; VGPRBlocks: 0
; NumSGPRsForWavesPerEU: 6
; NumVGPRsForWavesPerEU: 1
; AccumOffset: 4
; Occupancy: 8
; WaveLimiterHint : 0
; COMPUTE_PGM_RSRC2:SCRATCH_EN: 0
; COMPUTE_PGM_RSRC2:USER_SGPR: 2
; COMPUTE_PGM_RSRC2:TRAP_HANDLER: 0
; COMPUTE_PGM_RSRC2:TGID_X_EN: 1
; COMPUTE_PGM_RSRC2:TGID_Y_EN: 0
; COMPUTE_PGM_RSRC2:TGID_Z_EN: 0
; COMPUTE_PGM_RSRC2:TIDIG_COMP_CNT: 0
; COMPUTE_PGM_RSRC3_GFX90A:ACCUM_OFFSET: 0
; COMPUTE_PGM_RSRC3_GFX90A:TG_SPLIT: 0
	.section	.text._ZN7rocprim17ROCPRIM_400000_NS6detail17trampoline_kernelINS0_14default_configENS1_25partition_config_selectorILNS1_17partition_subalgoE9EllbEEZZNS1_14partition_implILS5_9ELb0ES3_jPlS8_PNS0_10empty_typeENS0_5tupleIJS8_S9_EEENSB_IJS8_SA_EEENS0_18inequality_wrapperIZN2at6native12_GLOBAL__N_124unique_dim_cuda_templateIN3c108BFloat16EEESt5tupleIJNSF_6TensorESM_SM_EERKSM_lbbbEUlllE0_EEPmJS9_EEE10hipError_tPvRmT3_T4_T5_T6_T7_T9_mT8_P12ihipStream_tbDpT10_ENKUlT_T0_E_clISt17integral_constantIbLb1EES1B_IbLb0EEEEDaS17_S18_EUlS17_E_NS1_11comp_targetILNS1_3genE10ELNS1_11target_archE1200ELNS1_3gpuE4ELNS1_3repE0EEENS1_30default_config_static_selectorELNS0_4arch9wavefront6targetE1EEEvT1_,"axG",@progbits,_ZN7rocprim17ROCPRIM_400000_NS6detail17trampoline_kernelINS0_14default_configENS1_25partition_config_selectorILNS1_17partition_subalgoE9EllbEEZZNS1_14partition_implILS5_9ELb0ES3_jPlS8_PNS0_10empty_typeENS0_5tupleIJS8_S9_EEENSB_IJS8_SA_EEENS0_18inequality_wrapperIZN2at6native12_GLOBAL__N_124unique_dim_cuda_templateIN3c108BFloat16EEESt5tupleIJNSF_6TensorESM_SM_EERKSM_lbbbEUlllE0_EEPmJS9_EEE10hipError_tPvRmT3_T4_T5_T6_T7_T9_mT8_P12ihipStream_tbDpT10_ENKUlT_T0_E_clISt17integral_constantIbLb1EES1B_IbLb0EEEEDaS17_S18_EUlS17_E_NS1_11comp_targetILNS1_3genE10ELNS1_11target_archE1200ELNS1_3gpuE4ELNS1_3repE0EEENS1_30default_config_static_selectorELNS0_4arch9wavefront6targetE1EEEvT1_,comdat
	.globl	_ZN7rocprim17ROCPRIM_400000_NS6detail17trampoline_kernelINS0_14default_configENS1_25partition_config_selectorILNS1_17partition_subalgoE9EllbEEZZNS1_14partition_implILS5_9ELb0ES3_jPlS8_PNS0_10empty_typeENS0_5tupleIJS8_S9_EEENSB_IJS8_SA_EEENS0_18inequality_wrapperIZN2at6native12_GLOBAL__N_124unique_dim_cuda_templateIN3c108BFloat16EEESt5tupleIJNSF_6TensorESM_SM_EERKSM_lbbbEUlllE0_EEPmJS9_EEE10hipError_tPvRmT3_T4_T5_T6_T7_T9_mT8_P12ihipStream_tbDpT10_ENKUlT_T0_E_clISt17integral_constantIbLb1EES1B_IbLb0EEEEDaS17_S18_EUlS17_E_NS1_11comp_targetILNS1_3genE10ELNS1_11target_archE1200ELNS1_3gpuE4ELNS1_3repE0EEENS1_30default_config_static_selectorELNS0_4arch9wavefront6targetE1EEEvT1_ ; -- Begin function _ZN7rocprim17ROCPRIM_400000_NS6detail17trampoline_kernelINS0_14default_configENS1_25partition_config_selectorILNS1_17partition_subalgoE9EllbEEZZNS1_14partition_implILS5_9ELb0ES3_jPlS8_PNS0_10empty_typeENS0_5tupleIJS8_S9_EEENSB_IJS8_SA_EEENS0_18inequality_wrapperIZN2at6native12_GLOBAL__N_124unique_dim_cuda_templateIN3c108BFloat16EEESt5tupleIJNSF_6TensorESM_SM_EERKSM_lbbbEUlllE0_EEPmJS9_EEE10hipError_tPvRmT3_T4_T5_T6_T7_T9_mT8_P12ihipStream_tbDpT10_ENKUlT_T0_E_clISt17integral_constantIbLb1EES1B_IbLb0EEEEDaS17_S18_EUlS17_E_NS1_11comp_targetILNS1_3genE10ELNS1_11target_archE1200ELNS1_3gpuE4ELNS1_3repE0EEENS1_30default_config_static_selectorELNS0_4arch9wavefront6targetE1EEEvT1_
	.p2align	8
	.type	_ZN7rocprim17ROCPRIM_400000_NS6detail17trampoline_kernelINS0_14default_configENS1_25partition_config_selectorILNS1_17partition_subalgoE9EllbEEZZNS1_14partition_implILS5_9ELb0ES3_jPlS8_PNS0_10empty_typeENS0_5tupleIJS8_S9_EEENSB_IJS8_SA_EEENS0_18inequality_wrapperIZN2at6native12_GLOBAL__N_124unique_dim_cuda_templateIN3c108BFloat16EEESt5tupleIJNSF_6TensorESM_SM_EERKSM_lbbbEUlllE0_EEPmJS9_EEE10hipError_tPvRmT3_T4_T5_T6_T7_T9_mT8_P12ihipStream_tbDpT10_ENKUlT_T0_E_clISt17integral_constantIbLb1EES1B_IbLb0EEEEDaS17_S18_EUlS17_E_NS1_11comp_targetILNS1_3genE10ELNS1_11target_archE1200ELNS1_3gpuE4ELNS1_3repE0EEENS1_30default_config_static_selectorELNS0_4arch9wavefront6targetE1EEEvT1_,@function
_ZN7rocprim17ROCPRIM_400000_NS6detail17trampoline_kernelINS0_14default_configENS1_25partition_config_selectorILNS1_17partition_subalgoE9EllbEEZZNS1_14partition_implILS5_9ELb0ES3_jPlS8_PNS0_10empty_typeENS0_5tupleIJS8_S9_EEENSB_IJS8_SA_EEENS0_18inequality_wrapperIZN2at6native12_GLOBAL__N_124unique_dim_cuda_templateIN3c108BFloat16EEESt5tupleIJNSF_6TensorESM_SM_EERKSM_lbbbEUlllE0_EEPmJS9_EEE10hipError_tPvRmT3_T4_T5_T6_T7_T9_mT8_P12ihipStream_tbDpT10_ENKUlT_T0_E_clISt17integral_constantIbLb1EES1B_IbLb0EEEEDaS17_S18_EUlS17_E_NS1_11comp_targetILNS1_3genE10ELNS1_11target_archE1200ELNS1_3gpuE4ELNS1_3repE0EEENS1_30default_config_static_selectorELNS0_4arch9wavefront6targetE1EEEvT1_: ; @_ZN7rocprim17ROCPRIM_400000_NS6detail17trampoline_kernelINS0_14default_configENS1_25partition_config_selectorILNS1_17partition_subalgoE9EllbEEZZNS1_14partition_implILS5_9ELb0ES3_jPlS8_PNS0_10empty_typeENS0_5tupleIJS8_S9_EEENSB_IJS8_SA_EEENS0_18inequality_wrapperIZN2at6native12_GLOBAL__N_124unique_dim_cuda_templateIN3c108BFloat16EEESt5tupleIJNSF_6TensorESM_SM_EERKSM_lbbbEUlllE0_EEPmJS9_EEE10hipError_tPvRmT3_T4_T5_T6_T7_T9_mT8_P12ihipStream_tbDpT10_ENKUlT_T0_E_clISt17integral_constantIbLb1EES1B_IbLb0EEEEDaS17_S18_EUlS17_E_NS1_11comp_targetILNS1_3genE10ELNS1_11target_archE1200ELNS1_3gpuE4ELNS1_3repE0EEENS1_30default_config_static_selectorELNS0_4arch9wavefront6targetE1EEEvT1_
; %bb.0:
	.section	.rodata,"a",@progbits
	.p2align	6, 0x0
	.amdhsa_kernel _ZN7rocprim17ROCPRIM_400000_NS6detail17trampoline_kernelINS0_14default_configENS1_25partition_config_selectorILNS1_17partition_subalgoE9EllbEEZZNS1_14partition_implILS5_9ELb0ES3_jPlS8_PNS0_10empty_typeENS0_5tupleIJS8_S9_EEENSB_IJS8_SA_EEENS0_18inequality_wrapperIZN2at6native12_GLOBAL__N_124unique_dim_cuda_templateIN3c108BFloat16EEESt5tupleIJNSF_6TensorESM_SM_EERKSM_lbbbEUlllE0_EEPmJS9_EEE10hipError_tPvRmT3_T4_T5_T6_T7_T9_mT8_P12ihipStream_tbDpT10_ENKUlT_T0_E_clISt17integral_constantIbLb1EES1B_IbLb0EEEEDaS17_S18_EUlS17_E_NS1_11comp_targetILNS1_3genE10ELNS1_11target_archE1200ELNS1_3gpuE4ELNS1_3repE0EEENS1_30default_config_static_selectorELNS0_4arch9wavefront6targetE1EEEvT1_
		.amdhsa_group_segment_fixed_size 0
		.amdhsa_private_segment_fixed_size 0
		.amdhsa_kernarg_size 120
		.amdhsa_user_sgpr_count 2
		.amdhsa_user_sgpr_dispatch_ptr 0
		.amdhsa_user_sgpr_queue_ptr 0
		.amdhsa_user_sgpr_kernarg_segment_ptr 1
		.amdhsa_user_sgpr_dispatch_id 0
		.amdhsa_user_sgpr_kernarg_preload_length 0
		.amdhsa_user_sgpr_kernarg_preload_offset 0
		.amdhsa_user_sgpr_private_segment_size 0
		.amdhsa_uses_dynamic_stack 0
		.amdhsa_enable_private_segment 0
		.amdhsa_system_sgpr_workgroup_id_x 1
		.amdhsa_system_sgpr_workgroup_id_y 0
		.amdhsa_system_sgpr_workgroup_id_z 0
		.amdhsa_system_sgpr_workgroup_info 0
		.amdhsa_system_vgpr_workitem_id 0
		.amdhsa_next_free_vgpr 1
		.amdhsa_next_free_sgpr 0
		.amdhsa_accum_offset 4
		.amdhsa_reserve_vcc 0
		.amdhsa_float_round_mode_32 0
		.amdhsa_float_round_mode_16_64 0
		.amdhsa_float_denorm_mode_32 3
		.amdhsa_float_denorm_mode_16_64 3
		.amdhsa_dx10_clamp 1
		.amdhsa_ieee_mode 1
		.amdhsa_fp16_overflow 0
		.amdhsa_tg_split 0
		.amdhsa_exception_fp_ieee_invalid_op 0
		.amdhsa_exception_fp_denorm_src 0
		.amdhsa_exception_fp_ieee_div_zero 0
		.amdhsa_exception_fp_ieee_overflow 0
		.amdhsa_exception_fp_ieee_underflow 0
		.amdhsa_exception_fp_ieee_inexact 0
		.amdhsa_exception_int_div_zero 0
	.end_amdhsa_kernel
	.section	.text._ZN7rocprim17ROCPRIM_400000_NS6detail17trampoline_kernelINS0_14default_configENS1_25partition_config_selectorILNS1_17partition_subalgoE9EllbEEZZNS1_14partition_implILS5_9ELb0ES3_jPlS8_PNS0_10empty_typeENS0_5tupleIJS8_S9_EEENSB_IJS8_SA_EEENS0_18inequality_wrapperIZN2at6native12_GLOBAL__N_124unique_dim_cuda_templateIN3c108BFloat16EEESt5tupleIJNSF_6TensorESM_SM_EERKSM_lbbbEUlllE0_EEPmJS9_EEE10hipError_tPvRmT3_T4_T5_T6_T7_T9_mT8_P12ihipStream_tbDpT10_ENKUlT_T0_E_clISt17integral_constantIbLb1EES1B_IbLb0EEEEDaS17_S18_EUlS17_E_NS1_11comp_targetILNS1_3genE10ELNS1_11target_archE1200ELNS1_3gpuE4ELNS1_3repE0EEENS1_30default_config_static_selectorELNS0_4arch9wavefront6targetE1EEEvT1_,"axG",@progbits,_ZN7rocprim17ROCPRIM_400000_NS6detail17trampoline_kernelINS0_14default_configENS1_25partition_config_selectorILNS1_17partition_subalgoE9EllbEEZZNS1_14partition_implILS5_9ELb0ES3_jPlS8_PNS0_10empty_typeENS0_5tupleIJS8_S9_EEENSB_IJS8_SA_EEENS0_18inequality_wrapperIZN2at6native12_GLOBAL__N_124unique_dim_cuda_templateIN3c108BFloat16EEESt5tupleIJNSF_6TensorESM_SM_EERKSM_lbbbEUlllE0_EEPmJS9_EEE10hipError_tPvRmT3_T4_T5_T6_T7_T9_mT8_P12ihipStream_tbDpT10_ENKUlT_T0_E_clISt17integral_constantIbLb1EES1B_IbLb0EEEEDaS17_S18_EUlS17_E_NS1_11comp_targetILNS1_3genE10ELNS1_11target_archE1200ELNS1_3gpuE4ELNS1_3repE0EEENS1_30default_config_static_selectorELNS0_4arch9wavefront6targetE1EEEvT1_,comdat
.Lfunc_end1235:
	.size	_ZN7rocprim17ROCPRIM_400000_NS6detail17trampoline_kernelINS0_14default_configENS1_25partition_config_selectorILNS1_17partition_subalgoE9EllbEEZZNS1_14partition_implILS5_9ELb0ES3_jPlS8_PNS0_10empty_typeENS0_5tupleIJS8_S9_EEENSB_IJS8_SA_EEENS0_18inequality_wrapperIZN2at6native12_GLOBAL__N_124unique_dim_cuda_templateIN3c108BFloat16EEESt5tupleIJNSF_6TensorESM_SM_EERKSM_lbbbEUlllE0_EEPmJS9_EEE10hipError_tPvRmT3_T4_T5_T6_T7_T9_mT8_P12ihipStream_tbDpT10_ENKUlT_T0_E_clISt17integral_constantIbLb1EES1B_IbLb0EEEEDaS17_S18_EUlS17_E_NS1_11comp_targetILNS1_3genE10ELNS1_11target_archE1200ELNS1_3gpuE4ELNS1_3repE0EEENS1_30default_config_static_selectorELNS0_4arch9wavefront6targetE1EEEvT1_, .Lfunc_end1235-_ZN7rocprim17ROCPRIM_400000_NS6detail17trampoline_kernelINS0_14default_configENS1_25partition_config_selectorILNS1_17partition_subalgoE9EllbEEZZNS1_14partition_implILS5_9ELb0ES3_jPlS8_PNS0_10empty_typeENS0_5tupleIJS8_S9_EEENSB_IJS8_SA_EEENS0_18inequality_wrapperIZN2at6native12_GLOBAL__N_124unique_dim_cuda_templateIN3c108BFloat16EEESt5tupleIJNSF_6TensorESM_SM_EERKSM_lbbbEUlllE0_EEPmJS9_EEE10hipError_tPvRmT3_T4_T5_T6_T7_T9_mT8_P12ihipStream_tbDpT10_ENKUlT_T0_E_clISt17integral_constantIbLb1EES1B_IbLb0EEEEDaS17_S18_EUlS17_E_NS1_11comp_targetILNS1_3genE10ELNS1_11target_archE1200ELNS1_3gpuE4ELNS1_3repE0EEENS1_30default_config_static_selectorELNS0_4arch9wavefront6targetE1EEEvT1_
                                        ; -- End function
	.section	.AMDGPU.csdata,"",@progbits
; Kernel info:
; codeLenInByte = 0
; NumSgprs: 6
; NumVgprs: 0
; NumAgprs: 0
; TotalNumVgprs: 0
; ScratchSize: 0
; MemoryBound: 0
; FloatMode: 240
; IeeeMode: 1
; LDSByteSize: 0 bytes/workgroup (compile time only)
; SGPRBlocks: 0
; VGPRBlocks: 0
; NumSGPRsForWavesPerEU: 6
; NumVGPRsForWavesPerEU: 1
; AccumOffset: 4
; Occupancy: 8
; WaveLimiterHint : 0
; COMPUTE_PGM_RSRC2:SCRATCH_EN: 0
; COMPUTE_PGM_RSRC2:USER_SGPR: 2
; COMPUTE_PGM_RSRC2:TRAP_HANDLER: 0
; COMPUTE_PGM_RSRC2:TGID_X_EN: 1
; COMPUTE_PGM_RSRC2:TGID_Y_EN: 0
; COMPUTE_PGM_RSRC2:TGID_Z_EN: 0
; COMPUTE_PGM_RSRC2:TIDIG_COMP_CNT: 0
; COMPUTE_PGM_RSRC3_GFX90A:ACCUM_OFFSET: 0
; COMPUTE_PGM_RSRC3_GFX90A:TG_SPLIT: 0
	.section	.text._ZN7rocprim17ROCPRIM_400000_NS6detail17trampoline_kernelINS0_14default_configENS1_25partition_config_selectorILNS1_17partition_subalgoE9EllbEEZZNS1_14partition_implILS5_9ELb0ES3_jPlS8_PNS0_10empty_typeENS0_5tupleIJS8_S9_EEENSB_IJS8_SA_EEENS0_18inequality_wrapperIZN2at6native12_GLOBAL__N_124unique_dim_cuda_templateIN3c108BFloat16EEESt5tupleIJNSF_6TensorESM_SM_EERKSM_lbbbEUlllE0_EEPmJS9_EEE10hipError_tPvRmT3_T4_T5_T6_T7_T9_mT8_P12ihipStream_tbDpT10_ENKUlT_T0_E_clISt17integral_constantIbLb1EES1B_IbLb0EEEEDaS17_S18_EUlS17_E_NS1_11comp_targetILNS1_3genE9ELNS1_11target_archE1100ELNS1_3gpuE3ELNS1_3repE0EEENS1_30default_config_static_selectorELNS0_4arch9wavefront6targetE1EEEvT1_,"axG",@progbits,_ZN7rocprim17ROCPRIM_400000_NS6detail17trampoline_kernelINS0_14default_configENS1_25partition_config_selectorILNS1_17partition_subalgoE9EllbEEZZNS1_14partition_implILS5_9ELb0ES3_jPlS8_PNS0_10empty_typeENS0_5tupleIJS8_S9_EEENSB_IJS8_SA_EEENS0_18inequality_wrapperIZN2at6native12_GLOBAL__N_124unique_dim_cuda_templateIN3c108BFloat16EEESt5tupleIJNSF_6TensorESM_SM_EERKSM_lbbbEUlllE0_EEPmJS9_EEE10hipError_tPvRmT3_T4_T5_T6_T7_T9_mT8_P12ihipStream_tbDpT10_ENKUlT_T0_E_clISt17integral_constantIbLb1EES1B_IbLb0EEEEDaS17_S18_EUlS17_E_NS1_11comp_targetILNS1_3genE9ELNS1_11target_archE1100ELNS1_3gpuE3ELNS1_3repE0EEENS1_30default_config_static_selectorELNS0_4arch9wavefront6targetE1EEEvT1_,comdat
	.globl	_ZN7rocprim17ROCPRIM_400000_NS6detail17trampoline_kernelINS0_14default_configENS1_25partition_config_selectorILNS1_17partition_subalgoE9EllbEEZZNS1_14partition_implILS5_9ELb0ES3_jPlS8_PNS0_10empty_typeENS0_5tupleIJS8_S9_EEENSB_IJS8_SA_EEENS0_18inequality_wrapperIZN2at6native12_GLOBAL__N_124unique_dim_cuda_templateIN3c108BFloat16EEESt5tupleIJNSF_6TensorESM_SM_EERKSM_lbbbEUlllE0_EEPmJS9_EEE10hipError_tPvRmT3_T4_T5_T6_T7_T9_mT8_P12ihipStream_tbDpT10_ENKUlT_T0_E_clISt17integral_constantIbLb1EES1B_IbLb0EEEEDaS17_S18_EUlS17_E_NS1_11comp_targetILNS1_3genE9ELNS1_11target_archE1100ELNS1_3gpuE3ELNS1_3repE0EEENS1_30default_config_static_selectorELNS0_4arch9wavefront6targetE1EEEvT1_ ; -- Begin function _ZN7rocprim17ROCPRIM_400000_NS6detail17trampoline_kernelINS0_14default_configENS1_25partition_config_selectorILNS1_17partition_subalgoE9EllbEEZZNS1_14partition_implILS5_9ELb0ES3_jPlS8_PNS0_10empty_typeENS0_5tupleIJS8_S9_EEENSB_IJS8_SA_EEENS0_18inequality_wrapperIZN2at6native12_GLOBAL__N_124unique_dim_cuda_templateIN3c108BFloat16EEESt5tupleIJNSF_6TensorESM_SM_EERKSM_lbbbEUlllE0_EEPmJS9_EEE10hipError_tPvRmT3_T4_T5_T6_T7_T9_mT8_P12ihipStream_tbDpT10_ENKUlT_T0_E_clISt17integral_constantIbLb1EES1B_IbLb0EEEEDaS17_S18_EUlS17_E_NS1_11comp_targetILNS1_3genE9ELNS1_11target_archE1100ELNS1_3gpuE3ELNS1_3repE0EEENS1_30default_config_static_selectorELNS0_4arch9wavefront6targetE1EEEvT1_
	.p2align	8
	.type	_ZN7rocprim17ROCPRIM_400000_NS6detail17trampoline_kernelINS0_14default_configENS1_25partition_config_selectorILNS1_17partition_subalgoE9EllbEEZZNS1_14partition_implILS5_9ELb0ES3_jPlS8_PNS0_10empty_typeENS0_5tupleIJS8_S9_EEENSB_IJS8_SA_EEENS0_18inequality_wrapperIZN2at6native12_GLOBAL__N_124unique_dim_cuda_templateIN3c108BFloat16EEESt5tupleIJNSF_6TensorESM_SM_EERKSM_lbbbEUlllE0_EEPmJS9_EEE10hipError_tPvRmT3_T4_T5_T6_T7_T9_mT8_P12ihipStream_tbDpT10_ENKUlT_T0_E_clISt17integral_constantIbLb1EES1B_IbLb0EEEEDaS17_S18_EUlS17_E_NS1_11comp_targetILNS1_3genE9ELNS1_11target_archE1100ELNS1_3gpuE3ELNS1_3repE0EEENS1_30default_config_static_selectorELNS0_4arch9wavefront6targetE1EEEvT1_,@function
_ZN7rocprim17ROCPRIM_400000_NS6detail17trampoline_kernelINS0_14default_configENS1_25partition_config_selectorILNS1_17partition_subalgoE9EllbEEZZNS1_14partition_implILS5_9ELb0ES3_jPlS8_PNS0_10empty_typeENS0_5tupleIJS8_S9_EEENSB_IJS8_SA_EEENS0_18inequality_wrapperIZN2at6native12_GLOBAL__N_124unique_dim_cuda_templateIN3c108BFloat16EEESt5tupleIJNSF_6TensorESM_SM_EERKSM_lbbbEUlllE0_EEPmJS9_EEE10hipError_tPvRmT3_T4_T5_T6_T7_T9_mT8_P12ihipStream_tbDpT10_ENKUlT_T0_E_clISt17integral_constantIbLb1EES1B_IbLb0EEEEDaS17_S18_EUlS17_E_NS1_11comp_targetILNS1_3genE9ELNS1_11target_archE1100ELNS1_3gpuE3ELNS1_3repE0EEENS1_30default_config_static_selectorELNS0_4arch9wavefront6targetE1EEEvT1_: ; @_ZN7rocprim17ROCPRIM_400000_NS6detail17trampoline_kernelINS0_14default_configENS1_25partition_config_selectorILNS1_17partition_subalgoE9EllbEEZZNS1_14partition_implILS5_9ELb0ES3_jPlS8_PNS0_10empty_typeENS0_5tupleIJS8_S9_EEENSB_IJS8_SA_EEENS0_18inequality_wrapperIZN2at6native12_GLOBAL__N_124unique_dim_cuda_templateIN3c108BFloat16EEESt5tupleIJNSF_6TensorESM_SM_EERKSM_lbbbEUlllE0_EEPmJS9_EEE10hipError_tPvRmT3_T4_T5_T6_T7_T9_mT8_P12ihipStream_tbDpT10_ENKUlT_T0_E_clISt17integral_constantIbLb1EES1B_IbLb0EEEEDaS17_S18_EUlS17_E_NS1_11comp_targetILNS1_3genE9ELNS1_11target_archE1100ELNS1_3gpuE3ELNS1_3repE0EEENS1_30default_config_static_selectorELNS0_4arch9wavefront6targetE1EEEvT1_
; %bb.0:
	.section	.rodata,"a",@progbits
	.p2align	6, 0x0
	.amdhsa_kernel _ZN7rocprim17ROCPRIM_400000_NS6detail17trampoline_kernelINS0_14default_configENS1_25partition_config_selectorILNS1_17partition_subalgoE9EllbEEZZNS1_14partition_implILS5_9ELb0ES3_jPlS8_PNS0_10empty_typeENS0_5tupleIJS8_S9_EEENSB_IJS8_SA_EEENS0_18inequality_wrapperIZN2at6native12_GLOBAL__N_124unique_dim_cuda_templateIN3c108BFloat16EEESt5tupleIJNSF_6TensorESM_SM_EERKSM_lbbbEUlllE0_EEPmJS9_EEE10hipError_tPvRmT3_T4_T5_T6_T7_T9_mT8_P12ihipStream_tbDpT10_ENKUlT_T0_E_clISt17integral_constantIbLb1EES1B_IbLb0EEEEDaS17_S18_EUlS17_E_NS1_11comp_targetILNS1_3genE9ELNS1_11target_archE1100ELNS1_3gpuE3ELNS1_3repE0EEENS1_30default_config_static_selectorELNS0_4arch9wavefront6targetE1EEEvT1_
		.amdhsa_group_segment_fixed_size 0
		.amdhsa_private_segment_fixed_size 0
		.amdhsa_kernarg_size 120
		.amdhsa_user_sgpr_count 2
		.amdhsa_user_sgpr_dispatch_ptr 0
		.amdhsa_user_sgpr_queue_ptr 0
		.amdhsa_user_sgpr_kernarg_segment_ptr 1
		.amdhsa_user_sgpr_dispatch_id 0
		.amdhsa_user_sgpr_kernarg_preload_length 0
		.amdhsa_user_sgpr_kernarg_preload_offset 0
		.amdhsa_user_sgpr_private_segment_size 0
		.amdhsa_uses_dynamic_stack 0
		.amdhsa_enable_private_segment 0
		.amdhsa_system_sgpr_workgroup_id_x 1
		.amdhsa_system_sgpr_workgroup_id_y 0
		.amdhsa_system_sgpr_workgroup_id_z 0
		.amdhsa_system_sgpr_workgroup_info 0
		.amdhsa_system_vgpr_workitem_id 0
		.amdhsa_next_free_vgpr 1
		.amdhsa_next_free_sgpr 0
		.amdhsa_accum_offset 4
		.amdhsa_reserve_vcc 0
		.amdhsa_float_round_mode_32 0
		.amdhsa_float_round_mode_16_64 0
		.amdhsa_float_denorm_mode_32 3
		.amdhsa_float_denorm_mode_16_64 3
		.amdhsa_dx10_clamp 1
		.amdhsa_ieee_mode 1
		.amdhsa_fp16_overflow 0
		.amdhsa_tg_split 0
		.amdhsa_exception_fp_ieee_invalid_op 0
		.amdhsa_exception_fp_denorm_src 0
		.amdhsa_exception_fp_ieee_div_zero 0
		.amdhsa_exception_fp_ieee_overflow 0
		.amdhsa_exception_fp_ieee_underflow 0
		.amdhsa_exception_fp_ieee_inexact 0
		.amdhsa_exception_int_div_zero 0
	.end_amdhsa_kernel
	.section	.text._ZN7rocprim17ROCPRIM_400000_NS6detail17trampoline_kernelINS0_14default_configENS1_25partition_config_selectorILNS1_17partition_subalgoE9EllbEEZZNS1_14partition_implILS5_9ELb0ES3_jPlS8_PNS0_10empty_typeENS0_5tupleIJS8_S9_EEENSB_IJS8_SA_EEENS0_18inequality_wrapperIZN2at6native12_GLOBAL__N_124unique_dim_cuda_templateIN3c108BFloat16EEESt5tupleIJNSF_6TensorESM_SM_EERKSM_lbbbEUlllE0_EEPmJS9_EEE10hipError_tPvRmT3_T4_T5_T6_T7_T9_mT8_P12ihipStream_tbDpT10_ENKUlT_T0_E_clISt17integral_constantIbLb1EES1B_IbLb0EEEEDaS17_S18_EUlS17_E_NS1_11comp_targetILNS1_3genE9ELNS1_11target_archE1100ELNS1_3gpuE3ELNS1_3repE0EEENS1_30default_config_static_selectorELNS0_4arch9wavefront6targetE1EEEvT1_,"axG",@progbits,_ZN7rocprim17ROCPRIM_400000_NS6detail17trampoline_kernelINS0_14default_configENS1_25partition_config_selectorILNS1_17partition_subalgoE9EllbEEZZNS1_14partition_implILS5_9ELb0ES3_jPlS8_PNS0_10empty_typeENS0_5tupleIJS8_S9_EEENSB_IJS8_SA_EEENS0_18inequality_wrapperIZN2at6native12_GLOBAL__N_124unique_dim_cuda_templateIN3c108BFloat16EEESt5tupleIJNSF_6TensorESM_SM_EERKSM_lbbbEUlllE0_EEPmJS9_EEE10hipError_tPvRmT3_T4_T5_T6_T7_T9_mT8_P12ihipStream_tbDpT10_ENKUlT_T0_E_clISt17integral_constantIbLb1EES1B_IbLb0EEEEDaS17_S18_EUlS17_E_NS1_11comp_targetILNS1_3genE9ELNS1_11target_archE1100ELNS1_3gpuE3ELNS1_3repE0EEENS1_30default_config_static_selectorELNS0_4arch9wavefront6targetE1EEEvT1_,comdat
.Lfunc_end1236:
	.size	_ZN7rocprim17ROCPRIM_400000_NS6detail17trampoline_kernelINS0_14default_configENS1_25partition_config_selectorILNS1_17partition_subalgoE9EllbEEZZNS1_14partition_implILS5_9ELb0ES3_jPlS8_PNS0_10empty_typeENS0_5tupleIJS8_S9_EEENSB_IJS8_SA_EEENS0_18inequality_wrapperIZN2at6native12_GLOBAL__N_124unique_dim_cuda_templateIN3c108BFloat16EEESt5tupleIJNSF_6TensorESM_SM_EERKSM_lbbbEUlllE0_EEPmJS9_EEE10hipError_tPvRmT3_T4_T5_T6_T7_T9_mT8_P12ihipStream_tbDpT10_ENKUlT_T0_E_clISt17integral_constantIbLb1EES1B_IbLb0EEEEDaS17_S18_EUlS17_E_NS1_11comp_targetILNS1_3genE9ELNS1_11target_archE1100ELNS1_3gpuE3ELNS1_3repE0EEENS1_30default_config_static_selectorELNS0_4arch9wavefront6targetE1EEEvT1_, .Lfunc_end1236-_ZN7rocprim17ROCPRIM_400000_NS6detail17trampoline_kernelINS0_14default_configENS1_25partition_config_selectorILNS1_17partition_subalgoE9EllbEEZZNS1_14partition_implILS5_9ELb0ES3_jPlS8_PNS0_10empty_typeENS0_5tupleIJS8_S9_EEENSB_IJS8_SA_EEENS0_18inequality_wrapperIZN2at6native12_GLOBAL__N_124unique_dim_cuda_templateIN3c108BFloat16EEESt5tupleIJNSF_6TensorESM_SM_EERKSM_lbbbEUlllE0_EEPmJS9_EEE10hipError_tPvRmT3_T4_T5_T6_T7_T9_mT8_P12ihipStream_tbDpT10_ENKUlT_T0_E_clISt17integral_constantIbLb1EES1B_IbLb0EEEEDaS17_S18_EUlS17_E_NS1_11comp_targetILNS1_3genE9ELNS1_11target_archE1100ELNS1_3gpuE3ELNS1_3repE0EEENS1_30default_config_static_selectorELNS0_4arch9wavefront6targetE1EEEvT1_
                                        ; -- End function
	.section	.AMDGPU.csdata,"",@progbits
; Kernel info:
; codeLenInByte = 0
; NumSgprs: 6
; NumVgprs: 0
; NumAgprs: 0
; TotalNumVgprs: 0
; ScratchSize: 0
; MemoryBound: 0
; FloatMode: 240
; IeeeMode: 1
; LDSByteSize: 0 bytes/workgroup (compile time only)
; SGPRBlocks: 0
; VGPRBlocks: 0
; NumSGPRsForWavesPerEU: 6
; NumVGPRsForWavesPerEU: 1
; AccumOffset: 4
; Occupancy: 8
; WaveLimiterHint : 0
; COMPUTE_PGM_RSRC2:SCRATCH_EN: 0
; COMPUTE_PGM_RSRC2:USER_SGPR: 2
; COMPUTE_PGM_RSRC2:TRAP_HANDLER: 0
; COMPUTE_PGM_RSRC2:TGID_X_EN: 1
; COMPUTE_PGM_RSRC2:TGID_Y_EN: 0
; COMPUTE_PGM_RSRC2:TGID_Z_EN: 0
; COMPUTE_PGM_RSRC2:TIDIG_COMP_CNT: 0
; COMPUTE_PGM_RSRC3_GFX90A:ACCUM_OFFSET: 0
; COMPUTE_PGM_RSRC3_GFX90A:TG_SPLIT: 0
	.section	.text._ZN7rocprim17ROCPRIM_400000_NS6detail17trampoline_kernelINS0_14default_configENS1_25partition_config_selectorILNS1_17partition_subalgoE9EllbEEZZNS1_14partition_implILS5_9ELb0ES3_jPlS8_PNS0_10empty_typeENS0_5tupleIJS8_S9_EEENSB_IJS8_SA_EEENS0_18inequality_wrapperIZN2at6native12_GLOBAL__N_124unique_dim_cuda_templateIN3c108BFloat16EEESt5tupleIJNSF_6TensorESM_SM_EERKSM_lbbbEUlllE0_EEPmJS9_EEE10hipError_tPvRmT3_T4_T5_T6_T7_T9_mT8_P12ihipStream_tbDpT10_ENKUlT_T0_E_clISt17integral_constantIbLb1EES1B_IbLb0EEEEDaS17_S18_EUlS17_E_NS1_11comp_targetILNS1_3genE8ELNS1_11target_archE1030ELNS1_3gpuE2ELNS1_3repE0EEENS1_30default_config_static_selectorELNS0_4arch9wavefront6targetE1EEEvT1_,"axG",@progbits,_ZN7rocprim17ROCPRIM_400000_NS6detail17trampoline_kernelINS0_14default_configENS1_25partition_config_selectorILNS1_17partition_subalgoE9EllbEEZZNS1_14partition_implILS5_9ELb0ES3_jPlS8_PNS0_10empty_typeENS0_5tupleIJS8_S9_EEENSB_IJS8_SA_EEENS0_18inequality_wrapperIZN2at6native12_GLOBAL__N_124unique_dim_cuda_templateIN3c108BFloat16EEESt5tupleIJNSF_6TensorESM_SM_EERKSM_lbbbEUlllE0_EEPmJS9_EEE10hipError_tPvRmT3_T4_T5_T6_T7_T9_mT8_P12ihipStream_tbDpT10_ENKUlT_T0_E_clISt17integral_constantIbLb1EES1B_IbLb0EEEEDaS17_S18_EUlS17_E_NS1_11comp_targetILNS1_3genE8ELNS1_11target_archE1030ELNS1_3gpuE2ELNS1_3repE0EEENS1_30default_config_static_selectorELNS0_4arch9wavefront6targetE1EEEvT1_,comdat
	.globl	_ZN7rocprim17ROCPRIM_400000_NS6detail17trampoline_kernelINS0_14default_configENS1_25partition_config_selectorILNS1_17partition_subalgoE9EllbEEZZNS1_14partition_implILS5_9ELb0ES3_jPlS8_PNS0_10empty_typeENS0_5tupleIJS8_S9_EEENSB_IJS8_SA_EEENS0_18inequality_wrapperIZN2at6native12_GLOBAL__N_124unique_dim_cuda_templateIN3c108BFloat16EEESt5tupleIJNSF_6TensorESM_SM_EERKSM_lbbbEUlllE0_EEPmJS9_EEE10hipError_tPvRmT3_T4_T5_T6_T7_T9_mT8_P12ihipStream_tbDpT10_ENKUlT_T0_E_clISt17integral_constantIbLb1EES1B_IbLb0EEEEDaS17_S18_EUlS17_E_NS1_11comp_targetILNS1_3genE8ELNS1_11target_archE1030ELNS1_3gpuE2ELNS1_3repE0EEENS1_30default_config_static_selectorELNS0_4arch9wavefront6targetE1EEEvT1_ ; -- Begin function _ZN7rocprim17ROCPRIM_400000_NS6detail17trampoline_kernelINS0_14default_configENS1_25partition_config_selectorILNS1_17partition_subalgoE9EllbEEZZNS1_14partition_implILS5_9ELb0ES3_jPlS8_PNS0_10empty_typeENS0_5tupleIJS8_S9_EEENSB_IJS8_SA_EEENS0_18inequality_wrapperIZN2at6native12_GLOBAL__N_124unique_dim_cuda_templateIN3c108BFloat16EEESt5tupleIJNSF_6TensorESM_SM_EERKSM_lbbbEUlllE0_EEPmJS9_EEE10hipError_tPvRmT3_T4_T5_T6_T7_T9_mT8_P12ihipStream_tbDpT10_ENKUlT_T0_E_clISt17integral_constantIbLb1EES1B_IbLb0EEEEDaS17_S18_EUlS17_E_NS1_11comp_targetILNS1_3genE8ELNS1_11target_archE1030ELNS1_3gpuE2ELNS1_3repE0EEENS1_30default_config_static_selectorELNS0_4arch9wavefront6targetE1EEEvT1_
	.p2align	8
	.type	_ZN7rocprim17ROCPRIM_400000_NS6detail17trampoline_kernelINS0_14default_configENS1_25partition_config_selectorILNS1_17partition_subalgoE9EllbEEZZNS1_14partition_implILS5_9ELb0ES3_jPlS8_PNS0_10empty_typeENS0_5tupleIJS8_S9_EEENSB_IJS8_SA_EEENS0_18inequality_wrapperIZN2at6native12_GLOBAL__N_124unique_dim_cuda_templateIN3c108BFloat16EEESt5tupleIJNSF_6TensorESM_SM_EERKSM_lbbbEUlllE0_EEPmJS9_EEE10hipError_tPvRmT3_T4_T5_T6_T7_T9_mT8_P12ihipStream_tbDpT10_ENKUlT_T0_E_clISt17integral_constantIbLb1EES1B_IbLb0EEEEDaS17_S18_EUlS17_E_NS1_11comp_targetILNS1_3genE8ELNS1_11target_archE1030ELNS1_3gpuE2ELNS1_3repE0EEENS1_30default_config_static_selectorELNS0_4arch9wavefront6targetE1EEEvT1_,@function
_ZN7rocprim17ROCPRIM_400000_NS6detail17trampoline_kernelINS0_14default_configENS1_25partition_config_selectorILNS1_17partition_subalgoE9EllbEEZZNS1_14partition_implILS5_9ELb0ES3_jPlS8_PNS0_10empty_typeENS0_5tupleIJS8_S9_EEENSB_IJS8_SA_EEENS0_18inequality_wrapperIZN2at6native12_GLOBAL__N_124unique_dim_cuda_templateIN3c108BFloat16EEESt5tupleIJNSF_6TensorESM_SM_EERKSM_lbbbEUlllE0_EEPmJS9_EEE10hipError_tPvRmT3_T4_T5_T6_T7_T9_mT8_P12ihipStream_tbDpT10_ENKUlT_T0_E_clISt17integral_constantIbLb1EES1B_IbLb0EEEEDaS17_S18_EUlS17_E_NS1_11comp_targetILNS1_3genE8ELNS1_11target_archE1030ELNS1_3gpuE2ELNS1_3repE0EEENS1_30default_config_static_selectorELNS0_4arch9wavefront6targetE1EEEvT1_: ; @_ZN7rocprim17ROCPRIM_400000_NS6detail17trampoline_kernelINS0_14default_configENS1_25partition_config_selectorILNS1_17partition_subalgoE9EllbEEZZNS1_14partition_implILS5_9ELb0ES3_jPlS8_PNS0_10empty_typeENS0_5tupleIJS8_S9_EEENSB_IJS8_SA_EEENS0_18inequality_wrapperIZN2at6native12_GLOBAL__N_124unique_dim_cuda_templateIN3c108BFloat16EEESt5tupleIJNSF_6TensorESM_SM_EERKSM_lbbbEUlllE0_EEPmJS9_EEE10hipError_tPvRmT3_T4_T5_T6_T7_T9_mT8_P12ihipStream_tbDpT10_ENKUlT_T0_E_clISt17integral_constantIbLb1EES1B_IbLb0EEEEDaS17_S18_EUlS17_E_NS1_11comp_targetILNS1_3genE8ELNS1_11target_archE1030ELNS1_3gpuE2ELNS1_3repE0EEENS1_30default_config_static_selectorELNS0_4arch9wavefront6targetE1EEEvT1_
; %bb.0:
	.section	.rodata,"a",@progbits
	.p2align	6, 0x0
	.amdhsa_kernel _ZN7rocprim17ROCPRIM_400000_NS6detail17trampoline_kernelINS0_14default_configENS1_25partition_config_selectorILNS1_17partition_subalgoE9EllbEEZZNS1_14partition_implILS5_9ELb0ES3_jPlS8_PNS0_10empty_typeENS0_5tupleIJS8_S9_EEENSB_IJS8_SA_EEENS0_18inequality_wrapperIZN2at6native12_GLOBAL__N_124unique_dim_cuda_templateIN3c108BFloat16EEESt5tupleIJNSF_6TensorESM_SM_EERKSM_lbbbEUlllE0_EEPmJS9_EEE10hipError_tPvRmT3_T4_T5_T6_T7_T9_mT8_P12ihipStream_tbDpT10_ENKUlT_T0_E_clISt17integral_constantIbLb1EES1B_IbLb0EEEEDaS17_S18_EUlS17_E_NS1_11comp_targetILNS1_3genE8ELNS1_11target_archE1030ELNS1_3gpuE2ELNS1_3repE0EEENS1_30default_config_static_selectorELNS0_4arch9wavefront6targetE1EEEvT1_
		.amdhsa_group_segment_fixed_size 0
		.amdhsa_private_segment_fixed_size 0
		.amdhsa_kernarg_size 120
		.amdhsa_user_sgpr_count 2
		.amdhsa_user_sgpr_dispatch_ptr 0
		.amdhsa_user_sgpr_queue_ptr 0
		.amdhsa_user_sgpr_kernarg_segment_ptr 1
		.amdhsa_user_sgpr_dispatch_id 0
		.amdhsa_user_sgpr_kernarg_preload_length 0
		.amdhsa_user_sgpr_kernarg_preload_offset 0
		.amdhsa_user_sgpr_private_segment_size 0
		.amdhsa_uses_dynamic_stack 0
		.amdhsa_enable_private_segment 0
		.amdhsa_system_sgpr_workgroup_id_x 1
		.amdhsa_system_sgpr_workgroup_id_y 0
		.amdhsa_system_sgpr_workgroup_id_z 0
		.amdhsa_system_sgpr_workgroup_info 0
		.amdhsa_system_vgpr_workitem_id 0
		.amdhsa_next_free_vgpr 1
		.amdhsa_next_free_sgpr 0
		.amdhsa_accum_offset 4
		.amdhsa_reserve_vcc 0
		.amdhsa_float_round_mode_32 0
		.amdhsa_float_round_mode_16_64 0
		.amdhsa_float_denorm_mode_32 3
		.amdhsa_float_denorm_mode_16_64 3
		.amdhsa_dx10_clamp 1
		.amdhsa_ieee_mode 1
		.amdhsa_fp16_overflow 0
		.amdhsa_tg_split 0
		.amdhsa_exception_fp_ieee_invalid_op 0
		.amdhsa_exception_fp_denorm_src 0
		.amdhsa_exception_fp_ieee_div_zero 0
		.amdhsa_exception_fp_ieee_overflow 0
		.amdhsa_exception_fp_ieee_underflow 0
		.amdhsa_exception_fp_ieee_inexact 0
		.amdhsa_exception_int_div_zero 0
	.end_amdhsa_kernel
	.section	.text._ZN7rocprim17ROCPRIM_400000_NS6detail17trampoline_kernelINS0_14default_configENS1_25partition_config_selectorILNS1_17partition_subalgoE9EllbEEZZNS1_14partition_implILS5_9ELb0ES3_jPlS8_PNS0_10empty_typeENS0_5tupleIJS8_S9_EEENSB_IJS8_SA_EEENS0_18inequality_wrapperIZN2at6native12_GLOBAL__N_124unique_dim_cuda_templateIN3c108BFloat16EEESt5tupleIJNSF_6TensorESM_SM_EERKSM_lbbbEUlllE0_EEPmJS9_EEE10hipError_tPvRmT3_T4_T5_T6_T7_T9_mT8_P12ihipStream_tbDpT10_ENKUlT_T0_E_clISt17integral_constantIbLb1EES1B_IbLb0EEEEDaS17_S18_EUlS17_E_NS1_11comp_targetILNS1_3genE8ELNS1_11target_archE1030ELNS1_3gpuE2ELNS1_3repE0EEENS1_30default_config_static_selectorELNS0_4arch9wavefront6targetE1EEEvT1_,"axG",@progbits,_ZN7rocprim17ROCPRIM_400000_NS6detail17trampoline_kernelINS0_14default_configENS1_25partition_config_selectorILNS1_17partition_subalgoE9EllbEEZZNS1_14partition_implILS5_9ELb0ES3_jPlS8_PNS0_10empty_typeENS0_5tupleIJS8_S9_EEENSB_IJS8_SA_EEENS0_18inequality_wrapperIZN2at6native12_GLOBAL__N_124unique_dim_cuda_templateIN3c108BFloat16EEESt5tupleIJNSF_6TensorESM_SM_EERKSM_lbbbEUlllE0_EEPmJS9_EEE10hipError_tPvRmT3_T4_T5_T6_T7_T9_mT8_P12ihipStream_tbDpT10_ENKUlT_T0_E_clISt17integral_constantIbLb1EES1B_IbLb0EEEEDaS17_S18_EUlS17_E_NS1_11comp_targetILNS1_3genE8ELNS1_11target_archE1030ELNS1_3gpuE2ELNS1_3repE0EEENS1_30default_config_static_selectorELNS0_4arch9wavefront6targetE1EEEvT1_,comdat
.Lfunc_end1237:
	.size	_ZN7rocprim17ROCPRIM_400000_NS6detail17trampoline_kernelINS0_14default_configENS1_25partition_config_selectorILNS1_17partition_subalgoE9EllbEEZZNS1_14partition_implILS5_9ELb0ES3_jPlS8_PNS0_10empty_typeENS0_5tupleIJS8_S9_EEENSB_IJS8_SA_EEENS0_18inequality_wrapperIZN2at6native12_GLOBAL__N_124unique_dim_cuda_templateIN3c108BFloat16EEESt5tupleIJNSF_6TensorESM_SM_EERKSM_lbbbEUlllE0_EEPmJS9_EEE10hipError_tPvRmT3_T4_T5_T6_T7_T9_mT8_P12ihipStream_tbDpT10_ENKUlT_T0_E_clISt17integral_constantIbLb1EES1B_IbLb0EEEEDaS17_S18_EUlS17_E_NS1_11comp_targetILNS1_3genE8ELNS1_11target_archE1030ELNS1_3gpuE2ELNS1_3repE0EEENS1_30default_config_static_selectorELNS0_4arch9wavefront6targetE1EEEvT1_, .Lfunc_end1237-_ZN7rocprim17ROCPRIM_400000_NS6detail17trampoline_kernelINS0_14default_configENS1_25partition_config_selectorILNS1_17partition_subalgoE9EllbEEZZNS1_14partition_implILS5_9ELb0ES3_jPlS8_PNS0_10empty_typeENS0_5tupleIJS8_S9_EEENSB_IJS8_SA_EEENS0_18inequality_wrapperIZN2at6native12_GLOBAL__N_124unique_dim_cuda_templateIN3c108BFloat16EEESt5tupleIJNSF_6TensorESM_SM_EERKSM_lbbbEUlllE0_EEPmJS9_EEE10hipError_tPvRmT3_T4_T5_T6_T7_T9_mT8_P12ihipStream_tbDpT10_ENKUlT_T0_E_clISt17integral_constantIbLb1EES1B_IbLb0EEEEDaS17_S18_EUlS17_E_NS1_11comp_targetILNS1_3genE8ELNS1_11target_archE1030ELNS1_3gpuE2ELNS1_3repE0EEENS1_30default_config_static_selectorELNS0_4arch9wavefront6targetE1EEEvT1_
                                        ; -- End function
	.section	.AMDGPU.csdata,"",@progbits
; Kernel info:
; codeLenInByte = 0
; NumSgprs: 6
; NumVgprs: 0
; NumAgprs: 0
; TotalNumVgprs: 0
; ScratchSize: 0
; MemoryBound: 0
; FloatMode: 240
; IeeeMode: 1
; LDSByteSize: 0 bytes/workgroup (compile time only)
; SGPRBlocks: 0
; VGPRBlocks: 0
; NumSGPRsForWavesPerEU: 6
; NumVGPRsForWavesPerEU: 1
; AccumOffset: 4
; Occupancy: 8
; WaveLimiterHint : 0
; COMPUTE_PGM_RSRC2:SCRATCH_EN: 0
; COMPUTE_PGM_RSRC2:USER_SGPR: 2
; COMPUTE_PGM_RSRC2:TRAP_HANDLER: 0
; COMPUTE_PGM_RSRC2:TGID_X_EN: 1
; COMPUTE_PGM_RSRC2:TGID_Y_EN: 0
; COMPUTE_PGM_RSRC2:TGID_Z_EN: 0
; COMPUTE_PGM_RSRC2:TIDIG_COMP_CNT: 0
; COMPUTE_PGM_RSRC3_GFX90A:ACCUM_OFFSET: 0
; COMPUTE_PGM_RSRC3_GFX90A:TG_SPLIT: 0
	.section	.text._ZN7rocprim17ROCPRIM_400000_NS6detail17trampoline_kernelINS0_14default_configENS1_25partition_config_selectorILNS1_17partition_subalgoE9EllbEEZZNS1_14partition_implILS5_9ELb0ES3_jPlS8_PNS0_10empty_typeENS0_5tupleIJS8_S9_EEENSB_IJS8_SA_EEENS0_18inequality_wrapperIZN2at6native12_GLOBAL__N_124unique_dim_cuda_templateIN3c108BFloat16EEESt5tupleIJNSF_6TensorESM_SM_EERKSM_lbbbEUlllE0_EEPmJS9_EEE10hipError_tPvRmT3_T4_T5_T6_T7_T9_mT8_P12ihipStream_tbDpT10_ENKUlT_T0_E_clISt17integral_constantIbLb0EES1B_IbLb1EEEEDaS17_S18_EUlS17_E_NS1_11comp_targetILNS1_3genE0ELNS1_11target_archE4294967295ELNS1_3gpuE0ELNS1_3repE0EEENS1_30default_config_static_selectorELNS0_4arch9wavefront6targetE1EEEvT1_,"axG",@progbits,_ZN7rocprim17ROCPRIM_400000_NS6detail17trampoline_kernelINS0_14default_configENS1_25partition_config_selectorILNS1_17partition_subalgoE9EllbEEZZNS1_14partition_implILS5_9ELb0ES3_jPlS8_PNS0_10empty_typeENS0_5tupleIJS8_S9_EEENSB_IJS8_SA_EEENS0_18inequality_wrapperIZN2at6native12_GLOBAL__N_124unique_dim_cuda_templateIN3c108BFloat16EEESt5tupleIJNSF_6TensorESM_SM_EERKSM_lbbbEUlllE0_EEPmJS9_EEE10hipError_tPvRmT3_T4_T5_T6_T7_T9_mT8_P12ihipStream_tbDpT10_ENKUlT_T0_E_clISt17integral_constantIbLb0EES1B_IbLb1EEEEDaS17_S18_EUlS17_E_NS1_11comp_targetILNS1_3genE0ELNS1_11target_archE4294967295ELNS1_3gpuE0ELNS1_3repE0EEENS1_30default_config_static_selectorELNS0_4arch9wavefront6targetE1EEEvT1_,comdat
	.globl	_ZN7rocprim17ROCPRIM_400000_NS6detail17trampoline_kernelINS0_14default_configENS1_25partition_config_selectorILNS1_17partition_subalgoE9EllbEEZZNS1_14partition_implILS5_9ELb0ES3_jPlS8_PNS0_10empty_typeENS0_5tupleIJS8_S9_EEENSB_IJS8_SA_EEENS0_18inequality_wrapperIZN2at6native12_GLOBAL__N_124unique_dim_cuda_templateIN3c108BFloat16EEESt5tupleIJNSF_6TensorESM_SM_EERKSM_lbbbEUlllE0_EEPmJS9_EEE10hipError_tPvRmT3_T4_T5_T6_T7_T9_mT8_P12ihipStream_tbDpT10_ENKUlT_T0_E_clISt17integral_constantIbLb0EES1B_IbLb1EEEEDaS17_S18_EUlS17_E_NS1_11comp_targetILNS1_3genE0ELNS1_11target_archE4294967295ELNS1_3gpuE0ELNS1_3repE0EEENS1_30default_config_static_selectorELNS0_4arch9wavefront6targetE1EEEvT1_ ; -- Begin function _ZN7rocprim17ROCPRIM_400000_NS6detail17trampoline_kernelINS0_14default_configENS1_25partition_config_selectorILNS1_17partition_subalgoE9EllbEEZZNS1_14partition_implILS5_9ELb0ES3_jPlS8_PNS0_10empty_typeENS0_5tupleIJS8_S9_EEENSB_IJS8_SA_EEENS0_18inequality_wrapperIZN2at6native12_GLOBAL__N_124unique_dim_cuda_templateIN3c108BFloat16EEESt5tupleIJNSF_6TensorESM_SM_EERKSM_lbbbEUlllE0_EEPmJS9_EEE10hipError_tPvRmT3_T4_T5_T6_T7_T9_mT8_P12ihipStream_tbDpT10_ENKUlT_T0_E_clISt17integral_constantIbLb0EES1B_IbLb1EEEEDaS17_S18_EUlS17_E_NS1_11comp_targetILNS1_3genE0ELNS1_11target_archE4294967295ELNS1_3gpuE0ELNS1_3repE0EEENS1_30default_config_static_selectorELNS0_4arch9wavefront6targetE1EEEvT1_
	.p2align	8
	.type	_ZN7rocprim17ROCPRIM_400000_NS6detail17trampoline_kernelINS0_14default_configENS1_25partition_config_selectorILNS1_17partition_subalgoE9EllbEEZZNS1_14partition_implILS5_9ELb0ES3_jPlS8_PNS0_10empty_typeENS0_5tupleIJS8_S9_EEENSB_IJS8_SA_EEENS0_18inequality_wrapperIZN2at6native12_GLOBAL__N_124unique_dim_cuda_templateIN3c108BFloat16EEESt5tupleIJNSF_6TensorESM_SM_EERKSM_lbbbEUlllE0_EEPmJS9_EEE10hipError_tPvRmT3_T4_T5_T6_T7_T9_mT8_P12ihipStream_tbDpT10_ENKUlT_T0_E_clISt17integral_constantIbLb0EES1B_IbLb1EEEEDaS17_S18_EUlS17_E_NS1_11comp_targetILNS1_3genE0ELNS1_11target_archE4294967295ELNS1_3gpuE0ELNS1_3repE0EEENS1_30default_config_static_selectorELNS0_4arch9wavefront6targetE1EEEvT1_,@function
_ZN7rocprim17ROCPRIM_400000_NS6detail17trampoline_kernelINS0_14default_configENS1_25partition_config_selectorILNS1_17partition_subalgoE9EllbEEZZNS1_14partition_implILS5_9ELb0ES3_jPlS8_PNS0_10empty_typeENS0_5tupleIJS8_S9_EEENSB_IJS8_SA_EEENS0_18inequality_wrapperIZN2at6native12_GLOBAL__N_124unique_dim_cuda_templateIN3c108BFloat16EEESt5tupleIJNSF_6TensorESM_SM_EERKSM_lbbbEUlllE0_EEPmJS9_EEE10hipError_tPvRmT3_T4_T5_T6_T7_T9_mT8_P12ihipStream_tbDpT10_ENKUlT_T0_E_clISt17integral_constantIbLb0EES1B_IbLb1EEEEDaS17_S18_EUlS17_E_NS1_11comp_targetILNS1_3genE0ELNS1_11target_archE4294967295ELNS1_3gpuE0ELNS1_3repE0EEENS1_30default_config_static_selectorELNS0_4arch9wavefront6targetE1EEEvT1_: ; @_ZN7rocprim17ROCPRIM_400000_NS6detail17trampoline_kernelINS0_14default_configENS1_25partition_config_selectorILNS1_17partition_subalgoE9EllbEEZZNS1_14partition_implILS5_9ELb0ES3_jPlS8_PNS0_10empty_typeENS0_5tupleIJS8_S9_EEENSB_IJS8_SA_EEENS0_18inequality_wrapperIZN2at6native12_GLOBAL__N_124unique_dim_cuda_templateIN3c108BFloat16EEESt5tupleIJNSF_6TensorESM_SM_EERKSM_lbbbEUlllE0_EEPmJS9_EEE10hipError_tPvRmT3_T4_T5_T6_T7_T9_mT8_P12ihipStream_tbDpT10_ENKUlT_T0_E_clISt17integral_constantIbLb0EES1B_IbLb1EEEEDaS17_S18_EUlS17_E_NS1_11comp_targetILNS1_3genE0ELNS1_11target_archE4294967295ELNS1_3gpuE0ELNS1_3repE0EEENS1_30default_config_static_selectorELNS0_4arch9wavefront6targetE1EEEvT1_
; %bb.0:
	.section	.rodata,"a",@progbits
	.p2align	6, 0x0
	.amdhsa_kernel _ZN7rocprim17ROCPRIM_400000_NS6detail17trampoline_kernelINS0_14default_configENS1_25partition_config_selectorILNS1_17partition_subalgoE9EllbEEZZNS1_14partition_implILS5_9ELb0ES3_jPlS8_PNS0_10empty_typeENS0_5tupleIJS8_S9_EEENSB_IJS8_SA_EEENS0_18inequality_wrapperIZN2at6native12_GLOBAL__N_124unique_dim_cuda_templateIN3c108BFloat16EEESt5tupleIJNSF_6TensorESM_SM_EERKSM_lbbbEUlllE0_EEPmJS9_EEE10hipError_tPvRmT3_T4_T5_T6_T7_T9_mT8_P12ihipStream_tbDpT10_ENKUlT_T0_E_clISt17integral_constantIbLb0EES1B_IbLb1EEEEDaS17_S18_EUlS17_E_NS1_11comp_targetILNS1_3genE0ELNS1_11target_archE4294967295ELNS1_3gpuE0ELNS1_3repE0EEENS1_30default_config_static_selectorELNS0_4arch9wavefront6targetE1EEEvT1_
		.amdhsa_group_segment_fixed_size 0
		.amdhsa_private_segment_fixed_size 0
		.amdhsa_kernarg_size 136
		.amdhsa_user_sgpr_count 2
		.amdhsa_user_sgpr_dispatch_ptr 0
		.amdhsa_user_sgpr_queue_ptr 0
		.amdhsa_user_sgpr_kernarg_segment_ptr 1
		.amdhsa_user_sgpr_dispatch_id 0
		.amdhsa_user_sgpr_kernarg_preload_length 0
		.amdhsa_user_sgpr_kernarg_preload_offset 0
		.amdhsa_user_sgpr_private_segment_size 0
		.amdhsa_uses_dynamic_stack 0
		.amdhsa_enable_private_segment 0
		.amdhsa_system_sgpr_workgroup_id_x 1
		.amdhsa_system_sgpr_workgroup_id_y 0
		.amdhsa_system_sgpr_workgroup_id_z 0
		.amdhsa_system_sgpr_workgroup_info 0
		.amdhsa_system_vgpr_workitem_id 0
		.amdhsa_next_free_vgpr 1
		.amdhsa_next_free_sgpr 0
		.amdhsa_accum_offset 4
		.amdhsa_reserve_vcc 0
		.amdhsa_float_round_mode_32 0
		.amdhsa_float_round_mode_16_64 0
		.amdhsa_float_denorm_mode_32 3
		.amdhsa_float_denorm_mode_16_64 3
		.amdhsa_dx10_clamp 1
		.amdhsa_ieee_mode 1
		.amdhsa_fp16_overflow 0
		.amdhsa_tg_split 0
		.amdhsa_exception_fp_ieee_invalid_op 0
		.amdhsa_exception_fp_denorm_src 0
		.amdhsa_exception_fp_ieee_div_zero 0
		.amdhsa_exception_fp_ieee_overflow 0
		.amdhsa_exception_fp_ieee_underflow 0
		.amdhsa_exception_fp_ieee_inexact 0
		.amdhsa_exception_int_div_zero 0
	.end_amdhsa_kernel
	.section	.text._ZN7rocprim17ROCPRIM_400000_NS6detail17trampoline_kernelINS0_14default_configENS1_25partition_config_selectorILNS1_17partition_subalgoE9EllbEEZZNS1_14partition_implILS5_9ELb0ES3_jPlS8_PNS0_10empty_typeENS0_5tupleIJS8_S9_EEENSB_IJS8_SA_EEENS0_18inequality_wrapperIZN2at6native12_GLOBAL__N_124unique_dim_cuda_templateIN3c108BFloat16EEESt5tupleIJNSF_6TensorESM_SM_EERKSM_lbbbEUlllE0_EEPmJS9_EEE10hipError_tPvRmT3_T4_T5_T6_T7_T9_mT8_P12ihipStream_tbDpT10_ENKUlT_T0_E_clISt17integral_constantIbLb0EES1B_IbLb1EEEEDaS17_S18_EUlS17_E_NS1_11comp_targetILNS1_3genE0ELNS1_11target_archE4294967295ELNS1_3gpuE0ELNS1_3repE0EEENS1_30default_config_static_selectorELNS0_4arch9wavefront6targetE1EEEvT1_,"axG",@progbits,_ZN7rocprim17ROCPRIM_400000_NS6detail17trampoline_kernelINS0_14default_configENS1_25partition_config_selectorILNS1_17partition_subalgoE9EllbEEZZNS1_14partition_implILS5_9ELb0ES3_jPlS8_PNS0_10empty_typeENS0_5tupleIJS8_S9_EEENSB_IJS8_SA_EEENS0_18inequality_wrapperIZN2at6native12_GLOBAL__N_124unique_dim_cuda_templateIN3c108BFloat16EEESt5tupleIJNSF_6TensorESM_SM_EERKSM_lbbbEUlllE0_EEPmJS9_EEE10hipError_tPvRmT3_T4_T5_T6_T7_T9_mT8_P12ihipStream_tbDpT10_ENKUlT_T0_E_clISt17integral_constantIbLb0EES1B_IbLb1EEEEDaS17_S18_EUlS17_E_NS1_11comp_targetILNS1_3genE0ELNS1_11target_archE4294967295ELNS1_3gpuE0ELNS1_3repE0EEENS1_30default_config_static_selectorELNS0_4arch9wavefront6targetE1EEEvT1_,comdat
.Lfunc_end1238:
	.size	_ZN7rocprim17ROCPRIM_400000_NS6detail17trampoline_kernelINS0_14default_configENS1_25partition_config_selectorILNS1_17partition_subalgoE9EllbEEZZNS1_14partition_implILS5_9ELb0ES3_jPlS8_PNS0_10empty_typeENS0_5tupleIJS8_S9_EEENSB_IJS8_SA_EEENS0_18inequality_wrapperIZN2at6native12_GLOBAL__N_124unique_dim_cuda_templateIN3c108BFloat16EEESt5tupleIJNSF_6TensorESM_SM_EERKSM_lbbbEUlllE0_EEPmJS9_EEE10hipError_tPvRmT3_T4_T5_T6_T7_T9_mT8_P12ihipStream_tbDpT10_ENKUlT_T0_E_clISt17integral_constantIbLb0EES1B_IbLb1EEEEDaS17_S18_EUlS17_E_NS1_11comp_targetILNS1_3genE0ELNS1_11target_archE4294967295ELNS1_3gpuE0ELNS1_3repE0EEENS1_30default_config_static_selectorELNS0_4arch9wavefront6targetE1EEEvT1_, .Lfunc_end1238-_ZN7rocprim17ROCPRIM_400000_NS6detail17trampoline_kernelINS0_14default_configENS1_25partition_config_selectorILNS1_17partition_subalgoE9EllbEEZZNS1_14partition_implILS5_9ELb0ES3_jPlS8_PNS0_10empty_typeENS0_5tupleIJS8_S9_EEENSB_IJS8_SA_EEENS0_18inequality_wrapperIZN2at6native12_GLOBAL__N_124unique_dim_cuda_templateIN3c108BFloat16EEESt5tupleIJNSF_6TensorESM_SM_EERKSM_lbbbEUlllE0_EEPmJS9_EEE10hipError_tPvRmT3_T4_T5_T6_T7_T9_mT8_P12ihipStream_tbDpT10_ENKUlT_T0_E_clISt17integral_constantIbLb0EES1B_IbLb1EEEEDaS17_S18_EUlS17_E_NS1_11comp_targetILNS1_3genE0ELNS1_11target_archE4294967295ELNS1_3gpuE0ELNS1_3repE0EEENS1_30default_config_static_selectorELNS0_4arch9wavefront6targetE1EEEvT1_
                                        ; -- End function
	.section	.AMDGPU.csdata,"",@progbits
; Kernel info:
; codeLenInByte = 0
; NumSgprs: 6
; NumVgprs: 0
; NumAgprs: 0
; TotalNumVgprs: 0
; ScratchSize: 0
; MemoryBound: 0
; FloatMode: 240
; IeeeMode: 1
; LDSByteSize: 0 bytes/workgroup (compile time only)
; SGPRBlocks: 0
; VGPRBlocks: 0
; NumSGPRsForWavesPerEU: 6
; NumVGPRsForWavesPerEU: 1
; AccumOffset: 4
; Occupancy: 8
; WaveLimiterHint : 0
; COMPUTE_PGM_RSRC2:SCRATCH_EN: 0
; COMPUTE_PGM_RSRC2:USER_SGPR: 2
; COMPUTE_PGM_RSRC2:TRAP_HANDLER: 0
; COMPUTE_PGM_RSRC2:TGID_X_EN: 1
; COMPUTE_PGM_RSRC2:TGID_Y_EN: 0
; COMPUTE_PGM_RSRC2:TGID_Z_EN: 0
; COMPUTE_PGM_RSRC2:TIDIG_COMP_CNT: 0
; COMPUTE_PGM_RSRC3_GFX90A:ACCUM_OFFSET: 0
; COMPUTE_PGM_RSRC3_GFX90A:TG_SPLIT: 0
	.section	.text._ZN7rocprim17ROCPRIM_400000_NS6detail17trampoline_kernelINS0_14default_configENS1_25partition_config_selectorILNS1_17partition_subalgoE9EllbEEZZNS1_14partition_implILS5_9ELb0ES3_jPlS8_PNS0_10empty_typeENS0_5tupleIJS8_S9_EEENSB_IJS8_SA_EEENS0_18inequality_wrapperIZN2at6native12_GLOBAL__N_124unique_dim_cuda_templateIN3c108BFloat16EEESt5tupleIJNSF_6TensorESM_SM_EERKSM_lbbbEUlllE0_EEPmJS9_EEE10hipError_tPvRmT3_T4_T5_T6_T7_T9_mT8_P12ihipStream_tbDpT10_ENKUlT_T0_E_clISt17integral_constantIbLb0EES1B_IbLb1EEEEDaS17_S18_EUlS17_E_NS1_11comp_targetILNS1_3genE5ELNS1_11target_archE942ELNS1_3gpuE9ELNS1_3repE0EEENS1_30default_config_static_selectorELNS0_4arch9wavefront6targetE1EEEvT1_,"axG",@progbits,_ZN7rocprim17ROCPRIM_400000_NS6detail17trampoline_kernelINS0_14default_configENS1_25partition_config_selectorILNS1_17partition_subalgoE9EllbEEZZNS1_14partition_implILS5_9ELb0ES3_jPlS8_PNS0_10empty_typeENS0_5tupleIJS8_S9_EEENSB_IJS8_SA_EEENS0_18inequality_wrapperIZN2at6native12_GLOBAL__N_124unique_dim_cuda_templateIN3c108BFloat16EEESt5tupleIJNSF_6TensorESM_SM_EERKSM_lbbbEUlllE0_EEPmJS9_EEE10hipError_tPvRmT3_T4_T5_T6_T7_T9_mT8_P12ihipStream_tbDpT10_ENKUlT_T0_E_clISt17integral_constantIbLb0EES1B_IbLb1EEEEDaS17_S18_EUlS17_E_NS1_11comp_targetILNS1_3genE5ELNS1_11target_archE942ELNS1_3gpuE9ELNS1_3repE0EEENS1_30default_config_static_selectorELNS0_4arch9wavefront6targetE1EEEvT1_,comdat
	.globl	_ZN7rocprim17ROCPRIM_400000_NS6detail17trampoline_kernelINS0_14default_configENS1_25partition_config_selectorILNS1_17partition_subalgoE9EllbEEZZNS1_14partition_implILS5_9ELb0ES3_jPlS8_PNS0_10empty_typeENS0_5tupleIJS8_S9_EEENSB_IJS8_SA_EEENS0_18inequality_wrapperIZN2at6native12_GLOBAL__N_124unique_dim_cuda_templateIN3c108BFloat16EEESt5tupleIJNSF_6TensorESM_SM_EERKSM_lbbbEUlllE0_EEPmJS9_EEE10hipError_tPvRmT3_T4_T5_T6_T7_T9_mT8_P12ihipStream_tbDpT10_ENKUlT_T0_E_clISt17integral_constantIbLb0EES1B_IbLb1EEEEDaS17_S18_EUlS17_E_NS1_11comp_targetILNS1_3genE5ELNS1_11target_archE942ELNS1_3gpuE9ELNS1_3repE0EEENS1_30default_config_static_selectorELNS0_4arch9wavefront6targetE1EEEvT1_ ; -- Begin function _ZN7rocprim17ROCPRIM_400000_NS6detail17trampoline_kernelINS0_14default_configENS1_25partition_config_selectorILNS1_17partition_subalgoE9EllbEEZZNS1_14partition_implILS5_9ELb0ES3_jPlS8_PNS0_10empty_typeENS0_5tupleIJS8_S9_EEENSB_IJS8_SA_EEENS0_18inequality_wrapperIZN2at6native12_GLOBAL__N_124unique_dim_cuda_templateIN3c108BFloat16EEESt5tupleIJNSF_6TensorESM_SM_EERKSM_lbbbEUlllE0_EEPmJS9_EEE10hipError_tPvRmT3_T4_T5_T6_T7_T9_mT8_P12ihipStream_tbDpT10_ENKUlT_T0_E_clISt17integral_constantIbLb0EES1B_IbLb1EEEEDaS17_S18_EUlS17_E_NS1_11comp_targetILNS1_3genE5ELNS1_11target_archE942ELNS1_3gpuE9ELNS1_3repE0EEENS1_30default_config_static_selectorELNS0_4arch9wavefront6targetE1EEEvT1_
	.p2align	8
	.type	_ZN7rocprim17ROCPRIM_400000_NS6detail17trampoline_kernelINS0_14default_configENS1_25partition_config_selectorILNS1_17partition_subalgoE9EllbEEZZNS1_14partition_implILS5_9ELb0ES3_jPlS8_PNS0_10empty_typeENS0_5tupleIJS8_S9_EEENSB_IJS8_SA_EEENS0_18inequality_wrapperIZN2at6native12_GLOBAL__N_124unique_dim_cuda_templateIN3c108BFloat16EEESt5tupleIJNSF_6TensorESM_SM_EERKSM_lbbbEUlllE0_EEPmJS9_EEE10hipError_tPvRmT3_T4_T5_T6_T7_T9_mT8_P12ihipStream_tbDpT10_ENKUlT_T0_E_clISt17integral_constantIbLb0EES1B_IbLb1EEEEDaS17_S18_EUlS17_E_NS1_11comp_targetILNS1_3genE5ELNS1_11target_archE942ELNS1_3gpuE9ELNS1_3repE0EEENS1_30default_config_static_selectorELNS0_4arch9wavefront6targetE1EEEvT1_,@function
_ZN7rocprim17ROCPRIM_400000_NS6detail17trampoline_kernelINS0_14default_configENS1_25partition_config_selectorILNS1_17partition_subalgoE9EllbEEZZNS1_14partition_implILS5_9ELb0ES3_jPlS8_PNS0_10empty_typeENS0_5tupleIJS8_S9_EEENSB_IJS8_SA_EEENS0_18inequality_wrapperIZN2at6native12_GLOBAL__N_124unique_dim_cuda_templateIN3c108BFloat16EEESt5tupleIJNSF_6TensorESM_SM_EERKSM_lbbbEUlllE0_EEPmJS9_EEE10hipError_tPvRmT3_T4_T5_T6_T7_T9_mT8_P12ihipStream_tbDpT10_ENKUlT_T0_E_clISt17integral_constantIbLb0EES1B_IbLb1EEEEDaS17_S18_EUlS17_E_NS1_11comp_targetILNS1_3genE5ELNS1_11target_archE942ELNS1_3gpuE9ELNS1_3repE0EEENS1_30default_config_static_selectorELNS0_4arch9wavefront6targetE1EEEvT1_: ; @_ZN7rocprim17ROCPRIM_400000_NS6detail17trampoline_kernelINS0_14default_configENS1_25partition_config_selectorILNS1_17partition_subalgoE9EllbEEZZNS1_14partition_implILS5_9ELb0ES3_jPlS8_PNS0_10empty_typeENS0_5tupleIJS8_S9_EEENSB_IJS8_SA_EEENS0_18inequality_wrapperIZN2at6native12_GLOBAL__N_124unique_dim_cuda_templateIN3c108BFloat16EEESt5tupleIJNSF_6TensorESM_SM_EERKSM_lbbbEUlllE0_EEPmJS9_EEE10hipError_tPvRmT3_T4_T5_T6_T7_T9_mT8_P12ihipStream_tbDpT10_ENKUlT_T0_E_clISt17integral_constantIbLb0EES1B_IbLb1EEEEDaS17_S18_EUlS17_E_NS1_11comp_targetILNS1_3genE5ELNS1_11target_archE942ELNS1_3gpuE9ELNS1_3repE0EEENS1_30default_config_static_selectorELNS0_4arch9wavefront6targetE1EEEvT1_
; %bb.0:
	s_load_dwordx4 s[4:7], s[0:1], 0x8
	s_load_dwordx2 s[10:11], s[0:1], 0x18
	s_load_dwordx8 s[20:27], s[0:1], 0x40
	s_load_dwordx4 s[36:39], s[0:1], 0x60
	v_cmp_ne_u32_e64 s[2:3], 0, v0
	v_cmp_eq_u32_e64 s[18:19], 0, v0
	s_and_saveexec_b64 s[8:9], s[18:19]
	s_cbranch_execz .LBB1239_4
; %bb.1:
	s_mov_b64 s[14:15], exec
	v_mbcnt_lo_u32_b32 v1, s14, 0
	v_mbcnt_hi_u32_b32 v1, s15, v1
	v_cmp_eq_u32_e32 vcc, 0, v1
                                        ; implicit-def: $vgpr2
	s_and_saveexec_b64 s[12:13], vcc
	s_cbranch_execz .LBB1239_3
; %bb.2:
	s_load_dwordx2 s[16:17], s[0:1], 0x78
	s_bcnt1_i32_b64 s14, s[14:15]
	v_mov_b32_e32 v2, 0
	v_mov_b32_e32 v3, s14
	s_waitcnt lgkmcnt(0)
	global_atomic_add v2, v2, v3, s[16:17] sc0
.LBB1239_3:
	s_or_b64 exec, exec, s[12:13]
	s_waitcnt vmcnt(0)
	v_readfirstlane_b32 s12, v2
	v_mov_b32_e32 v2, 0
	s_nop 0
	v_add_u32_e32 v1, s12, v1
	ds_write_b32 v2, v1
.LBB1239_4:
	s_or_b64 exec, exec, s[8:9]
	v_mov_b32_e32 v3, 0
	s_load_dwordx4 s[28:31], s[0:1], 0x28
	s_load_dword s8, s[0:1], 0x70
	s_waitcnt lgkmcnt(0)
	s_barrier
	ds_read_b32 v1, v3
	s_waitcnt lgkmcnt(0)
	s_barrier
	global_load_dwordx2 v[4:5], v3, s[22:23]
	s_lshl_b64 s[12:13], s[6:7], 3
	s_mul_i32 s14, s8, 0xe00
	s_add_u32 s16, s4, s12
	s_addc_u32 s17, s5, s13
	s_add_i32 s4, s14, s6
	s_sub_i32 s54, s24, s4
	s_add_i32 s15, s8, -1
	s_addk_i32 s54, 0xe00
	s_add_u32 s4, s6, s14
	v_readfirstlane_b32 s33, v1
	s_addc_u32 s5, s7, 0
	v_mov_b32_e32 v6, s24
	v_mov_b32_e32 v7, s25
	s_cmp_eq_u32 s33, s15
	s_mov_b32 s9, 0
	s_mul_i32 s8, s33, 0xe00
	v_cmp_ge_u64_e32 vcc, s[4:5], v[6:7]
	s_cselect_b64 s[24:25], -1, 0
	s_lshl_b64 s[14:15], s[8:9], 3
	s_and_b64 s[8:9], vcc, s[24:25]
	s_xor_b64 s[34:35], s[8:9], -1
	s_add_u32 s4, s16, s14
	s_mov_b64 s[0:1], -1
	s_addc_u32 s5, s17, s15
	s_and_b64 vcc, exec, s[34:35]
	s_waitcnt vmcnt(0)
	v_readfirstlane_b32 s22, v4
	v_readfirstlane_b32 s23, v5
	s_cbranch_vccz .LBB1239_6
; %bb.5:
	v_lshlrev_b32_e32 v2, 3, v0
	v_lshl_add_u64 v[4:5], s[4:5], 0, v[2:3]
	v_add_co_u32_e32 v8, vcc, 0x1000, v4
	global_load_dwordx2 v[6:7], v2, s[4:5]
	s_nop 0
	v_addc_co_u32_e32 v9, vcc, 0, v5, vcc
	v_add_co_u32_e32 v10, vcc, 0x2000, v4
	s_mov_b64 s[0:1], 0
	s_nop 0
	v_addc_co_u32_e32 v11, vcc, 0, v5, vcc
	v_add_co_u32_e32 v12, vcc, 0x3000, v4
	s_nop 1
	v_addc_co_u32_e32 v13, vcc, 0, v5, vcc
	v_add_co_u32_e32 v14, vcc, 0x4000, v4
	s_nop 1
	v_addc_co_u32_e32 v15, vcc, 0, v5, vcc
	global_load_dwordx2 v[16:17], v[8:9], off
	global_load_dwordx2 v[18:19], v[10:11], off
	;; [unrolled: 1-line block ×4, first 2 shown]
	v_add_co_u32_e32 v8, vcc, 0x5000, v4
	s_nop 1
	v_addc_co_u32_e32 v9, vcc, 0, v5, vcc
	v_add_co_u32_e32 v4, vcc, 0x6000, v4
	global_load_dwordx2 v[8:9], v[8:9], off
	s_nop 0
	v_addc_co_u32_e32 v5, vcc, 0, v5, vcc
	global_load_dwordx2 v[4:5], v[4:5], off
	s_waitcnt vmcnt(5)
	ds_write2st64_b64 v2, v[6:7], v[16:17] offset1:8
	s_waitcnt vmcnt(3)
	ds_write2st64_b64 v2, v[18:19], v[20:21] offset0:16 offset1:24
	s_waitcnt vmcnt(1)
	ds_write2st64_b64 v2, v[22:23], v[8:9] offset0:32 offset1:40
	s_waitcnt vmcnt(0)
	ds_write_b64 v2, v[4:5] offset:24576
	s_waitcnt lgkmcnt(0)
	s_barrier
.LBB1239_6:
	s_andn2_b64 vcc, exec, s[0:1]
	v_cmp_gt_u32_e64 s[0:1], s54, v0
	s_cbranch_vccnz .LBB1239_22
; %bb.7:
                                        ; implicit-def: $vgpr2_vgpr3_vgpr4_vgpr5_vgpr6_vgpr7_vgpr8_vgpr9_vgpr10_vgpr11_vgpr12_vgpr13_vgpr14_vgpr15_vgpr16_vgpr17
	s_and_saveexec_b64 s[16:17], s[0:1]
	s_cbranch_execz .LBB1239_9
; %bb.8:
	v_lshlrev_b32_e32 v1, 3, v0
	global_load_dwordx2 v[2:3], v1, s[4:5]
.LBB1239_9:
	s_or_b64 exec, exec, s[16:17]
	v_or_b32_e32 v1, 0x200, v0
	v_cmp_gt_u32_e32 vcc, s54, v1
	s_and_saveexec_b64 s[0:1], vcc
	s_cbranch_execz .LBB1239_11
; %bb.10:
	v_lshlrev_b32_e32 v1, 3, v1
	global_load_dwordx2 v[4:5], v1, s[4:5]
.LBB1239_11:
	s_or_b64 exec, exec, s[0:1]
	v_or_b32_e32 v1, 0x400, v0
	v_cmp_gt_u32_e32 vcc, s54, v1
	s_and_saveexec_b64 s[0:1], vcc
	;; [unrolled: 9-line block ×6, first 2 shown]
	s_cbranch_execz .LBB1239_21
; %bb.20:
	v_lshlrev_b32_e32 v1, 3, v1
	global_load_dwordx2 v[14:15], v1, s[4:5]
.LBB1239_21:
	s_or_b64 exec, exec, s[0:1]
	v_lshlrev_b32_e32 v1, 3, v0
	s_waitcnt vmcnt(0)
	ds_write2st64_b64 v1, v[2:3], v[4:5] offset1:8
	ds_write2st64_b64 v1, v[6:7], v[8:9] offset0:16 offset1:24
	ds_write2st64_b64 v1, v[10:11], v[12:13] offset0:32 offset1:40
	ds_write_b64 v1, v[14:15] offset:24576
	s_waitcnt lgkmcnt(0)
	s_barrier
.LBB1239_22:
	v_mul_u32_u24_e32 v1, 7, v0
	v_lshlrev_b32_e32 v46, 3, v1
	ds_read2_b64 v[22:25], v46 offset1:1
	ds_read2_b64 v[18:21], v46 offset0:2 offset1:3
	ds_read2_b64 v[14:17], v46 offset0:4 offset1:5
	ds_read_b64 v[28:29], v46 offset:48
	s_add_u32 s0, s10, s12
	s_addc_u32 s1, s11, s13
	s_add_u32 s0, s0, s14
	s_addc_u32 s1, s1, s15
	s_mov_b64 s[10:11], -1
	s_and_b64 vcc, exec, s[34:35]
	s_waitcnt lgkmcnt(0)
	s_barrier
	s_cbranch_vccz .LBB1239_24
; %bb.23:
	v_lshlrev_b32_e32 v2, 3, v0
	v_mov_b32_e32 v3, 0
	v_lshl_add_u64 v[4:5], s[0:1], 0, v[2:3]
	v_add_co_u32_e32 v8, vcc, 0x1000, v4
	global_load_dwordx2 v[6:7], v2, s[0:1]
	s_nop 0
	v_addc_co_u32_e32 v9, vcc, 0, v5, vcc
	v_add_co_u32_e32 v10, vcc, 0x2000, v4
	s_mov_b64 s[10:11], 0
	s_nop 0
	v_addc_co_u32_e32 v11, vcc, 0, v5, vcc
	v_add_co_u32_e32 v12, vcc, 0x3000, v4
	s_nop 1
	v_addc_co_u32_e32 v13, vcc, 0, v5, vcc
	v_add_co_u32_e32 v26, vcc, 0x4000, v4
	s_nop 1
	v_addc_co_u32_e32 v27, vcc, 0, v5, vcc
	global_load_dwordx2 v[30:31], v[8:9], off
	global_load_dwordx2 v[32:33], v[10:11], off
	;; [unrolled: 1-line block ×4, first 2 shown]
	v_add_co_u32_e32 v8, vcc, 0x5000, v4
	s_nop 1
	v_addc_co_u32_e32 v9, vcc, 0, v5, vcc
	v_add_co_u32_e32 v4, vcc, 0x6000, v4
	global_load_dwordx2 v[8:9], v[8:9], off
	s_nop 0
	v_addc_co_u32_e32 v5, vcc, 0, v5, vcc
	global_load_dwordx2 v[4:5], v[4:5], off
	s_waitcnt vmcnt(5)
	ds_write2st64_b64 v2, v[6:7], v[30:31] offset1:8
	s_waitcnt vmcnt(3)
	ds_write2st64_b64 v2, v[32:33], v[34:35] offset0:16 offset1:24
	s_waitcnt vmcnt(1)
	ds_write2st64_b64 v2, v[36:37], v[8:9] offset0:32 offset1:40
	s_waitcnt vmcnt(0)
	ds_write_b64 v2, v[4:5] offset:24576
	s_waitcnt lgkmcnt(0)
	s_barrier
.LBB1239_24:
	s_andn2_b64 vcc, exec, s[10:11]
	s_cbranch_vccnz .LBB1239_40
; %bb.25:
	v_cmp_gt_u32_e32 vcc, s54, v0
                                        ; implicit-def: $vgpr2_vgpr3
	s_and_saveexec_b64 s[10:11], vcc
	s_cbranch_execz .LBB1239_27
; %bb.26:
	v_lshlrev_b32_e32 v2, 3, v0
	global_load_dwordx2 v[2:3], v2, s[0:1]
.LBB1239_27:
	s_or_b64 exec, exec, s[10:11]
	v_or_b32_e32 v6, 0x200, v0
	v_cmp_gt_u32_e32 vcc, s54, v6
                                        ; implicit-def: $vgpr4_vgpr5
	s_and_saveexec_b64 s[10:11], vcc
	s_cbranch_execz .LBB1239_29
; %bb.28:
	v_lshlrev_b32_e32 v4, 3, v6
	global_load_dwordx2 v[4:5], v4, s[0:1]
.LBB1239_29:
	s_or_b64 exec, exec, s[10:11]
	v_or_b32_e32 v8, 0x400, v0
	v_cmp_gt_u32_e32 vcc, s54, v8
                                        ; implicit-def: $vgpr6_vgpr7
	s_and_saveexec_b64 s[10:11], vcc
	s_cbranch_execz .LBB1239_31
; %bb.30:
	v_lshlrev_b32_e32 v6, 3, v8
	global_load_dwordx2 v[6:7], v6, s[0:1]
.LBB1239_31:
	s_or_b64 exec, exec, s[10:11]
	v_or_b32_e32 v10, 0x600, v0
	v_cmp_gt_u32_e32 vcc, s54, v10
                                        ; implicit-def: $vgpr8_vgpr9
	s_and_saveexec_b64 s[10:11], vcc
	s_cbranch_execz .LBB1239_33
; %bb.32:
	v_lshlrev_b32_e32 v8, 3, v10
	global_load_dwordx2 v[8:9], v8, s[0:1]
.LBB1239_33:
	s_or_b64 exec, exec, s[10:11]
	v_or_b32_e32 v12, 0x800, v0
	v_cmp_gt_u32_e32 vcc, s54, v12
                                        ; implicit-def: $vgpr10_vgpr11
	s_and_saveexec_b64 s[10:11], vcc
	s_cbranch_execz .LBB1239_35
; %bb.34:
	v_lshlrev_b32_e32 v10, 3, v12
	global_load_dwordx2 v[10:11], v10, s[0:1]
.LBB1239_35:
	s_or_b64 exec, exec, s[10:11]
	v_or_b32_e32 v26, 0xa00, v0
	v_cmp_gt_u32_e32 vcc, s54, v26
                                        ; implicit-def: $vgpr12_vgpr13
	s_and_saveexec_b64 s[10:11], vcc
	s_cbranch_execz .LBB1239_37
; %bb.36:
	v_lshlrev_b32_e32 v12, 3, v26
	global_load_dwordx2 v[12:13], v12, s[0:1]
.LBB1239_37:
	s_or_b64 exec, exec, s[10:11]
	v_or_b32_e32 v30, 0xc00, v0
	v_cmp_gt_u32_e32 vcc, s54, v30
                                        ; implicit-def: $vgpr26_vgpr27
	s_and_saveexec_b64 s[10:11], vcc
	s_cbranch_execz .LBB1239_39
; %bb.38:
	v_lshlrev_b32_e32 v26, 3, v30
	global_load_dwordx2 v[26:27], v26, s[0:1]
.LBB1239_39:
	s_or_b64 exec, exec, s[10:11]
	s_movk_i32 s0, 0xffd0
	v_mad_i32_i24 v30, v0, s0, v46
	s_waitcnt vmcnt(0)
	ds_write2st64_b64 v30, v[2:3], v[4:5] offset1:8
	ds_write2st64_b64 v30, v[6:7], v[8:9] offset0:16 offset1:24
	ds_write2st64_b64 v30, v[10:11], v[12:13] offset0:32 offset1:40
	ds_write_b64 v30, v[26:27] offset:24576
	s_waitcnt lgkmcnt(0)
	s_barrier
.LBB1239_40:
	ds_read2_b64 v[10:13], v46 offset1:1
	ds_read2_b64 v[6:9], v46 offset0:2 offset1:3
	ds_read2_b64 v[2:5], v46 offset0:4 offset1:5
	ds_read_b64 v[26:27], v46 offset:48
	s_cmp_lg_u32 s33, 0
	s_cselect_b64 s[0:1], -1, 0
	s_cmp_lg_u64 s[6:7], 0
	s_cselect_b64 s[6:7], -1, 0
	s_or_b64 s[6:7], s[6:7], s[0:1]
	v_add_u32_e32 v43, 1, v1
	v_add_u32_e32 v40, 2, v1
	;; [unrolled: 1-line block ×6, first 2 shown]
	s_mov_b64 s[10:11], 0
	s_and_b64 vcc, exec, s[6:7]
	v_cmp_gt_i64_e64 s[12:13], s[26:27], 0
	s_waitcnt lgkmcnt(0)
	s_barrier
	s_cbranch_vccz .LBB1239_49
; %bb.41:
	v_mov_b32_e32 v30, 0
	global_load_dwordx2 v[30:31], v30, s[4:5] offset:-8
	v_cndmask_b32_e64 v32, 0, 1, s[12:13]
	v_lshlrev_b32_e32 v47, 3, v0
	s_mov_b64 s[6:7], 0
	s_and_b64 vcc, exec, s[34:35]
	v_cmp_ne_u32_e64 s[4:5], 1, v32
	ds_write_b64 v47, v[28:29]
	s_cbranch_vccz .LBB1239_51
; %bb.42:
	v_mul_lo_u32 v34, v17, s26
	v_mul_lo_u32 v35, v16, s27
	v_mad_u64_u32 v[32:33], s[10:11], v16, s26, 0
	v_add3_u32 v33, v33, v35, v34
	s_and_b64 vcc, exec, s[4:5]
	v_lshl_add_u64 v[32:33], v[32:33], 1, s[36:37]
	s_cbranch_vccnz .LBB1239_54
; %bb.43:
	v_mul_lo_u32 v36, v29, s26
	v_mul_lo_u32 v37, v28, s27
	v_mad_u64_u32 v[34:35], s[6:7], v28, s26, 0
	v_add3_u32 v35, v35, v37, v36
	v_lshl_add_u64 v[34:35], v[34:35], 1, s[36:37]
	global_load_ushort v36, v[34:35], off
	global_load_ushort v37, v[32:33], off
	s_mov_b64 s[6:7], -1
	s_waitcnt vmcnt(1)
	v_lshlrev_b32_e32 v36, 16, v36
	s_waitcnt vmcnt(0)
	v_lshlrev_b32_e32 v37, 16, v37
	v_cmp_eq_f32_e32 vcc, v37, v36
	s_and_saveexec_b64 s[10:11], vcc
	s_cbranch_execz .LBB1239_53
; %bb.44:
	s_add_u32 s6, s26, -1
	v_lshl_add_u64 v[34:35], v[34:35], 0, 2
	v_lshl_add_u64 v[36:37], v[32:33], 0, 2
	s_addc_u32 s7, s27, -1
	s_mov_b64 s[12:13], 0
	s_mov_b64 s[16:17], 0
                                        ; implicit-def: $sgpr14_sgpr15
	s_branch .LBB1239_47
.LBB1239_45:                            ;   in Loop: Header=BB1239_47 Depth=1
	global_load_ushort v38, v[34:35], off
	global_load_ushort v39, v[36:37], off
	s_add_u32 s16, s16, 1
	s_addc_u32 s17, s17, 0
	s_andn2_b64 s[14:15], s[14:15], exec
	v_lshl_add_u64 v[34:35], v[34:35], 0, 2
	v_lshl_add_u64 v[36:37], v[36:37], 0, 2
	s_waitcnt vmcnt(1)
	v_lshlrev_b32_e32 v38, 16, v38
	s_waitcnt vmcnt(0)
	v_lshlrev_b32_e32 v39, 16, v39
	v_cmp_neq_f32_e32 vcc, v39, v38
	s_and_b64 s[40:41], vcc, exec
	s_or_b64 s[14:15], s[14:15], s[40:41]
.LBB1239_46:                            ;   in Loop: Header=BB1239_47 Depth=1
	s_and_b64 s[40:41], exec, s[14:15]
	s_or_b64 s[12:13], s[40:41], s[12:13]
	v_mov_b64_e32 v[38:39], s[16:17]
	s_andn2_b64 exec, exec, s[12:13]
	s_cbranch_execz .LBB1239_52
.LBB1239_47:                            ; =>This Inner Loop Header: Depth=1
	s_or_b64 s[14:15], s[14:15], exec
	s_cmp_eq_u64 s[6:7], s[16:17]
	s_cbranch_scc0 .LBB1239_45
; %bb.48:                               ;   in Loop: Header=BB1239_47 Depth=1
                                        ; implicit-def: $vgpr34_vgpr35
                                        ; implicit-def: $vgpr36_vgpr37
	s_mov_b64 s[16:17], s[26:27]
	s_branch .LBB1239_46
.LBB1239_49:
                                        ; implicit-def: $sgpr14_sgpr15
                                        ; implicit-def: $vgpr49
                                        ; implicit-def: $vgpr48
                                        ; implicit-def: $vgpr39
                                        ; implicit-def: $vgpr34
	s_branch .LBB1239_192
.LBB1239_50:
                                        ; implicit-def: $vgpr30_vgpr31
	s_branch .LBB1239_340
.LBB1239_51:
                                        ; implicit-def: $sgpr14_sgpr15
                                        ; implicit-def: $vgpr49
                                        ; implicit-def: $vgpr48
                                        ; implicit-def: $vgpr39
                                        ; implicit-def: $vgpr34
	s_cbranch_execnz .LBB1239_111
	s_branch .LBB1239_191
.LBB1239_52:
	s_or_b64 exec, exec, s[12:13]
	v_cmp_gt_i64_e32 vcc, s[26:27], v[38:39]
	s_orn2_b64 s[6:7], vcc, exec
.LBB1239_53:
	s_or_b64 exec, exec, s[10:11]
.LBB1239_54:
	v_mul_lo_u32 v36, v15, s26
	v_mul_lo_u32 v37, v14, s27
	v_mad_u64_u32 v[34:35], s[10:11], v14, s26, 0
	v_add3_u32 v35, v35, v37, v36
	s_mov_b64 s[10:11], 0
	s_and_b64 vcc, exec, s[4:5]
	v_lshl_add_u64 v[34:35], v[34:35], 1, s[36:37]
	s_mov_b64 s[12:13], 0
	s_cbranch_vccnz .LBB1239_63
; %bb.55:
	global_load_ushort v36, v[32:33], off
	global_load_ushort v37, v[34:35], off
	s_mov_b64 s[12:13], -1
	s_waitcnt vmcnt(1)
	v_lshlrev_b32_e32 v36, 16, v36
	s_waitcnt vmcnt(0)
	v_lshlrev_b32_e32 v37, 16, v37
	v_cmp_eq_f32_e32 vcc, v37, v36
	s_and_saveexec_b64 s[14:15], vcc
	s_cbranch_execz .LBB1239_62
; %bb.56:
	s_add_u32 s12, s26, -1
	v_lshl_add_u64 v[32:33], v[32:33], 0, 2
	v_lshl_add_u64 v[36:37], v[34:35], 0, 2
	s_addc_u32 s13, s27, -1
	s_mov_b64 s[16:17], 0
	s_mov_b64 s[42:43], 0
                                        ; implicit-def: $sgpr40_sgpr41
	s_branch .LBB1239_59
.LBB1239_57:                            ;   in Loop: Header=BB1239_59 Depth=1
	global_load_ushort v38, v[32:33], off
	global_load_ushort v39, v[36:37], off
	s_add_u32 s42, s42, 1
	s_addc_u32 s43, s43, 0
	s_andn2_b64 s[40:41], s[40:41], exec
	v_lshl_add_u64 v[32:33], v[32:33], 0, 2
	v_lshl_add_u64 v[36:37], v[36:37], 0, 2
	s_waitcnt vmcnt(1)
	v_lshlrev_b32_e32 v38, 16, v38
	s_waitcnt vmcnt(0)
	v_lshlrev_b32_e32 v39, 16, v39
	v_cmp_neq_f32_e32 vcc, v39, v38
	s_and_b64 s[44:45], vcc, exec
	s_or_b64 s[40:41], s[40:41], s[44:45]
.LBB1239_58:                            ;   in Loop: Header=BB1239_59 Depth=1
	s_and_b64 s[44:45], exec, s[40:41]
	s_or_b64 s[16:17], s[44:45], s[16:17]
	v_mov_b64_e32 v[38:39], s[42:43]
	s_andn2_b64 exec, exec, s[16:17]
	s_cbranch_execz .LBB1239_61
.LBB1239_59:                            ; =>This Inner Loop Header: Depth=1
	s_or_b64 s[40:41], s[40:41], exec
	s_cmp_eq_u64 s[12:13], s[42:43]
	s_cbranch_scc0 .LBB1239_57
; %bb.60:                               ;   in Loop: Header=BB1239_59 Depth=1
                                        ; implicit-def: $vgpr32_vgpr33
                                        ; implicit-def: $vgpr36_vgpr37
	s_mov_b64 s[42:43], s[26:27]
	s_branch .LBB1239_58
.LBB1239_61:
	s_or_b64 exec, exec, s[16:17]
	v_cmp_gt_i64_e32 vcc, s[26:27], v[38:39]
	s_orn2_b64 s[12:13], vcc, exec
.LBB1239_62:
	s_or_b64 exec, exec, s[14:15]
.LBB1239_63:
	v_mul_lo_u32 v36, v21, s26
	v_mul_lo_u32 v37, v20, s27
	v_mad_u64_u32 v[32:33], s[14:15], v20, s26, 0
	v_add3_u32 v33, v33, v37, v36
	s_and_b64 vcc, exec, s[4:5]
	v_lshl_add_u64 v[32:33], v[32:33], 1, s[36:37]
	s_cbranch_vccnz .LBB1239_72
; %bb.64:
	global_load_ushort v36, v[34:35], off
	global_load_ushort v37, v[32:33], off
	s_mov_b64 s[10:11], -1
	s_waitcnt vmcnt(1)
	v_lshlrev_b32_e32 v36, 16, v36
	s_waitcnt vmcnt(0)
	v_lshlrev_b32_e32 v37, 16, v37
	v_cmp_eq_f32_e32 vcc, v37, v36
	s_and_saveexec_b64 s[14:15], vcc
	s_cbranch_execz .LBB1239_71
; %bb.65:
	s_add_u32 s10, s26, -1
	v_lshl_add_u64 v[34:35], v[34:35], 0, 2
	v_lshl_add_u64 v[36:37], v[32:33], 0, 2
	s_addc_u32 s11, s27, -1
	s_mov_b64 s[16:17], 0
	s_mov_b64 s[42:43], 0
                                        ; implicit-def: $sgpr40_sgpr41
	s_branch .LBB1239_68
.LBB1239_66:                            ;   in Loop: Header=BB1239_68 Depth=1
	global_load_ushort v38, v[34:35], off
	global_load_ushort v39, v[36:37], off
	s_add_u32 s42, s42, 1
	s_addc_u32 s43, s43, 0
	s_andn2_b64 s[40:41], s[40:41], exec
	v_lshl_add_u64 v[34:35], v[34:35], 0, 2
	v_lshl_add_u64 v[36:37], v[36:37], 0, 2
	s_waitcnt vmcnt(1)
	v_lshlrev_b32_e32 v38, 16, v38
	s_waitcnt vmcnt(0)
	v_lshlrev_b32_e32 v39, 16, v39
	v_cmp_neq_f32_e32 vcc, v39, v38
	s_and_b64 s[44:45], vcc, exec
	s_or_b64 s[40:41], s[40:41], s[44:45]
.LBB1239_67:                            ;   in Loop: Header=BB1239_68 Depth=1
	s_and_b64 s[44:45], exec, s[40:41]
	s_or_b64 s[16:17], s[44:45], s[16:17]
	v_mov_b64_e32 v[38:39], s[42:43]
	s_andn2_b64 exec, exec, s[16:17]
	s_cbranch_execz .LBB1239_70
.LBB1239_68:                            ; =>This Inner Loop Header: Depth=1
	s_or_b64 s[40:41], s[40:41], exec
	s_cmp_eq_u64 s[10:11], s[42:43]
	s_cbranch_scc0 .LBB1239_66
; %bb.69:                               ;   in Loop: Header=BB1239_68 Depth=1
                                        ; implicit-def: $vgpr34_vgpr35
                                        ; implicit-def: $vgpr36_vgpr37
	s_mov_b64 s[42:43], s[26:27]
	s_branch .LBB1239_67
.LBB1239_70:
	s_or_b64 exec, exec, s[16:17]
	v_cmp_gt_i64_e32 vcc, s[26:27], v[38:39]
	s_orn2_b64 s[10:11], vcc, exec
.LBB1239_71:
	s_or_b64 exec, exec, s[14:15]
.LBB1239_72:
	v_mul_lo_u32 v36, v19, s26
	v_mul_lo_u32 v37, v18, s27
	v_mad_u64_u32 v[34:35], s[14:15], v18, s26, 0
	v_add3_u32 v35, v35, v37, v36
	s_mov_b64 s[14:15], 0
	s_and_b64 vcc, exec, s[4:5]
	v_lshl_add_u64 v[36:37], v[34:35], 1, s[36:37]
	s_mov_b64 s[16:17], 0
	s_cbranch_vccnz .LBB1239_81
; %bb.73:
	global_load_ushort v34, v[32:33], off
	global_load_ushort v35, v[36:37], off
	s_mov_b64 s[16:17], -1
	s_waitcnt vmcnt(1)
	v_lshlrev_b32_e32 v34, 16, v34
	s_waitcnt vmcnt(0)
	v_lshlrev_b32_e32 v35, 16, v35
	v_cmp_eq_f32_e32 vcc, v35, v34
	s_and_saveexec_b64 s[40:41], vcc
	s_cbranch_execz .LBB1239_80
; %bb.74:
	s_add_u32 s16, s26, -1
	v_lshl_add_u64 v[32:33], v[32:33], 0, 2
	v_lshl_add_u64 v[34:35], v[36:37], 0, 2
	s_addc_u32 s17, s27, -1
	s_mov_b64 s[42:43], 0
	s_mov_b64 s[46:47], 0
                                        ; implicit-def: $sgpr44_sgpr45
	s_branch .LBB1239_77
.LBB1239_75:                            ;   in Loop: Header=BB1239_77 Depth=1
	global_load_ushort v38, v[32:33], off
	global_load_ushort v39, v[34:35], off
	s_add_u32 s46, s46, 1
	s_addc_u32 s47, s47, 0
	s_andn2_b64 s[44:45], s[44:45], exec
	v_lshl_add_u64 v[32:33], v[32:33], 0, 2
	v_lshl_add_u64 v[34:35], v[34:35], 0, 2
	s_waitcnt vmcnt(1)
	v_lshlrev_b32_e32 v38, 16, v38
	s_waitcnt vmcnt(0)
	v_lshlrev_b32_e32 v39, 16, v39
	v_cmp_neq_f32_e32 vcc, v39, v38
	s_and_b64 s[48:49], vcc, exec
	s_or_b64 s[44:45], s[44:45], s[48:49]
.LBB1239_76:                            ;   in Loop: Header=BB1239_77 Depth=1
	s_and_b64 s[48:49], exec, s[44:45]
	s_or_b64 s[42:43], s[48:49], s[42:43]
	v_mov_b64_e32 v[38:39], s[46:47]
	s_andn2_b64 exec, exec, s[42:43]
	s_cbranch_execz .LBB1239_79
.LBB1239_77:                            ; =>This Inner Loop Header: Depth=1
	s_or_b64 s[44:45], s[44:45], exec
	s_cmp_eq_u64 s[16:17], s[46:47]
	s_cbranch_scc0 .LBB1239_75
; %bb.78:                               ;   in Loop: Header=BB1239_77 Depth=1
                                        ; implicit-def: $vgpr32_vgpr33
                                        ; implicit-def: $vgpr34_vgpr35
	s_mov_b64 s[46:47], s[26:27]
	s_branch .LBB1239_76
.LBB1239_79:
	s_or_b64 exec, exec, s[42:43]
	v_cmp_gt_i64_e32 vcc, s[26:27], v[38:39]
	s_orn2_b64 s[16:17], vcc, exec
.LBB1239_80:
	s_or_b64 exec, exec, s[40:41]
.LBB1239_81:
	v_mul_lo_u32 v34, v25, s26
	v_mul_lo_u32 v35, v24, s27
	v_mad_u64_u32 v[32:33], s[40:41], v24, s26, 0
	v_add3_u32 v33, v33, v35, v34
	s_and_b64 vcc, exec, s[4:5]
	v_lshl_add_u64 v[34:35], v[32:33], 1, s[36:37]
	s_cbranch_vccnz .LBB1239_90
; %bb.82:
	global_load_ushort v32, v[36:37], off
	global_load_ushort v33, v[34:35], off
	s_mov_b64 s[14:15], -1
	s_waitcnt vmcnt(1)
	v_lshlrev_b32_e32 v32, 16, v32
	s_waitcnt vmcnt(0)
	v_lshlrev_b32_e32 v33, 16, v33
	v_cmp_eq_f32_e32 vcc, v33, v32
	s_and_saveexec_b64 s[40:41], vcc
	s_cbranch_execz .LBB1239_89
; %bb.83:
	s_add_u32 s14, s26, -1
	v_lshl_add_u64 v[32:33], v[36:37], 0, 2
	v_lshl_add_u64 v[36:37], v[34:35], 0, 2
	s_addc_u32 s15, s27, -1
	s_mov_b64 s[42:43], 0
	s_mov_b64 s[46:47], 0
                                        ; implicit-def: $sgpr44_sgpr45
	s_branch .LBB1239_86
.LBB1239_84:                            ;   in Loop: Header=BB1239_86 Depth=1
	global_load_ushort v38, v[32:33], off
	global_load_ushort v39, v[36:37], off
	s_add_u32 s46, s46, 1
	s_addc_u32 s47, s47, 0
	s_andn2_b64 s[44:45], s[44:45], exec
	v_lshl_add_u64 v[32:33], v[32:33], 0, 2
	v_lshl_add_u64 v[36:37], v[36:37], 0, 2
	s_waitcnt vmcnt(1)
	v_lshlrev_b32_e32 v38, 16, v38
	s_waitcnt vmcnt(0)
	v_lshlrev_b32_e32 v39, 16, v39
	v_cmp_neq_f32_e32 vcc, v39, v38
	s_and_b64 s[48:49], vcc, exec
	s_or_b64 s[44:45], s[44:45], s[48:49]
.LBB1239_85:                            ;   in Loop: Header=BB1239_86 Depth=1
	s_and_b64 s[48:49], exec, s[44:45]
	s_or_b64 s[42:43], s[48:49], s[42:43]
	v_mov_b64_e32 v[38:39], s[46:47]
	s_andn2_b64 exec, exec, s[42:43]
	s_cbranch_execz .LBB1239_88
.LBB1239_86:                            ; =>This Inner Loop Header: Depth=1
	s_or_b64 s[44:45], s[44:45], exec
	s_cmp_eq_u64 s[14:15], s[46:47]
	s_cbranch_scc0 .LBB1239_84
; %bb.87:                               ;   in Loop: Header=BB1239_86 Depth=1
                                        ; implicit-def: $vgpr32_vgpr33
                                        ; implicit-def: $vgpr36_vgpr37
	s_mov_b64 s[46:47], s[26:27]
	s_branch .LBB1239_85
.LBB1239_88:
	s_or_b64 exec, exec, s[42:43]
	v_cmp_gt_i64_e32 vcc, s[26:27], v[38:39]
	s_orn2_b64 s[14:15], vcc, exec
.LBB1239_89:
	s_or_b64 exec, exec, s[40:41]
.LBB1239_90:
	v_mul_lo_u32 v36, v23, s26
	v_mul_lo_u32 v37, v22, s27
	v_mad_u64_u32 v[32:33], s[40:41], v22, s26, 0
	v_add3_u32 v33, v33, v37, v36
	s_mov_b64 s[42:43], 0
	s_and_b64 vcc, exec, s[4:5]
	v_lshl_add_u64 v[32:33], v[32:33], 1, s[36:37]
	s_cbranch_vccnz .LBB1239_99
; %bb.91:
	global_load_ushort v36, v[34:35], off
	global_load_ushort v37, v[32:33], off
	s_mov_b64 s[42:43], -1
	s_waitcnt vmcnt(1)
	v_lshlrev_b32_e32 v36, 16, v36
	s_waitcnt vmcnt(0)
	v_lshlrev_b32_e32 v37, 16, v37
	v_cmp_eq_f32_e32 vcc, v37, v36
	s_and_saveexec_b64 s[40:41], vcc
	s_cbranch_execz .LBB1239_98
; %bb.92:
	s_add_u32 s42, s26, -1
	v_lshl_add_u64 v[34:35], v[34:35], 0, 2
	v_lshl_add_u64 v[36:37], v[32:33], 0, 2
	s_addc_u32 s43, s27, -1
	s_mov_b64 s[44:45], 0
	s_mov_b64 s[48:49], 0
                                        ; implicit-def: $sgpr46_sgpr47
	s_branch .LBB1239_95
.LBB1239_93:                            ;   in Loop: Header=BB1239_95 Depth=1
	global_load_ushort v38, v[34:35], off
	global_load_ushort v39, v[36:37], off
	s_add_u32 s48, s48, 1
	s_addc_u32 s49, s49, 0
	s_andn2_b64 s[46:47], s[46:47], exec
	v_lshl_add_u64 v[34:35], v[34:35], 0, 2
	v_lshl_add_u64 v[36:37], v[36:37], 0, 2
	s_waitcnt vmcnt(1)
	v_lshlrev_b32_e32 v38, 16, v38
	s_waitcnt vmcnt(0)
	v_lshlrev_b32_e32 v39, 16, v39
	v_cmp_neq_f32_e32 vcc, v39, v38
	s_and_b64 s[50:51], vcc, exec
	s_or_b64 s[46:47], s[46:47], s[50:51]
.LBB1239_94:                            ;   in Loop: Header=BB1239_95 Depth=1
	s_and_b64 s[50:51], exec, s[46:47]
	s_or_b64 s[44:45], s[50:51], s[44:45]
	v_mov_b64_e32 v[38:39], s[48:49]
	s_andn2_b64 exec, exec, s[44:45]
	s_cbranch_execz .LBB1239_97
.LBB1239_95:                            ; =>This Inner Loop Header: Depth=1
	s_or_b64 s[46:47], s[46:47], exec
	s_cmp_eq_u64 s[42:43], s[48:49]
	s_cbranch_scc0 .LBB1239_93
; %bb.96:                               ;   in Loop: Header=BB1239_95 Depth=1
                                        ; implicit-def: $vgpr34_vgpr35
                                        ; implicit-def: $vgpr36_vgpr37
	s_mov_b64 s[48:49], s[26:27]
	s_branch .LBB1239_94
.LBB1239_97:
	s_or_b64 exec, exec, s[44:45]
	v_cmp_gt_i64_e32 vcc, s[26:27], v[38:39]
	s_orn2_b64 s[42:43], vcc, exec
.LBB1239_98:
	s_or_b64 exec, exec, s[40:41]
.LBB1239_99:
	s_waitcnt vmcnt(0)
	v_mov_b64_e32 v[34:35], v[30:31]
	s_waitcnt lgkmcnt(0)
	s_barrier
	s_and_saveexec_b64 s[40:41], s[2:3]
	s_cbranch_execz .LBB1239_101
; %bb.100:
	v_add_u32_e32 v34, -8, v47
	ds_read_b64 v[34:35], v34
.LBB1239_101:
	s_or_b64 exec, exec, s[40:41]
	v_cndmask_b32_e64 v37, 0, 1, s[16:17]
	v_cndmask_b32_e64 v36, 0, 1, s[14:15]
	;; [unrolled: 1-line block ×3, first 2 shown]
	v_lshlrev_b16_e32 v37, 8, v37
	v_lshlrev_b16_e32 v38, 8, v38
	v_or_b32_sdwa v50, v36, v37 dst_sel:WORD_1 dst_unused:UNUSED_PAD src0_sel:DWORD src1_sel:DWORD
	s_mov_b64 s[16:17], 0
	s_and_b64 vcc, exec, s[4:5]
	s_mov_b64 s[14:15], 0
	s_cbranch_vccnz .LBB1239_110
; %bb.102:
	s_waitcnt lgkmcnt(0)
	v_mul_lo_u32 v36, v35, s26
	v_mul_lo_u32 v37, v34, s27
	v_mad_u64_u32 v[34:35], s[14:15], v34, s26, 0
	v_add3_u32 v35, v35, v37, v36
	v_lshl_add_u64 v[34:35], v[34:35], 1, s[36:37]
	global_load_ushort v36, v[34:35], off
	global_load_ushort v37, v[32:33], off
	s_mov_b64 s[14:15], -1
	s_waitcnt vmcnt(1)
	v_lshlrev_b32_e32 v36, 16, v36
	s_waitcnt vmcnt(0)
	v_lshlrev_b32_e32 v37, 16, v37
	v_cmp_eq_f32_e32 vcc, v36, v37
	s_and_saveexec_b64 s[40:41], vcc
	s_cbranch_execz .LBB1239_109
; %bb.103:
	s_add_u32 s14, s26, -1
	v_lshl_add_u64 v[32:33], v[32:33], 0, 2
	v_lshl_add_u64 v[34:35], v[34:35], 0, 2
	s_addc_u32 s15, s27, -1
	s_mov_b64 s[42:43], 0
	s_mov_b64 s[46:47], 0
                                        ; implicit-def: $sgpr44_sgpr45
	s_branch .LBB1239_106
.LBB1239_104:                           ;   in Loop: Header=BB1239_106 Depth=1
	global_load_ushort v36, v[32:33], off
	global_load_ushort v37, v[34:35], off
	s_add_u32 s46, s46, 1
	s_addc_u32 s47, s47, 0
	s_andn2_b64 s[44:45], s[44:45], exec
	v_lshl_add_u64 v[32:33], v[32:33], 0, 2
	v_lshl_add_u64 v[34:35], v[34:35], 0, 2
	s_waitcnt vmcnt(1)
	v_lshlrev_b32_e32 v36, 16, v36
	s_waitcnt vmcnt(0)
	v_lshlrev_b32_e32 v37, 16, v37
	v_cmp_neq_f32_e32 vcc, v37, v36
	s_and_b64 s[48:49], vcc, exec
	s_or_b64 s[44:45], s[44:45], s[48:49]
.LBB1239_105:                           ;   in Loop: Header=BB1239_106 Depth=1
	s_and_b64 s[48:49], exec, s[44:45]
	s_or_b64 s[42:43], s[48:49], s[42:43]
	v_mov_b64_e32 v[36:37], s[46:47]
	s_andn2_b64 exec, exec, s[42:43]
	s_cbranch_execz .LBB1239_108
.LBB1239_106:                           ; =>This Inner Loop Header: Depth=1
	s_or_b64 s[44:45], s[44:45], exec
	s_cmp_eq_u64 s[14:15], s[46:47]
	s_cbranch_scc0 .LBB1239_104
; %bb.107:                              ;   in Loop: Header=BB1239_106 Depth=1
                                        ; implicit-def: $vgpr32_vgpr33
                                        ; implicit-def: $vgpr34_vgpr35
	s_mov_b64 s[46:47], s[26:27]
	s_branch .LBB1239_105
.LBB1239_108:
	s_or_b64 exec, exec, s[42:43]
	v_cmp_gt_i64_e32 vcc, s[26:27], v[36:37]
	s_orn2_b64 s[14:15], vcc, exec
.LBB1239_109:
	s_or_b64 exec, exec, s[40:41]
.LBB1239_110:
	v_cndmask_b32_e64 v39, 0, 1, s[10:11]
	v_cndmask_b32_e64 v48, 0, 1, s[12:13]
	;; [unrolled: 1-line block ×3, first 2 shown]
	s_waitcnt lgkmcnt(0)
	v_or_b32_e32 v34, v38, v50
	s_and_b64 vcc, exec, s[16:17]
	s_cbranch_vccz .LBB1239_191
.LBB1239_111:
	v_cmp_gt_u32_e32 vcc, s54, v42
	s_mov_b64 s[10:11], 0
	s_mov_b64 s[6:7], 0
	s_and_saveexec_b64 s[12:13], vcc
	s_cbranch_execz .LBB1239_122
; %bb.112:
	s_and_b64 vcc, exec, s[4:5]
	s_mov_b64 s[14:15], 0
	s_cbranch_vccnz .LBB1239_121
; %bb.113:
	v_mul_lo_u32 v34, v17, s26
	v_mul_lo_u32 v35, v16, s27
	v_mad_u64_u32 v[32:33], s[6:7], v16, s26, 0
	v_add3_u32 v33, v33, v35, v34
	v_mul_lo_u32 v34, v29, s26
	v_mul_lo_u32 v35, v28, s27
	v_mad_u64_u32 v[36:37], s[6:7], v28, s26, 0
	v_add3_u32 v37, v37, v35, v34
	v_lshl_add_u64 v[34:35], v[32:33], 1, s[36:37]
	v_lshl_add_u64 v[32:33], v[36:37], 1, s[36:37]
	global_load_ushort v36, v[32:33], off
	global_load_ushort v37, v[34:35], off
	s_mov_b64 s[14:15], -1
	s_waitcnt vmcnt(1)
	v_lshlrev_b32_e32 v36, 16, v36
	s_waitcnt vmcnt(0)
	v_lshlrev_b32_e32 v37, 16, v37
	v_cmp_eq_f32_e32 vcc, v37, v36
	s_and_saveexec_b64 s[6:7], vcc
	s_cbranch_execz .LBB1239_120
; %bb.114:
	s_add_u32 s14, s26, -1
	v_lshl_add_u64 v[32:33], v[32:33], 0, 2
	v_lshl_add_u64 v[34:35], v[34:35], 0, 2
	s_addc_u32 s15, s27, -1
	s_mov_b64 s[16:17], 0
	s_mov_b64 s[42:43], 0
                                        ; implicit-def: $sgpr40_sgpr41
	s_branch .LBB1239_117
.LBB1239_115:                           ;   in Loop: Header=BB1239_117 Depth=1
	global_load_ushort v36, v[32:33], off
	global_load_ushort v37, v[34:35], off
	s_add_u32 s42, s42, 1
	s_addc_u32 s43, s43, 0
	s_andn2_b64 s[40:41], s[40:41], exec
	v_lshl_add_u64 v[32:33], v[32:33], 0, 2
	v_lshl_add_u64 v[34:35], v[34:35], 0, 2
	s_waitcnt vmcnt(1)
	v_lshlrev_b32_e32 v36, 16, v36
	s_waitcnt vmcnt(0)
	v_lshlrev_b32_e32 v37, 16, v37
	v_cmp_neq_f32_e32 vcc, v37, v36
	s_and_b64 s[44:45], vcc, exec
	s_or_b64 s[40:41], s[40:41], s[44:45]
.LBB1239_116:                           ;   in Loop: Header=BB1239_117 Depth=1
	s_and_b64 s[44:45], exec, s[40:41]
	s_or_b64 s[16:17], s[44:45], s[16:17]
	v_mov_b64_e32 v[36:37], s[42:43]
	s_andn2_b64 exec, exec, s[16:17]
	s_cbranch_execz .LBB1239_119
.LBB1239_117:                           ; =>This Inner Loop Header: Depth=1
	s_or_b64 s[40:41], s[40:41], exec
	s_cmp_eq_u64 s[14:15], s[42:43]
	s_cbranch_scc0 .LBB1239_115
; %bb.118:                              ;   in Loop: Header=BB1239_117 Depth=1
                                        ; implicit-def: $vgpr32_vgpr33
                                        ; implicit-def: $vgpr34_vgpr35
	s_mov_b64 s[42:43], s[26:27]
	s_branch .LBB1239_116
.LBB1239_119:
	s_or_b64 exec, exec, s[16:17]
	v_cmp_gt_i64_e32 vcc, s[26:27], v[36:37]
	s_orn2_b64 s[14:15], vcc, exec
.LBB1239_120:
	s_or_b64 exec, exec, s[6:7]
.LBB1239_121:
	s_and_b64 s[6:7], s[14:15], exec
.LBB1239_122:
	s_or_b64 exec, exec, s[12:13]
	v_cmp_gt_u32_e32 vcc, s54, v45
	s_and_saveexec_b64 s[12:13], vcc
	s_cbranch_execz .LBB1239_133
; %bb.123:
	s_and_b64 vcc, exec, s[4:5]
	s_mov_b64 s[14:15], 0
	s_cbranch_vccnz .LBB1239_132
; %bb.124:
	v_mul_lo_u32 v34, v15, s26
	v_mul_lo_u32 v35, v14, s27
	v_mad_u64_u32 v[32:33], s[10:11], v14, s26, 0
	v_add3_u32 v33, v33, v35, v34
	v_mul_lo_u32 v34, v17, s26
	v_mul_lo_u32 v35, v16, s27
	v_mad_u64_u32 v[36:37], s[10:11], v16, s26, 0
	v_add3_u32 v37, v37, v35, v34
	v_lshl_add_u64 v[34:35], v[32:33], 1, s[36:37]
	v_lshl_add_u64 v[32:33], v[36:37], 1, s[36:37]
	global_load_ushort v36, v[32:33], off
	global_load_ushort v37, v[34:35], off
	s_mov_b64 s[14:15], -1
	s_waitcnt vmcnt(1)
	v_lshlrev_b32_e32 v36, 16, v36
	s_waitcnt vmcnt(0)
	v_lshlrev_b32_e32 v37, 16, v37
	v_cmp_eq_f32_e32 vcc, v37, v36
	s_and_saveexec_b64 s[10:11], vcc
	s_cbranch_execz .LBB1239_131
; %bb.125:
	s_add_u32 s14, s26, -1
	v_lshl_add_u64 v[32:33], v[32:33], 0, 2
	v_lshl_add_u64 v[34:35], v[34:35], 0, 2
	s_addc_u32 s15, s27, -1
	s_mov_b64 s[16:17], 0
	s_mov_b64 s[42:43], 0
                                        ; implicit-def: $sgpr40_sgpr41
	s_branch .LBB1239_128
.LBB1239_126:                           ;   in Loop: Header=BB1239_128 Depth=1
	global_load_ushort v36, v[32:33], off
	global_load_ushort v37, v[34:35], off
	s_add_u32 s42, s42, 1
	s_addc_u32 s43, s43, 0
	s_andn2_b64 s[40:41], s[40:41], exec
	v_lshl_add_u64 v[32:33], v[32:33], 0, 2
	v_lshl_add_u64 v[34:35], v[34:35], 0, 2
	s_waitcnt vmcnt(1)
	v_lshlrev_b32_e32 v36, 16, v36
	s_waitcnt vmcnt(0)
	v_lshlrev_b32_e32 v37, 16, v37
	v_cmp_neq_f32_e32 vcc, v37, v36
	s_and_b64 s[44:45], vcc, exec
	s_or_b64 s[40:41], s[40:41], s[44:45]
.LBB1239_127:                           ;   in Loop: Header=BB1239_128 Depth=1
	s_and_b64 s[44:45], exec, s[40:41]
	s_or_b64 s[16:17], s[44:45], s[16:17]
	v_mov_b64_e32 v[36:37], s[42:43]
	s_andn2_b64 exec, exec, s[16:17]
	s_cbranch_execz .LBB1239_130
.LBB1239_128:                           ; =>This Inner Loop Header: Depth=1
	s_or_b64 s[40:41], s[40:41], exec
	s_cmp_eq_u64 s[14:15], s[42:43]
	s_cbranch_scc0 .LBB1239_126
; %bb.129:                              ;   in Loop: Header=BB1239_128 Depth=1
                                        ; implicit-def: $vgpr32_vgpr33
                                        ; implicit-def: $vgpr34_vgpr35
	s_mov_b64 s[42:43], s[26:27]
	s_branch .LBB1239_127
.LBB1239_130:
	s_or_b64 exec, exec, s[16:17]
	v_cmp_gt_i64_e32 vcc, s[26:27], v[36:37]
	s_orn2_b64 s[14:15], vcc, exec
.LBB1239_131:
	s_or_b64 exec, exec, s[10:11]
.LBB1239_132:
	s_and_b64 s[10:11], s[14:15], exec
.LBB1239_133:
	s_or_b64 exec, exec, s[12:13]
	v_cmp_gt_u32_e32 vcc, s54, v41
	s_mov_b64 s[14:15], 0
	s_mov_b64 s[12:13], 0
	s_and_saveexec_b64 s[16:17], vcc
	s_cbranch_execz .LBB1239_144
; %bb.134:
	s_and_b64 vcc, exec, s[4:5]
	s_mov_b64 s[40:41], 0
	s_cbranch_vccnz .LBB1239_143
; %bb.135:
	v_mul_lo_u32 v34, v21, s26
	v_mul_lo_u32 v35, v20, s27
	v_mad_u64_u32 v[32:33], s[12:13], v20, s26, 0
	v_add3_u32 v33, v33, v35, v34
	v_mul_lo_u32 v34, v15, s26
	v_mul_lo_u32 v35, v14, s27
	v_mad_u64_u32 v[36:37], s[12:13], v14, s26, 0
	v_add3_u32 v37, v37, v35, v34
	v_lshl_add_u64 v[34:35], v[32:33], 1, s[36:37]
	v_lshl_add_u64 v[32:33], v[36:37], 1, s[36:37]
	global_load_ushort v36, v[32:33], off
	global_load_ushort v37, v[34:35], off
	s_mov_b64 s[40:41], -1
	s_waitcnt vmcnt(1)
	v_lshlrev_b32_e32 v36, 16, v36
	s_waitcnt vmcnt(0)
	v_lshlrev_b32_e32 v37, 16, v37
	v_cmp_eq_f32_e32 vcc, v37, v36
	s_and_saveexec_b64 s[12:13], vcc
	s_cbranch_execz .LBB1239_142
; %bb.136:
	s_add_u32 s40, s26, -1
	v_lshl_add_u64 v[32:33], v[32:33], 0, 2
	v_lshl_add_u64 v[34:35], v[34:35], 0, 2
	s_addc_u32 s41, s27, -1
	s_mov_b64 s[42:43], 0
	s_mov_b64 s[46:47], 0
                                        ; implicit-def: $sgpr44_sgpr45
	s_branch .LBB1239_139
.LBB1239_137:                           ;   in Loop: Header=BB1239_139 Depth=1
	global_load_ushort v36, v[32:33], off
	global_load_ushort v37, v[34:35], off
	s_add_u32 s46, s46, 1
	s_addc_u32 s47, s47, 0
	s_andn2_b64 s[44:45], s[44:45], exec
	v_lshl_add_u64 v[32:33], v[32:33], 0, 2
	v_lshl_add_u64 v[34:35], v[34:35], 0, 2
	s_waitcnt vmcnt(1)
	v_lshlrev_b32_e32 v36, 16, v36
	s_waitcnt vmcnt(0)
	v_lshlrev_b32_e32 v37, 16, v37
	v_cmp_neq_f32_e32 vcc, v37, v36
	s_and_b64 s[48:49], vcc, exec
	s_or_b64 s[44:45], s[44:45], s[48:49]
.LBB1239_138:                           ;   in Loop: Header=BB1239_139 Depth=1
	s_and_b64 s[48:49], exec, s[44:45]
	s_or_b64 s[42:43], s[48:49], s[42:43]
	v_mov_b64_e32 v[36:37], s[46:47]
	s_andn2_b64 exec, exec, s[42:43]
	s_cbranch_execz .LBB1239_141
.LBB1239_139:                           ; =>This Inner Loop Header: Depth=1
	s_or_b64 s[44:45], s[44:45], exec
	s_cmp_eq_u64 s[40:41], s[46:47]
	s_cbranch_scc0 .LBB1239_137
; %bb.140:                              ;   in Loop: Header=BB1239_139 Depth=1
                                        ; implicit-def: $vgpr32_vgpr33
                                        ; implicit-def: $vgpr34_vgpr35
	s_mov_b64 s[46:47], s[26:27]
	s_branch .LBB1239_138
.LBB1239_141:
	s_or_b64 exec, exec, s[42:43]
	v_cmp_gt_i64_e32 vcc, s[26:27], v[36:37]
	s_orn2_b64 s[40:41], vcc, exec
.LBB1239_142:
	s_or_b64 exec, exec, s[12:13]
.LBB1239_143:
	s_and_b64 s[12:13], s[40:41], exec
.LBB1239_144:
	s_or_b64 exec, exec, s[16:17]
	v_cmp_gt_u32_e32 vcc, s54, v44
	s_and_saveexec_b64 s[16:17], vcc
	s_cbranch_execz .LBB1239_155
; %bb.145:
	s_and_b64 vcc, exec, s[4:5]
	s_mov_b64 s[40:41], 0
	s_cbranch_vccnz .LBB1239_154
; %bb.146:
	v_mul_lo_u32 v34, v19, s26
	v_mul_lo_u32 v35, v18, s27
	v_mad_u64_u32 v[32:33], s[14:15], v18, s26, 0
	v_add3_u32 v33, v33, v35, v34
	v_mul_lo_u32 v34, v21, s26
	v_mul_lo_u32 v35, v20, s27
	v_mad_u64_u32 v[36:37], s[14:15], v20, s26, 0
	v_add3_u32 v37, v37, v35, v34
	v_lshl_add_u64 v[34:35], v[32:33], 1, s[36:37]
	v_lshl_add_u64 v[32:33], v[36:37], 1, s[36:37]
	global_load_ushort v36, v[32:33], off
	global_load_ushort v37, v[34:35], off
	s_mov_b64 s[40:41], -1
	s_waitcnt vmcnt(1)
	v_lshlrev_b32_e32 v36, 16, v36
	s_waitcnt vmcnt(0)
	v_lshlrev_b32_e32 v37, 16, v37
	v_cmp_eq_f32_e32 vcc, v37, v36
	s_and_saveexec_b64 s[14:15], vcc
	s_cbranch_execz .LBB1239_153
; %bb.147:
	s_add_u32 s40, s26, -1
	v_lshl_add_u64 v[32:33], v[32:33], 0, 2
	v_lshl_add_u64 v[34:35], v[34:35], 0, 2
	s_addc_u32 s41, s27, -1
	s_mov_b64 s[42:43], 0
	s_mov_b64 s[46:47], 0
                                        ; implicit-def: $sgpr44_sgpr45
	s_branch .LBB1239_150
.LBB1239_148:                           ;   in Loop: Header=BB1239_150 Depth=1
	global_load_ushort v36, v[32:33], off
	global_load_ushort v37, v[34:35], off
	s_add_u32 s46, s46, 1
	s_addc_u32 s47, s47, 0
	s_andn2_b64 s[44:45], s[44:45], exec
	v_lshl_add_u64 v[32:33], v[32:33], 0, 2
	v_lshl_add_u64 v[34:35], v[34:35], 0, 2
	s_waitcnt vmcnt(1)
	v_lshlrev_b32_e32 v36, 16, v36
	s_waitcnt vmcnt(0)
	v_lshlrev_b32_e32 v37, 16, v37
	v_cmp_neq_f32_e32 vcc, v37, v36
	s_and_b64 s[48:49], vcc, exec
	s_or_b64 s[44:45], s[44:45], s[48:49]
.LBB1239_149:                           ;   in Loop: Header=BB1239_150 Depth=1
	s_and_b64 s[48:49], exec, s[44:45]
	s_or_b64 s[42:43], s[48:49], s[42:43]
	v_mov_b64_e32 v[36:37], s[46:47]
	s_andn2_b64 exec, exec, s[42:43]
	s_cbranch_execz .LBB1239_152
.LBB1239_150:                           ; =>This Inner Loop Header: Depth=1
	s_or_b64 s[44:45], s[44:45], exec
	s_cmp_eq_u64 s[40:41], s[46:47]
	s_cbranch_scc0 .LBB1239_148
; %bb.151:                              ;   in Loop: Header=BB1239_150 Depth=1
                                        ; implicit-def: $vgpr32_vgpr33
                                        ; implicit-def: $vgpr34_vgpr35
	s_mov_b64 s[46:47], s[26:27]
	s_branch .LBB1239_149
.LBB1239_152:
	s_or_b64 exec, exec, s[42:43]
	v_cmp_gt_i64_e32 vcc, s[26:27], v[36:37]
	s_orn2_b64 s[40:41], vcc, exec
.LBB1239_153:
	s_or_b64 exec, exec, s[14:15]
.LBB1239_154:
	s_and_b64 s[14:15], s[40:41], exec
.LBB1239_155:
	s_or_b64 exec, exec, s[16:17]
	v_cmp_gt_u32_e32 vcc, s54, v40
	s_mov_b64 s[16:17], 0
	s_mov_b64 s[40:41], 0
	s_and_saveexec_b64 s[42:43], vcc
	s_cbranch_execz .LBB1239_166
; %bb.156:
	s_and_b64 vcc, exec, s[4:5]
	s_mov_b64 s[44:45], 0
	s_cbranch_vccnz .LBB1239_165
; %bb.157:
	v_mul_lo_u32 v34, v25, s26
	v_mul_lo_u32 v35, v24, s27
	v_mad_u64_u32 v[32:33], s[40:41], v24, s26, 0
	v_add3_u32 v33, v33, v35, v34
	v_mul_lo_u32 v34, v19, s26
	v_mul_lo_u32 v35, v18, s27
	v_mad_u64_u32 v[36:37], s[40:41], v18, s26, 0
	v_add3_u32 v37, v37, v35, v34
	v_lshl_add_u64 v[34:35], v[32:33], 1, s[36:37]
	v_lshl_add_u64 v[32:33], v[36:37], 1, s[36:37]
	global_load_ushort v36, v[32:33], off
	global_load_ushort v37, v[34:35], off
	s_mov_b64 s[44:45], -1
	s_waitcnt vmcnt(1)
	v_lshlrev_b32_e32 v36, 16, v36
	s_waitcnt vmcnt(0)
	v_lshlrev_b32_e32 v37, 16, v37
	v_cmp_eq_f32_e32 vcc, v37, v36
	s_and_saveexec_b64 s[40:41], vcc
	s_cbranch_execz .LBB1239_164
; %bb.158:
	s_add_u32 s44, s26, -1
	v_lshl_add_u64 v[32:33], v[32:33], 0, 2
	v_lshl_add_u64 v[34:35], v[34:35], 0, 2
	s_addc_u32 s45, s27, -1
	s_mov_b64 s[46:47], 0
	s_mov_b64 s[50:51], 0
                                        ; implicit-def: $sgpr48_sgpr49
	s_branch .LBB1239_161
.LBB1239_159:                           ;   in Loop: Header=BB1239_161 Depth=1
	global_load_ushort v36, v[32:33], off
	global_load_ushort v37, v[34:35], off
	s_add_u32 s50, s50, 1
	s_addc_u32 s51, s51, 0
	s_andn2_b64 s[48:49], s[48:49], exec
	v_lshl_add_u64 v[32:33], v[32:33], 0, 2
	v_lshl_add_u64 v[34:35], v[34:35], 0, 2
	s_waitcnt vmcnt(1)
	v_lshlrev_b32_e32 v36, 16, v36
	s_waitcnt vmcnt(0)
	v_lshlrev_b32_e32 v37, 16, v37
	v_cmp_neq_f32_e32 vcc, v37, v36
	s_and_b64 s[52:53], vcc, exec
	s_or_b64 s[48:49], s[48:49], s[52:53]
.LBB1239_160:                           ;   in Loop: Header=BB1239_161 Depth=1
	s_and_b64 s[52:53], exec, s[48:49]
	s_or_b64 s[46:47], s[52:53], s[46:47]
	v_mov_b64_e32 v[36:37], s[50:51]
	s_andn2_b64 exec, exec, s[46:47]
	s_cbranch_execz .LBB1239_163
.LBB1239_161:                           ; =>This Inner Loop Header: Depth=1
	s_or_b64 s[48:49], s[48:49], exec
	s_cmp_eq_u64 s[44:45], s[50:51]
	s_cbranch_scc0 .LBB1239_159
; %bb.162:                              ;   in Loop: Header=BB1239_161 Depth=1
                                        ; implicit-def: $vgpr32_vgpr33
                                        ; implicit-def: $vgpr34_vgpr35
	s_mov_b64 s[50:51], s[26:27]
	s_branch .LBB1239_160
.LBB1239_163:
	s_or_b64 exec, exec, s[46:47]
	v_cmp_gt_i64_e32 vcc, s[26:27], v[36:37]
	s_orn2_b64 s[44:45], vcc, exec
.LBB1239_164:
	s_or_b64 exec, exec, s[40:41]
.LBB1239_165:
	s_and_b64 s[40:41], s[44:45], exec
.LBB1239_166:
	s_or_b64 exec, exec, s[42:43]
	v_cmp_gt_u32_e32 vcc, s54, v43
	s_and_saveexec_b64 s[42:43], vcc
	s_cbranch_execz .LBB1239_177
; %bb.167:
	s_and_b64 vcc, exec, s[4:5]
	s_mov_b64 s[44:45], 0
	s_cbranch_vccnz .LBB1239_176
; %bb.168:
	v_mul_lo_u32 v34, v23, s26
	v_mul_lo_u32 v35, v22, s27
	v_mad_u64_u32 v[32:33], s[16:17], v22, s26, 0
	v_add3_u32 v33, v33, v35, v34
	v_mul_lo_u32 v34, v25, s26
	v_mul_lo_u32 v35, v24, s27
	v_mad_u64_u32 v[36:37], s[16:17], v24, s26, 0
	v_add3_u32 v37, v37, v35, v34
	v_lshl_add_u64 v[34:35], v[32:33], 1, s[36:37]
	v_lshl_add_u64 v[32:33], v[36:37], 1, s[36:37]
	global_load_ushort v36, v[32:33], off
	global_load_ushort v37, v[34:35], off
	s_mov_b64 s[44:45], -1
	s_waitcnt vmcnt(1)
	v_lshlrev_b32_e32 v36, 16, v36
	s_waitcnt vmcnt(0)
	v_lshlrev_b32_e32 v37, 16, v37
	v_cmp_eq_f32_e32 vcc, v37, v36
	s_and_saveexec_b64 s[16:17], vcc
	s_cbranch_execz .LBB1239_175
; %bb.169:
	s_add_u32 s44, s26, -1
	v_lshl_add_u64 v[32:33], v[32:33], 0, 2
	v_lshl_add_u64 v[34:35], v[34:35], 0, 2
	s_addc_u32 s45, s27, -1
	s_mov_b64 s[46:47], 0
	s_mov_b64 s[50:51], 0
                                        ; implicit-def: $sgpr48_sgpr49
	s_branch .LBB1239_172
.LBB1239_170:                           ;   in Loop: Header=BB1239_172 Depth=1
	global_load_ushort v36, v[32:33], off
	global_load_ushort v37, v[34:35], off
	s_add_u32 s50, s50, 1
	s_addc_u32 s51, s51, 0
	s_andn2_b64 s[48:49], s[48:49], exec
	v_lshl_add_u64 v[32:33], v[32:33], 0, 2
	v_lshl_add_u64 v[34:35], v[34:35], 0, 2
	s_waitcnt vmcnt(1)
	v_lshlrev_b32_e32 v36, 16, v36
	s_waitcnt vmcnt(0)
	v_lshlrev_b32_e32 v37, 16, v37
	v_cmp_neq_f32_e32 vcc, v37, v36
	s_and_b64 s[52:53], vcc, exec
	s_or_b64 s[48:49], s[48:49], s[52:53]
.LBB1239_171:                           ;   in Loop: Header=BB1239_172 Depth=1
	s_and_b64 s[52:53], exec, s[48:49]
	s_or_b64 s[46:47], s[52:53], s[46:47]
	v_mov_b64_e32 v[36:37], s[50:51]
	s_andn2_b64 exec, exec, s[46:47]
	s_cbranch_execz .LBB1239_174
.LBB1239_172:                           ; =>This Inner Loop Header: Depth=1
	s_or_b64 s[48:49], s[48:49], exec
	s_cmp_eq_u64 s[44:45], s[50:51]
	s_cbranch_scc0 .LBB1239_170
; %bb.173:                              ;   in Loop: Header=BB1239_172 Depth=1
                                        ; implicit-def: $vgpr32_vgpr33
                                        ; implicit-def: $vgpr34_vgpr35
	s_mov_b64 s[50:51], s[26:27]
	s_branch .LBB1239_171
.LBB1239_174:
	s_or_b64 exec, exec, s[46:47]
	v_cmp_gt_i64_e32 vcc, s[26:27], v[36:37]
	s_orn2_b64 s[44:45], vcc, exec
.LBB1239_175:
	s_or_b64 exec, exec, s[16:17]
.LBB1239_176:
	s_and_b64 s[16:17], s[44:45], exec
.LBB1239_177:
	s_or_b64 exec, exec, s[42:43]
	s_waitcnt lgkmcnt(0)
	s_barrier
	s_and_saveexec_b64 s[42:43], s[2:3]
	s_cbranch_execz .LBB1239_179
; %bb.178:
	s_waitcnt vmcnt(0)
	v_add_u32_e32 v30, -8, v47
	ds_read_b64 v[30:31], v30
.LBB1239_179:
	s_or_b64 exec, exec, s[42:43]
	v_cndmask_b32_e64 v33, 0, 1, s[14:15]
	v_cndmask_b32_e64 v32, 0, 1, s[40:41]
	v_cndmask_b32_e64 v34, 0, 1, s[16:17]
	v_lshlrev_b16_e32 v33, 8, v33
	v_cmp_gt_u32_e32 vcc, s54, v1
	v_lshlrev_b16_e32 v36, 8, v34
	v_or_b32_sdwa v37, v32, v33 dst_sel:WORD_1 dst_unused:UNUSED_PAD src0_sel:DWORD src1_sel:DWORD
	s_mov_b64 s[14:15], 0
	s_and_saveexec_b64 s[16:17], vcc
	s_cbranch_execz .LBB1239_190
; %bb.180:
	s_and_b64 vcc, exec, s[4:5]
	s_cbranch_vccnz .LBB1239_189
; %bb.181:
	s_waitcnt vmcnt(0) lgkmcnt(0)
	v_mul_lo_u32 v32, v31, s26
	v_mul_lo_u32 v33, v30, s27
	v_mad_u64_u32 v[30:31], s[4:5], v30, s26, 0
	v_add3_u32 v31, v31, v33, v32
	v_mul_lo_u32 v32, v23, s26
	v_mul_lo_u32 v33, v22, s27
	v_mad_u64_u32 v[34:35], s[4:5], v22, s26, 0
	v_add3_u32 v35, v35, v33, v32
	v_lshl_add_u64 v[32:33], v[30:31], 1, s[36:37]
	v_lshl_add_u64 v[30:31], v[34:35], 1, s[36:37]
	global_load_ushort v34, v[30:31], off
	global_load_ushort v35, v[32:33], off
	s_mov_b64 s[14:15], -1
	s_waitcnt vmcnt(1)
	v_lshlrev_b32_e32 v34, 16, v34
	s_waitcnt vmcnt(0)
	v_lshlrev_b32_e32 v35, 16, v35
	v_cmp_eq_f32_e32 vcc, v35, v34
	s_and_saveexec_b64 s[4:5], vcc
	s_cbranch_execz .LBB1239_188
; %bb.182:
	s_add_u32 s14, s26, -1
	v_lshl_add_u64 v[30:31], v[30:31], 0, 2
	v_lshl_add_u64 v[32:33], v[32:33], 0, 2
	s_addc_u32 s15, s27, -1
	s_mov_b64 s[40:41], 0
	s_mov_b64 s[44:45], 0
                                        ; implicit-def: $sgpr42_sgpr43
	s_branch .LBB1239_185
.LBB1239_183:                           ;   in Loop: Header=BB1239_185 Depth=1
	global_load_ushort v34, v[30:31], off
	global_load_ushort v35, v[32:33], off
	s_add_u32 s44, s44, 1
	s_addc_u32 s45, s45, 0
	s_andn2_b64 s[42:43], s[42:43], exec
	v_lshl_add_u64 v[30:31], v[30:31], 0, 2
	v_lshl_add_u64 v[32:33], v[32:33], 0, 2
	s_waitcnt vmcnt(1)
	v_lshlrev_b32_e32 v34, 16, v34
	s_waitcnt vmcnt(0)
	v_lshlrev_b32_e32 v35, 16, v35
	v_cmp_neq_f32_e32 vcc, v35, v34
	s_and_b64 s[46:47], vcc, exec
	s_or_b64 s[42:43], s[42:43], s[46:47]
.LBB1239_184:                           ;   in Loop: Header=BB1239_185 Depth=1
	s_and_b64 s[46:47], exec, s[42:43]
	s_or_b64 s[40:41], s[46:47], s[40:41]
	v_mov_b64_e32 v[34:35], s[44:45]
	s_andn2_b64 exec, exec, s[40:41]
	s_cbranch_execz .LBB1239_187
.LBB1239_185:                           ; =>This Inner Loop Header: Depth=1
	s_or_b64 s[42:43], s[42:43], exec
	s_cmp_eq_u64 s[14:15], s[44:45]
	s_cbranch_scc0 .LBB1239_183
; %bb.186:                              ;   in Loop: Header=BB1239_185 Depth=1
                                        ; implicit-def: $vgpr30_vgpr31
                                        ; implicit-def: $vgpr32_vgpr33
	s_mov_b64 s[44:45], s[26:27]
	s_branch .LBB1239_184
.LBB1239_187:
	s_or_b64 exec, exec, s[40:41]
	v_cmp_gt_i64_e32 vcc, s[26:27], v[34:35]
	s_orn2_b64 s[14:15], vcc, exec
.LBB1239_188:
	s_or_b64 exec, exec, s[4:5]
.LBB1239_189:
	s_and_b64 s[14:15], s[14:15], exec
.LBB1239_190:
	s_or_b64 exec, exec, s[16:17]
	v_cndmask_b32_e64 v39, 0, 1, s[12:13]
	v_cndmask_b32_e64 v48, 0, 1, s[10:11]
	;; [unrolled: 1-line block ×3, first 2 shown]
	v_or_b32_e32 v34, v36, v37
.LBB1239_191:
	s_mov_b64 s[10:11], -1
	s_cbranch_execnz .LBB1239_50
.LBB1239_192:
	s_movk_i32 s4, 0xffd0
	v_mad_i32_i24 v38, v0, s4, v46
	s_mov_b64 s[12:13], 0
	v_cmp_gt_i64_e64 s[6:7], s[26:27], 0
	s_and_b64 vcc, exec, s[34:35]
	ds_write_b64 v38, v[28:29]
	s_cbranch_vccz .LBB1239_200
; %bb.193:
	v_mul_lo_u32 v32, v17, s26
	v_mul_lo_u32 v33, v16, s27
	s_waitcnt vmcnt(0) lgkmcnt(1)
	v_mad_u64_u32 v[30:31], s[4:5], v16, s26, 0
	v_add3_u32 v31, v31, v33, v32
	v_cndmask_b32_e64 v32, 0, 1, s[6:7]
	v_cmp_ne_u32_e64 s[4:5], 1, v32
	s_andn2_b64 vcc, exec, s[6:7]
	v_lshl_add_u64 v[30:31], v[30:31], 1, s[36:37]
	s_cbranch_vccnz .LBB1239_203
; %bb.194:
	v_mul_lo_u32 v34, v29, s26
	v_mul_lo_u32 v35, v28, s27
	v_mad_u64_u32 v[32:33], s[12:13], v28, s26, 0
	v_add3_u32 v33, v33, v35, v34
	v_lshl_add_u64 v[32:33], v[32:33], 1, s[36:37]
	global_load_ushort v34, v[32:33], off
	global_load_ushort v35, v[30:31], off
	s_mov_b64 s[12:13], -1
	s_waitcnt vmcnt(1)
	v_lshlrev_b32_e32 v34, 16, v34
	s_waitcnt vmcnt(0)
	v_lshlrev_b32_e32 v35, 16, v35
	v_cmp_eq_f32_e32 vcc, v35, v34
	s_and_saveexec_b64 s[14:15], vcc
	s_cbranch_execz .LBB1239_202
; %bb.195:
	s_add_u32 s12, s26, -1
	v_lshl_add_u64 v[32:33], v[32:33], 0, 2
	v_lshl_add_u64 v[34:35], v[30:31], 0, 2
	s_addc_u32 s13, s27, -1
	s_mov_b64 s[16:17], 0
	s_mov_b64 s[42:43], 0
                                        ; implicit-def: $sgpr40_sgpr41
	s_branch .LBB1239_198
.LBB1239_196:                           ;   in Loop: Header=BB1239_198 Depth=1
	global_load_ushort v36, v[32:33], off
	global_load_ushort v37, v[34:35], off
	s_add_u32 s42, s42, 1
	s_addc_u32 s43, s43, 0
	s_andn2_b64 s[40:41], s[40:41], exec
	v_lshl_add_u64 v[32:33], v[32:33], 0, 2
	v_lshl_add_u64 v[34:35], v[34:35], 0, 2
	s_waitcnt vmcnt(1)
	v_lshlrev_b32_e32 v36, 16, v36
	s_waitcnt vmcnt(0)
	v_lshlrev_b32_e32 v37, 16, v37
	v_cmp_neq_f32_e32 vcc, v37, v36
	s_and_b64 s[44:45], vcc, exec
	s_or_b64 s[40:41], s[40:41], s[44:45]
.LBB1239_197:                           ;   in Loop: Header=BB1239_198 Depth=1
	s_and_b64 s[44:45], exec, s[40:41]
	s_or_b64 s[16:17], s[44:45], s[16:17]
	v_mov_b64_e32 v[36:37], s[42:43]
	s_andn2_b64 exec, exec, s[16:17]
	s_cbranch_execz .LBB1239_201
.LBB1239_198:                           ; =>This Inner Loop Header: Depth=1
	s_or_b64 s[40:41], s[40:41], exec
	s_cmp_eq_u64 s[12:13], s[42:43]
	s_cbranch_scc0 .LBB1239_196
; %bb.199:                              ;   in Loop: Header=BB1239_198 Depth=1
                                        ; implicit-def: $vgpr32_vgpr33
                                        ; implicit-def: $vgpr34_vgpr35
	s_mov_b64 s[42:43], s[26:27]
	s_branch .LBB1239_197
.LBB1239_200:
                                        ; implicit-def: $sgpr14_sgpr15
                                        ; implicit-def: $vgpr49
                                        ; implicit-def: $vgpr48
                                        ; implicit-def: $vgpr39
                                        ; implicit-def: $vgpr34
                                        ; implicit-def: $vgpr30_vgpr31
	s_cbranch_execnz .LBB1239_260
	s_branch .LBB1239_340
.LBB1239_201:
	s_or_b64 exec, exec, s[16:17]
	v_cmp_gt_i64_e32 vcc, s[26:27], v[36:37]
	s_orn2_b64 s[12:13], vcc, exec
.LBB1239_202:
	s_or_b64 exec, exec, s[14:15]
.LBB1239_203:
	v_mul_lo_u32 v34, v15, s26
	v_mul_lo_u32 v35, v14, s27
	v_mad_u64_u32 v[32:33], s[14:15], v14, s26, 0
	v_add3_u32 v33, v33, v35, v34
	s_mov_b64 s[14:15], 0
	s_and_b64 vcc, exec, s[4:5]
	v_lshl_add_u64 v[32:33], v[32:33], 1, s[36:37]
	s_mov_b64 s[16:17], 0
	s_cbranch_vccnz .LBB1239_212
; %bb.204:
	global_load_ushort v34, v[30:31], off
	global_load_ushort v35, v[32:33], off
	s_mov_b64 s[16:17], -1
	s_waitcnt vmcnt(1)
	v_lshlrev_b32_e32 v34, 16, v34
	s_waitcnt vmcnt(0)
	v_lshlrev_b32_e32 v35, 16, v35
	v_cmp_eq_f32_e32 vcc, v35, v34
	s_and_saveexec_b64 s[40:41], vcc
	s_cbranch_execz .LBB1239_211
; %bb.205:
	s_add_u32 s16, s26, -1
	v_lshl_add_u64 v[30:31], v[30:31], 0, 2
	v_lshl_add_u64 v[34:35], v[32:33], 0, 2
	s_addc_u32 s17, s27, -1
	s_mov_b64 s[42:43], 0
	s_mov_b64 s[46:47], 0
                                        ; implicit-def: $sgpr44_sgpr45
	s_branch .LBB1239_208
.LBB1239_206:                           ;   in Loop: Header=BB1239_208 Depth=1
	global_load_ushort v36, v[30:31], off
	global_load_ushort v37, v[34:35], off
	s_add_u32 s46, s46, 1
	s_addc_u32 s47, s47, 0
	s_andn2_b64 s[44:45], s[44:45], exec
	v_lshl_add_u64 v[30:31], v[30:31], 0, 2
	v_lshl_add_u64 v[34:35], v[34:35], 0, 2
	s_waitcnt vmcnt(1)
	v_lshlrev_b32_e32 v36, 16, v36
	s_waitcnt vmcnt(0)
	v_lshlrev_b32_e32 v37, 16, v37
	v_cmp_neq_f32_e32 vcc, v37, v36
	s_and_b64 s[48:49], vcc, exec
	s_or_b64 s[44:45], s[44:45], s[48:49]
.LBB1239_207:                           ;   in Loop: Header=BB1239_208 Depth=1
	s_and_b64 s[48:49], exec, s[44:45]
	s_or_b64 s[42:43], s[48:49], s[42:43]
	v_mov_b64_e32 v[36:37], s[46:47]
	s_andn2_b64 exec, exec, s[42:43]
	s_cbranch_execz .LBB1239_210
.LBB1239_208:                           ; =>This Inner Loop Header: Depth=1
	s_or_b64 s[44:45], s[44:45], exec
	s_cmp_eq_u64 s[16:17], s[46:47]
	s_cbranch_scc0 .LBB1239_206
; %bb.209:                              ;   in Loop: Header=BB1239_208 Depth=1
                                        ; implicit-def: $vgpr30_vgpr31
                                        ; implicit-def: $vgpr34_vgpr35
	s_mov_b64 s[46:47], s[26:27]
	s_branch .LBB1239_207
.LBB1239_210:
	s_or_b64 exec, exec, s[42:43]
	v_cmp_gt_i64_e32 vcc, s[26:27], v[36:37]
	s_orn2_b64 s[16:17], vcc, exec
.LBB1239_211:
	s_or_b64 exec, exec, s[40:41]
.LBB1239_212:
	v_mul_lo_u32 v34, v21, s26
	v_mul_lo_u32 v35, v20, s27
	v_mad_u64_u32 v[30:31], s[40:41], v20, s26, 0
	v_add3_u32 v31, v31, v35, v34
	s_and_b64 vcc, exec, s[4:5]
	v_lshl_add_u64 v[30:31], v[30:31], 1, s[36:37]
	s_cbranch_vccnz .LBB1239_221
; %bb.213:
	global_load_ushort v34, v[32:33], off
	global_load_ushort v35, v[30:31], off
	s_mov_b64 s[14:15], -1
	s_waitcnt vmcnt(1)
	v_lshlrev_b32_e32 v34, 16, v34
	s_waitcnt vmcnt(0)
	v_lshlrev_b32_e32 v35, 16, v35
	v_cmp_eq_f32_e32 vcc, v35, v34
	s_and_saveexec_b64 s[40:41], vcc
	s_cbranch_execz .LBB1239_220
; %bb.214:
	s_add_u32 s14, s26, -1
	v_lshl_add_u64 v[32:33], v[32:33], 0, 2
	v_lshl_add_u64 v[34:35], v[30:31], 0, 2
	s_addc_u32 s15, s27, -1
	s_mov_b64 s[42:43], 0
	s_mov_b64 s[46:47], 0
                                        ; implicit-def: $sgpr44_sgpr45
	s_branch .LBB1239_217
.LBB1239_215:                           ;   in Loop: Header=BB1239_217 Depth=1
	global_load_ushort v36, v[32:33], off
	global_load_ushort v37, v[34:35], off
	s_add_u32 s46, s46, 1
	s_addc_u32 s47, s47, 0
	s_andn2_b64 s[44:45], s[44:45], exec
	v_lshl_add_u64 v[32:33], v[32:33], 0, 2
	v_lshl_add_u64 v[34:35], v[34:35], 0, 2
	s_waitcnt vmcnt(1)
	v_lshlrev_b32_e32 v36, 16, v36
	s_waitcnt vmcnt(0)
	v_lshlrev_b32_e32 v37, 16, v37
	v_cmp_neq_f32_e32 vcc, v37, v36
	s_and_b64 s[48:49], vcc, exec
	s_or_b64 s[44:45], s[44:45], s[48:49]
.LBB1239_216:                           ;   in Loop: Header=BB1239_217 Depth=1
	s_and_b64 s[48:49], exec, s[44:45]
	s_or_b64 s[42:43], s[48:49], s[42:43]
	v_mov_b64_e32 v[36:37], s[46:47]
	s_andn2_b64 exec, exec, s[42:43]
	s_cbranch_execz .LBB1239_219
.LBB1239_217:                           ; =>This Inner Loop Header: Depth=1
	s_or_b64 s[44:45], s[44:45], exec
	s_cmp_eq_u64 s[14:15], s[46:47]
	s_cbranch_scc0 .LBB1239_215
; %bb.218:                              ;   in Loop: Header=BB1239_217 Depth=1
                                        ; implicit-def: $vgpr32_vgpr33
                                        ; implicit-def: $vgpr34_vgpr35
	s_mov_b64 s[46:47], s[26:27]
	s_branch .LBB1239_216
.LBB1239_219:
	s_or_b64 exec, exec, s[42:43]
	v_cmp_gt_i64_e32 vcc, s[26:27], v[36:37]
	s_orn2_b64 s[14:15], vcc, exec
.LBB1239_220:
	s_or_b64 exec, exec, s[40:41]
.LBB1239_221:
	v_mul_lo_u32 v34, v19, s26
	v_mul_lo_u32 v35, v18, s27
	v_mad_u64_u32 v[32:33], s[40:41], v18, s26, 0
	v_add3_u32 v33, v33, v35, v34
	s_mov_b64 s[40:41], 0
	s_and_b64 vcc, exec, s[4:5]
	v_lshl_add_u64 v[32:33], v[32:33], 1, s[36:37]
	s_mov_b64 s[42:43], 0
	s_cbranch_vccnz .LBB1239_230
; %bb.222:
	global_load_ushort v34, v[30:31], off
	global_load_ushort v35, v[32:33], off
	s_mov_b64 s[42:43], -1
	s_waitcnt vmcnt(1)
	v_lshlrev_b32_e32 v34, 16, v34
	s_waitcnt vmcnt(0)
	v_lshlrev_b32_e32 v35, 16, v35
	v_cmp_eq_f32_e32 vcc, v35, v34
	s_and_saveexec_b64 s[44:45], vcc
	s_cbranch_execz .LBB1239_229
; %bb.223:
	s_add_u32 s42, s26, -1
	v_lshl_add_u64 v[30:31], v[30:31], 0, 2
	v_lshl_add_u64 v[34:35], v[32:33], 0, 2
	s_addc_u32 s43, s27, -1
	s_mov_b64 s[46:47], 0
	s_mov_b64 s[50:51], 0
                                        ; implicit-def: $sgpr48_sgpr49
	s_branch .LBB1239_226
.LBB1239_224:                           ;   in Loop: Header=BB1239_226 Depth=1
	global_load_ushort v36, v[30:31], off
	global_load_ushort v37, v[34:35], off
	s_add_u32 s50, s50, 1
	s_addc_u32 s51, s51, 0
	s_andn2_b64 s[48:49], s[48:49], exec
	v_lshl_add_u64 v[30:31], v[30:31], 0, 2
	v_lshl_add_u64 v[34:35], v[34:35], 0, 2
	s_waitcnt vmcnt(1)
	v_lshlrev_b32_e32 v36, 16, v36
	s_waitcnt vmcnt(0)
	v_lshlrev_b32_e32 v37, 16, v37
	v_cmp_neq_f32_e32 vcc, v37, v36
	s_and_b64 s[52:53], vcc, exec
	s_or_b64 s[48:49], s[48:49], s[52:53]
.LBB1239_225:                           ;   in Loop: Header=BB1239_226 Depth=1
	s_and_b64 s[52:53], exec, s[48:49]
	s_or_b64 s[46:47], s[52:53], s[46:47]
	v_mov_b64_e32 v[36:37], s[50:51]
	s_andn2_b64 exec, exec, s[46:47]
	s_cbranch_execz .LBB1239_228
.LBB1239_226:                           ; =>This Inner Loop Header: Depth=1
	s_or_b64 s[48:49], s[48:49], exec
	s_cmp_eq_u64 s[42:43], s[50:51]
	s_cbranch_scc0 .LBB1239_224
; %bb.227:                              ;   in Loop: Header=BB1239_226 Depth=1
                                        ; implicit-def: $vgpr30_vgpr31
                                        ; implicit-def: $vgpr34_vgpr35
	s_mov_b64 s[50:51], s[26:27]
	s_branch .LBB1239_225
.LBB1239_228:
	s_or_b64 exec, exec, s[46:47]
	v_cmp_gt_i64_e32 vcc, s[26:27], v[36:37]
	s_orn2_b64 s[42:43], vcc, exec
.LBB1239_229:
	s_or_b64 exec, exec, s[44:45]
.LBB1239_230:
	v_mul_lo_u32 v34, v25, s26
	v_mul_lo_u32 v35, v24, s27
	v_mad_u64_u32 v[30:31], s[44:45], v24, s26, 0
	v_add3_u32 v31, v31, v35, v34
	s_and_b64 vcc, exec, s[4:5]
	v_lshl_add_u64 v[30:31], v[30:31], 1, s[36:37]
	s_cbranch_vccnz .LBB1239_239
; %bb.231:
	global_load_ushort v34, v[32:33], off
	global_load_ushort v35, v[30:31], off
	s_mov_b64 s[40:41], -1
	s_waitcnt vmcnt(1)
	v_lshlrev_b32_e32 v34, 16, v34
	s_waitcnt vmcnt(0)
	v_lshlrev_b32_e32 v35, 16, v35
	v_cmp_eq_f32_e32 vcc, v35, v34
	s_and_saveexec_b64 s[44:45], vcc
	s_cbranch_execz .LBB1239_238
; %bb.232:
	s_add_u32 s40, s26, -1
	v_lshl_add_u64 v[32:33], v[32:33], 0, 2
	v_lshl_add_u64 v[34:35], v[30:31], 0, 2
	s_addc_u32 s41, s27, -1
	s_mov_b64 s[46:47], 0
	s_mov_b64 s[50:51], 0
                                        ; implicit-def: $sgpr48_sgpr49
	s_branch .LBB1239_235
.LBB1239_233:                           ;   in Loop: Header=BB1239_235 Depth=1
	global_load_ushort v36, v[32:33], off
	global_load_ushort v37, v[34:35], off
	s_add_u32 s50, s50, 1
	s_addc_u32 s51, s51, 0
	s_andn2_b64 s[48:49], s[48:49], exec
	v_lshl_add_u64 v[32:33], v[32:33], 0, 2
	v_lshl_add_u64 v[34:35], v[34:35], 0, 2
	s_waitcnt vmcnt(1)
	v_lshlrev_b32_e32 v36, 16, v36
	s_waitcnt vmcnt(0)
	v_lshlrev_b32_e32 v37, 16, v37
	v_cmp_neq_f32_e32 vcc, v37, v36
	s_and_b64 s[52:53], vcc, exec
	s_or_b64 s[48:49], s[48:49], s[52:53]
.LBB1239_234:                           ;   in Loop: Header=BB1239_235 Depth=1
	s_and_b64 s[52:53], exec, s[48:49]
	s_or_b64 s[46:47], s[52:53], s[46:47]
	v_mov_b64_e32 v[36:37], s[50:51]
	s_andn2_b64 exec, exec, s[46:47]
	s_cbranch_execz .LBB1239_237
.LBB1239_235:                           ; =>This Inner Loop Header: Depth=1
	s_or_b64 s[48:49], s[48:49], exec
	s_cmp_eq_u64 s[40:41], s[50:51]
	s_cbranch_scc0 .LBB1239_233
; %bb.236:                              ;   in Loop: Header=BB1239_235 Depth=1
                                        ; implicit-def: $vgpr32_vgpr33
                                        ; implicit-def: $vgpr34_vgpr35
	s_mov_b64 s[50:51], s[26:27]
	s_branch .LBB1239_234
.LBB1239_237:
	s_or_b64 exec, exec, s[46:47]
	v_cmp_gt_i64_e32 vcc, s[26:27], v[36:37]
	s_orn2_b64 s[40:41], vcc, exec
.LBB1239_238:
	s_or_b64 exec, exec, s[44:45]
.LBB1239_239:
	v_mul_lo_u32 v34, v23, s26
	v_mul_lo_u32 v35, v22, s27
	v_mad_u64_u32 v[32:33], s[44:45], v22, s26, 0
	v_add3_u32 v33, v33, v35, v34
	s_and_b64 vcc, exec, s[4:5]
	s_mov_b64 s[46:47], 0
	s_cbranch_vccnz .LBB1239_248
; %bb.240:
	v_lshl_add_u64 v[34:35], v[32:33], 1, s[36:37]
	global_load_ushort v36, v[30:31], off
	global_load_ushort v37, v[34:35], off
	s_mov_b64 s[46:47], -1
	s_waitcnt vmcnt(1)
	v_lshlrev_b32_e32 v36, 16, v36
	s_waitcnt vmcnt(0)
	v_lshlrev_b32_e32 v37, 16, v37
	v_cmp_eq_f32_e32 vcc, v37, v36
	s_and_saveexec_b64 s[44:45], vcc
	s_cbranch_execz .LBB1239_247
; %bb.241:
	s_add_u32 s46, s26, -1
	v_lshl_add_u64 v[30:31], v[30:31], 0, 2
	v_lshl_add_u64 v[34:35], v[34:35], 0, 2
	s_addc_u32 s47, s27, -1
	s_mov_b64 s[48:49], 0
	s_mov_b64 s[52:53], 0
                                        ; implicit-def: $sgpr50_sgpr51
	s_branch .LBB1239_244
.LBB1239_242:                           ;   in Loop: Header=BB1239_244 Depth=1
	global_load_ushort v36, v[30:31], off
	global_load_ushort v37, v[34:35], off
	s_add_u32 s52, s52, 1
	s_addc_u32 s53, s53, 0
	s_andn2_b64 s[50:51], s[50:51], exec
	v_lshl_add_u64 v[30:31], v[30:31], 0, 2
	v_lshl_add_u64 v[34:35], v[34:35], 0, 2
	s_waitcnt vmcnt(1)
	v_lshlrev_b32_e32 v36, 16, v36
	s_waitcnt vmcnt(0)
	v_lshlrev_b32_e32 v37, 16, v37
	v_cmp_neq_f32_e32 vcc, v37, v36
	s_and_b64 s[56:57], vcc, exec
	s_or_b64 s[50:51], s[50:51], s[56:57]
.LBB1239_243:                           ;   in Loop: Header=BB1239_244 Depth=1
	s_and_b64 s[56:57], exec, s[50:51]
	s_or_b64 s[48:49], s[56:57], s[48:49]
	v_mov_b64_e32 v[36:37], s[52:53]
	s_andn2_b64 exec, exec, s[48:49]
	s_cbranch_execz .LBB1239_246
.LBB1239_244:                           ; =>This Inner Loop Header: Depth=1
	s_or_b64 s[50:51], s[50:51], exec
	s_cmp_eq_u64 s[46:47], s[52:53]
	s_cbranch_scc0 .LBB1239_242
; %bb.245:                              ;   in Loop: Header=BB1239_244 Depth=1
                                        ; implicit-def: $vgpr30_vgpr31
                                        ; implicit-def: $vgpr34_vgpr35
	s_mov_b64 s[52:53], s[26:27]
	s_branch .LBB1239_243
.LBB1239_246:
	s_or_b64 exec, exec, s[48:49]
	v_cmp_gt_i64_e32 vcc, s[26:27], v[36:37]
	s_orn2_b64 s[46:47], vcc, exec
.LBB1239_247:
	s_or_b64 exec, exec, s[44:45]
.LBB1239_248:
	v_cndmask_b32_e64 v31, 0, 1, s[42:43]
	v_cndmask_b32_e64 v30, 0, 1, s[40:41]
	;; [unrolled: 1-line block ×3, first 2 shown]
	v_lshlrev_b16_e32 v31, 8, v31
	v_cndmask_b32_e64 v39, 0, 1, s[14:15]
	v_cndmask_b32_e64 v34, 0, 1, s[46:47]
	v_or_b32_sdwa v30, v30, v31 dst_sel:WORD_1 dst_unused:UNUSED_PAD src0_sel:DWORD src1_sel:DWORD
	v_lshlrev_b16_e32 v31, 8, v48
	v_lshlrev_b16_e32 v34, 8, v34
	v_or_b32_e32 v31, v39, v31
	v_or_b32_e32 v34, 1, v34
	v_and_b32_e32 v31, 0xffff, v31
	v_cndmask_b32_e64 v49, 0, 1, s[12:13]
	v_or_b32_sdwa v30, v34, v30 dst_sel:DWORD dst_unused:UNUSED_PAD src0_sel:WORD_0 src1_sel:DWORD
	v_lshl_or_b32 v31, v49, 16, v31
	s_waitcnt lgkmcnt(0)
	s_barrier
	s_waitcnt lgkmcnt(0)
                                        ; implicit-def: $sgpr14_sgpr15
                                        ; implicit-def: $vgpr34
	s_and_saveexec_b64 s[12:13], s[2:3]
	s_xor_b64 s[12:13], exec, s[12:13]
	s_cbranch_execz .LBB1239_259
; %bb.249:
	s_mov_b32 s44, 0x3020104
	s_and_b64 vcc, exec, s[4:5]
	s_mov_b64 s[14:15], 0
	s_cbranch_vccnz .LBB1239_258
; %bb.250:
	v_add_u32_e32 v31, -8, v38
	ds_read_b64 v[34:35], v31
	v_lshl_add_u64 v[32:33], v[32:33], 1, s[36:37]
	s_mov_b64 s[14:15], -1
	s_waitcnt lgkmcnt(0)
	v_mul_lo_u32 v31, v35, s26
	v_mul_lo_u32 v36, v34, s27
	v_mad_u64_u32 v[34:35], s[4:5], v34, s26, 0
	v_add3_u32 v35, v35, v36, v31
	v_lshl_add_u64 v[34:35], v[34:35], 1, s[36:37]
	global_load_ushort v31, v[34:35], off
	global_load_ushort v36, v[32:33], off
	s_waitcnt vmcnt(1)
	v_lshlrev_b32_e32 v31, 16, v31
	s_waitcnt vmcnt(0)
	v_lshlrev_b32_e32 v36, 16, v36
	v_cmp_eq_f32_e32 vcc, v31, v36
	s_and_saveexec_b64 s[4:5], vcc
	s_cbranch_execz .LBB1239_257
; %bb.251:
	s_add_u32 s14, s26, -1
	v_lshl_add_u64 v[32:33], v[32:33], 0, 2
	v_lshl_add_u64 v[34:35], v[34:35], 0, 2
	s_addc_u32 s15, s27, -1
	s_mov_b64 s[16:17], 0
	s_mov_b64 s[42:43], 0
                                        ; implicit-def: $sgpr40_sgpr41
	s_branch .LBB1239_254
.LBB1239_252:                           ;   in Loop: Header=BB1239_254 Depth=1
	global_load_ushort v31, v[32:33], off
	global_load_ushort v36, v[34:35], off
	s_add_u32 s42, s42, 1
	s_addc_u32 s43, s43, 0
	s_andn2_b64 s[40:41], s[40:41], exec
	v_lshl_add_u64 v[32:33], v[32:33], 0, 2
	v_lshl_add_u64 v[34:35], v[34:35], 0, 2
	s_waitcnt vmcnt(1)
	v_lshlrev_b32_e32 v31, 16, v31
	s_waitcnt vmcnt(0)
	v_lshlrev_b32_e32 v36, 16, v36
	v_cmp_neq_f32_e32 vcc, v36, v31
	s_and_b64 s[46:47], vcc, exec
	s_or_b64 s[40:41], s[40:41], s[46:47]
.LBB1239_253:                           ;   in Loop: Header=BB1239_254 Depth=1
	s_and_b64 s[46:47], exec, s[40:41]
	s_or_b64 s[16:17], s[46:47], s[16:17]
	v_mov_b64_e32 v[36:37], s[42:43]
	s_andn2_b64 exec, exec, s[16:17]
	s_cbranch_execz .LBB1239_256
.LBB1239_254:                           ; =>This Inner Loop Header: Depth=1
	s_or_b64 s[40:41], s[40:41], exec
	s_cmp_eq_u64 s[14:15], s[42:43]
	s_cbranch_scc0 .LBB1239_252
; %bb.255:                              ;   in Loop: Header=BB1239_254 Depth=1
                                        ; implicit-def: $vgpr32_vgpr33
                                        ; implicit-def: $vgpr34_vgpr35
	s_mov_b64 s[42:43], s[26:27]
	s_branch .LBB1239_253
.LBB1239_256:
	s_or_b64 exec, exec, s[16:17]
	v_cmp_gt_i64_e32 vcc, s[26:27], v[36:37]
	s_orn2_b64 s[14:15], vcc, exec
.LBB1239_257:
	s_or_b64 exec, exec, s[4:5]
.LBB1239_258:
	v_perm_b32 v34, v30, v30, s44
	s_and_b64 s[14:15], s[14:15], exec
	s_or_b64 s[10:11], s[10:11], exec
                                        ; implicit-def: $vgpr30_vgpr31
.LBB1239_259:
	s_or_b64 exec, exec, s[12:13]
	s_branch .LBB1239_340
.LBB1239_260:
	v_cmp_gt_u32_e32 vcc, s54, v42
	s_mov_b64 s[12:13], 0
	s_mov_b64 s[4:5], 0
	s_and_saveexec_b64 s[14:15], vcc
	s_cbranch_execz .LBB1239_271
; %bb.261:
	s_andn2_b64 vcc, exec, s[6:7]
	s_mov_b64 s[16:17], 0
	s_cbranch_vccnz .LBB1239_270
; %bb.262:
	v_mul_lo_u32 v32, v17, s26
	v_mul_lo_u32 v33, v16, s27
	s_waitcnt vmcnt(0) lgkmcnt(1)
	v_mad_u64_u32 v[30:31], s[4:5], v16, s26, 0
	v_add3_u32 v31, v31, v33, v32
	v_mul_lo_u32 v32, v29, s26
	v_mul_lo_u32 v33, v28, s27
	v_mad_u64_u32 v[34:35], s[4:5], v28, s26, 0
	v_add3_u32 v35, v35, v33, v32
	v_lshl_add_u64 v[32:33], v[30:31], 1, s[36:37]
	v_lshl_add_u64 v[30:31], v[34:35], 1, s[36:37]
	global_load_ushort v34, v[30:31], off
	global_load_ushort v35, v[32:33], off
	s_mov_b64 s[16:17], -1
	s_waitcnt vmcnt(1)
	v_lshlrev_b32_e32 v34, 16, v34
	s_waitcnt vmcnt(0)
	v_lshlrev_b32_e32 v35, 16, v35
	v_cmp_eq_f32_e32 vcc, v35, v34
	s_and_saveexec_b64 s[4:5], vcc
	s_cbranch_execz .LBB1239_269
; %bb.263:
	s_add_u32 s16, s26, -1
	v_lshl_add_u64 v[30:31], v[30:31], 0, 2
	v_lshl_add_u64 v[32:33], v[32:33], 0, 2
	s_addc_u32 s17, s27, -1
	s_mov_b64 s[40:41], 0
	s_mov_b64 s[44:45], 0
                                        ; implicit-def: $sgpr42_sgpr43
	s_branch .LBB1239_266
.LBB1239_264:                           ;   in Loop: Header=BB1239_266 Depth=1
	global_load_ushort v34, v[30:31], off
	global_load_ushort v35, v[32:33], off
	s_add_u32 s44, s44, 1
	s_addc_u32 s45, s45, 0
	s_andn2_b64 s[42:43], s[42:43], exec
	v_lshl_add_u64 v[30:31], v[30:31], 0, 2
	v_lshl_add_u64 v[32:33], v[32:33], 0, 2
	s_waitcnt vmcnt(1)
	v_lshlrev_b32_e32 v34, 16, v34
	s_waitcnt vmcnt(0)
	v_lshlrev_b32_e32 v35, 16, v35
	v_cmp_neq_f32_e32 vcc, v35, v34
	s_and_b64 s[46:47], vcc, exec
	s_or_b64 s[42:43], s[42:43], s[46:47]
.LBB1239_265:                           ;   in Loop: Header=BB1239_266 Depth=1
	s_and_b64 s[46:47], exec, s[42:43]
	s_or_b64 s[40:41], s[46:47], s[40:41]
	v_mov_b64_e32 v[34:35], s[44:45]
	s_andn2_b64 exec, exec, s[40:41]
	s_cbranch_execz .LBB1239_268
.LBB1239_266:                           ; =>This Inner Loop Header: Depth=1
	s_or_b64 s[42:43], s[42:43], exec
	s_cmp_eq_u64 s[16:17], s[44:45]
	s_cbranch_scc0 .LBB1239_264
; %bb.267:                              ;   in Loop: Header=BB1239_266 Depth=1
                                        ; implicit-def: $vgpr30_vgpr31
                                        ; implicit-def: $vgpr32_vgpr33
	s_mov_b64 s[44:45], s[26:27]
	s_branch .LBB1239_265
.LBB1239_268:
	s_or_b64 exec, exec, s[40:41]
	v_cmp_gt_i64_e32 vcc, s[26:27], v[34:35]
	s_orn2_b64 s[16:17], vcc, exec
.LBB1239_269:
	s_or_b64 exec, exec, s[4:5]
.LBB1239_270:
	s_and_b64 s[4:5], s[16:17], exec
.LBB1239_271:
	s_or_b64 exec, exec, s[14:15]
	v_cmp_gt_u32_e32 vcc, s54, v45
	s_and_saveexec_b64 s[14:15], vcc
	s_cbranch_execz .LBB1239_282
; %bb.272:
	s_andn2_b64 vcc, exec, s[6:7]
	s_mov_b64 s[16:17], 0
	s_cbranch_vccnz .LBB1239_281
; %bb.273:
	v_mul_lo_u32 v32, v15, s26
	v_mul_lo_u32 v33, v14, s27
	s_waitcnt vmcnt(0) lgkmcnt(1)
	v_mad_u64_u32 v[30:31], s[12:13], v14, s26, 0
	v_add3_u32 v31, v31, v33, v32
	v_mul_lo_u32 v32, v17, s26
	v_mul_lo_u32 v33, v16, s27
	v_mad_u64_u32 v[34:35], s[12:13], v16, s26, 0
	v_add3_u32 v35, v35, v33, v32
	v_lshl_add_u64 v[32:33], v[30:31], 1, s[36:37]
	v_lshl_add_u64 v[30:31], v[34:35], 1, s[36:37]
	global_load_ushort v34, v[30:31], off
	global_load_ushort v35, v[32:33], off
	s_mov_b64 s[16:17], -1
	s_waitcnt vmcnt(1)
	v_lshlrev_b32_e32 v34, 16, v34
	s_waitcnt vmcnt(0)
	v_lshlrev_b32_e32 v35, 16, v35
	v_cmp_eq_f32_e32 vcc, v35, v34
	s_and_saveexec_b64 s[12:13], vcc
	s_cbranch_execz .LBB1239_280
; %bb.274:
	s_add_u32 s16, s26, -1
	v_lshl_add_u64 v[30:31], v[30:31], 0, 2
	v_lshl_add_u64 v[32:33], v[32:33], 0, 2
	s_addc_u32 s17, s27, -1
	s_mov_b64 s[40:41], 0
	s_mov_b64 s[44:45], 0
                                        ; implicit-def: $sgpr42_sgpr43
	s_branch .LBB1239_277
.LBB1239_275:                           ;   in Loop: Header=BB1239_277 Depth=1
	global_load_ushort v34, v[30:31], off
	global_load_ushort v35, v[32:33], off
	s_add_u32 s44, s44, 1
	s_addc_u32 s45, s45, 0
	s_andn2_b64 s[42:43], s[42:43], exec
	v_lshl_add_u64 v[30:31], v[30:31], 0, 2
	v_lshl_add_u64 v[32:33], v[32:33], 0, 2
	s_waitcnt vmcnt(1)
	v_lshlrev_b32_e32 v34, 16, v34
	s_waitcnt vmcnt(0)
	v_lshlrev_b32_e32 v35, 16, v35
	v_cmp_neq_f32_e32 vcc, v35, v34
	s_and_b64 s[46:47], vcc, exec
	s_or_b64 s[42:43], s[42:43], s[46:47]
.LBB1239_276:                           ;   in Loop: Header=BB1239_277 Depth=1
	s_and_b64 s[46:47], exec, s[42:43]
	s_or_b64 s[40:41], s[46:47], s[40:41]
	v_mov_b64_e32 v[34:35], s[44:45]
	s_andn2_b64 exec, exec, s[40:41]
	s_cbranch_execz .LBB1239_279
.LBB1239_277:                           ; =>This Inner Loop Header: Depth=1
	s_or_b64 s[42:43], s[42:43], exec
	s_cmp_eq_u64 s[16:17], s[44:45]
	s_cbranch_scc0 .LBB1239_275
; %bb.278:                              ;   in Loop: Header=BB1239_277 Depth=1
                                        ; implicit-def: $vgpr30_vgpr31
                                        ; implicit-def: $vgpr32_vgpr33
	s_mov_b64 s[44:45], s[26:27]
	s_branch .LBB1239_276
.LBB1239_279:
	s_or_b64 exec, exec, s[40:41]
	v_cmp_gt_i64_e32 vcc, s[26:27], v[34:35]
	s_orn2_b64 s[16:17], vcc, exec
.LBB1239_280:
	s_or_b64 exec, exec, s[12:13]
.LBB1239_281:
	s_and_b64 s[12:13], s[16:17], exec
.LBB1239_282:
	s_or_b64 exec, exec, s[14:15]
	v_cmp_gt_u32_e32 vcc, s54, v41
	s_mov_b64 s[16:17], 0
	s_mov_b64 s[14:15], 0
	s_and_saveexec_b64 s[40:41], vcc
	s_cbranch_execz .LBB1239_293
; %bb.283:
	s_andn2_b64 vcc, exec, s[6:7]
	s_mov_b64 s[42:43], 0
	s_cbranch_vccnz .LBB1239_292
; %bb.284:
	v_mul_lo_u32 v32, v21, s26
	v_mul_lo_u32 v33, v20, s27
	s_waitcnt vmcnt(0) lgkmcnt(1)
	v_mad_u64_u32 v[30:31], s[14:15], v20, s26, 0
	v_add3_u32 v31, v31, v33, v32
	v_mul_lo_u32 v32, v15, s26
	v_mul_lo_u32 v33, v14, s27
	v_mad_u64_u32 v[34:35], s[14:15], v14, s26, 0
	v_add3_u32 v35, v35, v33, v32
	v_lshl_add_u64 v[32:33], v[30:31], 1, s[36:37]
	v_lshl_add_u64 v[30:31], v[34:35], 1, s[36:37]
	global_load_ushort v34, v[30:31], off
	global_load_ushort v35, v[32:33], off
	s_mov_b64 s[42:43], -1
	s_waitcnt vmcnt(1)
	v_lshlrev_b32_e32 v34, 16, v34
	s_waitcnt vmcnt(0)
	v_lshlrev_b32_e32 v35, 16, v35
	v_cmp_eq_f32_e32 vcc, v35, v34
	s_and_saveexec_b64 s[14:15], vcc
	s_cbranch_execz .LBB1239_291
; %bb.285:
	s_add_u32 s42, s26, -1
	v_lshl_add_u64 v[30:31], v[30:31], 0, 2
	v_lshl_add_u64 v[32:33], v[32:33], 0, 2
	s_addc_u32 s43, s27, -1
	s_mov_b64 s[44:45], 0
	s_mov_b64 s[48:49], 0
                                        ; implicit-def: $sgpr46_sgpr47
	s_branch .LBB1239_288
.LBB1239_286:                           ;   in Loop: Header=BB1239_288 Depth=1
	global_load_ushort v34, v[30:31], off
	global_load_ushort v35, v[32:33], off
	s_add_u32 s48, s48, 1
	s_addc_u32 s49, s49, 0
	s_andn2_b64 s[46:47], s[46:47], exec
	v_lshl_add_u64 v[30:31], v[30:31], 0, 2
	v_lshl_add_u64 v[32:33], v[32:33], 0, 2
	s_waitcnt vmcnt(1)
	v_lshlrev_b32_e32 v34, 16, v34
	s_waitcnt vmcnt(0)
	v_lshlrev_b32_e32 v35, 16, v35
	v_cmp_neq_f32_e32 vcc, v35, v34
	s_and_b64 s[50:51], vcc, exec
	s_or_b64 s[46:47], s[46:47], s[50:51]
.LBB1239_287:                           ;   in Loop: Header=BB1239_288 Depth=1
	s_and_b64 s[50:51], exec, s[46:47]
	s_or_b64 s[44:45], s[50:51], s[44:45]
	v_mov_b64_e32 v[34:35], s[48:49]
	s_andn2_b64 exec, exec, s[44:45]
	s_cbranch_execz .LBB1239_290
.LBB1239_288:                           ; =>This Inner Loop Header: Depth=1
	s_or_b64 s[46:47], s[46:47], exec
	s_cmp_eq_u64 s[42:43], s[48:49]
	s_cbranch_scc0 .LBB1239_286
; %bb.289:                              ;   in Loop: Header=BB1239_288 Depth=1
                                        ; implicit-def: $vgpr30_vgpr31
                                        ; implicit-def: $vgpr32_vgpr33
	s_mov_b64 s[48:49], s[26:27]
	s_branch .LBB1239_287
.LBB1239_290:
	s_or_b64 exec, exec, s[44:45]
	v_cmp_gt_i64_e32 vcc, s[26:27], v[34:35]
	s_orn2_b64 s[42:43], vcc, exec
.LBB1239_291:
	s_or_b64 exec, exec, s[14:15]
.LBB1239_292:
	s_and_b64 s[14:15], s[42:43], exec
.LBB1239_293:
	s_or_b64 exec, exec, s[40:41]
	v_cmp_gt_u32_e32 vcc, s54, v44
	s_and_saveexec_b64 s[40:41], vcc
	s_cbranch_execz .LBB1239_304
; %bb.294:
	s_andn2_b64 vcc, exec, s[6:7]
	s_mov_b64 s[42:43], 0
	s_cbranch_vccnz .LBB1239_303
; %bb.295:
	v_mul_lo_u32 v32, v19, s26
	v_mul_lo_u32 v33, v18, s27
	s_waitcnt vmcnt(0) lgkmcnt(1)
	v_mad_u64_u32 v[30:31], s[16:17], v18, s26, 0
	v_add3_u32 v31, v31, v33, v32
	v_mul_lo_u32 v32, v21, s26
	v_mul_lo_u32 v33, v20, s27
	v_mad_u64_u32 v[34:35], s[16:17], v20, s26, 0
	v_add3_u32 v35, v35, v33, v32
	v_lshl_add_u64 v[32:33], v[30:31], 1, s[36:37]
	v_lshl_add_u64 v[30:31], v[34:35], 1, s[36:37]
	global_load_ushort v34, v[30:31], off
	global_load_ushort v35, v[32:33], off
	s_mov_b64 s[42:43], -1
	s_waitcnt vmcnt(1)
	v_lshlrev_b32_e32 v34, 16, v34
	s_waitcnt vmcnt(0)
	v_lshlrev_b32_e32 v35, 16, v35
	v_cmp_eq_f32_e32 vcc, v35, v34
	s_and_saveexec_b64 s[16:17], vcc
	s_cbranch_execz .LBB1239_302
; %bb.296:
	s_add_u32 s42, s26, -1
	v_lshl_add_u64 v[30:31], v[30:31], 0, 2
	v_lshl_add_u64 v[32:33], v[32:33], 0, 2
	s_addc_u32 s43, s27, -1
	s_mov_b64 s[44:45], 0
	s_mov_b64 s[48:49], 0
                                        ; implicit-def: $sgpr46_sgpr47
	s_branch .LBB1239_299
.LBB1239_297:                           ;   in Loop: Header=BB1239_299 Depth=1
	global_load_ushort v34, v[30:31], off
	global_load_ushort v35, v[32:33], off
	s_add_u32 s48, s48, 1
	s_addc_u32 s49, s49, 0
	s_andn2_b64 s[46:47], s[46:47], exec
	v_lshl_add_u64 v[30:31], v[30:31], 0, 2
	v_lshl_add_u64 v[32:33], v[32:33], 0, 2
	s_waitcnt vmcnt(1)
	v_lshlrev_b32_e32 v34, 16, v34
	s_waitcnt vmcnt(0)
	v_lshlrev_b32_e32 v35, 16, v35
	v_cmp_neq_f32_e32 vcc, v35, v34
	s_and_b64 s[50:51], vcc, exec
	s_or_b64 s[46:47], s[46:47], s[50:51]
.LBB1239_298:                           ;   in Loop: Header=BB1239_299 Depth=1
	s_and_b64 s[50:51], exec, s[46:47]
	s_or_b64 s[44:45], s[50:51], s[44:45]
	v_mov_b64_e32 v[34:35], s[48:49]
	s_andn2_b64 exec, exec, s[44:45]
	s_cbranch_execz .LBB1239_301
.LBB1239_299:                           ; =>This Inner Loop Header: Depth=1
	s_or_b64 s[46:47], s[46:47], exec
	s_cmp_eq_u64 s[42:43], s[48:49]
	s_cbranch_scc0 .LBB1239_297
; %bb.300:                              ;   in Loop: Header=BB1239_299 Depth=1
                                        ; implicit-def: $vgpr30_vgpr31
                                        ; implicit-def: $vgpr32_vgpr33
	s_mov_b64 s[48:49], s[26:27]
	s_branch .LBB1239_298
.LBB1239_301:
	s_or_b64 exec, exec, s[44:45]
	v_cmp_gt_i64_e32 vcc, s[26:27], v[34:35]
	s_orn2_b64 s[42:43], vcc, exec
.LBB1239_302:
	s_or_b64 exec, exec, s[16:17]
.LBB1239_303:
	s_and_b64 s[16:17], s[42:43], exec
.LBB1239_304:
	s_or_b64 exec, exec, s[40:41]
	v_cmp_gt_u32_e32 vcc, s54, v40
	s_mov_b64 s[40:41], 0
	s_mov_b64 s[42:43], 0
	s_and_saveexec_b64 s[44:45], vcc
	s_cbranch_execz .LBB1239_315
; %bb.305:
	s_andn2_b64 vcc, exec, s[6:7]
	s_mov_b64 s[46:47], 0
	s_cbranch_vccnz .LBB1239_314
; %bb.306:
	v_mul_lo_u32 v32, v25, s26
	v_mul_lo_u32 v33, v24, s27
	s_waitcnt vmcnt(0) lgkmcnt(1)
	v_mad_u64_u32 v[30:31], s[42:43], v24, s26, 0
	v_add3_u32 v31, v31, v33, v32
	v_mul_lo_u32 v32, v19, s26
	v_mul_lo_u32 v33, v18, s27
	v_mad_u64_u32 v[34:35], s[42:43], v18, s26, 0
	v_add3_u32 v35, v35, v33, v32
	v_lshl_add_u64 v[32:33], v[30:31], 1, s[36:37]
	v_lshl_add_u64 v[30:31], v[34:35], 1, s[36:37]
	global_load_ushort v34, v[30:31], off
	global_load_ushort v35, v[32:33], off
	s_mov_b64 s[46:47], -1
	s_waitcnt vmcnt(1)
	v_lshlrev_b32_e32 v34, 16, v34
	s_waitcnt vmcnt(0)
	v_lshlrev_b32_e32 v35, 16, v35
	v_cmp_eq_f32_e32 vcc, v35, v34
	s_and_saveexec_b64 s[42:43], vcc
	s_cbranch_execz .LBB1239_313
; %bb.307:
	s_add_u32 s46, s26, -1
	v_lshl_add_u64 v[30:31], v[30:31], 0, 2
	v_lshl_add_u64 v[32:33], v[32:33], 0, 2
	s_addc_u32 s47, s27, -1
	s_mov_b64 s[48:49], 0
	s_mov_b64 s[52:53], 0
                                        ; implicit-def: $sgpr50_sgpr51
	s_branch .LBB1239_310
.LBB1239_308:                           ;   in Loop: Header=BB1239_310 Depth=1
	global_load_ushort v34, v[30:31], off
	global_load_ushort v35, v[32:33], off
	s_add_u32 s52, s52, 1
	s_addc_u32 s53, s53, 0
	s_andn2_b64 s[50:51], s[50:51], exec
	v_lshl_add_u64 v[30:31], v[30:31], 0, 2
	v_lshl_add_u64 v[32:33], v[32:33], 0, 2
	s_waitcnt vmcnt(1)
	v_lshlrev_b32_e32 v34, 16, v34
	s_waitcnt vmcnt(0)
	v_lshlrev_b32_e32 v35, 16, v35
	v_cmp_neq_f32_e32 vcc, v35, v34
	s_and_b64 s[56:57], vcc, exec
	s_or_b64 s[50:51], s[50:51], s[56:57]
.LBB1239_309:                           ;   in Loop: Header=BB1239_310 Depth=1
	s_and_b64 s[56:57], exec, s[50:51]
	s_or_b64 s[48:49], s[56:57], s[48:49]
	v_mov_b64_e32 v[34:35], s[52:53]
	s_andn2_b64 exec, exec, s[48:49]
	s_cbranch_execz .LBB1239_312
.LBB1239_310:                           ; =>This Inner Loop Header: Depth=1
	s_or_b64 s[50:51], s[50:51], exec
	s_cmp_eq_u64 s[46:47], s[52:53]
	s_cbranch_scc0 .LBB1239_308
; %bb.311:                              ;   in Loop: Header=BB1239_310 Depth=1
                                        ; implicit-def: $vgpr30_vgpr31
                                        ; implicit-def: $vgpr32_vgpr33
	s_mov_b64 s[52:53], s[26:27]
	s_branch .LBB1239_309
.LBB1239_312:
	s_or_b64 exec, exec, s[48:49]
	v_cmp_gt_i64_e32 vcc, s[26:27], v[34:35]
	s_orn2_b64 s[46:47], vcc, exec
.LBB1239_313:
	s_or_b64 exec, exec, s[42:43]
.LBB1239_314:
	s_and_b64 s[42:43], s[46:47], exec
.LBB1239_315:
	s_or_b64 exec, exec, s[44:45]
	v_cmp_gt_u32_e32 vcc, s54, v43
	s_and_saveexec_b64 s[44:45], vcc
	s_cbranch_execz .LBB1239_326
; %bb.316:
	s_andn2_b64 vcc, exec, s[6:7]
	s_mov_b64 s[46:47], 0
	s_cbranch_vccnz .LBB1239_325
; %bb.317:
	v_mul_lo_u32 v32, v23, s26
	v_mul_lo_u32 v33, v22, s27
	s_waitcnt vmcnt(0) lgkmcnt(1)
	v_mad_u64_u32 v[30:31], s[40:41], v22, s26, 0
	v_add3_u32 v31, v31, v33, v32
	v_mul_lo_u32 v32, v25, s26
	v_mul_lo_u32 v33, v24, s27
	v_mad_u64_u32 v[34:35], s[40:41], v24, s26, 0
	v_add3_u32 v35, v35, v33, v32
	v_lshl_add_u64 v[32:33], v[30:31], 1, s[36:37]
	v_lshl_add_u64 v[30:31], v[34:35], 1, s[36:37]
	global_load_ushort v34, v[30:31], off
	global_load_ushort v35, v[32:33], off
	s_mov_b64 s[46:47], -1
	s_waitcnt vmcnt(1)
	v_lshlrev_b32_e32 v34, 16, v34
	s_waitcnt vmcnt(0)
	v_lshlrev_b32_e32 v35, 16, v35
	v_cmp_eq_f32_e32 vcc, v35, v34
	s_and_saveexec_b64 s[40:41], vcc
	s_cbranch_execz .LBB1239_324
; %bb.318:
	s_add_u32 s46, s26, -1
	v_lshl_add_u64 v[30:31], v[30:31], 0, 2
	v_lshl_add_u64 v[32:33], v[32:33], 0, 2
	s_addc_u32 s47, s27, -1
	s_mov_b64 s[48:49], 0
	s_mov_b64 s[52:53], 0
                                        ; implicit-def: $sgpr50_sgpr51
	s_branch .LBB1239_321
.LBB1239_319:                           ;   in Loop: Header=BB1239_321 Depth=1
	global_load_ushort v34, v[30:31], off
	global_load_ushort v35, v[32:33], off
	s_add_u32 s52, s52, 1
	s_addc_u32 s53, s53, 0
	s_andn2_b64 s[50:51], s[50:51], exec
	v_lshl_add_u64 v[30:31], v[30:31], 0, 2
	v_lshl_add_u64 v[32:33], v[32:33], 0, 2
	s_waitcnt vmcnt(1)
	v_lshlrev_b32_e32 v34, 16, v34
	s_waitcnt vmcnt(0)
	v_lshlrev_b32_e32 v35, 16, v35
	v_cmp_neq_f32_e32 vcc, v35, v34
	s_and_b64 s[56:57], vcc, exec
	s_or_b64 s[50:51], s[50:51], s[56:57]
.LBB1239_320:                           ;   in Loop: Header=BB1239_321 Depth=1
	s_and_b64 s[56:57], exec, s[50:51]
	s_or_b64 s[48:49], s[56:57], s[48:49]
	v_mov_b64_e32 v[34:35], s[52:53]
	s_andn2_b64 exec, exec, s[48:49]
	s_cbranch_execz .LBB1239_323
.LBB1239_321:                           ; =>This Inner Loop Header: Depth=1
	s_or_b64 s[50:51], s[50:51], exec
	s_cmp_eq_u64 s[46:47], s[52:53]
	s_cbranch_scc0 .LBB1239_319
; %bb.322:                              ;   in Loop: Header=BB1239_321 Depth=1
                                        ; implicit-def: $vgpr30_vgpr31
                                        ; implicit-def: $vgpr32_vgpr33
	s_mov_b64 s[52:53], s[26:27]
	s_branch .LBB1239_320
.LBB1239_323:
	s_or_b64 exec, exec, s[48:49]
	v_cmp_gt_i64_e32 vcc, s[26:27], v[34:35]
	s_orn2_b64 s[46:47], vcc, exec
.LBB1239_324:
	s_or_b64 exec, exec, s[40:41]
.LBB1239_325:
	s_and_b64 s[40:41], s[46:47], exec
.LBB1239_326:
	s_or_b64 exec, exec, s[44:45]
	s_waitcnt vmcnt(0) lgkmcnt(1)
	v_cndmask_b32_e64 v31, 0, 1, s[16:17]
	v_cndmask_b32_e64 v30, 0, 1, s[42:43]
	;; [unrolled: 1-line block ×3, first 2 shown]
	v_lshlrev_b16_e32 v31, 8, v31
	v_cndmask_b32_e64 v39, 0, 1, s[14:15]
	v_cndmask_b32_e64 v32, 0, 1, s[40:41]
	v_or_b32_sdwa v30, v30, v31 dst_sel:WORD_1 dst_unused:UNUSED_PAD src0_sel:DWORD src1_sel:DWORD
	v_lshlrev_b16_e32 v31, 8, v48
	v_lshlrev_b16_e32 v32, 8, v32
	v_or_b32_e32 v31, v39, v31
	v_or_b32_e32 v32, 1, v32
	v_and_b32_e32 v31, 0xffff, v31
	v_cndmask_b32_e64 v49, 0, 1, s[4:5]
	v_or_b32_sdwa v30, v32, v30 dst_sel:DWORD dst_unused:UNUSED_PAD src0_sel:WORD_0 src1_sel:DWORD
	v_lshl_or_b32 v31, v49, 16, v31
	s_waitcnt lgkmcnt(0)
	s_barrier
	s_waitcnt lgkmcnt(0)
                                        ; implicit-def: $sgpr14_sgpr15
                                        ; implicit-def: $vgpr34
	s_and_saveexec_b64 s[4:5], s[2:3]
	s_cbranch_execz .LBB1239_339
; %bb.327:
	v_cmp_gt_u32_e32 vcc, s54, v1
	s_mov_b32 s40, 0x3020104
	s_mov_b64 s[12:13], 0
	s_and_saveexec_b64 s[2:3], vcc
	s_cbranch_execz .LBB1239_338
; %bb.328:
	s_andn2_b64 vcc, exec, s[6:7]
	s_cbranch_vccnz .LBB1239_337
; %bb.329:
	v_add_u32_e32 v31, -8, v38
	ds_read_b64 v[32:33], v31
	v_mul_lo_u32 v31, v23, s26
	v_mad_u64_u32 v[36:37], s[6:7], v22, s26, 0
	s_mov_b64 s[12:13], -1
	s_waitcnt lgkmcnt(0)
	v_mul_lo_u32 v34, v33, s26
	v_mul_lo_u32 v35, v32, s27
	v_mad_u64_u32 v[32:33], s[6:7], v32, s26, 0
	v_add3_u32 v33, v33, v35, v34
	v_mul_lo_u32 v34, v22, s27
	v_add3_u32 v37, v37, v34, v31
	v_lshl_add_u64 v[34:35], v[32:33], 1, s[36:37]
	v_lshl_add_u64 v[32:33], v[36:37], 1, s[36:37]
	global_load_ushort v31, v[32:33], off
	global_load_ushort v36, v[34:35], off
	s_waitcnt vmcnt(1)
	v_lshlrev_b32_e32 v31, 16, v31
	s_waitcnt vmcnt(0)
	v_lshlrev_b32_e32 v36, 16, v36
	v_cmp_eq_f32_e32 vcc, v36, v31
	s_and_saveexec_b64 s[6:7], vcc
	s_cbranch_execz .LBB1239_336
; %bb.330:
	s_add_u32 s12, s26, -1
	v_lshl_add_u64 v[32:33], v[32:33], 0, 2
	v_lshl_add_u64 v[34:35], v[34:35], 0, 2
	s_addc_u32 s13, s27, -1
	s_mov_b64 s[14:15], 0
	s_mov_b64 s[36:37], 0
                                        ; implicit-def: $sgpr16_sgpr17
	s_branch .LBB1239_333
.LBB1239_331:                           ;   in Loop: Header=BB1239_333 Depth=1
	global_load_ushort v31, v[32:33], off
	global_load_ushort v36, v[34:35], off
	s_add_u32 s36, s36, 1
	s_addc_u32 s37, s37, 0
	s_andn2_b64 s[16:17], s[16:17], exec
	v_lshl_add_u64 v[32:33], v[32:33], 0, 2
	v_lshl_add_u64 v[34:35], v[34:35], 0, 2
	s_waitcnt vmcnt(1)
	v_lshlrev_b32_e32 v31, 16, v31
	s_waitcnt vmcnt(0)
	v_lshlrev_b32_e32 v36, 16, v36
	v_cmp_neq_f32_e32 vcc, v36, v31
	s_and_b64 s[42:43], vcc, exec
	s_or_b64 s[16:17], s[16:17], s[42:43]
.LBB1239_332:                           ;   in Loop: Header=BB1239_333 Depth=1
	s_and_b64 s[42:43], exec, s[16:17]
	s_or_b64 s[14:15], s[42:43], s[14:15]
	v_mov_b64_e32 v[36:37], s[36:37]
	s_andn2_b64 exec, exec, s[14:15]
	s_cbranch_execz .LBB1239_335
.LBB1239_333:                           ; =>This Inner Loop Header: Depth=1
	s_or_b64 s[16:17], s[16:17], exec
	s_cmp_eq_u64 s[12:13], s[36:37]
	s_cbranch_scc0 .LBB1239_331
; %bb.334:                              ;   in Loop: Header=BB1239_333 Depth=1
                                        ; implicit-def: $vgpr32_vgpr33
                                        ; implicit-def: $vgpr34_vgpr35
	s_mov_b64 s[36:37], s[26:27]
	s_branch .LBB1239_332
.LBB1239_335:
	s_or_b64 exec, exec, s[14:15]
	v_cmp_gt_i64_e32 vcc, s[26:27], v[36:37]
	s_orn2_b64 s[12:13], vcc, exec
.LBB1239_336:
	s_or_b64 exec, exec, s[6:7]
.LBB1239_337:
	s_and_b64 s[12:13], s[12:13], exec
.LBB1239_338:
	s_or_b64 exec, exec, s[2:3]
	v_perm_b32 v34, v30, v30, s40
	s_and_b64 s[14:15], s[12:13], exec
	s_or_b64 s[10:11], s[10:11], exec
                                        ; implicit-def: $vgpr30_vgpr31
.LBB1239_339:
	s_or_b64 exec, exec, s[4:5]
.LBB1239_340:
	s_and_saveexec_b64 s[2:3], s[10:11]
	s_cbranch_execz .LBB1239_342
; %bb.341:
	s_waitcnt vmcnt(0) lgkmcnt(0)
	v_lshlrev_b16_e32 v31, 8, v48
	v_and_b32_e32 v32, 0xff, v49
	v_or_b32_sdwa v31, v39, v31 dst_sel:DWORD dst_unused:UNUSED_PAD src0_sel:BYTE_0 src1_sel:DWORD
	v_lshlrev_b32_e32 v32, 16, v32
	s_movk_i32 s4, 0xff
	v_or_b32_sdwa v31, v31, v32 dst_sel:DWORD dst_unused:UNUSED_PAD src0_sel:WORD_0 src1_sel:DWORD
	v_lshrrev_b32_e32 v32, 24, v34
	v_lshlrev_b16_e32 v32, 8, v32
	v_and_b32_sdwa v33, v34, s4 dst_sel:DWORD dst_unused:UNUSED_PAD src0_sel:WORD_1 src1_sel:DWORD
	v_or_b32_sdwa v32, v33, v32 dst_sel:WORD_1 dst_unused:UNUSED_PAD src0_sel:DWORD src1_sel:DWORD
	v_mov_b32_e32 v33, 8
	v_cndmask_b32_e64 v30, 0, 1, s[14:15]
	v_lshrrev_b32_sdwa v33, v33, v34 dst_sel:BYTE_1 dst_unused:UNUSED_PAD src0_sel:DWORD src1_sel:DWORD
	s_nop 0
	v_or_b32_e32 v30, v30, v33
	v_or_b32_sdwa v30, v30, v32 dst_sel:DWORD dst_unused:UNUSED_PAD src0_sel:WORD_0 src1_sel:DWORD
.LBB1239_342:
	s_or_b64 exec, exec, s[2:3]
	s_andn2_b64 vcc, exec, s[8:9]
	s_cbranch_vccnz .LBB1239_344
; %bb.343:
	s_waitcnt vmcnt(0) lgkmcnt(0)
	v_and_b32_e32 v32, 0xffff0000, v30
	v_cmp_gt_u32_e32 vcc, s54, v1
	s_mov_b32 s2, 0x40c0100
	s_nop 0
	v_cndmask_b32_e32 v1, v32, v30, vcc
	v_and_b32_e32 v1, 0xffff00ff, v1
	v_cmp_gt_u32_e32 vcc, s54, v43
	s_nop 1
	v_cndmask_b32_e32 v1, v1, v30, vcc
	v_lshrrev_b32_e32 v32, 24, v1
	v_perm_b32 v1, v32, v1, s2
	v_cmp_gt_u32_e32 vcc, s54, v40
	v_and_b32_e32 v32, 0xffffff00, v31
	s_nop 0
	v_cndmask_b32_e32 v1, v1, v30, vcc
	v_and_b32_e32 v1, 0xffffff, v1
	v_cmp_gt_u32_e32 vcc, s54, v44
	s_nop 1
	v_cndmask_b32_e32 v1, v1, v30, vcc
	v_cmp_gt_u32_e32 vcc, s54, v41
	s_nop 1
	v_cndmask_b32_e32 v32, v32, v31, vcc
	v_and_b32_e32 v32, 0xffff00ff, v32
	v_cndmask_b32_e32 v1, v1, v30, vcc
	v_cmp_gt_u32_e32 vcc, s54, v45
	s_nop 1
	v_cndmask_b32_e32 v32, v32, v31, vcc
	v_lshrrev_b32_e32 v33, 24, v32
	v_cndmask_b32_e32 v1, v1, v30, vcc
	v_perm_b32 v32, v33, v32, s2
	v_cmp_gt_u32_e32 vcc, s54, v42
	s_mov_b32 s2, 0x3020104
	s_nop 0
	v_cndmask_b32_e32 v1, v1, v30, vcc
	v_cndmask_b32_e32 v30, v32, v31, vcc
	v_mov_b32_e32 v31, 8
	v_lshrrev_b32_sdwa v31, v31, v30 dst_sel:BYTE_1 dst_unused:UNUSED_PAD src0_sel:DWORD src1_sel:DWORD
	s_nop 0
	v_or_b32_sdwa v31, v30, v31 dst_sel:DWORD dst_unused:UNUSED_PAD src0_sel:BYTE_0 src1_sel:DWORD
	v_and_b32_e32 v31, 0xffff, v31
	v_bfe_u32 v30, v30, 16, 8
	v_lshl_or_b32 v31, v30, 16, v31
	v_perm_b32 v30, v1, v1, s2
.LBB1239_344:
	s_waitcnt vmcnt(0) lgkmcnt(0)
	v_and_b32_e32 v1, 0xff, v30
	v_bfe_u32 v43, v30, 8, 8
	v_bfe_u32 v45, v30, 16, 8
	v_alignbit_b32 v32, v31, v30, 24
	v_and_b32_e32 v47, 0xff, v32
	v_and_b32_e32 v48, 0xff, v31
	v_add3_u32 v33, v43, v1, v45
	v_bfe_u32 v49, v31, 8, 8
	v_bfe_u32 v32, v31, 16, 8
	v_add3_u32 v33, v33, v47, v48
	v_add3_u32 v52, v33, v49, v32
	v_mbcnt_lo_u32_b32 v32, -1, 0
	v_mbcnt_hi_u32_b32 v50, -1, v32
	v_and_b32_e32 v32, 15, v50
	v_cmp_eq_u32_e64 s[14:15], 0, v32
	v_cmp_lt_u32_e64 s[12:13], 1, v32
	v_cmp_lt_u32_e64 s[10:11], 3, v32
	;; [unrolled: 1-line block ×3, first 2 shown]
	v_and_b32_e32 v32, 16, v50
	v_cmp_eq_u32_e64 s[6:7], 0, v32
	v_or_b32_e32 v32, 63, v0
	v_cmp_lt_u32_e64 s[2:3], 31, v50
	v_lshrrev_b32_e32 v51, 6, v0
	v_cmp_eq_u32_e64 s[4:5], v32, v0
	s_and_b64 vcc, exec, s[0:1]
	s_barrier
	s_cbranch_vccz .LBB1239_371
; %bb.345:
	v_mov_b32_dpp v32, v52 row_shr:1 row_mask:0xf bank_mask:0xf
	v_cndmask_b32_e64 v32, v32, 0, s[14:15]
	v_add_u32_e32 v32, v32, v52
	s_nop 1
	v_mov_b32_dpp v33, v32 row_shr:2 row_mask:0xf bank_mask:0xf
	v_cndmask_b32_e64 v33, 0, v33, s[12:13]
	v_add_u32_e32 v32, v32, v33
	s_nop 1
	v_mov_b32_dpp v33, v32 row_shr:4 row_mask:0xf bank_mask:0xf
	v_cndmask_b32_e64 v33, 0, v33, s[10:11]
	v_add_u32_e32 v32, v32, v33
	s_nop 1
	v_mov_b32_dpp v33, v32 row_shr:8 row_mask:0xf bank_mask:0xf
	v_cndmask_b32_e64 v33, 0, v33, s[8:9]
	v_add_u32_e32 v32, v32, v33
	s_nop 1
	v_mov_b32_dpp v33, v32 row_bcast:15 row_mask:0xf bank_mask:0xf
	v_cndmask_b32_e64 v33, v33, 0, s[6:7]
	v_add_u32_e32 v32, v32, v33
	s_nop 1
	v_mov_b32_dpp v33, v32 row_bcast:31 row_mask:0xf bank_mask:0xf
	v_cndmask_b32_e64 v33, 0, v33, s[2:3]
	v_add_u32_e32 v32, v32, v33
	s_and_saveexec_b64 s[0:1], s[4:5]
	s_cbranch_execz .LBB1239_347
; %bb.346:
	v_lshlrev_b32_e32 v33, 2, v51
	ds_write_b32 v33, v32
.LBB1239_347:
	s_or_b64 exec, exec, s[0:1]
	v_cmp_gt_u32_e32 vcc, 8, v0
	s_waitcnt lgkmcnt(0)
	s_barrier
	s_and_saveexec_b64 s[0:1], vcc
	s_cbranch_execz .LBB1239_349
; %bb.348:
	v_lshlrev_b32_e32 v33, 2, v0
	ds_read_b32 v34, v33
	v_and_b32_e32 v35, 7, v50
	v_cmp_ne_u32_e32 vcc, 0, v35
	s_waitcnt lgkmcnt(0)
	v_mov_b32_dpp v36, v34 row_shr:1 row_mask:0xf bank_mask:0xf
	v_cndmask_b32_e32 v36, 0, v36, vcc
	v_add_u32_e32 v34, v36, v34
	v_cmp_lt_u32_e32 vcc, 1, v35
	s_nop 0
	v_mov_b32_dpp v36, v34 row_shr:2 row_mask:0xf bank_mask:0xf
	v_cndmask_b32_e32 v36, 0, v36, vcc
	v_add_u32_e32 v34, v34, v36
	v_cmp_lt_u32_e32 vcc, 3, v35
	s_nop 0
	v_mov_b32_dpp v36, v34 row_shr:4 row_mask:0xf bank_mask:0xf
	v_cndmask_b32_e32 v35, 0, v36, vcc
	v_add_u32_e32 v34, v34, v35
	ds_write_b32 v33, v34
.LBB1239_349:
	s_or_b64 exec, exec, s[0:1]
	v_cmp_gt_u32_e32 vcc, 64, v0
	v_cmp_lt_u32_e64 s[0:1], 63, v0
	s_waitcnt lgkmcnt(0)
	s_barrier
	s_waitcnt lgkmcnt(0)
                                        ; implicit-def: $vgpr42
	s_and_saveexec_b64 s[16:17], s[0:1]
	s_cbranch_execz .LBB1239_351
; %bb.350:
	v_lshl_add_u32 v33, v51, 2, -4
	ds_read_b32 v42, v33
	s_waitcnt lgkmcnt(0)
	v_add_u32_e32 v32, v42, v32
.LBB1239_351:
	s_or_b64 exec, exec, s[16:17]
	v_add_u32_e32 v33, -1, v50
	v_and_b32_e32 v34, 64, v50
	v_cmp_lt_i32_e64 s[0:1], v33, v34
	v_cmp_eq_u32_e64 s[16:17], 0, v50
	s_nop 0
	v_cndmask_b32_e64 v33, v33, v50, s[0:1]
	v_lshlrev_b32_e32 v33, 2, v33
	ds_bpermute_b32 v44, v33, v32
	s_and_saveexec_b64 s[0:1], vcc
	s_cbranch_execz .LBB1239_370
; %bb.352:
	v_mov_b32_e32 v39, 0
	ds_read_b32 v32, v39 offset:28
	s_and_saveexec_b64 s[26:27], s[16:17]
	s_cbranch_execz .LBB1239_354
; %bb.353:
	s_add_i32 s36, s33, 64
	s_mov_b32 s37, 0
	s_lshl_b64 s[36:37], s[36:37], 3
	s_add_u32 s36, s38, s36
	v_mov_b32_e32 v33, 1
	s_addc_u32 s37, s39, s37
	s_waitcnt lgkmcnt(0)
	global_store_dwordx2 v39, v[32:33], s[36:37] sc1
.LBB1239_354:
	s_or_b64 exec, exec, s[26:27]
	v_xad_u32 v34, v50, -1, s33
	v_add_u32_e32 v38, 64, v34
	v_lshl_add_u64 v[40:41], v[38:39], 3, s[38:39]
	global_load_dwordx2 v[36:37], v[40:41], off sc1
	s_waitcnt vmcnt(0)
	v_cmp_eq_u16_sdwa s[36:37], v37, v39 src0_sel:BYTE_0 src1_sel:DWORD
	s_and_saveexec_b64 s[26:27], s[36:37]
	s_cbranch_execz .LBB1239_358
; %bb.355:
	s_mov_b64 s[36:37], 0
	v_mov_b32_e32 v33, 0
.LBB1239_356:                           ; =>This Inner Loop Header: Depth=1
	global_load_dwordx2 v[36:37], v[40:41], off sc1
	s_waitcnt vmcnt(0)
	v_cmp_ne_u16_sdwa s[40:41], v37, v33 src0_sel:BYTE_0 src1_sel:DWORD
	s_or_b64 s[36:37], s[40:41], s[36:37]
	s_andn2_b64 exec, exec, s[36:37]
	s_cbranch_execnz .LBB1239_356
; %bb.357:
	s_or_b64 exec, exec, s[36:37]
.LBB1239_358:
	s_or_b64 exec, exec, s[26:27]
	v_and_b32_e32 v46, 63, v50
	v_mov_b32_e32 v33, 2
	v_cmp_ne_u32_e32 vcc, 63, v46
	v_cmp_eq_u16_sdwa s[26:27], v37, v33 src0_sel:BYTE_0 src1_sel:DWORD
	v_lshlrev_b64 v[38:39], v50, -1
	v_addc_co_u32_e32 v41, vcc, 0, v50, vcc
	v_and_b32_e32 v35, s27, v39
	v_lshlrev_b32_e32 v53, 2, v41
	v_or_b32_e32 v35, 0x80000000, v35
	ds_bpermute_b32 v41, v53, v36
	v_and_b32_e32 v40, s26, v38
	v_ffbl_b32_e32 v35, v35
	v_add_u32_e32 v35, 32, v35
	v_ffbl_b32_e32 v40, v40
	v_min_u32_e32 v35, v40, v35
	v_cmp_lt_u32_e32 vcc, v46, v35
	v_add_u32_e32 v55, 2, v46
	v_add_u32_e32 v57, 4, v46
	s_waitcnt lgkmcnt(0)
	v_cndmask_b32_e32 v40, 0, v41, vcc
	v_cmp_gt_u32_e32 vcc, 62, v46
	v_add_u32_e32 v36, v40, v36
	v_add_u32_e32 v59, 8, v46
	v_cndmask_b32_e64 v40, 0, 1, vcc
	v_lshlrev_b32_e32 v40, 1, v40
	v_add_lshl_u32 v54, v40, v50, 2
	ds_bpermute_b32 v40, v54, v36
	v_cmp_le_u32_e32 vcc, v55, v35
	v_add_u32_e32 v62, 16, v46
	v_add_u32_e32 v64, 32, v46
	s_waitcnt lgkmcnt(0)
	v_cndmask_b32_e32 v40, 0, v40, vcc
	v_cmp_gt_u32_e32 vcc, 60, v46
	v_add_u32_e32 v36, v36, v40
	s_nop 0
	v_cndmask_b32_e64 v40, 0, 1, vcc
	v_lshlrev_b32_e32 v40, 2, v40
	v_add_lshl_u32 v56, v40, v50, 2
	ds_bpermute_b32 v40, v56, v36
	v_cmp_le_u32_e32 vcc, v57, v35
	s_waitcnt lgkmcnt(0)
	s_nop 0
	v_cndmask_b32_e32 v40, 0, v40, vcc
	v_cmp_gt_u32_e32 vcc, 56, v46
	v_add_u32_e32 v36, v36, v40
	s_nop 0
	v_cndmask_b32_e64 v40, 0, 1, vcc
	v_lshlrev_b32_e32 v40, 3, v40
	v_add_lshl_u32 v58, v40, v50, 2
	ds_bpermute_b32 v40, v58, v36
	v_cmp_le_u32_e32 vcc, v59, v35
	s_waitcnt lgkmcnt(0)
	s_nop 0
	;; [unrolled: 11-line block ×4, first 2 shown]
	v_cndmask_b32_e32 v35, 0, v40, vcc
	v_add_u32_e32 v36, v36, v35
	v_mov_b32_e32 v35, 0
	s_branch .LBB1239_360
.LBB1239_359:                           ;   in Loop: Header=BB1239_360 Depth=1
	s_or_b64 exec, exec, s[26:27]
	v_cmp_eq_u16_sdwa s[26:27], v37, v33 src0_sel:BYTE_0 src1_sel:DWORD
	ds_bpermute_b32 v65, v53, v36
	v_subrev_u32_e32 v34, 64, v34
	v_and_b32_e32 v40, s27, v39
	v_or_b32_e32 v40, 0x80000000, v40
	v_and_b32_e32 v41, s26, v38
	v_ffbl_b32_e32 v40, v40
	v_add_u32_e32 v40, 32, v40
	v_ffbl_b32_e32 v41, v41
	v_min_u32_e32 v40, v41, v40
	v_cmp_lt_u32_e32 vcc, v46, v40
	s_waitcnt lgkmcnt(0)
	s_nop 0
	v_cndmask_b32_e32 v41, 0, v65, vcc
	v_add_u32_e32 v36, v41, v36
	ds_bpermute_b32 v41, v54, v36
	v_cmp_le_u32_e32 vcc, v55, v40
	s_waitcnt lgkmcnt(0)
	s_nop 0
	v_cndmask_b32_e32 v41, 0, v41, vcc
	v_add_u32_e32 v36, v36, v41
	ds_bpermute_b32 v41, v56, v36
	v_cmp_le_u32_e32 vcc, v57, v40
	s_waitcnt lgkmcnt(0)
	s_nop 0
	v_cndmask_b32_e32 v41, 0, v41, vcc
	v_add_u32_e32 v36, v36, v41
	ds_bpermute_b32 v41, v58, v36
	v_cmp_le_u32_e32 vcc, v59, v40
	s_waitcnt lgkmcnt(0)
	s_nop 0
	v_cndmask_b32_e32 v41, 0, v41, vcc
	v_add_u32_e32 v36, v36, v41
	ds_bpermute_b32 v41, v61, v36
	v_cmp_le_u32_e32 vcc, v62, v40
	s_waitcnt lgkmcnt(0)
	s_nop 0
	v_cndmask_b32_e32 v41, 0, v41, vcc
	v_add_u32_e32 v36, v36, v41
	ds_bpermute_b32 v41, v63, v36
	v_cmp_le_u32_e32 vcc, v64, v40
	s_waitcnt lgkmcnt(0)
	s_nop 0
	v_cndmask_b32_e32 v40, 0, v41, vcc
	v_add3_u32 v36, v40, v60, v36
.LBB1239_360:                           ; =>This Loop Header: Depth=1
                                        ;     Child Loop BB1239_363 Depth 2
	v_cmp_ne_u16_sdwa s[26:27], v37, v33 src0_sel:BYTE_0 src1_sel:DWORD
	v_mov_b32_e32 v60, v36
	s_nop 0
	v_cndmask_b32_e64 v37, 0, 1, s[26:27]
	;;#ASMSTART
	;;#ASMEND
	s_nop 0
	v_cmp_ne_u32_e32 vcc, 0, v37
	s_cmp_lg_u64 vcc, exec
	s_cbranch_scc1 .LBB1239_365
; %bb.361:                              ;   in Loop: Header=BB1239_360 Depth=1
	v_lshl_add_u64 v[40:41], v[34:35], 3, s[38:39]
	global_load_dwordx2 v[36:37], v[40:41], off sc1
	s_waitcnt vmcnt(0)
	v_cmp_eq_u16_sdwa s[36:37], v37, v35 src0_sel:BYTE_0 src1_sel:DWORD
	s_and_saveexec_b64 s[26:27], s[36:37]
	s_cbranch_execz .LBB1239_359
; %bb.362:                              ;   in Loop: Header=BB1239_360 Depth=1
	s_mov_b64 s[36:37], 0
.LBB1239_363:                           ;   Parent Loop BB1239_360 Depth=1
                                        ; =>  This Inner Loop Header: Depth=2
	global_load_dwordx2 v[36:37], v[40:41], off sc1
	s_waitcnt vmcnt(0)
	v_cmp_ne_u16_sdwa s[40:41], v37, v35 src0_sel:BYTE_0 src1_sel:DWORD
	s_or_b64 s[36:37], s[40:41], s[36:37]
	s_andn2_b64 exec, exec, s[36:37]
	s_cbranch_execnz .LBB1239_363
; %bb.364:                              ;   in Loop: Header=BB1239_360 Depth=1
	s_or_b64 exec, exec, s[36:37]
	s_branch .LBB1239_359
.LBB1239_365:                           ;   in Loop: Header=BB1239_360 Depth=1
                                        ; implicit-def: $vgpr36
                                        ; implicit-def: $vgpr37
	s_cbranch_execz .LBB1239_360
; %bb.366:
	s_and_saveexec_b64 s[26:27], s[16:17]
	s_cbranch_execz .LBB1239_368
; %bb.367:
	s_add_i32 s36, s33, 64
	s_mov_b32 s37, 0
	s_lshl_b64 s[36:37], s[36:37], 3
	s_add_u32 s36, s38, s36
	v_add_u32_e32 v34, v60, v32
	v_mov_b32_e32 v35, 2
	s_addc_u32 s37, s39, s37
	v_mov_b32_e32 v33, 0
	s_movk_i32 s33, 0x7000
	global_store_dwordx2 v33, v[34:35], s[36:37] sc1
	v_add_u32_e64 v33, s33, 0
	ds_write2_b32 v33, v32, v60 offset1:2
.LBB1239_368:
	s_or_b64 exec, exec, s[26:27]
	s_and_b64 exec, exec, s[18:19]
	s_cbranch_execz .LBB1239_370
; %bb.369:
	v_mov_b32_e32 v32, 0
	ds_write_b32 v32, v60 offset:28
.LBB1239_370:
	s_or_b64 exec, exec, s[0:1]
	v_mov_b32_e32 v32, 0
	s_waitcnt lgkmcnt(0)
	s_barrier
	ds_read_b32 v32, v32 offset:28
	v_cndmask_b32_e64 v33, v44, v42, s[16:17]
	v_cndmask_b32_e64 v33, v33, 0, s[18:19]
	s_movk_i32 s0, 0x7000
	s_waitcnt lgkmcnt(0)
	v_add_u32_e32 v46, v32, v33
	v_add_u32_e64 v32, s0, 0
	v_add_u32_e32 v44, v46, v1
	s_barrier
	ds_read2_b32 v[32:33], v32 offset1:2
	v_add_u32_e32 v42, v44, v43
	v_add_u32_e32 v40, v42, v45
	;; [unrolled: 1-line block ×5, first 2 shown]
	s_waitcnt lgkmcnt(0)
	v_readfirstlane_b32 s26, v32
	v_readfirstlane_b32 s16, v33
	v_lshrrev_b64 v[32:33], 24, v[30:31]
	s_branch .LBB1239_381
.LBB1239_371:
                                        ; implicit-def: $vgpr34
                                        ; implicit-def: $vgpr36
                                        ; implicit-def: $vgpr38
                                        ; implicit-def: $vgpr40
                                        ; implicit-def: $vgpr42
                                        ; implicit-def: $vgpr44
                                        ; implicit-def: $vgpr46
                                        ; implicit-def: $sgpr16
                                        ; implicit-def: $sgpr26
	v_lshrrev_b64 v[32:33], 24, v[30:31]
	s_cbranch_execz .LBB1239_381
; %bb.372:
	s_nop 0
	v_mov_b32_dpp v33, v52 row_shr:1 row_mask:0xf bank_mask:0xf
	v_cndmask_b32_e64 v33, v33, 0, s[14:15]
	v_add_u32_e32 v33, v33, v52
	s_nop 1
	v_mov_b32_dpp v34, v33 row_shr:2 row_mask:0xf bank_mask:0xf
	v_cndmask_b32_e64 v34, 0, v34, s[12:13]
	v_add_u32_e32 v33, v33, v34
	;; [unrolled: 4-line block ×4, first 2 shown]
	s_nop 1
	v_mov_b32_dpp v34, v33 row_bcast:15 row_mask:0xf bank_mask:0xf
	v_cndmask_b32_e64 v34, v34, 0, s[6:7]
	v_add_u32_e32 v33, v33, v34
	s_nop 1
	v_mov_b32_dpp v34, v33 row_bcast:31 row_mask:0xf bank_mask:0xf
	v_cndmask_b32_e64 v34, 0, v34, s[2:3]
	v_add_u32_e32 v33, v33, v34
	s_and_saveexec_b64 s[0:1], s[4:5]
	s_cbranch_execz .LBB1239_374
; %bb.373:
	v_lshlrev_b32_e32 v34, 2, v51
	ds_write_b32 v34, v33
.LBB1239_374:
	s_or_b64 exec, exec, s[0:1]
	v_cmp_gt_u32_e32 vcc, 8, v0
	s_waitcnt lgkmcnt(0)
	s_barrier
	s_and_saveexec_b64 s[0:1], vcc
	s_cbranch_execz .LBB1239_376
; %bb.375:
	v_lshlrev_b32_e32 v34, 2, v0
	ds_read_b32 v35, v34
	v_and_b32_e32 v36, 7, v50
	v_cmp_ne_u32_e32 vcc, 0, v36
	s_waitcnt lgkmcnt(0)
	v_mov_b32_dpp v37, v35 row_shr:1 row_mask:0xf bank_mask:0xf
	v_cndmask_b32_e32 v37, 0, v37, vcc
	v_add_u32_e32 v35, v37, v35
	v_cmp_lt_u32_e32 vcc, 1, v36
	s_nop 0
	v_mov_b32_dpp v37, v35 row_shr:2 row_mask:0xf bank_mask:0xf
	v_cndmask_b32_e32 v37, 0, v37, vcc
	v_add_u32_e32 v35, v35, v37
	v_cmp_lt_u32_e32 vcc, 3, v36
	s_nop 0
	v_mov_b32_dpp v37, v35 row_shr:4 row_mask:0xf bank_mask:0xf
	v_cndmask_b32_e32 v36, 0, v37, vcc
	v_add_u32_e32 v35, v35, v36
	ds_write_b32 v34, v35
.LBB1239_376:
	s_or_b64 exec, exec, s[0:1]
	v_cmp_lt_u32_e32 vcc, 63, v0
	v_mov_b32_e32 v35, 0
	v_mov_b32_e32 v34, 0
	s_waitcnt lgkmcnt(0)
	s_barrier
	s_and_saveexec_b64 s[0:1], vcc
	s_cbranch_execz .LBB1239_378
; %bb.377:
	v_lshl_add_u32 v34, v51, 2, -4
	ds_read_b32 v34, v34
.LBB1239_378:
	s_or_b64 exec, exec, s[0:1]
	v_add_u32_e32 v36, -1, v50
	v_and_b32_e32 v37, 64, v50
	v_cmp_lt_i32_e32 vcc, v36, v37
	s_waitcnt lgkmcnt(0)
	v_add_u32_e32 v33, v34, v33
	ds_read_b32 v35, v35 offset:28
	v_cndmask_b32_e32 v36, v36, v50, vcc
	v_lshlrev_b32_e32 v36, 2, v36
	ds_bpermute_b32 v33, v36, v33
	s_waitcnt lgkmcnt(1)
	v_readfirstlane_b32 s26, v35
	s_and_saveexec_b64 s[0:1], s[18:19]
	s_cbranch_execz .LBB1239_380
; %bb.379:
	v_mov_b32_e32 v35, 0
	v_mov_b32_e32 v36, s26
	;; [unrolled: 1-line block ×3, first 2 shown]
	global_store_dwordx2 v35, v[36:37], s[38:39] offset:512 sc1
.LBB1239_380:
	s_or_b64 exec, exec, s[0:1]
	v_cmp_eq_u32_e32 vcc, 0, v50
	s_mov_b32 s16, 0
	s_waitcnt lgkmcnt(0)
	v_cndmask_b32_e32 v33, v33, v34, vcc
	v_cndmask_b32_e64 v46, v33, 0, s[18:19]
	v_add_u32_e32 v44, v46, v1
	v_add_u32_e32 v42, v44, v43
	;; [unrolled: 1-line block ×6, first 2 shown]
	s_barrier
.LBB1239_381:
	s_cmpk_lt_u32 s26, 0x201
	s_cselect_b64 s[2:3], -1, 0
	v_lshrrev_b32_e32 v33, 8, v30
	v_lshrrev_b32_e32 v1, 8, v31
	s_mov_b64 s[0:1], -1
	s_and_b64 vcc, exec, s[2:3]
	s_cbranch_vccz .LBB1239_404
; %bb.382:
	s_add_i32 s4, s16, s26
	v_cmp_gt_u32_e32 vcc, s4, v46
	s_or_b64 s[6:7], s[34:35], vcc
	s_and_saveexec_b64 s[0:1], s[6:7]
	s_cbranch_execz .LBB1239_385
; %bb.383:
	v_and_b32_e32 v35, 1, v30
	v_cmp_eq_u32_e32 vcc, 1, v35
	s_and_b64 exec, exec, vcc
	s_cbranch_execz .LBB1239_385
; %bb.384:
	s_lshl_b64 s[6:7], s[22:23], 3
	s_add_u32 s6, s28, s6
	s_addc_u32 s7, s29, s7
	v_mov_b32_e32 v47, 0
	v_lshl_add_u64 v[48:49], v[46:47], 3, s[6:7]
	global_store_dwordx2 v[48:49], v[22:23], off
.LBB1239_385:
	s_or_b64 exec, exec, s[0:1]
	v_cmp_gt_u32_e32 vcc, s4, v44
	s_or_b64 s[6:7], s[34:35], vcc
	s_and_saveexec_b64 s[0:1], s[6:7]
	s_cbranch_execz .LBB1239_388
; %bb.386:
	v_and_b32_e32 v35, 1, v33
	v_cmp_eq_u32_e32 vcc, 1, v35
	s_and_b64 exec, exec, vcc
	s_cbranch_execz .LBB1239_388
; %bb.387:
	s_lshl_b64 s[6:7], s[22:23], 3
	s_add_u32 s6, s28, s6
	s_addc_u32 s7, s29, s7
	v_mov_b32_e32 v45, 0
	v_lshl_add_u64 v[48:49], v[44:45], 3, s[6:7]
	global_store_dwordx2 v[48:49], v[24:25], off
.LBB1239_388:
	s_or_b64 exec, exec, s[0:1]
	v_cmp_gt_u32_e32 vcc, s4, v42
	s_or_b64 s[6:7], s[34:35], vcc
	s_and_saveexec_b64 s[0:1], s[6:7]
	s_cbranch_execz .LBB1239_391
; %bb.389:
	v_mov_b32_e32 v35, 1
	v_and_b32_sdwa v35, v35, v30 dst_sel:DWORD dst_unused:UNUSED_PAD src0_sel:DWORD src1_sel:WORD_1
	v_cmp_eq_u32_e32 vcc, 1, v35
	s_and_b64 exec, exec, vcc
	s_cbranch_execz .LBB1239_391
; %bb.390:
	s_lshl_b64 s[6:7], s[22:23], 3
	s_add_u32 s6, s28, s6
	s_addc_u32 s7, s29, s7
	v_mov_b32_e32 v43, 0
	v_lshl_add_u64 v[48:49], v[42:43], 3, s[6:7]
	global_store_dwordx2 v[48:49], v[18:19], off
.LBB1239_391:
	s_or_b64 exec, exec, s[0:1]
	v_cmp_gt_u32_e32 vcc, s4, v40
	s_or_b64 s[6:7], s[34:35], vcc
	s_and_saveexec_b64 s[0:1], s[6:7]
	s_cbranch_execz .LBB1239_394
; %bb.392:
	v_and_b32_e32 v35, 1, v32
	v_cmp_eq_u32_e32 vcc, 1, v35
	s_and_b64 exec, exec, vcc
	s_cbranch_execz .LBB1239_394
; %bb.393:
	s_lshl_b64 s[6:7], s[22:23], 3
	s_add_u32 s6, s28, s6
	s_addc_u32 s7, s29, s7
	v_mov_b32_e32 v41, 0
	v_lshl_add_u64 v[48:49], v[40:41], 3, s[6:7]
	global_store_dwordx2 v[48:49], v[20:21], off
.LBB1239_394:
	s_or_b64 exec, exec, s[0:1]
	v_cmp_gt_u32_e32 vcc, s4, v38
	s_or_b64 s[6:7], s[34:35], vcc
	s_and_saveexec_b64 s[0:1], s[6:7]
	s_cbranch_execz .LBB1239_397
; %bb.395:
	v_and_b32_e32 v35, 1, v31
	v_cmp_eq_u32_e32 vcc, 1, v35
	s_and_b64 exec, exec, vcc
	s_cbranch_execz .LBB1239_397
; %bb.396:
	s_lshl_b64 s[6:7], s[22:23], 3
	s_add_u32 s6, s28, s6
	s_addc_u32 s7, s29, s7
	v_mov_b32_e32 v39, 0
	v_lshl_add_u64 v[48:49], v[38:39], 3, s[6:7]
	global_store_dwordx2 v[48:49], v[14:15], off
.LBB1239_397:
	;; [unrolled: 18-line block ×3, first 2 shown]
	s_or_b64 exec, exec, s[0:1]
	v_cmp_gt_u32_e32 vcc, s4, v34
	s_or_b64 s[4:5], s[34:35], vcc
	s_and_saveexec_b64 s[0:1], s[4:5]
	s_cbranch_execz .LBB1239_403
; %bb.401:
	v_mov_b32_e32 v35, 1
	v_and_b32_sdwa v35, v35, v31 dst_sel:DWORD dst_unused:UNUSED_PAD src0_sel:DWORD src1_sel:WORD_1
	v_cmp_eq_u32_e32 vcc, 1, v35
	s_and_b64 exec, exec, vcc
	s_cbranch_execz .LBB1239_403
; %bb.402:
	s_lshl_b64 s[4:5], s[22:23], 3
	s_add_u32 s4, s28, s4
	s_addc_u32 s5, s29, s5
	v_mov_b32_e32 v35, 0
	v_lshl_add_u64 v[48:49], v[34:35], 3, s[4:5]
	global_store_dwordx2 v[48:49], v[28:29], off
.LBB1239_403:
	s_or_b64 exec, exec, s[0:1]
	s_mov_b64 s[0:1], 0
.LBB1239_404:
	v_and_b32_e32 v48, 1, v30
	s_and_b64 vcc, exec, s[0:1]
	v_cmp_eq_u32_e64 s[0:1], 1, v48
	s_cbranch_vccz .LBB1239_423
; %bb.405:
	s_and_saveexec_b64 s[4:5], s[0:1]
	s_cbranch_execz .LBB1239_407
; %bb.406:
	v_subrev_u32_e32 v35, s16, v46
	v_lshlrev_b32_e32 v35, 3, v35
	ds_write_b64 v35, v[22:23]
.LBB1239_407:
	s_or_b64 exec, exec, s[4:5]
	v_and_b32_e32 v22, 1, v33
	v_cmp_eq_u32_e32 vcc, 1, v22
	s_and_saveexec_b64 s[0:1], vcc
	s_cbranch_execz .LBB1239_409
; %bb.408:
	v_subrev_u32_e32 v22, s16, v44
	v_lshlrev_b32_e32 v22, 3, v22
	ds_write_b64 v22, v[24:25]
.LBB1239_409:
	s_or_b64 exec, exec, s[0:1]
	v_mov_b32_e32 v22, 1
	v_and_b32_sdwa v22, v22, v30 dst_sel:DWORD dst_unused:UNUSED_PAD src0_sel:DWORD src1_sel:WORD_1
	v_cmp_eq_u32_e32 vcc, 1, v22
	s_and_saveexec_b64 s[0:1], vcc
	s_cbranch_execz .LBB1239_411
; %bb.410:
	v_subrev_u32_e32 v22, s16, v42
	v_lshlrev_b32_e32 v22, 3, v22
	ds_write_b64 v22, v[18:19]
.LBB1239_411:
	s_or_b64 exec, exec, s[0:1]
	v_and_b32_e32 v18, 1, v32
	v_cmp_eq_u32_e32 vcc, 1, v18
	s_and_saveexec_b64 s[0:1], vcc
	s_cbranch_execz .LBB1239_413
; %bb.412:
	v_subrev_u32_e32 v18, s16, v40
	v_lshlrev_b32_e32 v18, 3, v18
	ds_write_b64 v18, v[20:21]
.LBB1239_413:
	s_or_b64 exec, exec, s[0:1]
	v_and_b32_e32 v18, 1, v31
	;; [unrolled: 10-line block ×3, first 2 shown]
	v_cmp_eq_u32_e32 vcc, 1, v14
	s_and_saveexec_b64 s[0:1], vcc
	s_cbranch_execz .LBB1239_417
; %bb.416:
	v_subrev_u32_e32 v14, s16, v36
	v_lshlrev_b32_e32 v14, 3, v14
	ds_write_b64 v14, v[16:17]
.LBB1239_417:
	s_or_b64 exec, exec, s[0:1]
	v_mov_b32_e32 v14, 1
	v_and_b32_sdwa v14, v14, v31 dst_sel:DWORD dst_unused:UNUSED_PAD src0_sel:DWORD src1_sel:WORD_1
	v_cmp_eq_u32_e32 vcc, 1, v14
	s_and_saveexec_b64 s[0:1], vcc
	s_cbranch_execz .LBB1239_419
; %bb.418:
	v_subrev_u32_e32 v14, s16, v34
	v_lshlrev_b32_e32 v14, 3, v14
	ds_write_b64 v14, v[28:29]
.LBB1239_419:
	s_or_b64 exec, exec, s[0:1]
	v_cmp_gt_u32_e32 vcc, s26, v0
	s_waitcnt lgkmcnt(0)
	s_barrier
	s_and_saveexec_b64 s[0:1], vcc
	s_cbranch_execz .LBB1239_422
; %bb.420:
	s_mov_b32 s17, 0
	s_lshl_b64 s[4:5], s[22:23], 3
	s_lshl_b64 s[6:7], s[16:17], 3
	s_add_u32 s4, s4, s6
	s_addc_u32 s5, s5, s7
	s_add_u32 s4, s28, s4
	v_lshlrev_b32_e32 v14, 3, v0
	v_mov_b32_e32 v15, 0
	s_addc_u32 s5, s29, s5
	v_lshl_add_u64 v[16:17], s[4:5], 0, v[14:15]
	s_mov_b64 s[4:5], 0
	s_mov_b64 s[6:7], 0x1000
	v_mov_b32_e32 v15, v0
.LBB1239_421:                           ; =>This Inner Loop Header: Depth=1
	ds_read_b64 v[18:19], v14
	v_add_u32_e32 v15, 0x200, v15
	v_cmp_le_u32_e32 vcc, s26, v15
	v_add_u32_e32 v14, 0x1000, v14
	s_or_b64 s[4:5], vcc, s[4:5]
	s_waitcnt lgkmcnt(0)
	global_store_dwordx2 v[16:17], v[18:19], off
	v_lshl_add_u64 v[16:17], v[16:17], 0, s[6:7]
	s_andn2_b64 exec, exec, s[4:5]
	s_cbranch_execnz .LBB1239_421
.LBB1239_422:
	s_or_b64 exec, exec, s[0:1]
.LBB1239_423:
	s_mov_b64 s[0:1], -1
	s_and_b64 vcc, exec, s[2:3]
	s_barrier
	s_cbranch_vccnz .LBB1239_427
; %bb.424:
	s_and_b64 vcc, exec, s[0:1]
	s_cbranch_vccnz .LBB1239_449
.LBB1239_425:
	s_and_b64 s[0:1], s[18:19], s[24:25]
	s_and_saveexec_b64 s[2:3], s[0:1]
	s_cbranch_execnz .LBB1239_467
.LBB1239_426:
	s_endpgm
.LBB1239_427:
	s_add_i32 s2, s16, s26
	v_cmp_gt_u32_e32 vcc, s2, v46
	s_or_b64 s[4:5], s[34:35], vcc
	s_and_saveexec_b64 s[0:1], s[4:5]
	s_cbranch_execz .LBB1239_430
; %bb.428:
	v_cmp_eq_u32_e32 vcc, 1, v48
	s_and_b64 exec, exec, vcc
	s_cbranch_execz .LBB1239_430
; %bb.429:
	s_lshl_b64 s[4:5], s[22:23], 3
	s_add_u32 s4, s30, s4
	s_addc_u32 s5, s31, s5
	v_mov_b32_e32 v47, 0
	v_lshl_add_u64 v[14:15], v[46:47], 3, s[4:5]
	global_store_dwordx2 v[14:15], v[10:11], off
.LBB1239_430:
	s_or_b64 exec, exec, s[0:1]
	v_cmp_gt_u32_e32 vcc, s2, v44
	s_or_b64 s[4:5], s[34:35], vcc
	s_and_saveexec_b64 s[0:1], s[4:5]
	s_cbranch_execz .LBB1239_433
; %bb.431:
	v_and_b32_e32 v14, 1, v33
	v_cmp_eq_u32_e32 vcc, 1, v14
	s_and_b64 exec, exec, vcc
	s_cbranch_execz .LBB1239_433
; %bb.432:
	s_lshl_b64 s[4:5], s[22:23], 3
	s_add_u32 s4, s30, s4
	s_addc_u32 s5, s31, s5
	v_mov_b32_e32 v45, 0
	v_lshl_add_u64 v[14:15], v[44:45], 3, s[4:5]
	global_store_dwordx2 v[14:15], v[12:13], off
.LBB1239_433:
	s_or_b64 exec, exec, s[0:1]
	v_cmp_gt_u32_e32 vcc, s2, v42
	s_or_b64 s[4:5], s[34:35], vcc
	s_and_saveexec_b64 s[0:1], s[4:5]
	s_cbranch_execz .LBB1239_436
; %bb.434:
	v_mov_b32_e32 v14, 1
	v_and_b32_sdwa v14, v14, v30 dst_sel:DWORD dst_unused:UNUSED_PAD src0_sel:DWORD src1_sel:WORD_1
	v_cmp_eq_u32_e32 vcc, 1, v14
	s_and_b64 exec, exec, vcc
	s_cbranch_execz .LBB1239_436
; %bb.435:
	s_lshl_b64 s[4:5], s[22:23], 3
	s_add_u32 s4, s30, s4
	s_addc_u32 s5, s31, s5
	v_mov_b32_e32 v43, 0
	v_lshl_add_u64 v[14:15], v[42:43], 3, s[4:5]
	global_store_dwordx2 v[14:15], v[6:7], off
.LBB1239_436:
	s_or_b64 exec, exec, s[0:1]
	v_cmp_gt_u32_e32 vcc, s2, v40
	s_or_b64 s[4:5], s[34:35], vcc
	s_and_saveexec_b64 s[0:1], s[4:5]
	s_cbranch_execz .LBB1239_439
; %bb.437:
	v_and_b32_e32 v14, 1, v32
	v_cmp_eq_u32_e32 vcc, 1, v14
	s_and_b64 exec, exec, vcc
	s_cbranch_execz .LBB1239_439
; %bb.438:
	s_lshl_b64 s[4:5], s[22:23], 3
	s_add_u32 s4, s30, s4
	s_addc_u32 s5, s31, s5
	v_mov_b32_e32 v41, 0
	v_lshl_add_u64 v[14:15], v[40:41], 3, s[4:5]
	global_store_dwordx2 v[14:15], v[8:9], off
.LBB1239_439:
	s_or_b64 exec, exec, s[0:1]
	v_cmp_gt_u32_e32 vcc, s2, v38
	s_or_b64 s[4:5], s[34:35], vcc
	s_and_saveexec_b64 s[0:1], s[4:5]
	s_cbranch_execz .LBB1239_442
; %bb.440:
	v_and_b32_e32 v14, 1, v31
	v_cmp_eq_u32_e32 vcc, 1, v14
	s_and_b64 exec, exec, vcc
	s_cbranch_execz .LBB1239_442
; %bb.441:
	s_lshl_b64 s[4:5], s[22:23], 3
	s_add_u32 s4, s30, s4
	s_addc_u32 s5, s31, s5
	v_mov_b32_e32 v39, 0
	v_lshl_add_u64 v[14:15], v[38:39], 3, s[4:5]
	global_store_dwordx2 v[14:15], v[2:3], off
.LBB1239_442:
	;; [unrolled: 18-line block ×3, first 2 shown]
	s_or_b64 exec, exec, s[0:1]
	v_cmp_gt_u32_e32 vcc, s2, v34
	s_or_b64 s[2:3], s[34:35], vcc
	s_and_saveexec_b64 s[0:1], s[2:3]
	s_cbranch_execz .LBB1239_448
; %bb.446:
	v_mov_b32_e32 v14, 1
	v_and_b32_sdwa v14, v14, v31 dst_sel:DWORD dst_unused:UNUSED_PAD src0_sel:DWORD src1_sel:WORD_1
	v_cmp_eq_u32_e32 vcc, 1, v14
	s_and_b64 exec, exec, vcc
	s_cbranch_execz .LBB1239_448
; %bb.447:
	s_lshl_b64 s[2:3], s[22:23], 3
	s_add_u32 s2, s30, s2
	s_addc_u32 s3, s31, s3
	v_mov_b32_e32 v35, 0
	v_lshl_add_u64 v[14:15], v[34:35], 3, s[2:3]
	global_store_dwordx2 v[14:15], v[26:27], off
.LBB1239_448:
	s_or_b64 exec, exec, s[0:1]
	s_branch .LBB1239_425
.LBB1239_449:
	v_cmp_eq_u32_e32 vcc, 1, v48
	s_and_saveexec_b64 s[0:1], vcc
	s_cbranch_execz .LBB1239_451
; %bb.450:
	v_subrev_u32_e32 v14, s16, v46
	v_lshlrev_b32_e32 v14, 3, v14
	ds_write_b64 v14, v[10:11]
.LBB1239_451:
	s_or_b64 exec, exec, s[0:1]
	v_and_b32_e32 v10, 1, v33
	v_cmp_eq_u32_e32 vcc, 1, v10
	s_and_saveexec_b64 s[0:1], vcc
	s_cbranch_execz .LBB1239_453
; %bb.452:
	v_subrev_u32_e32 v10, s16, v44
	v_lshlrev_b32_e32 v10, 3, v10
	ds_write_b64 v10, v[12:13]
.LBB1239_453:
	s_or_b64 exec, exec, s[0:1]
	v_mov_b32_e32 v10, 1
	v_and_b32_sdwa v10, v10, v30 dst_sel:DWORD dst_unused:UNUSED_PAD src0_sel:DWORD src1_sel:WORD_1
	v_cmp_eq_u32_e32 vcc, 1, v10
	s_and_saveexec_b64 s[0:1], vcc
	s_cbranch_execz .LBB1239_455
; %bb.454:
	v_subrev_u32_e32 v10, s16, v42
	v_lshlrev_b32_e32 v10, 3, v10
	ds_write_b64 v10, v[6:7]
.LBB1239_455:
	s_or_b64 exec, exec, s[0:1]
	v_and_b32_e32 v6, 1, v32
	v_cmp_eq_u32_e32 vcc, 1, v6
	s_and_saveexec_b64 s[0:1], vcc
	s_cbranch_execz .LBB1239_457
; %bb.456:
	v_subrev_u32_e32 v6, s16, v40
	v_lshlrev_b32_e32 v6, 3, v6
	ds_write_b64 v6, v[8:9]
.LBB1239_457:
	s_or_b64 exec, exec, s[0:1]
	v_and_b32_e32 v6, 1, v31
	;; [unrolled: 10-line block ×3, first 2 shown]
	v_cmp_eq_u32_e32 vcc, 1, v1
	s_and_saveexec_b64 s[0:1], vcc
	s_cbranch_execz .LBB1239_461
; %bb.460:
	v_subrev_u32_e32 v1, s16, v36
	v_lshlrev_b32_e32 v1, 3, v1
	ds_write_b64 v1, v[4:5]
.LBB1239_461:
	s_or_b64 exec, exec, s[0:1]
	v_mov_b32_e32 v1, 1
	v_and_b32_sdwa v1, v1, v31 dst_sel:DWORD dst_unused:UNUSED_PAD src0_sel:DWORD src1_sel:WORD_1
	v_cmp_eq_u32_e32 vcc, 1, v1
	s_and_saveexec_b64 s[0:1], vcc
	s_cbranch_execz .LBB1239_463
; %bb.462:
	v_subrev_u32_e32 v1, s16, v34
	v_lshlrev_b32_e32 v1, 3, v1
	ds_write_b64 v1, v[26:27]
.LBB1239_463:
	s_or_b64 exec, exec, s[0:1]
	v_cmp_gt_u32_e32 vcc, s26, v0
	s_waitcnt lgkmcnt(0)
	s_barrier
	s_and_saveexec_b64 s[0:1], vcc
	s_cbranch_execz .LBB1239_466
; %bb.464:
	s_mov_b32 s17, 0
	s_lshl_b64 s[2:3], s[22:23], 3
	s_lshl_b64 s[4:5], s[16:17], 3
	s_add_u32 s2, s2, s4
	s_addc_u32 s3, s3, s5
	s_add_u32 s2, s30, s2
	v_lshlrev_b32_e32 v2, 3, v0
	v_mov_b32_e32 v3, 0
	s_addc_u32 s3, s31, s3
	v_lshl_add_u64 v[4:5], s[2:3], 0, v[2:3]
	s_mov_b64 s[2:3], 0
	s_mov_b64 s[4:5], 0x1000
.LBB1239_465:                           ; =>This Inner Loop Header: Depth=1
	ds_read_b64 v[6:7], v2
	v_add_u32_e32 v0, 0x200, v0
	v_cmp_le_u32_e32 vcc, s26, v0
	v_add_u32_e32 v2, 0x1000, v2
	s_or_b64 s[2:3], vcc, s[2:3]
	s_waitcnt lgkmcnt(0)
	global_store_dwordx2 v[4:5], v[6:7], off
	v_lshl_add_u64 v[4:5], v[4:5], 0, s[4:5]
	s_andn2_b64 exec, exec, s[2:3]
	s_cbranch_execnz .LBB1239_465
.LBB1239_466:
	s_or_b64 exec, exec, s[0:1]
	s_and_b64 s[0:1], s[18:19], s[24:25]
	s_and_saveexec_b64 s[2:3], s[0:1]
	s_cbranch_execz .LBB1239_426
.LBB1239_467:
	s_add_u32 s0, s22, s26
	s_addc_u32 s1, s23, 0
	s_add_u32 s0, s0, s16
	s_addc_u32 s1, s1, 0
	v_mov_b32_e32 v2, 0
	v_mov_b64_e32 v[0:1], s[0:1]
	global_store_dwordx2 v2, v[0:1], s[20:21]
	s_endpgm
	.section	.rodata,"a",@progbits
	.p2align	6, 0x0
	.amdhsa_kernel _ZN7rocprim17ROCPRIM_400000_NS6detail17trampoline_kernelINS0_14default_configENS1_25partition_config_selectorILNS1_17partition_subalgoE9EllbEEZZNS1_14partition_implILS5_9ELb0ES3_jPlS8_PNS0_10empty_typeENS0_5tupleIJS8_S9_EEENSB_IJS8_SA_EEENS0_18inequality_wrapperIZN2at6native12_GLOBAL__N_124unique_dim_cuda_templateIN3c108BFloat16EEESt5tupleIJNSF_6TensorESM_SM_EERKSM_lbbbEUlllE0_EEPmJS9_EEE10hipError_tPvRmT3_T4_T5_T6_T7_T9_mT8_P12ihipStream_tbDpT10_ENKUlT_T0_E_clISt17integral_constantIbLb0EES1B_IbLb1EEEEDaS17_S18_EUlS17_E_NS1_11comp_targetILNS1_3genE5ELNS1_11target_archE942ELNS1_3gpuE9ELNS1_3repE0EEENS1_30default_config_static_selectorELNS0_4arch9wavefront6targetE1EEEvT1_
		.amdhsa_group_segment_fixed_size 28684
		.amdhsa_private_segment_fixed_size 0
		.amdhsa_kernarg_size 136
		.amdhsa_user_sgpr_count 2
		.amdhsa_user_sgpr_dispatch_ptr 0
		.amdhsa_user_sgpr_queue_ptr 0
		.amdhsa_user_sgpr_kernarg_segment_ptr 1
		.amdhsa_user_sgpr_dispatch_id 0
		.amdhsa_user_sgpr_kernarg_preload_length 0
		.amdhsa_user_sgpr_kernarg_preload_offset 0
		.amdhsa_user_sgpr_private_segment_size 0
		.amdhsa_uses_dynamic_stack 0
		.amdhsa_enable_private_segment 0
		.amdhsa_system_sgpr_workgroup_id_x 1
		.amdhsa_system_sgpr_workgroup_id_y 0
		.amdhsa_system_sgpr_workgroup_id_z 0
		.amdhsa_system_sgpr_workgroup_info 0
		.amdhsa_system_vgpr_workitem_id 0
		.amdhsa_next_free_vgpr 66
		.amdhsa_next_free_sgpr 58
		.amdhsa_accum_offset 68
		.amdhsa_reserve_vcc 1
		.amdhsa_float_round_mode_32 0
		.amdhsa_float_round_mode_16_64 0
		.amdhsa_float_denorm_mode_32 3
		.amdhsa_float_denorm_mode_16_64 3
		.amdhsa_dx10_clamp 1
		.amdhsa_ieee_mode 1
		.amdhsa_fp16_overflow 0
		.amdhsa_tg_split 0
		.amdhsa_exception_fp_ieee_invalid_op 0
		.amdhsa_exception_fp_denorm_src 0
		.amdhsa_exception_fp_ieee_div_zero 0
		.amdhsa_exception_fp_ieee_overflow 0
		.amdhsa_exception_fp_ieee_underflow 0
		.amdhsa_exception_fp_ieee_inexact 0
		.amdhsa_exception_int_div_zero 0
	.end_amdhsa_kernel
	.section	.text._ZN7rocprim17ROCPRIM_400000_NS6detail17trampoline_kernelINS0_14default_configENS1_25partition_config_selectorILNS1_17partition_subalgoE9EllbEEZZNS1_14partition_implILS5_9ELb0ES3_jPlS8_PNS0_10empty_typeENS0_5tupleIJS8_S9_EEENSB_IJS8_SA_EEENS0_18inequality_wrapperIZN2at6native12_GLOBAL__N_124unique_dim_cuda_templateIN3c108BFloat16EEESt5tupleIJNSF_6TensorESM_SM_EERKSM_lbbbEUlllE0_EEPmJS9_EEE10hipError_tPvRmT3_T4_T5_T6_T7_T9_mT8_P12ihipStream_tbDpT10_ENKUlT_T0_E_clISt17integral_constantIbLb0EES1B_IbLb1EEEEDaS17_S18_EUlS17_E_NS1_11comp_targetILNS1_3genE5ELNS1_11target_archE942ELNS1_3gpuE9ELNS1_3repE0EEENS1_30default_config_static_selectorELNS0_4arch9wavefront6targetE1EEEvT1_,"axG",@progbits,_ZN7rocprim17ROCPRIM_400000_NS6detail17trampoline_kernelINS0_14default_configENS1_25partition_config_selectorILNS1_17partition_subalgoE9EllbEEZZNS1_14partition_implILS5_9ELb0ES3_jPlS8_PNS0_10empty_typeENS0_5tupleIJS8_S9_EEENSB_IJS8_SA_EEENS0_18inequality_wrapperIZN2at6native12_GLOBAL__N_124unique_dim_cuda_templateIN3c108BFloat16EEESt5tupleIJNSF_6TensorESM_SM_EERKSM_lbbbEUlllE0_EEPmJS9_EEE10hipError_tPvRmT3_T4_T5_T6_T7_T9_mT8_P12ihipStream_tbDpT10_ENKUlT_T0_E_clISt17integral_constantIbLb0EES1B_IbLb1EEEEDaS17_S18_EUlS17_E_NS1_11comp_targetILNS1_3genE5ELNS1_11target_archE942ELNS1_3gpuE9ELNS1_3repE0EEENS1_30default_config_static_selectorELNS0_4arch9wavefront6targetE1EEEvT1_,comdat
.Lfunc_end1239:
	.size	_ZN7rocprim17ROCPRIM_400000_NS6detail17trampoline_kernelINS0_14default_configENS1_25partition_config_selectorILNS1_17partition_subalgoE9EllbEEZZNS1_14partition_implILS5_9ELb0ES3_jPlS8_PNS0_10empty_typeENS0_5tupleIJS8_S9_EEENSB_IJS8_SA_EEENS0_18inequality_wrapperIZN2at6native12_GLOBAL__N_124unique_dim_cuda_templateIN3c108BFloat16EEESt5tupleIJNSF_6TensorESM_SM_EERKSM_lbbbEUlllE0_EEPmJS9_EEE10hipError_tPvRmT3_T4_T5_T6_T7_T9_mT8_P12ihipStream_tbDpT10_ENKUlT_T0_E_clISt17integral_constantIbLb0EES1B_IbLb1EEEEDaS17_S18_EUlS17_E_NS1_11comp_targetILNS1_3genE5ELNS1_11target_archE942ELNS1_3gpuE9ELNS1_3repE0EEENS1_30default_config_static_selectorELNS0_4arch9wavefront6targetE1EEEvT1_, .Lfunc_end1239-_ZN7rocprim17ROCPRIM_400000_NS6detail17trampoline_kernelINS0_14default_configENS1_25partition_config_selectorILNS1_17partition_subalgoE9EllbEEZZNS1_14partition_implILS5_9ELb0ES3_jPlS8_PNS0_10empty_typeENS0_5tupleIJS8_S9_EEENSB_IJS8_SA_EEENS0_18inequality_wrapperIZN2at6native12_GLOBAL__N_124unique_dim_cuda_templateIN3c108BFloat16EEESt5tupleIJNSF_6TensorESM_SM_EERKSM_lbbbEUlllE0_EEPmJS9_EEE10hipError_tPvRmT3_T4_T5_T6_T7_T9_mT8_P12ihipStream_tbDpT10_ENKUlT_T0_E_clISt17integral_constantIbLb0EES1B_IbLb1EEEEDaS17_S18_EUlS17_E_NS1_11comp_targetILNS1_3genE5ELNS1_11target_archE942ELNS1_3gpuE9ELNS1_3repE0EEENS1_30default_config_static_selectorELNS0_4arch9wavefront6targetE1EEEvT1_
                                        ; -- End function
	.section	.AMDGPU.csdata,"",@progbits
; Kernel info:
; codeLenInByte = 15156
; NumSgprs: 64
; NumVgprs: 66
; NumAgprs: 0
; TotalNumVgprs: 66
; ScratchSize: 0
; MemoryBound: 0
; FloatMode: 240
; IeeeMode: 1
; LDSByteSize: 28684 bytes/workgroup (compile time only)
; SGPRBlocks: 7
; VGPRBlocks: 8
; NumSGPRsForWavesPerEU: 64
; NumVGPRsForWavesPerEU: 66
; AccumOffset: 68
; Occupancy: 4
; WaveLimiterHint : 1
; COMPUTE_PGM_RSRC2:SCRATCH_EN: 0
; COMPUTE_PGM_RSRC2:USER_SGPR: 2
; COMPUTE_PGM_RSRC2:TRAP_HANDLER: 0
; COMPUTE_PGM_RSRC2:TGID_X_EN: 1
; COMPUTE_PGM_RSRC2:TGID_Y_EN: 0
; COMPUTE_PGM_RSRC2:TGID_Z_EN: 0
; COMPUTE_PGM_RSRC2:TIDIG_COMP_CNT: 0
; COMPUTE_PGM_RSRC3_GFX90A:ACCUM_OFFSET: 16
; COMPUTE_PGM_RSRC3_GFX90A:TG_SPLIT: 0
	.section	.text._ZN7rocprim17ROCPRIM_400000_NS6detail17trampoline_kernelINS0_14default_configENS1_25partition_config_selectorILNS1_17partition_subalgoE9EllbEEZZNS1_14partition_implILS5_9ELb0ES3_jPlS8_PNS0_10empty_typeENS0_5tupleIJS8_S9_EEENSB_IJS8_SA_EEENS0_18inequality_wrapperIZN2at6native12_GLOBAL__N_124unique_dim_cuda_templateIN3c108BFloat16EEESt5tupleIJNSF_6TensorESM_SM_EERKSM_lbbbEUlllE0_EEPmJS9_EEE10hipError_tPvRmT3_T4_T5_T6_T7_T9_mT8_P12ihipStream_tbDpT10_ENKUlT_T0_E_clISt17integral_constantIbLb0EES1B_IbLb1EEEEDaS17_S18_EUlS17_E_NS1_11comp_targetILNS1_3genE4ELNS1_11target_archE910ELNS1_3gpuE8ELNS1_3repE0EEENS1_30default_config_static_selectorELNS0_4arch9wavefront6targetE1EEEvT1_,"axG",@progbits,_ZN7rocprim17ROCPRIM_400000_NS6detail17trampoline_kernelINS0_14default_configENS1_25partition_config_selectorILNS1_17partition_subalgoE9EllbEEZZNS1_14partition_implILS5_9ELb0ES3_jPlS8_PNS0_10empty_typeENS0_5tupleIJS8_S9_EEENSB_IJS8_SA_EEENS0_18inequality_wrapperIZN2at6native12_GLOBAL__N_124unique_dim_cuda_templateIN3c108BFloat16EEESt5tupleIJNSF_6TensorESM_SM_EERKSM_lbbbEUlllE0_EEPmJS9_EEE10hipError_tPvRmT3_T4_T5_T6_T7_T9_mT8_P12ihipStream_tbDpT10_ENKUlT_T0_E_clISt17integral_constantIbLb0EES1B_IbLb1EEEEDaS17_S18_EUlS17_E_NS1_11comp_targetILNS1_3genE4ELNS1_11target_archE910ELNS1_3gpuE8ELNS1_3repE0EEENS1_30default_config_static_selectorELNS0_4arch9wavefront6targetE1EEEvT1_,comdat
	.globl	_ZN7rocprim17ROCPRIM_400000_NS6detail17trampoline_kernelINS0_14default_configENS1_25partition_config_selectorILNS1_17partition_subalgoE9EllbEEZZNS1_14partition_implILS5_9ELb0ES3_jPlS8_PNS0_10empty_typeENS0_5tupleIJS8_S9_EEENSB_IJS8_SA_EEENS0_18inequality_wrapperIZN2at6native12_GLOBAL__N_124unique_dim_cuda_templateIN3c108BFloat16EEESt5tupleIJNSF_6TensorESM_SM_EERKSM_lbbbEUlllE0_EEPmJS9_EEE10hipError_tPvRmT3_T4_T5_T6_T7_T9_mT8_P12ihipStream_tbDpT10_ENKUlT_T0_E_clISt17integral_constantIbLb0EES1B_IbLb1EEEEDaS17_S18_EUlS17_E_NS1_11comp_targetILNS1_3genE4ELNS1_11target_archE910ELNS1_3gpuE8ELNS1_3repE0EEENS1_30default_config_static_selectorELNS0_4arch9wavefront6targetE1EEEvT1_ ; -- Begin function _ZN7rocprim17ROCPRIM_400000_NS6detail17trampoline_kernelINS0_14default_configENS1_25partition_config_selectorILNS1_17partition_subalgoE9EllbEEZZNS1_14partition_implILS5_9ELb0ES3_jPlS8_PNS0_10empty_typeENS0_5tupleIJS8_S9_EEENSB_IJS8_SA_EEENS0_18inequality_wrapperIZN2at6native12_GLOBAL__N_124unique_dim_cuda_templateIN3c108BFloat16EEESt5tupleIJNSF_6TensorESM_SM_EERKSM_lbbbEUlllE0_EEPmJS9_EEE10hipError_tPvRmT3_T4_T5_T6_T7_T9_mT8_P12ihipStream_tbDpT10_ENKUlT_T0_E_clISt17integral_constantIbLb0EES1B_IbLb1EEEEDaS17_S18_EUlS17_E_NS1_11comp_targetILNS1_3genE4ELNS1_11target_archE910ELNS1_3gpuE8ELNS1_3repE0EEENS1_30default_config_static_selectorELNS0_4arch9wavefront6targetE1EEEvT1_
	.p2align	8
	.type	_ZN7rocprim17ROCPRIM_400000_NS6detail17trampoline_kernelINS0_14default_configENS1_25partition_config_selectorILNS1_17partition_subalgoE9EllbEEZZNS1_14partition_implILS5_9ELb0ES3_jPlS8_PNS0_10empty_typeENS0_5tupleIJS8_S9_EEENSB_IJS8_SA_EEENS0_18inequality_wrapperIZN2at6native12_GLOBAL__N_124unique_dim_cuda_templateIN3c108BFloat16EEESt5tupleIJNSF_6TensorESM_SM_EERKSM_lbbbEUlllE0_EEPmJS9_EEE10hipError_tPvRmT3_T4_T5_T6_T7_T9_mT8_P12ihipStream_tbDpT10_ENKUlT_T0_E_clISt17integral_constantIbLb0EES1B_IbLb1EEEEDaS17_S18_EUlS17_E_NS1_11comp_targetILNS1_3genE4ELNS1_11target_archE910ELNS1_3gpuE8ELNS1_3repE0EEENS1_30default_config_static_selectorELNS0_4arch9wavefront6targetE1EEEvT1_,@function
_ZN7rocprim17ROCPRIM_400000_NS6detail17trampoline_kernelINS0_14default_configENS1_25partition_config_selectorILNS1_17partition_subalgoE9EllbEEZZNS1_14partition_implILS5_9ELb0ES3_jPlS8_PNS0_10empty_typeENS0_5tupleIJS8_S9_EEENSB_IJS8_SA_EEENS0_18inequality_wrapperIZN2at6native12_GLOBAL__N_124unique_dim_cuda_templateIN3c108BFloat16EEESt5tupleIJNSF_6TensorESM_SM_EERKSM_lbbbEUlllE0_EEPmJS9_EEE10hipError_tPvRmT3_T4_T5_T6_T7_T9_mT8_P12ihipStream_tbDpT10_ENKUlT_T0_E_clISt17integral_constantIbLb0EES1B_IbLb1EEEEDaS17_S18_EUlS17_E_NS1_11comp_targetILNS1_3genE4ELNS1_11target_archE910ELNS1_3gpuE8ELNS1_3repE0EEENS1_30default_config_static_selectorELNS0_4arch9wavefront6targetE1EEEvT1_: ; @_ZN7rocprim17ROCPRIM_400000_NS6detail17trampoline_kernelINS0_14default_configENS1_25partition_config_selectorILNS1_17partition_subalgoE9EllbEEZZNS1_14partition_implILS5_9ELb0ES3_jPlS8_PNS0_10empty_typeENS0_5tupleIJS8_S9_EEENSB_IJS8_SA_EEENS0_18inequality_wrapperIZN2at6native12_GLOBAL__N_124unique_dim_cuda_templateIN3c108BFloat16EEESt5tupleIJNSF_6TensorESM_SM_EERKSM_lbbbEUlllE0_EEPmJS9_EEE10hipError_tPvRmT3_T4_T5_T6_T7_T9_mT8_P12ihipStream_tbDpT10_ENKUlT_T0_E_clISt17integral_constantIbLb0EES1B_IbLb1EEEEDaS17_S18_EUlS17_E_NS1_11comp_targetILNS1_3genE4ELNS1_11target_archE910ELNS1_3gpuE8ELNS1_3repE0EEENS1_30default_config_static_selectorELNS0_4arch9wavefront6targetE1EEEvT1_
; %bb.0:
	.section	.rodata,"a",@progbits
	.p2align	6, 0x0
	.amdhsa_kernel _ZN7rocprim17ROCPRIM_400000_NS6detail17trampoline_kernelINS0_14default_configENS1_25partition_config_selectorILNS1_17partition_subalgoE9EllbEEZZNS1_14partition_implILS5_9ELb0ES3_jPlS8_PNS0_10empty_typeENS0_5tupleIJS8_S9_EEENSB_IJS8_SA_EEENS0_18inequality_wrapperIZN2at6native12_GLOBAL__N_124unique_dim_cuda_templateIN3c108BFloat16EEESt5tupleIJNSF_6TensorESM_SM_EERKSM_lbbbEUlllE0_EEPmJS9_EEE10hipError_tPvRmT3_T4_T5_T6_T7_T9_mT8_P12ihipStream_tbDpT10_ENKUlT_T0_E_clISt17integral_constantIbLb0EES1B_IbLb1EEEEDaS17_S18_EUlS17_E_NS1_11comp_targetILNS1_3genE4ELNS1_11target_archE910ELNS1_3gpuE8ELNS1_3repE0EEENS1_30default_config_static_selectorELNS0_4arch9wavefront6targetE1EEEvT1_
		.amdhsa_group_segment_fixed_size 0
		.amdhsa_private_segment_fixed_size 0
		.amdhsa_kernarg_size 136
		.amdhsa_user_sgpr_count 2
		.amdhsa_user_sgpr_dispatch_ptr 0
		.amdhsa_user_sgpr_queue_ptr 0
		.amdhsa_user_sgpr_kernarg_segment_ptr 1
		.amdhsa_user_sgpr_dispatch_id 0
		.amdhsa_user_sgpr_kernarg_preload_length 0
		.amdhsa_user_sgpr_kernarg_preload_offset 0
		.amdhsa_user_sgpr_private_segment_size 0
		.amdhsa_uses_dynamic_stack 0
		.amdhsa_enable_private_segment 0
		.amdhsa_system_sgpr_workgroup_id_x 1
		.amdhsa_system_sgpr_workgroup_id_y 0
		.amdhsa_system_sgpr_workgroup_id_z 0
		.amdhsa_system_sgpr_workgroup_info 0
		.amdhsa_system_vgpr_workitem_id 0
		.amdhsa_next_free_vgpr 1
		.amdhsa_next_free_sgpr 0
		.amdhsa_accum_offset 4
		.amdhsa_reserve_vcc 0
		.amdhsa_float_round_mode_32 0
		.amdhsa_float_round_mode_16_64 0
		.amdhsa_float_denorm_mode_32 3
		.amdhsa_float_denorm_mode_16_64 3
		.amdhsa_dx10_clamp 1
		.amdhsa_ieee_mode 1
		.amdhsa_fp16_overflow 0
		.amdhsa_tg_split 0
		.amdhsa_exception_fp_ieee_invalid_op 0
		.amdhsa_exception_fp_denorm_src 0
		.amdhsa_exception_fp_ieee_div_zero 0
		.amdhsa_exception_fp_ieee_overflow 0
		.amdhsa_exception_fp_ieee_underflow 0
		.amdhsa_exception_fp_ieee_inexact 0
		.amdhsa_exception_int_div_zero 0
	.end_amdhsa_kernel
	.section	.text._ZN7rocprim17ROCPRIM_400000_NS6detail17trampoline_kernelINS0_14default_configENS1_25partition_config_selectorILNS1_17partition_subalgoE9EllbEEZZNS1_14partition_implILS5_9ELb0ES3_jPlS8_PNS0_10empty_typeENS0_5tupleIJS8_S9_EEENSB_IJS8_SA_EEENS0_18inequality_wrapperIZN2at6native12_GLOBAL__N_124unique_dim_cuda_templateIN3c108BFloat16EEESt5tupleIJNSF_6TensorESM_SM_EERKSM_lbbbEUlllE0_EEPmJS9_EEE10hipError_tPvRmT3_T4_T5_T6_T7_T9_mT8_P12ihipStream_tbDpT10_ENKUlT_T0_E_clISt17integral_constantIbLb0EES1B_IbLb1EEEEDaS17_S18_EUlS17_E_NS1_11comp_targetILNS1_3genE4ELNS1_11target_archE910ELNS1_3gpuE8ELNS1_3repE0EEENS1_30default_config_static_selectorELNS0_4arch9wavefront6targetE1EEEvT1_,"axG",@progbits,_ZN7rocprim17ROCPRIM_400000_NS6detail17trampoline_kernelINS0_14default_configENS1_25partition_config_selectorILNS1_17partition_subalgoE9EllbEEZZNS1_14partition_implILS5_9ELb0ES3_jPlS8_PNS0_10empty_typeENS0_5tupleIJS8_S9_EEENSB_IJS8_SA_EEENS0_18inequality_wrapperIZN2at6native12_GLOBAL__N_124unique_dim_cuda_templateIN3c108BFloat16EEESt5tupleIJNSF_6TensorESM_SM_EERKSM_lbbbEUlllE0_EEPmJS9_EEE10hipError_tPvRmT3_T4_T5_T6_T7_T9_mT8_P12ihipStream_tbDpT10_ENKUlT_T0_E_clISt17integral_constantIbLb0EES1B_IbLb1EEEEDaS17_S18_EUlS17_E_NS1_11comp_targetILNS1_3genE4ELNS1_11target_archE910ELNS1_3gpuE8ELNS1_3repE0EEENS1_30default_config_static_selectorELNS0_4arch9wavefront6targetE1EEEvT1_,comdat
.Lfunc_end1240:
	.size	_ZN7rocprim17ROCPRIM_400000_NS6detail17trampoline_kernelINS0_14default_configENS1_25partition_config_selectorILNS1_17partition_subalgoE9EllbEEZZNS1_14partition_implILS5_9ELb0ES3_jPlS8_PNS0_10empty_typeENS0_5tupleIJS8_S9_EEENSB_IJS8_SA_EEENS0_18inequality_wrapperIZN2at6native12_GLOBAL__N_124unique_dim_cuda_templateIN3c108BFloat16EEESt5tupleIJNSF_6TensorESM_SM_EERKSM_lbbbEUlllE0_EEPmJS9_EEE10hipError_tPvRmT3_T4_T5_T6_T7_T9_mT8_P12ihipStream_tbDpT10_ENKUlT_T0_E_clISt17integral_constantIbLb0EES1B_IbLb1EEEEDaS17_S18_EUlS17_E_NS1_11comp_targetILNS1_3genE4ELNS1_11target_archE910ELNS1_3gpuE8ELNS1_3repE0EEENS1_30default_config_static_selectorELNS0_4arch9wavefront6targetE1EEEvT1_, .Lfunc_end1240-_ZN7rocprim17ROCPRIM_400000_NS6detail17trampoline_kernelINS0_14default_configENS1_25partition_config_selectorILNS1_17partition_subalgoE9EllbEEZZNS1_14partition_implILS5_9ELb0ES3_jPlS8_PNS0_10empty_typeENS0_5tupleIJS8_S9_EEENSB_IJS8_SA_EEENS0_18inequality_wrapperIZN2at6native12_GLOBAL__N_124unique_dim_cuda_templateIN3c108BFloat16EEESt5tupleIJNSF_6TensorESM_SM_EERKSM_lbbbEUlllE0_EEPmJS9_EEE10hipError_tPvRmT3_T4_T5_T6_T7_T9_mT8_P12ihipStream_tbDpT10_ENKUlT_T0_E_clISt17integral_constantIbLb0EES1B_IbLb1EEEEDaS17_S18_EUlS17_E_NS1_11comp_targetILNS1_3genE4ELNS1_11target_archE910ELNS1_3gpuE8ELNS1_3repE0EEENS1_30default_config_static_selectorELNS0_4arch9wavefront6targetE1EEEvT1_
                                        ; -- End function
	.section	.AMDGPU.csdata,"",@progbits
; Kernel info:
; codeLenInByte = 0
; NumSgprs: 6
; NumVgprs: 0
; NumAgprs: 0
; TotalNumVgprs: 0
; ScratchSize: 0
; MemoryBound: 0
; FloatMode: 240
; IeeeMode: 1
; LDSByteSize: 0 bytes/workgroup (compile time only)
; SGPRBlocks: 0
; VGPRBlocks: 0
; NumSGPRsForWavesPerEU: 6
; NumVGPRsForWavesPerEU: 1
; AccumOffset: 4
; Occupancy: 8
; WaveLimiterHint : 0
; COMPUTE_PGM_RSRC2:SCRATCH_EN: 0
; COMPUTE_PGM_RSRC2:USER_SGPR: 2
; COMPUTE_PGM_RSRC2:TRAP_HANDLER: 0
; COMPUTE_PGM_RSRC2:TGID_X_EN: 1
; COMPUTE_PGM_RSRC2:TGID_Y_EN: 0
; COMPUTE_PGM_RSRC2:TGID_Z_EN: 0
; COMPUTE_PGM_RSRC2:TIDIG_COMP_CNT: 0
; COMPUTE_PGM_RSRC3_GFX90A:ACCUM_OFFSET: 0
; COMPUTE_PGM_RSRC3_GFX90A:TG_SPLIT: 0
	.section	.text._ZN7rocprim17ROCPRIM_400000_NS6detail17trampoline_kernelINS0_14default_configENS1_25partition_config_selectorILNS1_17partition_subalgoE9EllbEEZZNS1_14partition_implILS5_9ELb0ES3_jPlS8_PNS0_10empty_typeENS0_5tupleIJS8_S9_EEENSB_IJS8_SA_EEENS0_18inequality_wrapperIZN2at6native12_GLOBAL__N_124unique_dim_cuda_templateIN3c108BFloat16EEESt5tupleIJNSF_6TensorESM_SM_EERKSM_lbbbEUlllE0_EEPmJS9_EEE10hipError_tPvRmT3_T4_T5_T6_T7_T9_mT8_P12ihipStream_tbDpT10_ENKUlT_T0_E_clISt17integral_constantIbLb0EES1B_IbLb1EEEEDaS17_S18_EUlS17_E_NS1_11comp_targetILNS1_3genE3ELNS1_11target_archE908ELNS1_3gpuE7ELNS1_3repE0EEENS1_30default_config_static_selectorELNS0_4arch9wavefront6targetE1EEEvT1_,"axG",@progbits,_ZN7rocprim17ROCPRIM_400000_NS6detail17trampoline_kernelINS0_14default_configENS1_25partition_config_selectorILNS1_17partition_subalgoE9EllbEEZZNS1_14partition_implILS5_9ELb0ES3_jPlS8_PNS0_10empty_typeENS0_5tupleIJS8_S9_EEENSB_IJS8_SA_EEENS0_18inequality_wrapperIZN2at6native12_GLOBAL__N_124unique_dim_cuda_templateIN3c108BFloat16EEESt5tupleIJNSF_6TensorESM_SM_EERKSM_lbbbEUlllE0_EEPmJS9_EEE10hipError_tPvRmT3_T4_T5_T6_T7_T9_mT8_P12ihipStream_tbDpT10_ENKUlT_T0_E_clISt17integral_constantIbLb0EES1B_IbLb1EEEEDaS17_S18_EUlS17_E_NS1_11comp_targetILNS1_3genE3ELNS1_11target_archE908ELNS1_3gpuE7ELNS1_3repE0EEENS1_30default_config_static_selectorELNS0_4arch9wavefront6targetE1EEEvT1_,comdat
	.globl	_ZN7rocprim17ROCPRIM_400000_NS6detail17trampoline_kernelINS0_14default_configENS1_25partition_config_selectorILNS1_17partition_subalgoE9EllbEEZZNS1_14partition_implILS5_9ELb0ES3_jPlS8_PNS0_10empty_typeENS0_5tupleIJS8_S9_EEENSB_IJS8_SA_EEENS0_18inequality_wrapperIZN2at6native12_GLOBAL__N_124unique_dim_cuda_templateIN3c108BFloat16EEESt5tupleIJNSF_6TensorESM_SM_EERKSM_lbbbEUlllE0_EEPmJS9_EEE10hipError_tPvRmT3_T4_T5_T6_T7_T9_mT8_P12ihipStream_tbDpT10_ENKUlT_T0_E_clISt17integral_constantIbLb0EES1B_IbLb1EEEEDaS17_S18_EUlS17_E_NS1_11comp_targetILNS1_3genE3ELNS1_11target_archE908ELNS1_3gpuE7ELNS1_3repE0EEENS1_30default_config_static_selectorELNS0_4arch9wavefront6targetE1EEEvT1_ ; -- Begin function _ZN7rocprim17ROCPRIM_400000_NS6detail17trampoline_kernelINS0_14default_configENS1_25partition_config_selectorILNS1_17partition_subalgoE9EllbEEZZNS1_14partition_implILS5_9ELb0ES3_jPlS8_PNS0_10empty_typeENS0_5tupleIJS8_S9_EEENSB_IJS8_SA_EEENS0_18inequality_wrapperIZN2at6native12_GLOBAL__N_124unique_dim_cuda_templateIN3c108BFloat16EEESt5tupleIJNSF_6TensorESM_SM_EERKSM_lbbbEUlllE0_EEPmJS9_EEE10hipError_tPvRmT3_T4_T5_T6_T7_T9_mT8_P12ihipStream_tbDpT10_ENKUlT_T0_E_clISt17integral_constantIbLb0EES1B_IbLb1EEEEDaS17_S18_EUlS17_E_NS1_11comp_targetILNS1_3genE3ELNS1_11target_archE908ELNS1_3gpuE7ELNS1_3repE0EEENS1_30default_config_static_selectorELNS0_4arch9wavefront6targetE1EEEvT1_
	.p2align	8
	.type	_ZN7rocprim17ROCPRIM_400000_NS6detail17trampoline_kernelINS0_14default_configENS1_25partition_config_selectorILNS1_17partition_subalgoE9EllbEEZZNS1_14partition_implILS5_9ELb0ES3_jPlS8_PNS0_10empty_typeENS0_5tupleIJS8_S9_EEENSB_IJS8_SA_EEENS0_18inequality_wrapperIZN2at6native12_GLOBAL__N_124unique_dim_cuda_templateIN3c108BFloat16EEESt5tupleIJNSF_6TensorESM_SM_EERKSM_lbbbEUlllE0_EEPmJS9_EEE10hipError_tPvRmT3_T4_T5_T6_T7_T9_mT8_P12ihipStream_tbDpT10_ENKUlT_T0_E_clISt17integral_constantIbLb0EES1B_IbLb1EEEEDaS17_S18_EUlS17_E_NS1_11comp_targetILNS1_3genE3ELNS1_11target_archE908ELNS1_3gpuE7ELNS1_3repE0EEENS1_30default_config_static_selectorELNS0_4arch9wavefront6targetE1EEEvT1_,@function
_ZN7rocprim17ROCPRIM_400000_NS6detail17trampoline_kernelINS0_14default_configENS1_25partition_config_selectorILNS1_17partition_subalgoE9EllbEEZZNS1_14partition_implILS5_9ELb0ES3_jPlS8_PNS0_10empty_typeENS0_5tupleIJS8_S9_EEENSB_IJS8_SA_EEENS0_18inequality_wrapperIZN2at6native12_GLOBAL__N_124unique_dim_cuda_templateIN3c108BFloat16EEESt5tupleIJNSF_6TensorESM_SM_EERKSM_lbbbEUlllE0_EEPmJS9_EEE10hipError_tPvRmT3_T4_T5_T6_T7_T9_mT8_P12ihipStream_tbDpT10_ENKUlT_T0_E_clISt17integral_constantIbLb0EES1B_IbLb1EEEEDaS17_S18_EUlS17_E_NS1_11comp_targetILNS1_3genE3ELNS1_11target_archE908ELNS1_3gpuE7ELNS1_3repE0EEENS1_30default_config_static_selectorELNS0_4arch9wavefront6targetE1EEEvT1_: ; @_ZN7rocprim17ROCPRIM_400000_NS6detail17trampoline_kernelINS0_14default_configENS1_25partition_config_selectorILNS1_17partition_subalgoE9EllbEEZZNS1_14partition_implILS5_9ELb0ES3_jPlS8_PNS0_10empty_typeENS0_5tupleIJS8_S9_EEENSB_IJS8_SA_EEENS0_18inequality_wrapperIZN2at6native12_GLOBAL__N_124unique_dim_cuda_templateIN3c108BFloat16EEESt5tupleIJNSF_6TensorESM_SM_EERKSM_lbbbEUlllE0_EEPmJS9_EEE10hipError_tPvRmT3_T4_T5_T6_T7_T9_mT8_P12ihipStream_tbDpT10_ENKUlT_T0_E_clISt17integral_constantIbLb0EES1B_IbLb1EEEEDaS17_S18_EUlS17_E_NS1_11comp_targetILNS1_3genE3ELNS1_11target_archE908ELNS1_3gpuE7ELNS1_3repE0EEENS1_30default_config_static_selectorELNS0_4arch9wavefront6targetE1EEEvT1_
; %bb.0:
	.section	.rodata,"a",@progbits
	.p2align	6, 0x0
	.amdhsa_kernel _ZN7rocprim17ROCPRIM_400000_NS6detail17trampoline_kernelINS0_14default_configENS1_25partition_config_selectorILNS1_17partition_subalgoE9EllbEEZZNS1_14partition_implILS5_9ELb0ES3_jPlS8_PNS0_10empty_typeENS0_5tupleIJS8_S9_EEENSB_IJS8_SA_EEENS0_18inequality_wrapperIZN2at6native12_GLOBAL__N_124unique_dim_cuda_templateIN3c108BFloat16EEESt5tupleIJNSF_6TensorESM_SM_EERKSM_lbbbEUlllE0_EEPmJS9_EEE10hipError_tPvRmT3_T4_T5_T6_T7_T9_mT8_P12ihipStream_tbDpT10_ENKUlT_T0_E_clISt17integral_constantIbLb0EES1B_IbLb1EEEEDaS17_S18_EUlS17_E_NS1_11comp_targetILNS1_3genE3ELNS1_11target_archE908ELNS1_3gpuE7ELNS1_3repE0EEENS1_30default_config_static_selectorELNS0_4arch9wavefront6targetE1EEEvT1_
		.amdhsa_group_segment_fixed_size 0
		.amdhsa_private_segment_fixed_size 0
		.amdhsa_kernarg_size 136
		.amdhsa_user_sgpr_count 2
		.amdhsa_user_sgpr_dispatch_ptr 0
		.amdhsa_user_sgpr_queue_ptr 0
		.amdhsa_user_sgpr_kernarg_segment_ptr 1
		.amdhsa_user_sgpr_dispatch_id 0
		.amdhsa_user_sgpr_kernarg_preload_length 0
		.amdhsa_user_sgpr_kernarg_preload_offset 0
		.amdhsa_user_sgpr_private_segment_size 0
		.amdhsa_uses_dynamic_stack 0
		.amdhsa_enable_private_segment 0
		.amdhsa_system_sgpr_workgroup_id_x 1
		.amdhsa_system_sgpr_workgroup_id_y 0
		.amdhsa_system_sgpr_workgroup_id_z 0
		.amdhsa_system_sgpr_workgroup_info 0
		.amdhsa_system_vgpr_workitem_id 0
		.amdhsa_next_free_vgpr 1
		.amdhsa_next_free_sgpr 0
		.amdhsa_accum_offset 4
		.amdhsa_reserve_vcc 0
		.amdhsa_float_round_mode_32 0
		.amdhsa_float_round_mode_16_64 0
		.amdhsa_float_denorm_mode_32 3
		.amdhsa_float_denorm_mode_16_64 3
		.amdhsa_dx10_clamp 1
		.amdhsa_ieee_mode 1
		.amdhsa_fp16_overflow 0
		.amdhsa_tg_split 0
		.amdhsa_exception_fp_ieee_invalid_op 0
		.amdhsa_exception_fp_denorm_src 0
		.amdhsa_exception_fp_ieee_div_zero 0
		.amdhsa_exception_fp_ieee_overflow 0
		.amdhsa_exception_fp_ieee_underflow 0
		.amdhsa_exception_fp_ieee_inexact 0
		.amdhsa_exception_int_div_zero 0
	.end_amdhsa_kernel
	.section	.text._ZN7rocprim17ROCPRIM_400000_NS6detail17trampoline_kernelINS0_14default_configENS1_25partition_config_selectorILNS1_17partition_subalgoE9EllbEEZZNS1_14partition_implILS5_9ELb0ES3_jPlS8_PNS0_10empty_typeENS0_5tupleIJS8_S9_EEENSB_IJS8_SA_EEENS0_18inequality_wrapperIZN2at6native12_GLOBAL__N_124unique_dim_cuda_templateIN3c108BFloat16EEESt5tupleIJNSF_6TensorESM_SM_EERKSM_lbbbEUlllE0_EEPmJS9_EEE10hipError_tPvRmT3_T4_T5_T6_T7_T9_mT8_P12ihipStream_tbDpT10_ENKUlT_T0_E_clISt17integral_constantIbLb0EES1B_IbLb1EEEEDaS17_S18_EUlS17_E_NS1_11comp_targetILNS1_3genE3ELNS1_11target_archE908ELNS1_3gpuE7ELNS1_3repE0EEENS1_30default_config_static_selectorELNS0_4arch9wavefront6targetE1EEEvT1_,"axG",@progbits,_ZN7rocprim17ROCPRIM_400000_NS6detail17trampoline_kernelINS0_14default_configENS1_25partition_config_selectorILNS1_17partition_subalgoE9EllbEEZZNS1_14partition_implILS5_9ELb0ES3_jPlS8_PNS0_10empty_typeENS0_5tupleIJS8_S9_EEENSB_IJS8_SA_EEENS0_18inequality_wrapperIZN2at6native12_GLOBAL__N_124unique_dim_cuda_templateIN3c108BFloat16EEESt5tupleIJNSF_6TensorESM_SM_EERKSM_lbbbEUlllE0_EEPmJS9_EEE10hipError_tPvRmT3_T4_T5_T6_T7_T9_mT8_P12ihipStream_tbDpT10_ENKUlT_T0_E_clISt17integral_constantIbLb0EES1B_IbLb1EEEEDaS17_S18_EUlS17_E_NS1_11comp_targetILNS1_3genE3ELNS1_11target_archE908ELNS1_3gpuE7ELNS1_3repE0EEENS1_30default_config_static_selectorELNS0_4arch9wavefront6targetE1EEEvT1_,comdat
.Lfunc_end1241:
	.size	_ZN7rocprim17ROCPRIM_400000_NS6detail17trampoline_kernelINS0_14default_configENS1_25partition_config_selectorILNS1_17partition_subalgoE9EllbEEZZNS1_14partition_implILS5_9ELb0ES3_jPlS8_PNS0_10empty_typeENS0_5tupleIJS8_S9_EEENSB_IJS8_SA_EEENS0_18inequality_wrapperIZN2at6native12_GLOBAL__N_124unique_dim_cuda_templateIN3c108BFloat16EEESt5tupleIJNSF_6TensorESM_SM_EERKSM_lbbbEUlllE0_EEPmJS9_EEE10hipError_tPvRmT3_T4_T5_T6_T7_T9_mT8_P12ihipStream_tbDpT10_ENKUlT_T0_E_clISt17integral_constantIbLb0EES1B_IbLb1EEEEDaS17_S18_EUlS17_E_NS1_11comp_targetILNS1_3genE3ELNS1_11target_archE908ELNS1_3gpuE7ELNS1_3repE0EEENS1_30default_config_static_selectorELNS0_4arch9wavefront6targetE1EEEvT1_, .Lfunc_end1241-_ZN7rocprim17ROCPRIM_400000_NS6detail17trampoline_kernelINS0_14default_configENS1_25partition_config_selectorILNS1_17partition_subalgoE9EllbEEZZNS1_14partition_implILS5_9ELb0ES3_jPlS8_PNS0_10empty_typeENS0_5tupleIJS8_S9_EEENSB_IJS8_SA_EEENS0_18inequality_wrapperIZN2at6native12_GLOBAL__N_124unique_dim_cuda_templateIN3c108BFloat16EEESt5tupleIJNSF_6TensorESM_SM_EERKSM_lbbbEUlllE0_EEPmJS9_EEE10hipError_tPvRmT3_T4_T5_T6_T7_T9_mT8_P12ihipStream_tbDpT10_ENKUlT_T0_E_clISt17integral_constantIbLb0EES1B_IbLb1EEEEDaS17_S18_EUlS17_E_NS1_11comp_targetILNS1_3genE3ELNS1_11target_archE908ELNS1_3gpuE7ELNS1_3repE0EEENS1_30default_config_static_selectorELNS0_4arch9wavefront6targetE1EEEvT1_
                                        ; -- End function
	.section	.AMDGPU.csdata,"",@progbits
; Kernel info:
; codeLenInByte = 0
; NumSgprs: 6
; NumVgprs: 0
; NumAgprs: 0
; TotalNumVgprs: 0
; ScratchSize: 0
; MemoryBound: 0
; FloatMode: 240
; IeeeMode: 1
; LDSByteSize: 0 bytes/workgroup (compile time only)
; SGPRBlocks: 0
; VGPRBlocks: 0
; NumSGPRsForWavesPerEU: 6
; NumVGPRsForWavesPerEU: 1
; AccumOffset: 4
; Occupancy: 8
; WaveLimiterHint : 0
; COMPUTE_PGM_RSRC2:SCRATCH_EN: 0
; COMPUTE_PGM_RSRC2:USER_SGPR: 2
; COMPUTE_PGM_RSRC2:TRAP_HANDLER: 0
; COMPUTE_PGM_RSRC2:TGID_X_EN: 1
; COMPUTE_PGM_RSRC2:TGID_Y_EN: 0
; COMPUTE_PGM_RSRC2:TGID_Z_EN: 0
; COMPUTE_PGM_RSRC2:TIDIG_COMP_CNT: 0
; COMPUTE_PGM_RSRC3_GFX90A:ACCUM_OFFSET: 0
; COMPUTE_PGM_RSRC3_GFX90A:TG_SPLIT: 0
	.section	.text._ZN7rocprim17ROCPRIM_400000_NS6detail17trampoline_kernelINS0_14default_configENS1_25partition_config_selectorILNS1_17partition_subalgoE9EllbEEZZNS1_14partition_implILS5_9ELb0ES3_jPlS8_PNS0_10empty_typeENS0_5tupleIJS8_S9_EEENSB_IJS8_SA_EEENS0_18inequality_wrapperIZN2at6native12_GLOBAL__N_124unique_dim_cuda_templateIN3c108BFloat16EEESt5tupleIJNSF_6TensorESM_SM_EERKSM_lbbbEUlllE0_EEPmJS9_EEE10hipError_tPvRmT3_T4_T5_T6_T7_T9_mT8_P12ihipStream_tbDpT10_ENKUlT_T0_E_clISt17integral_constantIbLb0EES1B_IbLb1EEEEDaS17_S18_EUlS17_E_NS1_11comp_targetILNS1_3genE2ELNS1_11target_archE906ELNS1_3gpuE6ELNS1_3repE0EEENS1_30default_config_static_selectorELNS0_4arch9wavefront6targetE1EEEvT1_,"axG",@progbits,_ZN7rocprim17ROCPRIM_400000_NS6detail17trampoline_kernelINS0_14default_configENS1_25partition_config_selectorILNS1_17partition_subalgoE9EllbEEZZNS1_14partition_implILS5_9ELb0ES3_jPlS8_PNS0_10empty_typeENS0_5tupleIJS8_S9_EEENSB_IJS8_SA_EEENS0_18inequality_wrapperIZN2at6native12_GLOBAL__N_124unique_dim_cuda_templateIN3c108BFloat16EEESt5tupleIJNSF_6TensorESM_SM_EERKSM_lbbbEUlllE0_EEPmJS9_EEE10hipError_tPvRmT3_T4_T5_T6_T7_T9_mT8_P12ihipStream_tbDpT10_ENKUlT_T0_E_clISt17integral_constantIbLb0EES1B_IbLb1EEEEDaS17_S18_EUlS17_E_NS1_11comp_targetILNS1_3genE2ELNS1_11target_archE906ELNS1_3gpuE6ELNS1_3repE0EEENS1_30default_config_static_selectorELNS0_4arch9wavefront6targetE1EEEvT1_,comdat
	.globl	_ZN7rocprim17ROCPRIM_400000_NS6detail17trampoline_kernelINS0_14default_configENS1_25partition_config_selectorILNS1_17partition_subalgoE9EllbEEZZNS1_14partition_implILS5_9ELb0ES3_jPlS8_PNS0_10empty_typeENS0_5tupleIJS8_S9_EEENSB_IJS8_SA_EEENS0_18inequality_wrapperIZN2at6native12_GLOBAL__N_124unique_dim_cuda_templateIN3c108BFloat16EEESt5tupleIJNSF_6TensorESM_SM_EERKSM_lbbbEUlllE0_EEPmJS9_EEE10hipError_tPvRmT3_T4_T5_T6_T7_T9_mT8_P12ihipStream_tbDpT10_ENKUlT_T0_E_clISt17integral_constantIbLb0EES1B_IbLb1EEEEDaS17_S18_EUlS17_E_NS1_11comp_targetILNS1_3genE2ELNS1_11target_archE906ELNS1_3gpuE6ELNS1_3repE0EEENS1_30default_config_static_selectorELNS0_4arch9wavefront6targetE1EEEvT1_ ; -- Begin function _ZN7rocprim17ROCPRIM_400000_NS6detail17trampoline_kernelINS0_14default_configENS1_25partition_config_selectorILNS1_17partition_subalgoE9EllbEEZZNS1_14partition_implILS5_9ELb0ES3_jPlS8_PNS0_10empty_typeENS0_5tupleIJS8_S9_EEENSB_IJS8_SA_EEENS0_18inequality_wrapperIZN2at6native12_GLOBAL__N_124unique_dim_cuda_templateIN3c108BFloat16EEESt5tupleIJNSF_6TensorESM_SM_EERKSM_lbbbEUlllE0_EEPmJS9_EEE10hipError_tPvRmT3_T4_T5_T6_T7_T9_mT8_P12ihipStream_tbDpT10_ENKUlT_T0_E_clISt17integral_constantIbLb0EES1B_IbLb1EEEEDaS17_S18_EUlS17_E_NS1_11comp_targetILNS1_3genE2ELNS1_11target_archE906ELNS1_3gpuE6ELNS1_3repE0EEENS1_30default_config_static_selectorELNS0_4arch9wavefront6targetE1EEEvT1_
	.p2align	8
	.type	_ZN7rocprim17ROCPRIM_400000_NS6detail17trampoline_kernelINS0_14default_configENS1_25partition_config_selectorILNS1_17partition_subalgoE9EllbEEZZNS1_14partition_implILS5_9ELb0ES3_jPlS8_PNS0_10empty_typeENS0_5tupleIJS8_S9_EEENSB_IJS8_SA_EEENS0_18inequality_wrapperIZN2at6native12_GLOBAL__N_124unique_dim_cuda_templateIN3c108BFloat16EEESt5tupleIJNSF_6TensorESM_SM_EERKSM_lbbbEUlllE0_EEPmJS9_EEE10hipError_tPvRmT3_T4_T5_T6_T7_T9_mT8_P12ihipStream_tbDpT10_ENKUlT_T0_E_clISt17integral_constantIbLb0EES1B_IbLb1EEEEDaS17_S18_EUlS17_E_NS1_11comp_targetILNS1_3genE2ELNS1_11target_archE906ELNS1_3gpuE6ELNS1_3repE0EEENS1_30default_config_static_selectorELNS0_4arch9wavefront6targetE1EEEvT1_,@function
_ZN7rocprim17ROCPRIM_400000_NS6detail17trampoline_kernelINS0_14default_configENS1_25partition_config_selectorILNS1_17partition_subalgoE9EllbEEZZNS1_14partition_implILS5_9ELb0ES3_jPlS8_PNS0_10empty_typeENS0_5tupleIJS8_S9_EEENSB_IJS8_SA_EEENS0_18inequality_wrapperIZN2at6native12_GLOBAL__N_124unique_dim_cuda_templateIN3c108BFloat16EEESt5tupleIJNSF_6TensorESM_SM_EERKSM_lbbbEUlllE0_EEPmJS9_EEE10hipError_tPvRmT3_T4_T5_T6_T7_T9_mT8_P12ihipStream_tbDpT10_ENKUlT_T0_E_clISt17integral_constantIbLb0EES1B_IbLb1EEEEDaS17_S18_EUlS17_E_NS1_11comp_targetILNS1_3genE2ELNS1_11target_archE906ELNS1_3gpuE6ELNS1_3repE0EEENS1_30default_config_static_selectorELNS0_4arch9wavefront6targetE1EEEvT1_: ; @_ZN7rocprim17ROCPRIM_400000_NS6detail17trampoline_kernelINS0_14default_configENS1_25partition_config_selectorILNS1_17partition_subalgoE9EllbEEZZNS1_14partition_implILS5_9ELb0ES3_jPlS8_PNS0_10empty_typeENS0_5tupleIJS8_S9_EEENSB_IJS8_SA_EEENS0_18inequality_wrapperIZN2at6native12_GLOBAL__N_124unique_dim_cuda_templateIN3c108BFloat16EEESt5tupleIJNSF_6TensorESM_SM_EERKSM_lbbbEUlllE0_EEPmJS9_EEE10hipError_tPvRmT3_T4_T5_T6_T7_T9_mT8_P12ihipStream_tbDpT10_ENKUlT_T0_E_clISt17integral_constantIbLb0EES1B_IbLb1EEEEDaS17_S18_EUlS17_E_NS1_11comp_targetILNS1_3genE2ELNS1_11target_archE906ELNS1_3gpuE6ELNS1_3repE0EEENS1_30default_config_static_selectorELNS0_4arch9wavefront6targetE1EEEvT1_
; %bb.0:
	.section	.rodata,"a",@progbits
	.p2align	6, 0x0
	.amdhsa_kernel _ZN7rocprim17ROCPRIM_400000_NS6detail17trampoline_kernelINS0_14default_configENS1_25partition_config_selectorILNS1_17partition_subalgoE9EllbEEZZNS1_14partition_implILS5_9ELb0ES3_jPlS8_PNS0_10empty_typeENS0_5tupleIJS8_S9_EEENSB_IJS8_SA_EEENS0_18inequality_wrapperIZN2at6native12_GLOBAL__N_124unique_dim_cuda_templateIN3c108BFloat16EEESt5tupleIJNSF_6TensorESM_SM_EERKSM_lbbbEUlllE0_EEPmJS9_EEE10hipError_tPvRmT3_T4_T5_T6_T7_T9_mT8_P12ihipStream_tbDpT10_ENKUlT_T0_E_clISt17integral_constantIbLb0EES1B_IbLb1EEEEDaS17_S18_EUlS17_E_NS1_11comp_targetILNS1_3genE2ELNS1_11target_archE906ELNS1_3gpuE6ELNS1_3repE0EEENS1_30default_config_static_selectorELNS0_4arch9wavefront6targetE1EEEvT1_
		.amdhsa_group_segment_fixed_size 0
		.amdhsa_private_segment_fixed_size 0
		.amdhsa_kernarg_size 136
		.amdhsa_user_sgpr_count 2
		.amdhsa_user_sgpr_dispatch_ptr 0
		.amdhsa_user_sgpr_queue_ptr 0
		.amdhsa_user_sgpr_kernarg_segment_ptr 1
		.amdhsa_user_sgpr_dispatch_id 0
		.amdhsa_user_sgpr_kernarg_preload_length 0
		.amdhsa_user_sgpr_kernarg_preload_offset 0
		.amdhsa_user_sgpr_private_segment_size 0
		.amdhsa_uses_dynamic_stack 0
		.amdhsa_enable_private_segment 0
		.amdhsa_system_sgpr_workgroup_id_x 1
		.amdhsa_system_sgpr_workgroup_id_y 0
		.amdhsa_system_sgpr_workgroup_id_z 0
		.amdhsa_system_sgpr_workgroup_info 0
		.amdhsa_system_vgpr_workitem_id 0
		.amdhsa_next_free_vgpr 1
		.amdhsa_next_free_sgpr 0
		.amdhsa_accum_offset 4
		.amdhsa_reserve_vcc 0
		.amdhsa_float_round_mode_32 0
		.amdhsa_float_round_mode_16_64 0
		.amdhsa_float_denorm_mode_32 3
		.amdhsa_float_denorm_mode_16_64 3
		.amdhsa_dx10_clamp 1
		.amdhsa_ieee_mode 1
		.amdhsa_fp16_overflow 0
		.amdhsa_tg_split 0
		.amdhsa_exception_fp_ieee_invalid_op 0
		.amdhsa_exception_fp_denorm_src 0
		.amdhsa_exception_fp_ieee_div_zero 0
		.amdhsa_exception_fp_ieee_overflow 0
		.amdhsa_exception_fp_ieee_underflow 0
		.amdhsa_exception_fp_ieee_inexact 0
		.amdhsa_exception_int_div_zero 0
	.end_amdhsa_kernel
	.section	.text._ZN7rocprim17ROCPRIM_400000_NS6detail17trampoline_kernelINS0_14default_configENS1_25partition_config_selectorILNS1_17partition_subalgoE9EllbEEZZNS1_14partition_implILS5_9ELb0ES3_jPlS8_PNS0_10empty_typeENS0_5tupleIJS8_S9_EEENSB_IJS8_SA_EEENS0_18inequality_wrapperIZN2at6native12_GLOBAL__N_124unique_dim_cuda_templateIN3c108BFloat16EEESt5tupleIJNSF_6TensorESM_SM_EERKSM_lbbbEUlllE0_EEPmJS9_EEE10hipError_tPvRmT3_T4_T5_T6_T7_T9_mT8_P12ihipStream_tbDpT10_ENKUlT_T0_E_clISt17integral_constantIbLb0EES1B_IbLb1EEEEDaS17_S18_EUlS17_E_NS1_11comp_targetILNS1_3genE2ELNS1_11target_archE906ELNS1_3gpuE6ELNS1_3repE0EEENS1_30default_config_static_selectorELNS0_4arch9wavefront6targetE1EEEvT1_,"axG",@progbits,_ZN7rocprim17ROCPRIM_400000_NS6detail17trampoline_kernelINS0_14default_configENS1_25partition_config_selectorILNS1_17partition_subalgoE9EllbEEZZNS1_14partition_implILS5_9ELb0ES3_jPlS8_PNS0_10empty_typeENS0_5tupleIJS8_S9_EEENSB_IJS8_SA_EEENS0_18inequality_wrapperIZN2at6native12_GLOBAL__N_124unique_dim_cuda_templateIN3c108BFloat16EEESt5tupleIJNSF_6TensorESM_SM_EERKSM_lbbbEUlllE0_EEPmJS9_EEE10hipError_tPvRmT3_T4_T5_T6_T7_T9_mT8_P12ihipStream_tbDpT10_ENKUlT_T0_E_clISt17integral_constantIbLb0EES1B_IbLb1EEEEDaS17_S18_EUlS17_E_NS1_11comp_targetILNS1_3genE2ELNS1_11target_archE906ELNS1_3gpuE6ELNS1_3repE0EEENS1_30default_config_static_selectorELNS0_4arch9wavefront6targetE1EEEvT1_,comdat
.Lfunc_end1242:
	.size	_ZN7rocprim17ROCPRIM_400000_NS6detail17trampoline_kernelINS0_14default_configENS1_25partition_config_selectorILNS1_17partition_subalgoE9EllbEEZZNS1_14partition_implILS5_9ELb0ES3_jPlS8_PNS0_10empty_typeENS0_5tupleIJS8_S9_EEENSB_IJS8_SA_EEENS0_18inequality_wrapperIZN2at6native12_GLOBAL__N_124unique_dim_cuda_templateIN3c108BFloat16EEESt5tupleIJNSF_6TensorESM_SM_EERKSM_lbbbEUlllE0_EEPmJS9_EEE10hipError_tPvRmT3_T4_T5_T6_T7_T9_mT8_P12ihipStream_tbDpT10_ENKUlT_T0_E_clISt17integral_constantIbLb0EES1B_IbLb1EEEEDaS17_S18_EUlS17_E_NS1_11comp_targetILNS1_3genE2ELNS1_11target_archE906ELNS1_3gpuE6ELNS1_3repE0EEENS1_30default_config_static_selectorELNS0_4arch9wavefront6targetE1EEEvT1_, .Lfunc_end1242-_ZN7rocprim17ROCPRIM_400000_NS6detail17trampoline_kernelINS0_14default_configENS1_25partition_config_selectorILNS1_17partition_subalgoE9EllbEEZZNS1_14partition_implILS5_9ELb0ES3_jPlS8_PNS0_10empty_typeENS0_5tupleIJS8_S9_EEENSB_IJS8_SA_EEENS0_18inequality_wrapperIZN2at6native12_GLOBAL__N_124unique_dim_cuda_templateIN3c108BFloat16EEESt5tupleIJNSF_6TensorESM_SM_EERKSM_lbbbEUlllE0_EEPmJS9_EEE10hipError_tPvRmT3_T4_T5_T6_T7_T9_mT8_P12ihipStream_tbDpT10_ENKUlT_T0_E_clISt17integral_constantIbLb0EES1B_IbLb1EEEEDaS17_S18_EUlS17_E_NS1_11comp_targetILNS1_3genE2ELNS1_11target_archE906ELNS1_3gpuE6ELNS1_3repE0EEENS1_30default_config_static_selectorELNS0_4arch9wavefront6targetE1EEEvT1_
                                        ; -- End function
	.section	.AMDGPU.csdata,"",@progbits
; Kernel info:
; codeLenInByte = 0
; NumSgprs: 6
; NumVgprs: 0
; NumAgprs: 0
; TotalNumVgprs: 0
; ScratchSize: 0
; MemoryBound: 0
; FloatMode: 240
; IeeeMode: 1
; LDSByteSize: 0 bytes/workgroup (compile time only)
; SGPRBlocks: 0
; VGPRBlocks: 0
; NumSGPRsForWavesPerEU: 6
; NumVGPRsForWavesPerEU: 1
; AccumOffset: 4
; Occupancy: 8
; WaveLimiterHint : 0
; COMPUTE_PGM_RSRC2:SCRATCH_EN: 0
; COMPUTE_PGM_RSRC2:USER_SGPR: 2
; COMPUTE_PGM_RSRC2:TRAP_HANDLER: 0
; COMPUTE_PGM_RSRC2:TGID_X_EN: 1
; COMPUTE_PGM_RSRC2:TGID_Y_EN: 0
; COMPUTE_PGM_RSRC2:TGID_Z_EN: 0
; COMPUTE_PGM_RSRC2:TIDIG_COMP_CNT: 0
; COMPUTE_PGM_RSRC3_GFX90A:ACCUM_OFFSET: 0
; COMPUTE_PGM_RSRC3_GFX90A:TG_SPLIT: 0
	.section	.text._ZN7rocprim17ROCPRIM_400000_NS6detail17trampoline_kernelINS0_14default_configENS1_25partition_config_selectorILNS1_17partition_subalgoE9EllbEEZZNS1_14partition_implILS5_9ELb0ES3_jPlS8_PNS0_10empty_typeENS0_5tupleIJS8_S9_EEENSB_IJS8_SA_EEENS0_18inequality_wrapperIZN2at6native12_GLOBAL__N_124unique_dim_cuda_templateIN3c108BFloat16EEESt5tupleIJNSF_6TensorESM_SM_EERKSM_lbbbEUlllE0_EEPmJS9_EEE10hipError_tPvRmT3_T4_T5_T6_T7_T9_mT8_P12ihipStream_tbDpT10_ENKUlT_T0_E_clISt17integral_constantIbLb0EES1B_IbLb1EEEEDaS17_S18_EUlS17_E_NS1_11comp_targetILNS1_3genE10ELNS1_11target_archE1200ELNS1_3gpuE4ELNS1_3repE0EEENS1_30default_config_static_selectorELNS0_4arch9wavefront6targetE1EEEvT1_,"axG",@progbits,_ZN7rocprim17ROCPRIM_400000_NS6detail17trampoline_kernelINS0_14default_configENS1_25partition_config_selectorILNS1_17partition_subalgoE9EllbEEZZNS1_14partition_implILS5_9ELb0ES3_jPlS8_PNS0_10empty_typeENS0_5tupleIJS8_S9_EEENSB_IJS8_SA_EEENS0_18inequality_wrapperIZN2at6native12_GLOBAL__N_124unique_dim_cuda_templateIN3c108BFloat16EEESt5tupleIJNSF_6TensorESM_SM_EERKSM_lbbbEUlllE0_EEPmJS9_EEE10hipError_tPvRmT3_T4_T5_T6_T7_T9_mT8_P12ihipStream_tbDpT10_ENKUlT_T0_E_clISt17integral_constantIbLb0EES1B_IbLb1EEEEDaS17_S18_EUlS17_E_NS1_11comp_targetILNS1_3genE10ELNS1_11target_archE1200ELNS1_3gpuE4ELNS1_3repE0EEENS1_30default_config_static_selectorELNS0_4arch9wavefront6targetE1EEEvT1_,comdat
	.globl	_ZN7rocprim17ROCPRIM_400000_NS6detail17trampoline_kernelINS0_14default_configENS1_25partition_config_selectorILNS1_17partition_subalgoE9EllbEEZZNS1_14partition_implILS5_9ELb0ES3_jPlS8_PNS0_10empty_typeENS0_5tupleIJS8_S9_EEENSB_IJS8_SA_EEENS0_18inequality_wrapperIZN2at6native12_GLOBAL__N_124unique_dim_cuda_templateIN3c108BFloat16EEESt5tupleIJNSF_6TensorESM_SM_EERKSM_lbbbEUlllE0_EEPmJS9_EEE10hipError_tPvRmT3_T4_T5_T6_T7_T9_mT8_P12ihipStream_tbDpT10_ENKUlT_T0_E_clISt17integral_constantIbLb0EES1B_IbLb1EEEEDaS17_S18_EUlS17_E_NS1_11comp_targetILNS1_3genE10ELNS1_11target_archE1200ELNS1_3gpuE4ELNS1_3repE0EEENS1_30default_config_static_selectorELNS0_4arch9wavefront6targetE1EEEvT1_ ; -- Begin function _ZN7rocprim17ROCPRIM_400000_NS6detail17trampoline_kernelINS0_14default_configENS1_25partition_config_selectorILNS1_17partition_subalgoE9EllbEEZZNS1_14partition_implILS5_9ELb0ES3_jPlS8_PNS0_10empty_typeENS0_5tupleIJS8_S9_EEENSB_IJS8_SA_EEENS0_18inequality_wrapperIZN2at6native12_GLOBAL__N_124unique_dim_cuda_templateIN3c108BFloat16EEESt5tupleIJNSF_6TensorESM_SM_EERKSM_lbbbEUlllE0_EEPmJS9_EEE10hipError_tPvRmT3_T4_T5_T6_T7_T9_mT8_P12ihipStream_tbDpT10_ENKUlT_T0_E_clISt17integral_constantIbLb0EES1B_IbLb1EEEEDaS17_S18_EUlS17_E_NS1_11comp_targetILNS1_3genE10ELNS1_11target_archE1200ELNS1_3gpuE4ELNS1_3repE0EEENS1_30default_config_static_selectorELNS0_4arch9wavefront6targetE1EEEvT1_
	.p2align	8
	.type	_ZN7rocprim17ROCPRIM_400000_NS6detail17trampoline_kernelINS0_14default_configENS1_25partition_config_selectorILNS1_17partition_subalgoE9EllbEEZZNS1_14partition_implILS5_9ELb0ES3_jPlS8_PNS0_10empty_typeENS0_5tupleIJS8_S9_EEENSB_IJS8_SA_EEENS0_18inequality_wrapperIZN2at6native12_GLOBAL__N_124unique_dim_cuda_templateIN3c108BFloat16EEESt5tupleIJNSF_6TensorESM_SM_EERKSM_lbbbEUlllE0_EEPmJS9_EEE10hipError_tPvRmT3_T4_T5_T6_T7_T9_mT8_P12ihipStream_tbDpT10_ENKUlT_T0_E_clISt17integral_constantIbLb0EES1B_IbLb1EEEEDaS17_S18_EUlS17_E_NS1_11comp_targetILNS1_3genE10ELNS1_11target_archE1200ELNS1_3gpuE4ELNS1_3repE0EEENS1_30default_config_static_selectorELNS0_4arch9wavefront6targetE1EEEvT1_,@function
_ZN7rocprim17ROCPRIM_400000_NS6detail17trampoline_kernelINS0_14default_configENS1_25partition_config_selectorILNS1_17partition_subalgoE9EllbEEZZNS1_14partition_implILS5_9ELb0ES3_jPlS8_PNS0_10empty_typeENS0_5tupleIJS8_S9_EEENSB_IJS8_SA_EEENS0_18inequality_wrapperIZN2at6native12_GLOBAL__N_124unique_dim_cuda_templateIN3c108BFloat16EEESt5tupleIJNSF_6TensorESM_SM_EERKSM_lbbbEUlllE0_EEPmJS9_EEE10hipError_tPvRmT3_T4_T5_T6_T7_T9_mT8_P12ihipStream_tbDpT10_ENKUlT_T0_E_clISt17integral_constantIbLb0EES1B_IbLb1EEEEDaS17_S18_EUlS17_E_NS1_11comp_targetILNS1_3genE10ELNS1_11target_archE1200ELNS1_3gpuE4ELNS1_3repE0EEENS1_30default_config_static_selectorELNS0_4arch9wavefront6targetE1EEEvT1_: ; @_ZN7rocprim17ROCPRIM_400000_NS6detail17trampoline_kernelINS0_14default_configENS1_25partition_config_selectorILNS1_17partition_subalgoE9EllbEEZZNS1_14partition_implILS5_9ELb0ES3_jPlS8_PNS0_10empty_typeENS0_5tupleIJS8_S9_EEENSB_IJS8_SA_EEENS0_18inequality_wrapperIZN2at6native12_GLOBAL__N_124unique_dim_cuda_templateIN3c108BFloat16EEESt5tupleIJNSF_6TensorESM_SM_EERKSM_lbbbEUlllE0_EEPmJS9_EEE10hipError_tPvRmT3_T4_T5_T6_T7_T9_mT8_P12ihipStream_tbDpT10_ENKUlT_T0_E_clISt17integral_constantIbLb0EES1B_IbLb1EEEEDaS17_S18_EUlS17_E_NS1_11comp_targetILNS1_3genE10ELNS1_11target_archE1200ELNS1_3gpuE4ELNS1_3repE0EEENS1_30default_config_static_selectorELNS0_4arch9wavefront6targetE1EEEvT1_
; %bb.0:
	.section	.rodata,"a",@progbits
	.p2align	6, 0x0
	.amdhsa_kernel _ZN7rocprim17ROCPRIM_400000_NS6detail17trampoline_kernelINS0_14default_configENS1_25partition_config_selectorILNS1_17partition_subalgoE9EllbEEZZNS1_14partition_implILS5_9ELb0ES3_jPlS8_PNS0_10empty_typeENS0_5tupleIJS8_S9_EEENSB_IJS8_SA_EEENS0_18inequality_wrapperIZN2at6native12_GLOBAL__N_124unique_dim_cuda_templateIN3c108BFloat16EEESt5tupleIJNSF_6TensorESM_SM_EERKSM_lbbbEUlllE0_EEPmJS9_EEE10hipError_tPvRmT3_T4_T5_T6_T7_T9_mT8_P12ihipStream_tbDpT10_ENKUlT_T0_E_clISt17integral_constantIbLb0EES1B_IbLb1EEEEDaS17_S18_EUlS17_E_NS1_11comp_targetILNS1_3genE10ELNS1_11target_archE1200ELNS1_3gpuE4ELNS1_3repE0EEENS1_30default_config_static_selectorELNS0_4arch9wavefront6targetE1EEEvT1_
		.amdhsa_group_segment_fixed_size 0
		.amdhsa_private_segment_fixed_size 0
		.amdhsa_kernarg_size 136
		.amdhsa_user_sgpr_count 2
		.amdhsa_user_sgpr_dispatch_ptr 0
		.amdhsa_user_sgpr_queue_ptr 0
		.amdhsa_user_sgpr_kernarg_segment_ptr 1
		.amdhsa_user_sgpr_dispatch_id 0
		.amdhsa_user_sgpr_kernarg_preload_length 0
		.amdhsa_user_sgpr_kernarg_preload_offset 0
		.amdhsa_user_sgpr_private_segment_size 0
		.amdhsa_uses_dynamic_stack 0
		.amdhsa_enable_private_segment 0
		.amdhsa_system_sgpr_workgroup_id_x 1
		.amdhsa_system_sgpr_workgroup_id_y 0
		.amdhsa_system_sgpr_workgroup_id_z 0
		.amdhsa_system_sgpr_workgroup_info 0
		.amdhsa_system_vgpr_workitem_id 0
		.amdhsa_next_free_vgpr 1
		.amdhsa_next_free_sgpr 0
		.amdhsa_accum_offset 4
		.amdhsa_reserve_vcc 0
		.amdhsa_float_round_mode_32 0
		.amdhsa_float_round_mode_16_64 0
		.amdhsa_float_denorm_mode_32 3
		.amdhsa_float_denorm_mode_16_64 3
		.amdhsa_dx10_clamp 1
		.amdhsa_ieee_mode 1
		.amdhsa_fp16_overflow 0
		.amdhsa_tg_split 0
		.amdhsa_exception_fp_ieee_invalid_op 0
		.amdhsa_exception_fp_denorm_src 0
		.amdhsa_exception_fp_ieee_div_zero 0
		.amdhsa_exception_fp_ieee_overflow 0
		.amdhsa_exception_fp_ieee_underflow 0
		.amdhsa_exception_fp_ieee_inexact 0
		.amdhsa_exception_int_div_zero 0
	.end_amdhsa_kernel
	.section	.text._ZN7rocprim17ROCPRIM_400000_NS6detail17trampoline_kernelINS0_14default_configENS1_25partition_config_selectorILNS1_17partition_subalgoE9EllbEEZZNS1_14partition_implILS5_9ELb0ES3_jPlS8_PNS0_10empty_typeENS0_5tupleIJS8_S9_EEENSB_IJS8_SA_EEENS0_18inequality_wrapperIZN2at6native12_GLOBAL__N_124unique_dim_cuda_templateIN3c108BFloat16EEESt5tupleIJNSF_6TensorESM_SM_EERKSM_lbbbEUlllE0_EEPmJS9_EEE10hipError_tPvRmT3_T4_T5_T6_T7_T9_mT8_P12ihipStream_tbDpT10_ENKUlT_T0_E_clISt17integral_constantIbLb0EES1B_IbLb1EEEEDaS17_S18_EUlS17_E_NS1_11comp_targetILNS1_3genE10ELNS1_11target_archE1200ELNS1_3gpuE4ELNS1_3repE0EEENS1_30default_config_static_selectorELNS0_4arch9wavefront6targetE1EEEvT1_,"axG",@progbits,_ZN7rocprim17ROCPRIM_400000_NS6detail17trampoline_kernelINS0_14default_configENS1_25partition_config_selectorILNS1_17partition_subalgoE9EllbEEZZNS1_14partition_implILS5_9ELb0ES3_jPlS8_PNS0_10empty_typeENS0_5tupleIJS8_S9_EEENSB_IJS8_SA_EEENS0_18inequality_wrapperIZN2at6native12_GLOBAL__N_124unique_dim_cuda_templateIN3c108BFloat16EEESt5tupleIJNSF_6TensorESM_SM_EERKSM_lbbbEUlllE0_EEPmJS9_EEE10hipError_tPvRmT3_T4_T5_T6_T7_T9_mT8_P12ihipStream_tbDpT10_ENKUlT_T0_E_clISt17integral_constantIbLb0EES1B_IbLb1EEEEDaS17_S18_EUlS17_E_NS1_11comp_targetILNS1_3genE10ELNS1_11target_archE1200ELNS1_3gpuE4ELNS1_3repE0EEENS1_30default_config_static_selectorELNS0_4arch9wavefront6targetE1EEEvT1_,comdat
.Lfunc_end1243:
	.size	_ZN7rocprim17ROCPRIM_400000_NS6detail17trampoline_kernelINS0_14default_configENS1_25partition_config_selectorILNS1_17partition_subalgoE9EllbEEZZNS1_14partition_implILS5_9ELb0ES3_jPlS8_PNS0_10empty_typeENS0_5tupleIJS8_S9_EEENSB_IJS8_SA_EEENS0_18inequality_wrapperIZN2at6native12_GLOBAL__N_124unique_dim_cuda_templateIN3c108BFloat16EEESt5tupleIJNSF_6TensorESM_SM_EERKSM_lbbbEUlllE0_EEPmJS9_EEE10hipError_tPvRmT3_T4_T5_T6_T7_T9_mT8_P12ihipStream_tbDpT10_ENKUlT_T0_E_clISt17integral_constantIbLb0EES1B_IbLb1EEEEDaS17_S18_EUlS17_E_NS1_11comp_targetILNS1_3genE10ELNS1_11target_archE1200ELNS1_3gpuE4ELNS1_3repE0EEENS1_30default_config_static_selectorELNS0_4arch9wavefront6targetE1EEEvT1_, .Lfunc_end1243-_ZN7rocprim17ROCPRIM_400000_NS6detail17trampoline_kernelINS0_14default_configENS1_25partition_config_selectorILNS1_17partition_subalgoE9EllbEEZZNS1_14partition_implILS5_9ELb0ES3_jPlS8_PNS0_10empty_typeENS0_5tupleIJS8_S9_EEENSB_IJS8_SA_EEENS0_18inequality_wrapperIZN2at6native12_GLOBAL__N_124unique_dim_cuda_templateIN3c108BFloat16EEESt5tupleIJNSF_6TensorESM_SM_EERKSM_lbbbEUlllE0_EEPmJS9_EEE10hipError_tPvRmT3_T4_T5_T6_T7_T9_mT8_P12ihipStream_tbDpT10_ENKUlT_T0_E_clISt17integral_constantIbLb0EES1B_IbLb1EEEEDaS17_S18_EUlS17_E_NS1_11comp_targetILNS1_3genE10ELNS1_11target_archE1200ELNS1_3gpuE4ELNS1_3repE0EEENS1_30default_config_static_selectorELNS0_4arch9wavefront6targetE1EEEvT1_
                                        ; -- End function
	.section	.AMDGPU.csdata,"",@progbits
; Kernel info:
; codeLenInByte = 0
; NumSgprs: 6
; NumVgprs: 0
; NumAgprs: 0
; TotalNumVgprs: 0
; ScratchSize: 0
; MemoryBound: 0
; FloatMode: 240
; IeeeMode: 1
; LDSByteSize: 0 bytes/workgroup (compile time only)
; SGPRBlocks: 0
; VGPRBlocks: 0
; NumSGPRsForWavesPerEU: 6
; NumVGPRsForWavesPerEU: 1
; AccumOffset: 4
; Occupancy: 8
; WaveLimiterHint : 0
; COMPUTE_PGM_RSRC2:SCRATCH_EN: 0
; COMPUTE_PGM_RSRC2:USER_SGPR: 2
; COMPUTE_PGM_RSRC2:TRAP_HANDLER: 0
; COMPUTE_PGM_RSRC2:TGID_X_EN: 1
; COMPUTE_PGM_RSRC2:TGID_Y_EN: 0
; COMPUTE_PGM_RSRC2:TGID_Z_EN: 0
; COMPUTE_PGM_RSRC2:TIDIG_COMP_CNT: 0
; COMPUTE_PGM_RSRC3_GFX90A:ACCUM_OFFSET: 0
; COMPUTE_PGM_RSRC3_GFX90A:TG_SPLIT: 0
	.section	.text._ZN7rocprim17ROCPRIM_400000_NS6detail17trampoline_kernelINS0_14default_configENS1_25partition_config_selectorILNS1_17partition_subalgoE9EllbEEZZNS1_14partition_implILS5_9ELb0ES3_jPlS8_PNS0_10empty_typeENS0_5tupleIJS8_S9_EEENSB_IJS8_SA_EEENS0_18inequality_wrapperIZN2at6native12_GLOBAL__N_124unique_dim_cuda_templateIN3c108BFloat16EEESt5tupleIJNSF_6TensorESM_SM_EERKSM_lbbbEUlllE0_EEPmJS9_EEE10hipError_tPvRmT3_T4_T5_T6_T7_T9_mT8_P12ihipStream_tbDpT10_ENKUlT_T0_E_clISt17integral_constantIbLb0EES1B_IbLb1EEEEDaS17_S18_EUlS17_E_NS1_11comp_targetILNS1_3genE9ELNS1_11target_archE1100ELNS1_3gpuE3ELNS1_3repE0EEENS1_30default_config_static_selectorELNS0_4arch9wavefront6targetE1EEEvT1_,"axG",@progbits,_ZN7rocprim17ROCPRIM_400000_NS6detail17trampoline_kernelINS0_14default_configENS1_25partition_config_selectorILNS1_17partition_subalgoE9EllbEEZZNS1_14partition_implILS5_9ELb0ES3_jPlS8_PNS0_10empty_typeENS0_5tupleIJS8_S9_EEENSB_IJS8_SA_EEENS0_18inequality_wrapperIZN2at6native12_GLOBAL__N_124unique_dim_cuda_templateIN3c108BFloat16EEESt5tupleIJNSF_6TensorESM_SM_EERKSM_lbbbEUlllE0_EEPmJS9_EEE10hipError_tPvRmT3_T4_T5_T6_T7_T9_mT8_P12ihipStream_tbDpT10_ENKUlT_T0_E_clISt17integral_constantIbLb0EES1B_IbLb1EEEEDaS17_S18_EUlS17_E_NS1_11comp_targetILNS1_3genE9ELNS1_11target_archE1100ELNS1_3gpuE3ELNS1_3repE0EEENS1_30default_config_static_selectorELNS0_4arch9wavefront6targetE1EEEvT1_,comdat
	.globl	_ZN7rocprim17ROCPRIM_400000_NS6detail17trampoline_kernelINS0_14default_configENS1_25partition_config_selectorILNS1_17partition_subalgoE9EllbEEZZNS1_14partition_implILS5_9ELb0ES3_jPlS8_PNS0_10empty_typeENS0_5tupleIJS8_S9_EEENSB_IJS8_SA_EEENS0_18inequality_wrapperIZN2at6native12_GLOBAL__N_124unique_dim_cuda_templateIN3c108BFloat16EEESt5tupleIJNSF_6TensorESM_SM_EERKSM_lbbbEUlllE0_EEPmJS9_EEE10hipError_tPvRmT3_T4_T5_T6_T7_T9_mT8_P12ihipStream_tbDpT10_ENKUlT_T0_E_clISt17integral_constantIbLb0EES1B_IbLb1EEEEDaS17_S18_EUlS17_E_NS1_11comp_targetILNS1_3genE9ELNS1_11target_archE1100ELNS1_3gpuE3ELNS1_3repE0EEENS1_30default_config_static_selectorELNS0_4arch9wavefront6targetE1EEEvT1_ ; -- Begin function _ZN7rocprim17ROCPRIM_400000_NS6detail17trampoline_kernelINS0_14default_configENS1_25partition_config_selectorILNS1_17partition_subalgoE9EllbEEZZNS1_14partition_implILS5_9ELb0ES3_jPlS8_PNS0_10empty_typeENS0_5tupleIJS8_S9_EEENSB_IJS8_SA_EEENS0_18inequality_wrapperIZN2at6native12_GLOBAL__N_124unique_dim_cuda_templateIN3c108BFloat16EEESt5tupleIJNSF_6TensorESM_SM_EERKSM_lbbbEUlllE0_EEPmJS9_EEE10hipError_tPvRmT3_T4_T5_T6_T7_T9_mT8_P12ihipStream_tbDpT10_ENKUlT_T0_E_clISt17integral_constantIbLb0EES1B_IbLb1EEEEDaS17_S18_EUlS17_E_NS1_11comp_targetILNS1_3genE9ELNS1_11target_archE1100ELNS1_3gpuE3ELNS1_3repE0EEENS1_30default_config_static_selectorELNS0_4arch9wavefront6targetE1EEEvT1_
	.p2align	8
	.type	_ZN7rocprim17ROCPRIM_400000_NS6detail17trampoline_kernelINS0_14default_configENS1_25partition_config_selectorILNS1_17partition_subalgoE9EllbEEZZNS1_14partition_implILS5_9ELb0ES3_jPlS8_PNS0_10empty_typeENS0_5tupleIJS8_S9_EEENSB_IJS8_SA_EEENS0_18inequality_wrapperIZN2at6native12_GLOBAL__N_124unique_dim_cuda_templateIN3c108BFloat16EEESt5tupleIJNSF_6TensorESM_SM_EERKSM_lbbbEUlllE0_EEPmJS9_EEE10hipError_tPvRmT3_T4_T5_T6_T7_T9_mT8_P12ihipStream_tbDpT10_ENKUlT_T0_E_clISt17integral_constantIbLb0EES1B_IbLb1EEEEDaS17_S18_EUlS17_E_NS1_11comp_targetILNS1_3genE9ELNS1_11target_archE1100ELNS1_3gpuE3ELNS1_3repE0EEENS1_30default_config_static_selectorELNS0_4arch9wavefront6targetE1EEEvT1_,@function
_ZN7rocprim17ROCPRIM_400000_NS6detail17trampoline_kernelINS0_14default_configENS1_25partition_config_selectorILNS1_17partition_subalgoE9EllbEEZZNS1_14partition_implILS5_9ELb0ES3_jPlS8_PNS0_10empty_typeENS0_5tupleIJS8_S9_EEENSB_IJS8_SA_EEENS0_18inequality_wrapperIZN2at6native12_GLOBAL__N_124unique_dim_cuda_templateIN3c108BFloat16EEESt5tupleIJNSF_6TensorESM_SM_EERKSM_lbbbEUlllE0_EEPmJS9_EEE10hipError_tPvRmT3_T4_T5_T6_T7_T9_mT8_P12ihipStream_tbDpT10_ENKUlT_T0_E_clISt17integral_constantIbLb0EES1B_IbLb1EEEEDaS17_S18_EUlS17_E_NS1_11comp_targetILNS1_3genE9ELNS1_11target_archE1100ELNS1_3gpuE3ELNS1_3repE0EEENS1_30default_config_static_selectorELNS0_4arch9wavefront6targetE1EEEvT1_: ; @_ZN7rocprim17ROCPRIM_400000_NS6detail17trampoline_kernelINS0_14default_configENS1_25partition_config_selectorILNS1_17partition_subalgoE9EllbEEZZNS1_14partition_implILS5_9ELb0ES3_jPlS8_PNS0_10empty_typeENS0_5tupleIJS8_S9_EEENSB_IJS8_SA_EEENS0_18inequality_wrapperIZN2at6native12_GLOBAL__N_124unique_dim_cuda_templateIN3c108BFloat16EEESt5tupleIJNSF_6TensorESM_SM_EERKSM_lbbbEUlllE0_EEPmJS9_EEE10hipError_tPvRmT3_T4_T5_T6_T7_T9_mT8_P12ihipStream_tbDpT10_ENKUlT_T0_E_clISt17integral_constantIbLb0EES1B_IbLb1EEEEDaS17_S18_EUlS17_E_NS1_11comp_targetILNS1_3genE9ELNS1_11target_archE1100ELNS1_3gpuE3ELNS1_3repE0EEENS1_30default_config_static_selectorELNS0_4arch9wavefront6targetE1EEEvT1_
; %bb.0:
	.section	.rodata,"a",@progbits
	.p2align	6, 0x0
	.amdhsa_kernel _ZN7rocprim17ROCPRIM_400000_NS6detail17trampoline_kernelINS0_14default_configENS1_25partition_config_selectorILNS1_17partition_subalgoE9EllbEEZZNS1_14partition_implILS5_9ELb0ES3_jPlS8_PNS0_10empty_typeENS0_5tupleIJS8_S9_EEENSB_IJS8_SA_EEENS0_18inequality_wrapperIZN2at6native12_GLOBAL__N_124unique_dim_cuda_templateIN3c108BFloat16EEESt5tupleIJNSF_6TensorESM_SM_EERKSM_lbbbEUlllE0_EEPmJS9_EEE10hipError_tPvRmT3_T4_T5_T6_T7_T9_mT8_P12ihipStream_tbDpT10_ENKUlT_T0_E_clISt17integral_constantIbLb0EES1B_IbLb1EEEEDaS17_S18_EUlS17_E_NS1_11comp_targetILNS1_3genE9ELNS1_11target_archE1100ELNS1_3gpuE3ELNS1_3repE0EEENS1_30default_config_static_selectorELNS0_4arch9wavefront6targetE1EEEvT1_
		.amdhsa_group_segment_fixed_size 0
		.amdhsa_private_segment_fixed_size 0
		.amdhsa_kernarg_size 136
		.amdhsa_user_sgpr_count 2
		.amdhsa_user_sgpr_dispatch_ptr 0
		.amdhsa_user_sgpr_queue_ptr 0
		.amdhsa_user_sgpr_kernarg_segment_ptr 1
		.amdhsa_user_sgpr_dispatch_id 0
		.amdhsa_user_sgpr_kernarg_preload_length 0
		.amdhsa_user_sgpr_kernarg_preload_offset 0
		.amdhsa_user_sgpr_private_segment_size 0
		.amdhsa_uses_dynamic_stack 0
		.amdhsa_enable_private_segment 0
		.amdhsa_system_sgpr_workgroup_id_x 1
		.amdhsa_system_sgpr_workgroup_id_y 0
		.amdhsa_system_sgpr_workgroup_id_z 0
		.amdhsa_system_sgpr_workgroup_info 0
		.amdhsa_system_vgpr_workitem_id 0
		.amdhsa_next_free_vgpr 1
		.amdhsa_next_free_sgpr 0
		.amdhsa_accum_offset 4
		.amdhsa_reserve_vcc 0
		.amdhsa_float_round_mode_32 0
		.amdhsa_float_round_mode_16_64 0
		.amdhsa_float_denorm_mode_32 3
		.amdhsa_float_denorm_mode_16_64 3
		.amdhsa_dx10_clamp 1
		.amdhsa_ieee_mode 1
		.amdhsa_fp16_overflow 0
		.amdhsa_tg_split 0
		.amdhsa_exception_fp_ieee_invalid_op 0
		.amdhsa_exception_fp_denorm_src 0
		.amdhsa_exception_fp_ieee_div_zero 0
		.amdhsa_exception_fp_ieee_overflow 0
		.amdhsa_exception_fp_ieee_underflow 0
		.amdhsa_exception_fp_ieee_inexact 0
		.amdhsa_exception_int_div_zero 0
	.end_amdhsa_kernel
	.section	.text._ZN7rocprim17ROCPRIM_400000_NS6detail17trampoline_kernelINS0_14default_configENS1_25partition_config_selectorILNS1_17partition_subalgoE9EllbEEZZNS1_14partition_implILS5_9ELb0ES3_jPlS8_PNS0_10empty_typeENS0_5tupleIJS8_S9_EEENSB_IJS8_SA_EEENS0_18inequality_wrapperIZN2at6native12_GLOBAL__N_124unique_dim_cuda_templateIN3c108BFloat16EEESt5tupleIJNSF_6TensorESM_SM_EERKSM_lbbbEUlllE0_EEPmJS9_EEE10hipError_tPvRmT3_T4_T5_T6_T7_T9_mT8_P12ihipStream_tbDpT10_ENKUlT_T0_E_clISt17integral_constantIbLb0EES1B_IbLb1EEEEDaS17_S18_EUlS17_E_NS1_11comp_targetILNS1_3genE9ELNS1_11target_archE1100ELNS1_3gpuE3ELNS1_3repE0EEENS1_30default_config_static_selectorELNS0_4arch9wavefront6targetE1EEEvT1_,"axG",@progbits,_ZN7rocprim17ROCPRIM_400000_NS6detail17trampoline_kernelINS0_14default_configENS1_25partition_config_selectorILNS1_17partition_subalgoE9EllbEEZZNS1_14partition_implILS5_9ELb0ES3_jPlS8_PNS0_10empty_typeENS0_5tupleIJS8_S9_EEENSB_IJS8_SA_EEENS0_18inequality_wrapperIZN2at6native12_GLOBAL__N_124unique_dim_cuda_templateIN3c108BFloat16EEESt5tupleIJNSF_6TensorESM_SM_EERKSM_lbbbEUlllE0_EEPmJS9_EEE10hipError_tPvRmT3_T4_T5_T6_T7_T9_mT8_P12ihipStream_tbDpT10_ENKUlT_T0_E_clISt17integral_constantIbLb0EES1B_IbLb1EEEEDaS17_S18_EUlS17_E_NS1_11comp_targetILNS1_3genE9ELNS1_11target_archE1100ELNS1_3gpuE3ELNS1_3repE0EEENS1_30default_config_static_selectorELNS0_4arch9wavefront6targetE1EEEvT1_,comdat
.Lfunc_end1244:
	.size	_ZN7rocprim17ROCPRIM_400000_NS6detail17trampoline_kernelINS0_14default_configENS1_25partition_config_selectorILNS1_17partition_subalgoE9EllbEEZZNS1_14partition_implILS5_9ELb0ES3_jPlS8_PNS0_10empty_typeENS0_5tupleIJS8_S9_EEENSB_IJS8_SA_EEENS0_18inequality_wrapperIZN2at6native12_GLOBAL__N_124unique_dim_cuda_templateIN3c108BFloat16EEESt5tupleIJNSF_6TensorESM_SM_EERKSM_lbbbEUlllE0_EEPmJS9_EEE10hipError_tPvRmT3_T4_T5_T6_T7_T9_mT8_P12ihipStream_tbDpT10_ENKUlT_T0_E_clISt17integral_constantIbLb0EES1B_IbLb1EEEEDaS17_S18_EUlS17_E_NS1_11comp_targetILNS1_3genE9ELNS1_11target_archE1100ELNS1_3gpuE3ELNS1_3repE0EEENS1_30default_config_static_selectorELNS0_4arch9wavefront6targetE1EEEvT1_, .Lfunc_end1244-_ZN7rocprim17ROCPRIM_400000_NS6detail17trampoline_kernelINS0_14default_configENS1_25partition_config_selectorILNS1_17partition_subalgoE9EllbEEZZNS1_14partition_implILS5_9ELb0ES3_jPlS8_PNS0_10empty_typeENS0_5tupleIJS8_S9_EEENSB_IJS8_SA_EEENS0_18inequality_wrapperIZN2at6native12_GLOBAL__N_124unique_dim_cuda_templateIN3c108BFloat16EEESt5tupleIJNSF_6TensorESM_SM_EERKSM_lbbbEUlllE0_EEPmJS9_EEE10hipError_tPvRmT3_T4_T5_T6_T7_T9_mT8_P12ihipStream_tbDpT10_ENKUlT_T0_E_clISt17integral_constantIbLb0EES1B_IbLb1EEEEDaS17_S18_EUlS17_E_NS1_11comp_targetILNS1_3genE9ELNS1_11target_archE1100ELNS1_3gpuE3ELNS1_3repE0EEENS1_30default_config_static_selectorELNS0_4arch9wavefront6targetE1EEEvT1_
                                        ; -- End function
	.section	.AMDGPU.csdata,"",@progbits
; Kernel info:
; codeLenInByte = 0
; NumSgprs: 6
; NumVgprs: 0
; NumAgprs: 0
; TotalNumVgprs: 0
; ScratchSize: 0
; MemoryBound: 0
; FloatMode: 240
; IeeeMode: 1
; LDSByteSize: 0 bytes/workgroup (compile time only)
; SGPRBlocks: 0
; VGPRBlocks: 0
; NumSGPRsForWavesPerEU: 6
; NumVGPRsForWavesPerEU: 1
; AccumOffset: 4
; Occupancy: 8
; WaveLimiterHint : 0
; COMPUTE_PGM_RSRC2:SCRATCH_EN: 0
; COMPUTE_PGM_RSRC2:USER_SGPR: 2
; COMPUTE_PGM_RSRC2:TRAP_HANDLER: 0
; COMPUTE_PGM_RSRC2:TGID_X_EN: 1
; COMPUTE_PGM_RSRC2:TGID_Y_EN: 0
; COMPUTE_PGM_RSRC2:TGID_Z_EN: 0
; COMPUTE_PGM_RSRC2:TIDIG_COMP_CNT: 0
; COMPUTE_PGM_RSRC3_GFX90A:ACCUM_OFFSET: 0
; COMPUTE_PGM_RSRC3_GFX90A:TG_SPLIT: 0
	.section	.text._ZN7rocprim17ROCPRIM_400000_NS6detail17trampoline_kernelINS0_14default_configENS1_25partition_config_selectorILNS1_17partition_subalgoE9EllbEEZZNS1_14partition_implILS5_9ELb0ES3_jPlS8_PNS0_10empty_typeENS0_5tupleIJS8_S9_EEENSB_IJS8_SA_EEENS0_18inequality_wrapperIZN2at6native12_GLOBAL__N_124unique_dim_cuda_templateIN3c108BFloat16EEESt5tupleIJNSF_6TensorESM_SM_EERKSM_lbbbEUlllE0_EEPmJS9_EEE10hipError_tPvRmT3_T4_T5_T6_T7_T9_mT8_P12ihipStream_tbDpT10_ENKUlT_T0_E_clISt17integral_constantIbLb0EES1B_IbLb1EEEEDaS17_S18_EUlS17_E_NS1_11comp_targetILNS1_3genE8ELNS1_11target_archE1030ELNS1_3gpuE2ELNS1_3repE0EEENS1_30default_config_static_selectorELNS0_4arch9wavefront6targetE1EEEvT1_,"axG",@progbits,_ZN7rocprim17ROCPRIM_400000_NS6detail17trampoline_kernelINS0_14default_configENS1_25partition_config_selectorILNS1_17partition_subalgoE9EllbEEZZNS1_14partition_implILS5_9ELb0ES3_jPlS8_PNS0_10empty_typeENS0_5tupleIJS8_S9_EEENSB_IJS8_SA_EEENS0_18inequality_wrapperIZN2at6native12_GLOBAL__N_124unique_dim_cuda_templateIN3c108BFloat16EEESt5tupleIJNSF_6TensorESM_SM_EERKSM_lbbbEUlllE0_EEPmJS9_EEE10hipError_tPvRmT3_T4_T5_T6_T7_T9_mT8_P12ihipStream_tbDpT10_ENKUlT_T0_E_clISt17integral_constantIbLb0EES1B_IbLb1EEEEDaS17_S18_EUlS17_E_NS1_11comp_targetILNS1_3genE8ELNS1_11target_archE1030ELNS1_3gpuE2ELNS1_3repE0EEENS1_30default_config_static_selectorELNS0_4arch9wavefront6targetE1EEEvT1_,comdat
	.globl	_ZN7rocprim17ROCPRIM_400000_NS6detail17trampoline_kernelINS0_14default_configENS1_25partition_config_selectorILNS1_17partition_subalgoE9EllbEEZZNS1_14partition_implILS5_9ELb0ES3_jPlS8_PNS0_10empty_typeENS0_5tupleIJS8_S9_EEENSB_IJS8_SA_EEENS0_18inequality_wrapperIZN2at6native12_GLOBAL__N_124unique_dim_cuda_templateIN3c108BFloat16EEESt5tupleIJNSF_6TensorESM_SM_EERKSM_lbbbEUlllE0_EEPmJS9_EEE10hipError_tPvRmT3_T4_T5_T6_T7_T9_mT8_P12ihipStream_tbDpT10_ENKUlT_T0_E_clISt17integral_constantIbLb0EES1B_IbLb1EEEEDaS17_S18_EUlS17_E_NS1_11comp_targetILNS1_3genE8ELNS1_11target_archE1030ELNS1_3gpuE2ELNS1_3repE0EEENS1_30default_config_static_selectorELNS0_4arch9wavefront6targetE1EEEvT1_ ; -- Begin function _ZN7rocprim17ROCPRIM_400000_NS6detail17trampoline_kernelINS0_14default_configENS1_25partition_config_selectorILNS1_17partition_subalgoE9EllbEEZZNS1_14partition_implILS5_9ELb0ES3_jPlS8_PNS0_10empty_typeENS0_5tupleIJS8_S9_EEENSB_IJS8_SA_EEENS0_18inequality_wrapperIZN2at6native12_GLOBAL__N_124unique_dim_cuda_templateIN3c108BFloat16EEESt5tupleIJNSF_6TensorESM_SM_EERKSM_lbbbEUlllE0_EEPmJS9_EEE10hipError_tPvRmT3_T4_T5_T6_T7_T9_mT8_P12ihipStream_tbDpT10_ENKUlT_T0_E_clISt17integral_constantIbLb0EES1B_IbLb1EEEEDaS17_S18_EUlS17_E_NS1_11comp_targetILNS1_3genE8ELNS1_11target_archE1030ELNS1_3gpuE2ELNS1_3repE0EEENS1_30default_config_static_selectorELNS0_4arch9wavefront6targetE1EEEvT1_
	.p2align	8
	.type	_ZN7rocprim17ROCPRIM_400000_NS6detail17trampoline_kernelINS0_14default_configENS1_25partition_config_selectorILNS1_17partition_subalgoE9EllbEEZZNS1_14partition_implILS5_9ELb0ES3_jPlS8_PNS0_10empty_typeENS0_5tupleIJS8_S9_EEENSB_IJS8_SA_EEENS0_18inequality_wrapperIZN2at6native12_GLOBAL__N_124unique_dim_cuda_templateIN3c108BFloat16EEESt5tupleIJNSF_6TensorESM_SM_EERKSM_lbbbEUlllE0_EEPmJS9_EEE10hipError_tPvRmT3_T4_T5_T6_T7_T9_mT8_P12ihipStream_tbDpT10_ENKUlT_T0_E_clISt17integral_constantIbLb0EES1B_IbLb1EEEEDaS17_S18_EUlS17_E_NS1_11comp_targetILNS1_3genE8ELNS1_11target_archE1030ELNS1_3gpuE2ELNS1_3repE0EEENS1_30default_config_static_selectorELNS0_4arch9wavefront6targetE1EEEvT1_,@function
_ZN7rocprim17ROCPRIM_400000_NS6detail17trampoline_kernelINS0_14default_configENS1_25partition_config_selectorILNS1_17partition_subalgoE9EllbEEZZNS1_14partition_implILS5_9ELb0ES3_jPlS8_PNS0_10empty_typeENS0_5tupleIJS8_S9_EEENSB_IJS8_SA_EEENS0_18inequality_wrapperIZN2at6native12_GLOBAL__N_124unique_dim_cuda_templateIN3c108BFloat16EEESt5tupleIJNSF_6TensorESM_SM_EERKSM_lbbbEUlllE0_EEPmJS9_EEE10hipError_tPvRmT3_T4_T5_T6_T7_T9_mT8_P12ihipStream_tbDpT10_ENKUlT_T0_E_clISt17integral_constantIbLb0EES1B_IbLb1EEEEDaS17_S18_EUlS17_E_NS1_11comp_targetILNS1_3genE8ELNS1_11target_archE1030ELNS1_3gpuE2ELNS1_3repE0EEENS1_30default_config_static_selectorELNS0_4arch9wavefront6targetE1EEEvT1_: ; @_ZN7rocprim17ROCPRIM_400000_NS6detail17trampoline_kernelINS0_14default_configENS1_25partition_config_selectorILNS1_17partition_subalgoE9EllbEEZZNS1_14partition_implILS5_9ELb0ES3_jPlS8_PNS0_10empty_typeENS0_5tupleIJS8_S9_EEENSB_IJS8_SA_EEENS0_18inequality_wrapperIZN2at6native12_GLOBAL__N_124unique_dim_cuda_templateIN3c108BFloat16EEESt5tupleIJNSF_6TensorESM_SM_EERKSM_lbbbEUlllE0_EEPmJS9_EEE10hipError_tPvRmT3_T4_T5_T6_T7_T9_mT8_P12ihipStream_tbDpT10_ENKUlT_T0_E_clISt17integral_constantIbLb0EES1B_IbLb1EEEEDaS17_S18_EUlS17_E_NS1_11comp_targetILNS1_3genE8ELNS1_11target_archE1030ELNS1_3gpuE2ELNS1_3repE0EEENS1_30default_config_static_selectorELNS0_4arch9wavefront6targetE1EEEvT1_
; %bb.0:
	.section	.rodata,"a",@progbits
	.p2align	6, 0x0
	.amdhsa_kernel _ZN7rocprim17ROCPRIM_400000_NS6detail17trampoline_kernelINS0_14default_configENS1_25partition_config_selectorILNS1_17partition_subalgoE9EllbEEZZNS1_14partition_implILS5_9ELb0ES3_jPlS8_PNS0_10empty_typeENS0_5tupleIJS8_S9_EEENSB_IJS8_SA_EEENS0_18inequality_wrapperIZN2at6native12_GLOBAL__N_124unique_dim_cuda_templateIN3c108BFloat16EEESt5tupleIJNSF_6TensorESM_SM_EERKSM_lbbbEUlllE0_EEPmJS9_EEE10hipError_tPvRmT3_T4_T5_T6_T7_T9_mT8_P12ihipStream_tbDpT10_ENKUlT_T0_E_clISt17integral_constantIbLb0EES1B_IbLb1EEEEDaS17_S18_EUlS17_E_NS1_11comp_targetILNS1_3genE8ELNS1_11target_archE1030ELNS1_3gpuE2ELNS1_3repE0EEENS1_30default_config_static_selectorELNS0_4arch9wavefront6targetE1EEEvT1_
		.amdhsa_group_segment_fixed_size 0
		.amdhsa_private_segment_fixed_size 0
		.amdhsa_kernarg_size 136
		.amdhsa_user_sgpr_count 2
		.amdhsa_user_sgpr_dispatch_ptr 0
		.amdhsa_user_sgpr_queue_ptr 0
		.amdhsa_user_sgpr_kernarg_segment_ptr 1
		.amdhsa_user_sgpr_dispatch_id 0
		.amdhsa_user_sgpr_kernarg_preload_length 0
		.amdhsa_user_sgpr_kernarg_preload_offset 0
		.amdhsa_user_sgpr_private_segment_size 0
		.amdhsa_uses_dynamic_stack 0
		.amdhsa_enable_private_segment 0
		.amdhsa_system_sgpr_workgroup_id_x 1
		.amdhsa_system_sgpr_workgroup_id_y 0
		.amdhsa_system_sgpr_workgroup_id_z 0
		.amdhsa_system_sgpr_workgroup_info 0
		.amdhsa_system_vgpr_workitem_id 0
		.amdhsa_next_free_vgpr 1
		.amdhsa_next_free_sgpr 0
		.amdhsa_accum_offset 4
		.amdhsa_reserve_vcc 0
		.amdhsa_float_round_mode_32 0
		.amdhsa_float_round_mode_16_64 0
		.amdhsa_float_denorm_mode_32 3
		.amdhsa_float_denorm_mode_16_64 3
		.amdhsa_dx10_clamp 1
		.amdhsa_ieee_mode 1
		.amdhsa_fp16_overflow 0
		.amdhsa_tg_split 0
		.amdhsa_exception_fp_ieee_invalid_op 0
		.amdhsa_exception_fp_denorm_src 0
		.amdhsa_exception_fp_ieee_div_zero 0
		.amdhsa_exception_fp_ieee_overflow 0
		.amdhsa_exception_fp_ieee_underflow 0
		.amdhsa_exception_fp_ieee_inexact 0
		.amdhsa_exception_int_div_zero 0
	.end_amdhsa_kernel
	.section	.text._ZN7rocprim17ROCPRIM_400000_NS6detail17trampoline_kernelINS0_14default_configENS1_25partition_config_selectorILNS1_17partition_subalgoE9EllbEEZZNS1_14partition_implILS5_9ELb0ES3_jPlS8_PNS0_10empty_typeENS0_5tupleIJS8_S9_EEENSB_IJS8_SA_EEENS0_18inequality_wrapperIZN2at6native12_GLOBAL__N_124unique_dim_cuda_templateIN3c108BFloat16EEESt5tupleIJNSF_6TensorESM_SM_EERKSM_lbbbEUlllE0_EEPmJS9_EEE10hipError_tPvRmT3_T4_T5_T6_T7_T9_mT8_P12ihipStream_tbDpT10_ENKUlT_T0_E_clISt17integral_constantIbLb0EES1B_IbLb1EEEEDaS17_S18_EUlS17_E_NS1_11comp_targetILNS1_3genE8ELNS1_11target_archE1030ELNS1_3gpuE2ELNS1_3repE0EEENS1_30default_config_static_selectorELNS0_4arch9wavefront6targetE1EEEvT1_,"axG",@progbits,_ZN7rocprim17ROCPRIM_400000_NS6detail17trampoline_kernelINS0_14default_configENS1_25partition_config_selectorILNS1_17partition_subalgoE9EllbEEZZNS1_14partition_implILS5_9ELb0ES3_jPlS8_PNS0_10empty_typeENS0_5tupleIJS8_S9_EEENSB_IJS8_SA_EEENS0_18inequality_wrapperIZN2at6native12_GLOBAL__N_124unique_dim_cuda_templateIN3c108BFloat16EEESt5tupleIJNSF_6TensorESM_SM_EERKSM_lbbbEUlllE0_EEPmJS9_EEE10hipError_tPvRmT3_T4_T5_T6_T7_T9_mT8_P12ihipStream_tbDpT10_ENKUlT_T0_E_clISt17integral_constantIbLb0EES1B_IbLb1EEEEDaS17_S18_EUlS17_E_NS1_11comp_targetILNS1_3genE8ELNS1_11target_archE1030ELNS1_3gpuE2ELNS1_3repE0EEENS1_30default_config_static_selectorELNS0_4arch9wavefront6targetE1EEEvT1_,comdat
.Lfunc_end1245:
	.size	_ZN7rocprim17ROCPRIM_400000_NS6detail17trampoline_kernelINS0_14default_configENS1_25partition_config_selectorILNS1_17partition_subalgoE9EllbEEZZNS1_14partition_implILS5_9ELb0ES3_jPlS8_PNS0_10empty_typeENS0_5tupleIJS8_S9_EEENSB_IJS8_SA_EEENS0_18inequality_wrapperIZN2at6native12_GLOBAL__N_124unique_dim_cuda_templateIN3c108BFloat16EEESt5tupleIJNSF_6TensorESM_SM_EERKSM_lbbbEUlllE0_EEPmJS9_EEE10hipError_tPvRmT3_T4_T5_T6_T7_T9_mT8_P12ihipStream_tbDpT10_ENKUlT_T0_E_clISt17integral_constantIbLb0EES1B_IbLb1EEEEDaS17_S18_EUlS17_E_NS1_11comp_targetILNS1_3genE8ELNS1_11target_archE1030ELNS1_3gpuE2ELNS1_3repE0EEENS1_30default_config_static_selectorELNS0_4arch9wavefront6targetE1EEEvT1_, .Lfunc_end1245-_ZN7rocprim17ROCPRIM_400000_NS6detail17trampoline_kernelINS0_14default_configENS1_25partition_config_selectorILNS1_17partition_subalgoE9EllbEEZZNS1_14partition_implILS5_9ELb0ES3_jPlS8_PNS0_10empty_typeENS0_5tupleIJS8_S9_EEENSB_IJS8_SA_EEENS0_18inequality_wrapperIZN2at6native12_GLOBAL__N_124unique_dim_cuda_templateIN3c108BFloat16EEESt5tupleIJNSF_6TensorESM_SM_EERKSM_lbbbEUlllE0_EEPmJS9_EEE10hipError_tPvRmT3_T4_T5_T6_T7_T9_mT8_P12ihipStream_tbDpT10_ENKUlT_T0_E_clISt17integral_constantIbLb0EES1B_IbLb1EEEEDaS17_S18_EUlS17_E_NS1_11comp_targetILNS1_3genE8ELNS1_11target_archE1030ELNS1_3gpuE2ELNS1_3repE0EEENS1_30default_config_static_selectorELNS0_4arch9wavefront6targetE1EEEvT1_
                                        ; -- End function
	.section	.AMDGPU.csdata,"",@progbits
; Kernel info:
; codeLenInByte = 0
; NumSgprs: 6
; NumVgprs: 0
; NumAgprs: 0
; TotalNumVgprs: 0
; ScratchSize: 0
; MemoryBound: 0
; FloatMode: 240
; IeeeMode: 1
; LDSByteSize: 0 bytes/workgroup (compile time only)
; SGPRBlocks: 0
; VGPRBlocks: 0
; NumSGPRsForWavesPerEU: 6
; NumVGPRsForWavesPerEU: 1
; AccumOffset: 4
; Occupancy: 8
; WaveLimiterHint : 0
; COMPUTE_PGM_RSRC2:SCRATCH_EN: 0
; COMPUTE_PGM_RSRC2:USER_SGPR: 2
; COMPUTE_PGM_RSRC2:TRAP_HANDLER: 0
; COMPUTE_PGM_RSRC2:TGID_X_EN: 1
; COMPUTE_PGM_RSRC2:TGID_Y_EN: 0
; COMPUTE_PGM_RSRC2:TGID_Z_EN: 0
; COMPUTE_PGM_RSRC2:TIDIG_COMP_CNT: 0
; COMPUTE_PGM_RSRC3_GFX90A:ACCUM_OFFSET: 0
; COMPUTE_PGM_RSRC3_GFX90A:TG_SPLIT: 0
	.section	.text._ZN7rocprim17ROCPRIM_400000_NS6detail17trampoline_kernelINS0_14default_configENS1_37merge_sort_block_sort_config_selectorIlNS0_10empty_typeEEEZNS1_21merge_sort_block_sortIS3_PlS8_PS5_S9_ZN2at6native12_GLOBAL__N_124unique_dim_cuda_templateIN3c104HalfEEESt5tupleIJNSA_6TensorESH_SH_EERKSH_lbbbEUlllE_EE10hipError_tT0_T1_T2_T3_mRjT4_P12ihipStream_tbNS1_7vsmem_tEEUlT_E_NS1_11comp_targetILNS1_3genE0ELNS1_11target_archE4294967295ELNS1_3gpuE0ELNS1_3repE0EEENS1_30default_config_static_selectorELNS0_4arch9wavefront6targetE1EEEvSO_,"axG",@progbits,_ZN7rocprim17ROCPRIM_400000_NS6detail17trampoline_kernelINS0_14default_configENS1_37merge_sort_block_sort_config_selectorIlNS0_10empty_typeEEEZNS1_21merge_sort_block_sortIS3_PlS8_PS5_S9_ZN2at6native12_GLOBAL__N_124unique_dim_cuda_templateIN3c104HalfEEESt5tupleIJNSA_6TensorESH_SH_EERKSH_lbbbEUlllE_EE10hipError_tT0_T1_T2_T3_mRjT4_P12ihipStream_tbNS1_7vsmem_tEEUlT_E_NS1_11comp_targetILNS1_3genE0ELNS1_11target_archE4294967295ELNS1_3gpuE0ELNS1_3repE0EEENS1_30default_config_static_selectorELNS0_4arch9wavefront6targetE1EEEvSO_,comdat
	.globl	_ZN7rocprim17ROCPRIM_400000_NS6detail17trampoline_kernelINS0_14default_configENS1_37merge_sort_block_sort_config_selectorIlNS0_10empty_typeEEEZNS1_21merge_sort_block_sortIS3_PlS8_PS5_S9_ZN2at6native12_GLOBAL__N_124unique_dim_cuda_templateIN3c104HalfEEESt5tupleIJNSA_6TensorESH_SH_EERKSH_lbbbEUlllE_EE10hipError_tT0_T1_T2_T3_mRjT4_P12ihipStream_tbNS1_7vsmem_tEEUlT_E_NS1_11comp_targetILNS1_3genE0ELNS1_11target_archE4294967295ELNS1_3gpuE0ELNS1_3repE0EEENS1_30default_config_static_selectorELNS0_4arch9wavefront6targetE1EEEvSO_ ; -- Begin function _ZN7rocprim17ROCPRIM_400000_NS6detail17trampoline_kernelINS0_14default_configENS1_37merge_sort_block_sort_config_selectorIlNS0_10empty_typeEEEZNS1_21merge_sort_block_sortIS3_PlS8_PS5_S9_ZN2at6native12_GLOBAL__N_124unique_dim_cuda_templateIN3c104HalfEEESt5tupleIJNSA_6TensorESH_SH_EERKSH_lbbbEUlllE_EE10hipError_tT0_T1_T2_T3_mRjT4_P12ihipStream_tbNS1_7vsmem_tEEUlT_E_NS1_11comp_targetILNS1_3genE0ELNS1_11target_archE4294967295ELNS1_3gpuE0ELNS1_3repE0EEENS1_30default_config_static_selectorELNS0_4arch9wavefront6targetE1EEEvSO_
	.p2align	8
	.type	_ZN7rocprim17ROCPRIM_400000_NS6detail17trampoline_kernelINS0_14default_configENS1_37merge_sort_block_sort_config_selectorIlNS0_10empty_typeEEEZNS1_21merge_sort_block_sortIS3_PlS8_PS5_S9_ZN2at6native12_GLOBAL__N_124unique_dim_cuda_templateIN3c104HalfEEESt5tupleIJNSA_6TensorESH_SH_EERKSH_lbbbEUlllE_EE10hipError_tT0_T1_T2_T3_mRjT4_P12ihipStream_tbNS1_7vsmem_tEEUlT_E_NS1_11comp_targetILNS1_3genE0ELNS1_11target_archE4294967295ELNS1_3gpuE0ELNS1_3repE0EEENS1_30default_config_static_selectorELNS0_4arch9wavefront6targetE1EEEvSO_,@function
_ZN7rocprim17ROCPRIM_400000_NS6detail17trampoline_kernelINS0_14default_configENS1_37merge_sort_block_sort_config_selectorIlNS0_10empty_typeEEEZNS1_21merge_sort_block_sortIS3_PlS8_PS5_S9_ZN2at6native12_GLOBAL__N_124unique_dim_cuda_templateIN3c104HalfEEESt5tupleIJNSA_6TensorESH_SH_EERKSH_lbbbEUlllE_EE10hipError_tT0_T1_T2_T3_mRjT4_P12ihipStream_tbNS1_7vsmem_tEEUlT_E_NS1_11comp_targetILNS1_3genE0ELNS1_11target_archE4294967295ELNS1_3gpuE0ELNS1_3repE0EEENS1_30default_config_static_selectorELNS0_4arch9wavefront6targetE1EEEvSO_: ; @_ZN7rocprim17ROCPRIM_400000_NS6detail17trampoline_kernelINS0_14default_configENS1_37merge_sort_block_sort_config_selectorIlNS0_10empty_typeEEEZNS1_21merge_sort_block_sortIS3_PlS8_PS5_S9_ZN2at6native12_GLOBAL__N_124unique_dim_cuda_templateIN3c104HalfEEESt5tupleIJNSA_6TensorESH_SH_EERKSH_lbbbEUlllE_EE10hipError_tT0_T1_T2_T3_mRjT4_P12ihipStream_tbNS1_7vsmem_tEEUlT_E_NS1_11comp_targetILNS1_3genE0ELNS1_11target_archE4294967295ELNS1_3gpuE0ELNS1_3repE0EEENS1_30default_config_static_selectorELNS0_4arch9wavefront6targetE1EEEvSO_
; %bb.0:
	.section	.rodata,"a",@progbits
	.p2align	6, 0x0
	.amdhsa_kernel _ZN7rocprim17ROCPRIM_400000_NS6detail17trampoline_kernelINS0_14default_configENS1_37merge_sort_block_sort_config_selectorIlNS0_10empty_typeEEEZNS1_21merge_sort_block_sortIS3_PlS8_PS5_S9_ZN2at6native12_GLOBAL__N_124unique_dim_cuda_templateIN3c104HalfEEESt5tupleIJNSA_6TensorESH_SH_EERKSH_lbbbEUlllE_EE10hipError_tT0_T1_T2_T3_mRjT4_P12ihipStream_tbNS1_7vsmem_tEEUlT_E_NS1_11comp_targetILNS1_3genE0ELNS1_11target_archE4294967295ELNS1_3gpuE0ELNS1_3repE0EEENS1_30default_config_static_selectorELNS0_4arch9wavefront6targetE1EEEvSO_
		.amdhsa_group_segment_fixed_size 0
		.amdhsa_private_segment_fixed_size 0
		.amdhsa_kernarg_size 72
		.amdhsa_user_sgpr_count 2
		.amdhsa_user_sgpr_dispatch_ptr 0
		.amdhsa_user_sgpr_queue_ptr 0
		.amdhsa_user_sgpr_kernarg_segment_ptr 1
		.amdhsa_user_sgpr_dispatch_id 0
		.amdhsa_user_sgpr_kernarg_preload_length 0
		.amdhsa_user_sgpr_kernarg_preload_offset 0
		.amdhsa_user_sgpr_private_segment_size 0
		.amdhsa_uses_dynamic_stack 0
		.amdhsa_enable_private_segment 0
		.amdhsa_system_sgpr_workgroup_id_x 1
		.amdhsa_system_sgpr_workgroup_id_y 0
		.amdhsa_system_sgpr_workgroup_id_z 0
		.amdhsa_system_sgpr_workgroup_info 0
		.amdhsa_system_vgpr_workitem_id 0
		.amdhsa_next_free_vgpr 1
		.amdhsa_next_free_sgpr 0
		.amdhsa_accum_offset 4
		.amdhsa_reserve_vcc 0
		.amdhsa_float_round_mode_32 0
		.amdhsa_float_round_mode_16_64 0
		.amdhsa_float_denorm_mode_32 3
		.amdhsa_float_denorm_mode_16_64 3
		.amdhsa_dx10_clamp 1
		.amdhsa_ieee_mode 1
		.amdhsa_fp16_overflow 0
		.amdhsa_tg_split 0
		.amdhsa_exception_fp_ieee_invalid_op 0
		.amdhsa_exception_fp_denorm_src 0
		.amdhsa_exception_fp_ieee_div_zero 0
		.amdhsa_exception_fp_ieee_overflow 0
		.amdhsa_exception_fp_ieee_underflow 0
		.amdhsa_exception_fp_ieee_inexact 0
		.amdhsa_exception_int_div_zero 0
	.end_amdhsa_kernel
	.section	.text._ZN7rocprim17ROCPRIM_400000_NS6detail17trampoline_kernelINS0_14default_configENS1_37merge_sort_block_sort_config_selectorIlNS0_10empty_typeEEEZNS1_21merge_sort_block_sortIS3_PlS8_PS5_S9_ZN2at6native12_GLOBAL__N_124unique_dim_cuda_templateIN3c104HalfEEESt5tupleIJNSA_6TensorESH_SH_EERKSH_lbbbEUlllE_EE10hipError_tT0_T1_T2_T3_mRjT4_P12ihipStream_tbNS1_7vsmem_tEEUlT_E_NS1_11comp_targetILNS1_3genE0ELNS1_11target_archE4294967295ELNS1_3gpuE0ELNS1_3repE0EEENS1_30default_config_static_selectorELNS0_4arch9wavefront6targetE1EEEvSO_,"axG",@progbits,_ZN7rocprim17ROCPRIM_400000_NS6detail17trampoline_kernelINS0_14default_configENS1_37merge_sort_block_sort_config_selectorIlNS0_10empty_typeEEEZNS1_21merge_sort_block_sortIS3_PlS8_PS5_S9_ZN2at6native12_GLOBAL__N_124unique_dim_cuda_templateIN3c104HalfEEESt5tupleIJNSA_6TensorESH_SH_EERKSH_lbbbEUlllE_EE10hipError_tT0_T1_T2_T3_mRjT4_P12ihipStream_tbNS1_7vsmem_tEEUlT_E_NS1_11comp_targetILNS1_3genE0ELNS1_11target_archE4294967295ELNS1_3gpuE0ELNS1_3repE0EEENS1_30default_config_static_selectorELNS0_4arch9wavefront6targetE1EEEvSO_,comdat
.Lfunc_end1246:
	.size	_ZN7rocprim17ROCPRIM_400000_NS6detail17trampoline_kernelINS0_14default_configENS1_37merge_sort_block_sort_config_selectorIlNS0_10empty_typeEEEZNS1_21merge_sort_block_sortIS3_PlS8_PS5_S9_ZN2at6native12_GLOBAL__N_124unique_dim_cuda_templateIN3c104HalfEEESt5tupleIJNSA_6TensorESH_SH_EERKSH_lbbbEUlllE_EE10hipError_tT0_T1_T2_T3_mRjT4_P12ihipStream_tbNS1_7vsmem_tEEUlT_E_NS1_11comp_targetILNS1_3genE0ELNS1_11target_archE4294967295ELNS1_3gpuE0ELNS1_3repE0EEENS1_30default_config_static_selectorELNS0_4arch9wavefront6targetE1EEEvSO_, .Lfunc_end1246-_ZN7rocprim17ROCPRIM_400000_NS6detail17trampoline_kernelINS0_14default_configENS1_37merge_sort_block_sort_config_selectorIlNS0_10empty_typeEEEZNS1_21merge_sort_block_sortIS3_PlS8_PS5_S9_ZN2at6native12_GLOBAL__N_124unique_dim_cuda_templateIN3c104HalfEEESt5tupleIJNSA_6TensorESH_SH_EERKSH_lbbbEUlllE_EE10hipError_tT0_T1_T2_T3_mRjT4_P12ihipStream_tbNS1_7vsmem_tEEUlT_E_NS1_11comp_targetILNS1_3genE0ELNS1_11target_archE4294967295ELNS1_3gpuE0ELNS1_3repE0EEENS1_30default_config_static_selectorELNS0_4arch9wavefront6targetE1EEEvSO_
                                        ; -- End function
	.section	.AMDGPU.csdata,"",@progbits
; Kernel info:
; codeLenInByte = 0
; NumSgprs: 6
; NumVgprs: 0
; NumAgprs: 0
; TotalNumVgprs: 0
; ScratchSize: 0
; MemoryBound: 0
; FloatMode: 240
; IeeeMode: 1
; LDSByteSize: 0 bytes/workgroup (compile time only)
; SGPRBlocks: 0
; VGPRBlocks: 0
; NumSGPRsForWavesPerEU: 6
; NumVGPRsForWavesPerEU: 1
; AccumOffset: 4
; Occupancy: 8
; WaveLimiterHint : 0
; COMPUTE_PGM_RSRC2:SCRATCH_EN: 0
; COMPUTE_PGM_RSRC2:USER_SGPR: 2
; COMPUTE_PGM_RSRC2:TRAP_HANDLER: 0
; COMPUTE_PGM_RSRC2:TGID_X_EN: 1
; COMPUTE_PGM_RSRC2:TGID_Y_EN: 0
; COMPUTE_PGM_RSRC2:TGID_Z_EN: 0
; COMPUTE_PGM_RSRC2:TIDIG_COMP_CNT: 0
; COMPUTE_PGM_RSRC3_GFX90A:ACCUM_OFFSET: 0
; COMPUTE_PGM_RSRC3_GFX90A:TG_SPLIT: 0
	.text
	.p2align	2                               ; -- Begin function _ZN7rocprim17ROCPRIM_400000_NS6detail15block_sort_implIlNS0_10empty_typeELj256ELj8ELNS0_4arch9wavefront6targetE1EvE4sortIPlS9_PS3_SA_ZN2at6native12_GLOBAL__N_124unique_dim_cuda_templateIN3c104HalfEEESt5tupleIJNSB_6TensorESI_SI_EERKSI_lbbbEUlllE_EEvjbT_T0_T1_T2_T3_RNS7_12storage_typeE
	.type	_ZN7rocprim17ROCPRIM_400000_NS6detail15block_sort_implIlNS0_10empty_typeELj256ELj8ELNS0_4arch9wavefront6targetE1EvE4sortIPlS9_PS3_SA_ZN2at6native12_GLOBAL__N_124unique_dim_cuda_templateIN3c104HalfEEESt5tupleIJNSB_6TensorESI_SI_EERKSI_lbbbEUlllE_EEvjbT_T0_T1_T2_T3_RNS7_12storage_typeE,@function
_ZN7rocprim17ROCPRIM_400000_NS6detail15block_sort_implIlNS0_10empty_typeELj256ELj8ELNS0_4arch9wavefront6targetE1EvE4sortIPlS9_PS3_SA_ZN2at6native12_GLOBAL__N_124unique_dim_cuda_templateIN3c104HalfEEESt5tupleIJNSB_6TensorESI_SI_EERKSI_lbbbEUlllE_EEvjbT_T0_T1_T2_T3_RNS7_12storage_typeE: ; @_ZN7rocprim17ROCPRIM_400000_NS6detail15block_sort_implIlNS0_10empty_typeELj256ELj8ELNS0_4arch9wavefront6targetE1EvE4sortIPlS9_PS3_SA_ZN2at6native12_GLOBAL__N_124unique_dim_cuda_templateIN3c104HalfEEESt5tupleIJNSB_6TensorESI_SI_EERKSI_lbbbEUlllE_EEvjbT_T0_T1_T2_T3_RNS7_12storage_typeE
; %bb.0:
	s_waitcnt vmcnt(0) expcnt(0) lgkmcnt(0)
	s_or_saveexec_b64 s[0:1], -1
	scratch_store_dword off, v40, s32       ; 4-byte Folded Spill
	s_mov_b64 exec, s[0:1]
	v_writelane_b32 v40, s34, 0
	v_writelane_b32 v40, s35, 1
	;; [unrolled: 1-line block ×36, first 2 shown]
	s_nop 1
	v_writelane_b32 v40, s31, 36
	v_and_b32_e32 v1, 1, v1
	v_cmp_eq_u32_e32 vcc, 1, v1
	v_and_b32_e32 v28, 0x3ff, v31
	s_xor_b64 s[0:1], vcc, -1
	s_mov_b64 s[22:23], 0
	v_bfe_u32 v64, v31, 10, 10
	v_bfe_u32 v65, v31, 20, 10
	v_lshlrev_b32_e32 v30, 3, v28
	v_lshrrev_b32_e32 v32, 5, v28
	v_lshrrev_b32_e32 v1, 2, v28
                                        ; implicit-def: $vgpr12_vgpr13
	s_and_saveexec_b64 s[2:3], s[0:1]
	s_xor_b64 s[10:11], exec, s[2:3]
	s_cbranch_execnz .LBB1247_5
; %bb.1:
	s_andn2_saveexec_b64 s[24:25], s[10:11]
	s_cbranch_execnz .LBB1247_785
.LBB1247_2:
	s_or_b64 exec, exec, s[24:25]
	s_and_saveexec_b64 s[0:1], s[22:23]
	s_cbranch_execz .LBB1247_4
.LBB1247_3:
	s_waitcnt vmcnt(0) lgkmcnt(0)
	v_lshl_add_u64 v[0:1], v[28:29], 3, v[4:5]
	v_add_co_u32_e32 v0, vcc, 0x3000, v0
	s_nop 1
	v_addc_co_u32_e32 v1, vcc, 0, v1, vcc
	flat_store_dwordx2 v[0:1], v[12:13] offset:2048
.LBB1247_4:
	s_or_b64 exec, exec, s[0:1]
	v_readlane_b32 s30, v40, 35
	v_readlane_b32 s31, v40, 36
	;; [unrolled: 1-line block ×37, first 2 shown]
	s_or_saveexec_b64 s[0:1], -1
	scratch_load_dword v40, off, s32        ; 4-byte Folded Reload
	s_mov_b64 exec, s[0:1]
	s_waitcnt vmcnt(0) lgkmcnt(0)
	s_setpc_b64 s[30:31]
.LBB1247_5:
	v_mov_b32_e32 v29, 0
	v_mov_b32_e32 v31, v29
	v_lshl_add_u64 v[2:3], v[2:3], 0, v[30:31]
	v_add_co_u32_e32 v12, vcc, 0x1000, v2
	v_add_lshl_u32 v0, v32, v28, 3
	s_nop 0
	v_addc_co_u32_e32 v13, vcc, 0, v3, vcc
	flat_load_dwordx2 v[14:15], v[2:3]
	flat_load_dwordx2 v[16:17], v[2:3] offset:2048
	flat_load_dwordx2 v[18:19], v[12:13]
	flat_load_dwordx2 v[20:21], v[12:13] offset:2048
	v_add_co_u32_e32 v12, vcc, 0x2000, v2
	v_add_u32_e32 v26, 0x200, v28
	s_nop 0
	v_addc_co_u32_e32 v13, vcc, 0, v3, vcc
	v_add_co_u32_e32 v2, vcc, 0x3000, v2
	v_add_u32_e32 v31, 0x300, v28
	s_nop 0
	v_addc_co_u32_e32 v3, vcc, 0, v3, vcc
	flat_load_dwordx2 v[22:23], v[12:13]
	flat_load_dwordx2 v[54:55], v[12:13] offset:2048
	flat_load_dwordx2 v[66:67], v[2:3]
	flat_load_dwordx2 v[68:69], v[2:3] offset:2048
	v_add_u32_e32 v3, 0x100, v28
	v_or_b32_e32 v32, 0x400, v28
	v_add_u32_e32 v33, 0x500, v28
	v_add_u32_e32 v36, 0x600, v28
	v_add_u32_e32 v37, 0x700, v28
	v_add_lshl_u32 v2, v1, v30, 3
	v_mov_b32_e32 v1, v29
	v_lshrrev_b32_e32 v12, 5, v3
	v_lshrrev_b32_e32 v34, 5, v26
	;; [unrolled: 1-line block ×7, first 2 shown]
	v_mov_b32_e32 v3, v29
	v_mov_b32_e32 v13, v29
	v_mov_b32_e32 v27, v29
	v_mov_b32_e32 v35, v29
	v_mov_b32_e32 v39, v29
	v_mov_b32_e32 v49, v29
	v_mov_b32_e32 v51, v29
	v_mov_b32_e32 v71, v29
	v_lshl_add_u64 v[24:25], v[10:11], 0, v[0:1]
	v_add_lshl_u32 v12, v12, v28, 3
	v_add_lshl_u32 v26, v34, v26, 3
	;; [unrolled: 1-line block ×7, first 2 shown]
	v_lshl_add_u64 v[52:53], v[10:11], 0, v[2:3]
	v_lshl_add_u64 v[36:37], v[10:11], 0, v[12:13]
	;; [unrolled: 1-line block ×8, first 2 shown]
	v_cmp_lt_i64_e32 vcc, 0, v[6:7]
	s_waitcnt vmcnt(0) lgkmcnt(0)
	flat_store_dwordx2 v[24:25], v[14:15]
	flat_store_dwordx2 v[36:37], v[16:17] offset:2048
	flat_store_dwordx2 v[32:33], v[18:19]
	flat_store_dwordx2 v[26:27], v[20:21]
	;; [unrolled: 1-line block ×6, first 2 shown]
	s_waitcnt lgkmcnt(0)
	s_barrier
	flat_load_dwordx4 v[20:23], v[52:53]
	flat_load_dwordx4 v[16:19], v[52:53] offset:16
	flat_load_dwordx4 v[12:15], v[52:53] offset:32
	;; [unrolled: 1-line block ×3, first 2 shown]
	s_waitcnt lgkmcnt(0)
	s_barrier
	s_load_dwordx2 s[0:1], s[8:9], 0x0
	s_waitcnt lgkmcnt(0)
	s_cmp_lt_u32 s12, s0
	s_cselect_b32 s2, 12, 18
	s_cmp_lt_u32 s13, s1
	s_cselect_b32 s0, 14, 20
	s_add_u32 s0, s8, s0
	s_addc_u32 s1, s9, 0
	s_add_u32 s2, s8, s2
	s_addc_u32 s3, s9, 0
	global_load_ushort v31, v29, s[0:1]
	global_load_ushort v54, v29, s[2:3]
	s_movk_i32 s0, 0x800
	s_waitcnt vmcnt(0)
	v_mad_u32_u24 v31, v65, v31, v64
	v_mul_lo_u32 v31, v31, v54
	v_add_lshl_u32 v31, v31, v28, 3
	v_cmp_gt_u32_e64 s[0:1], s0, v31
	s_and_saveexec_b64 s[2:3], s[0:1]
	s_cbranch_execz .LBB1247_281
; %bb.6:
	s_and_saveexec_b64 s[4:5], vcc
	s_cbranch_execnz .LBB1247_31
; %bb.7:
	s_or_b64 exec, exec, s[4:5]
	s_and_saveexec_b64 s[4:5], vcc
	s_cbranch_execnz .LBB1247_40
.LBB1247_8:
	s_or_b64 exec, exec, s[4:5]
	s_and_saveexec_b64 s[4:5], vcc
	s_cbranch_execnz .LBB1247_49
.LBB1247_9:
	s_or_b64 exec, exec, s[4:5]
	s_and_saveexec_b64 s[4:5], vcc
	s_cbranch_execnz .LBB1247_58
.LBB1247_10:
	s_or_b64 exec, exec, s[4:5]
	s_and_saveexec_b64 s[0:1], vcc
	s_xor_b64 s[4:5], exec, s[0:1]
	s_cbranch_execnz .LBB1247_67
.LBB1247_11:
	s_or_b64 exec, exec, s[4:5]
	s_and_saveexec_b64 s[4:5], vcc
	s_cbranch_execnz .LBB1247_76
.LBB1247_12:
	s_or_b64 exec, exec, s[4:5]
	s_and_saveexec_b64 s[4:5], vcc
	s_cbranch_execnz .LBB1247_85
.LBB1247_13:
	s_or_b64 exec, exec, s[4:5]
	s_and_saveexec_b64 s[4:5], vcc
	s_cbranch_execnz .LBB1247_94
.LBB1247_14:
	s_or_b64 exec, exec, s[4:5]
	s_and_saveexec_b64 s[4:5], vcc
	s_cbranch_execnz .LBB1247_103
.LBB1247_15:
	s_or_b64 exec, exec, s[4:5]
	s_and_saveexec_b64 s[4:5], vcc
	s_cbranch_execnz .LBB1247_112
.LBB1247_16:
	s_or_b64 exec, exec, s[4:5]
	s_and_saveexec_b64 s[4:5], vcc
	s_cbranch_execnz .LBB1247_121
.LBB1247_17:
	s_or_b64 exec, exec, s[4:5]
	s_and_saveexec_b64 s[4:5], vcc
	s_cbranch_execnz .LBB1247_130
.LBB1247_18:
	s_or_b64 exec, exec, s[4:5]
	s_and_saveexec_b64 s[4:5], vcc
	s_cbranch_execnz .LBB1247_139
.LBB1247_19:
	s_or_b64 exec, exec, s[4:5]
	s_and_saveexec_b64 s[4:5], vcc
	s_cbranch_execnz .LBB1247_148
.LBB1247_20:
	s_or_b64 exec, exec, s[4:5]
	s_and_saveexec_b64 s[4:5], vcc
	s_cbranch_execnz .LBB1247_157
.LBB1247_21:
	s_or_b64 exec, exec, s[4:5]
	s_and_saveexec_b64 s[4:5], vcc
	s_cbranch_execnz .LBB1247_166
.LBB1247_22:
	s_or_b64 exec, exec, s[4:5]
	s_and_saveexec_b64 s[4:5], vcc
	s_cbranch_execnz .LBB1247_175
.LBB1247_23:
	s_or_b64 exec, exec, s[4:5]
	s_and_saveexec_b64 s[4:5], vcc
	s_cbranch_execnz .LBB1247_184
.LBB1247_24:
	s_or_b64 exec, exec, s[4:5]
	s_and_saveexec_b64 s[4:5], vcc
	s_cbranch_execnz .LBB1247_193
.LBB1247_25:
	s_or_b64 exec, exec, s[4:5]
	s_and_saveexec_b64 s[4:5], vcc
	s_cbranch_execnz .LBB1247_202
.LBB1247_26:
	s_or_b64 exec, exec, s[4:5]
	s_and_saveexec_b64 s[4:5], vcc
	s_cbranch_execnz .LBB1247_211
.LBB1247_27:
	s_or_b64 exec, exec, s[4:5]
	s_and_saveexec_b64 s[4:5], vcc
	s_cbranch_execnz .LBB1247_220
.LBB1247_28:
	s_or_b64 exec, exec, s[4:5]
	s_and_saveexec_b64 s[4:5], vcc
	s_cbranch_execnz .LBB1247_253
.LBB1247_29:
	s_or_b64 exec, exec, s[4:5]
	s_and_saveexec_b64 s[4:5], vcc
	s_cbranch_execnz .LBB1247_262
.LBB1247_30:
	s_or_b64 exec, exec, s[4:5]
	s_and_saveexec_b64 s[4:5], vcc
	s_cbranch_execnz .LBB1247_271
	s_branch .LBB1247_280
.LBB1247_31:
	v_mul_lo_u32 v64, v21, v6
	v_mul_lo_u32 v65, v20, v7
	v_mad_u64_u32 v[54:55], s[0:1], v20, v6, 0
	v_add3_u32 v55, v55, v65, v64
	v_mul_lo_u32 v66, v23, v6
	v_mul_lo_u32 v67, v22, v7
	v_mad_u64_u32 v[64:65], s[0:1], v22, v6, 0
	v_add3_u32 v65, v65, v67, v66
	v_lshl_add_u64 v[54:55], v[54:55], 1, v[8:9]
	v_lshl_add_u64 v[64:65], v[64:65], 1, v[8:9]
	s_mov_b64 s[14:15], 0
	v_mov_b64_e32 v[66:67], v[6:7]
                                        ; implicit-def: $sgpr6_sgpr7
                                        ; implicit-def: $sgpr16_sgpr17
                                        ; implicit-def: $sgpr18_sgpr19
                                        ; implicit-def: $sgpr20_sgpr21
                                        ; implicit-def: $sgpr22_sgpr23
	s_branch .LBB1247_33
.LBB1247_32:                            ;   in Loop: Header=BB1247_33 Depth=1
	s_or_b64 exec, exec, s[26:27]
	s_and_b64 s[0:1], exec, s[0:1]
	s_or_b64 s[14:15], s[0:1], s[14:15]
	s_andn2_b64 s[0:1], s[16:17], exec
	s_and_b64 s[16:17], s[18:19], exec
	s_or_b64 s[16:17], s[0:1], s[16:17]
	s_andn2_b64 s[0:1], s[6:7], exec
	s_and_b64 s[6:7], s[20:21], exec
	s_or_b64 s[6:7], s[0:1], s[6:7]
	s_andn2_b64 exec, exec, s[14:15]
	s_cbranch_execz .LBB1247_37
.LBB1247_33:                            ; =>This Inner Loop Header: Depth=1
	flat_load_ushort v68, v[64:65]
	flat_load_ushort v69, v[54:55]
	s_or_b64 s[20:21], s[20:21], exec
	s_mov_b64 s[24:25], 0
	s_waitcnt vmcnt(0) lgkmcnt(0)
	v_cmp_nlt_f16_e64 s[0:1], v68, v69
	s_and_saveexec_b64 s[26:27], s[0:1]
; %bb.34:                               ;   in Loop: Header=BB1247_33 Depth=1
	v_cmp_ngt_f16_e64 s[0:1], v68, v69
	s_and_b64 s[22:23], s[0:1], s[22:23]
	s_andn2_b64 s[20:21], s[20:21], exec
	s_and_b64 s[22:23], s[22:23], exec
	s_or_b64 s[20:21], s[20:21], s[22:23]
	s_and_b64 s[24:25], s[0:1], exec
; %bb.35:                               ;   in Loop: Header=BB1247_33 Depth=1
	s_or_b64 exec, exec, s[26:27]
	s_mov_b64 s[0:1], -1
	s_or_b64 s[18:19], s[18:19], exec
                                        ; implicit-def: $sgpr22_sgpr23
	s_and_saveexec_b64 s[26:27], s[24:25]
	s_cbranch_execz .LBB1247_32
; %bb.36:                               ;   in Loop: Header=BB1247_33 Depth=1
	v_lshl_add_u64 v[66:67], v[66:67], 0, -1
	v_cmp_eq_u64_e64 s[0:1], 0, v[66:67]
	v_lshl_add_u64 v[54:55], v[54:55], 0, 2
	v_lshl_add_u64 v[64:65], v[64:65], 0, 2
	s_and_b64 s[22:23], s[20:21], exec
	s_andn2_b64 s[18:19], s[18:19], exec
	s_orn2_b64 s[0:1], s[0:1], exec
	s_branch .LBB1247_32
.LBB1247_37:
	s_or_b64 exec, exec, s[14:15]
	s_and_saveexec_b64 s[0:1], s[16:17]
	s_xor_b64 s[0:1], exec, s[0:1]
; %bb.38:
	v_cndmask_b32_e64 v55, v23, v21, s[6:7]
	v_cndmask_b32_e64 v54, v22, v20, s[6:7]
	;; [unrolled: 1-line block ×4, first 2 shown]
	v_mov_b64_e32 v[22:23], v[54:55]
; %bb.39:
	s_or_b64 exec, exec, s[0:1]
	s_or_b64 exec, exec, s[4:5]
	s_and_saveexec_b64 s[4:5], vcc
	s_cbranch_execz .LBB1247_8
.LBB1247_40:
	v_mul_lo_u32 v64, v17, v6
	v_mul_lo_u32 v65, v16, v7
	v_mad_u64_u32 v[54:55], s[0:1], v16, v6, 0
	v_add3_u32 v55, v55, v65, v64
	v_mul_lo_u32 v66, v19, v6
	v_mul_lo_u32 v67, v18, v7
	v_mad_u64_u32 v[64:65], s[0:1], v18, v6, 0
	v_add3_u32 v65, v65, v67, v66
	v_lshl_add_u64 v[54:55], v[54:55], 1, v[8:9]
	v_lshl_add_u64 v[64:65], v[64:65], 1, v[8:9]
	s_mov_b64 s[14:15], 0
	v_mov_b64_e32 v[66:67], v[6:7]
                                        ; implicit-def: $sgpr6_sgpr7
                                        ; implicit-def: $sgpr16_sgpr17
                                        ; implicit-def: $sgpr18_sgpr19
                                        ; implicit-def: $sgpr20_sgpr21
                                        ; implicit-def: $sgpr22_sgpr23
	s_branch .LBB1247_42
.LBB1247_41:                            ;   in Loop: Header=BB1247_42 Depth=1
	s_or_b64 exec, exec, s[26:27]
	s_and_b64 s[0:1], exec, s[0:1]
	s_or_b64 s[14:15], s[0:1], s[14:15]
	s_andn2_b64 s[0:1], s[16:17], exec
	s_and_b64 s[16:17], s[18:19], exec
	s_or_b64 s[16:17], s[0:1], s[16:17]
	s_andn2_b64 s[0:1], s[6:7], exec
	s_and_b64 s[6:7], s[20:21], exec
	s_or_b64 s[6:7], s[0:1], s[6:7]
	s_andn2_b64 exec, exec, s[14:15]
	s_cbranch_execz .LBB1247_46
.LBB1247_42:                            ; =>This Inner Loop Header: Depth=1
	flat_load_ushort v68, v[64:65]
	flat_load_ushort v69, v[54:55]
	s_or_b64 s[20:21], s[20:21], exec
	s_mov_b64 s[24:25], 0
	s_waitcnt vmcnt(0) lgkmcnt(0)
	v_cmp_nlt_f16_e64 s[0:1], v68, v69
	s_and_saveexec_b64 s[26:27], s[0:1]
; %bb.43:                               ;   in Loop: Header=BB1247_42 Depth=1
	v_cmp_ngt_f16_e64 s[0:1], v68, v69
	s_and_b64 s[22:23], s[0:1], s[22:23]
	s_andn2_b64 s[20:21], s[20:21], exec
	s_and_b64 s[22:23], s[22:23], exec
	s_or_b64 s[20:21], s[20:21], s[22:23]
	s_and_b64 s[24:25], s[0:1], exec
; %bb.44:                               ;   in Loop: Header=BB1247_42 Depth=1
	s_or_b64 exec, exec, s[26:27]
	s_mov_b64 s[0:1], -1
	s_or_b64 s[18:19], s[18:19], exec
                                        ; implicit-def: $sgpr22_sgpr23
	s_and_saveexec_b64 s[26:27], s[24:25]
	s_cbranch_execz .LBB1247_41
; %bb.45:                               ;   in Loop: Header=BB1247_42 Depth=1
	v_lshl_add_u64 v[66:67], v[66:67], 0, -1
	v_cmp_eq_u64_e64 s[0:1], 0, v[66:67]
	v_lshl_add_u64 v[54:55], v[54:55], 0, 2
	v_lshl_add_u64 v[64:65], v[64:65], 0, 2
	s_and_b64 s[22:23], s[20:21], exec
	s_andn2_b64 s[18:19], s[18:19], exec
	s_orn2_b64 s[0:1], s[0:1], exec
	s_branch .LBB1247_41
.LBB1247_46:
	s_or_b64 exec, exec, s[14:15]
	s_and_saveexec_b64 s[0:1], s[16:17]
	s_xor_b64 s[0:1], exec, s[0:1]
; %bb.47:
	v_cndmask_b32_e64 v55, v17, v19, s[6:7]
	v_cndmask_b32_e64 v54, v16, v18, s[6:7]
	;; [unrolled: 1-line block ×4, first 2 shown]
	v_mov_b64_e32 v[16:17], v[54:55]
; %bb.48:
	s_or_b64 exec, exec, s[0:1]
	s_or_b64 exec, exec, s[4:5]
	s_and_saveexec_b64 s[4:5], vcc
	s_cbranch_execz .LBB1247_9
.LBB1247_49:
	v_mul_lo_u32 v64, v13, v6
	v_mul_lo_u32 v65, v12, v7
	v_mad_u64_u32 v[54:55], s[0:1], v12, v6, 0
	v_add3_u32 v55, v55, v65, v64
	v_mul_lo_u32 v66, v15, v6
	v_mul_lo_u32 v67, v14, v7
	v_mad_u64_u32 v[64:65], s[0:1], v14, v6, 0
	v_add3_u32 v65, v65, v67, v66
	v_lshl_add_u64 v[54:55], v[54:55], 1, v[8:9]
	v_lshl_add_u64 v[64:65], v[64:65], 1, v[8:9]
	s_mov_b64 s[14:15], 0
	v_mov_b64_e32 v[66:67], v[6:7]
                                        ; implicit-def: $sgpr6_sgpr7
                                        ; implicit-def: $sgpr16_sgpr17
                                        ; implicit-def: $sgpr18_sgpr19
                                        ; implicit-def: $sgpr20_sgpr21
                                        ; implicit-def: $sgpr22_sgpr23
	s_branch .LBB1247_51
.LBB1247_50:                            ;   in Loop: Header=BB1247_51 Depth=1
	s_or_b64 exec, exec, s[26:27]
	s_and_b64 s[0:1], exec, s[0:1]
	s_or_b64 s[14:15], s[0:1], s[14:15]
	s_andn2_b64 s[0:1], s[16:17], exec
	s_and_b64 s[16:17], s[18:19], exec
	s_or_b64 s[16:17], s[0:1], s[16:17]
	s_andn2_b64 s[0:1], s[6:7], exec
	s_and_b64 s[6:7], s[20:21], exec
	s_or_b64 s[6:7], s[0:1], s[6:7]
	s_andn2_b64 exec, exec, s[14:15]
	s_cbranch_execz .LBB1247_55
.LBB1247_51:                            ; =>This Inner Loop Header: Depth=1
	flat_load_ushort v68, v[64:65]
	flat_load_ushort v69, v[54:55]
	s_or_b64 s[20:21], s[20:21], exec
	s_mov_b64 s[24:25], 0
	s_waitcnt vmcnt(0) lgkmcnt(0)
	v_cmp_nlt_f16_e64 s[0:1], v68, v69
	s_and_saveexec_b64 s[26:27], s[0:1]
; %bb.52:                               ;   in Loop: Header=BB1247_51 Depth=1
	v_cmp_ngt_f16_e64 s[0:1], v68, v69
	s_and_b64 s[22:23], s[0:1], s[22:23]
	s_andn2_b64 s[20:21], s[20:21], exec
	s_and_b64 s[22:23], s[22:23], exec
	s_or_b64 s[20:21], s[20:21], s[22:23]
	s_and_b64 s[24:25], s[0:1], exec
; %bb.53:                               ;   in Loop: Header=BB1247_51 Depth=1
	s_or_b64 exec, exec, s[26:27]
	s_mov_b64 s[0:1], -1
	s_or_b64 s[18:19], s[18:19], exec
                                        ; implicit-def: $sgpr22_sgpr23
	s_and_saveexec_b64 s[26:27], s[24:25]
	s_cbranch_execz .LBB1247_50
; %bb.54:                               ;   in Loop: Header=BB1247_51 Depth=1
	v_lshl_add_u64 v[66:67], v[66:67], 0, -1
	v_cmp_eq_u64_e64 s[0:1], 0, v[66:67]
	v_lshl_add_u64 v[54:55], v[54:55], 0, 2
	v_lshl_add_u64 v[64:65], v[64:65], 0, 2
	s_and_b64 s[22:23], s[20:21], exec
	s_andn2_b64 s[18:19], s[18:19], exec
	s_orn2_b64 s[0:1], s[0:1], exec
	s_branch .LBB1247_50
.LBB1247_55:
	s_or_b64 exec, exec, s[14:15]
	s_and_saveexec_b64 s[0:1], s[16:17]
	s_xor_b64 s[0:1], exec, s[0:1]
; %bb.56:
	v_cndmask_b32_e64 v55, v13, v15, s[6:7]
	v_cndmask_b32_e64 v54, v12, v14, s[6:7]
	v_cndmask_b32_e64 v15, v15, v13, s[6:7]
	v_cndmask_b32_e64 v14, v14, v12, s[6:7]
	v_mov_b64_e32 v[12:13], v[54:55]
; %bb.57:
	s_or_b64 exec, exec, s[0:1]
	s_or_b64 exec, exec, s[4:5]
	s_and_saveexec_b64 s[4:5], vcc
	s_cbranch_execz .LBB1247_10
.LBB1247_58:
	v_mul_lo_u32 v64, v1, v6
	v_mul_lo_u32 v65, v0, v7
	v_mad_u64_u32 v[54:55], s[0:1], v0, v6, 0
	v_add3_u32 v55, v55, v65, v64
	v_mul_lo_u32 v66, v3, v6
	v_mul_lo_u32 v67, v2, v7
	v_mad_u64_u32 v[64:65], s[0:1], v2, v6, 0
	v_add3_u32 v65, v65, v67, v66
	v_lshl_add_u64 v[54:55], v[54:55], 1, v[8:9]
	v_lshl_add_u64 v[64:65], v[64:65], 1, v[8:9]
	s_mov_b64 s[14:15], 0
	v_mov_b64_e32 v[66:67], v[6:7]
                                        ; implicit-def: $sgpr6_sgpr7
                                        ; implicit-def: $sgpr16_sgpr17
                                        ; implicit-def: $sgpr18_sgpr19
                                        ; implicit-def: $sgpr20_sgpr21
                                        ; implicit-def: $sgpr22_sgpr23
	s_branch .LBB1247_60
.LBB1247_59:                            ;   in Loop: Header=BB1247_60 Depth=1
	s_or_b64 exec, exec, s[26:27]
	s_and_b64 s[0:1], exec, s[0:1]
	s_or_b64 s[14:15], s[0:1], s[14:15]
	s_andn2_b64 s[0:1], s[16:17], exec
	s_and_b64 s[16:17], s[18:19], exec
	s_or_b64 s[16:17], s[0:1], s[16:17]
	s_andn2_b64 s[0:1], s[6:7], exec
	s_and_b64 s[6:7], s[20:21], exec
	s_or_b64 s[6:7], s[0:1], s[6:7]
	s_andn2_b64 exec, exec, s[14:15]
	s_cbranch_execz .LBB1247_64
.LBB1247_60:                            ; =>This Inner Loop Header: Depth=1
	flat_load_ushort v68, v[64:65]
	flat_load_ushort v69, v[54:55]
	s_or_b64 s[20:21], s[20:21], exec
	s_mov_b64 s[24:25], 0
	s_waitcnt vmcnt(0) lgkmcnt(0)
	v_cmp_nlt_f16_e64 s[0:1], v68, v69
	s_and_saveexec_b64 s[26:27], s[0:1]
; %bb.61:                               ;   in Loop: Header=BB1247_60 Depth=1
	v_cmp_ngt_f16_e64 s[0:1], v68, v69
	s_and_b64 s[22:23], s[0:1], s[22:23]
	s_andn2_b64 s[20:21], s[20:21], exec
	s_and_b64 s[22:23], s[22:23], exec
	s_or_b64 s[20:21], s[20:21], s[22:23]
	s_and_b64 s[24:25], s[0:1], exec
; %bb.62:                               ;   in Loop: Header=BB1247_60 Depth=1
	s_or_b64 exec, exec, s[26:27]
	s_mov_b64 s[0:1], -1
	s_or_b64 s[18:19], s[18:19], exec
                                        ; implicit-def: $sgpr22_sgpr23
	s_and_saveexec_b64 s[26:27], s[24:25]
	s_cbranch_execz .LBB1247_59
; %bb.63:                               ;   in Loop: Header=BB1247_60 Depth=1
	v_lshl_add_u64 v[66:67], v[66:67], 0, -1
	v_cmp_eq_u64_e64 s[0:1], 0, v[66:67]
	v_lshl_add_u64 v[54:55], v[54:55], 0, 2
	v_lshl_add_u64 v[64:65], v[64:65], 0, 2
	s_and_b64 s[22:23], s[20:21], exec
	s_andn2_b64 s[18:19], s[18:19], exec
	s_orn2_b64 s[0:1], s[0:1], exec
	s_branch .LBB1247_59
.LBB1247_64:
	s_or_b64 exec, exec, s[14:15]
	s_and_saveexec_b64 s[0:1], s[16:17]
	s_xor_b64 s[0:1], exec, s[0:1]
; %bb.65:
	v_cndmask_b32_e64 v55, v1, v3, s[6:7]
	v_cndmask_b32_e64 v54, v0, v2, s[6:7]
	;; [unrolled: 1-line block ×4, first 2 shown]
	v_mov_b64_e32 v[0:1], v[54:55]
; %bb.66:
	s_or_b64 exec, exec, s[0:1]
	s_or_b64 exec, exec, s[4:5]
	s_and_saveexec_b64 s[0:1], vcc
	s_xor_b64 s[4:5], exec, s[0:1]
	s_cbranch_execz .LBB1247_11
.LBB1247_67:
	v_mul_lo_u32 v64, v23, v6
	v_mul_lo_u32 v65, v22, v7
	v_mad_u64_u32 v[54:55], s[0:1], v22, v6, 0
	v_add3_u32 v55, v55, v65, v64
	v_mul_lo_u32 v66, v17, v6
	v_mul_lo_u32 v67, v16, v7
	v_mad_u64_u32 v[64:65], s[0:1], v16, v6, 0
	v_add3_u32 v65, v65, v67, v66
	v_lshl_add_u64 v[54:55], v[54:55], 1, v[8:9]
	v_lshl_add_u64 v[64:65], v[64:65], 1, v[8:9]
	s_mov_b64 s[14:15], 0
	v_mov_b64_e32 v[66:67], v[6:7]
                                        ; implicit-def: $sgpr6_sgpr7
                                        ; implicit-def: $sgpr16_sgpr17
                                        ; implicit-def: $sgpr18_sgpr19
                                        ; implicit-def: $sgpr20_sgpr21
                                        ; implicit-def: $sgpr22_sgpr23
	s_branch .LBB1247_69
.LBB1247_68:                            ;   in Loop: Header=BB1247_69 Depth=1
	s_or_b64 exec, exec, s[26:27]
	s_and_b64 s[0:1], exec, s[0:1]
	s_or_b64 s[14:15], s[0:1], s[14:15]
	s_andn2_b64 s[0:1], s[16:17], exec
	s_and_b64 s[16:17], s[18:19], exec
	s_or_b64 s[16:17], s[0:1], s[16:17]
	s_andn2_b64 s[0:1], s[6:7], exec
	s_and_b64 s[6:7], s[20:21], exec
	s_or_b64 s[6:7], s[0:1], s[6:7]
	s_andn2_b64 exec, exec, s[14:15]
	s_cbranch_execz .LBB1247_73
.LBB1247_69:                            ; =>This Inner Loop Header: Depth=1
	flat_load_ushort v68, v[64:65]
	flat_load_ushort v69, v[54:55]
	s_or_b64 s[20:21], s[20:21], exec
	s_mov_b64 s[24:25], 0
	s_waitcnt vmcnt(0) lgkmcnt(0)
	v_cmp_nlt_f16_e64 s[0:1], v68, v69
	s_and_saveexec_b64 s[26:27], s[0:1]
; %bb.70:                               ;   in Loop: Header=BB1247_69 Depth=1
	v_cmp_ngt_f16_e64 s[0:1], v68, v69
	s_and_b64 s[22:23], s[0:1], s[22:23]
	s_andn2_b64 s[20:21], s[20:21], exec
	s_and_b64 s[22:23], s[22:23], exec
	s_or_b64 s[20:21], s[20:21], s[22:23]
	s_and_b64 s[24:25], s[0:1], exec
; %bb.71:                               ;   in Loop: Header=BB1247_69 Depth=1
	s_or_b64 exec, exec, s[26:27]
	s_mov_b64 s[0:1], -1
	s_or_b64 s[18:19], s[18:19], exec
                                        ; implicit-def: $sgpr22_sgpr23
	s_and_saveexec_b64 s[26:27], s[24:25]
	s_cbranch_execz .LBB1247_68
; %bb.72:                               ;   in Loop: Header=BB1247_69 Depth=1
	v_lshl_add_u64 v[66:67], v[66:67], 0, -1
	v_cmp_eq_u64_e64 s[0:1], 0, v[66:67]
	v_lshl_add_u64 v[54:55], v[54:55], 0, 2
	v_lshl_add_u64 v[64:65], v[64:65], 0, 2
	s_and_b64 s[22:23], s[20:21], exec
	s_andn2_b64 s[18:19], s[18:19], exec
	s_orn2_b64 s[0:1], s[0:1], exec
	s_branch .LBB1247_68
.LBB1247_73:
	s_or_b64 exec, exec, s[14:15]
	s_and_saveexec_b64 s[0:1], s[16:17]
	s_xor_b64 s[0:1], exec, s[0:1]
; %bb.74:
	v_cndmask_b32_e64 v55, v23, v17, s[6:7]
	v_cndmask_b32_e64 v54, v22, v16, s[6:7]
	;; [unrolled: 1-line block ×4, first 2 shown]
	v_mov_b64_e32 v[22:23], v[54:55]
; %bb.75:
	s_or_b64 exec, exec, s[0:1]
	s_or_b64 exec, exec, s[4:5]
	s_and_saveexec_b64 s[4:5], vcc
	s_cbranch_execz .LBB1247_12
.LBB1247_76:
	v_mul_lo_u32 v64, v19, v6
	v_mul_lo_u32 v65, v18, v7
	v_mad_u64_u32 v[54:55], s[0:1], v18, v6, 0
	v_add3_u32 v55, v55, v65, v64
	v_mul_lo_u32 v66, v13, v6
	v_mul_lo_u32 v67, v12, v7
	v_mad_u64_u32 v[64:65], s[0:1], v12, v6, 0
	v_add3_u32 v65, v65, v67, v66
	v_lshl_add_u64 v[54:55], v[54:55], 1, v[8:9]
	v_lshl_add_u64 v[64:65], v[64:65], 1, v[8:9]
	s_mov_b64 s[14:15], 0
	v_mov_b64_e32 v[66:67], v[6:7]
                                        ; implicit-def: $sgpr6_sgpr7
                                        ; implicit-def: $sgpr16_sgpr17
                                        ; implicit-def: $sgpr18_sgpr19
                                        ; implicit-def: $sgpr20_sgpr21
                                        ; implicit-def: $sgpr22_sgpr23
	s_branch .LBB1247_78
.LBB1247_77:                            ;   in Loop: Header=BB1247_78 Depth=1
	s_or_b64 exec, exec, s[26:27]
	s_and_b64 s[0:1], exec, s[0:1]
	s_or_b64 s[14:15], s[0:1], s[14:15]
	s_andn2_b64 s[0:1], s[16:17], exec
	s_and_b64 s[16:17], s[18:19], exec
	s_or_b64 s[16:17], s[0:1], s[16:17]
	s_andn2_b64 s[0:1], s[6:7], exec
	s_and_b64 s[6:7], s[20:21], exec
	s_or_b64 s[6:7], s[0:1], s[6:7]
	s_andn2_b64 exec, exec, s[14:15]
	s_cbranch_execz .LBB1247_82
.LBB1247_78:                            ; =>This Inner Loop Header: Depth=1
	flat_load_ushort v68, v[64:65]
	flat_load_ushort v69, v[54:55]
	s_or_b64 s[20:21], s[20:21], exec
	s_mov_b64 s[24:25], 0
	s_waitcnt vmcnt(0) lgkmcnt(0)
	v_cmp_nlt_f16_e64 s[0:1], v68, v69
	s_and_saveexec_b64 s[26:27], s[0:1]
; %bb.79:                               ;   in Loop: Header=BB1247_78 Depth=1
	v_cmp_ngt_f16_e64 s[0:1], v68, v69
	s_and_b64 s[22:23], s[0:1], s[22:23]
	s_andn2_b64 s[20:21], s[20:21], exec
	s_and_b64 s[22:23], s[22:23], exec
	s_or_b64 s[20:21], s[20:21], s[22:23]
	s_and_b64 s[24:25], s[0:1], exec
; %bb.80:                               ;   in Loop: Header=BB1247_78 Depth=1
	s_or_b64 exec, exec, s[26:27]
	s_mov_b64 s[0:1], -1
	s_or_b64 s[18:19], s[18:19], exec
                                        ; implicit-def: $sgpr22_sgpr23
	s_and_saveexec_b64 s[26:27], s[24:25]
	s_cbranch_execz .LBB1247_77
; %bb.81:                               ;   in Loop: Header=BB1247_78 Depth=1
	v_lshl_add_u64 v[66:67], v[66:67], 0, -1
	v_cmp_eq_u64_e64 s[0:1], 0, v[66:67]
	v_lshl_add_u64 v[54:55], v[54:55], 0, 2
	v_lshl_add_u64 v[64:65], v[64:65], 0, 2
	s_and_b64 s[22:23], s[20:21], exec
	s_andn2_b64 s[18:19], s[18:19], exec
	s_orn2_b64 s[0:1], s[0:1], exec
	s_branch .LBB1247_77
.LBB1247_82:
	s_or_b64 exec, exec, s[14:15]
	s_and_saveexec_b64 s[0:1], s[16:17]
	s_xor_b64 s[0:1], exec, s[0:1]
; %bb.83:
	v_cndmask_b32_e64 v55, v19, v13, s[6:7]
	v_cndmask_b32_e64 v54, v18, v12, s[6:7]
	;; [unrolled: 1-line block ×4, first 2 shown]
	v_mov_b64_e32 v[18:19], v[54:55]
; %bb.84:
	s_or_b64 exec, exec, s[0:1]
	s_or_b64 exec, exec, s[4:5]
	s_and_saveexec_b64 s[4:5], vcc
	s_cbranch_execz .LBB1247_13
.LBB1247_85:
	v_mul_lo_u32 v64, v15, v6
	v_mul_lo_u32 v65, v14, v7
	v_mad_u64_u32 v[54:55], s[0:1], v14, v6, 0
	v_add3_u32 v55, v55, v65, v64
	v_mul_lo_u32 v66, v1, v6
	v_mul_lo_u32 v67, v0, v7
	v_mad_u64_u32 v[64:65], s[0:1], v0, v6, 0
	v_add3_u32 v65, v65, v67, v66
	v_lshl_add_u64 v[54:55], v[54:55], 1, v[8:9]
	v_lshl_add_u64 v[64:65], v[64:65], 1, v[8:9]
	s_mov_b64 s[14:15], 0
	v_mov_b64_e32 v[66:67], v[6:7]
                                        ; implicit-def: $sgpr6_sgpr7
                                        ; implicit-def: $sgpr16_sgpr17
                                        ; implicit-def: $sgpr18_sgpr19
                                        ; implicit-def: $sgpr20_sgpr21
                                        ; implicit-def: $sgpr22_sgpr23
	s_branch .LBB1247_87
.LBB1247_86:                            ;   in Loop: Header=BB1247_87 Depth=1
	s_or_b64 exec, exec, s[26:27]
	s_and_b64 s[0:1], exec, s[0:1]
	s_or_b64 s[14:15], s[0:1], s[14:15]
	s_andn2_b64 s[0:1], s[16:17], exec
	s_and_b64 s[16:17], s[18:19], exec
	s_or_b64 s[16:17], s[0:1], s[16:17]
	s_andn2_b64 s[0:1], s[6:7], exec
	s_and_b64 s[6:7], s[20:21], exec
	s_or_b64 s[6:7], s[0:1], s[6:7]
	s_andn2_b64 exec, exec, s[14:15]
	s_cbranch_execz .LBB1247_91
.LBB1247_87:                            ; =>This Inner Loop Header: Depth=1
	flat_load_ushort v68, v[64:65]
	flat_load_ushort v69, v[54:55]
	s_or_b64 s[20:21], s[20:21], exec
	s_mov_b64 s[24:25], 0
	s_waitcnt vmcnt(0) lgkmcnt(0)
	v_cmp_nlt_f16_e64 s[0:1], v68, v69
	s_and_saveexec_b64 s[26:27], s[0:1]
; %bb.88:                               ;   in Loop: Header=BB1247_87 Depth=1
	v_cmp_ngt_f16_e64 s[0:1], v68, v69
	s_and_b64 s[22:23], s[0:1], s[22:23]
	s_andn2_b64 s[20:21], s[20:21], exec
	s_and_b64 s[22:23], s[22:23], exec
	s_or_b64 s[20:21], s[20:21], s[22:23]
	s_and_b64 s[24:25], s[0:1], exec
; %bb.89:                               ;   in Loop: Header=BB1247_87 Depth=1
	s_or_b64 exec, exec, s[26:27]
	s_mov_b64 s[0:1], -1
	s_or_b64 s[18:19], s[18:19], exec
                                        ; implicit-def: $sgpr22_sgpr23
	s_and_saveexec_b64 s[26:27], s[24:25]
	s_cbranch_execz .LBB1247_86
; %bb.90:                               ;   in Loop: Header=BB1247_87 Depth=1
	v_lshl_add_u64 v[66:67], v[66:67], 0, -1
	v_cmp_eq_u64_e64 s[0:1], 0, v[66:67]
	v_lshl_add_u64 v[54:55], v[54:55], 0, 2
	v_lshl_add_u64 v[64:65], v[64:65], 0, 2
	s_and_b64 s[22:23], s[20:21], exec
	s_andn2_b64 s[18:19], s[18:19], exec
	s_orn2_b64 s[0:1], s[0:1], exec
	s_branch .LBB1247_86
.LBB1247_91:
	s_or_b64 exec, exec, s[14:15]
	s_and_saveexec_b64 s[0:1], s[16:17]
	s_xor_b64 s[0:1], exec, s[0:1]
; %bb.92:
	v_cndmask_b32_e64 v55, v15, v1, s[6:7]
	v_cndmask_b32_e64 v54, v14, v0, s[6:7]
	;; [unrolled: 1-line block ×4, first 2 shown]
	v_mov_b64_e32 v[14:15], v[54:55]
; %bb.93:
	s_or_b64 exec, exec, s[0:1]
	s_or_b64 exec, exec, s[4:5]
	s_and_saveexec_b64 s[4:5], vcc
	s_cbranch_execz .LBB1247_14
.LBB1247_94:
	v_mul_lo_u32 v64, v21, v6
	v_mul_lo_u32 v65, v20, v7
	v_mad_u64_u32 v[54:55], s[0:1], v20, v6, 0
	v_add3_u32 v55, v55, v65, v64
	v_mul_lo_u32 v66, v23, v6
	v_mul_lo_u32 v67, v22, v7
	v_mad_u64_u32 v[64:65], s[0:1], v22, v6, 0
	v_add3_u32 v65, v65, v67, v66
	v_lshl_add_u64 v[54:55], v[54:55], 1, v[8:9]
	v_lshl_add_u64 v[64:65], v[64:65], 1, v[8:9]
	s_mov_b64 s[14:15], 0
	v_mov_b64_e32 v[66:67], v[6:7]
                                        ; implicit-def: $sgpr6_sgpr7
                                        ; implicit-def: $sgpr16_sgpr17
                                        ; implicit-def: $sgpr18_sgpr19
                                        ; implicit-def: $sgpr20_sgpr21
                                        ; implicit-def: $sgpr22_sgpr23
	s_branch .LBB1247_96
.LBB1247_95:                            ;   in Loop: Header=BB1247_96 Depth=1
	s_or_b64 exec, exec, s[26:27]
	s_and_b64 s[0:1], exec, s[0:1]
	s_or_b64 s[14:15], s[0:1], s[14:15]
	s_andn2_b64 s[0:1], s[16:17], exec
	s_and_b64 s[16:17], s[18:19], exec
	s_or_b64 s[16:17], s[0:1], s[16:17]
	s_andn2_b64 s[0:1], s[6:7], exec
	s_and_b64 s[6:7], s[20:21], exec
	s_or_b64 s[6:7], s[0:1], s[6:7]
	s_andn2_b64 exec, exec, s[14:15]
	s_cbranch_execz .LBB1247_100
.LBB1247_96:                            ; =>This Inner Loop Header: Depth=1
	flat_load_ushort v68, v[64:65]
	flat_load_ushort v69, v[54:55]
	s_or_b64 s[20:21], s[20:21], exec
	s_mov_b64 s[24:25], 0
	s_waitcnt vmcnt(0) lgkmcnt(0)
	v_cmp_nlt_f16_e64 s[0:1], v68, v69
	s_and_saveexec_b64 s[26:27], s[0:1]
; %bb.97:                               ;   in Loop: Header=BB1247_96 Depth=1
	v_cmp_ngt_f16_e64 s[0:1], v68, v69
	s_and_b64 s[22:23], s[0:1], s[22:23]
	s_andn2_b64 s[20:21], s[20:21], exec
	s_and_b64 s[22:23], s[22:23], exec
	s_or_b64 s[20:21], s[20:21], s[22:23]
	s_and_b64 s[24:25], s[0:1], exec
; %bb.98:                               ;   in Loop: Header=BB1247_96 Depth=1
	s_or_b64 exec, exec, s[26:27]
	s_mov_b64 s[0:1], -1
	s_or_b64 s[18:19], s[18:19], exec
                                        ; implicit-def: $sgpr22_sgpr23
	s_and_saveexec_b64 s[26:27], s[24:25]
	s_cbranch_execz .LBB1247_95
; %bb.99:                               ;   in Loop: Header=BB1247_96 Depth=1
	v_lshl_add_u64 v[66:67], v[66:67], 0, -1
	v_cmp_eq_u64_e64 s[0:1], 0, v[66:67]
	v_lshl_add_u64 v[54:55], v[54:55], 0, 2
	v_lshl_add_u64 v[64:65], v[64:65], 0, 2
	s_and_b64 s[22:23], s[20:21], exec
	s_andn2_b64 s[18:19], s[18:19], exec
	s_orn2_b64 s[0:1], s[0:1], exec
	s_branch .LBB1247_95
.LBB1247_100:
	s_or_b64 exec, exec, s[14:15]
	s_and_saveexec_b64 s[0:1], s[16:17]
	s_xor_b64 s[0:1], exec, s[0:1]
; %bb.101:
	v_cndmask_b32_e64 v55, v23, v21, s[6:7]
	v_cndmask_b32_e64 v54, v22, v20, s[6:7]
	;; [unrolled: 1-line block ×4, first 2 shown]
	v_mov_b64_e32 v[22:23], v[54:55]
; %bb.102:
	s_or_b64 exec, exec, s[0:1]
	s_or_b64 exec, exec, s[4:5]
	s_and_saveexec_b64 s[4:5], vcc
	s_cbranch_execz .LBB1247_15
.LBB1247_103:
	v_mul_lo_u32 v64, v17, v6
	v_mul_lo_u32 v65, v16, v7
	v_mad_u64_u32 v[54:55], s[0:1], v16, v6, 0
	v_add3_u32 v55, v55, v65, v64
	v_mul_lo_u32 v66, v19, v6
	v_mul_lo_u32 v67, v18, v7
	v_mad_u64_u32 v[64:65], s[0:1], v18, v6, 0
	v_add3_u32 v65, v65, v67, v66
	v_lshl_add_u64 v[54:55], v[54:55], 1, v[8:9]
	v_lshl_add_u64 v[64:65], v[64:65], 1, v[8:9]
	s_mov_b64 s[14:15], 0
	v_mov_b64_e32 v[66:67], v[6:7]
                                        ; implicit-def: $sgpr6_sgpr7
                                        ; implicit-def: $sgpr16_sgpr17
                                        ; implicit-def: $sgpr18_sgpr19
                                        ; implicit-def: $sgpr20_sgpr21
                                        ; implicit-def: $sgpr22_sgpr23
	s_branch .LBB1247_105
.LBB1247_104:                           ;   in Loop: Header=BB1247_105 Depth=1
	s_or_b64 exec, exec, s[26:27]
	s_and_b64 s[0:1], exec, s[0:1]
	s_or_b64 s[14:15], s[0:1], s[14:15]
	s_andn2_b64 s[0:1], s[16:17], exec
	s_and_b64 s[16:17], s[18:19], exec
	s_or_b64 s[16:17], s[0:1], s[16:17]
	s_andn2_b64 s[0:1], s[6:7], exec
	s_and_b64 s[6:7], s[20:21], exec
	s_or_b64 s[6:7], s[0:1], s[6:7]
	s_andn2_b64 exec, exec, s[14:15]
	s_cbranch_execz .LBB1247_109
.LBB1247_105:                           ; =>This Inner Loop Header: Depth=1
	flat_load_ushort v68, v[64:65]
	flat_load_ushort v69, v[54:55]
	s_or_b64 s[20:21], s[20:21], exec
	s_mov_b64 s[24:25], 0
	s_waitcnt vmcnt(0) lgkmcnt(0)
	v_cmp_nlt_f16_e64 s[0:1], v68, v69
	s_and_saveexec_b64 s[26:27], s[0:1]
; %bb.106:                              ;   in Loop: Header=BB1247_105 Depth=1
	v_cmp_ngt_f16_e64 s[0:1], v68, v69
	s_and_b64 s[22:23], s[0:1], s[22:23]
	s_andn2_b64 s[20:21], s[20:21], exec
	s_and_b64 s[22:23], s[22:23], exec
	s_or_b64 s[20:21], s[20:21], s[22:23]
	s_and_b64 s[24:25], s[0:1], exec
; %bb.107:                              ;   in Loop: Header=BB1247_105 Depth=1
	s_or_b64 exec, exec, s[26:27]
	s_mov_b64 s[0:1], -1
	s_or_b64 s[18:19], s[18:19], exec
                                        ; implicit-def: $sgpr22_sgpr23
	s_and_saveexec_b64 s[26:27], s[24:25]
	s_cbranch_execz .LBB1247_104
; %bb.108:                              ;   in Loop: Header=BB1247_105 Depth=1
	v_lshl_add_u64 v[66:67], v[66:67], 0, -1
	v_cmp_eq_u64_e64 s[0:1], 0, v[66:67]
	v_lshl_add_u64 v[54:55], v[54:55], 0, 2
	v_lshl_add_u64 v[64:65], v[64:65], 0, 2
	s_and_b64 s[22:23], s[20:21], exec
	s_andn2_b64 s[18:19], s[18:19], exec
	s_orn2_b64 s[0:1], s[0:1], exec
	s_branch .LBB1247_104
.LBB1247_109:
	s_or_b64 exec, exec, s[14:15]
	s_and_saveexec_b64 s[0:1], s[16:17]
	s_xor_b64 s[0:1], exec, s[0:1]
; %bb.110:
	v_cndmask_b32_e64 v55, v17, v19, s[6:7]
	v_cndmask_b32_e64 v54, v16, v18, s[6:7]
	;; [unrolled: 1-line block ×4, first 2 shown]
	v_mov_b64_e32 v[16:17], v[54:55]
; %bb.111:
	s_or_b64 exec, exec, s[0:1]
	s_or_b64 exec, exec, s[4:5]
	s_and_saveexec_b64 s[4:5], vcc
	s_cbranch_execz .LBB1247_16
.LBB1247_112:
	v_mul_lo_u32 v64, v13, v6
	v_mul_lo_u32 v65, v12, v7
	v_mad_u64_u32 v[54:55], s[0:1], v12, v6, 0
	v_add3_u32 v55, v55, v65, v64
	v_mul_lo_u32 v66, v15, v6
	v_mul_lo_u32 v67, v14, v7
	v_mad_u64_u32 v[64:65], s[0:1], v14, v6, 0
	v_add3_u32 v65, v65, v67, v66
	v_lshl_add_u64 v[54:55], v[54:55], 1, v[8:9]
	v_lshl_add_u64 v[64:65], v[64:65], 1, v[8:9]
	s_mov_b64 s[14:15], 0
	v_mov_b64_e32 v[66:67], v[6:7]
                                        ; implicit-def: $sgpr6_sgpr7
                                        ; implicit-def: $sgpr16_sgpr17
                                        ; implicit-def: $sgpr18_sgpr19
                                        ; implicit-def: $sgpr20_sgpr21
                                        ; implicit-def: $sgpr22_sgpr23
	s_branch .LBB1247_114
.LBB1247_113:                           ;   in Loop: Header=BB1247_114 Depth=1
	s_or_b64 exec, exec, s[26:27]
	s_and_b64 s[0:1], exec, s[0:1]
	s_or_b64 s[14:15], s[0:1], s[14:15]
	s_andn2_b64 s[0:1], s[16:17], exec
	s_and_b64 s[16:17], s[18:19], exec
	s_or_b64 s[16:17], s[0:1], s[16:17]
	s_andn2_b64 s[0:1], s[6:7], exec
	s_and_b64 s[6:7], s[20:21], exec
	s_or_b64 s[6:7], s[0:1], s[6:7]
	s_andn2_b64 exec, exec, s[14:15]
	s_cbranch_execz .LBB1247_118
.LBB1247_114:                           ; =>This Inner Loop Header: Depth=1
	flat_load_ushort v68, v[64:65]
	flat_load_ushort v69, v[54:55]
	s_or_b64 s[20:21], s[20:21], exec
	s_mov_b64 s[24:25], 0
	s_waitcnt vmcnt(0) lgkmcnt(0)
	v_cmp_nlt_f16_e64 s[0:1], v68, v69
	s_and_saveexec_b64 s[26:27], s[0:1]
; %bb.115:                              ;   in Loop: Header=BB1247_114 Depth=1
	v_cmp_ngt_f16_e64 s[0:1], v68, v69
	s_and_b64 s[22:23], s[0:1], s[22:23]
	s_andn2_b64 s[20:21], s[20:21], exec
	s_and_b64 s[22:23], s[22:23], exec
	s_or_b64 s[20:21], s[20:21], s[22:23]
	s_and_b64 s[24:25], s[0:1], exec
; %bb.116:                              ;   in Loop: Header=BB1247_114 Depth=1
	s_or_b64 exec, exec, s[26:27]
	s_mov_b64 s[0:1], -1
	s_or_b64 s[18:19], s[18:19], exec
                                        ; implicit-def: $sgpr22_sgpr23
	s_and_saveexec_b64 s[26:27], s[24:25]
	s_cbranch_execz .LBB1247_113
; %bb.117:                              ;   in Loop: Header=BB1247_114 Depth=1
	v_lshl_add_u64 v[66:67], v[66:67], 0, -1
	v_cmp_eq_u64_e64 s[0:1], 0, v[66:67]
	v_lshl_add_u64 v[54:55], v[54:55], 0, 2
	v_lshl_add_u64 v[64:65], v[64:65], 0, 2
	s_and_b64 s[22:23], s[20:21], exec
	s_andn2_b64 s[18:19], s[18:19], exec
	s_orn2_b64 s[0:1], s[0:1], exec
	s_branch .LBB1247_113
.LBB1247_118:
	s_or_b64 exec, exec, s[14:15]
	s_and_saveexec_b64 s[0:1], s[16:17]
	s_xor_b64 s[0:1], exec, s[0:1]
; %bb.119:
	v_cndmask_b32_e64 v55, v13, v15, s[6:7]
	v_cndmask_b32_e64 v54, v12, v14, s[6:7]
	v_cndmask_b32_e64 v15, v15, v13, s[6:7]
	v_cndmask_b32_e64 v14, v14, v12, s[6:7]
	v_mov_b64_e32 v[12:13], v[54:55]
; %bb.120:
	s_or_b64 exec, exec, s[0:1]
	s_or_b64 exec, exec, s[4:5]
	s_and_saveexec_b64 s[4:5], vcc
	s_cbranch_execz .LBB1247_17
.LBB1247_121:
	v_mul_lo_u32 v64, v1, v6
	v_mul_lo_u32 v65, v0, v7
	v_mad_u64_u32 v[54:55], s[0:1], v0, v6, 0
	v_add3_u32 v55, v55, v65, v64
	v_mul_lo_u32 v66, v3, v6
	v_mul_lo_u32 v67, v2, v7
	v_mad_u64_u32 v[64:65], s[0:1], v2, v6, 0
	v_add3_u32 v65, v65, v67, v66
	v_lshl_add_u64 v[54:55], v[54:55], 1, v[8:9]
	v_lshl_add_u64 v[64:65], v[64:65], 1, v[8:9]
	s_mov_b64 s[14:15], 0
	v_mov_b64_e32 v[66:67], v[6:7]
                                        ; implicit-def: $sgpr6_sgpr7
                                        ; implicit-def: $sgpr16_sgpr17
                                        ; implicit-def: $sgpr18_sgpr19
                                        ; implicit-def: $sgpr20_sgpr21
                                        ; implicit-def: $sgpr22_sgpr23
	s_branch .LBB1247_123
.LBB1247_122:                           ;   in Loop: Header=BB1247_123 Depth=1
	s_or_b64 exec, exec, s[26:27]
	s_and_b64 s[0:1], exec, s[0:1]
	s_or_b64 s[14:15], s[0:1], s[14:15]
	s_andn2_b64 s[0:1], s[16:17], exec
	s_and_b64 s[16:17], s[18:19], exec
	s_or_b64 s[16:17], s[0:1], s[16:17]
	s_andn2_b64 s[0:1], s[6:7], exec
	s_and_b64 s[6:7], s[20:21], exec
	s_or_b64 s[6:7], s[0:1], s[6:7]
	s_andn2_b64 exec, exec, s[14:15]
	s_cbranch_execz .LBB1247_127
.LBB1247_123:                           ; =>This Inner Loop Header: Depth=1
	flat_load_ushort v68, v[64:65]
	flat_load_ushort v69, v[54:55]
	s_or_b64 s[20:21], s[20:21], exec
	s_mov_b64 s[24:25], 0
	s_waitcnt vmcnt(0) lgkmcnt(0)
	v_cmp_nlt_f16_e64 s[0:1], v68, v69
	s_and_saveexec_b64 s[26:27], s[0:1]
; %bb.124:                              ;   in Loop: Header=BB1247_123 Depth=1
	v_cmp_ngt_f16_e64 s[0:1], v68, v69
	s_and_b64 s[22:23], s[0:1], s[22:23]
	s_andn2_b64 s[20:21], s[20:21], exec
	s_and_b64 s[22:23], s[22:23], exec
	s_or_b64 s[20:21], s[20:21], s[22:23]
	s_and_b64 s[24:25], s[0:1], exec
; %bb.125:                              ;   in Loop: Header=BB1247_123 Depth=1
	s_or_b64 exec, exec, s[26:27]
	s_mov_b64 s[0:1], -1
	s_or_b64 s[18:19], s[18:19], exec
                                        ; implicit-def: $sgpr22_sgpr23
	s_and_saveexec_b64 s[26:27], s[24:25]
	s_cbranch_execz .LBB1247_122
; %bb.126:                              ;   in Loop: Header=BB1247_123 Depth=1
	v_lshl_add_u64 v[66:67], v[66:67], 0, -1
	v_cmp_eq_u64_e64 s[0:1], 0, v[66:67]
	v_lshl_add_u64 v[54:55], v[54:55], 0, 2
	v_lshl_add_u64 v[64:65], v[64:65], 0, 2
	s_and_b64 s[22:23], s[20:21], exec
	s_andn2_b64 s[18:19], s[18:19], exec
	s_orn2_b64 s[0:1], s[0:1], exec
	s_branch .LBB1247_122
.LBB1247_127:
	s_or_b64 exec, exec, s[14:15]
	s_and_saveexec_b64 s[0:1], s[16:17]
	s_xor_b64 s[0:1], exec, s[0:1]
; %bb.128:
	v_cndmask_b32_e64 v55, v1, v3, s[6:7]
	v_cndmask_b32_e64 v54, v0, v2, s[6:7]
	;; [unrolled: 1-line block ×4, first 2 shown]
	v_mov_b64_e32 v[0:1], v[54:55]
; %bb.129:
	s_or_b64 exec, exec, s[0:1]
	s_or_b64 exec, exec, s[4:5]
	s_and_saveexec_b64 s[4:5], vcc
	s_cbranch_execz .LBB1247_18
.LBB1247_130:
	v_mul_lo_u32 v64, v23, v6
	v_mul_lo_u32 v65, v22, v7
	v_mad_u64_u32 v[54:55], s[0:1], v22, v6, 0
	v_add3_u32 v55, v55, v65, v64
	v_mul_lo_u32 v66, v17, v6
	v_mul_lo_u32 v67, v16, v7
	v_mad_u64_u32 v[64:65], s[0:1], v16, v6, 0
	v_add3_u32 v65, v65, v67, v66
	v_lshl_add_u64 v[54:55], v[54:55], 1, v[8:9]
	v_lshl_add_u64 v[64:65], v[64:65], 1, v[8:9]
	s_mov_b64 s[14:15], 0
	v_mov_b64_e32 v[66:67], v[6:7]
                                        ; implicit-def: $sgpr6_sgpr7
                                        ; implicit-def: $sgpr16_sgpr17
                                        ; implicit-def: $sgpr18_sgpr19
                                        ; implicit-def: $sgpr20_sgpr21
                                        ; implicit-def: $sgpr22_sgpr23
	s_branch .LBB1247_132
.LBB1247_131:                           ;   in Loop: Header=BB1247_132 Depth=1
	s_or_b64 exec, exec, s[26:27]
	s_and_b64 s[0:1], exec, s[0:1]
	s_or_b64 s[14:15], s[0:1], s[14:15]
	s_andn2_b64 s[0:1], s[16:17], exec
	s_and_b64 s[16:17], s[18:19], exec
	s_or_b64 s[16:17], s[0:1], s[16:17]
	s_andn2_b64 s[0:1], s[6:7], exec
	s_and_b64 s[6:7], s[20:21], exec
	s_or_b64 s[6:7], s[0:1], s[6:7]
	s_andn2_b64 exec, exec, s[14:15]
	s_cbranch_execz .LBB1247_136
.LBB1247_132:                           ; =>This Inner Loop Header: Depth=1
	flat_load_ushort v68, v[64:65]
	flat_load_ushort v69, v[54:55]
	s_or_b64 s[20:21], s[20:21], exec
	s_mov_b64 s[24:25], 0
	s_waitcnt vmcnt(0) lgkmcnt(0)
	v_cmp_nlt_f16_e64 s[0:1], v68, v69
	s_and_saveexec_b64 s[26:27], s[0:1]
; %bb.133:                              ;   in Loop: Header=BB1247_132 Depth=1
	v_cmp_ngt_f16_e64 s[0:1], v68, v69
	s_and_b64 s[22:23], s[0:1], s[22:23]
	s_andn2_b64 s[20:21], s[20:21], exec
	s_and_b64 s[22:23], s[22:23], exec
	s_or_b64 s[20:21], s[20:21], s[22:23]
	s_and_b64 s[24:25], s[0:1], exec
; %bb.134:                              ;   in Loop: Header=BB1247_132 Depth=1
	s_or_b64 exec, exec, s[26:27]
	s_mov_b64 s[0:1], -1
	s_or_b64 s[18:19], s[18:19], exec
                                        ; implicit-def: $sgpr22_sgpr23
	s_and_saveexec_b64 s[26:27], s[24:25]
	s_cbranch_execz .LBB1247_131
; %bb.135:                              ;   in Loop: Header=BB1247_132 Depth=1
	v_lshl_add_u64 v[66:67], v[66:67], 0, -1
	v_cmp_eq_u64_e64 s[0:1], 0, v[66:67]
	v_lshl_add_u64 v[54:55], v[54:55], 0, 2
	v_lshl_add_u64 v[64:65], v[64:65], 0, 2
	s_and_b64 s[22:23], s[20:21], exec
	s_andn2_b64 s[18:19], s[18:19], exec
	s_orn2_b64 s[0:1], s[0:1], exec
	s_branch .LBB1247_131
.LBB1247_136:
	s_or_b64 exec, exec, s[14:15]
	s_and_saveexec_b64 s[0:1], s[16:17]
	s_xor_b64 s[0:1], exec, s[0:1]
; %bb.137:
	v_cndmask_b32_e64 v55, v23, v17, s[6:7]
	v_cndmask_b32_e64 v54, v22, v16, s[6:7]
	;; [unrolled: 1-line block ×4, first 2 shown]
	v_mov_b64_e32 v[22:23], v[54:55]
; %bb.138:
	s_or_b64 exec, exec, s[0:1]
	s_or_b64 exec, exec, s[4:5]
	s_and_saveexec_b64 s[4:5], vcc
	s_cbranch_execz .LBB1247_19
.LBB1247_139:
	v_mul_lo_u32 v64, v19, v6
	v_mul_lo_u32 v65, v18, v7
	v_mad_u64_u32 v[54:55], s[0:1], v18, v6, 0
	v_add3_u32 v55, v55, v65, v64
	v_mul_lo_u32 v66, v13, v6
	v_mul_lo_u32 v67, v12, v7
	v_mad_u64_u32 v[64:65], s[0:1], v12, v6, 0
	v_add3_u32 v65, v65, v67, v66
	v_lshl_add_u64 v[54:55], v[54:55], 1, v[8:9]
	v_lshl_add_u64 v[64:65], v[64:65], 1, v[8:9]
	s_mov_b64 s[14:15], 0
	v_mov_b64_e32 v[66:67], v[6:7]
                                        ; implicit-def: $sgpr6_sgpr7
                                        ; implicit-def: $sgpr16_sgpr17
                                        ; implicit-def: $sgpr18_sgpr19
                                        ; implicit-def: $sgpr20_sgpr21
                                        ; implicit-def: $sgpr22_sgpr23
	s_branch .LBB1247_141
.LBB1247_140:                           ;   in Loop: Header=BB1247_141 Depth=1
	s_or_b64 exec, exec, s[26:27]
	s_and_b64 s[0:1], exec, s[0:1]
	s_or_b64 s[14:15], s[0:1], s[14:15]
	s_andn2_b64 s[0:1], s[16:17], exec
	s_and_b64 s[16:17], s[18:19], exec
	s_or_b64 s[16:17], s[0:1], s[16:17]
	s_andn2_b64 s[0:1], s[6:7], exec
	s_and_b64 s[6:7], s[20:21], exec
	s_or_b64 s[6:7], s[0:1], s[6:7]
	s_andn2_b64 exec, exec, s[14:15]
	s_cbranch_execz .LBB1247_145
.LBB1247_141:                           ; =>This Inner Loop Header: Depth=1
	flat_load_ushort v68, v[64:65]
	flat_load_ushort v69, v[54:55]
	s_or_b64 s[20:21], s[20:21], exec
	s_mov_b64 s[24:25], 0
	s_waitcnt vmcnt(0) lgkmcnt(0)
	v_cmp_nlt_f16_e64 s[0:1], v68, v69
	s_and_saveexec_b64 s[26:27], s[0:1]
; %bb.142:                              ;   in Loop: Header=BB1247_141 Depth=1
	v_cmp_ngt_f16_e64 s[0:1], v68, v69
	s_and_b64 s[22:23], s[0:1], s[22:23]
	s_andn2_b64 s[20:21], s[20:21], exec
	s_and_b64 s[22:23], s[22:23], exec
	s_or_b64 s[20:21], s[20:21], s[22:23]
	s_and_b64 s[24:25], s[0:1], exec
; %bb.143:                              ;   in Loop: Header=BB1247_141 Depth=1
	s_or_b64 exec, exec, s[26:27]
	s_mov_b64 s[0:1], -1
	s_or_b64 s[18:19], s[18:19], exec
                                        ; implicit-def: $sgpr22_sgpr23
	s_and_saveexec_b64 s[26:27], s[24:25]
	s_cbranch_execz .LBB1247_140
; %bb.144:                              ;   in Loop: Header=BB1247_141 Depth=1
	v_lshl_add_u64 v[66:67], v[66:67], 0, -1
	v_cmp_eq_u64_e64 s[0:1], 0, v[66:67]
	v_lshl_add_u64 v[54:55], v[54:55], 0, 2
	v_lshl_add_u64 v[64:65], v[64:65], 0, 2
	s_and_b64 s[22:23], s[20:21], exec
	s_andn2_b64 s[18:19], s[18:19], exec
	s_orn2_b64 s[0:1], s[0:1], exec
	s_branch .LBB1247_140
.LBB1247_145:
	s_or_b64 exec, exec, s[14:15]
	s_and_saveexec_b64 s[0:1], s[16:17]
	s_xor_b64 s[0:1], exec, s[0:1]
; %bb.146:
	v_cndmask_b32_e64 v55, v19, v13, s[6:7]
	v_cndmask_b32_e64 v54, v18, v12, s[6:7]
	;; [unrolled: 1-line block ×4, first 2 shown]
	v_mov_b64_e32 v[18:19], v[54:55]
; %bb.147:
	s_or_b64 exec, exec, s[0:1]
	s_or_b64 exec, exec, s[4:5]
	s_and_saveexec_b64 s[4:5], vcc
	s_cbranch_execz .LBB1247_20
.LBB1247_148:
	v_mul_lo_u32 v64, v15, v6
	v_mul_lo_u32 v65, v14, v7
	v_mad_u64_u32 v[54:55], s[0:1], v14, v6, 0
	v_add3_u32 v55, v55, v65, v64
	v_mul_lo_u32 v66, v1, v6
	v_mul_lo_u32 v67, v0, v7
	v_mad_u64_u32 v[64:65], s[0:1], v0, v6, 0
	v_add3_u32 v65, v65, v67, v66
	v_lshl_add_u64 v[54:55], v[54:55], 1, v[8:9]
	v_lshl_add_u64 v[64:65], v[64:65], 1, v[8:9]
	s_mov_b64 s[14:15], 0
	v_mov_b64_e32 v[66:67], v[6:7]
                                        ; implicit-def: $sgpr6_sgpr7
                                        ; implicit-def: $sgpr16_sgpr17
                                        ; implicit-def: $sgpr18_sgpr19
                                        ; implicit-def: $sgpr20_sgpr21
                                        ; implicit-def: $sgpr22_sgpr23
	s_branch .LBB1247_150
.LBB1247_149:                           ;   in Loop: Header=BB1247_150 Depth=1
	s_or_b64 exec, exec, s[26:27]
	s_and_b64 s[0:1], exec, s[0:1]
	s_or_b64 s[14:15], s[0:1], s[14:15]
	s_andn2_b64 s[0:1], s[16:17], exec
	s_and_b64 s[16:17], s[18:19], exec
	s_or_b64 s[16:17], s[0:1], s[16:17]
	s_andn2_b64 s[0:1], s[6:7], exec
	s_and_b64 s[6:7], s[20:21], exec
	s_or_b64 s[6:7], s[0:1], s[6:7]
	s_andn2_b64 exec, exec, s[14:15]
	s_cbranch_execz .LBB1247_154
.LBB1247_150:                           ; =>This Inner Loop Header: Depth=1
	flat_load_ushort v68, v[64:65]
	flat_load_ushort v69, v[54:55]
	s_or_b64 s[20:21], s[20:21], exec
	s_mov_b64 s[24:25], 0
	s_waitcnt vmcnt(0) lgkmcnt(0)
	v_cmp_nlt_f16_e64 s[0:1], v68, v69
	s_and_saveexec_b64 s[26:27], s[0:1]
; %bb.151:                              ;   in Loop: Header=BB1247_150 Depth=1
	v_cmp_ngt_f16_e64 s[0:1], v68, v69
	s_and_b64 s[22:23], s[0:1], s[22:23]
	s_andn2_b64 s[20:21], s[20:21], exec
	s_and_b64 s[22:23], s[22:23], exec
	s_or_b64 s[20:21], s[20:21], s[22:23]
	s_and_b64 s[24:25], s[0:1], exec
; %bb.152:                              ;   in Loop: Header=BB1247_150 Depth=1
	s_or_b64 exec, exec, s[26:27]
	s_mov_b64 s[0:1], -1
	s_or_b64 s[18:19], s[18:19], exec
                                        ; implicit-def: $sgpr22_sgpr23
	s_and_saveexec_b64 s[26:27], s[24:25]
	s_cbranch_execz .LBB1247_149
; %bb.153:                              ;   in Loop: Header=BB1247_150 Depth=1
	v_lshl_add_u64 v[66:67], v[66:67], 0, -1
	v_cmp_eq_u64_e64 s[0:1], 0, v[66:67]
	v_lshl_add_u64 v[54:55], v[54:55], 0, 2
	v_lshl_add_u64 v[64:65], v[64:65], 0, 2
	s_and_b64 s[22:23], s[20:21], exec
	s_andn2_b64 s[18:19], s[18:19], exec
	s_orn2_b64 s[0:1], s[0:1], exec
	s_branch .LBB1247_149
.LBB1247_154:
	s_or_b64 exec, exec, s[14:15]
	s_and_saveexec_b64 s[0:1], s[16:17]
	s_xor_b64 s[0:1], exec, s[0:1]
; %bb.155:
	v_cndmask_b32_e64 v55, v15, v1, s[6:7]
	v_cndmask_b32_e64 v54, v14, v0, s[6:7]
	;; [unrolled: 1-line block ×4, first 2 shown]
	v_mov_b64_e32 v[14:15], v[54:55]
; %bb.156:
	s_or_b64 exec, exec, s[0:1]
	s_or_b64 exec, exec, s[4:5]
	s_and_saveexec_b64 s[4:5], vcc
	s_cbranch_execz .LBB1247_21
.LBB1247_157:
	v_mul_lo_u32 v64, v21, v6
	v_mul_lo_u32 v65, v20, v7
	v_mad_u64_u32 v[54:55], s[0:1], v20, v6, 0
	v_add3_u32 v55, v55, v65, v64
	v_mul_lo_u32 v66, v23, v6
	v_mul_lo_u32 v67, v22, v7
	v_mad_u64_u32 v[64:65], s[0:1], v22, v6, 0
	v_add3_u32 v65, v65, v67, v66
	v_lshl_add_u64 v[54:55], v[54:55], 1, v[8:9]
	v_lshl_add_u64 v[64:65], v[64:65], 1, v[8:9]
	s_mov_b64 s[14:15], 0
	v_mov_b64_e32 v[66:67], v[6:7]
                                        ; implicit-def: $sgpr6_sgpr7
                                        ; implicit-def: $sgpr16_sgpr17
                                        ; implicit-def: $sgpr18_sgpr19
                                        ; implicit-def: $sgpr20_sgpr21
                                        ; implicit-def: $sgpr22_sgpr23
	s_branch .LBB1247_159
.LBB1247_158:                           ;   in Loop: Header=BB1247_159 Depth=1
	s_or_b64 exec, exec, s[26:27]
	s_and_b64 s[0:1], exec, s[0:1]
	s_or_b64 s[14:15], s[0:1], s[14:15]
	s_andn2_b64 s[0:1], s[16:17], exec
	s_and_b64 s[16:17], s[18:19], exec
	s_or_b64 s[16:17], s[0:1], s[16:17]
	s_andn2_b64 s[0:1], s[6:7], exec
	s_and_b64 s[6:7], s[20:21], exec
	s_or_b64 s[6:7], s[0:1], s[6:7]
	s_andn2_b64 exec, exec, s[14:15]
	s_cbranch_execz .LBB1247_163
.LBB1247_159:                           ; =>This Inner Loop Header: Depth=1
	flat_load_ushort v68, v[64:65]
	flat_load_ushort v69, v[54:55]
	s_or_b64 s[20:21], s[20:21], exec
	s_mov_b64 s[24:25], 0
	s_waitcnt vmcnt(0) lgkmcnt(0)
	v_cmp_nlt_f16_e64 s[0:1], v68, v69
	s_and_saveexec_b64 s[26:27], s[0:1]
; %bb.160:                              ;   in Loop: Header=BB1247_159 Depth=1
	v_cmp_ngt_f16_e64 s[0:1], v68, v69
	s_and_b64 s[22:23], s[0:1], s[22:23]
	s_andn2_b64 s[20:21], s[20:21], exec
	s_and_b64 s[22:23], s[22:23], exec
	s_or_b64 s[20:21], s[20:21], s[22:23]
	s_and_b64 s[24:25], s[0:1], exec
; %bb.161:                              ;   in Loop: Header=BB1247_159 Depth=1
	s_or_b64 exec, exec, s[26:27]
	s_mov_b64 s[0:1], -1
	s_or_b64 s[18:19], s[18:19], exec
                                        ; implicit-def: $sgpr22_sgpr23
	s_and_saveexec_b64 s[26:27], s[24:25]
	s_cbranch_execz .LBB1247_158
; %bb.162:                              ;   in Loop: Header=BB1247_159 Depth=1
	v_lshl_add_u64 v[66:67], v[66:67], 0, -1
	v_cmp_eq_u64_e64 s[0:1], 0, v[66:67]
	v_lshl_add_u64 v[54:55], v[54:55], 0, 2
	v_lshl_add_u64 v[64:65], v[64:65], 0, 2
	s_and_b64 s[22:23], s[20:21], exec
	s_andn2_b64 s[18:19], s[18:19], exec
	s_orn2_b64 s[0:1], s[0:1], exec
	s_branch .LBB1247_158
.LBB1247_163:
	s_or_b64 exec, exec, s[14:15]
	s_and_saveexec_b64 s[0:1], s[16:17]
	s_xor_b64 s[0:1], exec, s[0:1]
; %bb.164:
	v_cndmask_b32_e64 v55, v23, v21, s[6:7]
	v_cndmask_b32_e64 v54, v22, v20, s[6:7]
	;; [unrolled: 1-line block ×4, first 2 shown]
	v_mov_b64_e32 v[22:23], v[54:55]
; %bb.165:
	s_or_b64 exec, exec, s[0:1]
	s_or_b64 exec, exec, s[4:5]
	s_and_saveexec_b64 s[4:5], vcc
	s_cbranch_execz .LBB1247_22
.LBB1247_166:
	v_mul_lo_u32 v64, v17, v6
	v_mul_lo_u32 v65, v16, v7
	v_mad_u64_u32 v[54:55], s[0:1], v16, v6, 0
	v_add3_u32 v55, v55, v65, v64
	v_mul_lo_u32 v66, v19, v6
	v_mul_lo_u32 v67, v18, v7
	v_mad_u64_u32 v[64:65], s[0:1], v18, v6, 0
	v_add3_u32 v65, v65, v67, v66
	v_lshl_add_u64 v[54:55], v[54:55], 1, v[8:9]
	v_lshl_add_u64 v[64:65], v[64:65], 1, v[8:9]
	s_mov_b64 s[14:15], 0
	v_mov_b64_e32 v[66:67], v[6:7]
                                        ; implicit-def: $sgpr6_sgpr7
                                        ; implicit-def: $sgpr16_sgpr17
                                        ; implicit-def: $sgpr18_sgpr19
                                        ; implicit-def: $sgpr20_sgpr21
                                        ; implicit-def: $sgpr22_sgpr23
	s_branch .LBB1247_168
.LBB1247_167:                           ;   in Loop: Header=BB1247_168 Depth=1
	s_or_b64 exec, exec, s[26:27]
	s_and_b64 s[0:1], exec, s[0:1]
	s_or_b64 s[14:15], s[0:1], s[14:15]
	s_andn2_b64 s[0:1], s[16:17], exec
	s_and_b64 s[16:17], s[18:19], exec
	s_or_b64 s[16:17], s[0:1], s[16:17]
	s_andn2_b64 s[0:1], s[6:7], exec
	s_and_b64 s[6:7], s[20:21], exec
	s_or_b64 s[6:7], s[0:1], s[6:7]
	s_andn2_b64 exec, exec, s[14:15]
	s_cbranch_execz .LBB1247_172
.LBB1247_168:                           ; =>This Inner Loop Header: Depth=1
	flat_load_ushort v68, v[64:65]
	flat_load_ushort v69, v[54:55]
	s_or_b64 s[20:21], s[20:21], exec
	s_mov_b64 s[24:25], 0
	s_waitcnt vmcnt(0) lgkmcnt(0)
	v_cmp_nlt_f16_e64 s[0:1], v68, v69
	s_and_saveexec_b64 s[26:27], s[0:1]
; %bb.169:                              ;   in Loop: Header=BB1247_168 Depth=1
	v_cmp_ngt_f16_e64 s[0:1], v68, v69
	s_and_b64 s[22:23], s[0:1], s[22:23]
	s_andn2_b64 s[20:21], s[20:21], exec
	s_and_b64 s[22:23], s[22:23], exec
	s_or_b64 s[20:21], s[20:21], s[22:23]
	s_and_b64 s[24:25], s[0:1], exec
; %bb.170:                              ;   in Loop: Header=BB1247_168 Depth=1
	s_or_b64 exec, exec, s[26:27]
	s_mov_b64 s[0:1], -1
	s_or_b64 s[18:19], s[18:19], exec
                                        ; implicit-def: $sgpr22_sgpr23
	s_and_saveexec_b64 s[26:27], s[24:25]
	s_cbranch_execz .LBB1247_167
; %bb.171:                              ;   in Loop: Header=BB1247_168 Depth=1
	v_lshl_add_u64 v[66:67], v[66:67], 0, -1
	v_cmp_eq_u64_e64 s[0:1], 0, v[66:67]
	v_lshl_add_u64 v[54:55], v[54:55], 0, 2
	v_lshl_add_u64 v[64:65], v[64:65], 0, 2
	s_and_b64 s[22:23], s[20:21], exec
	s_andn2_b64 s[18:19], s[18:19], exec
	s_orn2_b64 s[0:1], s[0:1], exec
	s_branch .LBB1247_167
.LBB1247_172:
	s_or_b64 exec, exec, s[14:15]
	s_and_saveexec_b64 s[0:1], s[16:17]
	s_xor_b64 s[0:1], exec, s[0:1]
; %bb.173:
	v_cndmask_b32_e64 v55, v17, v19, s[6:7]
	v_cndmask_b32_e64 v54, v16, v18, s[6:7]
	v_cndmask_b32_e64 v19, v19, v17, s[6:7]
	v_cndmask_b32_e64 v18, v18, v16, s[6:7]
	v_mov_b64_e32 v[16:17], v[54:55]
; %bb.174:
	s_or_b64 exec, exec, s[0:1]
	s_or_b64 exec, exec, s[4:5]
	s_and_saveexec_b64 s[4:5], vcc
	s_cbranch_execz .LBB1247_23
.LBB1247_175:
	v_mul_lo_u32 v64, v13, v6
	v_mul_lo_u32 v65, v12, v7
	v_mad_u64_u32 v[54:55], s[0:1], v12, v6, 0
	v_add3_u32 v55, v55, v65, v64
	v_mul_lo_u32 v66, v15, v6
	v_mul_lo_u32 v67, v14, v7
	v_mad_u64_u32 v[64:65], s[0:1], v14, v6, 0
	v_add3_u32 v65, v65, v67, v66
	v_lshl_add_u64 v[54:55], v[54:55], 1, v[8:9]
	v_lshl_add_u64 v[64:65], v[64:65], 1, v[8:9]
	s_mov_b64 s[14:15], 0
	v_mov_b64_e32 v[66:67], v[6:7]
                                        ; implicit-def: $sgpr6_sgpr7
                                        ; implicit-def: $sgpr16_sgpr17
                                        ; implicit-def: $sgpr18_sgpr19
                                        ; implicit-def: $sgpr20_sgpr21
                                        ; implicit-def: $sgpr22_sgpr23
	s_branch .LBB1247_177
.LBB1247_176:                           ;   in Loop: Header=BB1247_177 Depth=1
	s_or_b64 exec, exec, s[26:27]
	s_and_b64 s[0:1], exec, s[0:1]
	s_or_b64 s[14:15], s[0:1], s[14:15]
	s_andn2_b64 s[0:1], s[16:17], exec
	s_and_b64 s[16:17], s[18:19], exec
	s_or_b64 s[16:17], s[0:1], s[16:17]
	s_andn2_b64 s[0:1], s[6:7], exec
	s_and_b64 s[6:7], s[20:21], exec
	s_or_b64 s[6:7], s[0:1], s[6:7]
	s_andn2_b64 exec, exec, s[14:15]
	s_cbranch_execz .LBB1247_181
.LBB1247_177:                           ; =>This Inner Loop Header: Depth=1
	flat_load_ushort v68, v[64:65]
	flat_load_ushort v69, v[54:55]
	s_or_b64 s[20:21], s[20:21], exec
	s_mov_b64 s[24:25], 0
	s_waitcnt vmcnt(0) lgkmcnt(0)
	v_cmp_nlt_f16_e64 s[0:1], v68, v69
	s_and_saveexec_b64 s[26:27], s[0:1]
; %bb.178:                              ;   in Loop: Header=BB1247_177 Depth=1
	v_cmp_ngt_f16_e64 s[0:1], v68, v69
	s_and_b64 s[22:23], s[0:1], s[22:23]
	s_andn2_b64 s[20:21], s[20:21], exec
	s_and_b64 s[22:23], s[22:23], exec
	s_or_b64 s[20:21], s[20:21], s[22:23]
	s_and_b64 s[24:25], s[0:1], exec
; %bb.179:                              ;   in Loop: Header=BB1247_177 Depth=1
	s_or_b64 exec, exec, s[26:27]
	s_mov_b64 s[0:1], -1
	s_or_b64 s[18:19], s[18:19], exec
                                        ; implicit-def: $sgpr22_sgpr23
	s_and_saveexec_b64 s[26:27], s[24:25]
	s_cbranch_execz .LBB1247_176
; %bb.180:                              ;   in Loop: Header=BB1247_177 Depth=1
	v_lshl_add_u64 v[66:67], v[66:67], 0, -1
	v_cmp_eq_u64_e64 s[0:1], 0, v[66:67]
	v_lshl_add_u64 v[54:55], v[54:55], 0, 2
	v_lshl_add_u64 v[64:65], v[64:65], 0, 2
	s_and_b64 s[22:23], s[20:21], exec
	s_andn2_b64 s[18:19], s[18:19], exec
	s_orn2_b64 s[0:1], s[0:1], exec
	s_branch .LBB1247_176
.LBB1247_181:
	s_or_b64 exec, exec, s[14:15]
	s_and_saveexec_b64 s[0:1], s[16:17]
	s_xor_b64 s[0:1], exec, s[0:1]
; %bb.182:
	v_cndmask_b32_e64 v55, v13, v15, s[6:7]
	v_cndmask_b32_e64 v54, v12, v14, s[6:7]
	;; [unrolled: 1-line block ×4, first 2 shown]
	v_mov_b64_e32 v[12:13], v[54:55]
; %bb.183:
	s_or_b64 exec, exec, s[0:1]
	s_or_b64 exec, exec, s[4:5]
	s_and_saveexec_b64 s[4:5], vcc
	s_cbranch_execz .LBB1247_24
.LBB1247_184:
	v_mul_lo_u32 v64, v1, v6
	v_mul_lo_u32 v65, v0, v7
	v_mad_u64_u32 v[54:55], s[0:1], v0, v6, 0
	v_add3_u32 v55, v55, v65, v64
	v_mul_lo_u32 v66, v3, v6
	v_mul_lo_u32 v67, v2, v7
	v_mad_u64_u32 v[64:65], s[0:1], v2, v6, 0
	v_add3_u32 v65, v65, v67, v66
	v_lshl_add_u64 v[54:55], v[54:55], 1, v[8:9]
	v_lshl_add_u64 v[64:65], v[64:65], 1, v[8:9]
	s_mov_b64 s[14:15], 0
	v_mov_b64_e32 v[66:67], v[6:7]
                                        ; implicit-def: $sgpr6_sgpr7
                                        ; implicit-def: $sgpr16_sgpr17
                                        ; implicit-def: $sgpr18_sgpr19
                                        ; implicit-def: $sgpr20_sgpr21
                                        ; implicit-def: $sgpr22_sgpr23
	s_branch .LBB1247_186
.LBB1247_185:                           ;   in Loop: Header=BB1247_186 Depth=1
	s_or_b64 exec, exec, s[26:27]
	s_and_b64 s[0:1], exec, s[0:1]
	s_or_b64 s[14:15], s[0:1], s[14:15]
	s_andn2_b64 s[0:1], s[16:17], exec
	s_and_b64 s[16:17], s[18:19], exec
	s_or_b64 s[16:17], s[0:1], s[16:17]
	s_andn2_b64 s[0:1], s[6:7], exec
	s_and_b64 s[6:7], s[20:21], exec
	s_or_b64 s[6:7], s[0:1], s[6:7]
	s_andn2_b64 exec, exec, s[14:15]
	s_cbranch_execz .LBB1247_190
.LBB1247_186:                           ; =>This Inner Loop Header: Depth=1
	flat_load_ushort v68, v[64:65]
	flat_load_ushort v69, v[54:55]
	s_or_b64 s[20:21], s[20:21], exec
	s_mov_b64 s[24:25], 0
	s_waitcnt vmcnt(0) lgkmcnt(0)
	v_cmp_nlt_f16_e64 s[0:1], v68, v69
	s_and_saveexec_b64 s[26:27], s[0:1]
; %bb.187:                              ;   in Loop: Header=BB1247_186 Depth=1
	v_cmp_ngt_f16_e64 s[0:1], v68, v69
	s_and_b64 s[22:23], s[0:1], s[22:23]
	s_andn2_b64 s[20:21], s[20:21], exec
	s_and_b64 s[22:23], s[22:23], exec
	s_or_b64 s[20:21], s[20:21], s[22:23]
	s_and_b64 s[24:25], s[0:1], exec
; %bb.188:                              ;   in Loop: Header=BB1247_186 Depth=1
	s_or_b64 exec, exec, s[26:27]
	s_mov_b64 s[0:1], -1
	s_or_b64 s[18:19], s[18:19], exec
                                        ; implicit-def: $sgpr22_sgpr23
	s_and_saveexec_b64 s[26:27], s[24:25]
	s_cbranch_execz .LBB1247_185
; %bb.189:                              ;   in Loop: Header=BB1247_186 Depth=1
	v_lshl_add_u64 v[66:67], v[66:67], 0, -1
	v_cmp_eq_u64_e64 s[0:1], 0, v[66:67]
	v_lshl_add_u64 v[54:55], v[54:55], 0, 2
	v_lshl_add_u64 v[64:65], v[64:65], 0, 2
	s_and_b64 s[22:23], s[20:21], exec
	s_andn2_b64 s[18:19], s[18:19], exec
	s_orn2_b64 s[0:1], s[0:1], exec
	s_branch .LBB1247_185
.LBB1247_190:
	s_or_b64 exec, exec, s[14:15]
	s_and_saveexec_b64 s[0:1], s[16:17]
	s_xor_b64 s[0:1], exec, s[0:1]
; %bb.191:
	v_cndmask_b32_e64 v55, v1, v3, s[6:7]
	v_cndmask_b32_e64 v54, v0, v2, s[6:7]
	;; [unrolled: 1-line block ×4, first 2 shown]
	v_mov_b64_e32 v[0:1], v[54:55]
; %bb.192:
	s_or_b64 exec, exec, s[0:1]
	s_or_b64 exec, exec, s[4:5]
	s_and_saveexec_b64 s[4:5], vcc
	s_cbranch_execz .LBB1247_25
.LBB1247_193:
	v_mul_lo_u32 v64, v23, v6
	v_mul_lo_u32 v65, v22, v7
	v_mad_u64_u32 v[54:55], s[0:1], v22, v6, 0
	v_add3_u32 v55, v55, v65, v64
	v_mul_lo_u32 v66, v17, v6
	v_mul_lo_u32 v67, v16, v7
	v_mad_u64_u32 v[64:65], s[0:1], v16, v6, 0
	v_add3_u32 v65, v65, v67, v66
	v_lshl_add_u64 v[54:55], v[54:55], 1, v[8:9]
	v_lshl_add_u64 v[64:65], v[64:65], 1, v[8:9]
	s_mov_b64 s[14:15], 0
	v_mov_b64_e32 v[66:67], v[6:7]
                                        ; implicit-def: $sgpr6_sgpr7
                                        ; implicit-def: $sgpr16_sgpr17
                                        ; implicit-def: $sgpr18_sgpr19
                                        ; implicit-def: $sgpr20_sgpr21
                                        ; implicit-def: $sgpr22_sgpr23
	s_branch .LBB1247_195
.LBB1247_194:                           ;   in Loop: Header=BB1247_195 Depth=1
	s_or_b64 exec, exec, s[26:27]
	s_and_b64 s[0:1], exec, s[0:1]
	s_or_b64 s[14:15], s[0:1], s[14:15]
	s_andn2_b64 s[0:1], s[16:17], exec
	s_and_b64 s[16:17], s[18:19], exec
	s_or_b64 s[16:17], s[0:1], s[16:17]
	s_andn2_b64 s[0:1], s[6:7], exec
	s_and_b64 s[6:7], s[20:21], exec
	s_or_b64 s[6:7], s[0:1], s[6:7]
	s_andn2_b64 exec, exec, s[14:15]
	s_cbranch_execz .LBB1247_199
.LBB1247_195:                           ; =>This Inner Loop Header: Depth=1
	flat_load_ushort v68, v[64:65]
	flat_load_ushort v69, v[54:55]
	s_or_b64 s[20:21], s[20:21], exec
	s_mov_b64 s[24:25], 0
	s_waitcnt vmcnt(0) lgkmcnt(0)
	v_cmp_nlt_f16_e64 s[0:1], v68, v69
	s_and_saveexec_b64 s[26:27], s[0:1]
; %bb.196:                              ;   in Loop: Header=BB1247_195 Depth=1
	v_cmp_ngt_f16_e64 s[0:1], v68, v69
	s_and_b64 s[22:23], s[0:1], s[22:23]
	s_andn2_b64 s[20:21], s[20:21], exec
	s_and_b64 s[22:23], s[22:23], exec
	s_or_b64 s[20:21], s[20:21], s[22:23]
	s_and_b64 s[24:25], s[0:1], exec
; %bb.197:                              ;   in Loop: Header=BB1247_195 Depth=1
	s_or_b64 exec, exec, s[26:27]
	s_mov_b64 s[0:1], -1
	s_or_b64 s[18:19], s[18:19], exec
                                        ; implicit-def: $sgpr22_sgpr23
	s_and_saveexec_b64 s[26:27], s[24:25]
	s_cbranch_execz .LBB1247_194
; %bb.198:                              ;   in Loop: Header=BB1247_195 Depth=1
	v_lshl_add_u64 v[66:67], v[66:67], 0, -1
	v_cmp_eq_u64_e64 s[0:1], 0, v[66:67]
	v_lshl_add_u64 v[54:55], v[54:55], 0, 2
	v_lshl_add_u64 v[64:65], v[64:65], 0, 2
	s_and_b64 s[22:23], s[20:21], exec
	s_andn2_b64 s[18:19], s[18:19], exec
	s_orn2_b64 s[0:1], s[0:1], exec
	s_branch .LBB1247_194
.LBB1247_199:
	s_or_b64 exec, exec, s[14:15]
	s_and_saveexec_b64 s[0:1], s[16:17]
	s_xor_b64 s[0:1], exec, s[0:1]
; %bb.200:
	v_cndmask_b32_e64 v55, v23, v17, s[6:7]
	v_cndmask_b32_e64 v54, v22, v16, s[6:7]
	;; [unrolled: 1-line block ×4, first 2 shown]
	v_mov_b64_e32 v[22:23], v[54:55]
; %bb.201:
	s_or_b64 exec, exec, s[0:1]
	s_or_b64 exec, exec, s[4:5]
	s_and_saveexec_b64 s[4:5], vcc
	s_cbranch_execz .LBB1247_26
.LBB1247_202:
	v_mul_lo_u32 v64, v19, v6
	v_mul_lo_u32 v65, v18, v7
	v_mad_u64_u32 v[54:55], s[0:1], v18, v6, 0
	v_add3_u32 v55, v55, v65, v64
	v_mul_lo_u32 v66, v13, v6
	v_mul_lo_u32 v67, v12, v7
	v_mad_u64_u32 v[64:65], s[0:1], v12, v6, 0
	v_add3_u32 v65, v65, v67, v66
	v_lshl_add_u64 v[54:55], v[54:55], 1, v[8:9]
	v_lshl_add_u64 v[64:65], v[64:65], 1, v[8:9]
	s_mov_b64 s[14:15], 0
	v_mov_b64_e32 v[66:67], v[6:7]
                                        ; implicit-def: $sgpr6_sgpr7
                                        ; implicit-def: $sgpr16_sgpr17
                                        ; implicit-def: $sgpr18_sgpr19
                                        ; implicit-def: $sgpr20_sgpr21
                                        ; implicit-def: $sgpr22_sgpr23
	s_branch .LBB1247_204
.LBB1247_203:                           ;   in Loop: Header=BB1247_204 Depth=1
	s_or_b64 exec, exec, s[26:27]
	s_and_b64 s[0:1], exec, s[0:1]
	s_or_b64 s[14:15], s[0:1], s[14:15]
	s_andn2_b64 s[0:1], s[16:17], exec
	s_and_b64 s[16:17], s[18:19], exec
	s_or_b64 s[16:17], s[0:1], s[16:17]
	s_andn2_b64 s[0:1], s[6:7], exec
	s_and_b64 s[6:7], s[20:21], exec
	s_or_b64 s[6:7], s[0:1], s[6:7]
	s_andn2_b64 exec, exec, s[14:15]
	s_cbranch_execz .LBB1247_208
.LBB1247_204:                           ; =>This Inner Loop Header: Depth=1
	flat_load_ushort v68, v[64:65]
	flat_load_ushort v69, v[54:55]
	s_or_b64 s[20:21], s[20:21], exec
	s_mov_b64 s[24:25], 0
	s_waitcnt vmcnt(0) lgkmcnt(0)
	v_cmp_nlt_f16_e64 s[0:1], v68, v69
	s_and_saveexec_b64 s[26:27], s[0:1]
; %bb.205:                              ;   in Loop: Header=BB1247_204 Depth=1
	v_cmp_ngt_f16_e64 s[0:1], v68, v69
	s_and_b64 s[22:23], s[0:1], s[22:23]
	s_andn2_b64 s[20:21], s[20:21], exec
	s_and_b64 s[22:23], s[22:23], exec
	s_or_b64 s[20:21], s[20:21], s[22:23]
	s_and_b64 s[24:25], s[0:1], exec
; %bb.206:                              ;   in Loop: Header=BB1247_204 Depth=1
	s_or_b64 exec, exec, s[26:27]
	s_mov_b64 s[0:1], -1
	s_or_b64 s[18:19], s[18:19], exec
                                        ; implicit-def: $sgpr22_sgpr23
	s_and_saveexec_b64 s[26:27], s[24:25]
	s_cbranch_execz .LBB1247_203
; %bb.207:                              ;   in Loop: Header=BB1247_204 Depth=1
	v_lshl_add_u64 v[66:67], v[66:67], 0, -1
	v_cmp_eq_u64_e64 s[0:1], 0, v[66:67]
	v_lshl_add_u64 v[54:55], v[54:55], 0, 2
	v_lshl_add_u64 v[64:65], v[64:65], 0, 2
	s_and_b64 s[22:23], s[20:21], exec
	s_andn2_b64 s[18:19], s[18:19], exec
	s_orn2_b64 s[0:1], s[0:1], exec
	s_branch .LBB1247_203
.LBB1247_208:
	s_or_b64 exec, exec, s[14:15]
	s_and_saveexec_b64 s[0:1], s[16:17]
	s_xor_b64 s[0:1], exec, s[0:1]
; %bb.209:
	v_cndmask_b32_e64 v55, v19, v13, s[6:7]
	v_cndmask_b32_e64 v54, v18, v12, s[6:7]
	;; [unrolled: 1-line block ×4, first 2 shown]
	v_mov_b64_e32 v[18:19], v[54:55]
; %bb.210:
	s_or_b64 exec, exec, s[0:1]
	s_or_b64 exec, exec, s[4:5]
	s_and_saveexec_b64 s[4:5], vcc
	s_cbranch_execz .LBB1247_27
.LBB1247_211:
	v_mul_lo_u32 v64, v15, v6
	v_mul_lo_u32 v65, v14, v7
	v_mad_u64_u32 v[54:55], s[0:1], v14, v6, 0
	v_add3_u32 v55, v55, v65, v64
	v_mul_lo_u32 v66, v1, v6
	v_mul_lo_u32 v67, v0, v7
	v_mad_u64_u32 v[64:65], s[0:1], v0, v6, 0
	v_add3_u32 v65, v65, v67, v66
	v_lshl_add_u64 v[54:55], v[54:55], 1, v[8:9]
	v_lshl_add_u64 v[64:65], v[64:65], 1, v[8:9]
	s_mov_b64 s[14:15], 0
	v_mov_b64_e32 v[66:67], v[6:7]
                                        ; implicit-def: $sgpr6_sgpr7
                                        ; implicit-def: $sgpr16_sgpr17
                                        ; implicit-def: $sgpr18_sgpr19
                                        ; implicit-def: $sgpr20_sgpr21
                                        ; implicit-def: $sgpr22_sgpr23
	s_branch .LBB1247_213
.LBB1247_212:                           ;   in Loop: Header=BB1247_213 Depth=1
	s_or_b64 exec, exec, s[26:27]
	s_and_b64 s[0:1], exec, s[0:1]
	s_or_b64 s[14:15], s[0:1], s[14:15]
	s_andn2_b64 s[0:1], s[16:17], exec
	s_and_b64 s[16:17], s[18:19], exec
	s_or_b64 s[16:17], s[0:1], s[16:17]
	s_andn2_b64 s[0:1], s[6:7], exec
	s_and_b64 s[6:7], s[20:21], exec
	s_or_b64 s[6:7], s[0:1], s[6:7]
	s_andn2_b64 exec, exec, s[14:15]
	s_cbranch_execz .LBB1247_217
.LBB1247_213:                           ; =>This Inner Loop Header: Depth=1
	flat_load_ushort v68, v[64:65]
	flat_load_ushort v69, v[54:55]
	s_or_b64 s[20:21], s[20:21], exec
	s_mov_b64 s[24:25], 0
	s_waitcnt vmcnt(0) lgkmcnt(0)
	v_cmp_nlt_f16_e64 s[0:1], v68, v69
	s_and_saveexec_b64 s[26:27], s[0:1]
; %bb.214:                              ;   in Loop: Header=BB1247_213 Depth=1
	v_cmp_ngt_f16_e64 s[0:1], v68, v69
	s_and_b64 s[22:23], s[0:1], s[22:23]
	s_andn2_b64 s[20:21], s[20:21], exec
	s_and_b64 s[22:23], s[22:23], exec
	s_or_b64 s[20:21], s[20:21], s[22:23]
	s_and_b64 s[24:25], s[0:1], exec
; %bb.215:                              ;   in Loop: Header=BB1247_213 Depth=1
	s_or_b64 exec, exec, s[26:27]
	s_mov_b64 s[0:1], -1
	s_or_b64 s[18:19], s[18:19], exec
                                        ; implicit-def: $sgpr22_sgpr23
	s_and_saveexec_b64 s[26:27], s[24:25]
	s_cbranch_execz .LBB1247_212
; %bb.216:                              ;   in Loop: Header=BB1247_213 Depth=1
	v_lshl_add_u64 v[66:67], v[66:67], 0, -1
	v_cmp_eq_u64_e64 s[0:1], 0, v[66:67]
	v_lshl_add_u64 v[54:55], v[54:55], 0, 2
	v_lshl_add_u64 v[64:65], v[64:65], 0, 2
	s_and_b64 s[22:23], s[20:21], exec
	s_andn2_b64 s[18:19], s[18:19], exec
	s_orn2_b64 s[0:1], s[0:1], exec
	s_branch .LBB1247_212
.LBB1247_217:
	s_or_b64 exec, exec, s[14:15]
	s_and_saveexec_b64 s[0:1], s[16:17]
	s_xor_b64 s[0:1], exec, s[0:1]
; %bb.218:
	v_cndmask_b32_e64 v55, v15, v1, s[6:7]
	v_cndmask_b32_e64 v54, v14, v0, s[6:7]
	;; [unrolled: 1-line block ×4, first 2 shown]
	v_mov_b64_e32 v[14:15], v[54:55]
; %bb.219:
	s_or_b64 exec, exec, s[0:1]
	s_or_b64 exec, exec, s[4:5]
	s_and_saveexec_b64 s[4:5], vcc
	s_cbranch_execz .LBB1247_28
.LBB1247_220:
	v_mul_lo_u32 v64, v21, v6
	v_mul_lo_u32 v65, v20, v7
	v_mad_u64_u32 v[54:55], s[0:1], v20, v6, 0
	v_add3_u32 v55, v55, v65, v64
	v_mul_lo_u32 v66, v23, v6
	v_mul_lo_u32 v67, v22, v7
	v_mad_u64_u32 v[64:65], s[0:1], v22, v6, 0
	v_add3_u32 v65, v65, v67, v66
	v_lshl_add_u64 v[54:55], v[54:55], 1, v[8:9]
	v_lshl_add_u64 v[64:65], v[64:65], 1, v[8:9]
	s_mov_b64 s[14:15], 0
	v_mov_b64_e32 v[66:67], v[6:7]
                                        ; implicit-def: $sgpr6_sgpr7
                                        ; implicit-def: $sgpr16_sgpr17
                                        ; implicit-def: $sgpr18_sgpr19
                                        ; implicit-def: $sgpr20_sgpr21
                                        ; implicit-def: $sgpr22_sgpr23
	s_branch .LBB1247_222
.LBB1247_221:                           ;   in Loop: Header=BB1247_222 Depth=1
	s_or_b64 exec, exec, s[26:27]
	s_and_b64 s[0:1], exec, s[0:1]
	s_or_b64 s[14:15], s[0:1], s[14:15]
	s_andn2_b64 s[0:1], s[16:17], exec
	s_and_b64 s[16:17], s[18:19], exec
	s_or_b64 s[16:17], s[0:1], s[16:17]
	s_andn2_b64 s[0:1], s[6:7], exec
	s_and_b64 s[6:7], s[20:21], exec
	s_or_b64 s[6:7], s[0:1], s[6:7]
	s_andn2_b64 exec, exec, s[14:15]
	s_cbranch_execz .LBB1247_226
.LBB1247_222:                           ; =>This Inner Loop Header: Depth=1
	flat_load_ushort v68, v[64:65]
	flat_load_ushort v69, v[54:55]
	s_or_b64 s[20:21], s[20:21], exec
	s_mov_b64 s[24:25], 0
	s_waitcnt vmcnt(0) lgkmcnt(0)
	v_cmp_nlt_f16_e64 s[0:1], v68, v69
	s_and_saveexec_b64 s[26:27], s[0:1]
; %bb.223:                              ;   in Loop: Header=BB1247_222 Depth=1
	v_cmp_ngt_f16_e64 s[0:1], v68, v69
	s_and_b64 s[22:23], s[0:1], s[22:23]
	s_andn2_b64 s[20:21], s[20:21], exec
	s_and_b64 s[22:23], s[22:23], exec
	s_or_b64 s[20:21], s[20:21], s[22:23]
	s_and_b64 s[24:25], s[0:1], exec
; %bb.224:                              ;   in Loop: Header=BB1247_222 Depth=1
	s_or_b64 exec, exec, s[26:27]
	s_mov_b64 s[0:1], -1
	s_or_b64 s[18:19], s[18:19], exec
                                        ; implicit-def: $sgpr22_sgpr23
	s_and_saveexec_b64 s[26:27], s[24:25]
	s_cbranch_execz .LBB1247_221
; %bb.225:                              ;   in Loop: Header=BB1247_222 Depth=1
	v_lshl_add_u64 v[66:67], v[66:67], 0, -1
	v_cmp_eq_u64_e64 s[0:1], 0, v[66:67]
	v_lshl_add_u64 v[54:55], v[54:55], 0, 2
	v_lshl_add_u64 v[64:65], v[64:65], 0, 2
	s_and_b64 s[22:23], s[20:21], exec
	s_andn2_b64 s[18:19], s[18:19], exec
	s_orn2_b64 s[0:1], s[0:1], exec
	s_branch .LBB1247_221
.LBB1247_226:
	s_or_b64 exec, exec, s[14:15]
	s_and_saveexec_b64 s[0:1], s[16:17]
	s_xor_b64 s[0:1], exec, s[0:1]
; %bb.227:
	v_cndmask_b32_e64 v55, v23, v21, s[6:7]
	v_cndmask_b32_e64 v54, v22, v20, s[6:7]
	;; [unrolled: 1-line block ×4, first 2 shown]
	v_mov_b64_e32 v[22:23], v[54:55]
; %bb.228:
	s_or_b64 exec, exec, s[0:1]
	v_mul_lo_u32 v64, v17, v6
	v_mul_lo_u32 v65, v16, v7
	v_mad_u64_u32 v[54:55], s[0:1], v16, v6, 0
	v_add3_u32 v55, v55, v65, v64
	v_mul_lo_u32 v66, v19, v6
	v_mul_lo_u32 v67, v18, v7
	v_mad_u64_u32 v[64:65], s[0:1], v18, v6, 0
	v_add3_u32 v65, v65, v67, v66
	v_lshl_add_u64 v[54:55], v[54:55], 1, v[8:9]
	v_lshl_add_u64 v[64:65], v[64:65], 1, v[8:9]
	s_mov_b64 s[14:15], 0
	v_mov_b64_e32 v[66:67], v[6:7]
                                        ; implicit-def: $sgpr6_sgpr7
                                        ; implicit-def: $sgpr16_sgpr17
                                        ; implicit-def: $sgpr18_sgpr19
                                        ; implicit-def: $sgpr20_sgpr21
                                        ; implicit-def: $sgpr22_sgpr23
	s_branch .LBB1247_230
.LBB1247_229:                           ;   in Loop: Header=BB1247_230 Depth=1
	s_or_b64 exec, exec, s[26:27]
	s_and_b64 s[0:1], exec, s[0:1]
	s_or_b64 s[14:15], s[0:1], s[14:15]
	s_andn2_b64 s[0:1], s[16:17], exec
	s_and_b64 s[16:17], s[18:19], exec
	s_or_b64 s[16:17], s[0:1], s[16:17]
	s_andn2_b64 s[0:1], s[6:7], exec
	s_and_b64 s[6:7], s[20:21], exec
	s_or_b64 s[6:7], s[0:1], s[6:7]
	s_andn2_b64 exec, exec, s[14:15]
	s_cbranch_execz .LBB1247_234
.LBB1247_230:                           ; =>This Inner Loop Header: Depth=1
	flat_load_ushort v68, v[64:65]
	flat_load_ushort v69, v[54:55]
	s_or_b64 s[20:21], s[20:21], exec
	s_mov_b64 s[24:25], 0
	s_waitcnt vmcnt(0) lgkmcnt(0)
	v_cmp_nlt_f16_e64 s[0:1], v68, v69
	s_and_saveexec_b64 s[26:27], s[0:1]
; %bb.231:                              ;   in Loop: Header=BB1247_230 Depth=1
	v_cmp_ngt_f16_e64 s[0:1], v68, v69
	s_and_b64 s[22:23], s[0:1], s[22:23]
	s_andn2_b64 s[20:21], s[20:21], exec
	s_and_b64 s[22:23], s[22:23], exec
	s_or_b64 s[20:21], s[20:21], s[22:23]
	s_and_b64 s[24:25], s[0:1], exec
; %bb.232:                              ;   in Loop: Header=BB1247_230 Depth=1
	s_or_b64 exec, exec, s[26:27]
	s_mov_b64 s[0:1], -1
	s_or_b64 s[18:19], s[18:19], exec
                                        ; implicit-def: $sgpr22_sgpr23
	s_and_saveexec_b64 s[26:27], s[24:25]
	s_cbranch_execz .LBB1247_229
; %bb.233:                              ;   in Loop: Header=BB1247_230 Depth=1
	v_lshl_add_u64 v[66:67], v[66:67], 0, -1
	v_cmp_eq_u64_e64 s[0:1], 0, v[66:67]
	v_lshl_add_u64 v[54:55], v[54:55], 0, 2
	v_lshl_add_u64 v[64:65], v[64:65], 0, 2
	s_and_b64 s[22:23], s[20:21], exec
	s_andn2_b64 s[18:19], s[18:19], exec
	s_orn2_b64 s[0:1], s[0:1], exec
	s_branch .LBB1247_229
.LBB1247_234:
	s_or_b64 exec, exec, s[14:15]
	s_and_saveexec_b64 s[0:1], s[16:17]
	s_xor_b64 s[0:1], exec, s[0:1]
; %bb.235:
	v_cndmask_b32_e64 v55, v17, v19, s[6:7]
	v_cndmask_b32_e64 v54, v16, v18, s[6:7]
	;; [unrolled: 1-line block ×4, first 2 shown]
	v_mov_b64_e32 v[16:17], v[54:55]
; %bb.236:
	s_or_b64 exec, exec, s[0:1]
	v_mul_lo_u32 v64, v13, v6
	v_mul_lo_u32 v65, v12, v7
	v_mad_u64_u32 v[54:55], s[0:1], v12, v6, 0
	v_add3_u32 v55, v55, v65, v64
	v_mul_lo_u32 v66, v15, v6
	v_mul_lo_u32 v67, v14, v7
	v_mad_u64_u32 v[64:65], s[0:1], v14, v6, 0
	v_add3_u32 v65, v65, v67, v66
	v_lshl_add_u64 v[54:55], v[54:55], 1, v[8:9]
	v_lshl_add_u64 v[64:65], v[64:65], 1, v[8:9]
	s_mov_b64 s[14:15], 0
	v_mov_b64_e32 v[66:67], v[6:7]
                                        ; implicit-def: $sgpr6_sgpr7
                                        ; implicit-def: $sgpr16_sgpr17
                                        ; implicit-def: $sgpr18_sgpr19
                                        ; implicit-def: $sgpr20_sgpr21
                                        ; implicit-def: $sgpr22_sgpr23
	s_branch .LBB1247_238
.LBB1247_237:                           ;   in Loop: Header=BB1247_238 Depth=1
	s_or_b64 exec, exec, s[26:27]
	s_and_b64 s[0:1], exec, s[0:1]
	s_or_b64 s[14:15], s[0:1], s[14:15]
	s_andn2_b64 s[0:1], s[16:17], exec
	s_and_b64 s[16:17], s[18:19], exec
	s_or_b64 s[16:17], s[0:1], s[16:17]
	s_andn2_b64 s[0:1], s[6:7], exec
	s_and_b64 s[6:7], s[20:21], exec
	s_or_b64 s[6:7], s[0:1], s[6:7]
	s_andn2_b64 exec, exec, s[14:15]
	s_cbranch_execz .LBB1247_242
.LBB1247_238:                           ; =>This Inner Loop Header: Depth=1
	flat_load_ushort v68, v[64:65]
	flat_load_ushort v69, v[54:55]
	s_or_b64 s[20:21], s[20:21], exec
	s_mov_b64 s[24:25], 0
	s_waitcnt vmcnt(0) lgkmcnt(0)
	v_cmp_nlt_f16_e64 s[0:1], v68, v69
	s_and_saveexec_b64 s[26:27], s[0:1]
; %bb.239:                              ;   in Loop: Header=BB1247_238 Depth=1
	v_cmp_ngt_f16_e64 s[0:1], v68, v69
	s_and_b64 s[22:23], s[0:1], s[22:23]
	s_andn2_b64 s[20:21], s[20:21], exec
	s_and_b64 s[22:23], s[22:23], exec
	s_or_b64 s[20:21], s[20:21], s[22:23]
	s_and_b64 s[24:25], s[0:1], exec
; %bb.240:                              ;   in Loop: Header=BB1247_238 Depth=1
	s_or_b64 exec, exec, s[26:27]
	s_mov_b64 s[0:1], -1
	s_or_b64 s[18:19], s[18:19], exec
                                        ; implicit-def: $sgpr22_sgpr23
	s_and_saveexec_b64 s[26:27], s[24:25]
	s_cbranch_execz .LBB1247_237
; %bb.241:                              ;   in Loop: Header=BB1247_238 Depth=1
	v_lshl_add_u64 v[66:67], v[66:67], 0, -1
	v_cmp_eq_u64_e64 s[0:1], 0, v[66:67]
	v_lshl_add_u64 v[54:55], v[54:55], 0, 2
	v_lshl_add_u64 v[64:65], v[64:65], 0, 2
	s_and_b64 s[22:23], s[20:21], exec
	s_andn2_b64 s[18:19], s[18:19], exec
	s_orn2_b64 s[0:1], s[0:1], exec
	s_branch .LBB1247_237
.LBB1247_242:
	s_or_b64 exec, exec, s[14:15]
	s_and_saveexec_b64 s[0:1], s[16:17]
	s_xor_b64 s[0:1], exec, s[0:1]
; %bb.243:
	v_cndmask_b32_e64 v55, v13, v15, s[6:7]
	v_cndmask_b32_e64 v54, v12, v14, s[6:7]
	;; [unrolled: 1-line block ×4, first 2 shown]
	v_mov_b64_e32 v[12:13], v[54:55]
; %bb.244:
	s_or_b64 exec, exec, s[0:1]
	v_mul_lo_u32 v64, v1, v6
	v_mul_lo_u32 v65, v0, v7
	v_mad_u64_u32 v[54:55], s[0:1], v0, v6, 0
	v_add3_u32 v55, v55, v65, v64
	v_mul_lo_u32 v66, v3, v6
	v_mul_lo_u32 v67, v2, v7
	v_mad_u64_u32 v[64:65], s[0:1], v2, v6, 0
	v_add3_u32 v65, v65, v67, v66
	v_lshl_add_u64 v[54:55], v[54:55], 1, v[8:9]
	v_lshl_add_u64 v[64:65], v[64:65], 1, v[8:9]
	s_mov_b64 s[16:17], 0
	v_mov_b64_e32 v[66:67], v[6:7]
                                        ; implicit-def: $sgpr6_sgpr7
                                        ; implicit-def: $sgpr14_sgpr15
                                        ; implicit-def: $sgpr18_sgpr19
                                        ; implicit-def: $sgpr20_sgpr21
                                        ; implicit-def: $sgpr22_sgpr23
	s_branch .LBB1247_246
.LBB1247_245:                           ;   in Loop: Header=BB1247_246 Depth=1
	s_or_b64 exec, exec, s[26:27]
	s_and_b64 s[0:1], exec, s[0:1]
	s_or_b64 s[16:17], s[0:1], s[16:17]
	s_andn2_b64 s[0:1], s[14:15], exec
	s_and_b64 s[14:15], s[18:19], exec
	s_or_b64 s[14:15], s[0:1], s[14:15]
	s_andn2_b64 s[0:1], s[6:7], exec
	s_and_b64 s[6:7], s[20:21], exec
	s_or_b64 s[6:7], s[0:1], s[6:7]
	s_andn2_b64 exec, exec, s[16:17]
	s_cbranch_execz .LBB1247_250
.LBB1247_246:                           ; =>This Inner Loop Header: Depth=1
	flat_load_ushort v68, v[64:65]
	flat_load_ushort v69, v[54:55]
	s_or_b64 s[20:21], s[20:21], exec
	s_mov_b64 s[24:25], 0
	s_waitcnt vmcnt(0) lgkmcnt(0)
	v_cmp_nlt_f16_e64 s[0:1], v68, v69
	s_and_saveexec_b64 s[26:27], s[0:1]
; %bb.247:                              ;   in Loop: Header=BB1247_246 Depth=1
	v_cmp_ngt_f16_e64 s[0:1], v68, v69
	s_and_b64 s[22:23], s[0:1], s[22:23]
	s_andn2_b64 s[20:21], s[20:21], exec
	s_and_b64 s[22:23], s[22:23], exec
	s_or_b64 s[20:21], s[20:21], s[22:23]
	s_and_b64 s[24:25], s[0:1], exec
; %bb.248:                              ;   in Loop: Header=BB1247_246 Depth=1
	s_or_b64 exec, exec, s[26:27]
	s_mov_b64 s[0:1], -1
	s_or_b64 s[18:19], s[18:19], exec
                                        ; implicit-def: $sgpr22_sgpr23
	s_and_saveexec_b64 s[26:27], s[24:25]
	s_cbranch_execz .LBB1247_245
; %bb.249:                              ;   in Loop: Header=BB1247_246 Depth=1
	v_lshl_add_u64 v[66:67], v[66:67], 0, -1
	v_cmp_eq_u64_e64 s[0:1], 0, v[66:67]
	v_lshl_add_u64 v[54:55], v[54:55], 0, 2
	v_lshl_add_u64 v[64:65], v[64:65], 0, 2
	s_and_b64 s[22:23], s[20:21], exec
	s_andn2_b64 s[18:19], s[18:19], exec
	s_orn2_b64 s[0:1], s[0:1], exec
	s_branch .LBB1247_245
.LBB1247_250:
	s_or_b64 exec, exec, s[16:17]
	s_and_saveexec_b64 s[0:1], s[14:15]
	s_xor_b64 s[0:1], exec, s[0:1]
; %bb.251:
	v_cndmask_b32_e64 v55, v1, v3, s[6:7]
	v_cndmask_b32_e64 v54, v0, v2, s[6:7]
	;; [unrolled: 1-line block ×4, first 2 shown]
	v_mov_b64_e32 v[0:1], v[54:55]
; %bb.252:
	s_or_b64 exec, exec, s[0:1]
	s_or_b64 exec, exec, s[4:5]
	s_and_saveexec_b64 s[4:5], vcc
	s_cbranch_execz .LBB1247_29
.LBB1247_253:
	v_mul_lo_u32 v64, v23, v6
	v_mul_lo_u32 v65, v22, v7
	v_mad_u64_u32 v[54:55], s[0:1], v22, v6, 0
	v_add3_u32 v55, v55, v65, v64
	v_mul_lo_u32 v66, v17, v6
	v_mul_lo_u32 v67, v16, v7
	v_mad_u64_u32 v[64:65], s[0:1], v16, v6, 0
	v_add3_u32 v65, v65, v67, v66
	v_lshl_add_u64 v[54:55], v[54:55], 1, v[8:9]
	v_lshl_add_u64 v[64:65], v[64:65], 1, v[8:9]
	s_mov_b64 s[14:15], 0
	v_mov_b64_e32 v[66:67], v[6:7]
                                        ; implicit-def: $sgpr6_sgpr7
                                        ; implicit-def: $sgpr16_sgpr17
                                        ; implicit-def: $sgpr18_sgpr19
                                        ; implicit-def: $sgpr20_sgpr21
                                        ; implicit-def: $sgpr22_sgpr23
	s_branch .LBB1247_255
.LBB1247_254:                           ;   in Loop: Header=BB1247_255 Depth=1
	s_or_b64 exec, exec, s[26:27]
	s_and_b64 s[0:1], exec, s[0:1]
	s_or_b64 s[14:15], s[0:1], s[14:15]
	s_andn2_b64 s[0:1], s[16:17], exec
	s_and_b64 s[16:17], s[18:19], exec
	s_or_b64 s[16:17], s[0:1], s[16:17]
	s_andn2_b64 s[0:1], s[6:7], exec
	s_and_b64 s[6:7], s[20:21], exec
	s_or_b64 s[6:7], s[0:1], s[6:7]
	s_andn2_b64 exec, exec, s[14:15]
	s_cbranch_execz .LBB1247_259
.LBB1247_255:                           ; =>This Inner Loop Header: Depth=1
	flat_load_ushort v68, v[64:65]
	flat_load_ushort v69, v[54:55]
	s_or_b64 s[20:21], s[20:21], exec
	s_mov_b64 s[24:25], 0
	s_waitcnt vmcnt(0) lgkmcnt(0)
	v_cmp_nlt_f16_e64 s[0:1], v68, v69
	s_and_saveexec_b64 s[26:27], s[0:1]
; %bb.256:                              ;   in Loop: Header=BB1247_255 Depth=1
	v_cmp_ngt_f16_e64 s[0:1], v68, v69
	s_and_b64 s[22:23], s[0:1], s[22:23]
	s_andn2_b64 s[20:21], s[20:21], exec
	s_and_b64 s[22:23], s[22:23], exec
	s_or_b64 s[20:21], s[20:21], s[22:23]
	s_and_b64 s[24:25], s[0:1], exec
; %bb.257:                              ;   in Loop: Header=BB1247_255 Depth=1
	s_or_b64 exec, exec, s[26:27]
	s_mov_b64 s[0:1], -1
	s_or_b64 s[18:19], s[18:19], exec
                                        ; implicit-def: $sgpr22_sgpr23
	s_and_saveexec_b64 s[26:27], s[24:25]
	s_cbranch_execz .LBB1247_254
; %bb.258:                              ;   in Loop: Header=BB1247_255 Depth=1
	v_lshl_add_u64 v[66:67], v[66:67], 0, -1
	v_cmp_eq_u64_e64 s[0:1], 0, v[66:67]
	v_lshl_add_u64 v[54:55], v[54:55], 0, 2
	v_lshl_add_u64 v[64:65], v[64:65], 0, 2
	s_and_b64 s[22:23], s[20:21], exec
	s_andn2_b64 s[18:19], s[18:19], exec
	s_orn2_b64 s[0:1], s[0:1], exec
	s_branch .LBB1247_254
.LBB1247_259:
	s_or_b64 exec, exec, s[14:15]
	s_and_saveexec_b64 s[0:1], s[16:17]
	s_xor_b64 s[0:1], exec, s[0:1]
; %bb.260:
	v_cndmask_b32_e64 v55, v23, v17, s[6:7]
	v_cndmask_b32_e64 v54, v22, v16, s[6:7]
	;; [unrolled: 1-line block ×4, first 2 shown]
	v_mov_b64_e32 v[22:23], v[54:55]
; %bb.261:
	s_or_b64 exec, exec, s[0:1]
	s_or_b64 exec, exec, s[4:5]
	s_and_saveexec_b64 s[4:5], vcc
	s_cbranch_execz .LBB1247_30
.LBB1247_262:
	v_mul_lo_u32 v64, v19, v6
	v_mul_lo_u32 v65, v18, v7
	v_mad_u64_u32 v[54:55], s[0:1], v18, v6, 0
	v_add3_u32 v55, v55, v65, v64
	v_mul_lo_u32 v66, v13, v6
	v_mul_lo_u32 v67, v12, v7
	v_mad_u64_u32 v[64:65], s[0:1], v12, v6, 0
	v_add3_u32 v65, v65, v67, v66
	v_lshl_add_u64 v[54:55], v[54:55], 1, v[8:9]
	v_lshl_add_u64 v[64:65], v[64:65], 1, v[8:9]
	s_mov_b64 s[14:15], 0
	v_mov_b64_e32 v[66:67], v[6:7]
                                        ; implicit-def: $sgpr6_sgpr7
                                        ; implicit-def: $sgpr16_sgpr17
                                        ; implicit-def: $sgpr18_sgpr19
                                        ; implicit-def: $sgpr20_sgpr21
                                        ; implicit-def: $sgpr22_sgpr23
	s_branch .LBB1247_264
.LBB1247_263:                           ;   in Loop: Header=BB1247_264 Depth=1
	s_or_b64 exec, exec, s[26:27]
	s_and_b64 s[0:1], exec, s[0:1]
	s_or_b64 s[14:15], s[0:1], s[14:15]
	s_andn2_b64 s[0:1], s[16:17], exec
	s_and_b64 s[16:17], s[18:19], exec
	s_or_b64 s[16:17], s[0:1], s[16:17]
	s_andn2_b64 s[0:1], s[6:7], exec
	s_and_b64 s[6:7], s[20:21], exec
	s_or_b64 s[6:7], s[0:1], s[6:7]
	s_andn2_b64 exec, exec, s[14:15]
	s_cbranch_execz .LBB1247_268
.LBB1247_264:                           ; =>This Inner Loop Header: Depth=1
	flat_load_ushort v68, v[64:65]
	flat_load_ushort v69, v[54:55]
	s_or_b64 s[20:21], s[20:21], exec
	s_mov_b64 s[24:25], 0
	s_waitcnt vmcnt(0) lgkmcnt(0)
	v_cmp_nlt_f16_e64 s[0:1], v68, v69
	s_and_saveexec_b64 s[26:27], s[0:1]
; %bb.265:                              ;   in Loop: Header=BB1247_264 Depth=1
	v_cmp_ngt_f16_e64 s[0:1], v68, v69
	s_and_b64 s[22:23], s[0:1], s[22:23]
	s_andn2_b64 s[20:21], s[20:21], exec
	s_and_b64 s[22:23], s[22:23], exec
	s_or_b64 s[20:21], s[20:21], s[22:23]
	s_and_b64 s[24:25], s[0:1], exec
; %bb.266:                              ;   in Loop: Header=BB1247_264 Depth=1
	s_or_b64 exec, exec, s[26:27]
	s_mov_b64 s[0:1], -1
	s_or_b64 s[18:19], s[18:19], exec
                                        ; implicit-def: $sgpr22_sgpr23
	s_and_saveexec_b64 s[26:27], s[24:25]
	s_cbranch_execz .LBB1247_263
; %bb.267:                              ;   in Loop: Header=BB1247_264 Depth=1
	v_lshl_add_u64 v[66:67], v[66:67], 0, -1
	v_cmp_eq_u64_e64 s[0:1], 0, v[66:67]
	v_lshl_add_u64 v[54:55], v[54:55], 0, 2
	v_lshl_add_u64 v[64:65], v[64:65], 0, 2
	s_and_b64 s[22:23], s[20:21], exec
	s_andn2_b64 s[18:19], s[18:19], exec
	s_orn2_b64 s[0:1], s[0:1], exec
	s_branch .LBB1247_263
.LBB1247_268:
	s_or_b64 exec, exec, s[14:15]
	s_and_saveexec_b64 s[0:1], s[16:17]
	s_xor_b64 s[0:1], exec, s[0:1]
; %bb.269:
	v_cndmask_b32_e64 v55, v19, v13, s[6:7]
	v_cndmask_b32_e64 v54, v18, v12, s[6:7]
	;; [unrolled: 1-line block ×4, first 2 shown]
	v_mov_b64_e32 v[18:19], v[54:55]
; %bb.270:
	s_or_b64 exec, exec, s[0:1]
	s_or_b64 exec, exec, s[4:5]
	s_and_saveexec_b64 s[4:5], vcc
	s_cbranch_execz .LBB1247_280
.LBB1247_271:
	v_mul_lo_u32 v64, v15, v6
	v_mul_lo_u32 v65, v14, v7
	v_mad_u64_u32 v[54:55], s[0:1], v14, v6, 0
	v_add3_u32 v55, v55, v65, v64
	v_mul_lo_u32 v66, v1, v6
	v_mul_lo_u32 v67, v0, v7
	v_mad_u64_u32 v[64:65], s[0:1], v0, v6, 0
	v_add3_u32 v65, v65, v67, v66
	v_lshl_add_u64 v[54:55], v[54:55], 1, v[8:9]
	v_lshl_add_u64 v[64:65], v[64:65], 1, v[8:9]
	s_mov_b64 s[16:17], 0
	v_mov_b64_e32 v[66:67], v[6:7]
                                        ; implicit-def: $sgpr6_sgpr7
                                        ; implicit-def: $sgpr14_sgpr15
                                        ; implicit-def: $sgpr18_sgpr19
                                        ; implicit-def: $sgpr20_sgpr21
                                        ; implicit-def: $sgpr22_sgpr23
	s_branch .LBB1247_273
.LBB1247_272:                           ;   in Loop: Header=BB1247_273 Depth=1
	s_or_b64 exec, exec, s[26:27]
	s_and_b64 s[0:1], exec, s[0:1]
	s_or_b64 s[16:17], s[0:1], s[16:17]
	s_andn2_b64 s[0:1], s[14:15], exec
	s_and_b64 s[14:15], s[18:19], exec
	s_or_b64 s[14:15], s[0:1], s[14:15]
	s_andn2_b64 s[0:1], s[6:7], exec
	s_and_b64 s[6:7], s[20:21], exec
	s_or_b64 s[6:7], s[0:1], s[6:7]
	s_andn2_b64 exec, exec, s[16:17]
	s_cbranch_execz .LBB1247_277
.LBB1247_273:                           ; =>This Inner Loop Header: Depth=1
	flat_load_ushort v68, v[64:65]
	flat_load_ushort v69, v[54:55]
	s_or_b64 s[20:21], s[20:21], exec
	s_mov_b64 s[24:25], 0
	s_waitcnt vmcnt(0) lgkmcnt(0)
	v_cmp_nlt_f16_e64 s[0:1], v68, v69
	s_and_saveexec_b64 s[26:27], s[0:1]
; %bb.274:                              ;   in Loop: Header=BB1247_273 Depth=1
	v_cmp_ngt_f16_e64 s[0:1], v68, v69
	s_and_b64 s[22:23], s[0:1], s[22:23]
	s_andn2_b64 s[20:21], s[20:21], exec
	s_and_b64 s[22:23], s[22:23], exec
	s_or_b64 s[20:21], s[20:21], s[22:23]
	s_and_b64 s[24:25], s[0:1], exec
; %bb.275:                              ;   in Loop: Header=BB1247_273 Depth=1
	s_or_b64 exec, exec, s[26:27]
	s_mov_b64 s[0:1], -1
	s_or_b64 s[18:19], s[18:19], exec
                                        ; implicit-def: $sgpr22_sgpr23
	s_and_saveexec_b64 s[26:27], s[24:25]
	s_cbranch_execz .LBB1247_272
; %bb.276:                              ;   in Loop: Header=BB1247_273 Depth=1
	v_lshl_add_u64 v[66:67], v[66:67], 0, -1
	v_cmp_eq_u64_e64 s[0:1], 0, v[66:67]
	v_lshl_add_u64 v[54:55], v[54:55], 0, 2
	v_lshl_add_u64 v[64:65], v[64:65], 0, 2
	s_and_b64 s[22:23], s[20:21], exec
	s_andn2_b64 s[18:19], s[18:19], exec
	s_orn2_b64 s[0:1], s[0:1], exec
	s_branch .LBB1247_272
.LBB1247_277:
	s_or_b64 exec, exec, s[16:17]
	s_and_saveexec_b64 s[0:1], s[14:15]
	s_xor_b64 s[0:1], exec, s[0:1]
; %bb.278:
	v_cndmask_b32_e64 v55, v15, v1, s[6:7]
	v_cndmask_b32_e64 v54, v14, v0, s[6:7]
	;; [unrolled: 1-line block ×4, first 2 shown]
	v_mov_b64_e32 v[14:15], v[54:55]
; %bb.279:
	s_or_b64 exec, exec, s[0:1]
.LBB1247_280:
	s_or_b64 exec, exec, s[4:5]
.LBB1247_281:
	s_or_b64 exec, exec, s[2:3]
	v_mbcnt_lo_u32_b32 v54, -1, 0
	v_mbcnt_hi_u32_b32 v64, -1, v54
	v_and_b32_e32 v66, 0xfffffe00, v31
	s_movk_i32 s0, 0x800
	v_mov_b32_e32 v67, 0
	v_sub_u32_e64 v31, s0, v66 clamp
	v_lshl_add_u64 v[54:55], v[66:67], 3, v[10:11]
	v_lshlrev_b32_e32 v98, 3, v64
	v_lshlrev_b32_e32 v66, 6, v64
	v_lshl_add_u64 v[64:65], v[54:55], 0, v[66:67]
	v_or_b32_e32 v66, 8, v98
	v_min_u32_e32 v99, v31, v66
	v_add_u32_e32 v66, 8, v99
	v_and_b32_e32 v101, 0x3f0, v98
	v_min_u32_e32 v100, v31, v66
	v_and_b32_e32 v66, 8, v98
	v_min_u32_e32 v102, v31, v66
	v_sub_u32_e32 v66, v99, v101
	v_sub_u32_e32 v68, v100, v99
	v_sub_u32_e64 v103, v102, v68 clamp
	v_min_u32_e32 v112, v102, v66
	v_cmp_lt_u32_e64 s[0:1], v103, v112
	flat_store_dwordx4 v[64:65], v[20:23]
	flat_store_dwordx4 v[64:65], v[16:19] offset:16
	flat_store_dwordx4 v[64:65], v[12:15] offset:32
	;; [unrolled: 1-line block ×3, first 2 shown]
	; wave barrier
	s_and_saveexec_b64 s[2:3], s[0:1]
	s_cbranch_execz .LBB1247_293
; %bb.282:
	v_lshlrev_b32_e32 v66, 3, v101
	v_lshl_add_u64 v[68:69], v[54:55], 0, v[66:67]
	v_lshlrev_b32_e32 v66, 3, v99
	v_lshl_add_u64 v[70:71], v[54:55], 0, v[66:67]
	v_lshlrev_b64 v[80:81], 1, v[6:7]
	s_mov_b64 s[4:5], 0
	s_branch .LBB1247_285
.LBB1247_283:                           ;   in Loop: Header=BB1247_285 Depth=1
	s_or_b64 exec, exec, s[14:15]
	s_and_b64 s[0:1], s[16:17], exec
.LBB1247_284:                           ;   in Loop: Header=BB1247_285 Depth=1
	s_or_b64 exec, exec, s[6:7]
	v_add_u32_e32 v66, 1, v82
	v_cndmask_b32_e64 v112, v112, v82, s[0:1]
	v_cndmask_b32_e64 v103, v66, v103, s[0:1]
	v_cmp_ge_u32_e64 s[0:1], v103, v112
	s_or_b64 s[4:5], s[0:1], s[4:5]
	s_andn2_b64 exec, exec, s[4:5]
	s_cbranch_execz .LBB1247_292
.LBB1247_285:                           ; =>This Loop Header: Depth=1
                                        ;     Child Loop BB1247_288 Depth 2
	v_add_u32_e32 v66, v112, v103
	v_lshrrev_b32_e32 v82, 1, v66
	s_mov_b64 s[0:1], 0
	s_and_saveexec_b64 s[6:7], vcc
	s_cbranch_execz .LBB1247_284
; %bb.286:                              ;   in Loop: Header=BB1247_285 Depth=1
	v_mov_b32_e32 v83, v67
	v_xad_u32 v66, v82, -1, v102
	v_lshl_add_u64 v[84:85], v[82:83], 3, v[68:69]
	v_lshl_add_u64 v[86:87], v[66:67], 3, v[70:71]
	flat_load_dwordx2 v[84:85], v[84:85]
	s_mov_b64 s[14:15], 0
	flat_load_dwordx2 v[86:87], v[86:87]
                                        ; implicit-def: $sgpr16_sgpr17
                                        ; implicit-def: $sgpr18_sgpr19
                                        ; implicit-def: $sgpr20_sgpr21
	s_waitcnt vmcnt(0) lgkmcnt(0)
	v_mul_lo_u32 v66, v80, v85
	v_mul_lo_u32 v83, v81, v84
	v_mad_u64_u32 v[84:85], s[0:1], v80, v84, v[8:9]
	v_mul_lo_u32 v96, v80, v87
	v_mul_lo_u32 v97, v81, v86
	v_mad_u64_u32 v[86:87], s[0:1], v80, v86, v[8:9]
	v_add3_u32 v85, v83, v85, v66
	v_add3_u32 v87, v97, v87, v96
	v_mov_b64_e32 v[96:97], v[6:7]
	s_branch .LBB1247_288
.LBB1247_287:                           ;   in Loop: Header=BB1247_288 Depth=2
	s_or_b64 exec, exec, s[28:29]
	s_and_b64 s[0:1], exec, s[22:23]
	s_or_b64 s[14:15], s[0:1], s[14:15]
	s_andn2_b64 s[0:1], s[16:17], exec
	s_and_b64 s[16:17], s[18:19], exec
	s_or_b64 s[16:17], s[0:1], s[16:17]
	s_andn2_b64 exec, exec, s[14:15]
	s_cbranch_execz .LBB1247_283
.LBB1247_288:                           ;   Parent Loop BB1247_285 Depth=1
                                        ; =>  This Inner Loop Header: Depth=2
	flat_load_ushort v66, v[86:87]
	flat_load_ushort v83, v[84:85]
	s_mov_b64 s[22:23], -1
	s_mov_b64 s[26:27], 0
	s_mov_b64 s[24:25], -1
	s_waitcnt vmcnt(0) lgkmcnt(0)
	v_cmp_nlt_f16_e64 s[0:1], v66, v83
	s_and_saveexec_b64 s[28:29], s[0:1]
; %bb.289:                              ;   in Loop: Header=BB1247_288 Depth=2
	v_cmp_ngt_f16_e64 s[0:1], v66, v83
	s_and_b64 s[20:21], s[0:1], s[20:21]
	s_orn2_b64 s[24:25], s[20:21], exec
	s_and_b64 s[26:27], s[0:1], exec
; %bb.290:                              ;   in Loop: Header=BB1247_288 Depth=2
	s_or_b64 exec, exec, s[28:29]
	s_andn2_b64 s[0:1], s[18:19], exec
	s_and_b64 s[18:19], s[24:25], exec
	s_or_b64 s[18:19], s[0:1], s[18:19]
                                        ; implicit-def: $sgpr20_sgpr21
	s_and_saveexec_b64 s[28:29], s[26:27]
	s_cbranch_execz .LBB1247_287
; %bb.291:                              ;   in Loop: Header=BB1247_288 Depth=2
	v_lshl_add_u64 v[96:97], v[96:97], 0, -1
	v_cmp_eq_u64_e64 s[0:1], 0, v[96:97]
	v_lshl_add_u64 v[84:85], v[84:85], 0, 2
	v_lshl_add_u64 v[86:87], v[86:87], 0, 2
	s_andn2_b64 s[18:19], s[18:19], exec
	s_and_b64 s[20:21], s[24:25], exec
	s_orn2_b64 s[22:23], s[0:1], exec
	s_branch .LBB1247_287
.LBB1247_292:
	s_or_b64 exec, exec, s[4:5]
.LBB1247_293:
	s_or_b64 exec, exec, s[2:3]
	v_add_u32_e32 v67, v99, v102
	v_add_u32_e32 v66, v103, v101
	v_sub_u32_e32 v68, v67, v103
	v_cmp_le_u32_e64 s[4:5], v66, v99
	v_cmp_le_u32_e64 s[6:7], v68, v100
	v_cmp_gt_i64_e64 s[0:1], 1, v[6:7]
	v_cmp_lt_i64_e64 s[2:3], 0, v[6:7]
	s_or_b64 s[4:5], s[4:5], s[6:7]
	s_and_saveexec_b64 s[14:15], s[4:5]
	s_cbranch_execz .LBB1247_381
; %bb.294:
	v_cmp_ge_u32_e64 s[4:5], v66, v99
	v_cmp_lt_u32_e64 s[6:7], v66, v99
                                        ; implicit-def: $vgpr0_vgpr1
	s_and_saveexec_b64 s[16:17], s[6:7]
	s_cbranch_execz .LBB1247_296
; %bb.295:
	v_mov_b32_e32 v67, 0
	v_lshl_add_u64 v[0:1], v[66:67], 3, v[54:55]
	flat_load_dwordx2 v[0:1], v[0:1]
.LBB1247_296:
	s_or_b64 exec, exec, s[16:17]
	v_cmp_ge_u32_e64 s[16:17], v68, v100
	v_cmp_lt_u32_e64 s[6:7], v68, v100
                                        ; implicit-def: $vgpr2_vgpr3
	s_and_saveexec_b64 s[18:19], s[6:7]
	s_cbranch_execz .LBB1247_298
; %bb.297:
	v_mov_b32_e32 v69, 0
	v_lshl_add_u64 v[2:3], v[68:69], 3, v[54:55]
	flat_load_dwordx2 v[2:3], v[2:3]
.LBB1247_298:
	s_or_b64 exec, exec, s[18:19]
	s_or_b64 s[4:5], s[4:5], s[16:17]
	s_xor_b64 s[4:5], s[4:5], -1
	s_and_saveexec_b64 s[6:7], s[4:5]
	s_cbranch_execz .LBB1247_308
; %bb.299:
	s_mov_b64 s[4:5], 0
	s_and_saveexec_b64 s[18:19], s[2:3]
	s_cbranch_execz .LBB1247_307
; %bb.300:
	s_waitcnt vmcnt(0) lgkmcnt(0)
	v_mul_lo_u32 v14, v1, v6
	v_mul_lo_u32 v15, v0, v7
	v_mad_u64_u32 v[12:13], s[4:5], v0, v6, 0
	v_add3_u32 v13, v13, v15, v14
	v_mul_lo_u32 v16, v3, v6
	v_mul_lo_u32 v17, v2, v7
	v_mad_u64_u32 v[14:15], s[4:5], v2, v6, 0
	v_add3_u32 v15, v15, v17, v16
	v_lshl_add_u64 v[12:13], v[12:13], 1, v[8:9]
	v_lshl_add_u64 v[14:15], v[14:15], 1, v[8:9]
	s_mov_b64 s[20:21], 0
	v_mov_b64_e32 v[16:17], v[6:7]
                                        ; implicit-def: $sgpr22_sgpr23
                                        ; implicit-def: $sgpr24_sgpr25
                                        ; implicit-def: $sgpr26_sgpr27
	s_branch .LBB1247_302
.LBB1247_301:                           ;   in Loop: Header=BB1247_302 Depth=1
	s_or_b64 exec, exec, s[34:35]
	s_and_b64 s[4:5], exec, s[4:5]
	s_or_b64 s[20:21], s[4:5], s[20:21]
	s_andn2_b64 s[4:5], s[22:23], exec
	s_and_b64 s[22:23], s[24:25], exec
	s_or_b64 s[22:23], s[4:5], s[22:23]
	s_andn2_b64 exec, exec, s[20:21]
	s_cbranch_execz .LBB1247_306
.LBB1247_302:                           ; =>This Inner Loop Header: Depth=1
	flat_load_ushort v18, v[14:15]
	flat_load_ushort v19, v[12:13]
	s_mov_b64 s[30:31], 0
	s_mov_b64 s[28:29], -1
	s_waitcnt vmcnt(0) lgkmcnt(0)
	v_cmp_nlt_f16_e64 s[4:5], v18, v19
	s_and_saveexec_b64 s[34:35], s[4:5]
; %bb.303:                              ;   in Loop: Header=BB1247_302 Depth=1
	v_cmp_ngt_f16_e64 s[4:5], v18, v19
	s_and_b64 s[26:27], s[4:5], s[26:27]
	s_orn2_b64 s[28:29], s[26:27], exec
	s_and_b64 s[30:31], s[4:5], exec
; %bb.304:                              ;   in Loop: Header=BB1247_302 Depth=1
	s_or_b64 exec, exec, s[34:35]
	s_andn2_b64 s[24:25], s[24:25], exec
	s_and_b64 s[26:27], s[28:29], exec
	s_mov_b64 s[4:5], -1
	s_or_b64 s[24:25], s[24:25], s[26:27]
                                        ; implicit-def: $sgpr26_sgpr27
	s_and_saveexec_b64 s[34:35], s[30:31]
	s_cbranch_execz .LBB1247_301
; %bb.305:                              ;   in Loop: Header=BB1247_302 Depth=1
	v_lshl_add_u64 v[16:17], v[16:17], 0, -1
	v_cmp_eq_u64_e64 s[4:5], 0, v[16:17]
	v_lshl_add_u64 v[12:13], v[12:13], 0, 2
	v_lshl_add_u64 v[14:15], v[14:15], 0, 2
	s_andn2_b64 s[24:25], s[24:25], exec
	s_and_b64 s[26:27], s[28:29], exec
	s_orn2_b64 s[4:5], s[4:5], exec
	s_branch .LBB1247_301
.LBB1247_306:
	s_or_b64 exec, exec, s[20:21]
	s_and_b64 s[4:5], s[22:23], exec
.LBB1247_307:
	s_or_b64 exec, exec, s[18:19]
	s_xor_b64 s[4:5], s[4:5], -1
	s_andn2_b64 s[16:17], s[16:17], exec
	s_and_b64 s[4:5], s[4:5], exec
	s_or_b64 s[16:17], s[16:17], s[4:5]
.LBB1247_308:
	s_or_b64 exec, exec, s[6:7]
	v_cndmask_b32_e64 v12, v68, v66, s[16:17]
	v_cndmask_b32_e64 v13, v100, v99, s[16:17]
	v_add_u32_e32 v16, 1, v12
	v_add_u32_e32 v12, -1, v13
	v_min_u32_e32 v12, v16, v12
	v_mov_b32_e32 v13, 0
	v_lshl_add_u64 v[14:15], v[12:13], 3, v[54:55]
	flat_load_dwordx2 v[14:15], v[14:15]
	v_cndmask_b32_e64 v23, v16, v68, s[16:17]
	s_mov_b64 s[6:7], -1
	v_cndmask_b32_e64 v66, v66, v16, s[16:17]
	v_cmp_lt_u32_e64 s[4:5], v23, v100
	s_mov_b64 s[18:19], -1
	s_waitcnt vmcnt(0) lgkmcnt(0)
	v_cndmask_b32_e64 v20, v15, v3, s[16:17]
	v_cndmask_b32_e64 v21, v14, v2, s[16:17]
	;; [unrolled: 1-line block ×4, first 2 shown]
	s_and_saveexec_b64 s[20:21], s[4:5]
	s_cbranch_execz .LBB1247_320
; %bb.309:
	v_cmp_lt_u32_e64 s[4:5], v66, v99
	s_mov_b64 s[22:23], 0
	s_and_saveexec_b64 s[18:19], s[4:5]
	s_cbranch_execz .LBB1247_319
; %bb.310:
	s_mov_b64 s[4:5], 0
	s_and_saveexec_b64 s[22:23], s[2:3]
	s_cbranch_execz .LBB1247_318
; %bb.311:
	v_mul_lo_u32 v12, v22, v6
	v_mul_lo_u32 v16, v68, v7
	v_mad_u64_u32 v[14:15], s[4:5], v68, v6, 0
	v_add3_u32 v15, v15, v16, v12
	v_mul_lo_u32 v12, v20, v6
	v_mul_lo_u32 v18, v21, v7
	v_mad_u64_u32 v[16:17], s[4:5], v21, v6, 0
	v_add3_u32 v17, v17, v18, v12
	v_lshl_add_u64 v[14:15], v[14:15], 1, v[8:9]
	v_lshl_add_u64 v[16:17], v[16:17], 1, v[8:9]
	s_mov_b64 s[24:25], 0
	v_mov_b64_e32 v[18:19], v[6:7]
                                        ; implicit-def: $sgpr26_sgpr27
                                        ; implicit-def: $sgpr28_sgpr29
                                        ; implicit-def: $sgpr30_sgpr31
	s_branch .LBB1247_313
.LBB1247_312:                           ;   in Loop: Header=BB1247_313 Depth=1
	s_or_b64 exec, exec, s[38:39]
	s_and_b64 s[4:5], exec, s[4:5]
	s_or_b64 s[24:25], s[4:5], s[24:25]
	s_andn2_b64 s[4:5], s[26:27], exec
	s_and_b64 s[26:27], s[28:29], exec
	s_or_b64 s[26:27], s[4:5], s[26:27]
	s_andn2_b64 exec, exec, s[24:25]
	s_cbranch_execz .LBB1247_317
.LBB1247_313:                           ; =>This Inner Loop Header: Depth=1
	flat_load_ushort v12, v[16:17]
	flat_load_ushort v67, v[14:15]
	s_mov_b64 s[36:37], 0
	s_mov_b64 s[34:35], -1
	s_waitcnt vmcnt(0) lgkmcnt(0)
	v_cmp_nlt_f16_e64 s[4:5], v12, v67
	s_and_saveexec_b64 s[38:39], s[4:5]
; %bb.314:                              ;   in Loop: Header=BB1247_313 Depth=1
	v_cmp_ngt_f16_e64 s[4:5], v12, v67
	s_and_b64 s[30:31], s[4:5], s[30:31]
	s_orn2_b64 s[34:35], s[30:31], exec
	s_and_b64 s[36:37], s[4:5], exec
; %bb.315:                              ;   in Loop: Header=BB1247_313 Depth=1
	s_or_b64 exec, exec, s[38:39]
	s_andn2_b64 s[28:29], s[28:29], exec
	s_and_b64 s[30:31], s[34:35], exec
	s_mov_b64 s[4:5], -1
	s_or_b64 s[28:29], s[28:29], s[30:31]
                                        ; implicit-def: $sgpr30_sgpr31
	s_and_saveexec_b64 s[38:39], s[36:37]
	s_cbranch_execz .LBB1247_312
; %bb.316:                              ;   in Loop: Header=BB1247_313 Depth=1
	v_lshl_add_u64 v[18:19], v[18:19], 0, -1
	v_cmp_eq_u64_e64 s[4:5], 0, v[18:19]
	v_lshl_add_u64 v[14:15], v[14:15], 0, 2
	v_lshl_add_u64 v[16:17], v[16:17], 0, 2
	s_andn2_b64 s[28:29], s[28:29], exec
	s_and_b64 s[30:31], s[34:35], exec
	s_orn2_b64 s[4:5], s[4:5], exec
	s_branch .LBB1247_312
.LBB1247_317:
	s_or_b64 exec, exec, s[24:25]
	s_and_b64 s[4:5], s[26:27], exec
.LBB1247_318:
	s_or_b64 exec, exec, s[22:23]
	s_xor_b64 s[4:5], s[4:5], -1
	s_and_b64 s[22:23], s[4:5], exec
.LBB1247_319:
	s_or_b64 exec, exec, s[18:19]
	s_orn2_b64 s[18:19], s[22:23], exec
.LBB1247_320:
	s_or_b64 exec, exec, s[20:21]
	v_cndmask_b32_e64 v12, v23, v66, s[18:19]
	v_cndmask_b32_e64 v14, v100, v99, s[18:19]
	v_add_u32_e32 v15, 1, v12
	v_add_u32_e32 v12, -1, v14
	v_min_u32_e32 v12, v15, v12
	v_lshl_add_u64 v[12:13], v[12:13], 3, v[54:55]
	flat_load_dwordx2 v[12:13], v[12:13]
	v_cndmask_b32_e64 v18, v15, v23, s[18:19]
	v_cndmask_b32_e64 v19, v66, v15, s[18:19]
	v_cmp_lt_u32_e64 s[4:5], v18, v100
	s_waitcnt vmcnt(0) lgkmcnt(0)
	v_cndmask_b32_e64 v23, v13, v20, s[18:19]
	v_cndmask_b32_e64 v69, v12, v21, s[18:19]
	;; [unrolled: 1-line block ×4, first 2 shown]
	s_and_saveexec_b64 s[20:21], s[4:5]
	s_cbranch_execz .LBB1247_330
; %bb.321:
	v_cmp_lt_u32_e64 s[6:7], v19, v99
	s_xor_b64 s[4:5], s[0:1], -1
	s_and_b64 s[4:5], s[6:7], s[4:5]
	s_and_saveexec_b64 s[22:23], s[4:5]
	s_cbranch_execz .LBB1247_329
; %bb.322:
	v_mul_lo_u32 v14, v70, v6
	v_mul_lo_u32 v15, v71, v7
	v_mad_u64_u32 v[12:13], s[4:5], v71, v6, 0
	v_add3_u32 v13, v13, v15, v14
	v_mul_lo_u32 v16, v23, v6
	v_mul_lo_u32 v17, v69, v7
	v_mad_u64_u32 v[14:15], s[4:5], v69, v6, 0
	v_add3_u32 v15, v15, v17, v16
	v_lshl_add_u64 v[12:13], v[12:13], 1, v[8:9]
	v_lshl_add_u64 v[14:15], v[14:15], 1, v[8:9]
	s_mov_b64 s[24:25], 0
	v_mov_b64_e32 v[16:17], v[6:7]
                                        ; implicit-def: $sgpr26_sgpr27
                                        ; implicit-def: $sgpr28_sgpr29
                                        ; implicit-def: $sgpr30_sgpr31
	s_branch .LBB1247_324
.LBB1247_323:                           ;   in Loop: Header=BB1247_324 Depth=1
	s_or_b64 exec, exec, s[40:41]
	s_and_b64 s[4:5], exec, s[34:35]
	s_or_b64 s[24:25], s[4:5], s[24:25]
	s_andn2_b64 s[4:5], s[26:27], exec
	s_and_b64 s[26:27], s[28:29], exec
	s_or_b64 s[26:27], s[4:5], s[26:27]
	s_andn2_b64 exec, exec, s[24:25]
	s_cbranch_execz .LBB1247_328
.LBB1247_324:                           ; =>This Inner Loop Header: Depth=1
	flat_load_ushort v66, v[14:15]
	flat_load_ushort v67, v[12:13]
	s_mov_b64 s[34:35], -1
	s_mov_b64 s[38:39], 0
	s_mov_b64 s[36:37], -1
	s_waitcnt vmcnt(0) lgkmcnt(0)
	v_cmp_nlt_f16_e64 s[4:5], v66, v67
	s_and_saveexec_b64 s[40:41], s[4:5]
; %bb.325:                              ;   in Loop: Header=BB1247_324 Depth=1
	v_cmp_ngt_f16_e64 s[4:5], v66, v67
	s_and_b64 s[30:31], s[4:5], s[30:31]
	s_orn2_b64 s[36:37], s[30:31], exec
	s_and_b64 s[38:39], s[4:5], exec
; %bb.326:                              ;   in Loop: Header=BB1247_324 Depth=1
	s_or_b64 exec, exec, s[40:41]
	s_andn2_b64 s[4:5], s[28:29], exec
	s_and_b64 s[28:29], s[36:37], exec
	s_or_b64 s[28:29], s[4:5], s[28:29]
                                        ; implicit-def: $sgpr30_sgpr31
	s_and_saveexec_b64 s[40:41], s[38:39]
	s_cbranch_execz .LBB1247_323
; %bb.327:                              ;   in Loop: Header=BB1247_324 Depth=1
	v_lshl_add_u64 v[16:17], v[16:17], 0, -1
	v_cmp_eq_u64_e64 s[4:5], 0, v[16:17]
	v_lshl_add_u64 v[12:13], v[12:13], 0, 2
	v_lshl_add_u64 v[14:15], v[14:15], 0, 2
	s_and_b64 s[30:31], s[36:37], exec
	s_andn2_b64 s[28:29], s[28:29], exec
	s_orn2_b64 s[34:35], s[4:5], exec
	s_branch .LBB1247_323
.LBB1247_328:
	s_or_b64 exec, exec, s[24:25]
	s_xor_b64 s[4:5], s[26:27], -1
	s_andn2_b64 s[6:7], s[6:7], exec
	s_and_b64 s[4:5], s[4:5], exec
	s_or_b64 s[6:7], s[6:7], s[4:5]
.LBB1247_329:
	s_or_b64 exec, exec, s[22:23]
	s_orn2_b64 s[6:7], s[6:7], exec
.LBB1247_330:
	s_or_b64 exec, exec, s[20:21]
	v_cndmask_b32_e64 v12, v18, v19, s[6:7]
	v_cndmask_b32_e64 v13, v100, v99, s[6:7]
	v_add_u32_e32 v16, 1, v12
	v_add_u32_e32 v12, -1, v13
	v_min_u32_e32 v12, v16, v12
	v_mov_b32_e32 v13, 0
	v_lshl_add_u64 v[14:15], v[12:13], 3, v[54:55]
	flat_load_dwordx2 v[14:15], v[14:15]
	v_cndmask_b32_e64 v66, v16, v18, s[6:7]
	s_mov_b64 s[20:21], -1
	v_cndmask_b32_e64 v67, v19, v16, s[6:7]
	v_cmp_lt_u32_e64 s[4:5], v66, v100
	s_mov_b64 s[22:23], -1
	s_waitcnt vmcnt(0) lgkmcnt(0)
	v_cndmask_b32_e64 v80, v15, v23, s[6:7]
	v_cndmask_b32_e64 v81, v14, v69, s[6:7]
	;; [unrolled: 1-line block ×4, first 2 shown]
	s_and_saveexec_b64 s[24:25], s[4:5]
	s_cbranch_execz .LBB1247_340
; %bb.331:
	v_cmp_lt_u32_e64 s[22:23], v67, v99
	s_xor_b64 s[4:5], s[0:1], -1
	s_and_b64 s[4:5], s[22:23], s[4:5]
	s_and_saveexec_b64 s[26:27], s[4:5]
	s_cbranch_execz .LBB1247_339
; %bb.332:
	v_mul_lo_u32 v12, v82, v6
	v_mul_lo_u32 v16, v83, v7
	v_mad_u64_u32 v[14:15], s[4:5], v83, v6, 0
	v_add3_u32 v15, v15, v16, v12
	v_mul_lo_u32 v12, v80, v6
	v_mul_lo_u32 v18, v81, v7
	v_mad_u64_u32 v[16:17], s[4:5], v81, v6, 0
	v_add3_u32 v17, v17, v18, v12
	v_lshl_add_u64 v[14:15], v[14:15], 1, v[8:9]
	v_lshl_add_u64 v[16:17], v[16:17], 1, v[8:9]
	s_mov_b64 s[28:29], 0
	v_mov_b64_e32 v[18:19], v[6:7]
                                        ; implicit-def: $sgpr30_sgpr31
                                        ; implicit-def: $sgpr34_sgpr35
                                        ; implicit-def: $sgpr36_sgpr37
	s_branch .LBB1247_334
.LBB1247_333:                           ;   in Loop: Header=BB1247_334 Depth=1
	s_or_b64 exec, exec, s[44:45]
	s_and_b64 s[4:5], exec, s[38:39]
	s_or_b64 s[28:29], s[4:5], s[28:29]
	s_andn2_b64 s[4:5], s[30:31], exec
	s_and_b64 s[30:31], s[34:35], exec
	s_or_b64 s[30:31], s[4:5], s[30:31]
	s_andn2_b64 exec, exec, s[28:29]
	s_cbranch_execz .LBB1247_338
.LBB1247_334:                           ; =>This Inner Loop Header: Depth=1
	flat_load_ushort v12, v[16:17]
	flat_load_ushort v84, v[14:15]
	s_mov_b64 s[38:39], -1
	s_mov_b64 s[42:43], 0
	s_mov_b64 s[40:41], -1
	s_waitcnt vmcnt(0) lgkmcnt(0)
	v_cmp_nlt_f16_e64 s[4:5], v12, v84
	s_and_saveexec_b64 s[44:45], s[4:5]
; %bb.335:                              ;   in Loop: Header=BB1247_334 Depth=1
	v_cmp_ngt_f16_e64 s[4:5], v12, v84
	s_and_b64 s[36:37], s[4:5], s[36:37]
	s_orn2_b64 s[40:41], s[36:37], exec
	s_and_b64 s[42:43], s[4:5], exec
; %bb.336:                              ;   in Loop: Header=BB1247_334 Depth=1
	s_or_b64 exec, exec, s[44:45]
	s_andn2_b64 s[4:5], s[34:35], exec
	s_and_b64 s[34:35], s[40:41], exec
	s_or_b64 s[34:35], s[4:5], s[34:35]
                                        ; implicit-def: $sgpr36_sgpr37
	s_and_saveexec_b64 s[44:45], s[42:43]
	s_cbranch_execz .LBB1247_333
; %bb.337:                              ;   in Loop: Header=BB1247_334 Depth=1
	v_lshl_add_u64 v[18:19], v[18:19], 0, -1
	v_cmp_eq_u64_e64 s[4:5], 0, v[18:19]
	v_lshl_add_u64 v[14:15], v[14:15], 0, 2
	v_lshl_add_u64 v[16:17], v[16:17], 0, 2
	s_and_b64 s[36:37], s[40:41], exec
	s_andn2_b64 s[34:35], s[34:35], exec
	s_orn2_b64 s[38:39], s[4:5], exec
	s_branch .LBB1247_333
.LBB1247_338:
	s_or_b64 exec, exec, s[28:29]
	s_xor_b64 s[4:5], s[30:31], -1
	s_andn2_b64 s[22:23], s[22:23], exec
	s_and_b64 s[4:5], s[4:5], exec
	s_or_b64 s[22:23], s[22:23], s[4:5]
.LBB1247_339:
	s_or_b64 exec, exec, s[26:27]
	s_orn2_b64 s[22:23], s[22:23], exec
.LBB1247_340:
	s_or_b64 exec, exec, s[24:25]
	v_cndmask_b32_e64 v12, v66, v67, s[22:23]
	v_cndmask_b32_e64 v14, v100, v99, s[22:23]
	v_add_u32_e32 v15, 1, v12
	v_add_u32_e32 v12, -1, v14
	v_min_u32_e32 v12, v15, v12
	v_lshl_add_u64 v[12:13], v[12:13], 3, v[54:55]
	flat_load_dwordx2 v[12:13], v[12:13]
	v_cndmask_b32_e64 v18, v15, v66, s[22:23]
	v_cndmask_b32_e64 v19, v67, v15, s[22:23]
	v_cmp_lt_u32_e64 s[4:5], v18, v100
	s_waitcnt vmcnt(0) lgkmcnt(0)
	v_cndmask_b32_e64 v84, v13, v80, s[22:23]
	v_cndmask_b32_e64 v85, v12, v81, s[22:23]
	;; [unrolled: 1-line block ×4, first 2 shown]
	s_and_saveexec_b64 s[24:25], s[4:5]
	s_cbranch_execz .LBB1247_350
; %bb.341:
	v_cmp_lt_u32_e64 s[20:21], v19, v99
	s_xor_b64 s[4:5], s[0:1], -1
	s_and_b64 s[4:5], s[20:21], s[4:5]
	s_and_saveexec_b64 s[26:27], s[4:5]
	s_cbranch_execz .LBB1247_349
; %bb.342:
	v_mul_lo_u32 v14, v86, v6
	v_mul_lo_u32 v15, v87, v7
	v_mad_u64_u32 v[12:13], s[4:5], v87, v6, 0
	v_add3_u32 v13, v13, v15, v14
	v_mul_lo_u32 v16, v84, v6
	v_mul_lo_u32 v17, v85, v7
	v_mad_u64_u32 v[14:15], s[4:5], v85, v6, 0
	v_add3_u32 v15, v15, v17, v16
	v_lshl_add_u64 v[12:13], v[12:13], 1, v[8:9]
	v_lshl_add_u64 v[14:15], v[14:15], 1, v[8:9]
	s_mov_b64 s[28:29], 0
	v_mov_b64_e32 v[16:17], v[6:7]
                                        ; implicit-def: $sgpr30_sgpr31
                                        ; implicit-def: $sgpr34_sgpr35
                                        ; implicit-def: $sgpr36_sgpr37
	s_branch .LBB1247_344
.LBB1247_343:                           ;   in Loop: Header=BB1247_344 Depth=1
	s_or_b64 exec, exec, s[44:45]
	s_and_b64 s[4:5], exec, s[38:39]
	s_or_b64 s[28:29], s[4:5], s[28:29]
	s_andn2_b64 s[4:5], s[30:31], exec
	s_and_b64 s[30:31], s[34:35], exec
	s_or_b64 s[30:31], s[4:5], s[30:31]
	s_andn2_b64 exec, exec, s[28:29]
	s_cbranch_execz .LBB1247_348
.LBB1247_344:                           ; =>This Inner Loop Header: Depth=1
	flat_load_ushort v66, v[14:15]
	flat_load_ushort v67, v[12:13]
	s_mov_b64 s[38:39], -1
	s_mov_b64 s[42:43], 0
	s_mov_b64 s[40:41], -1
	s_waitcnt vmcnt(0) lgkmcnt(0)
	v_cmp_nlt_f16_e64 s[4:5], v66, v67
	s_and_saveexec_b64 s[44:45], s[4:5]
; %bb.345:                              ;   in Loop: Header=BB1247_344 Depth=1
	v_cmp_ngt_f16_e64 s[4:5], v66, v67
	s_and_b64 s[36:37], s[4:5], s[36:37]
	s_orn2_b64 s[40:41], s[36:37], exec
	s_and_b64 s[42:43], s[4:5], exec
; %bb.346:                              ;   in Loop: Header=BB1247_344 Depth=1
	s_or_b64 exec, exec, s[44:45]
	s_andn2_b64 s[4:5], s[34:35], exec
	s_and_b64 s[34:35], s[40:41], exec
	s_or_b64 s[34:35], s[4:5], s[34:35]
                                        ; implicit-def: $sgpr36_sgpr37
	s_and_saveexec_b64 s[44:45], s[42:43]
	s_cbranch_execz .LBB1247_343
; %bb.347:                              ;   in Loop: Header=BB1247_344 Depth=1
	v_lshl_add_u64 v[16:17], v[16:17], 0, -1
	v_cmp_eq_u64_e64 s[4:5], 0, v[16:17]
	v_lshl_add_u64 v[12:13], v[12:13], 0, 2
	v_lshl_add_u64 v[14:15], v[14:15], 0, 2
	s_and_b64 s[36:37], s[40:41], exec
	s_andn2_b64 s[34:35], s[34:35], exec
	s_orn2_b64 s[38:39], s[4:5], exec
	s_branch .LBB1247_343
.LBB1247_348:
	s_or_b64 exec, exec, s[28:29]
	s_xor_b64 s[4:5], s[30:31], -1
	s_andn2_b64 s[20:21], s[20:21], exec
	s_and_b64 s[4:5], s[4:5], exec
	s_or_b64 s[20:21], s[20:21], s[4:5]
.LBB1247_349:
	s_or_b64 exec, exec, s[26:27]
	s_orn2_b64 s[20:21], s[20:21], exec
.LBB1247_350:
	s_or_b64 exec, exec, s[24:25]
	v_cndmask_b32_e64 v12, v18, v19, s[20:21]
	v_cndmask_b32_e64 v13, v100, v99, s[20:21]
	v_add_u32_e32 v16, 1, v12
	v_add_u32_e32 v12, -1, v13
	v_min_u32_e32 v12, v16, v12
	v_mov_b32_e32 v13, 0
	v_lshl_add_u64 v[14:15], v[12:13], 3, v[54:55]
	flat_load_dwordx2 v[14:15], v[14:15]
	v_cndmask_b32_e64 v66, v16, v18, s[20:21]
	s_mov_b64 s[24:25], -1
	v_cndmask_b32_e64 v67, v19, v16, s[20:21]
	v_cmp_lt_u32_e64 s[4:5], v66, v100
	s_mov_b64 s[26:27], -1
	s_waitcnt vmcnt(0) lgkmcnt(0)
	v_cndmask_b32_e64 v96, v15, v84, s[20:21]
	v_cndmask_b32_e64 v97, v14, v85, s[20:21]
	;; [unrolled: 1-line block ×4, first 2 shown]
	s_and_saveexec_b64 s[28:29], s[4:5]
	s_cbranch_execz .LBB1247_360
; %bb.351:
	v_cmp_lt_u32_e64 s[26:27], v67, v99
	s_xor_b64 s[4:5], s[0:1], -1
	s_and_b64 s[4:5], s[26:27], s[4:5]
	s_and_saveexec_b64 s[30:31], s[4:5]
	s_cbranch_execz .LBB1247_359
; %bb.352:
	v_mul_lo_u32 v12, v101, v6
	v_mul_lo_u32 v16, v102, v7
	v_mad_u64_u32 v[14:15], s[4:5], v102, v6, 0
	v_add3_u32 v15, v15, v16, v12
	v_mul_lo_u32 v12, v96, v6
	v_mul_lo_u32 v18, v97, v7
	v_mad_u64_u32 v[16:17], s[4:5], v97, v6, 0
	v_add3_u32 v17, v17, v18, v12
	v_lshl_add_u64 v[14:15], v[14:15], 1, v[8:9]
	v_lshl_add_u64 v[16:17], v[16:17], 1, v[8:9]
	s_mov_b64 s[34:35], 0
	v_mov_b64_e32 v[18:19], v[6:7]
                                        ; implicit-def: $sgpr36_sgpr37
                                        ; implicit-def: $sgpr38_sgpr39
                                        ; implicit-def: $sgpr40_sgpr41
	s_branch .LBB1247_354
.LBB1247_353:                           ;   in Loop: Header=BB1247_354 Depth=1
	s_or_b64 exec, exec, s[48:49]
	s_and_b64 s[4:5], exec, s[42:43]
	s_or_b64 s[34:35], s[4:5], s[34:35]
	s_andn2_b64 s[4:5], s[36:37], exec
	s_and_b64 s[36:37], s[38:39], exec
	s_or_b64 s[36:37], s[4:5], s[36:37]
	s_andn2_b64 exec, exec, s[34:35]
	s_cbranch_execz .LBB1247_358
.LBB1247_354:                           ; =>This Inner Loop Header: Depth=1
	flat_load_ushort v12, v[16:17]
	flat_load_ushort v103, v[14:15]
	s_mov_b64 s[42:43], -1
	s_mov_b64 s[46:47], 0
	s_mov_b64 s[44:45], -1
	s_waitcnt vmcnt(0) lgkmcnt(0)
	v_cmp_nlt_f16_e64 s[4:5], v12, v103
	s_and_saveexec_b64 s[48:49], s[4:5]
; %bb.355:                              ;   in Loop: Header=BB1247_354 Depth=1
	v_cmp_ngt_f16_e64 s[4:5], v12, v103
	s_and_b64 s[40:41], s[4:5], s[40:41]
	s_orn2_b64 s[44:45], s[40:41], exec
	s_and_b64 s[46:47], s[4:5], exec
; %bb.356:                              ;   in Loop: Header=BB1247_354 Depth=1
	s_or_b64 exec, exec, s[48:49]
	s_andn2_b64 s[4:5], s[38:39], exec
	s_and_b64 s[38:39], s[44:45], exec
	s_or_b64 s[38:39], s[4:5], s[38:39]
                                        ; implicit-def: $sgpr40_sgpr41
	s_and_saveexec_b64 s[48:49], s[46:47]
	s_cbranch_execz .LBB1247_353
; %bb.357:                              ;   in Loop: Header=BB1247_354 Depth=1
	v_lshl_add_u64 v[18:19], v[18:19], 0, -1
	v_cmp_eq_u64_e64 s[4:5], 0, v[18:19]
	v_lshl_add_u64 v[14:15], v[14:15], 0, 2
	v_lshl_add_u64 v[16:17], v[16:17], 0, 2
	s_and_b64 s[40:41], s[44:45], exec
	s_andn2_b64 s[38:39], s[38:39], exec
	s_orn2_b64 s[42:43], s[4:5], exec
	s_branch .LBB1247_353
.LBB1247_358:
	s_or_b64 exec, exec, s[34:35]
	s_xor_b64 s[4:5], s[36:37], -1
	s_andn2_b64 s[26:27], s[26:27], exec
	s_and_b64 s[4:5], s[4:5], exec
	s_or_b64 s[26:27], s[26:27], s[4:5]
.LBB1247_359:
	s_or_b64 exec, exec, s[30:31]
	s_orn2_b64 s[26:27], s[26:27], exec
.LBB1247_360:
	s_or_b64 exec, exec, s[28:29]
	v_cndmask_b32_e64 v12, v66, v67, s[26:27]
	v_cndmask_b32_e64 v14, v100, v99, s[26:27]
	v_add_u32_e32 v15, 1, v12
	v_add_u32_e32 v12, -1, v14
	v_min_u32_e32 v12, v15, v12
	v_lshl_add_u64 v[12:13], v[12:13], 3, v[54:55]
	flat_load_dwordx2 v[12:13], v[12:13]
	v_cndmask_b32_e64 v114, v15, v66, s[26:27]
	v_cndmask_b32_e64 v103, v67, v15, s[26:27]
	v_cmp_lt_u32_e64 s[4:5], v114, v100
	s_waitcnt vmcnt(0) lgkmcnt(0)
	v_cndmask_b32_e64 v112, v13, v96, s[26:27]
	v_cndmask_b32_e64 v113, v12, v97, s[26:27]
	;; [unrolled: 1-line block ×4, first 2 shown]
	s_and_saveexec_b64 s[28:29], s[4:5]
	s_cbranch_execz .LBB1247_370
; %bb.361:
	v_cmp_lt_u32_e64 s[24:25], v103, v99
	s_xor_b64 s[4:5], s[0:1], -1
	s_and_b64 s[4:5], s[24:25], s[4:5]
	s_and_saveexec_b64 s[30:31], s[4:5]
	s_cbranch_execz .LBB1247_369
; %bb.362:
	v_mul_lo_u32 v14, v115, v6
	v_mul_lo_u32 v15, v116, v7
	v_mad_u64_u32 v[12:13], s[4:5], v116, v6, 0
	v_add3_u32 v13, v13, v15, v14
	v_mul_lo_u32 v16, v112, v6
	v_mul_lo_u32 v17, v113, v7
	v_mad_u64_u32 v[14:15], s[4:5], v113, v6, 0
	v_add3_u32 v15, v15, v17, v16
	v_lshl_add_u64 v[12:13], v[12:13], 1, v[8:9]
	v_lshl_add_u64 v[14:15], v[14:15], 1, v[8:9]
	s_mov_b64 s[34:35], 0
	v_mov_b64_e32 v[16:17], v[6:7]
                                        ; implicit-def: $sgpr36_sgpr37
                                        ; implicit-def: $sgpr38_sgpr39
                                        ; implicit-def: $sgpr40_sgpr41
	s_branch .LBB1247_364
.LBB1247_363:                           ;   in Loop: Header=BB1247_364 Depth=1
	s_or_b64 exec, exec, s[48:49]
	s_and_b64 s[4:5], exec, s[42:43]
	s_or_b64 s[34:35], s[4:5], s[34:35]
	s_andn2_b64 s[4:5], s[36:37], exec
	s_and_b64 s[36:37], s[38:39], exec
	s_or_b64 s[36:37], s[4:5], s[36:37]
	s_andn2_b64 exec, exec, s[34:35]
	s_cbranch_execz .LBB1247_368
.LBB1247_364:                           ; =>This Inner Loop Header: Depth=1
	flat_load_ushort v18, v[14:15]
	flat_load_ushort v19, v[12:13]
	s_mov_b64 s[42:43], -1
	s_mov_b64 s[46:47], 0
	s_mov_b64 s[44:45], -1
	s_waitcnt vmcnt(0) lgkmcnt(0)
	v_cmp_nlt_f16_e64 s[4:5], v18, v19
	s_and_saveexec_b64 s[48:49], s[4:5]
; %bb.365:                              ;   in Loop: Header=BB1247_364 Depth=1
	v_cmp_ngt_f16_e64 s[4:5], v18, v19
	s_and_b64 s[40:41], s[4:5], s[40:41]
	s_orn2_b64 s[44:45], s[40:41], exec
	s_and_b64 s[46:47], s[4:5], exec
; %bb.366:                              ;   in Loop: Header=BB1247_364 Depth=1
	s_or_b64 exec, exec, s[48:49]
	s_andn2_b64 s[4:5], s[38:39], exec
	s_and_b64 s[38:39], s[44:45], exec
	s_or_b64 s[38:39], s[4:5], s[38:39]
                                        ; implicit-def: $sgpr40_sgpr41
	s_and_saveexec_b64 s[48:49], s[46:47]
	s_cbranch_execz .LBB1247_363
; %bb.367:                              ;   in Loop: Header=BB1247_364 Depth=1
	v_lshl_add_u64 v[16:17], v[16:17], 0, -1
	v_cmp_eq_u64_e64 s[4:5], 0, v[16:17]
	v_lshl_add_u64 v[12:13], v[12:13], 0, 2
	v_lshl_add_u64 v[14:15], v[14:15], 0, 2
	s_and_b64 s[40:41], s[44:45], exec
	s_andn2_b64 s[38:39], s[38:39], exec
	s_orn2_b64 s[42:43], s[4:5], exec
	s_branch .LBB1247_363
.LBB1247_368:
	s_or_b64 exec, exec, s[34:35]
	s_xor_b64 s[4:5], s[36:37], -1
	s_andn2_b64 s[24:25], s[24:25], exec
	s_and_b64 s[4:5], s[4:5], exec
	s_or_b64 s[24:25], s[24:25], s[4:5]
.LBB1247_369:
	s_or_b64 exec, exec, s[30:31]
	s_orn2_b64 s[24:25], s[24:25], exec
.LBB1247_370:
	s_or_b64 exec, exec, s[28:29]
	v_cndmask_b32_e64 v12, v114, v103, s[24:25]
	v_cndmask_b32_e64 v13, v100, v99, s[24:25]
	v_add_u32_e32 v117, 1, v12
	v_add_u32_e32 v12, -1, v13
	v_min_u32_e32 v12, v117, v12
	v_mov_b32_e32 v13, 0
	v_lshl_add_u64 v[12:13], v[12:13], 3, v[54:55]
	flat_load_dwordx2 v[66:67], v[12:13]
	v_cndmask_b32_e64 v17, v23, v70, s[6:7]
	v_cndmask_b32_e64 v23, v20, v22, s[18:19]
	;; [unrolled: 1-line block ×15, first 2 shown]
	v_cmp_lt_u32_e64 s[4:5], v68, v100
	s_waitcnt vmcnt(0) lgkmcnt(0)
	v_cndmask_b32_e64 v3, v115, v67, s[24:25]
	v_cndmask_b32_e64 v2, v116, v66, s[24:25]
	s_and_saveexec_b64 s[6:7], s[4:5]
	s_cbranch_execz .LBB1247_380
; %bb.371:
	v_cndmask_b32_e64 v81, v66, v113, s[24:25]
	v_cndmask_b32_e64 v66, v103, v117, s[24:25]
	v_cmp_ge_u32_e64 s[4:5], v66, v99
	v_cndmask_b32_e64 v80, v67, v112, s[24:25]
	s_or_b64 s[16:17], s[4:5], s[0:1]
	v_cndmask_b32_e64 v67, v3, v80, s[4:5]
	s_xor_b64 s[18:19], s[16:17], -1
	v_cndmask_b32_e64 v66, v2, v81, s[4:5]
	s_and_saveexec_b64 s[16:17], s[18:19]
	s_cbranch_execz .LBB1247_379
; %bb.372:
	v_mul_lo_u32 v68, v3, v6
	v_mul_lo_u32 v69, v2, v7
	v_mad_u64_u32 v[66:67], s[4:5], v2, v6, 0
	v_add3_u32 v67, v67, v69, v68
	v_mul_lo_u32 v70, v80, v6
	v_mul_lo_u32 v71, v81, v7
	v_mad_u64_u32 v[68:69], s[4:5], v81, v6, 0
	v_add3_u32 v69, v69, v71, v70
	v_lshl_add_u64 v[66:67], v[66:67], 1, v[8:9]
	v_lshl_add_u64 v[68:69], v[68:69], 1, v[8:9]
	s_mov_b64 s[18:19], 0
	v_mov_b64_e32 v[70:71], v[6:7]
                                        ; implicit-def: $sgpr20_sgpr21
                                        ; implicit-def: $sgpr22_sgpr23
                                        ; implicit-def: $sgpr24_sgpr25
	s_branch .LBB1247_374
.LBB1247_373:                           ;   in Loop: Header=BB1247_374 Depth=1
	s_or_b64 exec, exec, s[34:35]
	s_and_b64 s[4:5], exec, s[26:27]
	s_or_b64 s[18:19], s[4:5], s[18:19]
	s_andn2_b64 s[4:5], s[20:21], exec
	s_and_b64 s[20:21], s[22:23], exec
	s_or_b64 s[20:21], s[4:5], s[20:21]
	s_andn2_b64 exec, exec, s[18:19]
	s_cbranch_execz .LBB1247_378
.LBB1247_374:                           ; =>This Inner Loop Header: Depth=1
	flat_load_ushort v82, v[68:69]
	flat_load_ushort v83, v[66:67]
	s_mov_b64 s[26:27], -1
	s_mov_b64 s[30:31], 0
	s_mov_b64 s[28:29], -1
	s_waitcnt vmcnt(0) lgkmcnt(0)
	v_cmp_nlt_f16_e64 s[4:5], v82, v83
	s_and_saveexec_b64 s[34:35], s[4:5]
; %bb.375:                              ;   in Loop: Header=BB1247_374 Depth=1
	v_cmp_ngt_f16_e64 s[4:5], v82, v83
	s_and_b64 s[24:25], s[4:5], s[24:25]
	s_orn2_b64 s[28:29], s[24:25], exec
	s_and_b64 s[30:31], s[4:5], exec
; %bb.376:                              ;   in Loop: Header=BB1247_374 Depth=1
	s_or_b64 exec, exec, s[34:35]
	s_andn2_b64 s[4:5], s[22:23], exec
	s_and_b64 s[22:23], s[28:29], exec
	s_or_b64 s[22:23], s[4:5], s[22:23]
                                        ; implicit-def: $sgpr24_sgpr25
	s_and_saveexec_b64 s[34:35], s[30:31]
	s_cbranch_execz .LBB1247_373
; %bb.377:                              ;   in Loop: Header=BB1247_374 Depth=1
	v_lshl_add_u64 v[70:71], v[70:71], 0, -1
	v_cmp_eq_u64_e64 s[4:5], 0, v[70:71]
	v_lshl_add_u64 v[66:67], v[66:67], 0, 2
	v_lshl_add_u64 v[68:69], v[68:69], 0, 2
	s_and_b64 s[24:25], s[28:29], exec
	s_andn2_b64 s[22:23], s[22:23], exec
	s_orn2_b64 s[26:27], s[4:5], exec
	s_branch .LBB1247_373
.LBB1247_378:
	s_or_b64 exec, exec, s[18:19]
	v_cndmask_b32_e64 v67, v3, v80, s[20:21]
	v_cndmask_b32_e64 v66, v2, v81, s[20:21]
.LBB1247_379:
	s_or_b64 exec, exec, s[16:17]
	v_mov_b64_e32 v[2:3], v[66:67]
.LBB1247_380:
	s_or_b64 exec, exec, s[6:7]
.LBB1247_381:
	s_or_b64 exec, exec, s[14:15]
	v_and_b32_e32 v101, 0x3e0, v98
	v_or_b32_e32 v66, 16, v101
	v_min_u32_e32 v99, v31, v66
	v_add_u32_e32 v66, 16, v99
	v_min_u32_e32 v100, v31, v66
	v_and_b32_e32 v66, 24, v98
	v_min_u32_e32 v102, v31, v66
	v_sub_u32_e32 v66, v99, v101
	v_sub_u32_e32 v67, v100, v99
	v_sub_u32_e64 v103, v102, v67 clamp
	v_min_u32_e32 v112, v102, v66
	v_cmp_lt_u32_e64 s[4:5], v103, v112
	; wave barrier
	flat_store_dwordx4 v[64:65], v[20:23]
	flat_store_dwordx4 v[64:65], v[16:19] offset:16
	flat_store_dwordx4 v[64:65], v[12:15] offset:32
	;; [unrolled: 1-line block ×3, first 2 shown]
	; wave barrier
	s_and_saveexec_b64 s[6:7], s[4:5]
	s_cbranch_execz .LBB1247_393
; %bb.382:
	v_lshlrev_b32_e32 v66, 3, v101
	v_mov_b32_e32 v67, 0
	v_lshl_add_u64 v[68:69], v[54:55], 0, v[66:67]
	v_lshlrev_b32_e32 v66, 3, v99
	v_lshl_add_u64 v[70:71], v[54:55], 0, v[66:67]
	v_lshlrev_b64 v[80:81], 1, v[6:7]
	s_mov_b64 s[14:15], 0
	s_branch .LBB1247_385
.LBB1247_383:                           ;   in Loop: Header=BB1247_385 Depth=1
	s_or_b64 exec, exec, s[18:19]
	s_and_b64 s[4:5], s[20:21], exec
.LBB1247_384:                           ;   in Loop: Header=BB1247_385 Depth=1
	s_or_b64 exec, exec, s[16:17]
	v_add_u32_e32 v66, 1, v82
	v_cndmask_b32_e64 v112, v112, v82, s[4:5]
	v_cndmask_b32_e64 v103, v66, v103, s[4:5]
	v_cmp_ge_u32_e64 s[4:5], v103, v112
	s_or_b64 s[14:15], s[4:5], s[14:15]
	s_andn2_b64 exec, exec, s[14:15]
	s_cbranch_execz .LBB1247_392
.LBB1247_385:                           ; =>This Loop Header: Depth=1
                                        ;     Child Loop BB1247_388 Depth 2
	v_add_u32_e32 v66, v112, v103
	v_lshrrev_b32_e32 v82, 1, v66
	s_mov_b64 s[4:5], 0
	s_and_saveexec_b64 s[16:17], vcc
	s_cbranch_execz .LBB1247_384
; %bb.386:                              ;   in Loop: Header=BB1247_385 Depth=1
	v_mov_b32_e32 v83, v67
	v_xad_u32 v66, v82, -1, v102
	v_lshl_add_u64 v[84:85], v[82:83], 3, v[68:69]
	v_lshl_add_u64 v[86:87], v[66:67], 3, v[70:71]
	flat_load_dwordx2 v[84:85], v[84:85]
	s_mov_b64 s[18:19], 0
	flat_load_dwordx2 v[86:87], v[86:87]
                                        ; implicit-def: $sgpr20_sgpr21
                                        ; implicit-def: $sgpr22_sgpr23
                                        ; implicit-def: $sgpr24_sgpr25
	s_waitcnt vmcnt(0) lgkmcnt(0)
	v_mul_lo_u32 v66, v80, v85
	v_mul_lo_u32 v83, v81, v84
	v_mad_u64_u32 v[84:85], s[4:5], v80, v84, v[8:9]
	v_mul_lo_u32 v96, v80, v87
	v_mul_lo_u32 v97, v81, v86
	v_mad_u64_u32 v[86:87], s[4:5], v80, v86, v[8:9]
	v_add3_u32 v85, v83, v85, v66
	v_add3_u32 v87, v97, v87, v96
	v_mov_b64_e32 v[96:97], v[6:7]
	s_branch .LBB1247_388
.LBB1247_387:                           ;   in Loop: Header=BB1247_388 Depth=2
	s_or_b64 exec, exec, s[34:35]
	s_and_b64 s[4:5], exec, s[26:27]
	s_or_b64 s[18:19], s[4:5], s[18:19]
	s_andn2_b64 s[4:5], s[20:21], exec
	s_and_b64 s[20:21], s[22:23], exec
	s_or_b64 s[20:21], s[4:5], s[20:21]
	s_andn2_b64 exec, exec, s[18:19]
	s_cbranch_execz .LBB1247_383
.LBB1247_388:                           ;   Parent Loop BB1247_385 Depth=1
                                        ; =>  This Inner Loop Header: Depth=2
	flat_load_ushort v66, v[86:87]
	flat_load_ushort v83, v[84:85]
	s_mov_b64 s[26:27], -1
	s_mov_b64 s[30:31], 0
	s_mov_b64 s[28:29], -1
	s_waitcnt vmcnt(0) lgkmcnt(0)
	v_cmp_nlt_f16_e64 s[4:5], v66, v83
	s_and_saveexec_b64 s[34:35], s[4:5]
; %bb.389:                              ;   in Loop: Header=BB1247_388 Depth=2
	v_cmp_ngt_f16_e64 s[4:5], v66, v83
	s_and_b64 s[24:25], s[4:5], s[24:25]
	s_orn2_b64 s[28:29], s[24:25], exec
	s_and_b64 s[30:31], s[4:5], exec
; %bb.390:                              ;   in Loop: Header=BB1247_388 Depth=2
	s_or_b64 exec, exec, s[34:35]
	s_andn2_b64 s[4:5], s[22:23], exec
	s_and_b64 s[22:23], s[28:29], exec
	s_or_b64 s[22:23], s[4:5], s[22:23]
                                        ; implicit-def: $sgpr24_sgpr25
	s_and_saveexec_b64 s[34:35], s[30:31]
	s_cbranch_execz .LBB1247_387
; %bb.391:                              ;   in Loop: Header=BB1247_388 Depth=2
	v_lshl_add_u64 v[96:97], v[96:97], 0, -1
	v_cmp_eq_u64_e64 s[4:5], 0, v[96:97]
	v_lshl_add_u64 v[84:85], v[84:85], 0, 2
	v_lshl_add_u64 v[86:87], v[86:87], 0, 2
	s_andn2_b64 s[22:23], s[22:23], exec
	s_and_b64 s[24:25], s[28:29], exec
	s_orn2_b64 s[26:27], s[4:5], exec
	s_branch .LBB1247_387
.LBB1247_392:
	s_or_b64 exec, exec, s[14:15]
.LBB1247_393:
	s_or_b64 exec, exec, s[6:7]
	v_add_u32_e32 v67, v99, v102
	v_add_u32_e32 v66, v103, v101
	v_sub_u32_e32 v68, v67, v103
	v_cmp_le_u32_e64 s[4:5], v66, v99
	v_cmp_le_u32_e64 s[6:7], v68, v100
	s_or_b64 s[4:5], s[4:5], s[6:7]
	s_and_saveexec_b64 s[14:15], s[4:5]
	s_cbranch_execz .LBB1247_481
; %bb.394:
	v_cmp_ge_u32_e64 s[4:5], v66, v99
	v_cmp_lt_u32_e64 s[6:7], v66, v99
                                        ; implicit-def: $vgpr0_vgpr1
	s_and_saveexec_b64 s[16:17], s[6:7]
	s_cbranch_execz .LBB1247_396
; %bb.395:
	v_mov_b32_e32 v67, 0
	v_lshl_add_u64 v[0:1], v[66:67], 3, v[54:55]
	flat_load_dwordx2 v[0:1], v[0:1]
.LBB1247_396:
	s_or_b64 exec, exec, s[16:17]
	v_cmp_ge_u32_e64 s[16:17], v68, v100
	v_cmp_lt_u32_e64 s[6:7], v68, v100
                                        ; implicit-def: $vgpr2_vgpr3
	s_and_saveexec_b64 s[18:19], s[6:7]
	s_cbranch_execz .LBB1247_398
; %bb.397:
	v_mov_b32_e32 v69, 0
	v_lshl_add_u64 v[2:3], v[68:69], 3, v[54:55]
	flat_load_dwordx2 v[2:3], v[2:3]
.LBB1247_398:
	s_or_b64 exec, exec, s[18:19]
	s_or_b64 s[4:5], s[4:5], s[16:17]
	s_xor_b64 s[4:5], s[4:5], -1
	s_and_saveexec_b64 s[6:7], s[4:5]
	s_cbranch_execz .LBB1247_408
; %bb.399:
	s_mov_b64 s[4:5], 0
	s_and_saveexec_b64 s[18:19], s[2:3]
	s_cbranch_execz .LBB1247_407
; %bb.400:
	s_waitcnt vmcnt(0) lgkmcnt(0)
	v_mul_lo_u32 v14, v1, v6
	v_mul_lo_u32 v15, v0, v7
	v_mad_u64_u32 v[12:13], s[4:5], v0, v6, 0
	v_add3_u32 v13, v13, v15, v14
	v_mul_lo_u32 v16, v3, v6
	v_mul_lo_u32 v17, v2, v7
	v_mad_u64_u32 v[14:15], s[4:5], v2, v6, 0
	v_add3_u32 v15, v15, v17, v16
	v_lshl_add_u64 v[12:13], v[12:13], 1, v[8:9]
	v_lshl_add_u64 v[14:15], v[14:15], 1, v[8:9]
	s_mov_b64 s[20:21], 0
	v_mov_b64_e32 v[16:17], v[6:7]
                                        ; implicit-def: $sgpr22_sgpr23
                                        ; implicit-def: $sgpr24_sgpr25
                                        ; implicit-def: $sgpr26_sgpr27
	s_branch .LBB1247_402
.LBB1247_401:                           ;   in Loop: Header=BB1247_402 Depth=1
	s_or_b64 exec, exec, s[34:35]
	s_and_b64 s[4:5], exec, s[4:5]
	s_or_b64 s[20:21], s[4:5], s[20:21]
	s_andn2_b64 s[4:5], s[22:23], exec
	s_and_b64 s[22:23], s[24:25], exec
	s_or_b64 s[22:23], s[4:5], s[22:23]
	s_andn2_b64 exec, exec, s[20:21]
	s_cbranch_execz .LBB1247_406
.LBB1247_402:                           ; =>This Inner Loop Header: Depth=1
	flat_load_ushort v18, v[14:15]
	flat_load_ushort v19, v[12:13]
	s_mov_b64 s[30:31], 0
	s_mov_b64 s[28:29], -1
	s_waitcnt vmcnt(0) lgkmcnt(0)
	v_cmp_nlt_f16_e64 s[4:5], v18, v19
	s_and_saveexec_b64 s[34:35], s[4:5]
; %bb.403:                              ;   in Loop: Header=BB1247_402 Depth=1
	v_cmp_ngt_f16_e64 s[4:5], v18, v19
	s_and_b64 s[26:27], s[4:5], s[26:27]
	s_orn2_b64 s[28:29], s[26:27], exec
	s_and_b64 s[30:31], s[4:5], exec
; %bb.404:                              ;   in Loop: Header=BB1247_402 Depth=1
	s_or_b64 exec, exec, s[34:35]
	s_andn2_b64 s[24:25], s[24:25], exec
	s_and_b64 s[26:27], s[28:29], exec
	s_mov_b64 s[4:5], -1
	s_or_b64 s[24:25], s[24:25], s[26:27]
                                        ; implicit-def: $sgpr26_sgpr27
	s_and_saveexec_b64 s[34:35], s[30:31]
	s_cbranch_execz .LBB1247_401
; %bb.405:                              ;   in Loop: Header=BB1247_402 Depth=1
	v_lshl_add_u64 v[16:17], v[16:17], 0, -1
	v_cmp_eq_u64_e64 s[4:5], 0, v[16:17]
	v_lshl_add_u64 v[12:13], v[12:13], 0, 2
	v_lshl_add_u64 v[14:15], v[14:15], 0, 2
	s_andn2_b64 s[24:25], s[24:25], exec
	s_and_b64 s[26:27], s[28:29], exec
	s_orn2_b64 s[4:5], s[4:5], exec
	s_branch .LBB1247_401
.LBB1247_406:
	s_or_b64 exec, exec, s[20:21]
	s_and_b64 s[4:5], s[22:23], exec
.LBB1247_407:
	s_or_b64 exec, exec, s[18:19]
	s_xor_b64 s[4:5], s[4:5], -1
	s_andn2_b64 s[16:17], s[16:17], exec
	s_and_b64 s[4:5], s[4:5], exec
	s_or_b64 s[16:17], s[16:17], s[4:5]
.LBB1247_408:
	s_or_b64 exec, exec, s[6:7]
	v_cndmask_b32_e64 v12, v68, v66, s[16:17]
	v_cndmask_b32_e64 v13, v100, v99, s[16:17]
	v_add_u32_e32 v16, 1, v12
	v_add_u32_e32 v12, -1, v13
	v_min_u32_e32 v12, v16, v12
	v_mov_b32_e32 v13, 0
	v_lshl_add_u64 v[14:15], v[12:13], 3, v[54:55]
	flat_load_dwordx2 v[14:15], v[14:15]
	v_cndmask_b32_e64 v23, v16, v68, s[16:17]
	s_mov_b64 s[6:7], -1
	v_cndmask_b32_e64 v66, v66, v16, s[16:17]
	v_cmp_lt_u32_e64 s[4:5], v23, v100
	s_mov_b64 s[18:19], -1
	s_waitcnt vmcnt(0) lgkmcnt(0)
	v_cndmask_b32_e64 v20, v15, v3, s[16:17]
	v_cndmask_b32_e64 v21, v14, v2, s[16:17]
	;; [unrolled: 1-line block ×4, first 2 shown]
	s_and_saveexec_b64 s[20:21], s[4:5]
	s_cbranch_execz .LBB1247_420
; %bb.409:
	v_cmp_lt_u32_e64 s[4:5], v66, v99
	s_mov_b64 s[22:23], 0
	s_and_saveexec_b64 s[18:19], s[4:5]
	s_cbranch_execz .LBB1247_419
; %bb.410:
	s_mov_b64 s[4:5], 0
	s_and_saveexec_b64 s[22:23], s[2:3]
	s_cbranch_execz .LBB1247_418
; %bb.411:
	v_mul_lo_u32 v12, v22, v6
	v_mul_lo_u32 v16, v68, v7
	v_mad_u64_u32 v[14:15], s[4:5], v68, v6, 0
	v_add3_u32 v15, v15, v16, v12
	v_mul_lo_u32 v12, v20, v6
	v_mul_lo_u32 v18, v21, v7
	v_mad_u64_u32 v[16:17], s[4:5], v21, v6, 0
	v_add3_u32 v17, v17, v18, v12
	v_lshl_add_u64 v[14:15], v[14:15], 1, v[8:9]
	v_lshl_add_u64 v[16:17], v[16:17], 1, v[8:9]
	s_mov_b64 s[24:25], 0
	v_mov_b64_e32 v[18:19], v[6:7]
                                        ; implicit-def: $sgpr26_sgpr27
                                        ; implicit-def: $sgpr28_sgpr29
                                        ; implicit-def: $sgpr30_sgpr31
	s_branch .LBB1247_413
.LBB1247_412:                           ;   in Loop: Header=BB1247_413 Depth=1
	s_or_b64 exec, exec, s[38:39]
	s_and_b64 s[4:5], exec, s[4:5]
	s_or_b64 s[24:25], s[4:5], s[24:25]
	s_andn2_b64 s[4:5], s[26:27], exec
	s_and_b64 s[26:27], s[28:29], exec
	s_or_b64 s[26:27], s[4:5], s[26:27]
	s_andn2_b64 exec, exec, s[24:25]
	s_cbranch_execz .LBB1247_417
.LBB1247_413:                           ; =>This Inner Loop Header: Depth=1
	flat_load_ushort v12, v[16:17]
	flat_load_ushort v67, v[14:15]
	s_mov_b64 s[36:37], 0
	s_mov_b64 s[34:35], -1
	s_waitcnt vmcnt(0) lgkmcnt(0)
	v_cmp_nlt_f16_e64 s[4:5], v12, v67
	s_and_saveexec_b64 s[38:39], s[4:5]
; %bb.414:                              ;   in Loop: Header=BB1247_413 Depth=1
	v_cmp_ngt_f16_e64 s[4:5], v12, v67
	s_and_b64 s[30:31], s[4:5], s[30:31]
	s_orn2_b64 s[34:35], s[30:31], exec
	s_and_b64 s[36:37], s[4:5], exec
; %bb.415:                              ;   in Loop: Header=BB1247_413 Depth=1
	s_or_b64 exec, exec, s[38:39]
	s_andn2_b64 s[28:29], s[28:29], exec
	s_and_b64 s[30:31], s[34:35], exec
	s_mov_b64 s[4:5], -1
	s_or_b64 s[28:29], s[28:29], s[30:31]
                                        ; implicit-def: $sgpr30_sgpr31
	s_and_saveexec_b64 s[38:39], s[36:37]
	s_cbranch_execz .LBB1247_412
; %bb.416:                              ;   in Loop: Header=BB1247_413 Depth=1
	v_lshl_add_u64 v[18:19], v[18:19], 0, -1
	v_cmp_eq_u64_e64 s[4:5], 0, v[18:19]
	v_lshl_add_u64 v[14:15], v[14:15], 0, 2
	v_lshl_add_u64 v[16:17], v[16:17], 0, 2
	s_andn2_b64 s[28:29], s[28:29], exec
	s_and_b64 s[30:31], s[34:35], exec
	s_orn2_b64 s[4:5], s[4:5], exec
	s_branch .LBB1247_412
.LBB1247_417:
	s_or_b64 exec, exec, s[24:25]
	s_and_b64 s[4:5], s[26:27], exec
.LBB1247_418:
	s_or_b64 exec, exec, s[22:23]
	s_xor_b64 s[4:5], s[4:5], -1
	s_and_b64 s[22:23], s[4:5], exec
.LBB1247_419:
	s_or_b64 exec, exec, s[18:19]
	s_orn2_b64 s[18:19], s[22:23], exec
.LBB1247_420:
	s_or_b64 exec, exec, s[20:21]
	v_cndmask_b32_e64 v12, v23, v66, s[18:19]
	v_cndmask_b32_e64 v14, v100, v99, s[18:19]
	v_add_u32_e32 v15, 1, v12
	v_add_u32_e32 v12, -1, v14
	v_min_u32_e32 v12, v15, v12
	v_lshl_add_u64 v[12:13], v[12:13], 3, v[54:55]
	flat_load_dwordx2 v[12:13], v[12:13]
	v_cndmask_b32_e64 v18, v15, v23, s[18:19]
	v_cndmask_b32_e64 v19, v66, v15, s[18:19]
	v_cmp_lt_u32_e64 s[4:5], v18, v100
	s_waitcnt vmcnt(0) lgkmcnt(0)
	v_cndmask_b32_e64 v23, v13, v20, s[18:19]
	v_cndmask_b32_e64 v69, v12, v21, s[18:19]
	;; [unrolled: 1-line block ×4, first 2 shown]
	s_and_saveexec_b64 s[20:21], s[4:5]
	s_cbranch_execz .LBB1247_430
; %bb.421:
	v_cmp_lt_u32_e64 s[6:7], v19, v99
	s_xor_b64 s[4:5], s[0:1], -1
	s_and_b64 s[4:5], s[6:7], s[4:5]
	s_and_saveexec_b64 s[22:23], s[4:5]
	s_cbranch_execz .LBB1247_429
; %bb.422:
	v_mul_lo_u32 v14, v70, v6
	v_mul_lo_u32 v15, v71, v7
	v_mad_u64_u32 v[12:13], s[4:5], v71, v6, 0
	v_add3_u32 v13, v13, v15, v14
	v_mul_lo_u32 v16, v23, v6
	v_mul_lo_u32 v17, v69, v7
	v_mad_u64_u32 v[14:15], s[4:5], v69, v6, 0
	v_add3_u32 v15, v15, v17, v16
	v_lshl_add_u64 v[12:13], v[12:13], 1, v[8:9]
	v_lshl_add_u64 v[14:15], v[14:15], 1, v[8:9]
	s_mov_b64 s[24:25], 0
	v_mov_b64_e32 v[16:17], v[6:7]
                                        ; implicit-def: $sgpr26_sgpr27
                                        ; implicit-def: $sgpr28_sgpr29
                                        ; implicit-def: $sgpr30_sgpr31
	s_branch .LBB1247_424
.LBB1247_423:                           ;   in Loop: Header=BB1247_424 Depth=1
	s_or_b64 exec, exec, s[40:41]
	s_and_b64 s[4:5], exec, s[34:35]
	s_or_b64 s[24:25], s[4:5], s[24:25]
	s_andn2_b64 s[4:5], s[26:27], exec
	s_and_b64 s[26:27], s[28:29], exec
	s_or_b64 s[26:27], s[4:5], s[26:27]
	s_andn2_b64 exec, exec, s[24:25]
	s_cbranch_execz .LBB1247_428
.LBB1247_424:                           ; =>This Inner Loop Header: Depth=1
	flat_load_ushort v66, v[14:15]
	flat_load_ushort v67, v[12:13]
	s_mov_b64 s[34:35], -1
	s_mov_b64 s[38:39], 0
	s_mov_b64 s[36:37], -1
	s_waitcnt vmcnt(0) lgkmcnt(0)
	v_cmp_nlt_f16_e64 s[4:5], v66, v67
	s_and_saveexec_b64 s[40:41], s[4:5]
; %bb.425:                              ;   in Loop: Header=BB1247_424 Depth=1
	v_cmp_ngt_f16_e64 s[4:5], v66, v67
	s_and_b64 s[30:31], s[4:5], s[30:31]
	s_orn2_b64 s[36:37], s[30:31], exec
	s_and_b64 s[38:39], s[4:5], exec
; %bb.426:                              ;   in Loop: Header=BB1247_424 Depth=1
	s_or_b64 exec, exec, s[40:41]
	s_andn2_b64 s[4:5], s[28:29], exec
	s_and_b64 s[28:29], s[36:37], exec
	s_or_b64 s[28:29], s[4:5], s[28:29]
                                        ; implicit-def: $sgpr30_sgpr31
	s_and_saveexec_b64 s[40:41], s[38:39]
	s_cbranch_execz .LBB1247_423
; %bb.427:                              ;   in Loop: Header=BB1247_424 Depth=1
	v_lshl_add_u64 v[16:17], v[16:17], 0, -1
	v_cmp_eq_u64_e64 s[4:5], 0, v[16:17]
	v_lshl_add_u64 v[12:13], v[12:13], 0, 2
	v_lshl_add_u64 v[14:15], v[14:15], 0, 2
	s_and_b64 s[30:31], s[36:37], exec
	s_andn2_b64 s[28:29], s[28:29], exec
	s_orn2_b64 s[34:35], s[4:5], exec
	s_branch .LBB1247_423
.LBB1247_428:
	s_or_b64 exec, exec, s[24:25]
	s_xor_b64 s[4:5], s[26:27], -1
	s_andn2_b64 s[6:7], s[6:7], exec
	s_and_b64 s[4:5], s[4:5], exec
	s_or_b64 s[6:7], s[6:7], s[4:5]
.LBB1247_429:
	s_or_b64 exec, exec, s[22:23]
	s_orn2_b64 s[6:7], s[6:7], exec
.LBB1247_430:
	s_or_b64 exec, exec, s[20:21]
	v_cndmask_b32_e64 v12, v18, v19, s[6:7]
	v_cndmask_b32_e64 v13, v100, v99, s[6:7]
	v_add_u32_e32 v16, 1, v12
	v_add_u32_e32 v12, -1, v13
	v_min_u32_e32 v12, v16, v12
	v_mov_b32_e32 v13, 0
	v_lshl_add_u64 v[14:15], v[12:13], 3, v[54:55]
	flat_load_dwordx2 v[14:15], v[14:15]
	v_cndmask_b32_e64 v66, v16, v18, s[6:7]
	s_mov_b64 s[20:21], -1
	v_cndmask_b32_e64 v67, v19, v16, s[6:7]
	v_cmp_lt_u32_e64 s[4:5], v66, v100
	s_mov_b64 s[22:23], -1
	s_waitcnt vmcnt(0) lgkmcnt(0)
	v_cndmask_b32_e64 v80, v15, v23, s[6:7]
	v_cndmask_b32_e64 v81, v14, v69, s[6:7]
	;; [unrolled: 1-line block ×4, first 2 shown]
	s_and_saveexec_b64 s[24:25], s[4:5]
	s_cbranch_execz .LBB1247_440
; %bb.431:
	v_cmp_lt_u32_e64 s[22:23], v67, v99
	s_xor_b64 s[4:5], s[0:1], -1
	s_and_b64 s[4:5], s[22:23], s[4:5]
	s_and_saveexec_b64 s[26:27], s[4:5]
	s_cbranch_execz .LBB1247_439
; %bb.432:
	v_mul_lo_u32 v12, v82, v6
	v_mul_lo_u32 v16, v83, v7
	v_mad_u64_u32 v[14:15], s[4:5], v83, v6, 0
	v_add3_u32 v15, v15, v16, v12
	v_mul_lo_u32 v12, v80, v6
	v_mul_lo_u32 v18, v81, v7
	v_mad_u64_u32 v[16:17], s[4:5], v81, v6, 0
	v_add3_u32 v17, v17, v18, v12
	v_lshl_add_u64 v[14:15], v[14:15], 1, v[8:9]
	v_lshl_add_u64 v[16:17], v[16:17], 1, v[8:9]
	s_mov_b64 s[28:29], 0
	v_mov_b64_e32 v[18:19], v[6:7]
                                        ; implicit-def: $sgpr30_sgpr31
                                        ; implicit-def: $sgpr34_sgpr35
                                        ; implicit-def: $sgpr36_sgpr37
	s_branch .LBB1247_434
.LBB1247_433:                           ;   in Loop: Header=BB1247_434 Depth=1
	s_or_b64 exec, exec, s[44:45]
	s_and_b64 s[4:5], exec, s[38:39]
	s_or_b64 s[28:29], s[4:5], s[28:29]
	s_andn2_b64 s[4:5], s[30:31], exec
	s_and_b64 s[30:31], s[34:35], exec
	s_or_b64 s[30:31], s[4:5], s[30:31]
	s_andn2_b64 exec, exec, s[28:29]
	s_cbranch_execz .LBB1247_438
.LBB1247_434:                           ; =>This Inner Loop Header: Depth=1
	flat_load_ushort v12, v[16:17]
	flat_load_ushort v84, v[14:15]
	s_mov_b64 s[38:39], -1
	s_mov_b64 s[42:43], 0
	s_mov_b64 s[40:41], -1
	s_waitcnt vmcnt(0) lgkmcnt(0)
	v_cmp_nlt_f16_e64 s[4:5], v12, v84
	s_and_saveexec_b64 s[44:45], s[4:5]
; %bb.435:                              ;   in Loop: Header=BB1247_434 Depth=1
	v_cmp_ngt_f16_e64 s[4:5], v12, v84
	s_and_b64 s[36:37], s[4:5], s[36:37]
	s_orn2_b64 s[40:41], s[36:37], exec
	s_and_b64 s[42:43], s[4:5], exec
; %bb.436:                              ;   in Loop: Header=BB1247_434 Depth=1
	s_or_b64 exec, exec, s[44:45]
	s_andn2_b64 s[4:5], s[34:35], exec
	s_and_b64 s[34:35], s[40:41], exec
	s_or_b64 s[34:35], s[4:5], s[34:35]
                                        ; implicit-def: $sgpr36_sgpr37
	s_and_saveexec_b64 s[44:45], s[42:43]
	s_cbranch_execz .LBB1247_433
; %bb.437:                              ;   in Loop: Header=BB1247_434 Depth=1
	v_lshl_add_u64 v[18:19], v[18:19], 0, -1
	v_cmp_eq_u64_e64 s[4:5], 0, v[18:19]
	v_lshl_add_u64 v[14:15], v[14:15], 0, 2
	v_lshl_add_u64 v[16:17], v[16:17], 0, 2
	s_and_b64 s[36:37], s[40:41], exec
	s_andn2_b64 s[34:35], s[34:35], exec
	s_orn2_b64 s[38:39], s[4:5], exec
	s_branch .LBB1247_433
.LBB1247_438:
	s_or_b64 exec, exec, s[28:29]
	s_xor_b64 s[4:5], s[30:31], -1
	s_andn2_b64 s[22:23], s[22:23], exec
	s_and_b64 s[4:5], s[4:5], exec
	s_or_b64 s[22:23], s[22:23], s[4:5]
.LBB1247_439:
	s_or_b64 exec, exec, s[26:27]
	s_orn2_b64 s[22:23], s[22:23], exec
.LBB1247_440:
	s_or_b64 exec, exec, s[24:25]
	v_cndmask_b32_e64 v12, v66, v67, s[22:23]
	v_cndmask_b32_e64 v14, v100, v99, s[22:23]
	v_add_u32_e32 v15, 1, v12
	v_add_u32_e32 v12, -1, v14
	v_min_u32_e32 v12, v15, v12
	v_lshl_add_u64 v[12:13], v[12:13], 3, v[54:55]
	flat_load_dwordx2 v[12:13], v[12:13]
	v_cndmask_b32_e64 v18, v15, v66, s[22:23]
	v_cndmask_b32_e64 v19, v67, v15, s[22:23]
	v_cmp_lt_u32_e64 s[4:5], v18, v100
	s_waitcnt vmcnt(0) lgkmcnt(0)
	v_cndmask_b32_e64 v84, v13, v80, s[22:23]
	v_cndmask_b32_e64 v85, v12, v81, s[22:23]
	v_cndmask_b32_e64 v86, v82, v13, s[22:23]
	v_cndmask_b32_e64 v87, v83, v12, s[22:23]
	s_and_saveexec_b64 s[24:25], s[4:5]
	s_cbranch_execz .LBB1247_450
; %bb.441:
	v_cmp_lt_u32_e64 s[20:21], v19, v99
	s_xor_b64 s[4:5], s[0:1], -1
	s_and_b64 s[4:5], s[20:21], s[4:5]
	s_and_saveexec_b64 s[26:27], s[4:5]
	s_cbranch_execz .LBB1247_449
; %bb.442:
	v_mul_lo_u32 v14, v86, v6
	v_mul_lo_u32 v15, v87, v7
	v_mad_u64_u32 v[12:13], s[4:5], v87, v6, 0
	v_add3_u32 v13, v13, v15, v14
	v_mul_lo_u32 v16, v84, v6
	v_mul_lo_u32 v17, v85, v7
	v_mad_u64_u32 v[14:15], s[4:5], v85, v6, 0
	v_add3_u32 v15, v15, v17, v16
	v_lshl_add_u64 v[12:13], v[12:13], 1, v[8:9]
	v_lshl_add_u64 v[14:15], v[14:15], 1, v[8:9]
	s_mov_b64 s[28:29], 0
	v_mov_b64_e32 v[16:17], v[6:7]
                                        ; implicit-def: $sgpr30_sgpr31
                                        ; implicit-def: $sgpr34_sgpr35
                                        ; implicit-def: $sgpr36_sgpr37
	s_branch .LBB1247_444
.LBB1247_443:                           ;   in Loop: Header=BB1247_444 Depth=1
	s_or_b64 exec, exec, s[44:45]
	s_and_b64 s[4:5], exec, s[38:39]
	s_or_b64 s[28:29], s[4:5], s[28:29]
	s_andn2_b64 s[4:5], s[30:31], exec
	s_and_b64 s[30:31], s[34:35], exec
	s_or_b64 s[30:31], s[4:5], s[30:31]
	s_andn2_b64 exec, exec, s[28:29]
	s_cbranch_execz .LBB1247_448
.LBB1247_444:                           ; =>This Inner Loop Header: Depth=1
	flat_load_ushort v66, v[14:15]
	flat_load_ushort v67, v[12:13]
	s_mov_b64 s[38:39], -1
	s_mov_b64 s[42:43], 0
	s_mov_b64 s[40:41], -1
	s_waitcnt vmcnt(0) lgkmcnt(0)
	v_cmp_nlt_f16_e64 s[4:5], v66, v67
	s_and_saveexec_b64 s[44:45], s[4:5]
; %bb.445:                              ;   in Loop: Header=BB1247_444 Depth=1
	v_cmp_ngt_f16_e64 s[4:5], v66, v67
	s_and_b64 s[36:37], s[4:5], s[36:37]
	s_orn2_b64 s[40:41], s[36:37], exec
	s_and_b64 s[42:43], s[4:5], exec
; %bb.446:                              ;   in Loop: Header=BB1247_444 Depth=1
	s_or_b64 exec, exec, s[44:45]
	s_andn2_b64 s[4:5], s[34:35], exec
	s_and_b64 s[34:35], s[40:41], exec
	s_or_b64 s[34:35], s[4:5], s[34:35]
                                        ; implicit-def: $sgpr36_sgpr37
	s_and_saveexec_b64 s[44:45], s[42:43]
	s_cbranch_execz .LBB1247_443
; %bb.447:                              ;   in Loop: Header=BB1247_444 Depth=1
	v_lshl_add_u64 v[16:17], v[16:17], 0, -1
	v_cmp_eq_u64_e64 s[4:5], 0, v[16:17]
	v_lshl_add_u64 v[12:13], v[12:13], 0, 2
	v_lshl_add_u64 v[14:15], v[14:15], 0, 2
	s_and_b64 s[36:37], s[40:41], exec
	s_andn2_b64 s[34:35], s[34:35], exec
	s_orn2_b64 s[38:39], s[4:5], exec
	s_branch .LBB1247_443
.LBB1247_448:
	s_or_b64 exec, exec, s[28:29]
	s_xor_b64 s[4:5], s[30:31], -1
	s_andn2_b64 s[20:21], s[20:21], exec
	s_and_b64 s[4:5], s[4:5], exec
	s_or_b64 s[20:21], s[20:21], s[4:5]
.LBB1247_449:
	s_or_b64 exec, exec, s[26:27]
	s_orn2_b64 s[20:21], s[20:21], exec
.LBB1247_450:
	s_or_b64 exec, exec, s[24:25]
	v_cndmask_b32_e64 v12, v18, v19, s[20:21]
	v_cndmask_b32_e64 v13, v100, v99, s[20:21]
	v_add_u32_e32 v16, 1, v12
	v_add_u32_e32 v12, -1, v13
	v_min_u32_e32 v12, v16, v12
	v_mov_b32_e32 v13, 0
	v_lshl_add_u64 v[14:15], v[12:13], 3, v[54:55]
	flat_load_dwordx2 v[14:15], v[14:15]
	v_cndmask_b32_e64 v66, v16, v18, s[20:21]
	s_mov_b64 s[24:25], -1
	v_cndmask_b32_e64 v67, v19, v16, s[20:21]
	v_cmp_lt_u32_e64 s[4:5], v66, v100
	s_mov_b64 s[26:27], -1
	s_waitcnt vmcnt(0) lgkmcnt(0)
	v_cndmask_b32_e64 v96, v15, v84, s[20:21]
	v_cndmask_b32_e64 v97, v14, v85, s[20:21]
	;; [unrolled: 1-line block ×4, first 2 shown]
	s_and_saveexec_b64 s[28:29], s[4:5]
	s_cbranch_execz .LBB1247_460
; %bb.451:
	v_cmp_lt_u32_e64 s[26:27], v67, v99
	s_xor_b64 s[4:5], s[0:1], -1
	s_and_b64 s[4:5], s[26:27], s[4:5]
	s_and_saveexec_b64 s[30:31], s[4:5]
	s_cbranch_execz .LBB1247_459
; %bb.452:
	v_mul_lo_u32 v12, v101, v6
	v_mul_lo_u32 v16, v102, v7
	v_mad_u64_u32 v[14:15], s[4:5], v102, v6, 0
	v_add3_u32 v15, v15, v16, v12
	v_mul_lo_u32 v12, v96, v6
	v_mul_lo_u32 v18, v97, v7
	v_mad_u64_u32 v[16:17], s[4:5], v97, v6, 0
	v_add3_u32 v17, v17, v18, v12
	v_lshl_add_u64 v[14:15], v[14:15], 1, v[8:9]
	v_lshl_add_u64 v[16:17], v[16:17], 1, v[8:9]
	s_mov_b64 s[34:35], 0
	v_mov_b64_e32 v[18:19], v[6:7]
                                        ; implicit-def: $sgpr36_sgpr37
                                        ; implicit-def: $sgpr38_sgpr39
                                        ; implicit-def: $sgpr40_sgpr41
	s_branch .LBB1247_454
.LBB1247_453:                           ;   in Loop: Header=BB1247_454 Depth=1
	s_or_b64 exec, exec, s[48:49]
	s_and_b64 s[4:5], exec, s[42:43]
	s_or_b64 s[34:35], s[4:5], s[34:35]
	s_andn2_b64 s[4:5], s[36:37], exec
	s_and_b64 s[36:37], s[38:39], exec
	s_or_b64 s[36:37], s[4:5], s[36:37]
	s_andn2_b64 exec, exec, s[34:35]
	s_cbranch_execz .LBB1247_458
.LBB1247_454:                           ; =>This Inner Loop Header: Depth=1
	flat_load_ushort v12, v[16:17]
	flat_load_ushort v103, v[14:15]
	s_mov_b64 s[42:43], -1
	s_mov_b64 s[46:47], 0
	s_mov_b64 s[44:45], -1
	s_waitcnt vmcnt(0) lgkmcnt(0)
	v_cmp_nlt_f16_e64 s[4:5], v12, v103
	s_and_saveexec_b64 s[48:49], s[4:5]
; %bb.455:                              ;   in Loop: Header=BB1247_454 Depth=1
	v_cmp_ngt_f16_e64 s[4:5], v12, v103
	s_and_b64 s[40:41], s[4:5], s[40:41]
	s_orn2_b64 s[44:45], s[40:41], exec
	s_and_b64 s[46:47], s[4:5], exec
; %bb.456:                              ;   in Loop: Header=BB1247_454 Depth=1
	s_or_b64 exec, exec, s[48:49]
	s_andn2_b64 s[4:5], s[38:39], exec
	s_and_b64 s[38:39], s[44:45], exec
	s_or_b64 s[38:39], s[4:5], s[38:39]
                                        ; implicit-def: $sgpr40_sgpr41
	s_and_saveexec_b64 s[48:49], s[46:47]
	s_cbranch_execz .LBB1247_453
; %bb.457:                              ;   in Loop: Header=BB1247_454 Depth=1
	v_lshl_add_u64 v[18:19], v[18:19], 0, -1
	v_cmp_eq_u64_e64 s[4:5], 0, v[18:19]
	v_lshl_add_u64 v[14:15], v[14:15], 0, 2
	v_lshl_add_u64 v[16:17], v[16:17], 0, 2
	s_and_b64 s[40:41], s[44:45], exec
	s_andn2_b64 s[38:39], s[38:39], exec
	s_orn2_b64 s[42:43], s[4:5], exec
	s_branch .LBB1247_453
.LBB1247_458:
	s_or_b64 exec, exec, s[34:35]
	s_xor_b64 s[4:5], s[36:37], -1
	s_andn2_b64 s[26:27], s[26:27], exec
	s_and_b64 s[4:5], s[4:5], exec
	s_or_b64 s[26:27], s[26:27], s[4:5]
.LBB1247_459:
	s_or_b64 exec, exec, s[30:31]
	s_orn2_b64 s[26:27], s[26:27], exec
.LBB1247_460:
	s_or_b64 exec, exec, s[28:29]
	v_cndmask_b32_e64 v12, v66, v67, s[26:27]
	v_cndmask_b32_e64 v14, v100, v99, s[26:27]
	v_add_u32_e32 v15, 1, v12
	v_add_u32_e32 v12, -1, v14
	v_min_u32_e32 v12, v15, v12
	v_lshl_add_u64 v[12:13], v[12:13], 3, v[54:55]
	flat_load_dwordx2 v[12:13], v[12:13]
	v_cndmask_b32_e64 v114, v15, v66, s[26:27]
	v_cndmask_b32_e64 v103, v67, v15, s[26:27]
	v_cmp_lt_u32_e64 s[4:5], v114, v100
	s_waitcnt vmcnt(0) lgkmcnt(0)
	v_cndmask_b32_e64 v112, v13, v96, s[26:27]
	v_cndmask_b32_e64 v113, v12, v97, s[26:27]
	;; [unrolled: 1-line block ×4, first 2 shown]
	s_and_saveexec_b64 s[28:29], s[4:5]
	s_cbranch_execz .LBB1247_470
; %bb.461:
	v_cmp_lt_u32_e64 s[24:25], v103, v99
	s_xor_b64 s[4:5], s[0:1], -1
	s_and_b64 s[4:5], s[24:25], s[4:5]
	s_and_saveexec_b64 s[30:31], s[4:5]
	s_cbranch_execz .LBB1247_469
; %bb.462:
	v_mul_lo_u32 v14, v115, v6
	v_mul_lo_u32 v15, v116, v7
	v_mad_u64_u32 v[12:13], s[4:5], v116, v6, 0
	v_add3_u32 v13, v13, v15, v14
	v_mul_lo_u32 v16, v112, v6
	v_mul_lo_u32 v17, v113, v7
	v_mad_u64_u32 v[14:15], s[4:5], v113, v6, 0
	v_add3_u32 v15, v15, v17, v16
	v_lshl_add_u64 v[12:13], v[12:13], 1, v[8:9]
	v_lshl_add_u64 v[14:15], v[14:15], 1, v[8:9]
	s_mov_b64 s[34:35], 0
	v_mov_b64_e32 v[16:17], v[6:7]
                                        ; implicit-def: $sgpr36_sgpr37
                                        ; implicit-def: $sgpr38_sgpr39
                                        ; implicit-def: $sgpr40_sgpr41
	s_branch .LBB1247_464
.LBB1247_463:                           ;   in Loop: Header=BB1247_464 Depth=1
	s_or_b64 exec, exec, s[48:49]
	s_and_b64 s[4:5], exec, s[42:43]
	s_or_b64 s[34:35], s[4:5], s[34:35]
	s_andn2_b64 s[4:5], s[36:37], exec
	s_and_b64 s[36:37], s[38:39], exec
	s_or_b64 s[36:37], s[4:5], s[36:37]
	s_andn2_b64 exec, exec, s[34:35]
	s_cbranch_execz .LBB1247_468
.LBB1247_464:                           ; =>This Inner Loop Header: Depth=1
	flat_load_ushort v18, v[14:15]
	flat_load_ushort v19, v[12:13]
	s_mov_b64 s[42:43], -1
	s_mov_b64 s[46:47], 0
	s_mov_b64 s[44:45], -1
	s_waitcnt vmcnt(0) lgkmcnt(0)
	v_cmp_nlt_f16_e64 s[4:5], v18, v19
	s_and_saveexec_b64 s[48:49], s[4:5]
; %bb.465:                              ;   in Loop: Header=BB1247_464 Depth=1
	v_cmp_ngt_f16_e64 s[4:5], v18, v19
	s_and_b64 s[40:41], s[4:5], s[40:41]
	s_orn2_b64 s[44:45], s[40:41], exec
	s_and_b64 s[46:47], s[4:5], exec
; %bb.466:                              ;   in Loop: Header=BB1247_464 Depth=1
	s_or_b64 exec, exec, s[48:49]
	s_andn2_b64 s[4:5], s[38:39], exec
	s_and_b64 s[38:39], s[44:45], exec
	s_or_b64 s[38:39], s[4:5], s[38:39]
                                        ; implicit-def: $sgpr40_sgpr41
	s_and_saveexec_b64 s[48:49], s[46:47]
	s_cbranch_execz .LBB1247_463
; %bb.467:                              ;   in Loop: Header=BB1247_464 Depth=1
	v_lshl_add_u64 v[16:17], v[16:17], 0, -1
	v_cmp_eq_u64_e64 s[4:5], 0, v[16:17]
	v_lshl_add_u64 v[12:13], v[12:13], 0, 2
	v_lshl_add_u64 v[14:15], v[14:15], 0, 2
	s_and_b64 s[40:41], s[44:45], exec
	s_andn2_b64 s[38:39], s[38:39], exec
	s_orn2_b64 s[42:43], s[4:5], exec
	s_branch .LBB1247_463
.LBB1247_468:
	s_or_b64 exec, exec, s[34:35]
	s_xor_b64 s[4:5], s[36:37], -1
	s_andn2_b64 s[24:25], s[24:25], exec
	s_and_b64 s[4:5], s[4:5], exec
	s_or_b64 s[24:25], s[24:25], s[4:5]
.LBB1247_469:
	s_or_b64 exec, exec, s[30:31]
	s_orn2_b64 s[24:25], s[24:25], exec
.LBB1247_470:
	s_or_b64 exec, exec, s[28:29]
	v_cndmask_b32_e64 v12, v114, v103, s[24:25]
	v_cndmask_b32_e64 v13, v100, v99, s[24:25]
	v_add_u32_e32 v117, 1, v12
	v_add_u32_e32 v12, -1, v13
	v_min_u32_e32 v12, v117, v12
	v_mov_b32_e32 v13, 0
	v_lshl_add_u64 v[12:13], v[12:13], 3, v[54:55]
	flat_load_dwordx2 v[66:67], v[12:13]
	v_cndmask_b32_e64 v17, v23, v70, s[6:7]
	v_cndmask_b32_e64 v23, v20, v22, s[18:19]
	v_cndmask_b32_e64 v22, v21, v68, s[18:19]
	v_cndmask_b32_e64 v68, v117, v114, s[24:25]
	v_cndmask_b32_e64 v15, v96, v101, s[26:27]
	v_cndmask_b32_e64 v14, v97, v102, s[26:27]
	v_cndmask_b32_e64 v13, v84, v86, s[20:21]
	v_cndmask_b32_e64 v12, v85, v87, s[20:21]
	v_cndmask_b32_e64 v19, v80, v82, s[22:23]
	v_cndmask_b32_e64 v18, v81, v83, s[22:23]
	v_cndmask_b32_e64 v16, v69, v71, s[6:7]
	v_cndmask_b32_e64 v21, v3, v1, s[16:17]
	v_cndmask_b32_e64 v20, v2, v0, s[16:17]
	v_cndmask_b32_e64 v1, v112, v115, s[24:25]
	v_cndmask_b32_e64 v0, v113, v116, s[24:25]
	v_cmp_lt_u32_e64 s[4:5], v68, v100
	s_waitcnt vmcnt(0) lgkmcnt(0)
	v_cndmask_b32_e64 v3, v115, v67, s[24:25]
	v_cndmask_b32_e64 v2, v116, v66, s[24:25]
	s_and_saveexec_b64 s[6:7], s[4:5]
	s_cbranch_execz .LBB1247_480
; %bb.471:
	v_cndmask_b32_e64 v81, v66, v113, s[24:25]
	v_cndmask_b32_e64 v66, v103, v117, s[24:25]
	v_cmp_ge_u32_e64 s[4:5], v66, v99
	v_cndmask_b32_e64 v80, v67, v112, s[24:25]
	s_or_b64 s[16:17], s[4:5], s[0:1]
	v_cndmask_b32_e64 v67, v3, v80, s[4:5]
	s_xor_b64 s[18:19], s[16:17], -1
	v_cndmask_b32_e64 v66, v2, v81, s[4:5]
	s_and_saveexec_b64 s[16:17], s[18:19]
	s_cbranch_execz .LBB1247_479
; %bb.472:
	v_mul_lo_u32 v68, v3, v6
	v_mul_lo_u32 v69, v2, v7
	v_mad_u64_u32 v[66:67], s[4:5], v2, v6, 0
	v_add3_u32 v67, v67, v69, v68
	v_mul_lo_u32 v70, v80, v6
	v_mul_lo_u32 v71, v81, v7
	v_mad_u64_u32 v[68:69], s[4:5], v81, v6, 0
	v_add3_u32 v69, v69, v71, v70
	v_lshl_add_u64 v[66:67], v[66:67], 1, v[8:9]
	v_lshl_add_u64 v[68:69], v[68:69], 1, v[8:9]
	s_mov_b64 s[18:19], 0
	v_mov_b64_e32 v[70:71], v[6:7]
                                        ; implicit-def: $sgpr20_sgpr21
                                        ; implicit-def: $sgpr22_sgpr23
                                        ; implicit-def: $sgpr24_sgpr25
	s_branch .LBB1247_474
.LBB1247_473:                           ;   in Loop: Header=BB1247_474 Depth=1
	s_or_b64 exec, exec, s[34:35]
	s_and_b64 s[4:5], exec, s[26:27]
	s_or_b64 s[18:19], s[4:5], s[18:19]
	s_andn2_b64 s[4:5], s[20:21], exec
	s_and_b64 s[20:21], s[22:23], exec
	s_or_b64 s[20:21], s[4:5], s[20:21]
	s_andn2_b64 exec, exec, s[18:19]
	s_cbranch_execz .LBB1247_478
.LBB1247_474:                           ; =>This Inner Loop Header: Depth=1
	flat_load_ushort v82, v[68:69]
	flat_load_ushort v83, v[66:67]
	s_mov_b64 s[26:27], -1
	s_mov_b64 s[30:31], 0
	s_mov_b64 s[28:29], -1
	s_waitcnt vmcnt(0) lgkmcnt(0)
	v_cmp_nlt_f16_e64 s[4:5], v82, v83
	s_and_saveexec_b64 s[34:35], s[4:5]
; %bb.475:                              ;   in Loop: Header=BB1247_474 Depth=1
	v_cmp_ngt_f16_e64 s[4:5], v82, v83
	s_and_b64 s[24:25], s[4:5], s[24:25]
	s_orn2_b64 s[28:29], s[24:25], exec
	s_and_b64 s[30:31], s[4:5], exec
; %bb.476:                              ;   in Loop: Header=BB1247_474 Depth=1
	s_or_b64 exec, exec, s[34:35]
	s_andn2_b64 s[4:5], s[22:23], exec
	s_and_b64 s[22:23], s[28:29], exec
	s_or_b64 s[22:23], s[4:5], s[22:23]
                                        ; implicit-def: $sgpr24_sgpr25
	s_and_saveexec_b64 s[34:35], s[30:31]
	s_cbranch_execz .LBB1247_473
; %bb.477:                              ;   in Loop: Header=BB1247_474 Depth=1
	v_lshl_add_u64 v[70:71], v[70:71], 0, -1
	v_cmp_eq_u64_e64 s[4:5], 0, v[70:71]
	v_lshl_add_u64 v[66:67], v[66:67], 0, 2
	v_lshl_add_u64 v[68:69], v[68:69], 0, 2
	s_and_b64 s[24:25], s[28:29], exec
	s_andn2_b64 s[22:23], s[22:23], exec
	s_orn2_b64 s[26:27], s[4:5], exec
	s_branch .LBB1247_473
.LBB1247_478:
	s_or_b64 exec, exec, s[18:19]
	v_cndmask_b32_e64 v67, v3, v80, s[20:21]
	v_cndmask_b32_e64 v66, v2, v81, s[20:21]
.LBB1247_479:
	s_or_b64 exec, exec, s[16:17]
	v_mov_b64_e32 v[2:3], v[66:67]
.LBB1247_480:
	s_or_b64 exec, exec, s[6:7]
.LBB1247_481:
	s_or_b64 exec, exec, s[14:15]
	v_and_b32_e32 v101, 0x3c0, v98
	v_or_b32_e32 v66, 32, v101
	v_min_u32_e32 v99, v31, v66
	v_add_u32_e32 v66, 32, v99
	v_min_u32_e32 v100, v31, v66
	v_and_b32_e32 v66, 56, v98
	v_min_u32_e32 v102, v31, v66
	v_sub_u32_e32 v66, v99, v101
	v_sub_u32_e32 v67, v100, v99
	v_sub_u32_e64 v103, v102, v67 clamp
	v_min_u32_e32 v112, v102, v66
	v_cmp_lt_u32_e64 s[4:5], v103, v112
	; wave barrier
	flat_store_dwordx4 v[64:65], v[20:23]
	flat_store_dwordx4 v[64:65], v[16:19] offset:16
	flat_store_dwordx4 v[64:65], v[12:15] offset:32
	;; [unrolled: 1-line block ×3, first 2 shown]
	; wave barrier
	s_and_saveexec_b64 s[6:7], s[4:5]
	s_cbranch_execz .LBB1247_493
; %bb.482:
	v_lshlrev_b32_e32 v66, 3, v101
	v_mov_b32_e32 v67, 0
	v_lshl_add_u64 v[68:69], v[54:55], 0, v[66:67]
	v_lshlrev_b32_e32 v66, 3, v99
	v_lshl_add_u64 v[70:71], v[54:55], 0, v[66:67]
	v_lshlrev_b64 v[80:81], 1, v[6:7]
	s_mov_b64 s[14:15], 0
	s_branch .LBB1247_485
.LBB1247_483:                           ;   in Loop: Header=BB1247_485 Depth=1
	s_or_b64 exec, exec, s[18:19]
	s_and_b64 s[4:5], s[20:21], exec
.LBB1247_484:                           ;   in Loop: Header=BB1247_485 Depth=1
	s_or_b64 exec, exec, s[16:17]
	v_add_u32_e32 v66, 1, v82
	v_cndmask_b32_e64 v112, v112, v82, s[4:5]
	v_cndmask_b32_e64 v103, v66, v103, s[4:5]
	v_cmp_ge_u32_e64 s[4:5], v103, v112
	s_or_b64 s[14:15], s[4:5], s[14:15]
	s_andn2_b64 exec, exec, s[14:15]
	s_cbranch_execz .LBB1247_492
.LBB1247_485:                           ; =>This Loop Header: Depth=1
                                        ;     Child Loop BB1247_488 Depth 2
	v_add_u32_e32 v66, v112, v103
	v_lshrrev_b32_e32 v82, 1, v66
	s_mov_b64 s[4:5], 0
	s_and_saveexec_b64 s[16:17], vcc
	s_cbranch_execz .LBB1247_484
; %bb.486:                              ;   in Loop: Header=BB1247_485 Depth=1
	v_mov_b32_e32 v83, v67
	v_xad_u32 v66, v82, -1, v102
	v_lshl_add_u64 v[84:85], v[82:83], 3, v[68:69]
	v_lshl_add_u64 v[86:87], v[66:67], 3, v[70:71]
	flat_load_dwordx2 v[84:85], v[84:85]
	s_mov_b64 s[18:19], 0
	flat_load_dwordx2 v[86:87], v[86:87]
                                        ; implicit-def: $sgpr20_sgpr21
                                        ; implicit-def: $sgpr22_sgpr23
                                        ; implicit-def: $sgpr24_sgpr25
	s_waitcnt vmcnt(0) lgkmcnt(0)
	v_mul_lo_u32 v66, v80, v85
	v_mul_lo_u32 v83, v81, v84
	v_mad_u64_u32 v[84:85], s[4:5], v80, v84, v[8:9]
	v_mul_lo_u32 v96, v80, v87
	v_mul_lo_u32 v97, v81, v86
	v_mad_u64_u32 v[86:87], s[4:5], v80, v86, v[8:9]
	v_add3_u32 v85, v83, v85, v66
	v_add3_u32 v87, v97, v87, v96
	v_mov_b64_e32 v[96:97], v[6:7]
	s_branch .LBB1247_488
.LBB1247_487:                           ;   in Loop: Header=BB1247_488 Depth=2
	s_or_b64 exec, exec, s[34:35]
	s_and_b64 s[4:5], exec, s[26:27]
	s_or_b64 s[18:19], s[4:5], s[18:19]
	s_andn2_b64 s[4:5], s[20:21], exec
	s_and_b64 s[20:21], s[22:23], exec
	s_or_b64 s[20:21], s[4:5], s[20:21]
	s_andn2_b64 exec, exec, s[18:19]
	s_cbranch_execz .LBB1247_483
.LBB1247_488:                           ;   Parent Loop BB1247_485 Depth=1
                                        ; =>  This Inner Loop Header: Depth=2
	flat_load_ushort v66, v[86:87]
	flat_load_ushort v83, v[84:85]
	s_mov_b64 s[26:27], -1
	s_mov_b64 s[30:31], 0
	s_mov_b64 s[28:29], -1
	s_waitcnt vmcnt(0) lgkmcnt(0)
	v_cmp_nlt_f16_e64 s[4:5], v66, v83
	s_and_saveexec_b64 s[34:35], s[4:5]
; %bb.489:                              ;   in Loop: Header=BB1247_488 Depth=2
	v_cmp_ngt_f16_e64 s[4:5], v66, v83
	s_and_b64 s[24:25], s[4:5], s[24:25]
	s_orn2_b64 s[28:29], s[24:25], exec
	s_and_b64 s[30:31], s[4:5], exec
; %bb.490:                              ;   in Loop: Header=BB1247_488 Depth=2
	s_or_b64 exec, exec, s[34:35]
	s_andn2_b64 s[4:5], s[22:23], exec
	s_and_b64 s[22:23], s[28:29], exec
	s_or_b64 s[22:23], s[4:5], s[22:23]
                                        ; implicit-def: $sgpr24_sgpr25
	s_and_saveexec_b64 s[34:35], s[30:31]
	s_cbranch_execz .LBB1247_487
; %bb.491:                              ;   in Loop: Header=BB1247_488 Depth=2
	v_lshl_add_u64 v[96:97], v[96:97], 0, -1
	v_cmp_eq_u64_e64 s[4:5], 0, v[96:97]
	v_lshl_add_u64 v[84:85], v[84:85], 0, 2
	v_lshl_add_u64 v[86:87], v[86:87], 0, 2
	s_andn2_b64 s[22:23], s[22:23], exec
	s_and_b64 s[24:25], s[28:29], exec
	s_orn2_b64 s[26:27], s[4:5], exec
	s_branch .LBB1247_487
.LBB1247_492:
	s_or_b64 exec, exec, s[14:15]
.LBB1247_493:
	s_or_b64 exec, exec, s[6:7]
	v_add_u32_e32 v67, v99, v102
	v_add_u32_e32 v66, v103, v101
	v_sub_u32_e32 v68, v67, v103
	v_cmp_le_u32_e64 s[4:5], v66, v99
	v_cmp_le_u32_e64 s[6:7], v68, v100
	s_or_b64 s[4:5], s[4:5], s[6:7]
	s_and_saveexec_b64 s[14:15], s[4:5]
	s_cbranch_execz .LBB1247_581
; %bb.494:
	v_cmp_ge_u32_e64 s[4:5], v66, v99
	v_cmp_lt_u32_e64 s[6:7], v66, v99
                                        ; implicit-def: $vgpr0_vgpr1
	s_and_saveexec_b64 s[16:17], s[6:7]
	s_cbranch_execz .LBB1247_496
; %bb.495:
	v_mov_b32_e32 v67, 0
	v_lshl_add_u64 v[0:1], v[66:67], 3, v[54:55]
	flat_load_dwordx2 v[0:1], v[0:1]
.LBB1247_496:
	s_or_b64 exec, exec, s[16:17]
	v_cmp_ge_u32_e64 s[16:17], v68, v100
	v_cmp_lt_u32_e64 s[6:7], v68, v100
                                        ; implicit-def: $vgpr2_vgpr3
	s_and_saveexec_b64 s[18:19], s[6:7]
	s_cbranch_execz .LBB1247_498
; %bb.497:
	v_mov_b32_e32 v69, 0
	v_lshl_add_u64 v[2:3], v[68:69], 3, v[54:55]
	flat_load_dwordx2 v[2:3], v[2:3]
.LBB1247_498:
	s_or_b64 exec, exec, s[18:19]
	s_or_b64 s[4:5], s[4:5], s[16:17]
	s_xor_b64 s[4:5], s[4:5], -1
	s_and_saveexec_b64 s[6:7], s[4:5]
	s_cbranch_execz .LBB1247_508
; %bb.499:
	s_mov_b64 s[4:5], 0
	s_and_saveexec_b64 s[18:19], s[2:3]
	s_cbranch_execz .LBB1247_507
; %bb.500:
	s_waitcnt vmcnt(0) lgkmcnt(0)
	v_mul_lo_u32 v14, v1, v6
	v_mul_lo_u32 v15, v0, v7
	v_mad_u64_u32 v[12:13], s[4:5], v0, v6, 0
	v_add3_u32 v13, v13, v15, v14
	v_mul_lo_u32 v16, v3, v6
	v_mul_lo_u32 v17, v2, v7
	v_mad_u64_u32 v[14:15], s[4:5], v2, v6, 0
	v_add3_u32 v15, v15, v17, v16
	v_lshl_add_u64 v[12:13], v[12:13], 1, v[8:9]
	v_lshl_add_u64 v[14:15], v[14:15], 1, v[8:9]
	s_mov_b64 s[20:21], 0
	v_mov_b64_e32 v[16:17], v[6:7]
                                        ; implicit-def: $sgpr22_sgpr23
                                        ; implicit-def: $sgpr24_sgpr25
                                        ; implicit-def: $sgpr26_sgpr27
	s_branch .LBB1247_502
.LBB1247_501:                           ;   in Loop: Header=BB1247_502 Depth=1
	s_or_b64 exec, exec, s[34:35]
	s_and_b64 s[4:5], exec, s[4:5]
	s_or_b64 s[20:21], s[4:5], s[20:21]
	s_andn2_b64 s[4:5], s[22:23], exec
	s_and_b64 s[22:23], s[24:25], exec
	s_or_b64 s[22:23], s[4:5], s[22:23]
	s_andn2_b64 exec, exec, s[20:21]
	s_cbranch_execz .LBB1247_506
.LBB1247_502:                           ; =>This Inner Loop Header: Depth=1
	flat_load_ushort v18, v[14:15]
	flat_load_ushort v19, v[12:13]
	s_mov_b64 s[30:31], 0
	s_mov_b64 s[28:29], -1
	s_waitcnt vmcnt(0) lgkmcnt(0)
	v_cmp_nlt_f16_e64 s[4:5], v18, v19
	s_and_saveexec_b64 s[34:35], s[4:5]
; %bb.503:                              ;   in Loop: Header=BB1247_502 Depth=1
	v_cmp_ngt_f16_e64 s[4:5], v18, v19
	s_and_b64 s[26:27], s[4:5], s[26:27]
	s_orn2_b64 s[28:29], s[26:27], exec
	s_and_b64 s[30:31], s[4:5], exec
; %bb.504:                              ;   in Loop: Header=BB1247_502 Depth=1
	s_or_b64 exec, exec, s[34:35]
	s_andn2_b64 s[24:25], s[24:25], exec
	s_and_b64 s[26:27], s[28:29], exec
	s_mov_b64 s[4:5], -1
	s_or_b64 s[24:25], s[24:25], s[26:27]
                                        ; implicit-def: $sgpr26_sgpr27
	s_and_saveexec_b64 s[34:35], s[30:31]
	s_cbranch_execz .LBB1247_501
; %bb.505:                              ;   in Loop: Header=BB1247_502 Depth=1
	v_lshl_add_u64 v[16:17], v[16:17], 0, -1
	v_cmp_eq_u64_e64 s[4:5], 0, v[16:17]
	v_lshl_add_u64 v[12:13], v[12:13], 0, 2
	v_lshl_add_u64 v[14:15], v[14:15], 0, 2
	s_andn2_b64 s[24:25], s[24:25], exec
	s_and_b64 s[26:27], s[28:29], exec
	s_orn2_b64 s[4:5], s[4:5], exec
	s_branch .LBB1247_501
.LBB1247_506:
	s_or_b64 exec, exec, s[20:21]
	s_and_b64 s[4:5], s[22:23], exec
.LBB1247_507:
	s_or_b64 exec, exec, s[18:19]
	s_xor_b64 s[4:5], s[4:5], -1
	s_andn2_b64 s[16:17], s[16:17], exec
	s_and_b64 s[4:5], s[4:5], exec
	s_or_b64 s[16:17], s[16:17], s[4:5]
.LBB1247_508:
	s_or_b64 exec, exec, s[6:7]
	v_cndmask_b32_e64 v12, v68, v66, s[16:17]
	v_cndmask_b32_e64 v13, v100, v99, s[16:17]
	v_add_u32_e32 v16, 1, v12
	v_add_u32_e32 v12, -1, v13
	v_min_u32_e32 v12, v16, v12
	v_mov_b32_e32 v13, 0
	v_lshl_add_u64 v[14:15], v[12:13], 3, v[54:55]
	flat_load_dwordx2 v[14:15], v[14:15]
	v_cndmask_b32_e64 v23, v16, v68, s[16:17]
	s_mov_b64 s[6:7], -1
	v_cndmask_b32_e64 v66, v66, v16, s[16:17]
	v_cmp_lt_u32_e64 s[4:5], v23, v100
	s_mov_b64 s[18:19], -1
	s_waitcnt vmcnt(0) lgkmcnt(0)
	v_cndmask_b32_e64 v20, v15, v3, s[16:17]
	v_cndmask_b32_e64 v21, v14, v2, s[16:17]
	;; [unrolled: 1-line block ×4, first 2 shown]
	s_and_saveexec_b64 s[20:21], s[4:5]
	s_cbranch_execz .LBB1247_520
; %bb.509:
	v_cmp_lt_u32_e64 s[4:5], v66, v99
	s_mov_b64 s[22:23], 0
	s_and_saveexec_b64 s[18:19], s[4:5]
	s_cbranch_execz .LBB1247_519
; %bb.510:
	s_mov_b64 s[4:5], 0
	s_and_saveexec_b64 s[22:23], s[2:3]
	s_cbranch_execz .LBB1247_518
; %bb.511:
	v_mul_lo_u32 v12, v22, v6
	v_mul_lo_u32 v16, v68, v7
	v_mad_u64_u32 v[14:15], s[4:5], v68, v6, 0
	v_add3_u32 v15, v15, v16, v12
	v_mul_lo_u32 v12, v20, v6
	v_mul_lo_u32 v18, v21, v7
	v_mad_u64_u32 v[16:17], s[4:5], v21, v6, 0
	v_add3_u32 v17, v17, v18, v12
	v_lshl_add_u64 v[14:15], v[14:15], 1, v[8:9]
	v_lshl_add_u64 v[16:17], v[16:17], 1, v[8:9]
	s_mov_b64 s[24:25], 0
	v_mov_b64_e32 v[18:19], v[6:7]
                                        ; implicit-def: $sgpr26_sgpr27
                                        ; implicit-def: $sgpr28_sgpr29
                                        ; implicit-def: $sgpr30_sgpr31
	s_branch .LBB1247_513
.LBB1247_512:                           ;   in Loop: Header=BB1247_513 Depth=1
	s_or_b64 exec, exec, s[38:39]
	s_and_b64 s[4:5], exec, s[4:5]
	s_or_b64 s[24:25], s[4:5], s[24:25]
	s_andn2_b64 s[4:5], s[26:27], exec
	s_and_b64 s[26:27], s[28:29], exec
	s_or_b64 s[26:27], s[4:5], s[26:27]
	s_andn2_b64 exec, exec, s[24:25]
	s_cbranch_execz .LBB1247_517
.LBB1247_513:                           ; =>This Inner Loop Header: Depth=1
	flat_load_ushort v12, v[16:17]
	flat_load_ushort v67, v[14:15]
	s_mov_b64 s[36:37], 0
	s_mov_b64 s[34:35], -1
	s_waitcnt vmcnt(0) lgkmcnt(0)
	v_cmp_nlt_f16_e64 s[4:5], v12, v67
	s_and_saveexec_b64 s[38:39], s[4:5]
; %bb.514:                              ;   in Loop: Header=BB1247_513 Depth=1
	v_cmp_ngt_f16_e64 s[4:5], v12, v67
	s_and_b64 s[30:31], s[4:5], s[30:31]
	s_orn2_b64 s[34:35], s[30:31], exec
	s_and_b64 s[36:37], s[4:5], exec
; %bb.515:                              ;   in Loop: Header=BB1247_513 Depth=1
	s_or_b64 exec, exec, s[38:39]
	s_andn2_b64 s[28:29], s[28:29], exec
	s_and_b64 s[30:31], s[34:35], exec
	s_mov_b64 s[4:5], -1
	s_or_b64 s[28:29], s[28:29], s[30:31]
                                        ; implicit-def: $sgpr30_sgpr31
	s_and_saveexec_b64 s[38:39], s[36:37]
	s_cbranch_execz .LBB1247_512
; %bb.516:                              ;   in Loop: Header=BB1247_513 Depth=1
	v_lshl_add_u64 v[18:19], v[18:19], 0, -1
	v_cmp_eq_u64_e64 s[4:5], 0, v[18:19]
	v_lshl_add_u64 v[14:15], v[14:15], 0, 2
	v_lshl_add_u64 v[16:17], v[16:17], 0, 2
	s_andn2_b64 s[28:29], s[28:29], exec
	s_and_b64 s[30:31], s[34:35], exec
	s_orn2_b64 s[4:5], s[4:5], exec
	s_branch .LBB1247_512
.LBB1247_517:
	s_or_b64 exec, exec, s[24:25]
	s_and_b64 s[4:5], s[26:27], exec
.LBB1247_518:
	s_or_b64 exec, exec, s[22:23]
	s_xor_b64 s[4:5], s[4:5], -1
	s_and_b64 s[22:23], s[4:5], exec
.LBB1247_519:
	s_or_b64 exec, exec, s[18:19]
	s_orn2_b64 s[18:19], s[22:23], exec
.LBB1247_520:
	s_or_b64 exec, exec, s[20:21]
	v_cndmask_b32_e64 v12, v23, v66, s[18:19]
	v_cndmask_b32_e64 v14, v100, v99, s[18:19]
	v_add_u32_e32 v15, 1, v12
	v_add_u32_e32 v12, -1, v14
	v_min_u32_e32 v12, v15, v12
	v_lshl_add_u64 v[12:13], v[12:13], 3, v[54:55]
	flat_load_dwordx2 v[12:13], v[12:13]
	v_cndmask_b32_e64 v18, v15, v23, s[18:19]
	v_cndmask_b32_e64 v19, v66, v15, s[18:19]
	v_cmp_lt_u32_e64 s[4:5], v18, v100
	s_waitcnt vmcnt(0) lgkmcnt(0)
	v_cndmask_b32_e64 v23, v13, v20, s[18:19]
	v_cndmask_b32_e64 v69, v12, v21, s[18:19]
	;; [unrolled: 1-line block ×4, first 2 shown]
	s_and_saveexec_b64 s[20:21], s[4:5]
	s_cbranch_execz .LBB1247_530
; %bb.521:
	v_cmp_lt_u32_e64 s[6:7], v19, v99
	s_xor_b64 s[4:5], s[0:1], -1
	s_and_b64 s[4:5], s[6:7], s[4:5]
	s_and_saveexec_b64 s[22:23], s[4:5]
	s_cbranch_execz .LBB1247_529
; %bb.522:
	v_mul_lo_u32 v14, v70, v6
	v_mul_lo_u32 v15, v71, v7
	v_mad_u64_u32 v[12:13], s[4:5], v71, v6, 0
	v_add3_u32 v13, v13, v15, v14
	v_mul_lo_u32 v16, v23, v6
	v_mul_lo_u32 v17, v69, v7
	v_mad_u64_u32 v[14:15], s[4:5], v69, v6, 0
	v_add3_u32 v15, v15, v17, v16
	v_lshl_add_u64 v[12:13], v[12:13], 1, v[8:9]
	v_lshl_add_u64 v[14:15], v[14:15], 1, v[8:9]
	s_mov_b64 s[24:25], 0
	v_mov_b64_e32 v[16:17], v[6:7]
                                        ; implicit-def: $sgpr26_sgpr27
                                        ; implicit-def: $sgpr28_sgpr29
                                        ; implicit-def: $sgpr30_sgpr31
	s_branch .LBB1247_524
.LBB1247_523:                           ;   in Loop: Header=BB1247_524 Depth=1
	s_or_b64 exec, exec, s[40:41]
	s_and_b64 s[4:5], exec, s[34:35]
	s_or_b64 s[24:25], s[4:5], s[24:25]
	s_andn2_b64 s[4:5], s[26:27], exec
	s_and_b64 s[26:27], s[28:29], exec
	s_or_b64 s[26:27], s[4:5], s[26:27]
	s_andn2_b64 exec, exec, s[24:25]
	s_cbranch_execz .LBB1247_528
.LBB1247_524:                           ; =>This Inner Loop Header: Depth=1
	flat_load_ushort v66, v[14:15]
	flat_load_ushort v67, v[12:13]
	s_mov_b64 s[34:35], -1
	s_mov_b64 s[38:39], 0
	s_mov_b64 s[36:37], -1
	s_waitcnt vmcnt(0) lgkmcnt(0)
	v_cmp_nlt_f16_e64 s[4:5], v66, v67
	s_and_saveexec_b64 s[40:41], s[4:5]
; %bb.525:                              ;   in Loop: Header=BB1247_524 Depth=1
	v_cmp_ngt_f16_e64 s[4:5], v66, v67
	s_and_b64 s[30:31], s[4:5], s[30:31]
	s_orn2_b64 s[36:37], s[30:31], exec
	s_and_b64 s[38:39], s[4:5], exec
; %bb.526:                              ;   in Loop: Header=BB1247_524 Depth=1
	s_or_b64 exec, exec, s[40:41]
	s_andn2_b64 s[4:5], s[28:29], exec
	s_and_b64 s[28:29], s[36:37], exec
	s_or_b64 s[28:29], s[4:5], s[28:29]
                                        ; implicit-def: $sgpr30_sgpr31
	s_and_saveexec_b64 s[40:41], s[38:39]
	s_cbranch_execz .LBB1247_523
; %bb.527:                              ;   in Loop: Header=BB1247_524 Depth=1
	v_lshl_add_u64 v[16:17], v[16:17], 0, -1
	v_cmp_eq_u64_e64 s[4:5], 0, v[16:17]
	v_lshl_add_u64 v[12:13], v[12:13], 0, 2
	v_lshl_add_u64 v[14:15], v[14:15], 0, 2
	s_and_b64 s[30:31], s[36:37], exec
	s_andn2_b64 s[28:29], s[28:29], exec
	s_orn2_b64 s[34:35], s[4:5], exec
	s_branch .LBB1247_523
.LBB1247_528:
	s_or_b64 exec, exec, s[24:25]
	s_xor_b64 s[4:5], s[26:27], -1
	s_andn2_b64 s[6:7], s[6:7], exec
	s_and_b64 s[4:5], s[4:5], exec
	s_or_b64 s[6:7], s[6:7], s[4:5]
.LBB1247_529:
	s_or_b64 exec, exec, s[22:23]
	s_orn2_b64 s[6:7], s[6:7], exec
.LBB1247_530:
	s_or_b64 exec, exec, s[20:21]
	v_cndmask_b32_e64 v12, v18, v19, s[6:7]
	v_cndmask_b32_e64 v13, v100, v99, s[6:7]
	v_add_u32_e32 v16, 1, v12
	v_add_u32_e32 v12, -1, v13
	v_min_u32_e32 v12, v16, v12
	v_mov_b32_e32 v13, 0
	v_lshl_add_u64 v[14:15], v[12:13], 3, v[54:55]
	flat_load_dwordx2 v[14:15], v[14:15]
	v_cndmask_b32_e64 v66, v16, v18, s[6:7]
	s_mov_b64 s[20:21], -1
	v_cndmask_b32_e64 v67, v19, v16, s[6:7]
	v_cmp_lt_u32_e64 s[4:5], v66, v100
	s_mov_b64 s[22:23], -1
	s_waitcnt vmcnt(0) lgkmcnt(0)
	v_cndmask_b32_e64 v80, v15, v23, s[6:7]
	v_cndmask_b32_e64 v81, v14, v69, s[6:7]
	;; [unrolled: 1-line block ×4, first 2 shown]
	s_and_saveexec_b64 s[24:25], s[4:5]
	s_cbranch_execz .LBB1247_540
; %bb.531:
	v_cmp_lt_u32_e64 s[22:23], v67, v99
	s_xor_b64 s[4:5], s[0:1], -1
	s_and_b64 s[4:5], s[22:23], s[4:5]
	s_and_saveexec_b64 s[26:27], s[4:5]
	s_cbranch_execz .LBB1247_539
; %bb.532:
	v_mul_lo_u32 v12, v82, v6
	v_mul_lo_u32 v16, v83, v7
	v_mad_u64_u32 v[14:15], s[4:5], v83, v6, 0
	v_add3_u32 v15, v15, v16, v12
	v_mul_lo_u32 v12, v80, v6
	v_mul_lo_u32 v18, v81, v7
	v_mad_u64_u32 v[16:17], s[4:5], v81, v6, 0
	v_add3_u32 v17, v17, v18, v12
	v_lshl_add_u64 v[14:15], v[14:15], 1, v[8:9]
	v_lshl_add_u64 v[16:17], v[16:17], 1, v[8:9]
	s_mov_b64 s[28:29], 0
	v_mov_b64_e32 v[18:19], v[6:7]
                                        ; implicit-def: $sgpr30_sgpr31
                                        ; implicit-def: $sgpr34_sgpr35
                                        ; implicit-def: $sgpr36_sgpr37
	s_branch .LBB1247_534
.LBB1247_533:                           ;   in Loop: Header=BB1247_534 Depth=1
	s_or_b64 exec, exec, s[44:45]
	s_and_b64 s[4:5], exec, s[38:39]
	s_or_b64 s[28:29], s[4:5], s[28:29]
	s_andn2_b64 s[4:5], s[30:31], exec
	s_and_b64 s[30:31], s[34:35], exec
	s_or_b64 s[30:31], s[4:5], s[30:31]
	s_andn2_b64 exec, exec, s[28:29]
	s_cbranch_execz .LBB1247_538
.LBB1247_534:                           ; =>This Inner Loop Header: Depth=1
	flat_load_ushort v12, v[16:17]
	flat_load_ushort v84, v[14:15]
	s_mov_b64 s[38:39], -1
	s_mov_b64 s[42:43], 0
	s_mov_b64 s[40:41], -1
	s_waitcnt vmcnt(0) lgkmcnt(0)
	v_cmp_nlt_f16_e64 s[4:5], v12, v84
	s_and_saveexec_b64 s[44:45], s[4:5]
; %bb.535:                              ;   in Loop: Header=BB1247_534 Depth=1
	v_cmp_ngt_f16_e64 s[4:5], v12, v84
	s_and_b64 s[36:37], s[4:5], s[36:37]
	s_orn2_b64 s[40:41], s[36:37], exec
	s_and_b64 s[42:43], s[4:5], exec
; %bb.536:                              ;   in Loop: Header=BB1247_534 Depth=1
	s_or_b64 exec, exec, s[44:45]
	s_andn2_b64 s[4:5], s[34:35], exec
	s_and_b64 s[34:35], s[40:41], exec
	s_or_b64 s[34:35], s[4:5], s[34:35]
                                        ; implicit-def: $sgpr36_sgpr37
	s_and_saveexec_b64 s[44:45], s[42:43]
	s_cbranch_execz .LBB1247_533
; %bb.537:                              ;   in Loop: Header=BB1247_534 Depth=1
	v_lshl_add_u64 v[18:19], v[18:19], 0, -1
	v_cmp_eq_u64_e64 s[4:5], 0, v[18:19]
	v_lshl_add_u64 v[14:15], v[14:15], 0, 2
	v_lshl_add_u64 v[16:17], v[16:17], 0, 2
	s_and_b64 s[36:37], s[40:41], exec
	s_andn2_b64 s[34:35], s[34:35], exec
	s_orn2_b64 s[38:39], s[4:5], exec
	s_branch .LBB1247_533
.LBB1247_538:
	s_or_b64 exec, exec, s[28:29]
	s_xor_b64 s[4:5], s[30:31], -1
	s_andn2_b64 s[22:23], s[22:23], exec
	s_and_b64 s[4:5], s[4:5], exec
	s_or_b64 s[22:23], s[22:23], s[4:5]
.LBB1247_539:
	s_or_b64 exec, exec, s[26:27]
	s_orn2_b64 s[22:23], s[22:23], exec
.LBB1247_540:
	s_or_b64 exec, exec, s[24:25]
	v_cndmask_b32_e64 v12, v66, v67, s[22:23]
	v_cndmask_b32_e64 v14, v100, v99, s[22:23]
	v_add_u32_e32 v15, 1, v12
	v_add_u32_e32 v12, -1, v14
	v_min_u32_e32 v12, v15, v12
	v_lshl_add_u64 v[12:13], v[12:13], 3, v[54:55]
	flat_load_dwordx2 v[12:13], v[12:13]
	v_cndmask_b32_e64 v18, v15, v66, s[22:23]
	v_cndmask_b32_e64 v19, v67, v15, s[22:23]
	v_cmp_lt_u32_e64 s[4:5], v18, v100
	s_waitcnt vmcnt(0) lgkmcnt(0)
	v_cndmask_b32_e64 v84, v13, v80, s[22:23]
	v_cndmask_b32_e64 v85, v12, v81, s[22:23]
	;; [unrolled: 1-line block ×4, first 2 shown]
	s_and_saveexec_b64 s[24:25], s[4:5]
	s_cbranch_execz .LBB1247_550
; %bb.541:
	v_cmp_lt_u32_e64 s[20:21], v19, v99
	s_xor_b64 s[4:5], s[0:1], -1
	s_and_b64 s[4:5], s[20:21], s[4:5]
	s_and_saveexec_b64 s[26:27], s[4:5]
	s_cbranch_execz .LBB1247_549
; %bb.542:
	v_mul_lo_u32 v14, v86, v6
	v_mul_lo_u32 v15, v87, v7
	v_mad_u64_u32 v[12:13], s[4:5], v87, v6, 0
	v_add3_u32 v13, v13, v15, v14
	v_mul_lo_u32 v16, v84, v6
	v_mul_lo_u32 v17, v85, v7
	v_mad_u64_u32 v[14:15], s[4:5], v85, v6, 0
	v_add3_u32 v15, v15, v17, v16
	v_lshl_add_u64 v[12:13], v[12:13], 1, v[8:9]
	v_lshl_add_u64 v[14:15], v[14:15], 1, v[8:9]
	s_mov_b64 s[28:29], 0
	v_mov_b64_e32 v[16:17], v[6:7]
                                        ; implicit-def: $sgpr30_sgpr31
                                        ; implicit-def: $sgpr34_sgpr35
                                        ; implicit-def: $sgpr36_sgpr37
	s_branch .LBB1247_544
.LBB1247_543:                           ;   in Loop: Header=BB1247_544 Depth=1
	s_or_b64 exec, exec, s[44:45]
	s_and_b64 s[4:5], exec, s[38:39]
	s_or_b64 s[28:29], s[4:5], s[28:29]
	s_andn2_b64 s[4:5], s[30:31], exec
	s_and_b64 s[30:31], s[34:35], exec
	s_or_b64 s[30:31], s[4:5], s[30:31]
	s_andn2_b64 exec, exec, s[28:29]
	s_cbranch_execz .LBB1247_548
.LBB1247_544:                           ; =>This Inner Loop Header: Depth=1
	flat_load_ushort v66, v[14:15]
	flat_load_ushort v67, v[12:13]
	s_mov_b64 s[38:39], -1
	s_mov_b64 s[42:43], 0
	s_mov_b64 s[40:41], -1
	s_waitcnt vmcnt(0) lgkmcnt(0)
	v_cmp_nlt_f16_e64 s[4:5], v66, v67
	s_and_saveexec_b64 s[44:45], s[4:5]
; %bb.545:                              ;   in Loop: Header=BB1247_544 Depth=1
	v_cmp_ngt_f16_e64 s[4:5], v66, v67
	s_and_b64 s[36:37], s[4:5], s[36:37]
	s_orn2_b64 s[40:41], s[36:37], exec
	s_and_b64 s[42:43], s[4:5], exec
; %bb.546:                              ;   in Loop: Header=BB1247_544 Depth=1
	s_or_b64 exec, exec, s[44:45]
	s_andn2_b64 s[4:5], s[34:35], exec
	s_and_b64 s[34:35], s[40:41], exec
	s_or_b64 s[34:35], s[4:5], s[34:35]
                                        ; implicit-def: $sgpr36_sgpr37
	s_and_saveexec_b64 s[44:45], s[42:43]
	s_cbranch_execz .LBB1247_543
; %bb.547:                              ;   in Loop: Header=BB1247_544 Depth=1
	v_lshl_add_u64 v[16:17], v[16:17], 0, -1
	v_cmp_eq_u64_e64 s[4:5], 0, v[16:17]
	v_lshl_add_u64 v[12:13], v[12:13], 0, 2
	v_lshl_add_u64 v[14:15], v[14:15], 0, 2
	s_and_b64 s[36:37], s[40:41], exec
	s_andn2_b64 s[34:35], s[34:35], exec
	s_orn2_b64 s[38:39], s[4:5], exec
	s_branch .LBB1247_543
.LBB1247_548:
	s_or_b64 exec, exec, s[28:29]
	s_xor_b64 s[4:5], s[30:31], -1
	s_andn2_b64 s[20:21], s[20:21], exec
	s_and_b64 s[4:5], s[4:5], exec
	s_or_b64 s[20:21], s[20:21], s[4:5]
.LBB1247_549:
	s_or_b64 exec, exec, s[26:27]
	s_orn2_b64 s[20:21], s[20:21], exec
.LBB1247_550:
	s_or_b64 exec, exec, s[24:25]
	v_cndmask_b32_e64 v12, v18, v19, s[20:21]
	v_cndmask_b32_e64 v13, v100, v99, s[20:21]
	v_add_u32_e32 v16, 1, v12
	v_add_u32_e32 v12, -1, v13
	v_min_u32_e32 v12, v16, v12
	v_mov_b32_e32 v13, 0
	v_lshl_add_u64 v[14:15], v[12:13], 3, v[54:55]
	flat_load_dwordx2 v[14:15], v[14:15]
	v_cndmask_b32_e64 v66, v16, v18, s[20:21]
	s_mov_b64 s[24:25], -1
	v_cndmask_b32_e64 v67, v19, v16, s[20:21]
	v_cmp_lt_u32_e64 s[4:5], v66, v100
	s_mov_b64 s[26:27], -1
	s_waitcnt vmcnt(0) lgkmcnt(0)
	v_cndmask_b32_e64 v96, v15, v84, s[20:21]
	v_cndmask_b32_e64 v97, v14, v85, s[20:21]
	;; [unrolled: 1-line block ×4, first 2 shown]
	s_and_saveexec_b64 s[28:29], s[4:5]
	s_cbranch_execz .LBB1247_560
; %bb.551:
	v_cmp_lt_u32_e64 s[26:27], v67, v99
	s_xor_b64 s[4:5], s[0:1], -1
	s_and_b64 s[4:5], s[26:27], s[4:5]
	s_and_saveexec_b64 s[30:31], s[4:5]
	s_cbranch_execz .LBB1247_559
; %bb.552:
	v_mul_lo_u32 v12, v101, v6
	v_mul_lo_u32 v16, v102, v7
	v_mad_u64_u32 v[14:15], s[4:5], v102, v6, 0
	v_add3_u32 v15, v15, v16, v12
	v_mul_lo_u32 v12, v96, v6
	v_mul_lo_u32 v18, v97, v7
	v_mad_u64_u32 v[16:17], s[4:5], v97, v6, 0
	v_add3_u32 v17, v17, v18, v12
	v_lshl_add_u64 v[14:15], v[14:15], 1, v[8:9]
	v_lshl_add_u64 v[16:17], v[16:17], 1, v[8:9]
	s_mov_b64 s[34:35], 0
	v_mov_b64_e32 v[18:19], v[6:7]
                                        ; implicit-def: $sgpr36_sgpr37
                                        ; implicit-def: $sgpr38_sgpr39
                                        ; implicit-def: $sgpr40_sgpr41
	s_branch .LBB1247_554
.LBB1247_553:                           ;   in Loop: Header=BB1247_554 Depth=1
	s_or_b64 exec, exec, s[48:49]
	s_and_b64 s[4:5], exec, s[42:43]
	s_or_b64 s[34:35], s[4:5], s[34:35]
	s_andn2_b64 s[4:5], s[36:37], exec
	s_and_b64 s[36:37], s[38:39], exec
	s_or_b64 s[36:37], s[4:5], s[36:37]
	s_andn2_b64 exec, exec, s[34:35]
	s_cbranch_execz .LBB1247_558
.LBB1247_554:                           ; =>This Inner Loop Header: Depth=1
	flat_load_ushort v12, v[16:17]
	flat_load_ushort v103, v[14:15]
	s_mov_b64 s[42:43], -1
	s_mov_b64 s[46:47], 0
	s_mov_b64 s[44:45], -1
	s_waitcnt vmcnt(0) lgkmcnt(0)
	v_cmp_nlt_f16_e64 s[4:5], v12, v103
	s_and_saveexec_b64 s[48:49], s[4:5]
; %bb.555:                              ;   in Loop: Header=BB1247_554 Depth=1
	v_cmp_ngt_f16_e64 s[4:5], v12, v103
	s_and_b64 s[40:41], s[4:5], s[40:41]
	s_orn2_b64 s[44:45], s[40:41], exec
	s_and_b64 s[46:47], s[4:5], exec
; %bb.556:                              ;   in Loop: Header=BB1247_554 Depth=1
	s_or_b64 exec, exec, s[48:49]
	s_andn2_b64 s[4:5], s[38:39], exec
	s_and_b64 s[38:39], s[44:45], exec
	s_or_b64 s[38:39], s[4:5], s[38:39]
                                        ; implicit-def: $sgpr40_sgpr41
	s_and_saveexec_b64 s[48:49], s[46:47]
	s_cbranch_execz .LBB1247_553
; %bb.557:                              ;   in Loop: Header=BB1247_554 Depth=1
	v_lshl_add_u64 v[18:19], v[18:19], 0, -1
	v_cmp_eq_u64_e64 s[4:5], 0, v[18:19]
	v_lshl_add_u64 v[14:15], v[14:15], 0, 2
	v_lshl_add_u64 v[16:17], v[16:17], 0, 2
	s_and_b64 s[40:41], s[44:45], exec
	s_andn2_b64 s[38:39], s[38:39], exec
	s_orn2_b64 s[42:43], s[4:5], exec
	s_branch .LBB1247_553
.LBB1247_558:
	s_or_b64 exec, exec, s[34:35]
	s_xor_b64 s[4:5], s[36:37], -1
	s_andn2_b64 s[26:27], s[26:27], exec
	s_and_b64 s[4:5], s[4:5], exec
	s_or_b64 s[26:27], s[26:27], s[4:5]
.LBB1247_559:
	s_or_b64 exec, exec, s[30:31]
	s_orn2_b64 s[26:27], s[26:27], exec
.LBB1247_560:
	s_or_b64 exec, exec, s[28:29]
	v_cndmask_b32_e64 v12, v66, v67, s[26:27]
	v_cndmask_b32_e64 v14, v100, v99, s[26:27]
	v_add_u32_e32 v15, 1, v12
	v_add_u32_e32 v12, -1, v14
	v_min_u32_e32 v12, v15, v12
	v_lshl_add_u64 v[12:13], v[12:13], 3, v[54:55]
	flat_load_dwordx2 v[12:13], v[12:13]
	v_cndmask_b32_e64 v114, v15, v66, s[26:27]
	v_cndmask_b32_e64 v103, v67, v15, s[26:27]
	v_cmp_lt_u32_e64 s[4:5], v114, v100
	s_waitcnt vmcnt(0) lgkmcnt(0)
	v_cndmask_b32_e64 v112, v13, v96, s[26:27]
	v_cndmask_b32_e64 v113, v12, v97, s[26:27]
	;; [unrolled: 1-line block ×4, first 2 shown]
	s_and_saveexec_b64 s[28:29], s[4:5]
	s_cbranch_execz .LBB1247_570
; %bb.561:
	v_cmp_lt_u32_e64 s[24:25], v103, v99
	s_xor_b64 s[4:5], s[0:1], -1
	s_and_b64 s[4:5], s[24:25], s[4:5]
	s_and_saveexec_b64 s[30:31], s[4:5]
	s_cbranch_execz .LBB1247_569
; %bb.562:
	v_mul_lo_u32 v14, v115, v6
	v_mul_lo_u32 v15, v116, v7
	v_mad_u64_u32 v[12:13], s[4:5], v116, v6, 0
	v_add3_u32 v13, v13, v15, v14
	v_mul_lo_u32 v16, v112, v6
	v_mul_lo_u32 v17, v113, v7
	v_mad_u64_u32 v[14:15], s[4:5], v113, v6, 0
	v_add3_u32 v15, v15, v17, v16
	v_lshl_add_u64 v[12:13], v[12:13], 1, v[8:9]
	v_lshl_add_u64 v[14:15], v[14:15], 1, v[8:9]
	s_mov_b64 s[34:35], 0
	v_mov_b64_e32 v[16:17], v[6:7]
                                        ; implicit-def: $sgpr36_sgpr37
                                        ; implicit-def: $sgpr38_sgpr39
                                        ; implicit-def: $sgpr40_sgpr41
	s_branch .LBB1247_564
.LBB1247_563:                           ;   in Loop: Header=BB1247_564 Depth=1
	s_or_b64 exec, exec, s[48:49]
	s_and_b64 s[4:5], exec, s[42:43]
	s_or_b64 s[34:35], s[4:5], s[34:35]
	s_andn2_b64 s[4:5], s[36:37], exec
	s_and_b64 s[36:37], s[38:39], exec
	s_or_b64 s[36:37], s[4:5], s[36:37]
	s_andn2_b64 exec, exec, s[34:35]
	s_cbranch_execz .LBB1247_568
.LBB1247_564:                           ; =>This Inner Loop Header: Depth=1
	flat_load_ushort v18, v[14:15]
	flat_load_ushort v19, v[12:13]
	s_mov_b64 s[42:43], -1
	s_mov_b64 s[46:47], 0
	s_mov_b64 s[44:45], -1
	s_waitcnt vmcnt(0) lgkmcnt(0)
	v_cmp_nlt_f16_e64 s[4:5], v18, v19
	s_and_saveexec_b64 s[48:49], s[4:5]
; %bb.565:                              ;   in Loop: Header=BB1247_564 Depth=1
	v_cmp_ngt_f16_e64 s[4:5], v18, v19
	s_and_b64 s[40:41], s[4:5], s[40:41]
	s_orn2_b64 s[44:45], s[40:41], exec
	s_and_b64 s[46:47], s[4:5], exec
; %bb.566:                              ;   in Loop: Header=BB1247_564 Depth=1
	s_or_b64 exec, exec, s[48:49]
	s_andn2_b64 s[4:5], s[38:39], exec
	s_and_b64 s[38:39], s[44:45], exec
	s_or_b64 s[38:39], s[4:5], s[38:39]
                                        ; implicit-def: $sgpr40_sgpr41
	s_and_saveexec_b64 s[48:49], s[46:47]
	s_cbranch_execz .LBB1247_563
; %bb.567:                              ;   in Loop: Header=BB1247_564 Depth=1
	v_lshl_add_u64 v[16:17], v[16:17], 0, -1
	v_cmp_eq_u64_e64 s[4:5], 0, v[16:17]
	v_lshl_add_u64 v[12:13], v[12:13], 0, 2
	v_lshl_add_u64 v[14:15], v[14:15], 0, 2
	s_and_b64 s[40:41], s[44:45], exec
	s_andn2_b64 s[38:39], s[38:39], exec
	s_orn2_b64 s[42:43], s[4:5], exec
	s_branch .LBB1247_563
.LBB1247_568:
	s_or_b64 exec, exec, s[34:35]
	s_xor_b64 s[4:5], s[36:37], -1
	s_andn2_b64 s[24:25], s[24:25], exec
	s_and_b64 s[4:5], s[4:5], exec
	s_or_b64 s[24:25], s[24:25], s[4:5]
.LBB1247_569:
	s_or_b64 exec, exec, s[30:31]
	s_orn2_b64 s[24:25], s[24:25], exec
.LBB1247_570:
	s_or_b64 exec, exec, s[28:29]
	v_cndmask_b32_e64 v12, v114, v103, s[24:25]
	v_cndmask_b32_e64 v13, v100, v99, s[24:25]
	v_add_u32_e32 v117, 1, v12
	v_add_u32_e32 v12, -1, v13
	v_min_u32_e32 v12, v117, v12
	v_mov_b32_e32 v13, 0
	v_lshl_add_u64 v[12:13], v[12:13], 3, v[54:55]
	flat_load_dwordx2 v[66:67], v[12:13]
	v_cndmask_b32_e64 v17, v23, v70, s[6:7]
	v_cndmask_b32_e64 v23, v20, v22, s[18:19]
	;; [unrolled: 1-line block ×15, first 2 shown]
	v_cmp_lt_u32_e64 s[4:5], v68, v100
	s_waitcnt vmcnt(0) lgkmcnt(0)
	v_cndmask_b32_e64 v3, v115, v67, s[24:25]
	v_cndmask_b32_e64 v2, v116, v66, s[24:25]
	s_and_saveexec_b64 s[6:7], s[4:5]
	s_cbranch_execz .LBB1247_580
; %bb.571:
	v_cndmask_b32_e64 v81, v66, v113, s[24:25]
	v_cndmask_b32_e64 v66, v103, v117, s[24:25]
	v_cmp_ge_u32_e64 s[4:5], v66, v99
	v_cndmask_b32_e64 v80, v67, v112, s[24:25]
	s_or_b64 s[16:17], s[4:5], s[0:1]
	v_cndmask_b32_e64 v67, v3, v80, s[4:5]
	s_xor_b64 s[18:19], s[16:17], -1
	v_cndmask_b32_e64 v66, v2, v81, s[4:5]
	s_and_saveexec_b64 s[16:17], s[18:19]
	s_cbranch_execz .LBB1247_579
; %bb.572:
	v_mul_lo_u32 v68, v3, v6
	v_mul_lo_u32 v69, v2, v7
	v_mad_u64_u32 v[66:67], s[4:5], v2, v6, 0
	v_add3_u32 v67, v67, v69, v68
	v_mul_lo_u32 v70, v80, v6
	v_mul_lo_u32 v71, v81, v7
	v_mad_u64_u32 v[68:69], s[4:5], v81, v6, 0
	v_add3_u32 v69, v69, v71, v70
	v_lshl_add_u64 v[66:67], v[66:67], 1, v[8:9]
	v_lshl_add_u64 v[68:69], v[68:69], 1, v[8:9]
	s_mov_b64 s[18:19], 0
	v_mov_b64_e32 v[70:71], v[6:7]
                                        ; implicit-def: $sgpr20_sgpr21
                                        ; implicit-def: $sgpr22_sgpr23
                                        ; implicit-def: $sgpr24_sgpr25
	s_branch .LBB1247_574
.LBB1247_573:                           ;   in Loop: Header=BB1247_574 Depth=1
	s_or_b64 exec, exec, s[34:35]
	s_and_b64 s[4:5], exec, s[26:27]
	s_or_b64 s[18:19], s[4:5], s[18:19]
	s_andn2_b64 s[4:5], s[20:21], exec
	s_and_b64 s[20:21], s[22:23], exec
	s_or_b64 s[20:21], s[4:5], s[20:21]
	s_andn2_b64 exec, exec, s[18:19]
	s_cbranch_execz .LBB1247_578
.LBB1247_574:                           ; =>This Inner Loop Header: Depth=1
	flat_load_ushort v82, v[68:69]
	flat_load_ushort v83, v[66:67]
	s_mov_b64 s[26:27], -1
	s_mov_b64 s[30:31], 0
	s_mov_b64 s[28:29], -1
	s_waitcnt vmcnt(0) lgkmcnt(0)
	v_cmp_nlt_f16_e64 s[4:5], v82, v83
	s_and_saveexec_b64 s[34:35], s[4:5]
; %bb.575:                              ;   in Loop: Header=BB1247_574 Depth=1
	v_cmp_ngt_f16_e64 s[4:5], v82, v83
	s_and_b64 s[24:25], s[4:5], s[24:25]
	s_orn2_b64 s[28:29], s[24:25], exec
	s_and_b64 s[30:31], s[4:5], exec
; %bb.576:                              ;   in Loop: Header=BB1247_574 Depth=1
	s_or_b64 exec, exec, s[34:35]
	s_andn2_b64 s[4:5], s[22:23], exec
	s_and_b64 s[22:23], s[28:29], exec
	s_or_b64 s[22:23], s[4:5], s[22:23]
                                        ; implicit-def: $sgpr24_sgpr25
	s_and_saveexec_b64 s[34:35], s[30:31]
	s_cbranch_execz .LBB1247_573
; %bb.577:                              ;   in Loop: Header=BB1247_574 Depth=1
	v_lshl_add_u64 v[70:71], v[70:71], 0, -1
	v_cmp_eq_u64_e64 s[4:5], 0, v[70:71]
	v_lshl_add_u64 v[66:67], v[66:67], 0, 2
	v_lshl_add_u64 v[68:69], v[68:69], 0, 2
	s_and_b64 s[24:25], s[28:29], exec
	s_andn2_b64 s[22:23], s[22:23], exec
	s_orn2_b64 s[26:27], s[4:5], exec
	s_branch .LBB1247_573
.LBB1247_578:
	s_or_b64 exec, exec, s[18:19]
	v_cndmask_b32_e64 v67, v3, v80, s[20:21]
	v_cndmask_b32_e64 v66, v2, v81, s[20:21]
.LBB1247_579:
	s_or_b64 exec, exec, s[16:17]
	v_mov_b64_e32 v[2:3], v[66:67]
.LBB1247_580:
	s_or_b64 exec, exec, s[6:7]
.LBB1247_581:
	s_or_b64 exec, exec, s[14:15]
	v_and_b32_e32 v99, 0x380, v98
	; wave barrier
	flat_store_dwordx4 v[64:65], v[20:23]
	flat_store_dwordx4 v[64:65], v[16:19] offset:16
	flat_store_dwordx4 v[64:65], v[12:15] offset:32
	;; [unrolled: 1-line block ×3, first 2 shown]
	v_or_b32_e32 v64, 64, v99
	v_min_u32_e32 v96, v31, v64
	v_add_u32_e32 v64, 64, v96
	v_min_u32_e32 v97, v31, v64
	v_and_b32_e32 v64, 0x78, v98
	v_min_u32_e32 v31, v31, v64
	v_sub_u32_e32 v64, v96, v99
	v_sub_u32_e32 v65, v97, v96
	v_sub_u32_e64 v98, v31, v65 clamp
	v_min_u32_e32 v100, v31, v64
	v_cmp_lt_u32_e64 s[4:5], v98, v100
	; wave barrier
	s_and_saveexec_b64 s[6:7], s[4:5]
	s_cbranch_execz .LBB1247_593
; %bb.582:
	v_lshlrev_b32_e32 v64, 3, v99
	v_mov_b32_e32 v65, 0
	v_lshl_add_u64 v[66:67], v[54:55], 0, v[64:65]
	v_lshlrev_b32_e32 v64, 3, v96
	v_lshl_add_u64 v[68:69], v[54:55], 0, v[64:65]
	v_lshlrev_b64 v[70:71], 1, v[6:7]
	s_mov_b64 s[14:15], 0
	s_branch .LBB1247_585
.LBB1247_583:                           ;   in Loop: Header=BB1247_585 Depth=1
	s_or_b64 exec, exec, s[18:19]
	s_and_b64 s[4:5], s[20:21], exec
.LBB1247_584:                           ;   in Loop: Header=BB1247_585 Depth=1
	s_or_b64 exec, exec, s[16:17]
	v_add_u32_e32 v64, 1, v80
	v_cndmask_b32_e64 v100, v100, v80, s[4:5]
	v_cndmask_b32_e64 v98, v64, v98, s[4:5]
	v_cmp_ge_u32_e64 s[4:5], v98, v100
	s_or_b64 s[14:15], s[4:5], s[14:15]
	s_andn2_b64 exec, exec, s[14:15]
	s_cbranch_execz .LBB1247_592
.LBB1247_585:                           ; =>This Loop Header: Depth=1
                                        ;     Child Loop BB1247_588 Depth 2
	v_add_u32_e32 v64, v100, v98
	v_lshrrev_b32_e32 v80, 1, v64
	s_mov_b64 s[4:5], 0
	s_and_saveexec_b64 s[16:17], vcc
	s_cbranch_execz .LBB1247_584
; %bb.586:                              ;   in Loop: Header=BB1247_585 Depth=1
	v_mov_b32_e32 v81, v65
	v_xad_u32 v64, v80, -1, v31
	v_lshl_add_u64 v[82:83], v[80:81], 3, v[66:67]
	v_lshl_add_u64 v[84:85], v[64:65], 3, v[68:69]
	flat_load_dwordx2 v[82:83], v[82:83]
	s_mov_b64 s[18:19], 0
	flat_load_dwordx2 v[84:85], v[84:85]
                                        ; implicit-def: $sgpr20_sgpr21
                                        ; implicit-def: $sgpr22_sgpr23
                                        ; implicit-def: $sgpr24_sgpr25
	s_waitcnt vmcnt(0) lgkmcnt(0)
	v_mul_lo_u32 v64, v70, v83
	v_mul_lo_u32 v81, v71, v82
	v_mad_u64_u32 v[82:83], s[4:5], v70, v82, v[8:9]
	v_mul_lo_u32 v86, v70, v85
	v_mul_lo_u32 v87, v71, v84
	v_mad_u64_u32 v[84:85], s[4:5], v70, v84, v[8:9]
	v_add3_u32 v83, v81, v83, v64
	v_add3_u32 v85, v87, v85, v86
	v_mov_b64_e32 v[86:87], v[6:7]
	s_branch .LBB1247_588
.LBB1247_587:                           ;   in Loop: Header=BB1247_588 Depth=2
	s_or_b64 exec, exec, s[34:35]
	s_and_b64 s[4:5], exec, s[26:27]
	s_or_b64 s[18:19], s[4:5], s[18:19]
	s_andn2_b64 s[4:5], s[20:21], exec
	s_and_b64 s[20:21], s[22:23], exec
	s_or_b64 s[20:21], s[4:5], s[20:21]
	s_andn2_b64 exec, exec, s[18:19]
	s_cbranch_execz .LBB1247_583
.LBB1247_588:                           ;   Parent Loop BB1247_585 Depth=1
                                        ; =>  This Inner Loop Header: Depth=2
	flat_load_ushort v64, v[84:85]
	flat_load_ushort v81, v[82:83]
	s_mov_b64 s[26:27], -1
	s_mov_b64 s[30:31], 0
	s_mov_b64 s[28:29], -1
	s_waitcnt vmcnt(0) lgkmcnt(0)
	v_cmp_nlt_f16_e64 s[4:5], v64, v81
	s_and_saveexec_b64 s[34:35], s[4:5]
; %bb.589:                              ;   in Loop: Header=BB1247_588 Depth=2
	v_cmp_ngt_f16_e64 s[4:5], v64, v81
	s_and_b64 s[24:25], s[4:5], s[24:25]
	s_orn2_b64 s[28:29], s[24:25], exec
	s_and_b64 s[30:31], s[4:5], exec
; %bb.590:                              ;   in Loop: Header=BB1247_588 Depth=2
	s_or_b64 exec, exec, s[34:35]
	s_andn2_b64 s[4:5], s[22:23], exec
	s_and_b64 s[22:23], s[28:29], exec
	s_or_b64 s[22:23], s[4:5], s[22:23]
                                        ; implicit-def: $sgpr24_sgpr25
	s_and_saveexec_b64 s[34:35], s[30:31]
	s_cbranch_execz .LBB1247_587
; %bb.591:                              ;   in Loop: Header=BB1247_588 Depth=2
	v_lshl_add_u64 v[86:87], v[86:87], 0, -1
	v_cmp_eq_u64_e64 s[4:5], 0, v[86:87]
	v_lshl_add_u64 v[82:83], v[82:83], 0, 2
	v_lshl_add_u64 v[84:85], v[84:85], 0, 2
	s_andn2_b64 s[22:23], s[22:23], exec
	s_and_b64 s[24:25], s[28:29], exec
	s_orn2_b64 s[26:27], s[4:5], exec
	s_branch .LBB1247_587
.LBB1247_592:
	s_or_b64 exec, exec, s[14:15]
.LBB1247_593:
	s_or_b64 exec, exec, s[6:7]
	v_add_u32_e32 v31, v96, v31
	v_add_u32_e32 v64, v98, v99
	v_sub_u32_e32 v66, v31, v98
	v_cmp_le_u32_e64 s[4:5], v64, v96
	v_cmp_le_u32_e64 s[6:7], v66, v97
	s_or_b64 s[4:5], s[4:5], s[6:7]
	s_and_saveexec_b64 s[14:15], s[4:5]
	s_cbranch_execz .LBB1247_681
; %bb.594:
	v_cmp_ge_u32_e64 s[4:5], v64, v96
	v_cmp_lt_u32_e64 s[6:7], v64, v96
                                        ; implicit-def: $vgpr0_vgpr1
	s_and_saveexec_b64 s[16:17], s[6:7]
	s_cbranch_execz .LBB1247_596
; %bb.595:
	v_mov_b32_e32 v65, 0
	v_lshl_add_u64 v[0:1], v[64:65], 3, v[54:55]
	flat_load_dwordx2 v[0:1], v[0:1]
.LBB1247_596:
	s_or_b64 exec, exec, s[16:17]
	v_cmp_ge_u32_e64 s[16:17], v66, v97
	v_cmp_lt_u32_e64 s[6:7], v66, v97
                                        ; implicit-def: $vgpr2_vgpr3
	s_and_saveexec_b64 s[18:19], s[6:7]
	s_cbranch_execz .LBB1247_598
; %bb.597:
	v_mov_b32_e32 v67, 0
	v_lshl_add_u64 v[2:3], v[66:67], 3, v[54:55]
	flat_load_dwordx2 v[2:3], v[2:3]
.LBB1247_598:
	s_or_b64 exec, exec, s[18:19]
	s_or_b64 s[4:5], s[4:5], s[16:17]
	s_xor_b64 s[4:5], s[4:5], -1
	s_and_saveexec_b64 s[6:7], s[4:5]
	s_cbranch_execz .LBB1247_608
; %bb.599:
	s_mov_b64 s[4:5], 0
	s_and_saveexec_b64 s[18:19], s[2:3]
	s_cbranch_execz .LBB1247_607
; %bb.600:
	s_waitcnt vmcnt(0) lgkmcnt(0)
	v_mul_lo_u32 v14, v1, v6
	v_mul_lo_u32 v15, v0, v7
	v_mad_u64_u32 v[12:13], s[4:5], v0, v6, 0
	v_add3_u32 v13, v13, v15, v14
	v_mul_lo_u32 v16, v3, v6
	v_mul_lo_u32 v17, v2, v7
	v_mad_u64_u32 v[14:15], s[4:5], v2, v6, 0
	v_add3_u32 v15, v15, v17, v16
	v_lshl_add_u64 v[12:13], v[12:13], 1, v[8:9]
	v_lshl_add_u64 v[14:15], v[14:15], 1, v[8:9]
	s_mov_b64 s[20:21], 0
	v_mov_b64_e32 v[16:17], v[6:7]
                                        ; implicit-def: $sgpr22_sgpr23
                                        ; implicit-def: $sgpr24_sgpr25
                                        ; implicit-def: $sgpr26_sgpr27
	s_branch .LBB1247_602
.LBB1247_601:                           ;   in Loop: Header=BB1247_602 Depth=1
	s_or_b64 exec, exec, s[34:35]
	s_and_b64 s[4:5], exec, s[4:5]
	s_or_b64 s[20:21], s[4:5], s[20:21]
	s_andn2_b64 s[4:5], s[22:23], exec
	s_and_b64 s[22:23], s[24:25], exec
	s_or_b64 s[22:23], s[4:5], s[22:23]
	s_andn2_b64 exec, exec, s[20:21]
	s_cbranch_execz .LBB1247_606
.LBB1247_602:                           ; =>This Inner Loop Header: Depth=1
	flat_load_ushort v18, v[14:15]
	flat_load_ushort v19, v[12:13]
	s_mov_b64 s[30:31], 0
	s_mov_b64 s[28:29], -1
	s_waitcnt vmcnt(0) lgkmcnt(0)
	v_cmp_nlt_f16_e64 s[4:5], v18, v19
	s_and_saveexec_b64 s[34:35], s[4:5]
; %bb.603:                              ;   in Loop: Header=BB1247_602 Depth=1
	v_cmp_ngt_f16_e64 s[4:5], v18, v19
	s_and_b64 s[26:27], s[4:5], s[26:27]
	s_orn2_b64 s[28:29], s[26:27], exec
	s_and_b64 s[30:31], s[4:5], exec
; %bb.604:                              ;   in Loop: Header=BB1247_602 Depth=1
	s_or_b64 exec, exec, s[34:35]
	s_andn2_b64 s[24:25], s[24:25], exec
	s_and_b64 s[26:27], s[28:29], exec
	s_mov_b64 s[4:5], -1
	s_or_b64 s[24:25], s[24:25], s[26:27]
                                        ; implicit-def: $sgpr26_sgpr27
	s_and_saveexec_b64 s[34:35], s[30:31]
	s_cbranch_execz .LBB1247_601
; %bb.605:                              ;   in Loop: Header=BB1247_602 Depth=1
	v_lshl_add_u64 v[16:17], v[16:17], 0, -1
	v_cmp_eq_u64_e64 s[4:5], 0, v[16:17]
	v_lshl_add_u64 v[12:13], v[12:13], 0, 2
	v_lshl_add_u64 v[14:15], v[14:15], 0, 2
	s_andn2_b64 s[24:25], s[24:25], exec
	s_and_b64 s[26:27], s[28:29], exec
	s_orn2_b64 s[4:5], s[4:5], exec
	s_branch .LBB1247_601
.LBB1247_606:
	s_or_b64 exec, exec, s[20:21]
	s_and_b64 s[4:5], s[22:23], exec
.LBB1247_607:
	s_or_b64 exec, exec, s[18:19]
	s_xor_b64 s[4:5], s[4:5], -1
	s_andn2_b64 s[16:17], s[16:17], exec
	s_and_b64 s[4:5], s[4:5], exec
	s_or_b64 s[16:17], s[16:17], s[4:5]
.LBB1247_608:
	s_or_b64 exec, exec, s[6:7]
	v_cndmask_b32_e64 v12, v66, v64, s[16:17]
	v_cndmask_b32_e64 v13, v97, v96, s[16:17]
	v_add_u32_e32 v16, 1, v12
	v_add_u32_e32 v12, -1, v13
	v_min_u32_e32 v12, v16, v12
	v_mov_b32_e32 v13, 0
	v_lshl_add_u64 v[14:15], v[12:13], 3, v[54:55]
	flat_load_dwordx2 v[14:15], v[14:15]
	v_cndmask_b32_e64 v23, v16, v66, s[16:17]
	s_mov_b64 s[6:7], -1
	v_cndmask_b32_e64 v64, v64, v16, s[16:17]
	v_cmp_lt_u32_e64 s[4:5], v23, v97
	s_mov_b64 s[18:19], -1
	s_waitcnt vmcnt(0) lgkmcnt(0)
	v_cndmask_b32_e64 v20, v15, v3, s[16:17]
	v_cndmask_b32_e64 v21, v14, v2, s[16:17]
	;; [unrolled: 1-line block ×4, first 2 shown]
	s_and_saveexec_b64 s[20:21], s[4:5]
	s_cbranch_execz .LBB1247_620
; %bb.609:
	v_cmp_lt_u32_e64 s[4:5], v64, v96
	s_mov_b64 s[22:23], 0
	s_and_saveexec_b64 s[18:19], s[4:5]
	s_cbranch_execz .LBB1247_619
; %bb.610:
	s_mov_b64 s[4:5], 0
	s_and_saveexec_b64 s[22:23], s[2:3]
	s_cbranch_execz .LBB1247_618
; %bb.611:
	v_mul_lo_u32 v12, v22, v6
	v_mul_lo_u32 v16, v31, v7
	v_mad_u64_u32 v[14:15], s[4:5], v31, v6, 0
	v_add3_u32 v15, v15, v16, v12
	v_mul_lo_u32 v12, v20, v6
	v_mul_lo_u32 v18, v21, v7
	v_mad_u64_u32 v[16:17], s[4:5], v21, v6, 0
	v_add3_u32 v17, v17, v18, v12
	v_lshl_add_u64 v[14:15], v[14:15], 1, v[8:9]
	v_lshl_add_u64 v[16:17], v[16:17], 1, v[8:9]
	s_mov_b64 s[24:25], 0
	v_mov_b64_e32 v[18:19], v[6:7]
                                        ; implicit-def: $sgpr26_sgpr27
                                        ; implicit-def: $sgpr28_sgpr29
                                        ; implicit-def: $sgpr30_sgpr31
	s_branch .LBB1247_613
.LBB1247_612:                           ;   in Loop: Header=BB1247_613 Depth=1
	s_or_b64 exec, exec, s[38:39]
	s_and_b64 s[4:5], exec, s[4:5]
	s_or_b64 s[24:25], s[4:5], s[24:25]
	s_andn2_b64 s[4:5], s[26:27], exec
	s_and_b64 s[26:27], s[28:29], exec
	s_or_b64 s[26:27], s[4:5], s[26:27]
	s_andn2_b64 exec, exec, s[24:25]
	s_cbranch_execz .LBB1247_617
.LBB1247_613:                           ; =>This Inner Loop Header: Depth=1
	flat_load_ushort v12, v[16:17]
	flat_load_ushort v65, v[14:15]
	s_mov_b64 s[36:37], 0
	s_mov_b64 s[34:35], -1
	s_waitcnt vmcnt(0) lgkmcnt(0)
	v_cmp_nlt_f16_e64 s[4:5], v12, v65
	s_and_saveexec_b64 s[38:39], s[4:5]
; %bb.614:                              ;   in Loop: Header=BB1247_613 Depth=1
	v_cmp_ngt_f16_e64 s[4:5], v12, v65
	s_and_b64 s[30:31], s[4:5], s[30:31]
	s_orn2_b64 s[34:35], s[30:31], exec
	s_and_b64 s[36:37], s[4:5], exec
; %bb.615:                              ;   in Loop: Header=BB1247_613 Depth=1
	s_or_b64 exec, exec, s[38:39]
	s_andn2_b64 s[28:29], s[28:29], exec
	s_and_b64 s[30:31], s[34:35], exec
	s_mov_b64 s[4:5], -1
	s_or_b64 s[28:29], s[28:29], s[30:31]
                                        ; implicit-def: $sgpr30_sgpr31
	s_and_saveexec_b64 s[38:39], s[36:37]
	s_cbranch_execz .LBB1247_612
; %bb.616:                              ;   in Loop: Header=BB1247_613 Depth=1
	v_lshl_add_u64 v[18:19], v[18:19], 0, -1
	v_cmp_eq_u64_e64 s[4:5], 0, v[18:19]
	v_lshl_add_u64 v[14:15], v[14:15], 0, 2
	v_lshl_add_u64 v[16:17], v[16:17], 0, 2
	s_andn2_b64 s[28:29], s[28:29], exec
	s_and_b64 s[30:31], s[34:35], exec
	s_orn2_b64 s[4:5], s[4:5], exec
	s_branch .LBB1247_612
.LBB1247_617:
	s_or_b64 exec, exec, s[24:25]
	s_and_b64 s[4:5], s[26:27], exec
.LBB1247_618:
	s_or_b64 exec, exec, s[22:23]
	s_xor_b64 s[4:5], s[4:5], -1
	s_and_b64 s[22:23], s[4:5], exec
.LBB1247_619:
	s_or_b64 exec, exec, s[18:19]
	s_orn2_b64 s[18:19], s[22:23], exec
.LBB1247_620:
	s_or_b64 exec, exec, s[20:21]
	v_cndmask_b32_e64 v12, v23, v64, s[18:19]
	v_cndmask_b32_e64 v14, v97, v96, s[18:19]
	v_add_u32_e32 v15, 1, v12
	v_add_u32_e32 v12, -1, v14
	v_min_u32_e32 v12, v15, v12
	v_lshl_add_u64 v[12:13], v[12:13], 3, v[54:55]
	flat_load_dwordx2 v[12:13], v[12:13]
	v_cndmask_b32_e64 v18, v15, v23, s[18:19]
	v_cndmask_b32_e64 v19, v64, v15, s[18:19]
	v_cmp_lt_u32_e64 s[4:5], v18, v97
	s_waitcnt vmcnt(0) lgkmcnt(0)
	v_cndmask_b32_e64 v23, v13, v20, s[18:19]
	v_cndmask_b32_e64 v64, v12, v21, s[18:19]
	;; [unrolled: 1-line block ×4, first 2 shown]
	s_and_saveexec_b64 s[20:21], s[4:5]
	s_cbranch_execz .LBB1247_630
; %bb.621:
	v_cmp_lt_u32_e64 s[6:7], v19, v96
	s_xor_b64 s[4:5], s[0:1], -1
	s_and_b64 s[4:5], s[6:7], s[4:5]
	s_and_saveexec_b64 s[22:23], s[4:5]
	s_cbranch_execz .LBB1247_629
; %bb.622:
	v_mul_lo_u32 v14, v65, v6
	v_mul_lo_u32 v15, v66, v7
	v_mad_u64_u32 v[12:13], s[4:5], v66, v6, 0
	v_add3_u32 v13, v13, v15, v14
	v_mul_lo_u32 v16, v23, v6
	v_mul_lo_u32 v17, v64, v7
	v_mad_u64_u32 v[14:15], s[4:5], v64, v6, 0
	v_add3_u32 v15, v15, v17, v16
	v_lshl_add_u64 v[12:13], v[12:13], 1, v[8:9]
	v_lshl_add_u64 v[14:15], v[14:15], 1, v[8:9]
	s_mov_b64 s[24:25], 0
	v_mov_b64_e32 v[16:17], v[6:7]
                                        ; implicit-def: $sgpr26_sgpr27
                                        ; implicit-def: $sgpr28_sgpr29
                                        ; implicit-def: $sgpr30_sgpr31
	s_branch .LBB1247_624
.LBB1247_623:                           ;   in Loop: Header=BB1247_624 Depth=1
	s_or_b64 exec, exec, s[40:41]
	s_and_b64 s[4:5], exec, s[34:35]
	s_or_b64 s[24:25], s[4:5], s[24:25]
	s_andn2_b64 s[4:5], s[26:27], exec
	s_and_b64 s[26:27], s[28:29], exec
	s_or_b64 s[26:27], s[4:5], s[26:27]
	s_andn2_b64 exec, exec, s[24:25]
	s_cbranch_execz .LBB1247_628
.LBB1247_624:                           ; =>This Inner Loop Header: Depth=1
	flat_load_ushort v67, v[14:15]
	flat_load_ushort v68, v[12:13]
	s_mov_b64 s[34:35], -1
	s_mov_b64 s[38:39], 0
	s_mov_b64 s[36:37], -1
	s_waitcnt vmcnt(0) lgkmcnt(0)
	v_cmp_nlt_f16_e64 s[4:5], v67, v68
	s_and_saveexec_b64 s[40:41], s[4:5]
; %bb.625:                              ;   in Loop: Header=BB1247_624 Depth=1
	v_cmp_ngt_f16_e64 s[4:5], v67, v68
	s_and_b64 s[30:31], s[4:5], s[30:31]
	s_orn2_b64 s[36:37], s[30:31], exec
	s_and_b64 s[38:39], s[4:5], exec
; %bb.626:                              ;   in Loop: Header=BB1247_624 Depth=1
	s_or_b64 exec, exec, s[40:41]
	s_andn2_b64 s[4:5], s[28:29], exec
	s_and_b64 s[28:29], s[36:37], exec
	s_or_b64 s[28:29], s[4:5], s[28:29]
                                        ; implicit-def: $sgpr30_sgpr31
	s_and_saveexec_b64 s[40:41], s[38:39]
	s_cbranch_execz .LBB1247_623
; %bb.627:                              ;   in Loop: Header=BB1247_624 Depth=1
	v_lshl_add_u64 v[16:17], v[16:17], 0, -1
	v_cmp_eq_u64_e64 s[4:5], 0, v[16:17]
	v_lshl_add_u64 v[12:13], v[12:13], 0, 2
	v_lshl_add_u64 v[14:15], v[14:15], 0, 2
	s_and_b64 s[30:31], s[36:37], exec
	s_andn2_b64 s[28:29], s[28:29], exec
	s_orn2_b64 s[34:35], s[4:5], exec
	s_branch .LBB1247_623
.LBB1247_628:
	s_or_b64 exec, exec, s[24:25]
	s_xor_b64 s[4:5], s[26:27], -1
	s_andn2_b64 s[6:7], s[6:7], exec
	s_and_b64 s[4:5], s[4:5], exec
	s_or_b64 s[6:7], s[6:7], s[4:5]
.LBB1247_629:
	s_or_b64 exec, exec, s[22:23]
	s_orn2_b64 s[6:7], s[6:7], exec
.LBB1247_630:
	s_or_b64 exec, exec, s[20:21]
	v_cndmask_b32_e64 v12, v18, v19, s[6:7]
	v_cndmask_b32_e64 v13, v97, v96, s[6:7]
	v_add_u32_e32 v16, 1, v12
	v_add_u32_e32 v12, -1, v13
	v_min_u32_e32 v12, v16, v12
	v_mov_b32_e32 v13, 0
	v_lshl_add_u64 v[14:15], v[12:13], 3, v[54:55]
	flat_load_dwordx2 v[14:15], v[14:15]
	v_cndmask_b32_e64 v71, v16, v18, s[6:7]
	s_mov_b64 s[20:21], -1
	v_cndmask_b32_e64 v80, v19, v16, s[6:7]
	v_cmp_lt_u32_e64 s[4:5], v71, v97
	s_mov_b64 s[22:23], -1
	s_waitcnt vmcnt(0) lgkmcnt(0)
	v_cndmask_b32_e64 v67, v15, v23, s[6:7]
	v_cndmask_b32_e64 v68, v14, v64, s[6:7]
	;; [unrolled: 1-line block ×4, first 2 shown]
	s_and_saveexec_b64 s[24:25], s[4:5]
	s_cbranch_execz .LBB1247_640
; %bb.631:
	v_cmp_lt_u32_e64 s[22:23], v80, v96
	s_xor_b64 s[4:5], s[0:1], -1
	s_and_b64 s[4:5], s[22:23], s[4:5]
	s_and_saveexec_b64 s[26:27], s[4:5]
	s_cbranch_execz .LBB1247_639
; %bb.632:
	v_mul_lo_u32 v12, v69, v6
	v_mul_lo_u32 v16, v70, v7
	v_mad_u64_u32 v[14:15], s[4:5], v70, v6, 0
	v_add3_u32 v15, v15, v16, v12
	v_mul_lo_u32 v12, v67, v6
	v_mul_lo_u32 v18, v68, v7
	v_mad_u64_u32 v[16:17], s[4:5], v68, v6, 0
	v_add3_u32 v17, v17, v18, v12
	v_lshl_add_u64 v[14:15], v[14:15], 1, v[8:9]
	v_lshl_add_u64 v[16:17], v[16:17], 1, v[8:9]
	s_mov_b64 s[28:29], 0
	v_mov_b64_e32 v[18:19], v[6:7]
                                        ; implicit-def: $sgpr30_sgpr31
                                        ; implicit-def: $sgpr34_sgpr35
                                        ; implicit-def: $sgpr36_sgpr37
	s_branch .LBB1247_634
.LBB1247_633:                           ;   in Loop: Header=BB1247_634 Depth=1
	s_or_b64 exec, exec, s[44:45]
	s_and_b64 s[4:5], exec, s[38:39]
	s_or_b64 s[28:29], s[4:5], s[28:29]
	s_andn2_b64 s[4:5], s[30:31], exec
	s_and_b64 s[30:31], s[34:35], exec
	s_or_b64 s[30:31], s[4:5], s[30:31]
	s_andn2_b64 exec, exec, s[28:29]
	s_cbranch_execz .LBB1247_638
.LBB1247_634:                           ; =>This Inner Loop Header: Depth=1
	flat_load_ushort v12, v[16:17]
	flat_load_ushort v81, v[14:15]
	s_mov_b64 s[38:39], -1
	s_mov_b64 s[42:43], 0
	s_mov_b64 s[40:41], -1
	s_waitcnt vmcnt(0) lgkmcnt(0)
	v_cmp_nlt_f16_e64 s[4:5], v12, v81
	s_and_saveexec_b64 s[44:45], s[4:5]
; %bb.635:                              ;   in Loop: Header=BB1247_634 Depth=1
	v_cmp_ngt_f16_e64 s[4:5], v12, v81
	s_and_b64 s[36:37], s[4:5], s[36:37]
	s_orn2_b64 s[40:41], s[36:37], exec
	s_and_b64 s[42:43], s[4:5], exec
; %bb.636:                              ;   in Loop: Header=BB1247_634 Depth=1
	s_or_b64 exec, exec, s[44:45]
	s_andn2_b64 s[4:5], s[34:35], exec
	s_and_b64 s[34:35], s[40:41], exec
	s_or_b64 s[34:35], s[4:5], s[34:35]
                                        ; implicit-def: $sgpr36_sgpr37
	s_and_saveexec_b64 s[44:45], s[42:43]
	s_cbranch_execz .LBB1247_633
; %bb.637:                              ;   in Loop: Header=BB1247_634 Depth=1
	v_lshl_add_u64 v[18:19], v[18:19], 0, -1
	v_cmp_eq_u64_e64 s[4:5], 0, v[18:19]
	v_lshl_add_u64 v[14:15], v[14:15], 0, 2
	v_lshl_add_u64 v[16:17], v[16:17], 0, 2
	s_and_b64 s[36:37], s[40:41], exec
	s_andn2_b64 s[34:35], s[34:35], exec
	s_orn2_b64 s[38:39], s[4:5], exec
	s_branch .LBB1247_633
.LBB1247_638:
	s_or_b64 exec, exec, s[28:29]
	s_xor_b64 s[4:5], s[30:31], -1
	s_andn2_b64 s[22:23], s[22:23], exec
	s_and_b64 s[4:5], s[4:5], exec
	s_or_b64 s[22:23], s[22:23], s[4:5]
.LBB1247_639:
	s_or_b64 exec, exec, s[26:27]
	s_orn2_b64 s[22:23], s[22:23], exec
.LBB1247_640:
	s_or_b64 exec, exec, s[24:25]
	v_cndmask_b32_e64 v12, v71, v80, s[22:23]
	v_cndmask_b32_e64 v14, v97, v96, s[22:23]
	v_add_u32_e32 v15, 1, v12
	v_add_u32_e32 v12, -1, v14
	v_min_u32_e32 v12, v15, v12
	v_lshl_add_u64 v[12:13], v[12:13], 3, v[54:55]
	flat_load_dwordx2 v[12:13], v[12:13]
	v_cndmask_b32_e64 v18, v15, v71, s[22:23]
	v_cndmask_b32_e64 v19, v80, v15, s[22:23]
	v_cmp_lt_u32_e64 s[4:5], v18, v97
	s_waitcnt vmcnt(0) lgkmcnt(0)
	v_cndmask_b32_e64 v71, v13, v67, s[22:23]
	v_cndmask_b32_e64 v80, v12, v68, s[22:23]
	;; [unrolled: 1-line block ×4, first 2 shown]
	s_and_saveexec_b64 s[24:25], s[4:5]
	s_cbranch_execz .LBB1247_650
; %bb.641:
	v_cmp_lt_u32_e64 s[20:21], v19, v96
	s_xor_b64 s[4:5], s[0:1], -1
	s_and_b64 s[4:5], s[20:21], s[4:5]
	s_and_saveexec_b64 s[26:27], s[4:5]
	s_cbranch_execz .LBB1247_649
; %bb.642:
	v_mul_lo_u32 v14, v81, v6
	v_mul_lo_u32 v15, v82, v7
	v_mad_u64_u32 v[12:13], s[4:5], v82, v6, 0
	v_add3_u32 v13, v13, v15, v14
	v_mul_lo_u32 v16, v71, v6
	v_mul_lo_u32 v17, v80, v7
	v_mad_u64_u32 v[14:15], s[4:5], v80, v6, 0
	v_add3_u32 v15, v15, v17, v16
	v_lshl_add_u64 v[12:13], v[12:13], 1, v[8:9]
	v_lshl_add_u64 v[14:15], v[14:15], 1, v[8:9]
	s_mov_b64 s[28:29], 0
	v_mov_b64_e32 v[16:17], v[6:7]
                                        ; implicit-def: $sgpr30_sgpr31
                                        ; implicit-def: $sgpr34_sgpr35
                                        ; implicit-def: $sgpr36_sgpr37
	s_branch .LBB1247_644
.LBB1247_643:                           ;   in Loop: Header=BB1247_644 Depth=1
	s_or_b64 exec, exec, s[44:45]
	s_and_b64 s[4:5], exec, s[38:39]
	s_or_b64 s[28:29], s[4:5], s[28:29]
	s_andn2_b64 s[4:5], s[30:31], exec
	s_and_b64 s[30:31], s[34:35], exec
	s_or_b64 s[30:31], s[4:5], s[30:31]
	s_andn2_b64 exec, exec, s[28:29]
	s_cbranch_execz .LBB1247_648
.LBB1247_644:                           ; =>This Inner Loop Header: Depth=1
	flat_load_ushort v83, v[14:15]
	flat_load_ushort v84, v[12:13]
	s_mov_b64 s[38:39], -1
	s_mov_b64 s[42:43], 0
	s_mov_b64 s[40:41], -1
	s_waitcnt vmcnt(0) lgkmcnt(0)
	v_cmp_nlt_f16_e64 s[4:5], v83, v84
	s_and_saveexec_b64 s[44:45], s[4:5]
; %bb.645:                              ;   in Loop: Header=BB1247_644 Depth=1
	v_cmp_ngt_f16_e64 s[4:5], v83, v84
	s_and_b64 s[36:37], s[4:5], s[36:37]
	s_orn2_b64 s[40:41], s[36:37], exec
	s_and_b64 s[42:43], s[4:5], exec
; %bb.646:                              ;   in Loop: Header=BB1247_644 Depth=1
	s_or_b64 exec, exec, s[44:45]
	s_andn2_b64 s[4:5], s[34:35], exec
	s_and_b64 s[34:35], s[40:41], exec
	s_or_b64 s[34:35], s[4:5], s[34:35]
                                        ; implicit-def: $sgpr36_sgpr37
	s_and_saveexec_b64 s[44:45], s[42:43]
	s_cbranch_execz .LBB1247_643
; %bb.647:                              ;   in Loop: Header=BB1247_644 Depth=1
	v_lshl_add_u64 v[16:17], v[16:17], 0, -1
	v_cmp_eq_u64_e64 s[4:5], 0, v[16:17]
	v_lshl_add_u64 v[12:13], v[12:13], 0, 2
	v_lshl_add_u64 v[14:15], v[14:15], 0, 2
	s_and_b64 s[36:37], s[40:41], exec
	s_andn2_b64 s[34:35], s[34:35], exec
	s_orn2_b64 s[38:39], s[4:5], exec
	s_branch .LBB1247_643
.LBB1247_648:
	s_or_b64 exec, exec, s[28:29]
	s_xor_b64 s[4:5], s[30:31], -1
	s_andn2_b64 s[20:21], s[20:21], exec
	s_and_b64 s[4:5], s[4:5], exec
	s_or_b64 s[20:21], s[20:21], s[4:5]
.LBB1247_649:
	s_or_b64 exec, exec, s[26:27]
	s_orn2_b64 s[20:21], s[20:21], exec
.LBB1247_650:
	s_or_b64 exec, exec, s[24:25]
	v_cndmask_b32_e64 v12, v18, v19, s[20:21]
	v_cndmask_b32_e64 v13, v97, v96, s[20:21]
	v_add_u32_e32 v16, 1, v12
	v_add_u32_e32 v12, -1, v13
	v_min_u32_e32 v12, v16, v12
	v_mov_b32_e32 v13, 0
	v_lshl_add_u64 v[14:15], v[12:13], 3, v[54:55]
	flat_load_dwordx2 v[14:15], v[14:15]
	v_cndmask_b32_e64 v87, v16, v18, s[20:21]
	s_mov_b64 s[24:25], -1
	v_cndmask_b32_e64 v98, v19, v16, s[20:21]
	v_cmp_lt_u32_e64 s[4:5], v87, v97
	s_mov_b64 s[26:27], -1
	s_waitcnt vmcnt(0) lgkmcnt(0)
	v_cndmask_b32_e64 v83, v15, v71, s[20:21]
	v_cndmask_b32_e64 v84, v14, v80, s[20:21]
	;; [unrolled: 1-line block ×4, first 2 shown]
	s_and_saveexec_b64 s[28:29], s[4:5]
	s_cbranch_execz .LBB1247_660
; %bb.651:
	v_cmp_lt_u32_e64 s[26:27], v98, v96
	s_xor_b64 s[4:5], s[0:1], -1
	s_and_b64 s[4:5], s[26:27], s[4:5]
	s_and_saveexec_b64 s[30:31], s[4:5]
	s_cbranch_execz .LBB1247_659
; %bb.652:
	v_mul_lo_u32 v12, v85, v6
	v_mul_lo_u32 v16, v86, v7
	v_mad_u64_u32 v[14:15], s[4:5], v86, v6, 0
	v_add3_u32 v15, v15, v16, v12
	v_mul_lo_u32 v12, v83, v6
	v_mul_lo_u32 v18, v84, v7
	v_mad_u64_u32 v[16:17], s[4:5], v84, v6, 0
	v_add3_u32 v17, v17, v18, v12
	v_lshl_add_u64 v[14:15], v[14:15], 1, v[8:9]
	v_lshl_add_u64 v[16:17], v[16:17], 1, v[8:9]
	s_mov_b64 s[34:35], 0
	v_mov_b64_e32 v[18:19], v[6:7]
                                        ; implicit-def: $sgpr36_sgpr37
                                        ; implicit-def: $sgpr38_sgpr39
                                        ; implicit-def: $sgpr40_sgpr41
	s_branch .LBB1247_654
.LBB1247_653:                           ;   in Loop: Header=BB1247_654 Depth=1
	s_or_b64 exec, exec, s[48:49]
	s_and_b64 s[4:5], exec, s[42:43]
	s_or_b64 s[34:35], s[4:5], s[34:35]
	s_andn2_b64 s[4:5], s[36:37], exec
	s_and_b64 s[36:37], s[38:39], exec
	s_or_b64 s[36:37], s[4:5], s[36:37]
	s_andn2_b64 exec, exec, s[34:35]
	s_cbranch_execz .LBB1247_658
.LBB1247_654:                           ; =>This Inner Loop Header: Depth=1
	flat_load_ushort v12, v[16:17]
	flat_load_ushort v99, v[14:15]
	s_mov_b64 s[42:43], -1
	s_mov_b64 s[46:47], 0
	s_mov_b64 s[44:45], -1
	s_waitcnt vmcnt(0) lgkmcnt(0)
	v_cmp_nlt_f16_e64 s[4:5], v12, v99
	s_and_saveexec_b64 s[48:49], s[4:5]
; %bb.655:                              ;   in Loop: Header=BB1247_654 Depth=1
	v_cmp_ngt_f16_e64 s[4:5], v12, v99
	s_and_b64 s[40:41], s[4:5], s[40:41]
	s_orn2_b64 s[44:45], s[40:41], exec
	s_and_b64 s[46:47], s[4:5], exec
; %bb.656:                              ;   in Loop: Header=BB1247_654 Depth=1
	s_or_b64 exec, exec, s[48:49]
	s_andn2_b64 s[4:5], s[38:39], exec
	s_and_b64 s[38:39], s[44:45], exec
	s_or_b64 s[38:39], s[4:5], s[38:39]
                                        ; implicit-def: $sgpr40_sgpr41
	s_and_saveexec_b64 s[48:49], s[46:47]
	s_cbranch_execz .LBB1247_653
; %bb.657:                              ;   in Loop: Header=BB1247_654 Depth=1
	v_lshl_add_u64 v[18:19], v[18:19], 0, -1
	v_cmp_eq_u64_e64 s[4:5], 0, v[18:19]
	v_lshl_add_u64 v[14:15], v[14:15], 0, 2
	v_lshl_add_u64 v[16:17], v[16:17], 0, 2
	s_and_b64 s[40:41], s[44:45], exec
	s_andn2_b64 s[38:39], s[38:39], exec
	s_orn2_b64 s[42:43], s[4:5], exec
	s_branch .LBB1247_653
.LBB1247_658:
	s_or_b64 exec, exec, s[34:35]
	s_xor_b64 s[4:5], s[36:37], -1
	s_andn2_b64 s[26:27], s[26:27], exec
	s_and_b64 s[4:5], s[4:5], exec
	s_or_b64 s[26:27], s[26:27], s[4:5]
.LBB1247_659:
	s_or_b64 exec, exec, s[30:31]
	s_orn2_b64 s[26:27], s[26:27], exec
.LBB1247_660:
	s_or_b64 exec, exec, s[28:29]
	v_cndmask_b32_e64 v12, v87, v98, s[26:27]
	v_cndmask_b32_e64 v14, v97, v96, s[26:27]
	v_add_u32_e32 v15, 1, v12
	v_add_u32_e32 v12, -1, v14
	v_min_u32_e32 v12, v15, v12
	v_lshl_add_u64 v[12:13], v[12:13], 3, v[54:55]
	flat_load_dwordx2 v[12:13], v[12:13]
	v_cndmask_b32_e64 v100, v15, v87, s[26:27]
	v_cndmask_b32_e64 v87, v98, v15, s[26:27]
	v_cmp_lt_u32_e64 s[4:5], v100, v97
	s_waitcnt vmcnt(0) lgkmcnt(0)
	v_cndmask_b32_e64 v98, v13, v83, s[26:27]
	v_cndmask_b32_e64 v99, v12, v84, s[26:27]
	;; [unrolled: 1-line block ×4, first 2 shown]
	s_and_saveexec_b64 s[28:29], s[4:5]
	s_cbranch_execz .LBB1247_670
; %bb.661:
	v_cmp_lt_u32_e64 s[24:25], v87, v96
	s_xor_b64 s[4:5], s[0:1], -1
	s_and_b64 s[4:5], s[24:25], s[4:5]
	s_and_saveexec_b64 s[30:31], s[4:5]
	s_cbranch_execz .LBB1247_669
; %bb.662:
	v_mul_lo_u32 v14, v101, v6
	v_mul_lo_u32 v15, v102, v7
	v_mad_u64_u32 v[12:13], s[4:5], v102, v6, 0
	v_add3_u32 v13, v13, v15, v14
	v_mul_lo_u32 v16, v98, v6
	v_mul_lo_u32 v17, v99, v7
	v_mad_u64_u32 v[14:15], s[4:5], v99, v6, 0
	v_add3_u32 v15, v15, v17, v16
	v_lshl_add_u64 v[12:13], v[12:13], 1, v[8:9]
	v_lshl_add_u64 v[14:15], v[14:15], 1, v[8:9]
	s_mov_b64 s[34:35], 0
	v_mov_b64_e32 v[16:17], v[6:7]
                                        ; implicit-def: $sgpr36_sgpr37
                                        ; implicit-def: $sgpr38_sgpr39
                                        ; implicit-def: $sgpr40_sgpr41
	s_branch .LBB1247_664
.LBB1247_663:                           ;   in Loop: Header=BB1247_664 Depth=1
	s_or_b64 exec, exec, s[48:49]
	s_and_b64 s[4:5], exec, s[42:43]
	s_or_b64 s[34:35], s[4:5], s[34:35]
	s_andn2_b64 s[4:5], s[36:37], exec
	s_and_b64 s[36:37], s[38:39], exec
	s_or_b64 s[36:37], s[4:5], s[36:37]
	s_andn2_b64 exec, exec, s[34:35]
	s_cbranch_execz .LBB1247_668
.LBB1247_664:                           ; =>This Inner Loop Header: Depth=1
	flat_load_ushort v18, v[14:15]
	flat_load_ushort v19, v[12:13]
	s_mov_b64 s[42:43], -1
	s_mov_b64 s[46:47], 0
	s_mov_b64 s[44:45], -1
	s_waitcnt vmcnt(0) lgkmcnt(0)
	v_cmp_nlt_f16_e64 s[4:5], v18, v19
	s_and_saveexec_b64 s[48:49], s[4:5]
; %bb.665:                              ;   in Loop: Header=BB1247_664 Depth=1
	v_cmp_ngt_f16_e64 s[4:5], v18, v19
	s_and_b64 s[40:41], s[4:5], s[40:41]
	s_orn2_b64 s[44:45], s[40:41], exec
	s_and_b64 s[46:47], s[4:5], exec
; %bb.666:                              ;   in Loop: Header=BB1247_664 Depth=1
	s_or_b64 exec, exec, s[48:49]
	s_andn2_b64 s[4:5], s[38:39], exec
	s_and_b64 s[38:39], s[44:45], exec
	s_or_b64 s[38:39], s[4:5], s[38:39]
                                        ; implicit-def: $sgpr40_sgpr41
	s_and_saveexec_b64 s[48:49], s[46:47]
	s_cbranch_execz .LBB1247_663
; %bb.667:                              ;   in Loop: Header=BB1247_664 Depth=1
	v_lshl_add_u64 v[16:17], v[16:17], 0, -1
	v_cmp_eq_u64_e64 s[4:5], 0, v[16:17]
	v_lshl_add_u64 v[12:13], v[12:13], 0, 2
	v_lshl_add_u64 v[14:15], v[14:15], 0, 2
	s_and_b64 s[40:41], s[44:45], exec
	s_andn2_b64 s[38:39], s[38:39], exec
	s_orn2_b64 s[42:43], s[4:5], exec
	s_branch .LBB1247_663
.LBB1247_668:
	s_or_b64 exec, exec, s[34:35]
	s_xor_b64 s[4:5], s[36:37], -1
	s_andn2_b64 s[24:25], s[24:25], exec
	s_and_b64 s[4:5], s[4:5], exec
	s_or_b64 s[24:25], s[24:25], s[4:5]
.LBB1247_669:
	s_or_b64 exec, exec, s[30:31]
	s_orn2_b64 s[24:25], s[24:25], exec
.LBB1247_670:
	s_or_b64 exec, exec, s[28:29]
	v_cndmask_b32_e64 v12, v100, v87, s[24:25]
	v_cndmask_b32_e64 v13, v97, v96, s[24:25]
	v_add_u32_e32 v103, 1, v12
	v_add_u32_e32 v12, -1, v13
	v_min_u32_e32 v12, v103, v12
	v_mov_b32_e32 v13, 0
	v_lshl_add_u64 v[12:13], v[12:13], 3, v[54:55]
	flat_load_dwordx2 v[54:55], v[12:13]
	v_cndmask_b32_e64 v17, v23, v65, s[6:7]
	v_cndmask_b32_e64 v23, v20, v22, s[18:19]
	;; [unrolled: 1-line block ×15, first 2 shown]
	v_cmp_lt_u32_e64 s[4:5], v31, v97
	s_waitcnt vmcnt(0) lgkmcnt(0)
	v_cndmask_b32_e64 v3, v101, v55, s[24:25]
	v_cndmask_b32_e64 v2, v102, v54, s[24:25]
	s_and_saveexec_b64 s[6:7], s[4:5]
	s_cbranch_execz .LBB1247_680
; %bb.671:
	v_cndmask_b32_e64 v68, v54, v99, s[24:25]
	v_cndmask_b32_e64 v54, v87, v103, s[24:25]
	v_cmp_ge_u32_e64 s[4:5], v54, v96
	v_cndmask_b32_e64 v31, v55, v98, s[24:25]
	s_or_b64 s[16:17], s[4:5], s[0:1]
	v_cndmask_b32_e64 v55, v3, v31, s[4:5]
	s_xor_b64 s[18:19], s[16:17], -1
	v_cndmask_b32_e64 v54, v2, v68, s[4:5]
	s_and_saveexec_b64 s[16:17], s[18:19]
	s_cbranch_execz .LBB1247_679
; %bb.672:
	v_mul_lo_u32 v64, v3, v6
	v_mul_lo_u32 v65, v2, v7
	v_mad_u64_u32 v[54:55], s[4:5], v2, v6, 0
	v_add3_u32 v55, v55, v65, v64
	v_mul_lo_u32 v66, v31, v6
	v_mul_lo_u32 v67, v68, v7
	v_mad_u64_u32 v[64:65], s[4:5], v68, v6, 0
	v_add3_u32 v65, v65, v67, v66
	v_lshl_add_u64 v[54:55], v[54:55], 1, v[8:9]
	v_lshl_add_u64 v[64:65], v[64:65], 1, v[8:9]
	s_mov_b64 s[18:19], 0
	v_mov_b64_e32 v[66:67], v[6:7]
                                        ; implicit-def: $sgpr20_sgpr21
                                        ; implicit-def: $sgpr22_sgpr23
                                        ; implicit-def: $sgpr24_sgpr25
	s_branch .LBB1247_674
.LBB1247_673:                           ;   in Loop: Header=BB1247_674 Depth=1
	s_or_b64 exec, exec, s[34:35]
	s_and_b64 s[4:5], exec, s[26:27]
	s_or_b64 s[18:19], s[4:5], s[18:19]
	s_andn2_b64 s[4:5], s[20:21], exec
	s_and_b64 s[20:21], s[22:23], exec
	s_or_b64 s[20:21], s[4:5], s[20:21]
	s_andn2_b64 exec, exec, s[18:19]
	s_cbranch_execz .LBB1247_678
.LBB1247_674:                           ; =>This Inner Loop Header: Depth=1
	flat_load_ushort v69, v[64:65]
	flat_load_ushort v70, v[54:55]
	s_mov_b64 s[26:27], -1
	s_mov_b64 s[30:31], 0
	s_mov_b64 s[28:29], -1
	s_waitcnt vmcnt(0) lgkmcnt(0)
	v_cmp_nlt_f16_e64 s[4:5], v69, v70
	s_and_saveexec_b64 s[34:35], s[4:5]
; %bb.675:                              ;   in Loop: Header=BB1247_674 Depth=1
	v_cmp_ngt_f16_e64 s[4:5], v69, v70
	s_and_b64 s[24:25], s[4:5], s[24:25]
	s_orn2_b64 s[28:29], s[24:25], exec
	s_and_b64 s[30:31], s[4:5], exec
; %bb.676:                              ;   in Loop: Header=BB1247_674 Depth=1
	s_or_b64 exec, exec, s[34:35]
	s_andn2_b64 s[4:5], s[22:23], exec
	s_and_b64 s[22:23], s[28:29], exec
	s_or_b64 s[22:23], s[4:5], s[22:23]
                                        ; implicit-def: $sgpr24_sgpr25
	s_and_saveexec_b64 s[34:35], s[30:31]
	s_cbranch_execz .LBB1247_673
; %bb.677:                              ;   in Loop: Header=BB1247_674 Depth=1
	v_lshl_add_u64 v[66:67], v[66:67], 0, -1
	v_cmp_eq_u64_e64 s[4:5], 0, v[66:67]
	v_lshl_add_u64 v[54:55], v[54:55], 0, 2
	v_lshl_add_u64 v[64:65], v[64:65], 0, 2
	s_and_b64 s[24:25], s[28:29], exec
	s_andn2_b64 s[22:23], s[22:23], exec
	s_orn2_b64 s[26:27], s[4:5], exec
	s_branch .LBB1247_673
.LBB1247_678:
	s_or_b64 exec, exec, s[18:19]
	v_cndmask_b32_e64 v55, v3, v31, s[20:21]
	v_cndmask_b32_e64 v54, v2, v68, s[20:21]
.LBB1247_679:
	s_or_b64 exec, exec, s[16:17]
	v_mov_b64_e32 v[2:3], v[54:55]
.LBB1247_680:
	s_or_b64 exec, exec, s[6:7]
.LBB1247_681:
	s_or_b64 exec, exec, s[14:15]
	v_lshlrev_b32_e32 v54, 3, v30
	v_mov_b32_e32 v55, 0
	v_lshl_add_u64 v[64:65], v[10:11], 0, v[54:55]
	v_lshlrev_b64 v[66:67], 1, v[6:7]
	s_movk_i32 s50, 0x80
	; wave barrier
	s_waitcnt lgkmcnt(0)
	s_barrier
.LBB1247_682:                           ; =>This Loop Header: Depth=1
                                        ;     Child Loop BB1247_686 Depth 2
                                        ;       Child Loop BB1247_689 Depth 3
                                        ;     Child Loop BB1247_703 Depth 2
                                        ;     Child Loop BB1247_714 Depth 2
	;; [unrolled: 1-line block ×8, first 2 shown]
	s_lshl_b32 s51, s50, 1
	s_sub_i32 s5, 0, s51
	v_and_b32_e32 v97, s5, v30
	v_add_u32_e32 v31, s50, v97
	v_min_u32_e32 v31, 0x800, v31
	s_add_i32 s4, s51, -1
	v_add_u32_e32 v54, s50, v31
	v_min_u32_e32 v96, 0x800, v54
	v_and_b32_e32 v54, s4, v30
	v_min_u32_e32 v98, 0x800, v54
	v_sub_u32_e32 v54, v31, v97
	v_sub_u32_e32 v68, v96, v31
	v_sub_u32_e64 v99, v98, v68 clamp
	v_min_u32_e32 v100, v98, v54
	v_cmp_lt_u32_e64 s[4:5], v99, v100
	flat_store_dwordx4 v[64:65], v[20:23]
	flat_store_dwordx4 v[64:65], v[16:19] offset:16
	flat_store_dwordx4 v[64:65], v[12:15] offset:32
	;; [unrolled: 1-line block ×3, first 2 shown]
	s_waitcnt lgkmcnt(0)
	s_barrier
	s_and_saveexec_b64 s[6:7], s[4:5]
	s_cbranch_execz .LBB1247_694
; %bb.683:                              ;   in Loop: Header=BB1247_682 Depth=1
	v_lshlrev_b32_e32 v54, 3, v97
	v_lshl_add_u64 v[68:69], v[10:11], 0, v[54:55]
	v_lshlrev_b32_e32 v54, 3, v31
	v_lshl_add_u64 v[70:71], v[10:11], 0, v[54:55]
	s_mov_b64 s[14:15], 0
	s_branch .LBB1247_686
.LBB1247_684:                           ;   in Loop: Header=BB1247_686 Depth=2
	s_or_b64 exec, exec, s[18:19]
	s_and_b64 s[4:5], s[20:21], exec
.LBB1247_685:                           ;   in Loop: Header=BB1247_686 Depth=2
	s_or_b64 exec, exec, s[16:17]
	v_add_u32_e32 v54, 1, v80
	v_cndmask_b32_e64 v100, v100, v80, s[4:5]
	v_cndmask_b32_e64 v99, v54, v99, s[4:5]
	v_cmp_ge_u32_e64 s[4:5], v99, v100
	s_or_b64 s[14:15], s[4:5], s[14:15]
	s_andn2_b64 exec, exec, s[14:15]
	s_cbranch_execz .LBB1247_693
.LBB1247_686:                           ;   Parent Loop BB1247_682 Depth=1
                                        ; =>  This Loop Header: Depth=2
                                        ;       Child Loop BB1247_689 Depth 3
	v_add_u32_e32 v54, v100, v99
	v_lshrrev_b32_e32 v80, 1, v54
	s_mov_b64 s[4:5], 0
	s_and_saveexec_b64 s[16:17], vcc
	s_cbranch_execz .LBB1247_685
; %bb.687:                              ;   in Loop: Header=BB1247_686 Depth=2
	v_mov_b32_e32 v81, v55
	v_xad_u32 v54, v80, -1, v98
	v_lshl_add_u64 v[82:83], v[80:81], 3, v[68:69]
	v_lshl_add_u64 v[84:85], v[54:55], 3, v[70:71]
	flat_load_dwordx2 v[82:83], v[82:83]
	s_mov_b64 s[18:19], 0
	flat_load_dwordx2 v[84:85], v[84:85]
                                        ; implicit-def: $sgpr20_sgpr21
                                        ; implicit-def: $sgpr22_sgpr23
                                        ; implicit-def: $sgpr24_sgpr25
	s_waitcnt vmcnt(0) lgkmcnt(0)
	v_mul_lo_u32 v54, v66, v83
	v_mul_lo_u32 v81, v67, v82
	v_mad_u64_u32 v[82:83], s[4:5], v66, v82, v[8:9]
	v_mul_lo_u32 v86, v66, v85
	v_mul_lo_u32 v87, v67, v84
	v_mad_u64_u32 v[84:85], s[4:5], v66, v84, v[8:9]
	v_add3_u32 v83, v81, v83, v54
	v_add3_u32 v85, v87, v85, v86
	v_mov_b64_e32 v[86:87], v[6:7]
	s_branch .LBB1247_689
.LBB1247_688:                           ;   in Loop: Header=BB1247_689 Depth=3
	s_or_b64 exec, exec, s[34:35]
	s_and_b64 s[4:5], exec, s[26:27]
	s_or_b64 s[18:19], s[4:5], s[18:19]
	s_andn2_b64 s[4:5], s[20:21], exec
	s_and_b64 s[20:21], s[22:23], exec
	s_or_b64 s[20:21], s[4:5], s[20:21]
	s_andn2_b64 exec, exec, s[18:19]
	s_cbranch_execz .LBB1247_684
.LBB1247_689:                           ;   Parent Loop BB1247_682 Depth=1
                                        ;     Parent Loop BB1247_686 Depth=2
                                        ; =>    This Inner Loop Header: Depth=3
	flat_load_ushort v54, v[84:85]
	flat_load_ushort v81, v[82:83]
	s_mov_b64 s[26:27], -1
	s_mov_b64 s[30:31], 0
	s_mov_b64 s[28:29], -1
	s_waitcnt vmcnt(0) lgkmcnt(0)
	v_cmp_nlt_f16_e64 s[4:5], v54, v81
	s_and_saveexec_b64 s[34:35], s[4:5]
; %bb.690:                              ;   in Loop: Header=BB1247_689 Depth=3
	v_cmp_ngt_f16_e64 s[4:5], v54, v81
	s_and_b64 s[24:25], s[4:5], s[24:25]
	s_orn2_b64 s[28:29], s[24:25], exec
	s_and_b64 s[30:31], s[4:5], exec
; %bb.691:                              ;   in Loop: Header=BB1247_689 Depth=3
	s_or_b64 exec, exec, s[34:35]
	s_andn2_b64 s[4:5], s[22:23], exec
	s_and_b64 s[22:23], s[28:29], exec
	s_or_b64 s[22:23], s[4:5], s[22:23]
                                        ; implicit-def: $sgpr24_sgpr25
	s_and_saveexec_b64 s[34:35], s[30:31]
	s_cbranch_execz .LBB1247_688
; %bb.692:                              ;   in Loop: Header=BB1247_689 Depth=3
	v_lshl_add_u64 v[86:87], v[86:87], 0, -1
	v_cmp_eq_u64_e64 s[4:5], 0, v[86:87]
	v_lshl_add_u64 v[82:83], v[82:83], 0, 2
	v_lshl_add_u64 v[84:85], v[84:85], 0, 2
	s_andn2_b64 s[22:23], s[22:23], exec
	s_and_b64 s[24:25], s[28:29], exec
	s_orn2_b64 s[26:27], s[4:5], exec
	s_branch .LBB1247_688
.LBB1247_693:                           ;   in Loop: Header=BB1247_682 Depth=1
	s_or_b64 exec, exec, s[14:15]
.LBB1247_694:                           ;   in Loop: Header=BB1247_682 Depth=1
	s_or_b64 exec, exec, s[6:7]
	v_sub_u32_e32 v54, v98, v99
	v_add_u32_e32 v68, v99, v97
	v_add_u32_e32 v70, v54, v31
	v_cmp_le_u32_e64 s[4:5], v68, v31
	v_cmp_le_u32_e64 s[6:7], v70, v96
	s_or_b64 s[4:5], s[4:5], s[6:7]
	s_and_saveexec_b64 s[14:15], s[4:5]
	s_cbranch_execz .LBB1247_782
; %bb.695:                              ;   in Loop: Header=BB1247_682 Depth=1
	v_cmp_ge_u32_e64 s[4:5], v68, v31
	v_cmp_lt_u32_e64 s[6:7], v68, v31
                                        ; implicit-def: $vgpr0_vgpr1
	s_and_saveexec_b64 s[16:17], s[6:7]
	s_cbranch_execz .LBB1247_697
; %bb.696:                              ;   in Loop: Header=BB1247_682 Depth=1
	v_mov_b32_e32 v69, v55
	v_lshl_add_u64 v[0:1], v[68:69], 3, v[10:11]
	flat_load_dwordx2 v[0:1], v[0:1]
.LBB1247_697:                           ;   in Loop: Header=BB1247_682 Depth=1
	s_or_b64 exec, exec, s[16:17]
	v_cmp_ge_u32_e64 s[16:17], v70, v96
	v_cmp_lt_u32_e64 s[6:7], v70, v96
                                        ; implicit-def: $vgpr20_vgpr21
	s_and_saveexec_b64 s[18:19], s[6:7]
	s_cbranch_execz .LBB1247_699
; %bb.698:                              ;   in Loop: Header=BB1247_682 Depth=1
	v_mov_b32_e32 v71, v55
	v_lshl_add_u64 v[2:3], v[70:71], 3, v[10:11]
	flat_load_dwordx2 v[20:21], v[2:3]
.LBB1247_699:                           ;   in Loop: Header=BB1247_682 Depth=1
	s_or_b64 exec, exec, s[18:19]
	s_or_b64 s[4:5], s[4:5], s[16:17]
	s_xor_b64 s[4:5], s[4:5], -1
	s_and_saveexec_b64 s[6:7], s[4:5]
	s_cbranch_execz .LBB1247_709
; %bb.700:                              ;   in Loop: Header=BB1247_682 Depth=1
	s_mov_b64 s[4:5], 0
	s_and_saveexec_b64 s[18:19], s[2:3]
	s_cbranch_execz .LBB1247_708
; %bb.701:                              ;   in Loop: Header=BB1247_682 Depth=1
	s_waitcnt vmcnt(0) lgkmcnt(0)
	v_mad_u64_u32 v[2:3], s[4:5], v66, v0, v[8:9]
	v_mul_lo_u32 v12, v66, v1
	v_mul_lo_u32 v13, v67, v0
	v_add3_u32 v3, v13, v3, v12
	v_mad_u64_u32 v[12:13], s[4:5], v66, v20, v[8:9]
	v_mul_lo_u32 v14, v66, v21
	v_mul_lo_u32 v15, v67, v20
	v_add3_u32 v13, v15, v13, v14
	s_mov_b64 s[20:21], 0
	v_mov_b64_e32 v[14:15], v[6:7]
                                        ; implicit-def: $sgpr22_sgpr23
                                        ; implicit-def: $sgpr24_sgpr25
                                        ; implicit-def: $sgpr26_sgpr27
	s_branch .LBB1247_703
.LBB1247_702:                           ;   in Loop: Header=BB1247_703 Depth=2
	s_or_b64 exec, exec, s[36:37]
	s_and_b64 s[4:5], exec, s[28:29]
	s_or_b64 s[20:21], s[4:5], s[20:21]
	s_andn2_b64 s[4:5], s[22:23], exec
	s_and_b64 s[22:23], s[24:25], exec
	s_or_b64 s[22:23], s[4:5], s[22:23]
	s_andn2_b64 exec, exec, s[20:21]
	s_cbranch_execz .LBB1247_707
.LBB1247_703:                           ;   Parent Loop BB1247_682 Depth=1
                                        ; =>  This Inner Loop Header: Depth=2
	flat_load_ushort v16, v[12:13]
	flat_load_ushort v17, v[2:3]
	s_mov_b64 s[28:29], -1
	s_mov_b64 s[34:35], 0
	s_mov_b64 s[30:31], -1
	s_waitcnt vmcnt(0) lgkmcnt(0)
	v_cmp_nlt_f16_e64 s[4:5], v16, v17
	s_and_saveexec_b64 s[36:37], s[4:5]
; %bb.704:                              ;   in Loop: Header=BB1247_703 Depth=2
	v_cmp_ngt_f16_e64 s[4:5], v16, v17
	s_and_b64 s[26:27], s[4:5], s[26:27]
	s_orn2_b64 s[30:31], s[26:27], exec
	s_and_b64 s[34:35], s[4:5], exec
; %bb.705:                              ;   in Loop: Header=BB1247_703 Depth=2
	s_or_b64 exec, exec, s[36:37]
	s_andn2_b64 s[4:5], s[24:25], exec
	s_and_b64 s[24:25], s[30:31], exec
	s_or_b64 s[24:25], s[4:5], s[24:25]
                                        ; implicit-def: $sgpr26_sgpr27
	s_and_saveexec_b64 s[36:37], s[34:35]
	s_cbranch_execz .LBB1247_702
; %bb.706:                              ;   in Loop: Header=BB1247_703 Depth=2
	v_lshl_add_u64 v[14:15], v[14:15], 0, -1
	v_cmp_eq_u64_e64 s[4:5], 0, v[14:15]
	v_lshl_add_u64 v[2:3], v[2:3], 0, 2
	v_lshl_add_u64 v[12:13], v[12:13], 0, 2
	s_andn2_b64 s[24:25], s[24:25], exec
	s_and_b64 s[26:27], s[30:31], exec
	s_orn2_b64 s[28:29], s[4:5], exec
	s_branch .LBB1247_702
.LBB1247_707:                           ;   in Loop: Header=BB1247_682 Depth=1
	s_or_b64 exec, exec, s[20:21]
	s_and_b64 s[4:5], s[22:23], exec
.LBB1247_708:                           ;   in Loop: Header=BB1247_682 Depth=1
	s_or_b64 exec, exec, s[18:19]
	s_xor_b64 s[4:5], s[4:5], -1
	s_andn2_b64 s[16:17], s[16:17], exec
	s_and_b64 s[4:5], s[4:5], exec
	s_or_b64 s[16:17], s[16:17], s[4:5]
.LBB1247_709:                           ;   in Loop: Header=BB1247_682 Depth=1
	s_or_b64 exec, exec, s[6:7]
	v_cndmask_b32_e64 v2, v70, v68, s[16:17]
	v_cndmask_b32_e64 v3, v96, v31, s[16:17]
	v_add_u32_e32 v12, 1, v2
	v_add_u32_e32 v2, -1, v3
	v_min_u32_e32 v54, v12, v2
	v_lshl_add_u64 v[2:3], v[54:55], 3, v[10:11]
	flat_load_dwordx2 v[2:3], v[2:3]
	v_cndmask_b32_e64 v16, v12, v70, s[16:17]
	s_mov_b64 s[6:7], -1
	v_cndmask_b32_e64 v17, v68, v12, s[16:17]
	v_cmp_lt_u32_e64 s[4:5], v16, v96
	s_mov_b64 s[18:19], -1
	s_waitcnt vmcnt(0) lgkmcnt(0)
	v_cndmask_b32_e64 v22, v3, v21, s[16:17]
	v_cndmask_b32_e64 v68, v2, v20, s[16:17]
	;; [unrolled: 1-line block ×4, first 2 shown]
	s_and_saveexec_b64 s[20:21], s[4:5]
	s_cbranch_execz .LBB1247_721
; %bb.710:                              ;   in Loop: Header=BB1247_682 Depth=1
	v_cmp_lt_u32_e64 s[4:5], v17, v31
	s_mov_b64 s[22:23], 0
	s_and_saveexec_b64 s[18:19], s[4:5]
	s_cbranch_execz .LBB1247_720
; %bb.711:                              ;   in Loop: Header=BB1247_682 Depth=1
	s_mov_b64 s[4:5], 0
	s_and_saveexec_b64 s[22:23], s[2:3]
	s_cbranch_execz .LBB1247_719
; %bb.712:                              ;   in Loop: Header=BB1247_682 Depth=1
	v_mad_u64_u32 v[2:3], s[4:5], v66, v69, v[8:9]
	v_mul_lo_u32 v12, v66, v23
	v_mul_lo_u32 v13, v67, v69
	v_add3_u32 v3, v13, v3, v12
	v_mad_u64_u32 v[12:13], s[4:5], v66, v68, v[8:9]
	v_mul_lo_u32 v14, v66, v22
	v_mul_lo_u32 v15, v67, v68
	v_add3_u32 v13, v15, v13, v14
	s_mov_b64 s[24:25], 0
	v_mov_b64_e32 v[14:15], v[6:7]
                                        ; implicit-def: $sgpr26_sgpr27
                                        ; implicit-def: $sgpr28_sgpr29
                                        ; implicit-def: $sgpr30_sgpr31
	s_branch .LBB1247_714
.LBB1247_713:                           ;   in Loop: Header=BB1247_714 Depth=2
	s_or_b64 exec, exec, s[40:41]
	s_and_b64 s[4:5], exec, s[34:35]
	s_or_b64 s[24:25], s[4:5], s[24:25]
	s_andn2_b64 s[4:5], s[26:27], exec
	s_and_b64 s[26:27], s[28:29], exec
	s_or_b64 s[26:27], s[4:5], s[26:27]
	s_andn2_b64 exec, exec, s[24:25]
	s_cbranch_execz .LBB1247_718
.LBB1247_714:                           ;   Parent Loop BB1247_682 Depth=1
                                        ; =>  This Inner Loop Header: Depth=2
	flat_load_ushort v18, v[12:13]
	flat_load_ushort v19, v[2:3]
	s_mov_b64 s[34:35], -1
	s_mov_b64 s[38:39], 0
	s_mov_b64 s[36:37], -1
	s_waitcnt vmcnt(0) lgkmcnt(0)
	v_cmp_nlt_f16_e64 s[4:5], v18, v19
	s_and_saveexec_b64 s[40:41], s[4:5]
; %bb.715:                              ;   in Loop: Header=BB1247_714 Depth=2
	v_cmp_ngt_f16_e64 s[4:5], v18, v19
	s_and_b64 s[30:31], s[4:5], s[30:31]
	s_orn2_b64 s[36:37], s[30:31], exec
	s_and_b64 s[38:39], s[4:5], exec
; %bb.716:                              ;   in Loop: Header=BB1247_714 Depth=2
	s_or_b64 exec, exec, s[40:41]
	s_andn2_b64 s[4:5], s[28:29], exec
	s_and_b64 s[28:29], s[36:37], exec
	s_or_b64 s[28:29], s[4:5], s[28:29]
                                        ; implicit-def: $sgpr30_sgpr31
	s_and_saveexec_b64 s[40:41], s[38:39]
	s_cbranch_execz .LBB1247_713
; %bb.717:                              ;   in Loop: Header=BB1247_714 Depth=2
	v_lshl_add_u64 v[14:15], v[14:15], 0, -1
	v_cmp_eq_u64_e64 s[4:5], 0, v[14:15]
	v_lshl_add_u64 v[2:3], v[2:3], 0, 2
	v_lshl_add_u64 v[12:13], v[12:13], 0, 2
	s_andn2_b64 s[28:29], s[28:29], exec
	s_and_b64 s[30:31], s[36:37], exec
	s_orn2_b64 s[34:35], s[4:5], exec
	s_branch .LBB1247_713
.LBB1247_718:                           ;   in Loop: Header=BB1247_682 Depth=1
	s_or_b64 exec, exec, s[24:25]
	s_and_b64 s[4:5], s[26:27], exec
.LBB1247_719:                           ;   in Loop: Header=BB1247_682 Depth=1
	s_or_b64 exec, exec, s[22:23]
	s_xor_b64 s[4:5], s[4:5], -1
	s_and_b64 s[22:23], s[4:5], exec
.LBB1247_720:                           ;   in Loop: Header=BB1247_682 Depth=1
	s_or_b64 exec, exec, s[18:19]
	s_orn2_b64 s[18:19], s[22:23], exec
.LBB1247_721:                           ;   in Loop: Header=BB1247_682 Depth=1
	s_or_b64 exec, exec, s[20:21]
	v_cndmask_b32_e64 v2, v16, v17, s[18:19]
	v_cndmask_b32_e64 v3, v96, v31, s[18:19]
	v_add_u32_e32 v12, 1, v2
	v_add_u32_e32 v2, -1, v3
	v_min_u32_e32 v54, v12, v2
	v_lshl_add_u64 v[2:3], v[54:55], 3, v[10:11]
	flat_load_dwordx2 v[2:3], v[2:3]
	v_cndmask_b32_e64 v16, v12, v16, s[18:19]
	v_cndmask_b32_e64 v17, v17, v12, s[18:19]
	v_cmp_lt_u32_e64 s[4:5], v16, v96
	s_waitcnt vmcnt(0) lgkmcnt(0)
	v_cndmask_b32_e64 v70, v3, v22, s[18:19]
	v_cndmask_b32_e64 v71, v2, v68, s[18:19]
	;; [unrolled: 1-line block ×4, first 2 shown]
	s_and_saveexec_b64 s[20:21], s[4:5]
	s_cbranch_execz .LBB1247_731
; %bb.722:                              ;   in Loop: Header=BB1247_682 Depth=1
	v_cmp_lt_u32_e64 s[6:7], v17, v31
	s_xor_b64 s[4:5], s[0:1], -1
	s_and_b64 s[4:5], s[6:7], s[4:5]
	s_and_saveexec_b64 s[22:23], s[4:5]
	s_cbranch_execz .LBB1247_730
; %bb.723:                              ;   in Loop: Header=BB1247_682 Depth=1
	v_mad_u64_u32 v[2:3], s[4:5], v66, v81, v[8:9]
	v_mul_lo_u32 v12, v66, v80
	v_mul_lo_u32 v13, v67, v81
	v_add3_u32 v3, v13, v3, v12
	v_mad_u64_u32 v[12:13], s[4:5], v66, v71, v[8:9]
	v_mul_lo_u32 v14, v66, v70
	v_mul_lo_u32 v15, v67, v71
	v_add3_u32 v13, v15, v13, v14
	s_mov_b64 s[24:25], 0
	v_mov_b64_e32 v[14:15], v[6:7]
                                        ; implicit-def: $sgpr26_sgpr27
                                        ; implicit-def: $sgpr28_sgpr29
                                        ; implicit-def: $sgpr30_sgpr31
	s_branch .LBB1247_725
.LBB1247_724:                           ;   in Loop: Header=BB1247_725 Depth=2
	s_or_b64 exec, exec, s[40:41]
	s_and_b64 s[4:5], exec, s[34:35]
	s_or_b64 s[24:25], s[4:5], s[24:25]
	s_andn2_b64 s[4:5], s[26:27], exec
	s_and_b64 s[26:27], s[28:29], exec
	s_or_b64 s[26:27], s[4:5], s[26:27]
	s_andn2_b64 exec, exec, s[24:25]
	s_cbranch_execz .LBB1247_729
.LBB1247_725:                           ;   Parent Loop BB1247_682 Depth=1
                                        ; =>  This Inner Loop Header: Depth=2
	flat_load_ushort v18, v[12:13]
	flat_load_ushort v19, v[2:3]
	s_mov_b64 s[34:35], -1
	s_mov_b64 s[38:39], 0
	s_mov_b64 s[36:37], -1
	s_waitcnt vmcnt(0) lgkmcnt(0)
	v_cmp_nlt_f16_e64 s[4:5], v18, v19
	s_and_saveexec_b64 s[40:41], s[4:5]
; %bb.726:                              ;   in Loop: Header=BB1247_725 Depth=2
	v_cmp_ngt_f16_e64 s[4:5], v18, v19
	s_and_b64 s[30:31], s[4:5], s[30:31]
	s_orn2_b64 s[36:37], s[30:31], exec
	s_and_b64 s[38:39], s[4:5], exec
; %bb.727:                              ;   in Loop: Header=BB1247_725 Depth=2
	s_or_b64 exec, exec, s[40:41]
	s_andn2_b64 s[4:5], s[28:29], exec
	s_and_b64 s[28:29], s[36:37], exec
	s_or_b64 s[28:29], s[4:5], s[28:29]
                                        ; implicit-def: $sgpr30_sgpr31
	s_and_saveexec_b64 s[40:41], s[38:39]
	s_cbranch_execz .LBB1247_724
; %bb.728:                              ;   in Loop: Header=BB1247_725 Depth=2
	v_lshl_add_u64 v[14:15], v[14:15], 0, -1
	v_cmp_eq_u64_e64 s[4:5], 0, v[14:15]
	v_lshl_add_u64 v[2:3], v[2:3], 0, 2
	v_lshl_add_u64 v[12:13], v[12:13], 0, 2
	s_and_b64 s[30:31], s[36:37], exec
	s_andn2_b64 s[28:29], s[28:29], exec
	s_orn2_b64 s[34:35], s[4:5], exec
	s_branch .LBB1247_724
.LBB1247_729:                           ;   in Loop: Header=BB1247_682 Depth=1
	s_or_b64 exec, exec, s[24:25]
	s_xor_b64 s[4:5], s[26:27], -1
	s_andn2_b64 s[6:7], s[6:7], exec
	s_and_b64 s[4:5], s[4:5], exec
	s_or_b64 s[6:7], s[6:7], s[4:5]
.LBB1247_730:                           ;   in Loop: Header=BB1247_682 Depth=1
	s_or_b64 exec, exec, s[22:23]
	s_orn2_b64 s[6:7], s[6:7], exec
.LBB1247_731:                           ;   in Loop: Header=BB1247_682 Depth=1
	s_or_b64 exec, exec, s[20:21]
	v_cndmask_b32_e64 v2, v16, v17, s[6:7]
	v_cndmask_b32_e64 v3, v96, v31, s[6:7]
	v_add_u32_e32 v12, 1, v2
	v_add_u32_e32 v2, -1, v3
	v_min_u32_e32 v54, v12, v2
	v_lshl_add_u64 v[2:3], v[54:55], 3, v[10:11]
	flat_load_dwordx2 v[2:3], v[2:3]
	v_cndmask_b32_e64 v16, v12, v16, s[6:7]
	s_mov_b64 s[20:21], -1
	v_cndmask_b32_e64 v17, v17, v12, s[6:7]
	v_cmp_lt_u32_e64 s[4:5], v16, v96
	s_mov_b64 s[22:23], -1
	s_waitcnt vmcnt(0) lgkmcnt(0)
	v_cndmask_b32_e64 v18, v3, v70, s[6:7]
	v_cndmask_b32_e64 v82, v2, v71, s[6:7]
	;; [unrolled: 1-line block ×4, first 2 shown]
	s_and_saveexec_b64 s[24:25], s[4:5]
	s_cbranch_execz .LBB1247_741
; %bb.732:                              ;   in Loop: Header=BB1247_682 Depth=1
	v_cmp_lt_u32_e64 s[22:23], v17, v31
	s_xor_b64 s[4:5], s[0:1], -1
	s_and_b64 s[4:5], s[22:23], s[4:5]
	s_and_saveexec_b64 s[26:27], s[4:5]
	s_cbranch_execz .LBB1247_740
; %bb.733:                              ;   in Loop: Header=BB1247_682 Depth=1
	v_mad_u64_u32 v[2:3], s[4:5], v66, v83, v[8:9]
	v_mul_lo_u32 v12, v66, v19
	v_mul_lo_u32 v13, v67, v83
	v_add3_u32 v3, v13, v3, v12
	v_mad_u64_u32 v[12:13], s[4:5], v66, v82, v[8:9]
	v_mul_lo_u32 v14, v66, v18
	v_mul_lo_u32 v15, v67, v82
	v_add3_u32 v13, v15, v13, v14
	s_mov_b64 s[28:29], 0
	v_mov_b64_e32 v[14:15], v[6:7]
                                        ; implicit-def: $sgpr30_sgpr31
                                        ; implicit-def: $sgpr34_sgpr35
                                        ; implicit-def: $sgpr36_sgpr37
	s_branch .LBB1247_735
.LBB1247_734:                           ;   in Loop: Header=BB1247_735 Depth=2
	s_or_b64 exec, exec, s[44:45]
	s_and_b64 s[4:5], exec, s[38:39]
	s_or_b64 s[28:29], s[4:5], s[28:29]
	s_andn2_b64 s[4:5], s[30:31], exec
	s_and_b64 s[30:31], s[34:35], exec
	s_or_b64 s[30:31], s[4:5], s[30:31]
	s_andn2_b64 exec, exec, s[28:29]
	s_cbranch_execz .LBB1247_739
.LBB1247_735:                           ;   Parent Loop BB1247_682 Depth=1
                                        ; =>  This Inner Loop Header: Depth=2
	flat_load_ushort v54, v[12:13]
	flat_load_ushort v84, v[2:3]
	s_mov_b64 s[38:39], -1
	s_mov_b64 s[42:43], 0
	s_mov_b64 s[40:41], -1
	s_waitcnt vmcnt(0) lgkmcnt(0)
	v_cmp_nlt_f16_e64 s[4:5], v54, v84
	s_and_saveexec_b64 s[44:45], s[4:5]
; %bb.736:                              ;   in Loop: Header=BB1247_735 Depth=2
	v_cmp_ngt_f16_e64 s[4:5], v54, v84
	s_and_b64 s[36:37], s[4:5], s[36:37]
	s_orn2_b64 s[40:41], s[36:37], exec
	s_and_b64 s[42:43], s[4:5], exec
; %bb.737:                              ;   in Loop: Header=BB1247_735 Depth=2
	s_or_b64 exec, exec, s[44:45]
	s_andn2_b64 s[4:5], s[34:35], exec
	s_and_b64 s[34:35], s[40:41], exec
	s_or_b64 s[34:35], s[4:5], s[34:35]
                                        ; implicit-def: $sgpr36_sgpr37
	s_and_saveexec_b64 s[44:45], s[42:43]
	s_cbranch_execz .LBB1247_734
; %bb.738:                              ;   in Loop: Header=BB1247_735 Depth=2
	v_lshl_add_u64 v[14:15], v[14:15], 0, -1
	v_cmp_eq_u64_e64 s[4:5], 0, v[14:15]
	v_lshl_add_u64 v[2:3], v[2:3], 0, 2
	v_lshl_add_u64 v[12:13], v[12:13], 0, 2
	s_and_b64 s[36:37], s[40:41], exec
	s_andn2_b64 s[34:35], s[34:35], exec
	s_orn2_b64 s[38:39], s[4:5], exec
	s_branch .LBB1247_734
.LBB1247_739:                           ;   in Loop: Header=BB1247_682 Depth=1
	s_or_b64 exec, exec, s[28:29]
	s_xor_b64 s[4:5], s[30:31], -1
	s_andn2_b64 s[22:23], s[22:23], exec
	s_and_b64 s[4:5], s[4:5], exec
	s_or_b64 s[22:23], s[22:23], s[4:5]
.LBB1247_740:                           ;   in Loop: Header=BB1247_682 Depth=1
	s_or_b64 exec, exec, s[26:27]
	s_orn2_b64 s[22:23], s[22:23], exec
.LBB1247_741:                           ;   in Loop: Header=BB1247_682 Depth=1
	s_or_b64 exec, exec, s[24:25]
	v_cndmask_b32_e64 v2, v16, v17, s[22:23]
	v_cndmask_b32_e64 v3, v96, v31, s[22:23]
	v_add_u32_e32 v12, 1, v2
	v_add_u32_e32 v2, -1, v3
	v_min_u32_e32 v54, v12, v2
	v_lshl_add_u64 v[2:3], v[54:55], 3, v[10:11]
	flat_load_dwordx2 v[2:3], v[2:3]
	v_cndmask_b32_e64 v16, v12, v16, s[22:23]
	v_cndmask_b32_e64 v17, v17, v12, s[22:23]
	v_cmp_lt_u32_e64 s[4:5], v16, v96
	s_waitcnt vmcnt(0) lgkmcnt(0)
	v_cndmask_b32_e64 v84, v3, v18, s[22:23]
	v_cndmask_b32_e64 v85, v2, v82, s[22:23]
	;; [unrolled: 1-line block ×4, first 2 shown]
	s_and_saveexec_b64 s[24:25], s[4:5]
	s_cbranch_execz .LBB1247_751
; %bb.742:                              ;   in Loop: Header=BB1247_682 Depth=1
	v_cmp_lt_u32_e64 s[20:21], v17, v31
	s_xor_b64 s[4:5], s[0:1], -1
	s_and_b64 s[4:5], s[20:21], s[4:5]
	s_and_saveexec_b64 s[26:27], s[4:5]
	s_cbranch_execz .LBB1247_750
; %bb.743:                              ;   in Loop: Header=BB1247_682 Depth=1
	v_mad_u64_u32 v[2:3], s[4:5], v66, v87, v[8:9]
	v_mul_lo_u32 v12, v66, v86
	v_mul_lo_u32 v13, v67, v87
	v_add3_u32 v3, v13, v3, v12
	v_mad_u64_u32 v[12:13], s[4:5], v66, v85, v[8:9]
	v_mul_lo_u32 v14, v66, v84
	v_mul_lo_u32 v15, v67, v85
	v_add3_u32 v13, v15, v13, v14
	s_mov_b64 s[28:29], 0
	v_mov_b64_e32 v[14:15], v[6:7]
                                        ; implicit-def: $sgpr30_sgpr31
                                        ; implicit-def: $sgpr34_sgpr35
                                        ; implicit-def: $sgpr36_sgpr37
	s_branch .LBB1247_745
.LBB1247_744:                           ;   in Loop: Header=BB1247_745 Depth=2
	s_or_b64 exec, exec, s[44:45]
	s_and_b64 s[4:5], exec, s[38:39]
	s_or_b64 s[28:29], s[4:5], s[28:29]
	s_andn2_b64 s[4:5], s[30:31], exec
	s_and_b64 s[30:31], s[34:35], exec
	s_or_b64 s[30:31], s[4:5], s[30:31]
	s_andn2_b64 exec, exec, s[28:29]
	s_cbranch_execz .LBB1247_749
.LBB1247_745:                           ;   Parent Loop BB1247_682 Depth=1
                                        ; =>  This Inner Loop Header: Depth=2
	flat_load_ushort v54, v[12:13]
	flat_load_ushort v97, v[2:3]
	s_mov_b64 s[38:39], -1
	s_mov_b64 s[42:43], 0
	s_mov_b64 s[40:41], -1
	s_waitcnt vmcnt(0) lgkmcnt(0)
	v_cmp_nlt_f16_e64 s[4:5], v54, v97
	s_and_saveexec_b64 s[44:45], s[4:5]
; %bb.746:                              ;   in Loop: Header=BB1247_745 Depth=2
	v_cmp_ngt_f16_e64 s[4:5], v54, v97
	s_and_b64 s[36:37], s[4:5], s[36:37]
	s_orn2_b64 s[40:41], s[36:37], exec
	s_and_b64 s[42:43], s[4:5], exec
; %bb.747:                              ;   in Loop: Header=BB1247_745 Depth=2
	s_or_b64 exec, exec, s[44:45]
	s_andn2_b64 s[4:5], s[34:35], exec
	s_and_b64 s[34:35], s[40:41], exec
	s_or_b64 s[34:35], s[4:5], s[34:35]
                                        ; implicit-def: $sgpr36_sgpr37
	s_and_saveexec_b64 s[44:45], s[42:43]
	s_cbranch_execz .LBB1247_744
; %bb.748:                              ;   in Loop: Header=BB1247_745 Depth=2
	v_lshl_add_u64 v[14:15], v[14:15], 0, -1
	v_cmp_eq_u64_e64 s[4:5], 0, v[14:15]
	v_lshl_add_u64 v[2:3], v[2:3], 0, 2
	v_lshl_add_u64 v[12:13], v[12:13], 0, 2
	s_and_b64 s[36:37], s[40:41], exec
	s_andn2_b64 s[34:35], s[34:35], exec
	s_orn2_b64 s[38:39], s[4:5], exec
	s_branch .LBB1247_744
.LBB1247_749:                           ;   in Loop: Header=BB1247_682 Depth=1
	s_or_b64 exec, exec, s[28:29]
	s_xor_b64 s[4:5], s[30:31], -1
	s_andn2_b64 s[20:21], s[20:21], exec
	s_and_b64 s[4:5], s[4:5], exec
	s_or_b64 s[20:21], s[20:21], s[4:5]
.LBB1247_750:                           ;   in Loop: Header=BB1247_682 Depth=1
	s_or_b64 exec, exec, s[26:27]
	s_orn2_b64 s[20:21], s[20:21], exec
.LBB1247_751:                           ;   in Loop: Header=BB1247_682 Depth=1
	s_or_b64 exec, exec, s[24:25]
	v_cndmask_b32_e64 v2, v16, v17, s[20:21]
	v_cndmask_b32_e64 v3, v96, v31, s[20:21]
	v_add_u32_e32 v12, 1, v2
	v_add_u32_e32 v2, -1, v3
	v_min_u32_e32 v54, v12, v2
	v_lshl_add_u64 v[2:3], v[54:55], 3, v[10:11]
	flat_load_dwordx2 v[2:3], v[2:3]
	v_cndmask_b32_e64 v16, v12, v16, s[20:21]
	s_mov_b64 s[24:25], -1
	v_cndmask_b32_e64 v17, v17, v12, s[20:21]
	v_cmp_lt_u32_e64 s[4:5], v16, v96
	s_mov_b64 s[26:27], -1
	s_waitcnt vmcnt(0) lgkmcnt(0)
	v_cndmask_b32_e64 v97, v3, v84, s[20:21]
	v_cndmask_b32_e64 v98, v2, v85, s[20:21]
	;; [unrolled: 1-line block ×4, first 2 shown]
	s_and_saveexec_b64 s[28:29], s[4:5]
	s_cbranch_execz .LBB1247_761
; %bb.752:                              ;   in Loop: Header=BB1247_682 Depth=1
	v_cmp_lt_u32_e64 s[26:27], v17, v31
	s_xor_b64 s[4:5], s[0:1], -1
	s_and_b64 s[4:5], s[26:27], s[4:5]
	s_and_saveexec_b64 s[30:31], s[4:5]
	s_cbranch_execz .LBB1247_760
; %bb.753:                              ;   in Loop: Header=BB1247_682 Depth=1
	v_mad_u64_u32 v[2:3], s[4:5], v66, v100, v[8:9]
	v_mul_lo_u32 v12, v66, v99
	v_mul_lo_u32 v13, v67, v100
	v_add3_u32 v3, v13, v3, v12
	v_mad_u64_u32 v[12:13], s[4:5], v66, v98, v[8:9]
	v_mul_lo_u32 v14, v66, v97
	v_mul_lo_u32 v15, v67, v98
	v_add3_u32 v13, v15, v13, v14
	s_mov_b64 s[34:35], 0
	v_mov_b64_e32 v[14:15], v[6:7]
                                        ; implicit-def: $sgpr36_sgpr37
                                        ; implicit-def: $sgpr38_sgpr39
                                        ; implicit-def: $sgpr40_sgpr41
	s_branch .LBB1247_755
.LBB1247_754:                           ;   in Loop: Header=BB1247_755 Depth=2
	s_or_b64 exec, exec, s[48:49]
	s_and_b64 s[4:5], exec, s[42:43]
	s_or_b64 s[34:35], s[4:5], s[34:35]
	s_andn2_b64 s[4:5], s[36:37], exec
	s_and_b64 s[36:37], s[38:39], exec
	s_or_b64 s[36:37], s[4:5], s[36:37]
	s_andn2_b64 exec, exec, s[34:35]
	s_cbranch_execz .LBB1247_759
.LBB1247_755:                           ;   Parent Loop BB1247_682 Depth=1
                                        ; =>  This Inner Loop Header: Depth=2
	flat_load_ushort v54, v[12:13]
	flat_load_ushort v101, v[2:3]
	s_mov_b64 s[42:43], -1
	s_mov_b64 s[46:47], 0
	s_mov_b64 s[44:45], -1
	s_waitcnt vmcnt(0) lgkmcnt(0)
	v_cmp_nlt_f16_e64 s[4:5], v54, v101
	s_and_saveexec_b64 s[48:49], s[4:5]
; %bb.756:                              ;   in Loop: Header=BB1247_755 Depth=2
	v_cmp_ngt_f16_e64 s[4:5], v54, v101
	s_and_b64 s[40:41], s[4:5], s[40:41]
	s_orn2_b64 s[44:45], s[40:41], exec
	s_and_b64 s[46:47], s[4:5], exec
; %bb.757:                              ;   in Loop: Header=BB1247_755 Depth=2
	s_or_b64 exec, exec, s[48:49]
	s_andn2_b64 s[4:5], s[38:39], exec
	s_and_b64 s[38:39], s[44:45], exec
	s_or_b64 s[38:39], s[4:5], s[38:39]
                                        ; implicit-def: $sgpr40_sgpr41
	s_and_saveexec_b64 s[48:49], s[46:47]
	s_cbranch_execz .LBB1247_754
; %bb.758:                              ;   in Loop: Header=BB1247_755 Depth=2
	v_lshl_add_u64 v[14:15], v[14:15], 0, -1
	v_cmp_eq_u64_e64 s[4:5], 0, v[14:15]
	v_lshl_add_u64 v[2:3], v[2:3], 0, 2
	v_lshl_add_u64 v[12:13], v[12:13], 0, 2
	s_and_b64 s[40:41], s[44:45], exec
	s_andn2_b64 s[38:39], s[38:39], exec
	s_orn2_b64 s[42:43], s[4:5], exec
	s_branch .LBB1247_754
.LBB1247_759:                           ;   in Loop: Header=BB1247_682 Depth=1
	s_or_b64 exec, exec, s[34:35]
	s_xor_b64 s[4:5], s[36:37], -1
	s_andn2_b64 s[26:27], s[26:27], exec
	s_and_b64 s[4:5], s[4:5], exec
	s_or_b64 s[26:27], s[26:27], s[4:5]
.LBB1247_760:                           ;   in Loop: Header=BB1247_682 Depth=1
	s_or_b64 exec, exec, s[30:31]
	s_orn2_b64 s[26:27], s[26:27], exec
.LBB1247_761:                           ;   in Loop: Header=BB1247_682 Depth=1
	s_or_b64 exec, exec, s[28:29]
	v_cndmask_b32_e64 v2, v16, v17, s[26:27]
	v_cndmask_b32_e64 v3, v96, v31, s[26:27]
	v_add_u32_e32 v12, 1, v2
	v_add_u32_e32 v2, -1, v3
	v_min_u32_e32 v54, v12, v2
	v_lshl_add_u64 v[2:3], v[54:55], 3, v[10:11]
	flat_load_dwordx2 v[2:3], v[2:3]
	v_cndmask_b32_e64 v113, v12, v16, s[26:27]
	v_cndmask_b32_e64 v16, v17, v12, s[26:27]
	v_cmp_lt_u32_e64 s[4:5], v113, v96
	s_waitcnt vmcnt(0) lgkmcnt(0)
	v_cndmask_b32_e64 v101, v3, v97, s[26:27]
	v_cndmask_b32_e64 v102, v2, v98, s[26:27]
	;; [unrolled: 1-line block ×4, first 2 shown]
	s_and_saveexec_b64 s[28:29], s[4:5]
	s_cbranch_execz .LBB1247_771
; %bb.762:                              ;   in Loop: Header=BB1247_682 Depth=1
	v_cmp_lt_u32_e64 s[24:25], v16, v31
	s_xor_b64 s[4:5], s[0:1], -1
	s_and_b64 s[4:5], s[24:25], s[4:5]
	s_and_saveexec_b64 s[30:31], s[4:5]
	s_cbranch_execz .LBB1247_770
; %bb.763:                              ;   in Loop: Header=BB1247_682 Depth=1
	v_mad_u64_u32 v[2:3], s[4:5], v66, v112, v[8:9]
	v_mul_lo_u32 v12, v66, v103
	v_mul_lo_u32 v13, v67, v112
	v_add3_u32 v3, v13, v3, v12
	v_mad_u64_u32 v[12:13], s[4:5], v66, v102, v[8:9]
	v_mul_lo_u32 v14, v66, v101
	v_mul_lo_u32 v15, v67, v102
	v_add3_u32 v13, v15, v13, v14
	s_mov_b64 s[34:35], 0
	v_mov_b64_e32 v[14:15], v[6:7]
                                        ; implicit-def: $sgpr36_sgpr37
                                        ; implicit-def: $sgpr38_sgpr39
                                        ; implicit-def: $sgpr40_sgpr41
	s_branch .LBB1247_765
.LBB1247_764:                           ;   in Loop: Header=BB1247_765 Depth=2
	s_or_b64 exec, exec, s[48:49]
	s_and_b64 s[4:5], exec, s[42:43]
	s_or_b64 s[34:35], s[4:5], s[34:35]
	s_andn2_b64 s[4:5], s[36:37], exec
	s_and_b64 s[36:37], s[38:39], exec
	s_or_b64 s[36:37], s[4:5], s[36:37]
	s_andn2_b64 exec, exec, s[34:35]
	s_cbranch_execz .LBB1247_769
.LBB1247_765:                           ;   Parent Loop BB1247_682 Depth=1
                                        ; =>  This Inner Loop Header: Depth=2
	flat_load_ushort v17, v[12:13]
	flat_load_ushort v54, v[2:3]
	s_mov_b64 s[42:43], -1
	s_mov_b64 s[46:47], 0
	s_mov_b64 s[44:45], -1
	s_waitcnt vmcnt(0) lgkmcnt(0)
	v_cmp_nlt_f16_e64 s[4:5], v17, v54
	s_and_saveexec_b64 s[48:49], s[4:5]
; %bb.766:                              ;   in Loop: Header=BB1247_765 Depth=2
	v_cmp_ngt_f16_e64 s[4:5], v17, v54
	s_and_b64 s[40:41], s[4:5], s[40:41]
	s_orn2_b64 s[44:45], s[40:41], exec
	s_and_b64 s[46:47], s[4:5], exec
; %bb.767:                              ;   in Loop: Header=BB1247_765 Depth=2
	s_or_b64 exec, exec, s[48:49]
	s_andn2_b64 s[4:5], s[38:39], exec
	s_and_b64 s[38:39], s[44:45], exec
	s_or_b64 s[38:39], s[4:5], s[38:39]
                                        ; implicit-def: $sgpr40_sgpr41
	s_and_saveexec_b64 s[48:49], s[46:47]
	s_cbranch_execz .LBB1247_764
; %bb.768:                              ;   in Loop: Header=BB1247_765 Depth=2
	v_lshl_add_u64 v[14:15], v[14:15], 0, -1
	v_cmp_eq_u64_e64 s[4:5], 0, v[14:15]
	v_lshl_add_u64 v[2:3], v[2:3], 0, 2
	v_lshl_add_u64 v[12:13], v[12:13], 0, 2
	s_and_b64 s[40:41], s[44:45], exec
	s_andn2_b64 s[38:39], s[38:39], exec
	s_orn2_b64 s[42:43], s[4:5], exec
	s_branch .LBB1247_764
.LBB1247_769:                           ;   in Loop: Header=BB1247_682 Depth=1
	s_or_b64 exec, exec, s[34:35]
	s_xor_b64 s[4:5], s[36:37], -1
	s_andn2_b64 s[24:25], s[24:25], exec
	s_and_b64 s[4:5], s[4:5], exec
	s_or_b64 s[24:25], s[24:25], s[4:5]
.LBB1247_770:                           ;   in Loop: Header=BB1247_682 Depth=1
	s_or_b64 exec, exec, s[30:31]
	s_orn2_b64 s[24:25], s[24:25], exec
.LBB1247_771:                           ;   in Loop: Header=BB1247_682 Depth=1
	s_or_b64 exec, exec, s[28:29]
	v_cndmask_b32_e64 v2, v113, v16, s[24:25]
	v_cndmask_b32_e64 v3, v96, v31, s[24:25]
	v_add_u32_e32 v14, 1, v2
	v_add_u32_e32 v2, -1, v3
	v_min_u32_e32 v54, v14, v2
	v_lshl_add_u64 v[2:3], v[54:55], 3, v[10:11]
	flat_load_dwordx2 v[12:13], v[2:3]
	v_cndmask_b32_e64 v15, v14, v113, s[24:25]
	v_cmp_lt_u32_e64 s[4:5], v15, v96
	s_waitcnt vmcnt(0) lgkmcnt(0)
	v_cndmask_b32_e64 v3, v103, v13, s[24:25]
	v_cndmask_b32_e64 v2, v112, v12, s[24:25]
	s_and_saveexec_b64 s[28:29], s[4:5]
	s_cbranch_execz .LBB1247_781
; %bb.772:                              ;   in Loop: Header=BB1247_682 Depth=1
	v_cndmask_b32_e64 v96, v12, v102, s[24:25]
	v_cndmask_b32_e64 v12, v16, v14, s[24:25]
	v_cmp_ge_u32_e64 s[4:5], v12, v31
	v_cndmask_b32_e64 v54, v13, v101, s[24:25]
	s_or_b64 s[30:31], s[4:5], s[0:1]
	v_cndmask_b32_e64 v13, v3, v54, s[4:5]
	s_xor_b64 s[34:35], s[30:31], -1
	v_cndmask_b32_e64 v12, v2, v96, s[4:5]
	s_and_saveexec_b64 s[30:31], s[34:35]
	s_cbranch_execz .LBB1247_780
; %bb.773:                              ;   in Loop: Header=BB1247_682 Depth=1
	v_mad_u64_u32 v[12:13], s[4:5], v66, v2, v[8:9]
	v_mul_lo_u32 v14, v66, v3
	v_mul_lo_u32 v15, v67, v2
	v_add3_u32 v13, v15, v13, v14
	v_mad_u64_u32 v[14:15], s[4:5], v66, v96, v[8:9]
	v_mul_lo_u32 v16, v66, v54
	v_mul_lo_u32 v17, v67, v96
	v_add3_u32 v15, v17, v15, v16
	s_mov_b64 s[34:35], 0
	v_mov_b64_e32 v[16:17], v[6:7]
                                        ; implicit-def: $sgpr36_sgpr37
                                        ; implicit-def: $sgpr38_sgpr39
                                        ; implicit-def: $sgpr40_sgpr41
	s_branch .LBB1247_775
.LBB1247_774:                           ;   in Loop: Header=BB1247_775 Depth=2
	s_or_b64 exec, exec, s[48:49]
	s_and_b64 s[4:5], exec, s[42:43]
	s_or_b64 s[34:35], s[4:5], s[34:35]
	s_andn2_b64 s[4:5], s[36:37], exec
	s_and_b64 s[36:37], s[38:39], exec
	s_or_b64 s[36:37], s[4:5], s[36:37]
	s_andn2_b64 exec, exec, s[34:35]
	s_cbranch_execz .LBB1247_779
.LBB1247_775:                           ;   Parent Loop BB1247_682 Depth=1
                                        ; =>  This Inner Loop Header: Depth=2
	flat_load_ushort v31, v[14:15]
	flat_load_ushort v113, v[12:13]
	s_mov_b64 s[42:43], -1
	s_mov_b64 s[46:47], 0
	s_mov_b64 s[44:45], -1
	s_waitcnt vmcnt(0) lgkmcnt(0)
	v_cmp_nlt_f16_e64 s[4:5], v31, v113
	s_and_saveexec_b64 s[48:49], s[4:5]
; %bb.776:                              ;   in Loop: Header=BB1247_775 Depth=2
	v_cmp_ngt_f16_e64 s[4:5], v31, v113
	s_and_b64 s[40:41], s[4:5], s[40:41]
	s_orn2_b64 s[44:45], s[40:41], exec
	s_and_b64 s[46:47], s[4:5], exec
; %bb.777:                              ;   in Loop: Header=BB1247_775 Depth=2
	s_or_b64 exec, exec, s[48:49]
	s_andn2_b64 s[4:5], s[38:39], exec
	s_and_b64 s[38:39], s[44:45], exec
	s_or_b64 s[38:39], s[4:5], s[38:39]
                                        ; implicit-def: $sgpr40_sgpr41
	s_and_saveexec_b64 s[48:49], s[46:47]
	s_cbranch_execz .LBB1247_774
; %bb.778:                              ;   in Loop: Header=BB1247_775 Depth=2
	v_lshl_add_u64 v[16:17], v[16:17], 0, -1
	v_cmp_eq_u64_e64 s[4:5], 0, v[16:17]
	v_lshl_add_u64 v[12:13], v[12:13], 0, 2
	v_lshl_add_u64 v[14:15], v[14:15], 0, 2
	s_and_b64 s[40:41], s[44:45], exec
	s_andn2_b64 s[38:39], s[38:39], exec
	s_orn2_b64 s[42:43], s[4:5], exec
	s_branch .LBB1247_774
.LBB1247_779:                           ;   in Loop: Header=BB1247_682 Depth=1
	s_or_b64 exec, exec, s[34:35]
	v_cndmask_b32_e64 v13, v3, v54, s[36:37]
	v_cndmask_b32_e64 v12, v2, v96, s[36:37]
.LBB1247_780:                           ;   in Loop: Header=BB1247_682 Depth=1
	s_or_b64 exec, exec, s[30:31]
	v_mov_b64_e32 v[2:3], v[12:13]
.LBB1247_781:                           ;   in Loop: Header=BB1247_682 Depth=1
	s_or_b64 exec, exec, s[28:29]
	v_cndmask_b32_e64 v15, v97, v99, s[26:27]
	v_cndmask_b32_e64 v14, v98, v100, s[26:27]
	;; [unrolled: 1-line block ×14, first 2 shown]
.LBB1247_782:                           ;   in Loop: Header=BB1247_682 Depth=1
	s_or_b64 exec, exec, s[14:15]
	s_cmpk_lt_u32 s50, 0x400
	s_barrier
	s_cbranch_scc0 .LBB1247_784
; %bb.783:                              ;   in Loop: Header=BB1247_682 Depth=1
	s_mov_b32 s50, s51
	s_branch .LBB1247_682
.LBB1247_784:
	s_barrier
	flat_store_dwordx4 v[52:53], v[20:23]
	flat_store_dwordx4 v[52:53], v[16:19] offset:16
	flat_store_dwordx4 v[52:53], v[12:15] offset:32
	;; [unrolled: 1-line block ×3, first 2 shown]
	s_waitcnt lgkmcnt(0)
	s_barrier
	flat_load_dwordx2 v[0:1], v[24:25]
	flat_load_dwordx2 v[2:3], v[36:37] offset:2048
	flat_load_dwordx2 v[6:7], v[32:33]
	flat_load_dwordx2 v[8:9], v[26:27]
	;; [unrolled: 1-line block ×6, first 2 shown]
	v_mov_b32_e32 v31, 0
	s_movk_i32 s0, 0x1000
	v_lshl_add_u64 v[18:19], v[4:5], 0, v[30:31]
	v_add_co_u32_e32 v20, vcc, s0, v18
	s_mov_b64 s[22:23], exec
	s_nop 0
	v_addc_co_u32_e32 v21, vcc, 0, v19, vcc
	v_add_co_u32_e32 v22, vcc, 0x2000, v18
                                        ; implicit-def: $vgpr64
                                        ; implicit-def: $vgpr65
                                        ; implicit-def: $vgpr30
                                        ; implicit-def: $vgpr32
	s_nop 1
	v_addc_co_u32_e32 v23, vcc, 0, v19, vcc
	v_add_co_u32_e32 v24, vcc, 0x3000, v18
	s_nop 1
	v_addc_co_u32_e32 v25, vcc, 0, v19, vcc
	s_waitcnt vmcnt(0) lgkmcnt(0)
	flat_store_dwordx2 v[18:19], v[0:1]
	flat_store_dwordx2 v[18:19], v[2:3] offset:2048
	flat_store_dwordx2 v[20:21], v[6:7]
	flat_store_dwordx2 v[20:21], v[8:9] offset:2048
	;; [unrolled: 2-line block ×3, first 2 shown]
	flat_store_dwordx2 v[24:25], v[16:17]
                                        ; implicit-def: $vgpr0
                                        ; implicit-def: $vgpr6_vgpr7
                                        ; implicit-def: $vgpr2_vgpr3
                                        ; implicit-def: $vgpr8_vgpr9
                                        ; implicit-def: $vgpr10_vgpr11
                                        ; implicit-def: $vgpr1
	s_andn2_saveexec_b64 s[24:25], s[10:11]
	s_cbranch_execz .LBB1247_2
.LBB1247_785:
	v_cmp_lt_u32_e32 vcc, v28, v0
                                        ; implicit-def: $vgpr12_vgpr13
	s_and_saveexec_b64 s[0:1], vcc
	s_cbranch_execz .LBB1247_787
; %bb.786:
	v_mov_b32_e32 v31, 0
	v_lshl_add_u64 v[12:13], v[2:3], 0, v[30:31]
	flat_load_dwordx2 v[12:13], v[12:13]
.LBB1247_787:
	s_or_b64 exec, exec, s[0:1]
	v_add_u32_e32 v33, 0x100, v28
	v_cmp_lt_u32_e64 s[0:1], v33, v0
                                        ; implicit-def: $vgpr14_vgpr15
	s_and_saveexec_b64 s[2:3], s[0:1]
	s_cbranch_execz .LBB1247_789
; %bb.788:
	v_mov_b32_e32 v31, 0
	v_lshl_add_u64 v[14:15], v[2:3], 0, v[30:31]
	flat_load_dwordx2 v[14:15], v[14:15] offset:2048
.LBB1247_789:
	s_or_b64 exec, exec, s[2:3]
	v_add_u32_e32 v31, 0x200, v28
	v_cmp_lt_u32_e64 s[2:3], v31, v0
                                        ; implicit-def: $vgpr16_vgpr17
	s_and_saveexec_b64 s[4:5], s[2:3]
	s_cbranch_execz .LBB1247_791
; %bb.790:
	v_lshlrev_b32_e32 v16, 3, v31
	v_mov_b32_e32 v17, 0
	v_lshl_add_u64 v[16:17], v[2:3], 0, v[16:17]
	flat_load_dwordx2 v[16:17], v[16:17]
.LBB1247_791:
	s_or_b64 exec, exec, s[4:5]
	v_add_u32_e32 v36, 0x300, v28
	v_cmp_lt_u32_e64 s[4:5], v36, v0
                                        ; implicit-def: $vgpr18_vgpr19
	s_and_saveexec_b64 s[6:7], s[4:5]
	s_cbranch_execz .LBB1247_793
; %bb.792:
	v_lshlrev_b32_e32 v18, 3, v36
	v_mov_b32_e32 v19, 0
	v_lshl_add_u64 v[18:19], v[2:3], 0, v[18:19]
	flat_load_dwordx2 v[18:19], v[18:19]
.LBB1247_793:
	s_or_b64 exec, exec, s[6:7]
	v_or_b32_e32 v38, 0x400, v28
	v_cmp_lt_u32_e64 s[6:7], v38, v0
                                        ; implicit-def: $vgpr20_vgpr21
	s_and_saveexec_b64 s[10:11], s[6:7]
	s_cbranch_execz .LBB1247_795
; %bb.794:
	v_lshlrev_b32_e32 v20, 3, v38
	v_mov_b32_e32 v21, 0
	v_lshl_add_u64 v[20:21], v[2:3], 0, v[20:21]
	flat_load_dwordx2 v[20:21], v[20:21]
.LBB1247_795:
	s_or_b64 exec, exec, s[10:11]
	v_add_u32_e32 v48, 0x500, v28
	v_cmp_lt_u32_e64 s[10:11], v48, v0
                                        ; implicit-def: $vgpr22_vgpr23
	s_and_saveexec_b64 s[14:15], s[10:11]
	s_cbranch_execz .LBB1247_797
; %bb.796:
	v_lshlrev_b32_e32 v22, 3, v48
	v_mov_b32_e32 v23, 0
	v_lshl_add_u64 v[22:23], v[2:3], 0, v[22:23]
	flat_load_dwordx2 v[22:23], v[22:23]
.LBB1247_797:
	s_or_b64 exec, exec, s[14:15]
	v_add_u32_e32 v50, 0x600, v28
	v_cmp_lt_u32_e64 s[20:21], v50, v0
                                        ; implicit-def: $vgpr24_vgpr25
	s_and_saveexec_b64 s[14:15], s[20:21]
	s_cbranch_execz .LBB1247_799
; %bb.798:
	v_lshlrev_b32_e32 v24, 3, v50
	v_mov_b32_e32 v25, 0
	v_lshl_add_u64 v[24:25], v[2:3], 0, v[24:25]
	flat_load_dwordx2 v[24:25], v[24:25]
.LBB1247_799:
	s_or_b64 exec, exec, s[14:15]
	v_add_u32_e32 v52, 0x700, v28
	v_cmp_lt_u32_e64 s[14:15], v52, v0
                                        ; implicit-def: $vgpr26_vgpr27
	s_and_saveexec_b64 s[16:17], s[14:15]
	s_cbranch_execz .LBB1247_801
; %bb.800:
	v_lshlrev_b32_e32 v26, 3, v52
	v_mov_b32_e32 v27, 0
	v_lshl_add_u64 v[2:3], v[2:3], 0, v[26:27]
	flat_load_dwordx2 v[26:27], v[2:3]
.LBB1247_801:
	s_or_b64 exec, exec, s[16:17]
	v_mov_b32_e32 v29, 0
	v_add_lshl_u32 v2, v32, v28, 3
	v_mov_b32_e32 v3, v29
	v_lshl_add_u64 v[2:3], v[10:11], 0, v[2:3]
	s_waitcnt vmcnt(0) lgkmcnt(0)
	flat_store_dwordx2 v[2:3], v[12:13]
	v_lshrrev_b32_e32 v12, 5, v33
	v_add_lshl_u32 v12, v12, v28, 3
	v_mov_b32_e32 v13, v29
	v_lshl_add_u64 v[32:33], v[10:11], 0, v[12:13]
	v_lshrrev_b32_e32 v12, 5, v31
	v_add_lshl_u32 v12, v12, v31, 3
	v_lshl_add_u64 v[34:35], v[10:11], 0, v[12:13]
	v_lshrrev_b32_e32 v12, 5, v36
	v_add_lshl_u32 v12, v12, v36, 3
	v_lshl_add_u64 v[36:37], v[10:11], 0, v[12:13]
	v_lshrrev_b32_e32 v12, 5, v38
	v_add_lshl_u32 v12, v12, v38, 3
	v_lshl_add_u64 v[38:39], v[10:11], 0, v[12:13]
	v_lshrrev_b32_e32 v12, 5, v48
	v_add_lshl_u32 v12, v12, v48, 3
	v_lshl_add_u64 v[48:49], v[10:11], 0, v[12:13]
	v_lshrrev_b32_e32 v12, 5, v50
	v_add_lshl_u32 v12, v12, v50, 3
	v_lshl_add_u64 v[50:51], v[10:11], 0, v[12:13]
	v_lshrrev_b32_e32 v12, 5, v52
	v_add_lshl_u32 v12, v12, v52, 3
	v_lshl_add_u64 v[52:53], v[10:11], 0, v[12:13]
	v_add_lshl_u32 v12, v1, v30, 3
	v_lshl_add_u64 v[54:55], v[10:11], 0, v[12:13]
	flat_store_dwordx2 v[32:33], v[14:15] offset:2048
	flat_store_dwordx2 v[34:35], v[16:17]
	flat_store_dwordx2 v[36:37], v[18:19]
	;; [unrolled: 1-line block ×6, first 2 shown]
	s_waitcnt lgkmcnt(0)
	s_barrier
	flat_load_dwordx4 v[24:27], v[54:55]
	flat_load_dwordx4 v[20:23], v[54:55] offset:16
	flat_load_dwordx4 v[16:19], v[54:55] offset:32
	;; [unrolled: 1-line block ×3, first 2 shown]
	s_waitcnt lgkmcnt(0)
	s_barrier
	s_load_dwordx2 s[16:17], s[8:9], 0x0
	s_mov_b64 s[28:29], 0
	s_waitcnt lgkmcnt(0)
	s_cmp_lt_u32 s12, s16
	s_cselect_b32 s16, 12, 18
	s_cmp_lt_u32 s13, s17
	s_cselect_b32 s12, 14, 20
	s_add_u32 s12, s8, s12
	s_addc_u32 s13, s9, 0
	s_add_u32 s8, s8, s16
	s_addc_u32 s9, s9, 0
	global_load_ushort v1, v29, s[12:13]
	global_load_ushort v31, v29, s[8:9]
	v_cmp_lt_i64_e64 s[16:17], 0, v[6:7]
	v_cmp_gt_i64_e64 s[8:9], 1, v[6:7]
	s_waitcnt vmcnt(0)
	v_mad_u32_u24 v1, v65, v1, v64
	v_mul_lo_u32 v1, v1, v31
	v_add_lshl_u32 v1, v1, v28, 3
	v_sub_u32_e64 v31, v0, v1 clamp
	v_cmp_lt_u32_e64 s[12:13], 1, v31
	s_and_b64 s[18:19], s[12:13], s[16:17]
	s_and_saveexec_b64 s[26:27], s[18:19]
	s_cbranch_execz .LBB1247_811
; %bb.802:
	v_mul_lo_u32 v66, v25, v6
	v_mul_lo_u32 v67, v24, v7
	v_mad_u64_u32 v[64:65], s[12:13], v24, v6, 0
	v_add3_u32 v65, v65, v67, v66
	v_mul_lo_u32 v68, v27, v6
	v_mul_lo_u32 v69, v26, v7
	v_mad_u64_u32 v[66:67], s[12:13], v26, v6, 0
	v_add3_u32 v67, v67, v69, v68
	v_lshl_add_u64 v[64:65], v[64:65], 1, v[8:9]
	v_lshl_add_u64 v[66:67], v[66:67], 1, v[8:9]
	v_mov_b64_e32 v[68:69], v[6:7]
                                        ; implicit-def: $sgpr30_sgpr31
                                        ; implicit-def: $sgpr34_sgpr35
                                        ; implicit-def: $sgpr36_sgpr37
                                        ; implicit-def: $sgpr38_sgpr39
                                        ; implicit-def: $sgpr40_sgpr41
	s_branch .LBB1247_804
.LBB1247_803:                           ;   in Loop: Header=BB1247_804 Depth=1
	s_or_b64 exec, exec, s[44:45]
	s_and_b64 s[12:13], exec, s[12:13]
	s_or_b64 s[28:29], s[12:13], s[28:29]
	s_andn2_b64 s[12:13], s[34:35], exec
	s_and_b64 s[34:35], s[36:37], exec
	s_or_b64 s[34:35], s[12:13], s[34:35]
	s_andn2_b64 s[12:13], s[30:31], exec
	s_and_b64 s[30:31], s[38:39], exec
	s_or_b64 s[30:31], s[12:13], s[30:31]
	s_andn2_b64 exec, exec, s[28:29]
	s_cbranch_execz .LBB1247_808
.LBB1247_804:                           ; =>This Inner Loop Header: Depth=1
	flat_load_ushort v70, v[66:67]
	flat_load_ushort v71, v[64:65]
	s_mov_b64 s[42:43], 0
	s_or_b64 s[38:39], s[38:39], exec
	s_waitcnt vmcnt(0) lgkmcnt(0)
	v_cmp_nlt_f16_e64 s[12:13], v70, v71
	s_and_saveexec_b64 s[44:45], s[12:13]
; %bb.805:                              ;   in Loop: Header=BB1247_804 Depth=1
	v_cmp_ngt_f16_e64 s[12:13], v70, v71
	s_and_b64 s[40:41], s[12:13], s[40:41]
	s_andn2_b64 s[38:39], s[38:39], exec
	s_and_b64 s[40:41], s[40:41], exec
	s_or_b64 s[38:39], s[38:39], s[40:41]
	s_and_b64 s[42:43], s[12:13], exec
; %bb.806:                              ;   in Loop: Header=BB1247_804 Depth=1
	s_or_b64 exec, exec, s[44:45]
	s_mov_b64 s[12:13], -1
	s_or_b64 s[36:37], s[36:37], exec
                                        ; implicit-def: $sgpr40_sgpr41
	s_and_saveexec_b64 s[44:45], s[42:43]
	s_cbranch_execz .LBB1247_803
; %bb.807:                              ;   in Loop: Header=BB1247_804 Depth=1
	v_lshl_add_u64 v[68:69], v[68:69], 0, -1
	v_cmp_eq_u64_e64 s[12:13], 0, v[68:69]
	v_lshl_add_u64 v[64:65], v[64:65], 0, 2
	v_lshl_add_u64 v[66:67], v[66:67], 0, 2
	s_and_b64 s[40:41], s[38:39], exec
	s_andn2_b64 s[36:37], s[36:37], exec
	s_orn2_b64 s[12:13], s[12:13], exec
	s_branch .LBB1247_803
.LBB1247_808:
	s_or_b64 exec, exec, s[28:29]
	s_and_saveexec_b64 s[12:13], s[34:35]
	s_xor_b64 s[12:13], exec, s[12:13]
; %bb.809:
	v_cndmask_b32_e64 v65, v27, v25, s[30:31]
	v_cndmask_b32_e64 v64, v26, v24, s[30:31]
	;; [unrolled: 1-line block ×4, first 2 shown]
	v_mov_b64_e32 v[26:27], v[64:65]
; %bb.810:
	s_or_b64 exec, exec, s[12:13]
.LBB1247_811:
	s_or_b64 exec, exec, s[26:27]
	v_cmp_lt_u32_e64 s[12:13], 3, v31
	s_xor_b64 s[26:27], s[8:9], -1
	s_and_b64 s[28:29], s[12:13], s[26:27]
	s_and_saveexec_b64 s[30:31], s[28:29]
	s_cbranch_execz .LBB1247_821
; %bb.812:
	v_mul_lo_u32 v66, v21, v6
	v_mul_lo_u32 v67, v20, v7
	v_mad_u64_u32 v[64:65], s[12:13], v20, v6, 0
	v_add3_u32 v65, v65, v67, v66
	v_mul_lo_u32 v68, v23, v6
	v_mul_lo_u32 v69, v22, v7
	v_mad_u64_u32 v[66:67], s[12:13], v22, v6, 0
	v_add3_u32 v67, v67, v69, v68
	v_lshl_add_u64 v[64:65], v[64:65], 1, v[8:9]
	v_lshl_add_u64 v[66:67], v[66:67], 1, v[8:9]
	s_mov_b64 s[36:37], 0
	v_mov_b64_e32 v[68:69], v[6:7]
                                        ; implicit-def: $sgpr34_sgpr35
                                        ; implicit-def: $sgpr38_sgpr39
                                        ; implicit-def: $sgpr40_sgpr41
                                        ; implicit-def: $sgpr42_sgpr43
                                        ; implicit-def: $sgpr44_sgpr45
	s_branch .LBB1247_814
.LBB1247_813:                           ;   in Loop: Header=BB1247_814 Depth=1
	s_or_b64 exec, exec, s[48:49]
	s_and_b64 s[12:13], exec, s[12:13]
	s_or_b64 s[36:37], s[12:13], s[36:37]
	s_andn2_b64 s[12:13], s[38:39], exec
	s_and_b64 s[38:39], s[40:41], exec
	s_or_b64 s[38:39], s[12:13], s[38:39]
	s_andn2_b64 s[12:13], s[34:35], exec
	s_and_b64 s[34:35], s[42:43], exec
	s_or_b64 s[34:35], s[12:13], s[34:35]
	s_andn2_b64 exec, exec, s[36:37]
	s_cbranch_execz .LBB1247_818
.LBB1247_814:                           ; =>This Inner Loop Header: Depth=1
	flat_load_ushort v70, v[66:67]
	flat_load_ushort v71, v[64:65]
	s_or_b64 s[42:43], s[42:43], exec
	s_mov_b64 s[46:47], 0
	s_waitcnt vmcnt(0) lgkmcnt(0)
	v_cmp_nlt_f16_e64 s[12:13], v70, v71
	s_and_saveexec_b64 s[48:49], s[12:13]
; %bb.815:                              ;   in Loop: Header=BB1247_814 Depth=1
	v_cmp_ngt_f16_e64 s[12:13], v70, v71
	s_and_b64 s[44:45], s[12:13], s[44:45]
	s_andn2_b64 s[42:43], s[42:43], exec
	s_and_b64 s[44:45], s[44:45], exec
	s_or_b64 s[42:43], s[42:43], s[44:45]
	s_and_b64 s[46:47], s[12:13], exec
; %bb.816:                              ;   in Loop: Header=BB1247_814 Depth=1
	s_or_b64 exec, exec, s[48:49]
	s_mov_b64 s[12:13], -1
	s_or_b64 s[40:41], s[40:41], exec
                                        ; implicit-def: $sgpr44_sgpr45
	s_and_saveexec_b64 s[48:49], s[46:47]
	s_cbranch_execz .LBB1247_813
; %bb.817:                              ;   in Loop: Header=BB1247_814 Depth=1
	v_lshl_add_u64 v[68:69], v[68:69], 0, -1
	v_cmp_eq_u64_e64 s[12:13], 0, v[68:69]
	v_lshl_add_u64 v[64:65], v[64:65], 0, 2
	v_lshl_add_u64 v[66:67], v[66:67], 0, 2
	s_and_b64 s[44:45], s[42:43], exec
	s_andn2_b64 s[40:41], s[40:41], exec
	s_orn2_b64 s[12:13], s[12:13], exec
	s_branch .LBB1247_813
.LBB1247_818:
	s_or_b64 exec, exec, s[36:37]
	s_and_saveexec_b64 s[12:13], s[38:39]
	s_xor_b64 s[12:13], exec, s[12:13]
; %bb.819:
	v_cndmask_b32_e64 v65, v21, v23, s[34:35]
	v_cndmask_b32_e64 v64, v20, v22, s[34:35]
	;; [unrolled: 1-line block ×4, first 2 shown]
	v_mov_b64_e32 v[20:21], v[64:65]
; %bb.820:
	s_or_b64 exec, exec, s[12:13]
.LBB1247_821:
	s_or_b64 exec, exec, s[30:31]
	v_cmp_lt_u32_e64 s[12:13], 5, v31
	s_and_b64 s[30:31], s[12:13], s[26:27]
	s_and_saveexec_b64 s[34:35], s[30:31]
	s_cbranch_execz .LBB1247_831
; %bb.822:
	v_mul_lo_u32 v66, v17, v6
	v_mul_lo_u32 v67, v16, v7
	v_mad_u64_u32 v[64:65], s[12:13], v16, v6, 0
	v_add3_u32 v65, v65, v67, v66
	v_mul_lo_u32 v68, v19, v6
	v_mul_lo_u32 v69, v18, v7
	v_mad_u64_u32 v[66:67], s[12:13], v18, v6, 0
	v_add3_u32 v67, v67, v69, v68
	v_lshl_add_u64 v[64:65], v[64:65], 1, v[8:9]
	v_lshl_add_u64 v[66:67], v[66:67], 1, v[8:9]
	s_mov_b64 s[38:39], 0
	v_mov_b64_e32 v[68:69], v[6:7]
                                        ; implicit-def: $sgpr36_sgpr37
                                        ; implicit-def: $sgpr40_sgpr41
                                        ; implicit-def: $sgpr42_sgpr43
                                        ; implicit-def: $sgpr44_sgpr45
                                        ; implicit-def: $sgpr46_sgpr47
	s_branch .LBB1247_824
.LBB1247_823:                           ;   in Loop: Header=BB1247_824 Depth=1
	s_or_b64 exec, exec, s[50:51]
	s_and_b64 s[12:13], exec, s[12:13]
	s_or_b64 s[38:39], s[12:13], s[38:39]
	s_andn2_b64 s[12:13], s[40:41], exec
	s_and_b64 s[40:41], s[42:43], exec
	s_or_b64 s[40:41], s[12:13], s[40:41]
	s_andn2_b64 s[12:13], s[36:37], exec
	s_and_b64 s[36:37], s[44:45], exec
	s_or_b64 s[36:37], s[12:13], s[36:37]
	s_andn2_b64 exec, exec, s[38:39]
	s_cbranch_execz .LBB1247_828
.LBB1247_824:                           ; =>This Inner Loop Header: Depth=1
	flat_load_ushort v70, v[66:67]
	flat_load_ushort v71, v[64:65]
	s_or_b64 s[44:45], s[44:45], exec
	s_mov_b64 s[48:49], 0
	s_waitcnt vmcnt(0) lgkmcnt(0)
	v_cmp_nlt_f16_e64 s[12:13], v70, v71
	s_and_saveexec_b64 s[50:51], s[12:13]
; %bb.825:                              ;   in Loop: Header=BB1247_824 Depth=1
	v_cmp_ngt_f16_e64 s[12:13], v70, v71
	s_and_b64 s[46:47], s[12:13], s[46:47]
	s_andn2_b64 s[44:45], s[44:45], exec
	s_and_b64 s[46:47], s[46:47], exec
	s_or_b64 s[44:45], s[44:45], s[46:47]
	s_and_b64 s[48:49], s[12:13], exec
; %bb.826:                              ;   in Loop: Header=BB1247_824 Depth=1
	s_or_b64 exec, exec, s[50:51]
	s_mov_b64 s[12:13], -1
	s_or_b64 s[42:43], s[42:43], exec
                                        ; implicit-def: $sgpr46_sgpr47
	s_and_saveexec_b64 s[50:51], s[48:49]
	s_cbranch_execz .LBB1247_823
; %bb.827:                              ;   in Loop: Header=BB1247_824 Depth=1
	v_lshl_add_u64 v[68:69], v[68:69], 0, -1
	v_cmp_eq_u64_e64 s[12:13], 0, v[68:69]
	v_lshl_add_u64 v[64:65], v[64:65], 0, 2
	v_lshl_add_u64 v[66:67], v[66:67], 0, 2
	s_and_b64 s[46:47], s[44:45], exec
	s_andn2_b64 s[42:43], s[42:43], exec
	s_orn2_b64 s[12:13], s[12:13], exec
	s_branch .LBB1247_823
.LBB1247_828:
	s_or_b64 exec, exec, s[38:39]
	s_and_saveexec_b64 s[12:13], s[40:41]
	s_xor_b64 s[12:13], exec, s[12:13]
; %bb.829:
	v_cndmask_b32_e64 v65, v17, v19, s[36:37]
	v_cndmask_b32_e64 v64, v16, v18, s[36:37]
	;; [unrolled: 1-line block ×4, first 2 shown]
	v_mov_b64_e32 v[16:17], v[64:65]
; %bb.830:
	s_or_b64 exec, exec, s[12:13]
.LBB1247_831:
	s_or_b64 exec, exec, s[34:35]
	v_cmp_lt_u32_e64 s[12:13], 7, v31
	s_and_b64 s[34:35], s[12:13], s[26:27]
	s_and_saveexec_b64 s[36:37], s[34:35]
	s_cbranch_execz .LBB1247_841
; %bb.832:
	v_mul_lo_u32 v66, v13, v6
	v_mul_lo_u32 v67, v12, v7
	v_mad_u64_u32 v[64:65], s[12:13], v12, v6, 0
	v_add3_u32 v65, v65, v67, v66
	v_mul_lo_u32 v68, v15, v6
	v_mul_lo_u32 v69, v14, v7
	v_mad_u64_u32 v[66:67], s[12:13], v14, v6, 0
	v_add3_u32 v67, v67, v69, v68
	v_lshl_add_u64 v[64:65], v[64:65], 1, v[8:9]
	v_lshl_add_u64 v[66:67], v[66:67], 1, v[8:9]
	s_mov_b64 s[40:41], 0
	v_mov_b64_e32 v[68:69], v[6:7]
                                        ; implicit-def: $sgpr38_sgpr39
                                        ; implicit-def: $sgpr42_sgpr43
                                        ; implicit-def: $sgpr44_sgpr45
                                        ; implicit-def: $sgpr46_sgpr47
                                        ; implicit-def: $sgpr48_sgpr49
	s_branch .LBB1247_834
.LBB1247_833:                           ;   in Loop: Header=BB1247_834 Depth=1
	s_or_b64 exec, exec, s[52:53]
	s_and_b64 s[12:13], exec, s[12:13]
	s_or_b64 s[40:41], s[12:13], s[40:41]
	s_andn2_b64 s[12:13], s[42:43], exec
	s_and_b64 s[42:43], s[44:45], exec
	s_or_b64 s[42:43], s[12:13], s[42:43]
	s_andn2_b64 s[12:13], s[38:39], exec
	s_and_b64 s[38:39], s[46:47], exec
	s_or_b64 s[38:39], s[12:13], s[38:39]
	s_andn2_b64 exec, exec, s[40:41]
	s_cbranch_execz .LBB1247_838
.LBB1247_834:                           ; =>This Inner Loop Header: Depth=1
	flat_load_ushort v70, v[66:67]
	flat_load_ushort v71, v[64:65]
	s_or_b64 s[46:47], s[46:47], exec
	s_mov_b64 s[50:51], 0
	s_waitcnt vmcnt(0) lgkmcnt(0)
	v_cmp_nlt_f16_e64 s[12:13], v70, v71
	s_and_saveexec_b64 s[52:53], s[12:13]
; %bb.835:                              ;   in Loop: Header=BB1247_834 Depth=1
	v_cmp_ngt_f16_e64 s[12:13], v70, v71
	s_and_b64 s[48:49], s[12:13], s[48:49]
	s_andn2_b64 s[46:47], s[46:47], exec
	s_and_b64 s[48:49], s[48:49], exec
	s_or_b64 s[46:47], s[46:47], s[48:49]
	s_and_b64 s[50:51], s[12:13], exec
; %bb.836:                              ;   in Loop: Header=BB1247_834 Depth=1
	s_or_b64 exec, exec, s[52:53]
	s_mov_b64 s[12:13], -1
	s_or_b64 s[44:45], s[44:45], exec
                                        ; implicit-def: $sgpr48_sgpr49
	s_and_saveexec_b64 s[52:53], s[50:51]
	s_cbranch_execz .LBB1247_833
; %bb.837:                              ;   in Loop: Header=BB1247_834 Depth=1
	v_lshl_add_u64 v[68:69], v[68:69], 0, -1
	v_cmp_eq_u64_e64 s[12:13], 0, v[68:69]
	v_lshl_add_u64 v[64:65], v[64:65], 0, 2
	v_lshl_add_u64 v[66:67], v[66:67], 0, 2
	s_and_b64 s[48:49], s[46:47], exec
	s_andn2_b64 s[44:45], s[44:45], exec
	s_orn2_b64 s[12:13], s[12:13], exec
	s_branch .LBB1247_833
.LBB1247_838:
	s_or_b64 exec, exec, s[40:41]
	s_and_saveexec_b64 s[12:13], s[42:43]
	s_xor_b64 s[12:13], exec, s[12:13]
; %bb.839:
	v_cndmask_b32_e64 v65, v13, v15, s[38:39]
	v_cndmask_b32_e64 v64, v12, v14, s[38:39]
	;; [unrolled: 1-line block ×4, first 2 shown]
	v_mov_b64_e32 v[12:13], v[64:65]
; %bb.840:
	s_or_b64 exec, exec, s[12:13]
.LBB1247_841:
	s_or_b64 exec, exec, s[36:37]
	v_cmp_lt_u32_e64 s[12:13], 2, v31
	s_and_b64 s[36:37], s[12:13], s[26:27]
	s_and_saveexec_b64 s[12:13], s[36:37]
	s_xor_b64 s[38:39], exec, s[12:13]
	s_cbranch_execz .LBB1247_851
; %bb.842:
	v_mul_lo_u32 v66, v27, v6
	v_mul_lo_u32 v67, v26, v7
	v_mad_u64_u32 v[64:65], s[12:13], v26, v6, 0
	v_add3_u32 v65, v65, v67, v66
	v_mul_lo_u32 v68, v21, v6
	v_mul_lo_u32 v69, v20, v7
	v_mad_u64_u32 v[66:67], s[12:13], v20, v6, 0
	v_add3_u32 v67, v67, v69, v68
	v_lshl_add_u64 v[64:65], v[64:65], 1, v[8:9]
	v_lshl_add_u64 v[66:67], v[66:67], 1, v[8:9]
	s_mov_b64 s[42:43], 0
	v_mov_b64_e32 v[68:69], v[6:7]
                                        ; implicit-def: $sgpr40_sgpr41
                                        ; implicit-def: $sgpr44_sgpr45
                                        ; implicit-def: $sgpr46_sgpr47
                                        ; implicit-def: $sgpr48_sgpr49
                                        ; implicit-def: $sgpr50_sgpr51
	s_branch .LBB1247_844
.LBB1247_843:                           ;   in Loop: Header=BB1247_844 Depth=1
	s_or_b64 exec, exec, s[54:55]
	s_and_b64 s[12:13], exec, s[12:13]
	s_or_b64 s[42:43], s[12:13], s[42:43]
	s_andn2_b64 s[12:13], s[44:45], exec
	s_and_b64 s[44:45], s[46:47], exec
	s_or_b64 s[44:45], s[12:13], s[44:45]
	s_andn2_b64 s[12:13], s[40:41], exec
	s_and_b64 s[40:41], s[48:49], exec
	s_or_b64 s[40:41], s[12:13], s[40:41]
	s_andn2_b64 exec, exec, s[42:43]
	s_cbranch_execz .LBB1247_848
.LBB1247_844:                           ; =>This Inner Loop Header: Depth=1
	flat_load_ushort v70, v[66:67]
	flat_load_ushort v71, v[64:65]
	s_or_b64 s[48:49], s[48:49], exec
	s_mov_b64 s[52:53], 0
	s_waitcnt vmcnt(0) lgkmcnt(0)
	v_cmp_nlt_f16_e64 s[12:13], v70, v71
	s_and_saveexec_b64 s[54:55], s[12:13]
; %bb.845:                              ;   in Loop: Header=BB1247_844 Depth=1
	v_cmp_ngt_f16_e64 s[12:13], v70, v71
	s_and_b64 s[50:51], s[12:13], s[50:51]
	s_andn2_b64 s[48:49], s[48:49], exec
	s_and_b64 s[50:51], s[50:51], exec
	s_or_b64 s[48:49], s[48:49], s[50:51]
	s_and_b64 s[52:53], s[12:13], exec
; %bb.846:                              ;   in Loop: Header=BB1247_844 Depth=1
	s_or_b64 exec, exec, s[54:55]
	s_mov_b64 s[12:13], -1
	s_or_b64 s[46:47], s[46:47], exec
                                        ; implicit-def: $sgpr50_sgpr51
	s_and_saveexec_b64 s[54:55], s[52:53]
	s_cbranch_execz .LBB1247_843
; %bb.847:                              ;   in Loop: Header=BB1247_844 Depth=1
	v_lshl_add_u64 v[68:69], v[68:69], 0, -1
	v_cmp_eq_u64_e64 s[12:13], 0, v[68:69]
	v_lshl_add_u64 v[64:65], v[64:65], 0, 2
	v_lshl_add_u64 v[66:67], v[66:67], 0, 2
	s_and_b64 s[50:51], s[48:49], exec
	s_andn2_b64 s[46:47], s[46:47], exec
	s_orn2_b64 s[12:13], s[12:13], exec
	s_branch .LBB1247_843
.LBB1247_848:
	s_or_b64 exec, exec, s[42:43]
	s_and_saveexec_b64 s[12:13], s[44:45]
	s_xor_b64 s[12:13], exec, s[12:13]
; %bb.849:
	v_cndmask_b32_e64 v65, v27, v21, s[40:41]
	v_cndmask_b32_e64 v64, v26, v20, s[40:41]
	;; [unrolled: 1-line block ×4, first 2 shown]
	v_mov_b64_e32 v[26:27], v[64:65]
; %bb.850:
	s_or_b64 exec, exec, s[12:13]
.LBB1247_851:
	s_or_b64 exec, exec, s[38:39]
	v_cmp_lt_u32_e64 s[12:13], 4, v31
	s_and_b64 s[38:39], s[12:13], s[26:27]
	s_and_saveexec_b64 s[40:41], s[38:39]
	s_cbranch_execz .LBB1247_861
; %bb.852:
	v_mul_lo_u32 v66, v23, v6
	v_mul_lo_u32 v67, v22, v7
	v_mad_u64_u32 v[64:65], s[12:13], v22, v6, 0
	v_add3_u32 v65, v65, v67, v66
	v_mul_lo_u32 v68, v17, v6
	v_mul_lo_u32 v69, v16, v7
	v_mad_u64_u32 v[66:67], s[12:13], v16, v6, 0
	v_add3_u32 v67, v67, v69, v68
	v_lshl_add_u64 v[64:65], v[64:65], 1, v[8:9]
	v_lshl_add_u64 v[66:67], v[66:67], 1, v[8:9]
	s_mov_b64 s[44:45], 0
	v_mov_b64_e32 v[68:69], v[6:7]
                                        ; implicit-def: $sgpr42_sgpr43
                                        ; implicit-def: $sgpr46_sgpr47
                                        ; implicit-def: $sgpr48_sgpr49
                                        ; implicit-def: $sgpr50_sgpr51
                                        ; implicit-def: $sgpr52_sgpr53
	s_branch .LBB1247_854
.LBB1247_853:                           ;   in Loop: Header=BB1247_854 Depth=1
	s_or_b64 exec, exec, s[56:57]
	s_and_b64 s[12:13], exec, s[12:13]
	s_or_b64 s[44:45], s[12:13], s[44:45]
	s_andn2_b64 s[12:13], s[46:47], exec
	s_and_b64 s[46:47], s[48:49], exec
	s_or_b64 s[46:47], s[12:13], s[46:47]
	s_andn2_b64 s[12:13], s[42:43], exec
	s_and_b64 s[42:43], s[50:51], exec
	s_or_b64 s[42:43], s[12:13], s[42:43]
	s_andn2_b64 exec, exec, s[44:45]
	s_cbranch_execz .LBB1247_858
.LBB1247_854:                           ; =>This Inner Loop Header: Depth=1
	flat_load_ushort v70, v[66:67]
	flat_load_ushort v71, v[64:65]
	s_or_b64 s[50:51], s[50:51], exec
	s_mov_b64 s[54:55], 0
	s_waitcnt vmcnt(0) lgkmcnt(0)
	v_cmp_nlt_f16_e64 s[12:13], v70, v71
	s_and_saveexec_b64 s[56:57], s[12:13]
; %bb.855:                              ;   in Loop: Header=BB1247_854 Depth=1
	v_cmp_ngt_f16_e64 s[12:13], v70, v71
	s_and_b64 s[52:53], s[12:13], s[52:53]
	s_andn2_b64 s[50:51], s[50:51], exec
	s_and_b64 s[52:53], s[52:53], exec
	s_or_b64 s[50:51], s[50:51], s[52:53]
	s_and_b64 s[54:55], s[12:13], exec
; %bb.856:                              ;   in Loop: Header=BB1247_854 Depth=1
	s_or_b64 exec, exec, s[56:57]
	s_mov_b64 s[12:13], -1
	s_or_b64 s[48:49], s[48:49], exec
                                        ; implicit-def: $sgpr52_sgpr53
	s_and_saveexec_b64 s[56:57], s[54:55]
	s_cbranch_execz .LBB1247_853
; %bb.857:                              ;   in Loop: Header=BB1247_854 Depth=1
	v_lshl_add_u64 v[68:69], v[68:69], 0, -1
	v_cmp_eq_u64_e64 s[12:13], 0, v[68:69]
	v_lshl_add_u64 v[64:65], v[64:65], 0, 2
	v_lshl_add_u64 v[66:67], v[66:67], 0, 2
	s_and_b64 s[52:53], s[50:51], exec
	s_andn2_b64 s[48:49], s[48:49], exec
	s_orn2_b64 s[12:13], s[12:13], exec
	s_branch .LBB1247_853
.LBB1247_858:
	s_or_b64 exec, exec, s[44:45]
	s_and_saveexec_b64 s[12:13], s[46:47]
	s_xor_b64 s[12:13], exec, s[12:13]
; %bb.859:
	v_cndmask_b32_e64 v65, v23, v17, s[42:43]
	v_cndmask_b32_e64 v64, v22, v16, s[42:43]
	;; [unrolled: 1-line block ×4, first 2 shown]
	v_mov_b64_e32 v[22:23], v[64:65]
; %bb.860:
	s_or_b64 exec, exec, s[12:13]
.LBB1247_861:
	s_or_b64 exec, exec, s[40:41]
	v_cmp_lt_u32_e64 s[12:13], 6, v31
	s_and_b64 s[40:41], s[12:13], s[26:27]
	s_and_saveexec_b64 s[42:43], s[40:41]
	s_cbranch_execnz .LBB1247_883
; %bb.862:
	s_or_b64 exec, exec, s[42:43]
	s_and_saveexec_b64 s[42:43], s[18:19]
	s_cbranch_execnz .LBB1247_892
.LBB1247_863:
	s_or_b64 exec, exec, s[42:43]
	s_and_saveexec_b64 s[42:43], s[28:29]
	s_cbranch_execnz .LBB1247_901
.LBB1247_864:
	s_or_b64 exec, exec, s[42:43]
	s_and_saveexec_b64 s[42:43], s[30:31]
	s_cbranch_execnz .LBB1247_910
.LBB1247_865:
	s_or_b64 exec, exec, s[42:43]
	s_and_saveexec_b64 s[42:43], s[34:35]
	s_cbranch_execnz .LBB1247_919
.LBB1247_866:
	s_or_b64 exec, exec, s[42:43]
	s_and_saveexec_b64 s[42:43], s[36:37]
	s_cbranch_execnz .LBB1247_928
.LBB1247_867:
	s_or_b64 exec, exec, s[42:43]
	s_and_saveexec_b64 s[42:43], s[38:39]
	s_cbranch_execnz .LBB1247_937
.LBB1247_868:
	s_or_b64 exec, exec, s[42:43]
	s_and_saveexec_b64 s[42:43], s[40:41]
	s_cbranch_execnz .LBB1247_946
.LBB1247_869:
	s_or_b64 exec, exec, s[42:43]
	s_and_saveexec_b64 s[42:43], s[18:19]
	s_cbranch_execnz .LBB1247_955
.LBB1247_870:
	s_or_b64 exec, exec, s[42:43]
	s_and_saveexec_b64 s[42:43], s[28:29]
	s_cbranch_execnz .LBB1247_964
.LBB1247_871:
	s_or_b64 exec, exec, s[42:43]
	s_and_saveexec_b64 s[42:43], s[30:31]
	s_cbranch_execnz .LBB1247_973
.LBB1247_872:
	s_or_b64 exec, exec, s[42:43]
	s_and_saveexec_b64 s[42:43], s[34:35]
	s_cbranch_execnz .LBB1247_982
.LBB1247_873:
	s_or_b64 exec, exec, s[42:43]
	s_and_saveexec_b64 s[42:43], s[36:37]
	s_cbranch_execnz .LBB1247_991
.LBB1247_874:
	s_or_b64 exec, exec, s[42:43]
	s_and_saveexec_b64 s[42:43], s[38:39]
	s_cbranch_execnz .LBB1247_1000
.LBB1247_875:
	s_or_b64 exec, exec, s[42:43]
	s_and_saveexec_b64 s[42:43], s[40:41]
	s_cbranch_execnz .LBB1247_1009
.LBB1247_876:
	s_or_b64 exec, exec, s[42:43]
	s_and_saveexec_b64 s[42:43], s[18:19]
	s_cbranch_execnz .LBB1247_1018
.LBB1247_877:
	s_or_b64 exec, exec, s[42:43]
	s_and_saveexec_b64 s[18:19], s[28:29]
	s_cbranch_execnz .LBB1247_1027
.LBB1247_878:
	s_or_b64 exec, exec, s[18:19]
	s_and_saveexec_b64 s[18:19], s[30:31]
	s_cbranch_execnz .LBB1247_1036
.LBB1247_879:
	s_or_b64 exec, exec, s[18:19]
	s_and_saveexec_b64 s[18:19], s[34:35]
	s_cbranch_execnz .LBB1247_1045
.LBB1247_880:
	s_or_b64 exec, exec, s[18:19]
	s_and_saveexec_b64 s[18:19], s[36:37]
	s_cbranch_execnz .LBB1247_1054
.LBB1247_881:
	s_or_b64 exec, exec, s[18:19]
	s_and_saveexec_b64 s[18:19], s[38:39]
	s_cbranch_execnz .LBB1247_1063
.LBB1247_882:
	s_or_b64 exec, exec, s[18:19]
	s_and_saveexec_b64 s[18:19], s[40:41]
	s_cbranch_execnz .LBB1247_1072
	s_branch .LBB1247_1081
.LBB1247_883:
	v_mul_lo_u32 v31, v19, v6
	v_mul_lo_u32 v66, v18, v7
	v_mad_u64_u32 v[64:65], s[12:13], v18, v6, 0
	v_add3_u32 v65, v65, v66, v31
	v_mul_lo_u32 v31, v13, v6
	v_mul_lo_u32 v68, v12, v7
	v_mad_u64_u32 v[66:67], s[12:13], v12, v6, 0
	v_add3_u32 v67, v67, v68, v31
	v_lshl_add_u64 v[64:65], v[64:65], 1, v[8:9]
	v_lshl_add_u64 v[66:67], v[66:67], 1, v[8:9]
	s_mov_b64 s[46:47], 0
	v_mov_b64_e32 v[68:69], v[6:7]
                                        ; implicit-def: $sgpr44_sgpr45
                                        ; implicit-def: $sgpr48_sgpr49
                                        ; implicit-def: $sgpr50_sgpr51
                                        ; implicit-def: $sgpr52_sgpr53
                                        ; implicit-def: $sgpr54_sgpr55
	s_branch .LBB1247_885
.LBB1247_884:                           ;   in Loop: Header=BB1247_885 Depth=1
	s_or_b64 exec, exec, s[58:59]
	s_and_b64 s[12:13], exec, s[12:13]
	s_or_b64 s[46:47], s[12:13], s[46:47]
	s_andn2_b64 s[12:13], s[48:49], exec
	s_and_b64 s[48:49], s[50:51], exec
	s_or_b64 s[48:49], s[12:13], s[48:49]
	s_andn2_b64 s[12:13], s[44:45], exec
	s_and_b64 s[44:45], s[52:53], exec
	s_or_b64 s[44:45], s[12:13], s[44:45]
	s_andn2_b64 exec, exec, s[46:47]
	s_cbranch_execz .LBB1247_889
.LBB1247_885:                           ; =>This Inner Loop Header: Depth=1
	flat_load_ushort v31, v[66:67]
	flat_load_ushort v70, v[64:65]
	s_or_b64 s[52:53], s[52:53], exec
	s_mov_b64 s[56:57], 0
	s_waitcnt vmcnt(0) lgkmcnt(0)
	v_cmp_nlt_f16_e64 s[12:13], v31, v70
	s_and_saveexec_b64 s[58:59], s[12:13]
; %bb.886:                              ;   in Loop: Header=BB1247_885 Depth=1
	v_cmp_ngt_f16_e64 s[12:13], v31, v70
	s_and_b64 s[54:55], s[12:13], s[54:55]
	s_andn2_b64 s[52:53], s[52:53], exec
	s_and_b64 s[54:55], s[54:55], exec
	s_or_b64 s[52:53], s[52:53], s[54:55]
	s_and_b64 s[56:57], s[12:13], exec
; %bb.887:                              ;   in Loop: Header=BB1247_885 Depth=1
	s_or_b64 exec, exec, s[58:59]
	s_mov_b64 s[12:13], -1
	s_or_b64 s[50:51], s[50:51], exec
                                        ; implicit-def: $sgpr54_sgpr55
	s_and_saveexec_b64 s[58:59], s[56:57]
	s_cbranch_execz .LBB1247_884
; %bb.888:                              ;   in Loop: Header=BB1247_885 Depth=1
	v_lshl_add_u64 v[68:69], v[68:69], 0, -1
	v_cmp_eq_u64_e64 s[12:13], 0, v[68:69]
	v_lshl_add_u64 v[64:65], v[64:65], 0, 2
	v_lshl_add_u64 v[66:67], v[66:67], 0, 2
	s_and_b64 s[54:55], s[52:53], exec
	s_andn2_b64 s[50:51], s[50:51], exec
	s_orn2_b64 s[12:13], s[12:13], exec
	s_branch .LBB1247_884
.LBB1247_889:
	s_or_b64 exec, exec, s[46:47]
	s_and_saveexec_b64 s[12:13], s[48:49]
	s_xor_b64 s[12:13], exec, s[12:13]
; %bb.890:
	v_cndmask_b32_e64 v65, v19, v13, s[44:45]
	v_cndmask_b32_e64 v64, v18, v12, s[44:45]
	;; [unrolled: 1-line block ×4, first 2 shown]
	v_mov_b64_e32 v[18:19], v[64:65]
; %bb.891:
	s_or_b64 exec, exec, s[12:13]
	s_or_b64 exec, exec, s[42:43]
	s_and_saveexec_b64 s[42:43], s[18:19]
	s_cbranch_execz .LBB1247_863
.LBB1247_892:
	v_mul_lo_u32 v31, v25, v6
	v_mul_lo_u32 v66, v24, v7
	v_mad_u64_u32 v[64:65], s[12:13], v24, v6, 0
	v_add3_u32 v65, v65, v66, v31
	v_mul_lo_u32 v31, v27, v6
	v_mul_lo_u32 v68, v26, v7
	v_mad_u64_u32 v[66:67], s[12:13], v26, v6, 0
	v_add3_u32 v67, v67, v68, v31
	v_lshl_add_u64 v[64:65], v[64:65], 1, v[8:9]
	v_lshl_add_u64 v[66:67], v[66:67], 1, v[8:9]
	s_mov_b64 s[46:47], 0
	v_mov_b64_e32 v[68:69], v[6:7]
                                        ; implicit-def: $sgpr44_sgpr45
                                        ; implicit-def: $sgpr48_sgpr49
                                        ; implicit-def: $sgpr50_sgpr51
                                        ; implicit-def: $sgpr52_sgpr53
                                        ; implicit-def: $sgpr54_sgpr55
	s_branch .LBB1247_894
.LBB1247_893:                           ;   in Loop: Header=BB1247_894 Depth=1
	s_or_b64 exec, exec, s[58:59]
	s_and_b64 s[12:13], exec, s[12:13]
	s_or_b64 s[46:47], s[12:13], s[46:47]
	s_andn2_b64 s[12:13], s[48:49], exec
	s_and_b64 s[48:49], s[50:51], exec
	s_or_b64 s[48:49], s[12:13], s[48:49]
	s_andn2_b64 s[12:13], s[44:45], exec
	s_and_b64 s[44:45], s[52:53], exec
	s_or_b64 s[44:45], s[12:13], s[44:45]
	s_andn2_b64 exec, exec, s[46:47]
	s_cbranch_execz .LBB1247_898
.LBB1247_894:                           ; =>This Inner Loop Header: Depth=1
	flat_load_ushort v31, v[66:67]
	flat_load_ushort v70, v[64:65]
	s_or_b64 s[52:53], s[52:53], exec
	s_mov_b64 s[56:57], 0
	s_waitcnt vmcnt(0) lgkmcnt(0)
	v_cmp_nlt_f16_e64 s[12:13], v31, v70
	s_and_saveexec_b64 s[58:59], s[12:13]
; %bb.895:                              ;   in Loop: Header=BB1247_894 Depth=1
	v_cmp_ngt_f16_e64 s[12:13], v31, v70
	s_and_b64 s[54:55], s[12:13], s[54:55]
	s_andn2_b64 s[52:53], s[52:53], exec
	s_and_b64 s[54:55], s[54:55], exec
	s_or_b64 s[52:53], s[52:53], s[54:55]
	s_and_b64 s[56:57], s[12:13], exec
; %bb.896:                              ;   in Loop: Header=BB1247_894 Depth=1
	s_or_b64 exec, exec, s[58:59]
	s_mov_b64 s[12:13], -1
	s_or_b64 s[50:51], s[50:51], exec
                                        ; implicit-def: $sgpr54_sgpr55
	s_and_saveexec_b64 s[58:59], s[56:57]
	s_cbranch_execz .LBB1247_893
; %bb.897:                              ;   in Loop: Header=BB1247_894 Depth=1
	v_lshl_add_u64 v[68:69], v[68:69], 0, -1
	v_cmp_eq_u64_e64 s[12:13], 0, v[68:69]
	v_lshl_add_u64 v[64:65], v[64:65], 0, 2
	v_lshl_add_u64 v[66:67], v[66:67], 0, 2
	s_and_b64 s[54:55], s[52:53], exec
	s_andn2_b64 s[50:51], s[50:51], exec
	s_orn2_b64 s[12:13], s[12:13], exec
	s_branch .LBB1247_893
.LBB1247_898:
	s_or_b64 exec, exec, s[46:47]
	s_and_saveexec_b64 s[12:13], s[48:49]
	s_xor_b64 s[12:13], exec, s[12:13]
; %bb.899:
	v_cndmask_b32_e64 v65, v27, v25, s[44:45]
	v_cndmask_b32_e64 v64, v26, v24, s[44:45]
	;; [unrolled: 1-line block ×4, first 2 shown]
	v_mov_b64_e32 v[26:27], v[64:65]
; %bb.900:
	s_or_b64 exec, exec, s[12:13]
	s_or_b64 exec, exec, s[42:43]
	s_and_saveexec_b64 s[42:43], s[28:29]
	s_cbranch_execz .LBB1247_864
.LBB1247_901:
	v_mul_lo_u32 v31, v21, v6
	v_mul_lo_u32 v66, v20, v7
	v_mad_u64_u32 v[64:65], s[12:13], v20, v6, 0
	v_add3_u32 v65, v65, v66, v31
	v_mul_lo_u32 v31, v23, v6
	v_mul_lo_u32 v68, v22, v7
	v_mad_u64_u32 v[66:67], s[12:13], v22, v6, 0
	v_add3_u32 v67, v67, v68, v31
	v_lshl_add_u64 v[64:65], v[64:65], 1, v[8:9]
	v_lshl_add_u64 v[66:67], v[66:67], 1, v[8:9]
	s_mov_b64 s[46:47], 0
	v_mov_b64_e32 v[68:69], v[6:7]
                                        ; implicit-def: $sgpr44_sgpr45
                                        ; implicit-def: $sgpr48_sgpr49
                                        ; implicit-def: $sgpr50_sgpr51
                                        ; implicit-def: $sgpr52_sgpr53
                                        ; implicit-def: $sgpr54_sgpr55
	s_branch .LBB1247_903
.LBB1247_902:                           ;   in Loop: Header=BB1247_903 Depth=1
	s_or_b64 exec, exec, s[58:59]
	s_and_b64 s[12:13], exec, s[12:13]
	s_or_b64 s[46:47], s[12:13], s[46:47]
	s_andn2_b64 s[12:13], s[48:49], exec
	s_and_b64 s[48:49], s[50:51], exec
	s_or_b64 s[48:49], s[12:13], s[48:49]
	s_andn2_b64 s[12:13], s[44:45], exec
	s_and_b64 s[44:45], s[52:53], exec
	s_or_b64 s[44:45], s[12:13], s[44:45]
	s_andn2_b64 exec, exec, s[46:47]
	s_cbranch_execz .LBB1247_907
.LBB1247_903:                           ; =>This Inner Loop Header: Depth=1
	flat_load_ushort v31, v[66:67]
	flat_load_ushort v70, v[64:65]
	s_or_b64 s[52:53], s[52:53], exec
	s_mov_b64 s[56:57], 0
	s_waitcnt vmcnt(0) lgkmcnt(0)
	v_cmp_nlt_f16_e64 s[12:13], v31, v70
	s_and_saveexec_b64 s[58:59], s[12:13]
; %bb.904:                              ;   in Loop: Header=BB1247_903 Depth=1
	v_cmp_ngt_f16_e64 s[12:13], v31, v70
	s_and_b64 s[54:55], s[12:13], s[54:55]
	s_andn2_b64 s[52:53], s[52:53], exec
	s_and_b64 s[54:55], s[54:55], exec
	s_or_b64 s[52:53], s[52:53], s[54:55]
	s_and_b64 s[56:57], s[12:13], exec
; %bb.905:                              ;   in Loop: Header=BB1247_903 Depth=1
	s_or_b64 exec, exec, s[58:59]
	s_mov_b64 s[12:13], -1
	s_or_b64 s[50:51], s[50:51], exec
                                        ; implicit-def: $sgpr54_sgpr55
	s_and_saveexec_b64 s[58:59], s[56:57]
	s_cbranch_execz .LBB1247_902
; %bb.906:                              ;   in Loop: Header=BB1247_903 Depth=1
	v_lshl_add_u64 v[68:69], v[68:69], 0, -1
	v_cmp_eq_u64_e64 s[12:13], 0, v[68:69]
	v_lshl_add_u64 v[64:65], v[64:65], 0, 2
	v_lshl_add_u64 v[66:67], v[66:67], 0, 2
	s_and_b64 s[54:55], s[52:53], exec
	s_andn2_b64 s[50:51], s[50:51], exec
	s_orn2_b64 s[12:13], s[12:13], exec
	s_branch .LBB1247_902
.LBB1247_907:
	s_or_b64 exec, exec, s[46:47]
	s_and_saveexec_b64 s[12:13], s[48:49]
	s_xor_b64 s[12:13], exec, s[12:13]
; %bb.908:
	v_cndmask_b32_e64 v65, v21, v23, s[44:45]
	v_cndmask_b32_e64 v64, v20, v22, s[44:45]
	;; [unrolled: 1-line block ×4, first 2 shown]
	v_mov_b64_e32 v[20:21], v[64:65]
; %bb.909:
	s_or_b64 exec, exec, s[12:13]
	s_or_b64 exec, exec, s[42:43]
	s_and_saveexec_b64 s[42:43], s[30:31]
	s_cbranch_execz .LBB1247_865
.LBB1247_910:
	v_mul_lo_u32 v31, v17, v6
	v_mul_lo_u32 v66, v16, v7
	v_mad_u64_u32 v[64:65], s[12:13], v16, v6, 0
	v_add3_u32 v65, v65, v66, v31
	v_mul_lo_u32 v31, v19, v6
	v_mul_lo_u32 v68, v18, v7
	v_mad_u64_u32 v[66:67], s[12:13], v18, v6, 0
	v_add3_u32 v67, v67, v68, v31
	v_lshl_add_u64 v[64:65], v[64:65], 1, v[8:9]
	v_lshl_add_u64 v[66:67], v[66:67], 1, v[8:9]
	s_mov_b64 s[46:47], 0
	v_mov_b64_e32 v[68:69], v[6:7]
                                        ; implicit-def: $sgpr44_sgpr45
                                        ; implicit-def: $sgpr48_sgpr49
                                        ; implicit-def: $sgpr50_sgpr51
                                        ; implicit-def: $sgpr52_sgpr53
                                        ; implicit-def: $sgpr54_sgpr55
	s_branch .LBB1247_912
.LBB1247_911:                           ;   in Loop: Header=BB1247_912 Depth=1
	s_or_b64 exec, exec, s[58:59]
	s_and_b64 s[12:13], exec, s[12:13]
	s_or_b64 s[46:47], s[12:13], s[46:47]
	s_andn2_b64 s[12:13], s[48:49], exec
	s_and_b64 s[48:49], s[50:51], exec
	s_or_b64 s[48:49], s[12:13], s[48:49]
	s_andn2_b64 s[12:13], s[44:45], exec
	s_and_b64 s[44:45], s[52:53], exec
	s_or_b64 s[44:45], s[12:13], s[44:45]
	s_andn2_b64 exec, exec, s[46:47]
	s_cbranch_execz .LBB1247_916
.LBB1247_912:                           ; =>This Inner Loop Header: Depth=1
	flat_load_ushort v31, v[66:67]
	flat_load_ushort v70, v[64:65]
	s_or_b64 s[52:53], s[52:53], exec
	s_mov_b64 s[56:57], 0
	s_waitcnt vmcnt(0) lgkmcnt(0)
	v_cmp_nlt_f16_e64 s[12:13], v31, v70
	s_and_saveexec_b64 s[58:59], s[12:13]
; %bb.913:                              ;   in Loop: Header=BB1247_912 Depth=1
	v_cmp_ngt_f16_e64 s[12:13], v31, v70
	s_and_b64 s[54:55], s[12:13], s[54:55]
	s_andn2_b64 s[52:53], s[52:53], exec
	s_and_b64 s[54:55], s[54:55], exec
	s_or_b64 s[52:53], s[52:53], s[54:55]
	s_and_b64 s[56:57], s[12:13], exec
; %bb.914:                              ;   in Loop: Header=BB1247_912 Depth=1
	s_or_b64 exec, exec, s[58:59]
	s_mov_b64 s[12:13], -1
	s_or_b64 s[50:51], s[50:51], exec
                                        ; implicit-def: $sgpr54_sgpr55
	s_and_saveexec_b64 s[58:59], s[56:57]
	s_cbranch_execz .LBB1247_911
; %bb.915:                              ;   in Loop: Header=BB1247_912 Depth=1
	v_lshl_add_u64 v[68:69], v[68:69], 0, -1
	v_cmp_eq_u64_e64 s[12:13], 0, v[68:69]
	v_lshl_add_u64 v[64:65], v[64:65], 0, 2
	v_lshl_add_u64 v[66:67], v[66:67], 0, 2
	s_and_b64 s[54:55], s[52:53], exec
	s_andn2_b64 s[50:51], s[50:51], exec
	s_orn2_b64 s[12:13], s[12:13], exec
	s_branch .LBB1247_911
.LBB1247_916:
	s_or_b64 exec, exec, s[46:47]
	s_and_saveexec_b64 s[12:13], s[48:49]
	s_xor_b64 s[12:13], exec, s[12:13]
; %bb.917:
	v_cndmask_b32_e64 v65, v17, v19, s[44:45]
	v_cndmask_b32_e64 v64, v16, v18, s[44:45]
	;; [unrolled: 1-line block ×4, first 2 shown]
	v_mov_b64_e32 v[16:17], v[64:65]
; %bb.918:
	s_or_b64 exec, exec, s[12:13]
	s_or_b64 exec, exec, s[42:43]
	s_and_saveexec_b64 s[42:43], s[34:35]
	s_cbranch_execz .LBB1247_866
.LBB1247_919:
	v_mul_lo_u32 v31, v13, v6
	v_mul_lo_u32 v66, v12, v7
	v_mad_u64_u32 v[64:65], s[12:13], v12, v6, 0
	v_add3_u32 v65, v65, v66, v31
	v_mul_lo_u32 v31, v15, v6
	v_mul_lo_u32 v68, v14, v7
	v_mad_u64_u32 v[66:67], s[12:13], v14, v6, 0
	v_add3_u32 v67, v67, v68, v31
	v_lshl_add_u64 v[64:65], v[64:65], 1, v[8:9]
	v_lshl_add_u64 v[66:67], v[66:67], 1, v[8:9]
	s_mov_b64 s[46:47], 0
	v_mov_b64_e32 v[68:69], v[6:7]
                                        ; implicit-def: $sgpr44_sgpr45
                                        ; implicit-def: $sgpr48_sgpr49
                                        ; implicit-def: $sgpr50_sgpr51
                                        ; implicit-def: $sgpr52_sgpr53
                                        ; implicit-def: $sgpr54_sgpr55
	s_branch .LBB1247_921
.LBB1247_920:                           ;   in Loop: Header=BB1247_921 Depth=1
	s_or_b64 exec, exec, s[58:59]
	s_and_b64 s[12:13], exec, s[12:13]
	s_or_b64 s[46:47], s[12:13], s[46:47]
	s_andn2_b64 s[12:13], s[48:49], exec
	s_and_b64 s[48:49], s[50:51], exec
	s_or_b64 s[48:49], s[12:13], s[48:49]
	s_andn2_b64 s[12:13], s[44:45], exec
	s_and_b64 s[44:45], s[52:53], exec
	s_or_b64 s[44:45], s[12:13], s[44:45]
	s_andn2_b64 exec, exec, s[46:47]
	s_cbranch_execz .LBB1247_925
.LBB1247_921:                           ; =>This Inner Loop Header: Depth=1
	flat_load_ushort v31, v[66:67]
	flat_load_ushort v70, v[64:65]
	s_or_b64 s[52:53], s[52:53], exec
	s_mov_b64 s[56:57], 0
	s_waitcnt vmcnt(0) lgkmcnt(0)
	v_cmp_nlt_f16_e64 s[12:13], v31, v70
	s_and_saveexec_b64 s[58:59], s[12:13]
; %bb.922:                              ;   in Loop: Header=BB1247_921 Depth=1
	v_cmp_ngt_f16_e64 s[12:13], v31, v70
	s_and_b64 s[54:55], s[12:13], s[54:55]
	s_andn2_b64 s[52:53], s[52:53], exec
	s_and_b64 s[54:55], s[54:55], exec
	s_or_b64 s[52:53], s[52:53], s[54:55]
	s_and_b64 s[56:57], s[12:13], exec
; %bb.923:                              ;   in Loop: Header=BB1247_921 Depth=1
	s_or_b64 exec, exec, s[58:59]
	s_mov_b64 s[12:13], -1
	s_or_b64 s[50:51], s[50:51], exec
                                        ; implicit-def: $sgpr54_sgpr55
	s_and_saveexec_b64 s[58:59], s[56:57]
	s_cbranch_execz .LBB1247_920
; %bb.924:                              ;   in Loop: Header=BB1247_921 Depth=1
	v_lshl_add_u64 v[68:69], v[68:69], 0, -1
	v_cmp_eq_u64_e64 s[12:13], 0, v[68:69]
	v_lshl_add_u64 v[64:65], v[64:65], 0, 2
	v_lshl_add_u64 v[66:67], v[66:67], 0, 2
	s_and_b64 s[54:55], s[52:53], exec
	s_andn2_b64 s[50:51], s[50:51], exec
	s_orn2_b64 s[12:13], s[12:13], exec
	s_branch .LBB1247_920
.LBB1247_925:
	s_or_b64 exec, exec, s[46:47]
	s_and_saveexec_b64 s[12:13], s[48:49]
	s_xor_b64 s[12:13], exec, s[12:13]
; %bb.926:
	v_cndmask_b32_e64 v65, v13, v15, s[44:45]
	v_cndmask_b32_e64 v64, v12, v14, s[44:45]
	;; [unrolled: 1-line block ×4, first 2 shown]
	v_mov_b64_e32 v[12:13], v[64:65]
; %bb.927:
	s_or_b64 exec, exec, s[12:13]
	s_or_b64 exec, exec, s[42:43]
	s_and_saveexec_b64 s[42:43], s[36:37]
	s_cbranch_execz .LBB1247_867
.LBB1247_928:
	v_mul_lo_u32 v31, v27, v6
	v_mul_lo_u32 v66, v26, v7
	v_mad_u64_u32 v[64:65], s[12:13], v26, v6, 0
	v_add3_u32 v65, v65, v66, v31
	v_mul_lo_u32 v31, v21, v6
	v_mul_lo_u32 v68, v20, v7
	v_mad_u64_u32 v[66:67], s[12:13], v20, v6, 0
	v_add3_u32 v67, v67, v68, v31
	v_lshl_add_u64 v[64:65], v[64:65], 1, v[8:9]
	v_lshl_add_u64 v[66:67], v[66:67], 1, v[8:9]
	s_mov_b64 s[46:47], 0
	v_mov_b64_e32 v[68:69], v[6:7]
                                        ; implicit-def: $sgpr44_sgpr45
                                        ; implicit-def: $sgpr48_sgpr49
                                        ; implicit-def: $sgpr50_sgpr51
                                        ; implicit-def: $sgpr52_sgpr53
                                        ; implicit-def: $sgpr54_sgpr55
	s_branch .LBB1247_930
.LBB1247_929:                           ;   in Loop: Header=BB1247_930 Depth=1
	s_or_b64 exec, exec, s[58:59]
	s_and_b64 s[12:13], exec, s[12:13]
	s_or_b64 s[46:47], s[12:13], s[46:47]
	s_andn2_b64 s[12:13], s[48:49], exec
	s_and_b64 s[48:49], s[50:51], exec
	s_or_b64 s[48:49], s[12:13], s[48:49]
	s_andn2_b64 s[12:13], s[44:45], exec
	s_and_b64 s[44:45], s[52:53], exec
	s_or_b64 s[44:45], s[12:13], s[44:45]
	s_andn2_b64 exec, exec, s[46:47]
	s_cbranch_execz .LBB1247_934
.LBB1247_930:                           ; =>This Inner Loop Header: Depth=1
	flat_load_ushort v31, v[66:67]
	flat_load_ushort v70, v[64:65]
	s_or_b64 s[52:53], s[52:53], exec
	s_mov_b64 s[56:57], 0
	s_waitcnt vmcnt(0) lgkmcnt(0)
	v_cmp_nlt_f16_e64 s[12:13], v31, v70
	s_and_saveexec_b64 s[58:59], s[12:13]
; %bb.931:                              ;   in Loop: Header=BB1247_930 Depth=1
	v_cmp_ngt_f16_e64 s[12:13], v31, v70
	s_and_b64 s[54:55], s[12:13], s[54:55]
	s_andn2_b64 s[52:53], s[52:53], exec
	s_and_b64 s[54:55], s[54:55], exec
	s_or_b64 s[52:53], s[52:53], s[54:55]
	s_and_b64 s[56:57], s[12:13], exec
; %bb.932:                              ;   in Loop: Header=BB1247_930 Depth=1
	s_or_b64 exec, exec, s[58:59]
	s_mov_b64 s[12:13], -1
	s_or_b64 s[50:51], s[50:51], exec
                                        ; implicit-def: $sgpr54_sgpr55
	s_and_saveexec_b64 s[58:59], s[56:57]
	s_cbranch_execz .LBB1247_929
; %bb.933:                              ;   in Loop: Header=BB1247_930 Depth=1
	v_lshl_add_u64 v[68:69], v[68:69], 0, -1
	v_cmp_eq_u64_e64 s[12:13], 0, v[68:69]
	v_lshl_add_u64 v[64:65], v[64:65], 0, 2
	v_lshl_add_u64 v[66:67], v[66:67], 0, 2
	s_and_b64 s[54:55], s[52:53], exec
	s_andn2_b64 s[50:51], s[50:51], exec
	s_orn2_b64 s[12:13], s[12:13], exec
	s_branch .LBB1247_929
.LBB1247_934:
	s_or_b64 exec, exec, s[46:47]
	s_and_saveexec_b64 s[12:13], s[48:49]
	s_xor_b64 s[12:13], exec, s[12:13]
; %bb.935:
	v_cndmask_b32_e64 v65, v27, v21, s[44:45]
	v_cndmask_b32_e64 v64, v26, v20, s[44:45]
	v_cndmask_b32_e64 v21, v21, v27, s[44:45]
	v_cndmask_b32_e64 v20, v20, v26, s[44:45]
	v_mov_b64_e32 v[26:27], v[64:65]
; %bb.936:
	s_or_b64 exec, exec, s[12:13]
	s_or_b64 exec, exec, s[42:43]
	s_and_saveexec_b64 s[42:43], s[38:39]
	s_cbranch_execz .LBB1247_868
.LBB1247_937:
	v_mul_lo_u32 v31, v23, v6
	v_mul_lo_u32 v66, v22, v7
	v_mad_u64_u32 v[64:65], s[12:13], v22, v6, 0
	v_add3_u32 v65, v65, v66, v31
	v_mul_lo_u32 v31, v17, v6
	v_mul_lo_u32 v68, v16, v7
	v_mad_u64_u32 v[66:67], s[12:13], v16, v6, 0
	v_add3_u32 v67, v67, v68, v31
	v_lshl_add_u64 v[64:65], v[64:65], 1, v[8:9]
	v_lshl_add_u64 v[66:67], v[66:67], 1, v[8:9]
	s_mov_b64 s[46:47], 0
	v_mov_b64_e32 v[68:69], v[6:7]
                                        ; implicit-def: $sgpr44_sgpr45
                                        ; implicit-def: $sgpr48_sgpr49
                                        ; implicit-def: $sgpr50_sgpr51
                                        ; implicit-def: $sgpr52_sgpr53
                                        ; implicit-def: $sgpr54_sgpr55
	s_branch .LBB1247_939
.LBB1247_938:                           ;   in Loop: Header=BB1247_939 Depth=1
	s_or_b64 exec, exec, s[58:59]
	s_and_b64 s[12:13], exec, s[12:13]
	s_or_b64 s[46:47], s[12:13], s[46:47]
	s_andn2_b64 s[12:13], s[48:49], exec
	s_and_b64 s[48:49], s[50:51], exec
	s_or_b64 s[48:49], s[12:13], s[48:49]
	s_andn2_b64 s[12:13], s[44:45], exec
	s_and_b64 s[44:45], s[52:53], exec
	s_or_b64 s[44:45], s[12:13], s[44:45]
	s_andn2_b64 exec, exec, s[46:47]
	s_cbranch_execz .LBB1247_943
.LBB1247_939:                           ; =>This Inner Loop Header: Depth=1
	flat_load_ushort v31, v[66:67]
	flat_load_ushort v70, v[64:65]
	s_or_b64 s[52:53], s[52:53], exec
	s_mov_b64 s[56:57], 0
	s_waitcnt vmcnt(0) lgkmcnt(0)
	v_cmp_nlt_f16_e64 s[12:13], v31, v70
	s_and_saveexec_b64 s[58:59], s[12:13]
; %bb.940:                              ;   in Loop: Header=BB1247_939 Depth=1
	v_cmp_ngt_f16_e64 s[12:13], v31, v70
	s_and_b64 s[54:55], s[12:13], s[54:55]
	s_andn2_b64 s[52:53], s[52:53], exec
	s_and_b64 s[54:55], s[54:55], exec
	s_or_b64 s[52:53], s[52:53], s[54:55]
	s_and_b64 s[56:57], s[12:13], exec
; %bb.941:                              ;   in Loop: Header=BB1247_939 Depth=1
	s_or_b64 exec, exec, s[58:59]
	s_mov_b64 s[12:13], -1
	s_or_b64 s[50:51], s[50:51], exec
                                        ; implicit-def: $sgpr54_sgpr55
	s_and_saveexec_b64 s[58:59], s[56:57]
	s_cbranch_execz .LBB1247_938
; %bb.942:                              ;   in Loop: Header=BB1247_939 Depth=1
	v_lshl_add_u64 v[68:69], v[68:69], 0, -1
	v_cmp_eq_u64_e64 s[12:13], 0, v[68:69]
	v_lshl_add_u64 v[64:65], v[64:65], 0, 2
	v_lshl_add_u64 v[66:67], v[66:67], 0, 2
	s_and_b64 s[54:55], s[52:53], exec
	s_andn2_b64 s[50:51], s[50:51], exec
	s_orn2_b64 s[12:13], s[12:13], exec
	s_branch .LBB1247_938
.LBB1247_943:
	s_or_b64 exec, exec, s[46:47]
	s_and_saveexec_b64 s[12:13], s[48:49]
	s_xor_b64 s[12:13], exec, s[12:13]
; %bb.944:
	v_cndmask_b32_e64 v65, v23, v17, s[44:45]
	v_cndmask_b32_e64 v64, v22, v16, s[44:45]
	;; [unrolled: 1-line block ×4, first 2 shown]
	v_mov_b64_e32 v[22:23], v[64:65]
; %bb.945:
	s_or_b64 exec, exec, s[12:13]
	s_or_b64 exec, exec, s[42:43]
	s_and_saveexec_b64 s[42:43], s[40:41]
	s_cbranch_execz .LBB1247_869
.LBB1247_946:
	v_mul_lo_u32 v31, v19, v6
	v_mul_lo_u32 v66, v18, v7
	v_mad_u64_u32 v[64:65], s[12:13], v18, v6, 0
	v_add3_u32 v65, v65, v66, v31
	v_mul_lo_u32 v31, v13, v6
	v_mul_lo_u32 v68, v12, v7
	v_mad_u64_u32 v[66:67], s[12:13], v12, v6, 0
	v_add3_u32 v67, v67, v68, v31
	v_lshl_add_u64 v[64:65], v[64:65], 1, v[8:9]
	v_lshl_add_u64 v[66:67], v[66:67], 1, v[8:9]
	s_mov_b64 s[46:47], 0
	v_mov_b64_e32 v[68:69], v[6:7]
                                        ; implicit-def: $sgpr44_sgpr45
                                        ; implicit-def: $sgpr48_sgpr49
                                        ; implicit-def: $sgpr50_sgpr51
                                        ; implicit-def: $sgpr52_sgpr53
                                        ; implicit-def: $sgpr54_sgpr55
	s_branch .LBB1247_948
.LBB1247_947:                           ;   in Loop: Header=BB1247_948 Depth=1
	s_or_b64 exec, exec, s[58:59]
	s_and_b64 s[12:13], exec, s[12:13]
	s_or_b64 s[46:47], s[12:13], s[46:47]
	s_andn2_b64 s[12:13], s[48:49], exec
	s_and_b64 s[48:49], s[50:51], exec
	s_or_b64 s[48:49], s[12:13], s[48:49]
	s_andn2_b64 s[12:13], s[44:45], exec
	s_and_b64 s[44:45], s[52:53], exec
	s_or_b64 s[44:45], s[12:13], s[44:45]
	s_andn2_b64 exec, exec, s[46:47]
	s_cbranch_execz .LBB1247_952
.LBB1247_948:                           ; =>This Inner Loop Header: Depth=1
	flat_load_ushort v31, v[66:67]
	flat_load_ushort v70, v[64:65]
	s_or_b64 s[52:53], s[52:53], exec
	s_mov_b64 s[56:57], 0
	s_waitcnt vmcnt(0) lgkmcnt(0)
	v_cmp_nlt_f16_e64 s[12:13], v31, v70
	s_and_saveexec_b64 s[58:59], s[12:13]
; %bb.949:                              ;   in Loop: Header=BB1247_948 Depth=1
	v_cmp_ngt_f16_e64 s[12:13], v31, v70
	s_and_b64 s[54:55], s[12:13], s[54:55]
	s_andn2_b64 s[52:53], s[52:53], exec
	s_and_b64 s[54:55], s[54:55], exec
	s_or_b64 s[52:53], s[52:53], s[54:55]
	s_and_b64 s[56:57], s[12:13], exec
; %bb.950:                              ;   in Loop: Header=BB1247_948 Depth=1
	s_or_b64 exec, exec, s[58:59]
	s_mov_b64 s[12:13], -1
	s_or_b64 s[50:51], s[50:51], exec
                                        ; implicit-def: $sgpr54_sgpr55
	s_and_saveexec_b64 s[58:59], s[56:57]
	s_cbranch_execz .LBB1247_947
; %bb.951:                              ;   in Loop: Header=BB1247_948 Depth=1
	v_lshl_add_u64 v[68:69], v[68:69], 0, -1
	v_cmp_eq_u64_e64 s[12:13], 0, v[68:69]
	v_lshl_add_u64 v[64:65], v[64:65], 0, 2
	v_lshl_add_u64 v[66:67], v[66:67], 0, 2
	s_and_b64 s[54:55], s[52:53], exec
	s_andn2_b64 s[50:51], s[50:51], exec
	s_orn2_b64 s[12:13], s[12:13], exec
	s_branch .LBB1247_947
.LBB1247_952:
	s_or_b64 exec, exec, s[46:47]
	s_and_saveexec_b64 s[12:13], s[48:49]
	s_xor_b64 s[12:13], exec, s[12:13]
; %bb.953:
	v_cndmask_b32_e64 v65, v19, v13, s[44:45]
	v_cndmask_b32_e64 v64, v18, v12, s[44:45]
	;; [unrolled: 1-line block ×4, first 2 shown]
	v_mov_b64_e32 v[18:19], v[64:65]
; %bb.954:
	s_or_b64 exec, exec, s[12:13]
	s_or_b64 exec, exec, s[42:43]
	s_and_saveexec_b64 s[42:43], s[18:19]
	s_cbranch_execz .LBB1247_870
.LBB1247_955:
	v_mul_lo_u32 v31, v25, v6
	v_mul_lo_u32 v66, v24, v7
	v_mad_u64_u32 v[64:65], s[12:13], v24, v6, 0
	v_add3_u32 v65, v65, v66, v31
	v_mul_lo_u32 v31, v27, v6
	v_mul_lo_u32 v68, v26, v7
	v_mad_u64_u32 v[66:67], s[12:13], v26, v6, 0
	v_add3_u32 v67, v67, v68, v31
	v_lshl_add_u64 v[64:65], v[64:65], 1, v[8:9]
	v_lshl_add_u64 v[66:67], v[66:67], 1, v[8:9]
	s_mov_b64 s[46:47], 0
	v_mov_b64_e32 v[68:69], v[6:7]
                                        ; implicit-def: $sgpr44_sgpr45
                                        ; implicit-def: $sgpr48_sgpr49
                                        ; implicit-def: $sgpr50_sgpr51
                                        ; implicit-def: $sgpr52_sgpr53
                                        ; implicit-def: $sgpr54_sgpr55
	s_branch .LBB1247_957
.LBB1247_956:                           ;   in Loop: Header=BB1247_957 Depth=1
	s_or_b64 exec, exec, s[58:59]
	s_and_b64 s[12:13], exec, s[12:13]
	s_or_b64 s[46:47], s[12:13], s[46:47]
	s_andn2_b64 s[12:13], s[48:49], exec
	s_and_b64 s[48:49], s[50:51], exec
	s_or_b64 s[48:49], s[12:13], s[48:49]
	s_andn2_b64 s[12:13], s[44:45], exec
	s_and_b64 s[44:45], s[52:53], exec
	s_or_b64 s[44:45], s[12:13], s[44:45]
	s_andn2_b64 exec, exec, s[46:47]
	s_cbranch_execz .LBB1247_961
.LBB1247_957:                           ; =>This Inner Loop Header: Depth=1
	flat_load_ushort v31, v[66:67]
	flat_load_ushort v70, v[64:65]
	s_or_b64 s[52:53], s[52:53], exec
	s_mov_b64 s[56:57], 0
	s_waitcnt vmcnt(0) lgkmcnt(0)
	v_cmp_nlt_f16_e64 s[12:13], v31, v70
	s_and_saveexec_b64 s[58:59], s[12:13]
; %bb.958:                              ;   in Loop: Header=BB1247_957 Depth=1
	v_cmp_ngt_f16_e64 s[12:13], v31, v70
	s_and_b64 s[54:55], s[12:13], s[54:55]
	s_andn2_b64 s[52:53], s[52:53], exec
	s_and_b64 s[54:55], s[54:55], exec
	s_or_b64 s[52:53], s[52:53], s[54:55]
	s_and_b64 s[56:57], s[12:13], exec
; %bb.959:                              ;   in Loop: Header=BB1247_957 Depth=1
	s_or_b64 exec, exec, s[58:59]
	s_mov_b64 s[12:13], -1
	s_or_b64 s[50:51], s[50:51], exec
                                        ; implicit-def: $sgpr54_sgpr55
	s_and_saveexec_b64 s[58:59], s[56:57]
	s_cbranch_execz .LBB1247_956
; %bb.960:                              ;   in Loop: Header=BB1247_957 Depth=1
	v_lshl_add_u64 v[68:69], v[68:69], 0, -1
	v_cmp_eq_u64_e64 s[12:13], 0, v[68:69]
	v_lshl_add_u64 v[64:65], v[64:65], 0, 2
	v_lshl_add_u64 v[66:67], v[66:67], 0, 2
	s_and_b64 s[54:55], s[52:53], exec
	s_andn2_b64 s[50:51], s[50:51], exec
	s_orn2_b64 s[12:13], s[12:13], exec
	s_branch .LBB1247_956
.LBB1247_961:
	s_or_b64 exec, exec, s[46:47]
	s_and_saveexec_b64 s[12:13], s[48:49]
	s_xor_b64 s[12:13], exec, s[12:13]
; %bb.962:
	v_cndmask_b32_e64 v65, v27, v25, s[44:45]
	v_cndmask_b32_e64 v64, v26, v24, s[44:45]
	;; [unrolled: 1-line block ×4, first 2 shown]
	v_mov_b64_e32 v[26:27], v[64:65]
; %bb.963:
	s_or_b64 exec, exec, s[12:13]
	s_or_b64 exec, exec, s[42:43]
	s_and_saveexec_b64 s[42:43], s[28:29]
	s_cbranch_execz .LBB1247_871
.LBB1247_964:
	v_mul_lo_u32 v31, v21, v6
	v_mul_lo_u32 v66, v20, v7
	v_mad_u64_u32 v[64:65], s[12:13], v20, v6, 0
	v_add3_u32 v65, v65, v66, v31
	v_mul_lo_u32 v31, v23, v6
	v_mul_lo_u32 v68, v22, v7
	v_mad_u64_u32 v[66:67], s[12:13], v22, v6, 0
	v_add3_u32 v67, v67, v68, v31
	v_lshl_add_u64 v[64:65], v[64:65], 1, v[8:9]
	v_lshl_add_u64 v[66:67], v[66:67], 1, v[8:9]
	s_mov_b64 s[46:47], 0
	v_mov_b64_e32 v[68:69], v[6:7]
                                        ; implicit-def: $sgpr44_sgpr45
                                        ; implicit-def: $sgpr48_sgpr49
                                        ; implicit-def: $sgpr50_sgpr51
                                        ; implicit-def: $sgpr52_sgpr53
                                        ; implicit-def: $sgpr54_sgpr55
	s_branch .LBB1247_966
.LBB1247_965:                           ;   in Loop: Header=BB1247_966 Depth=1
	s_or_b64 exec, exec, s[58:59]
	s_and_b64 s[12:13], exec, s[12:13]
	s_or_b64 s[46:47], s[12:13], s[46:47]
	s_andn2_b64 s[12:13], s[48:49], exec
	s_and_b64 s[48:49], s[50:51], exec
	s_or_b64 s[48:49], s[12:13], s[48:49]
	s_andn2_b64 s[12:13], s[44:45], exec
	s_and_b64 s[44:45], s[52:53], exec
	s_or_b64 s[44:45], s[12:13], s[44:45]
	s_andn2_b64 exec, exec, s[46:47]
	s_cbranch_execz .LBB1247_970
.LBB1247_966:                           ; =>This Inner Loop Header: Depth=1
	flat_load_ushort v31, v[66:67]
	flat_load_ushort v70, v[64:65]
	s_or_b64 s[52:53], s[52:53], exec
	s_mov_b64 s[56:57], 0
	s_waitcnt vmcnt(0) lgkmcnt(0)
	v_cmp_nlt_f16_e64 s[12:13], v31, v70
	s_and_saveexec_b64 s[58:59], s[12:13]
; %bb.967:                              ;   in Loop: Header=BB1247_966 Depth=1
	v_cmp_ngt_f16_e64 s[12:13], v31, v70
	s_and_b64 s[54:55], s[12:13], s[54:55]
	s_andn2_b64 s[52:53], s[52:53], exec
	s_and_b64 s[54:55], s[54:55], exec
	s_or_b64 s[52:53], s[52:53], s[54:55]
	s_and_b64 s[56:57], s[12:13], exec
; %bb.968:                              ;   in Loop: Header=BB1247_966 Depth=1
	s_or_b64 exec, exec, s[58:59]
	s_mov_b64 s[12:13], -1
	s_or_b64 s[50:51], s[50:51], exec
                                        ; implicit-def: $sgpr54_sgpr55
	s_and_saveexec_b64 s[58:59], s[56:57]
	s_cbranch_execz .LBB1247_965
; %bb.969:                              ;   in Loop: Header=BB1247_966 Depth=1
	v_lshl_add_u64 v[68:69], v[68:69], 0, -1
	v_cmp_eq_u64_e64 s[12:13], 0, v[68:69]
	v_lshl_add_u64 v[64:65], v[64:65], 0, 2
	v_lshl_add_u64 v[66:67], v[66:67], 0, 2
	s_and_b64 s[54:55], s[52:53], exec
	s_andn2_b64 s[50:51], s[50:51], exec
	s_orn2_b64 s[12:13], s[12:13], exec
	s_branch .LBB1247_965
.LBB1247_970:
	s_or_b64 exec, exec, s[46:47]
	s_and_saveexec_b64 s[12:13], s[48:49]
	s_xor_b64 s[12:13], exec, s[12:13]
; %bb.971:
	v_cndmask_b32_e64 v65, v21, v23, s[44:45]
	v_cndmask_b32_e64 v64, v20, v22, s[44:45]
	;; [unrolled: 1-line block ×4, first 2 shown]
	v_mov_b64_e32 v[20:21], v[64:65]
; %bb.972:
	s_or_b64 exec, exec, s[12:13]
	s_or_b64 exec, exec, s[42:43]
	s_and_saveexec_b64 s[42:43], s[30:31]
	s_cbranch_execz .LBB1247_872
.LBB1247_973:
	v_mul_lo_u32 v31, v17, v6
	v_mul_lo_u32 v66, v16, v7
	v_mad_u64_u32 v[64:65], s[12:13], v16, v6, 0
	v_add3_u32 v65, v65, v66, v31
	v_mul_lo_u32 v31, v19, v6
	v_mul_lo_u32 v68, v18, v7
	v_mad_u64_u32 v[66:67], s[12:13], v18, v6, 0
	v_add3_u32 v67, v67, v68, v31
	v_lshl_add_u64 v[64:65], v[64:65], 1, v[8:9]
	v_lshl_add_u64 v[66:67], v[66:67], 1, v[8:9]
	s_mov_b64 s[46:47], 0
	v_mov_b64_e32 v[68:69], v[6:7]
                                        ; implicit-def: $sgpr44_sgpr45
                                        ; implicit-def: $sgpr48_sgpr49
                                        ; implicit-def: $sgpr50_sgpr51
                                        ; implicit-def: $sgpr52_sgpr53
                                        ; implicit-def: $sgpr54_sgpr55
	s_branch .LBB1247_975
.LBB1247_974:                           ;   in Loop: Header=BB1247_975 Depth=1
	s_or_b64 exec, exec, s[58:59]
	s_and_b64 s[12:13], exec, s[12:13]
	s_or_b64 s[46:47], s[12:13], s[46:47]
	s_andn2_b64 s[12:13], s[48:49], exec
	s_and_b64 s[48:49], s[50:51], exec
	s_or_b64 s[48:49], s[12:13], s[48:49]
	s_andn2_b64 s[12:13], s[44:45], exec
	s_and_b64 s[44:45], s[52:53], exec
	s_or_b64 s[44:45], s[12:13], s[44:45]
	s_andn2_b64 exec, exec, s[46:47]
	s_cbranch_execz .LBB1247_979
.LBB1247_975:                           ; =>This Inner Loop Header: Depth=1
	flat_load_ushort v31, v[66:67]
	flat_load_ushort v70, v[64:65]
	s_or_b64 s[52:53], s[52:53], exec
	s_mov_b64 s[56:57], 0
	s_waitcnt vmcnt(0) lgkmcnt(0)
	v_cmp_nlt_f16_e64 s[12:13], v31, v70
	s_and_saveexec_b64 s[58:59], s[12:13]
; %bb.976:                              ;   in Loop: Header=BB1247_975 Depth=1
	v_cmp_ngt_f16_e64 s[12:13], v31, v70
	s_and_b64 s[54:55], s[12:13], s[54:55]
	s_andn2_b64 s[52:53], s[52:53], exec
	s_and_b64 s[54:55], s[54:55], exec
	s_or_b64 s[52:53], s[52:53], s[54:55]
	s_and_b64 s[56:57], s[12:13], exec
; %bb.977:                              ;   in Loop: Header=BB1247_975 Depth=1
	s_or_b64 exec, exec, s[58:59]
	s_mov_b64 s[12:13], -1
	s_or_b64 s[50:51], s[50:51], exec
                                        ; implicit-def: $sgpr54_sgpr55
	s_and_saveexec_b64 s[58:59], s[56:57]
	s_cbranch_execz .LBB1247_974
; %bb.978:                              ;   in Loop: Header=BB1247_975 Depth=1
	v_lshl_add_u64 v[68:69], v[68:69], 0, -1
	v_cmp_eq_u64_e64 s[12:13], 0, v[68:69]
	v_lshl_add_u64 v[64:65], v[64:65], 0, 2
	v_lshl_add_u64 v[66:67], v[66:67], 0, 2
	s_and_b64 s[54:55], s[52:53], exec
	s_andn2_b64 s[50:51], s[50:51], exec
	s_orn2_b64 s[12:13], s[12:13], exec
	s_branch .LBB1247_974
.LBB1247_979:
	s_or_b64 exec, exec, s[46:47]
	s_and_saveexec_b64 s[12:13], s[48:49]
	s_xor_b64 s[12:13], exec, s[12:13]
; %bb.980:
	v_cndmask_b32_e64 v65, v17, v19, s[44:45]
	v_cndmask_b32_e64 v64, v16, v18, s[44:45]
	;; [unrolled: 1-line block ×4, first 2 shown]
	v_mov_b64_e32 v[16:17], v[64:65]
; %bb.981:
	s_or_b64 exec, exec, s[12:13]
	s_or_b64 exec, exec, s[42:43]
	s_and_saveexec_b64 s[42:43], s[34:35]
	s_cbranch_execz .LBB1247_873
.LBB1247_982:
	v_mul_lo_u32 v31, v13, v6
	v_mul_lo_u32 v66, v12, v7
	v_mad_u64_u32 v[64:65], s[12:13], v12, v6, 0
	v_add3_u32 v65, v65, v66, v31
	v_mul_lo_u32 v31, v15, v6
	v_mul_lo_u32 v68, v14, v7
	v_mad_u64_u32 v[66:67], s[12:13], v14, v6, 0
	v_add3_u32 v67, v67, v68, v31
	v_lshl_add_u64 v[64:65], v[64:65], 1, v[8:9]
	v_lshl_add_u64 v[66:67], v[66:67], 1, v[8:9]
	s_mov_b64 s[46:47], 0
	v_mov_b64_e32 v[68:69], v[6:7]
                                        ; implicit-def: $sgpr44_sgpr45
                                        ; implicit-def: $sgpr48_sgpr49
                                        ; implicit-def: $sgpr50_sgpr51
                                        ; implicit-def: $sgpr52_sgpr53
                                        ; implicit-def: $sgpr54_sgpr55
	s_branch .LBB1247_984
.LBB1247_983:                           ;   in Loop: Header=BB1247_984 Depth=1
	s_or_b64 exec, exec, s[58:59]
	s_and_b64 s[12:13], exec, s[12:13]
	s_or_b64 s[46:47], s[12:13], s[46:47]
	s_andn2_b64 s[12:13], s[48:49], exec
	s_and_b64 s[48:49], s[50:51], exec
	s_or_b64 s[48:49], s[12:13], s[48:49]
	s_andn2_b64 s[12:13], s[44:45], exec
	s_and_b64 s[44:45], s[52:53], exec
	s_or_b64 s[44:45], s[12:13], s[44:45]
	s_andn2_b64 exec, exec, s[46:47]
	s_cbranch_execz .LBB1247_988
.LBB1247_984:                           ; =>This Inner Loop Header: Depth=1
	flat_load_ushort v31, v[66:67]
	flat_load_ushort v70, v[64:65]
	s_or_b64 s[52:53], s[52:53], exec
	s_mov_b64 s[56:57], 0
	s_waitcnt vmcnt(0) lgkmcnt(0)
	v_cmp_nlt_f16_e64 s[12:13], v31, v70
	s_and_saveexec_b64 s[58:59], s[12:13]
; %bb.985:                              ;   in Loop: Header=BB1247_984 Depth=1
	v_cmp_ngt_f16_e64 s[12:13], v31, v70
	s_and_b64 s[54:55], s[12:13], s[54:55]
	s_andn2_b64 s[52:53], s[52:53], exec
	s_and_b64 s[54:55], s[54:55], exec
	s_or_b64 s[52:53], s[52:53], s[54:55]
	s_and_b64 s[56:57], s[12:13], exec
; %bb.986:                              ;   in Loop: Header=BB1247_984 Depth=1
	s_or_b64 exec, exec, s[58:59]
	s_mov_b64 s[12:13], -1
	s_or_b64 s[50:51], s[50:51], exec
                                        ; implicit-def: $sgpr54_sgpr55
	s_and_saveexec_b64 s[58:59], s[56:57]
	s_cbranch_execz .LBB1247_983
; %bb.987:                              ;   in Loop: Header=BB1247_984 Depth=1
	v_lshl_add_u64 v[68:69], v[68:69], 0, -1
	v_cmp_eq_u64_e64 s[12:13], 0, v[68:69]
	v_lshl_add_u64 v[64:65], v[64:65], 0, 2
	v_lshl_add_u64 v[66:67], v[66:67], 0, 2
	s_and_b64 s[54:55], s[52:53], exec
	s_andn2_b64 s[50:51], s[50:51], exec
	s_orn2_b64 s[12:13], s[12:13], exec
	s_branch .LBB1247_983
.LBB1247_988:
	s_or_b64 exec, exec, s[46:47]
	s_and_saveexec_b64 s[12:13], s[48:49]
	s_xor_b64 s[12:13], exec, s[12:13]
; %bb.989:
	v_cndmask_b32_e64 v65, v13, v15, s[44:45]
	v_cndmask_b32_e64 v64, v12, v14, s[44:45]
	;; [unrolled: 1-line block ×4, first 2 shown]
	v_mov_b64_e32 v[12:13], v[64:65]
; %bb.990:
	s_or_b64 exec, exec, s[12:13]
	s_or_b64 exec, exec, s[42:43]
	s_and_saveexec_b64 s[42:43], s[36:37]
	s_cbranch_execz .LBB1247_874
.LBB1247_991:
	v_mul_lo_u32 v31, v27, v6
	v_mul_lo_u32 v66, v26, v7
	v_mad_u64_u32 v[64:65], s[12:13], v26, v6, 0
	v_add3_u32 v65, v65, v66, v31
	v_mul_lo_u32 v31, v21, v6
	v_mul_lo_u32 v68, v20, v7
	v_mad_u64_u32 v[66:67], s[12:13], v20, v6, 0
	v_add3_u32 v67, v67, v68, v31
	v_lshl_add_u64 v[64:65], v[64:65], 1, v[8:9]
	v_lshl_add_u64 v[66:67], v[66:67], 1, v[8:9]
	s_mov_b64 s[46:47], 0
	v_mov_b64_e32 v[68:69], v[6:7]
                                        ; implicit-def: $sgpr44_sgpr45
                                        ; implicit-def: $sgpr48_sgpr49
                                        ; implicit-def: $sgpr50_sgpr51
                                        ; implicit-def: $sgpr52_sgpr53
                                        ; implicit-def: $sgpr54_sgpr55
	s_branch .LBB1247_993
.LBB1247_992:                           ;   in Loop: Header=BB1247_993 Depth=1
	s_or_b64 exec, exec, s[58:59]
	s_and_b64 s[12:13], exec, s[12:13]
	s_or_b64 s[46:47], s[12:13], s[46:47]
	s_andn2_b64 s[12:13], s[48:49], exec
	s_and_b64 s[48:49], s[50:51], exec
	s_or_b64 s[48:49], s[12:13], s[48:49]
	s_andn2_b64 s[12:13], s[44:45], exec
	s_and_b64 s[44:45], s[52:53], exec
	s_or_b64 s[44:45], s[12:13], s[44:45]
	s_andn2_b64 exec, exec, s[46:47]
	s_cbranch_execz .LBB1247_997
.LBB1247_993:                           ; =>This Inner Loop Header: Depth=1
	flat_load_ushort v31, v[66:67]
	flat_load_ushort v70, v[64:65]
	s_or_b64 s[52:53], s[52:53], exec
	s_mov_b64 s[56:57], 0
	s_waitcnt vmcnt(0) lgkmcnt(0)
	v_cmp_nlt_f16_e64 s[12:13], v31, v70
	s_and_saveexec_b64 s[58:59], s[12:13]
; %bb.994:                              ;   in Loop: Header=BB1247_993 Depth=1
	v_cmp_ngt_f16_e64 s[12:13], v31, v70
	s_and_b64 s[54:55], s[12:13], s[54:55]
	s_andn2_b64 s[52:53], s[52:53], exec
	s_and_b64 s[54:55], s[54:55], exec
	s_or_b64 s[52:53], s[52:53], s[54:55]
	s_and_b64 s[56:57], s[12:13], exec
; %bb.995:                              ;   in Loop: Header=BB1247_993 Depth=1
	s_or_b64 exec, exec, s[58:59]
	s_mov_b64 s[12:13], -1
	s_or_b64 s[50:51], s[50:51], exec
                                        ; implicit-def: $sgpr54_sgpr55
	s_and_saveexec_b64 s[58:59], s[56:57]
	s_cbranch_execz .LBB1247_992
; %bb.996:                              ;   in Loop: Header=BB1247_993 Depth=1
	v_lshl_add_u64 v[68:69], v[68:69], 0, -1
	v_cmp_eq_u64_e64 s[12:13], 0, v[68:69]
	v_lshl_add_u64 v[64:65], v[64:65], 0, 2
	v_lshl_add_u64 v[66:67], v[66:67], 0, 2
	s_and_b64 s[54:55], s[52:53], exec
	s_andn2_b64 s[50:51], s[50:51], exec
	s_orn2_b64 s[12:13], s[12:13], exec
	s_branch .LBB1247_992
.LBB1247_997:
	s_or_b64 exec, exec, s[46:47]
	s_and_saveexec_b64 s[12:13], s[48:49]
	s_xor_b64 s[12:13], exec, s[12:13]
; %bb.998:
	v_cndmask_b32_e64 v65, v27, v21, s[44:45]
	v_cndmask_b32_e64 v64, v26, v20, s[44:45]
	;; [unrolled: 1-line block ×4, first 2 shown]
	v_mov_b64_e32 v[26:27], v[64:65]
; %bb.999:
	s_or_b64 exec, exec, s[12:13]
	s_or_b64 exec, exec, s[42:43]
	s_and_saveexec_b64 s[42:43], s[38:39]
	s_cbranch_execz .LBB1247_875
.LBB1247_1000:
	v_mul_lo_u32 v31, v23, v6
	v_mul_lo_u32 v66, v22, v7
	v_mad_u64_u32 v[64:65], s[12:13], v22, v6, 0
	v_add3_u32 v65, v65, v66, v31
	v_mul_lo_u32 v31, v17, v6
	v_mul_lo_u32 v68, v16, v7
	v_mad_u64_u32 v[66:67], s[12:13], v16, v6, 0
	v_add3_u32 v67, v67, v68, v31
	v_lshl_add_u64 v[64:65], v[64:65], 1, v[8:9]
	v_lshl_add_u64 v[66:67], v[66:67], 1, v[8:9]
	s_mov_b64 s[46:47], 0
	v_mov_b64_e32 v[68:69], v[6:7]
                                        ; implicit-def: $sgpr44_sgpr45
                                        ; implicit-def: $sgpr48_sgpr49
                                        ; implicit-def: $sgpr50_sgpr51
                                        ; implicit-def: $sgpr52_sgpr53
                                        ; implicit-def: $sgpr54_sgpr55
	s_branch .LBB1247_1002
.LBB1247_1001:                          ;   in Loop: Header=BB1247_1002 Depth=1
	s_or_b64 exec, exec, s[58:59]
	s_and_b64 s[12:13], exec, s[12:13]
	s_or_b64 s[46:47], s[12:13], s[46:47]
	s_andn2_b64 s[12:13], s[48:49], exec
	s_and_b64 s[48:49], s[50:51], exec
	s_or_b64 s[48:49], s[12:13], s[48:49]
	s_andn2_b64 s[12:13], s[44:45], exec
	s_and_b64 s[44:45], s[52:53], exec
	s_or_b64 s[44:45], s[12:13], s[44:45]
	s_andn2_b64 exec, exec, s[46:47]
	s_cbranch_execz .LBB1247_1006
.LBB1247_1002:                          ; =>This Inner Loop Header: Depth=1
	flat_load_ushort v31, v[66:67]
	flat_load_ushort v70, v[64:65]
	s_or_b64 s[52:53], s[52:53], exec
	s_mov_b64 s[56:57], 0
	s_waitcnt vmcnt(0) lgkmcnt(0)
	v_cmp_nlt_f16_e64 s[12:13], v31, v70
	s_and_saveexec_b64 s[58:59], s[12:13]
; %bb.1003:                             ;   in Loop: Header=BB1247_1002 Depth=1
	v_cmp_ngt_f16_e64 s[12:13], v31, v70
	s_and_b64 s[54:55], s[12:13], s[54:55]
	s_andn2_b64 s[52:53], s[52:53], exec
	s_and_b64 s[54:55], s[54:55], exec
	s_or_b64 s[52:53], s[52:53], s[54:55]
	s_and_b64 s[56:57], s[12:13], exec
; %bb.1004:                             ;   in Loop: Header=BB1247_1002 Depth=1
	s_or_b64 exec, exec, s[58:59]
	s_mov_b64 s[12:13], -1
	s_or_b64 s[50:51], s[50:51], exec
                                        ; implicit-def: $sgpr54_sgpr55
	s_and_saveexec_b64 s[58:59], s[56:57]
	s_cbranch_execz .LBB1247_1001
; %bb.1005:                             ;   in Loop: Header=BB1247_1002 Depth=1
	v_lshl_add_u64 v[68:69], v[68:69], 0, -1
	v_cmp_eq_u64_e64 s[12:13], 0, v[68:69]
	v_lshl_add_u64 v[64:65], v[64:65], 0, 2
	v_lshl_add_u64 v[66:67], v[66:67], 0, 2
	s_and_b64 s[54:55], s[52:53], exec
	s_andn2_b64 s[50:51], s[50:51], exec
	s_orn2_b64 s[12:13], s[12:13], exec
	s_branch .LBB1247_1001
.LBB1247_1006:
	s_or_b64 exec, exec, s[46:47]
	s_and_saveexec_b64 s[12:13], s[48:49]
	s_xor_b64 s[12:13], exec, s[12:13]
; %bb.1007:
	v_cndmask_b32_e64 v65, v23, v17, s[44:45]
	v_cndmask_b32_e64 v64, v22, v16, s[44:45]
	;; [unrolled: 1-line block ×4, first 2 shown]
	v_mov_b64_e32 v[22:23], v[64:65]
; %bb.1008:
	s_or_b64 exec, exec, s[12:13]
	s_or_b64 exec, exec, s[42:43]
	s_and_saveexec_b64 s[42:43], s[40:41]
	s_cbranch_execz .LBB1247_876
.LBB1247_1009:
	v_mul_lo_u32 v31, v19, v6
	v_mul_lo_u32 v66, v18, v7
	v_mad_u64_u32 v[64:65], s[12:13], v18, v6, 0
	v_add3_u32 v65, v65, v66, v31
	v_mul_lo_u32 v31, v13, v6
	v_mul_lo_u32 v68, v12, v7
	v_mad_u64_u32 v[66:67], s[12:13], v12, v6, 0
	v_add3_u32 v67, v67, v68, v31
	v_lshl_add_u64 v[64:65], v[64:65], 1, v[8:9]
	v_lshl_add_u64 v[66:67], v[66:67], 1, v[8:9]
	s_mov_b64 s[46:47], 0
	v_mov_b64_e32 v[68:69], v[6:7]
                                        ; implicit-def: $sgpr44_sgpr45
                                        ; implicit-def: $sgpr48_sgpr49
                                        ; implicit-def: $sgpr50_sgpr51
                                        ; implicit-def: $sgpr52_sgpr53
                                        ; implicit-def: $sgpr54_sgpr55
	s_branch .LBB1247_1011
.LBB1247_1010:                          ;   in Loop: Header=BB1247_1011 Depth=1
	s_or_b64 exec, exec, s[58:59]
	s_and_b64 s[12:13], exec, s[12:13]
	s_or_b64 s[46:47], s[12:13], s[46:47]
	s_andn2_b64 s[12:13], s[48:49], exec
	s_and_b64 s[48:49], s[50:51], exec
	s_or_b64 s[48:49], s[12:13], s[48:49]
	s_andn2_b64 s[12:13], s[44:45], exec
	s_and_b64 s[44:45], s[52:53], exec
	s_or_b64 s[44:45], s[12:13], s[44:45]
	s_andn2_b64 exec, exec, s[46:47]
	s_cbranch_execz .LBB1247_1015
.LBB1247_1011:                          ; =>This Inner Loop Header: Depth=1
	flat_load_ushort v31, v[66:67]
	flat_load_ushort v70, v[64:65]
	s_or_b64 s[52:53], s[52:53], exec
	s_mov_b64 s[56:57], 0
	s_waitcnt vmcnt(0) lgkmcnt(0)
	v_cmp_nlt_f16_e64 s[12:13], v31, v70
	s_and_saveexec_b64 s[58:59], s[12:13]
; %bb.1012:                             ;   in Loop: Header=BB1247_1011 Depth=1
	v_cmp_ngt_f16_e64 s[12:13], v31, v70
	s_and_b64 s[54:55], s[12:13], s[54:55]
	s_andn2_b64 s[52:53], s[52:53], exec
	s_and_b64 s[54:55], s[54:55], exec
	s_or_b64 s[52:53], s[52:53], s[54:55]
	s_and_b64 s[56:57], s[12:13], exec
; %bb.1013:                             ;   in Loop: Header=BB1247_1011 Depth=1
	s_or_b64 exec, exec, s[58:59]
	s_mov_b64 s[12:13], -1
	s_or_b64 s[50:51], s[50:51], exec
                                        ; implicit-def: $sgpr54_sgpr55
	s_and_saveexec_b64 s[58:59], s[56:57]
	s_cbranch_execz .LBB1247_1010
; %bb.1014:                             ;   in Loop: Header=BB1247_1011 Depth=1
	v_lshl_add_u64 v[68:69], v[68:69], 0, -1
	v_cmp_eq_u64_e64 s[12:13], 0, v[68:69]
	v_lshl_add_u64 v[64:65], v[64:65], 0, 2
	v_lshl_add_u64 v[66:67], v[66:67], 0, 2
	s_and_b64 s[54:55], s[52:53], exec
	s_andn2_b64 s[50:51], s[50:51], exec
	s_orn2_b64 s[12:13], s[12:13], exec
	s_branch .LBB1247_1010
.LBB1247_1015:
	s_or_b64 exec, exec, s[46:47]
	s_and_saveexec_b64 s[12:13], s[48:49]
	s_xor_b64 s[12:13], exec, s[12:13]
; %bb.1016:
	v_cndmask_b32_e64 v65, v19, v13, s[44:45]
	v_cndmask_b32_e64 v64, v18, v12, s[44:45]
	;; [unrolled: 1-line block ×4, first 2 shown]
	v_mov_b64_e32 v[18:19], v[64:65]
; %bb.1017:
	s_or_b64 exec, exec, s[12:13]
	s_or_b64 exec, exec, s[42:43]
	s_and_saveexec_b64 s[42:43], s[18:19]
	s_cbranch_execz .LBB1247_877
.LBB1247_1018:
	v_mul_lo_u32 v31, v25, v6
	v_mul_lo_u32 v66, v24, v7
	v_mad_u64_u32 v[64:65], s[12:13], v24, v6, 0
	v_add3_u32 v65, v65, v66, v31
	v_mul_lo_u32 v31, v27, v6
	v_mul_lo_u32 v68, v26, v7
	v_mad_u64_u32 v[66:67], s[12:13], v26, v6, 0
	v_add3_u32 v67, v67, v68, v31
	v_lshl_add_u64 v[64:65], v[64:65], 1, v[8:9]
	v_lshl_add_u64 v[66:67], v[66:67], 1, v[8:9]
	s_mov_b64 s[44:45], 0
	v_mov_b64_e32 v[68:69], v[6:7]
                                        ; implicit-def: $sgpr18_sgpr19
                                        ; implicit-def: $sgpr46_sgpr47
                                        ; implicit-def: $sgpr48_sgpr49
                                        ; implicit-def: $sgpr50_sgpr51
                                        ; implicit-def: $sgpr52_sgpr53
	s_branch .LBB1247_1020
.LBB1247_1019:                          ;   in Loop: Header=BB1247_1020 Depth=1
	s_or_b64 exec, exec, s[56:57]
	s_and_b64 s[12:13], exec, s[12:13]
	s_or_b64 s[44:45], s[12:13], s[44:45]
	s_andn2_b64 s[12:13], s[46:47], exec
	s_and_b64 s[46:47], s[48:49], exec
	s_or_b64 s[46:47], s[12:13], s[46:47]
	s_andn2_b64 s[12:13], s[18:19], exec
	s_and_b64 s[18:19], s[50:51], exec
	s_or_b64 s[18:19], s[12:13], s[18:19]
	s_andn2_b64 exec, exec, s[44:45]
	s_cbranch_execz .LBB1247_1024
.LBB1247_1020:                          ; =>This Inner Loop Header: Depth=1
	flat_load_ushort v31, v[66:67]
	flat_load_ushort v70, v[64:65]
	s_or_b64 s[50:51], s[50:51], exec
	s_mov_b64 s[54:55], 0
	s_waitcnt vmcnt(0) lgkmcnt(0)
	v_cmp_nlt_f16_e64 s[12:13], v31, v70
	s_and_saveexec_b64 s[56:57], s[12:13]
; %bb.1021:                             ;   in Loop: Header=BB1247_1020 Depth=1
	v_cmp_ngt_f16_e64 s[12:13], v31, v70
	s_and_b64 s[52:53], s[12:13], s[52:53]
	s_andn2_b64 s[50:51], s[50:51], exec
	s_and_b64 s[52:53], s[52:53], exec
	s_or_b64 s[50:51], s[50:51], s[52:53]
	s_and_b64 s[54:55], s[12:13], exec
; %bb.1022:                             ;   in Loop: Header=BB1247_1020 Depth=1
	s_or_b64 exec, exec, s[56:57]
	s_mov_b64 s[12:13], -1
	s_or_b64 s[48:49], s[48:49], exec
                                        ; implicit-def: $sgpr52_sgpr53
	s_and_saveexec_b64 s[56:57], s[54:55]
	s_cbranch_execz .LBB1247_1019
; %bb.1023:                             ;   in Loop: Header=BB1247_1020 Depth=1
	v_lshl_add_u64 v[68:69], v[68:69], 0, -1
	v_cmp_eq_u64_e64 s[12:13], 0, v[68:69]
	v_lshl_add_u64 v[64:65], v[64:65], 0, 2
	v_lshl_add_u64 v[66:67], v[66:67], 0, 2
	s_and_b64 s[52:53], s[50:51], exec
	s_andn2_b64 s[48:49], s[48:49], exec
	s_orn2_b64 s[12:13], s[12:13], exec
	s_branch .LBB1247_1019
.LBB1247_1024:
	s_or_b64 exec, exec, s[44:45]
	s_and_saveexec_b64 s[12:13], s[46:47]
	s_xor_b64 s[12:13], exec, s[12:13]
; %bb.1025:
	v_cndmask_b32_e64 v65, v27, v25, s[18:19]
	v_cndmask_b32_e64 v64, v26, v24, s[18:19]
	;; [unrolled: 1-line block ×4, first 2 shown]
	v_mov_b64_e32 v[26:27], v[64:65]
; %bb.1026:
	s_or_b64 exec, exec, s[12:13]
	s_or_b64 exec, exec, s[42:43]
	s_and_saveexec_b64 s[18:19], s[28:29]
	s_cbranch_execz .LBB1247_878
.LBB1247_1027:
	v_mul_lo_u32 v31, v21, v6
	v_mul_lo_u32 v66, v20, v7
	v_mad_u64_u32 v[64:65], s[12:13], v20, v6, 0
	v_add3_u32 v65, v65, v66, v31
	v_mul_lo_u32 v31, v23, v6
	v_mul_lo_u32 v68, v22, v7
	v_mad_u64_u32 v[66:67], s[12:13], v22, v6, 0
	v_add3_u32 v67, v67, v68, v31
	v_lshl_add_u64 v[64:65], v[64:65], 1, v[8:9]
	v_lshl_add_u64 v[66:67], v[66:67], 1, v[8:9]
	s_mov_b64 s[42:43], 0
	v_mov_b64_e32 v[68:69], v[6:7]
                                        ; implicit-def: $sgpr28_sgpr29
                                        ; implicit-def: $sgpr44_sgpr45
                                        ; implicit-def: $sgpr46_sgpr47
                                        ; implicit-def: $sgpr48_sgpr49
                                        ; implicit-def: $sgpr50_sgpr51
	s_branch .LBB1247_1029
.LBB1247_1028:                          ;   in Loop: Header=BB1247_1029 Depth=1
	s_or_b64 exec, exec, s[54:55]
	s_and_b64 s[12:13], exec, s[12:13]
	s_or_b64 s[42:43], s[12:13], s[42:43]
	s_andn2_b64 s[12:13], s[44:45], exec
	s_and_b64 s[44:45], s[46:47], exec
	s_or_b64 s[44:45], s[12:13], s[44:45]
	s_andn2_b64 s[12:13], s[28:29], exec
	s_and_b64 s[28:29], s[48:49], exec
	s_or_b64 s[28:29], s[12:13], s[28:29]
	s_andn2_b64 exec, exec, s[42:43]
	s_cbranch_execz .LBB1247_1033
.LBB1247_1029:                          ; =>This Inner Loop Header: Depth=1
	flat_load_ushort v31, v[66:67]
	flat_load_ushort v70, v[64:65]
	s_or_b64 s[48:49], s[48:49], exec
	s_mov_b64 s[52:53], 0
	s_waitcnt vmcnt(0) lgkmcnt(0)
	v_cmp_nlt_f16_e64 s[12:13], v31, v70
	s_and_saveexec_b64 s[54:55], s[12:13]
; %bb.1030:                             ;   in Loop: Header=BB1247_1029 Depth=1
	v_cmp_ngt_f16_e64 s[12:13], v31, v70
	s_and_b64 s[50:51], s[12:13], s[50:51]
	s_andn2_b64 s[48:49], s[48:49], exec
	s_and_b64 s[50:51], s[50:51], exec
	s_or_b64 s[48:49], s[48:49], s[50:51]
	s_and_b64 s[52:53], s[12:13], exec
; %bb.1031:                             ;   in Loop: Header=BB1247_1029 Depth=1
	s_or_b64 exec, exec, s[54:55]
	s_mov_b64 s[12:13], -1
	s_or_b64 s[46:47], s[46:47], exec
                                        ; implicit-def: $sgpr50_sgpr51
	s_and_saveexec_b64 s[54:55], s[52:53]
	s_cbranch_execz .LBB1247_1028
; %bb.1032:                             ;   in Loop: Header=BB1247_1029 Depth=1
	v_lshl_add_u64 v[68:69], v[68:69], 0, -1
	v_cmp_eq_u64_e64 s[12:13], 0, v[68:69]
	v_lshl_add_u64 v[64:65], v[64:65], 0, 2
	v_lshl_add_u64 v[66:67], v[66:67], 0, 2
	s_and_b64 s[50:51], s[48:49], exec
	s_andn2_b64 s[46:47], s[46:47], exec
	s_orn2_b64 s[12:13], s[12:13], exec
	s_branch .LBB1247_1028
.LBB1247_1033:
	s_or_b64 exec, exec, s[42:43]
	s_and_saveexec_b64 s[12:13], s[44:45]
	s_xor_b64 s[12:13], exec, s[12:13]
; %bb.1034:
	v_cndmask_b32_e64 v65, v21, v23, s[28:29]
	v_cndmask_b32_e64 v64, v20, v22, s[28:29]
	;; [unrolled: 1-line block ×4, first 2 shown]
	v_mov_b64_e32 v[20:21], v[64:65]
; %bb.1035:
	s_or_b64 exec, exec, s[12:13]
	s_or_b64 exec, exec, s[18:19]
	s_and_saveexec_b64 s[18:19], s[30:31]
	s_cbranch_execz .LBB1247_879
.LBB1247_1036:
	v_mul_lo_u32 v31, v17, v6
	v_mul_lo_u32 v66, v16, v7
	v_mad_u64_u32 v[64:65], s[12:13], v16, v6, 0
	v_add3_u32 v65, v65, v66, v31
	v_mul_lo_u32 v31, v19, v6
	v_mul_lo_u32 v68, v18, v7
	v_mad_u64_u32 v[66:67], s[12:13], v18, v6, 0
	v_add3_u32 v67, v67, v68, v31
	v_lshl_add_u64 v[64:65], v[64:65], 1, v[8:9]
	v_lshl_add_u64 v[66:67], v[66:67], 1, v[8:9]
	s_mov_b64 s[30:31], 0
	v_mov_b64_e32 v[68:69], v[6:7]
                                        ; implicit-def: $sgpr28_sgpr29
                                        ; implicit-def: $sgpr42_sgpr43
                                        ; implicit-def: $sgpr44_sgpr45
                                        ; implicit-def: $sgpr46_sgpr47
                                        ; implicit-def: $sgpr48_sgpr49
	s_branch .LBB1247_1038
.LBB1247_1037:                          ;   in Loop: Header=BB1247_1038 Depth=1
	s_or_b64 exec, exec, s[52:53]
	s_and_b64 s[12:13], exec, s[12:13]
	s_or_b64 s[30:31], s[12:13], s[30:31]
	s_andn2_b64 s[12:13], s[42:43], exec
	s_and_b64 s[42:43], s[44:45], exec
	s_or_b64 s[42:43], s[12:13], s[42:43]
	s_andn2_b64 s[12:13], s[28:29], exec
	s_and_b64 s[28:29], s[46:47], exec
	s_or_b64 s[28:29], s[12:13], s[28:29]
	s_andn2_b64 exec, exec, s[30:31]
	s_cbranch_execz .LBB1247_1042
.LBB1247_1038:                          ; =>This Inner Loop Header: Depth=1
	flat_load_ushort v31, v[66:67]
	flat_load_ushort v70, v[64:65]
	s_or_b64 s[46:47], s[46:47], exec
	s_mov_b64 s[50:51], 0
	s_waitcnt vmcnt(0) lgkmcnt(0)
	v_cmp_nlt_f16_e64 s[12:13], v31, v70
	s_and_saveexec_b64 s[52:53], s[12:13]
; %bb.1039:                             ;   in Loop: Header=BB1247_1038 Depth=1
	v_cmp_ngt_f16_e64 s[12:13], v31, v70
	s_and_b64 s[48:49], s[12:13], s[48:49]
	s_andn2_b64 s[46:47], s[46:47], exec
	s_and_b64 s[48:49], s[48:49], exec
	s_or_b64 s[46:47], s[46:47], s[48:49]
	s_and_b64 s[50:51], s[12:13], exec
; %bb.1040:                             ;   in Loop: Header=BB1247_1038 Depth=1
	s_or_b64 exec, exec, s[52:53]
	s_mov_b64 s[12:13], -1
	s_or_b64 s[44:45], s[44:45], exec
                                        ; implicit-def: $sgpr48_sgpr49
	s_and_saveexec_b64 s[52:53], s[50:51]
	s_cbranch_execz .LBB1247_1037
; %bb.1041:                             ;   in Loop: Header=BB1247_1038 Depth=1
	v_lshl_add_u64 v[68:69], v[68:69], 0, -1
	v_cmp_eq_u64_e64 s[12:13], 0, v[68:69]
	v_lshl_add_u64 v[64:65], v[64:65], 0, 2
	v_lshl_add_u64 v[66:67], v[66:67], 0, 2
	s_and_b64 s[48:49], s[46:47], exec
	s_andn2_b64 s[44:45], s[44:45], exec
	s_orn2_b64 s[12:13], s[12:13], exec
	s_branch .LBB1247_1037
.LBB1247_1042:
	s_or_b64 exec, exec, s[30:31]
	s_and_saveexec_b64 s[12:13], s[42:43]
	s_xor_b64 s[12:13], exec, s[12:13]
; %bb.1043:
	v_cndmask_b32_e64 v65, v17, v19, s[28:29]
	v_cndmask_b32_e64 v64, v16, v18, s[28:29]
	;; [unrolled: 1-line block ×4, first 2 shown]
	v_mov_b64_e32 v[16:17], v[64:65]
; %bb.1044:
	s_or_b64 exec, exec, s[12:13]
	s_or_b64 exec, exec, s[18:19]
	s_and_saveexec_b64 s[18:19], s[34:35]
	s_cbranch_execz .LBB1247_880
.LBB1247_1045:
	v_mul_lo_u32 v31, v13, v6
	v_mul_lo_u32 v66, v12, v7
	v_mad_u64_u32 v[64:65], s[12:13], v12, v6, 0
	v_add3_u32 v65, v65, v66, v31
	v_mul_lo_u32 v31, v15, v6
	v_mul_lo_u32 v68, v14, v7
	v_mad_u64_u32 v[66:67], s[12:13], v14, v6, 0
	v_add3_u32 v67, v67, v68, v31
	v_lshl_add_u64 v[64:65], v[64:65], 1, v[8:9]
	v_lshl_add_u64 v[66:67], v[66:67], 1, v[8:9]
	s_mov_b64 s[30:31], 0
	v_mov_b64_e32 v[68:69], v[6:7]
                                        ; implicit-def: $sgpr28_sgpr29
                                        ; implicit-def: $sgpr34_sgpr35
                                        ; implicit-def: $sgpr42_sgpr43
                                        ; implicit-def: $sgpr44_sgpr45
                                        ; implicit-def: $sgpr46_sgpr47
	s_branch .LBB1247_1047
.LBB1247_1046:                          ;   in Loop: Header=BB1247_1047 Depth=1
	s_or_b64 exec, exec, s[50:51]
	s_and_b64 s[12:13], exec, s[12:13]
	s_or_b64 s[30:31], s[12:13], s[30:31]
	s_andn2_b64 s[12:13], s[34:35], exec
	s_and_b64 s[34:35], s[42:43], exec
	s_or_b64 s[34:35], s[12:13], s[34:35]
	s_andn2_b64 s[12:13], s[28:29], exec
	s_and_b64 s[28:29], s[44:45], exec
	s_or_b64 s[28:29], s[12:13], s[28:29]
	s_andn2_b64 exec, exec, s[30:31]
	s_cbranch_execz .LBB1247_1051
.LBB1247_1047:                          ; =>This Inner Loop Header: Depth=1
	flat_load_ushort v31, v[66:67]
	flat_load_ushort v70, v[64:65]
	s_or_b64 s[44:45], s[44:45], exec
	s_mov_b64 s[48:49], 0
	s_waitcnt vmcnt(0) lgkmcnt(0)
	v_cmp_nlt_f16_e64 s[12:13], v31, v70
	s_and_saveexec_b64 s[50:51], s[12:13]
; %bb.1048:                             ;   in Loop: Header=BB1247_1047 Depth=1
	v_cmp_ngt_f16_e64 s[12:13], v31, v70
	s_and_b64 s[46:47], s[12:13], s[46:47]
	s_andn2_b64 s[44:45], s[44:45], exec
	s_and_b64 s[46:47], s[46:47], exec
	s_or_b64 s[44:45], s[44:45], s[46:47]
	s_and_b64 s[48:49], s[12:13], exec
; %bb.1049:                             ;   in Loop: Header=BB1247_1047 Depth=1
	s_or_b64 exec, exec, s[50:51]
	s_mov_b64 s[12:13], -1
	s_or_b64 s[42:43], s[42:43], exec
                                        ; implicit-def: $sgpr46_sgpr47
	s_and_saveexec_b64 s[50:51], s[48:49]
	s_cbranch_execz .LBB1247_1046
; %bb.1050:                             ;   in Loop: Header=BB1247_1047 Depth=1
	v_lshl_add_u64 v[68:69], v[68:69], 0, -1
	v_cmp_eq_u64_e64 s[12:13], 0, v[68:69]
	v_lshl_add_u64 v[64:65], v[64:65], 0, 2
	v_lshl_add_u64 v[66:67], v[66:67], 0, 2
	s_and_b64 s[46:47], s[44:45], exec
	s_andn2_b64 s[42:43], s[42:43], exec
	s_orn2_b64 s[12:13], s[12:13], exec
	s_branch .LBB1247_1046
.LBB1247_1051:
	s_or_b64 exec, exec, s[30:31]
	s_and_saveexec_b64 s[12:13], s[34:35]
	s_xor_b64 s[12:13], exec, s[12:13]
; %bb.1052:
	v_cndmask_b32_e64 v65, v13, v15, s[28:29]
	v_cndmask_b32_e64 v64, v12, v14, s[28:29]
	;; [unrolled: 1-line block ×4, first 2 shown]
	v_mov_b64_e32 v[12:13], v[64:65]
; %bb.1053:
	s_or_b64 exec, exec, s[12:13]
	s_or_b64 exec, exec, s[18:19]
	s_and_saveexec_b64 s[18:19], s[36:37]
	s_cbranch_execz .LBB1247_881
.LBB1247_1054:
	v_mul_lo_u32 v31, v27, v6
	v_mul_lo_u32 v66, v26, v7
	v_mad_u64_u32 v[64:65], s[12:13], v26, v6, 0
	v_add3_u32 v65, v65, v66, v31
	v_mul_lo_u32 v31, v21, v6
	v_mul_lo_u32 v68, v20, v7
	v_mad_u64_u32 v[66:67], s[12:13], v20, v6, 0
	v_add3_u32 v67, v67, v68, v31
	v_lshl_add_u64 v[64:65], v[64:65], 1, v[8:9]
	v_lshl_add_u64 v[66:67], v[66:67], 1, v[8:9]
	s_mov_b64 s[30:31], 0
	v_mov_b64_e32 v[68:69], v[6:7]
                                        ; implicit-def: $sgpr28_sgpr29
                                        ; implicit-def: $sgpr34_sgpr35
                                        ; implicit-def: $sgpr36_sgpr37
                                        ; implicit-def: $sgpr42_sgpr43
                                        ; implicit-def: $sgpr44_sgpr45
	s_branch .LBB1247_1056
.LBB1247_1055:                          ;   in Loop: Header=BB1247_1056 Depth=1
	s_or_b64 exec, exec, s[48:49]
	s_and_b64 s[12:13], exec, s[12:13]
	s_or_b64 s[30:31], s[12:13], s[30:31]
	s_andn2_b64 s[12:13], s[34:35], exec
	s_and_b64 s[34:35], s[36:37], exec
	s_or_b64 s[34:35], s[12:13], s[34:35]
	s_andn2_b64 s[12:13], s[28:29], exec
	s_and_b64 s[28:29], s[42:43], exec
	s_or_b64 s[28:29], s[12:13], s[28:29]
	s_andn2_b64 exec, exec, s[30:31]
	s_cbranch_execz .LBB1247_1060
.LBB1247_1056:                          ; =>This Inner Loop Header: Depth=1
	flat_load_ushort v31, v[66:67]
	flat_load_ushort v70, v[64:65]
	s_or_b64 s[42:43], s[42:43], exec
	s_mov_b64 s[46:47], 0
	s_waitcnt vmcnt(0) lgkmcnt(0)
	v_cmp_nlt_f16_e64 s[12:13], v31, v70
	s_and_saveexec_b64 s[48:49], s[12:13]
; %bb.1057:                             ;   in Loop: Header=BB1247_1056 Depth=1
	v_cmp_ngt_f16_e64 s[12:13], v31, v70
	s_and_b64 s[44:45], s[12:13], s[44:45]
	s_andn2_b64 s[42:43], s[42:43], exec
	s_and_b64 s[44:45], s[44:45], exec
	s_or_b64 s[42:43], s[42:43], s[44:45]
	s_and_b64 s[46:47], s[12:13], exec
; %bb.1058:                             ;   in Loop: Header=BB1247_1056 Depth=1
	s_or_b64 exec, exec, s[48:49]
	s_mov_b64 s[12:13], -1
	s_or_b64 s[36:37], s[36:37], exec
                                        ; implicit-def: $sgpr44_sgpr45
	s_and_saveexec_b64 s[48:49], s[46:47]
	s_cbranch_execz .LBB1247_1055
; %bb.1059:                             ;   in Loop: Header=BB1247_1056 Depth=1
	v_lshl_add_u64 v[68:69], v[68:69], 0, -1
	v_cmp_eq_u64_e64 s[12:13], 0, v[68:69]
	v_lshl_add_u64 v[64:65], v[64:65], 0, 2
	v_lshl_add_u64 v[66:67], v[66:67], 0, 2
	s_and_b64 s[44:45], s[42:43], exec
	s_andn2_b64 s[36:37], s[36:37], exec
	s_orn2_b64 s[12:13], s[12:13], exec
	s_branch .LBB1247_1055
.LBB1247_1060:
	s_or_b64 exec, exec, s[30:31]
	s_and_saveexec_b64 s[12:13], s[34:35]
	s_xor_b64 s[12:13], exec, s[12:13]
; %bb.1061:
	v_cndmask_b32_e64 v65, v27, v21, s[28:29]
	v_cndmask_b32_e64 v64, v26, v20, s[28:29]
	;; [unrolled: 1-line block ×4, first 2 shown]
	v_mov_b64_e32 v[26:27], v[64:65]
; %bb.1062:
	s_or_b64 exec, exec, s[12:13]
	s_or_b64 exec, exec, s[18:19]
	s_and_saveexec_b64 s[18:19], s[38:39]
	s_cbranch_execz .LBB1247_882
.LBB1247_1063:
	v_mul_lo_u32 v31, v23, v6
	v_mul_lo_u32 v66, v22, v7
	v_mad_u64_u32 v[64:65], s[12:13], v22, v6, 0
	v_add3_u32 v65, v65, v66, v31
	v_mul_lo_u32 v31, v17, v6
	v_mul_lo_u32 v68, v16, v7
	v_mad_u64_u32 v[66:67], s[12:13], v16, v6, 0
	v_add3_u32 v67, v67, v68, v31
	v_lshl_add_u64 v[64:65], v[64:65], 1, v[8:9]
	v_lshl_add_u64 v[66:67], v[66:67], 1, v[8:9]
	s_mov_b64 s[30:31], 0
	v_mov_b64_e32 v[68:69], v[6:7]
                                        ; implicit-def: $sgpr28_sgpr29
                                        ; implicit-def: $sgpr34_sgpr35
                                        ; implicit-def: $sgpr36_sgpr37
                                        ; implicit-def: $sgpr38_sgpr39
                                        ; implicit-def: $sgpr42_sgpr43
	s_branch .LBB1247_1065
.LBB1247_1064:                          ;   in Loop: Header=BB1247_1065 Depth=1
	s_or_b64 exec, exec, s[46:47]
	s_and_b64 s[12:13], exec, s[12:13]
	s_or_b64 s[30:31], s[12:13], s[30:31]
	s_andn2_b64 s[12:13], s[34:35], exec
	s_and_b64 s[34:35], s[36:37], exec
	s_or_b64 s[34:35], s[12:13], s[34:35]
	s_andn2_b64 s[12:13], s[28:29], exec
	s_and_b64 s[28:29], s[38:39], exec
	s_or_b64 s[28:29], s[12:13], s[28:29]
	s_andn2_b64 exec, exec, s[30:31]
	s_cbranch_execz .LBB1247_1069
.LBB1247_1065:                          ; =>This Inner Loop Header: Depth=1
	flat_load_ushort v31, v[66:67]
	flat_load_ushort v70, v[64:65]
	s_or_b64 s[38:39], s[38:39], exec
	s_mov_b64 s[44:45], 0
	s_waitcnt vmcnt(0) lgkmcnt(0)
	v_cmp_nlt_f16_e64 s[12:13], v31, v70
	s_and_saveexec_b64 s[46:47], s[12:13]
; %bb.1066:                             ;   in Loop: Header=BB1247_1065 Depth=1
	v_cmp_ngt_f16_e64 s[12:13], v31, v70
	s_and_b64 s[42:43], s[12:13], s[42:43]
	s_andn2_b64 s[38:39], s[38:39], exec
	s_and_b64 s[42:43], s[42:43], exec
	s_or_b64 s[38:39], s[38:39], s[42:43]
	s_and_b64 s[44:45], s[12:13], exec
; %bb.1067:                             ;   in Loop: Header=BB1247_1065 Depth=1
	s_or_b64 exec, exec, s[46:47]
	s_mov_b64 s[12:13], -1
	s_or_b64 s[36:37], s[36:37], exec
                                        ; implicit-def: $sgpr42_sgpr43
	s_and_saveexec_b64 s[46:47], s[44:45]
	s_cbranch_execz .LBB1247_1064
; %bb.1068:                             ;   in Loop: Header=BB1247_1065 Depth=1
	v_lshl_add_u64 v[68:69], v[68:69], 0, -1
	v_cmp_eq_u64_e64 s[12:13], 0, v[68:69]
	v_lshl_add_u64 v[64:65], v[64:65], 0, 2
	v_lshl_add_u64 v[66:67], v[66:67], 0, 2
	s_and_b64 s[42:43], s[38:39], exec
	s_andn2_b64 s[36:37], s[36:37], exec
	s_orn2_b64 s[12:13], s[12:13], exec
	s_branch .LBB1247_1064
.LBB1247_1069:
	s_or_b64 exec, exec, s[30:31]
	s_and_saveexec_b64 s[12:13], s[34:35]
	s_xor_b64 s[12:13], exec, s[12:13]
; %bb.1070:
	v_cndmask_b32_e64 v65, v23, v17, s[28:29]
	v_cndmask_b32_e64 v64, v22, v16, s[28:29]
	v_cndmask_b32_e64 v17, v17, v23, s[28:29]
	v_cndmask_b32_e64 v16, v16, v22, s[28:29]
	v_mov_b64_e32 v[22:23], v[64:65]
; %bb.1071:
	s_or_b64 exec, exec, s[12:13]
	s_or_b64 exec, exec, s[18:19]
	s_and_saveexec_b64 s[18:19], s[40:41]
	s_cbranch_execz .LBB1247_1081
.LBB1247_1072:
	v_mul_lo_u32 v31, v19, v6
	v_mul_lo_u32 v66, v18, v7
	v_mad_u64_u32 v[64:65], s[12:13], v18, v6, 0
	v_add3_u32 v65, v65, v66, v31
	v_mul_lo_u32 v31, v13, v6
	v_mul_lo_u32 v68, v12, v7
	v_mad_u64_u32 v[66:67], s[12:13], v12, v6, 0
	v_add3_u32 v67, v67, v68, v31
	v_lshl_add_u64 v[64:65], v[64:65], 1, v[8:9]
	v_lshl_add_u64 v[66:67], v[66:67], 1, v[8:9]
	s_mov_b64 s[30:31], 0
	v_mov_b64_e32 v[68:69], v[6:7]
                                        ; implicit-def: $sgpr28_sgpr29
                                        ; implicit-def: $sgpr34_sgpr35
                                        ; implicit-def: $sgpr36_sgpr37
                                        ; implicit-def: $sgpr38_sgpr39
                                        ; implicit-def: $sgpr40_sgpr41
	s_branch .LBB1247_1074
.LBB1247_1073:                          ;   in Loop: Header=BB1247_1074 Depth=1
	s_or_b64 exec, exec, s[44:45]
	s_and_b64 s[12:13], exec, s[12:13]
	s_or_b64 s[30:31], s[12:13], s[30:31]
	s_andn2_b64 s[12:13], s[34:35], exec
	s_and_b64 s[34:35], s[36:37], exec
	s_or_b64 s[34:35], s[12:13], s[34:35]
	s_andn2_b64 s[12:13], s[28:29], exec
	s_and_b64 s[28:29], s[38:39], exec
	s_or_b64 s[28:29], s[12:13], s[28:29]
	s_andn2_b64 exec, exec, s[30:31]
	s_cbranch_execz .LBB1247_1078
.LBB1247_1074:                          ; =>This Inner Loop Header: Depth=1
	flat_load_ushort v31, v[66:67]
	flat_load_ushort v70, v[64:65]
	s_or_b64 s[38:39], s[38:39], exec
	s_mov_b64 s[42:43], 0
	s_waitcnt vmcnt(0) lgkmcnt(0)
	v_cmp_nlt_f16_e64 s[12:13], v31, v70
	s_and_saveexec_b64 s[44:45], s[12:13]
; %bb.1075:                             ;   in Loop: Header=BB1247_1074 Depth=1
	v_cmp_ngt_f16_e64 s[12:13], v31, v70
	s_and_b64 s[40:41], s[12:13], s[40:41]
	s_andn2_b64 s[38:39], s[38:39], exec
	s_and_b64 s[40:41], s[40:41], exec
	s_or_b64 s[38:39], s[38:39], s[40:41]
	s_and_b64 s[42:43], s[12:13], exec
; %bb.1076:                             ;   in Loop: Header=BB1247_1074 Depth=1
	s_or_b64 exec, exec, s[44:45]
	s_mov_b64 s[12:13], -1
	s_or_b64 s[36:37], s[36:37], exec
                                        ; implicit-def: $sgpr40_sgpr41
	s_and_saveexec_b64 s[44:45], s[42:43]
	s_cbranch_execz .LBB1247_1073
; %bb.1077:                             ;   in Loop: Header=BB1247_1074 Depth=1
	v_lshl_add_u64 v[68:69], v[68:69], 0, -1
	v_cmp_eq_u64_e64 s[12:13], 0, v[68:69]
	v_lshl_add_u64 v[64:65], v[64:65], 0, 2
	v_lshl_add_u64 v[66:67], v[66:67], 0, 2
	s_and_b64 s[40:41], s[38:39], exec
	s_andn2_b64 s[36:37], s[36:37], exec
	s_orn2_b64 s[12:13], s[12:13], exec
	s_branch .LBB1247_1073
.LBB1247_1078:
	s_or_b64 exec, exec, s[30:31]
	s_and_saveexec_b64 s[12:13], s[34:35]
	s_xor_b64 s[12:13], exec, s[12:13]
; %bb.1079:
	v_cndmask_b32_e64 v65, v19, v13, s[28:29]
	v_cndmask_b32_e64 v64, v18, v12, s[28:29]
	;; [unrolled: 1-line block ×4, first 2 shown]
	v_mov_b64_e32 v[18:19], v[64:65]
; %bb.1080:
	s_or_b64 exec, exec, s[12:13]
.LBB1247_1081:
	s_or_b64 exec, exec, s[18:19]
	v_mbcnt_lo_u32_b32 v31, -1, 0
	v_mbcnt_hi_u32_b32 v64, -1, v31
	v_and_b32_e32 v70, 0xfffffe00, v1
	v_mov_b32_e32 v71, 0
	v_lshlrev_b32_e32 v31, 3, v64
	v_sub_u32_e64 v1, v0, v70 clamp
	v_lshl_add_u64 v[66:67], v[70:71], 3, v[10:11]
	v_lshlrev_b32_e32 v70, 6, v64
	v_or_b32_e32 v64, 8, v31
	v_min_u32_e32 v100, v1, v64
	v_add_u32_e32 v64, 8, v100
	v_and_b32_e32 v102, 0x3f0, v31
	v_min_u32_e32 v101, v1, v64
	v_and_b32_e32 v64, 8, v31
	v_min_u32_e32 v103, v1, v64
	v_sub_u32_e32 v64, v100, v102
	v_sub_u32_e32 v65, v101, v100
	v_sub_u32_e64 v112, v103, v65 clamp
	v_min_u32_e32 v113, v103, v64
	v_lshl_add_u64 v[68:69], v[66:67], 0, v[70:71]
	v_cmp_lt_u32_e64 s[12:13], v112, v113
	v_lshlrev_b64 v[64:65], 1, v[6:7]
	flat_store_dwordx4 v[68:69], v[24:27]
	flat_store_dwordx4 v[68:69], v[20:23] offset:16
	flat_store_dwordx4 v[68:69], v[16:19] offset:32
	;; [unrolled: 1-line block ×3, first 2 shown]
	; wave barrier
	s_and_saveexec_b64 s[18:19], s[12:13]
	s_cbranch_execz .LBB1247_1093
; %bb.1082:
	v_lshlrev_b32_e32 v70, 3, v102
	v_lshl_add_u64 v[80:81], v[66:67], 0, v[70:71]
	v_lshlrev_b32_e32 v70, 3, v100
	v_lshl_add_u64 v[82:83], v[66:67], 0, v[70:71]
	s_mov_b64 s[28:29], 0
	s_branch .LBB1247_1085
.LBB1247_1083:                          ;   in Loop: Header=BB1247_1085 Depth=1
	s_or_b64 exec, exec, s[34:35]
	s_and_b64 s[12:13], s[36:37], exec
.LBB1247_1084:                          ;   in Loop: Header=BB1247_1085 Depth=1
	s_or_b64 exec, exec, s[30:31]
	v_add_u32_e32 v70, 1, v84
	v_cndmask_b32_e64 v113, v113, v84, s[12:13]
	v_cndmask_b32_e64 v112, v70, v112, s[12:13]
	v_cmp_ge_u32_e64 s[12:13], v112, v113
	s_or_b64 s[28:29], s[12:13], s[28:29]
	s_andn2_b64 exec, exec, s[28:29]
	s_cbranch_execz .LBB1247_1092
.LBB1247_1085:                          ; =>This Loop Header: Depth=1
                                        ;     Child Loop BB1247_1088 Depth 2
	v_add_u32_e32 v70, v113, v112
	v_lshrrev_b32_e32 v84, 1, v70
	s_mov_b64 s[12:13], 0
	s_and_saveexec_b64 s[30:31], s[16:17]
	s_cbranch_execz .LBB1247_1084
; %bb.1086:                             ;   in Loop: Header=BB1247_1085 Depth=1
	v_mov_b32_e32 v85, v71
	v_xad_u32 v70, v84, -1, v103
	v_lshl_add_u64 v[86:87], v[84:85], 3, v[80:81]
	v_lshl_add_u64 v[96:97], v[70:71], 3, v[82:83]
	flat_load_dwordx2 v[86:87], v[86:87]
	s_mov_b64 s[34:35], 0
	flat_load_dwordx2 v[96:97], v[96:97]
                                        ; implicit-def: $sgpr36_sgpr37
                                        ; implicit-def: $sgpr38_sgpr39
                                        ; implicit-def: $sgpr40_sgpr41
	s_waitcnt vmcnt(0) lgkmcnt(0)
	v_mul_lo_u32 v70, v64, v87
	v_mul_lo_u32 v85, v65, v86
	v_mad_u64_u32 v[86:87], s[12:13], v64, v86, v[8:9]
	v_mul_lo_u32 v98, v64, v97
	v_mul_lo_u32 v99, v65, v96
	v_mad_u64_u32 v[96:97], s[12:13], v64, v96, v[8:9]
	v_add3_u32 v87, v85, v87, v70
	v_add3_u32 v97, v99, v97, v98
	v_mov_b64_e32 v[98:99], v[6:7]
	s_branch .LBB1247_1088
.LBB1247_1087:                          ;   in Loop: Header=BB1247_1088 Depth=2
	s_or_b64 exec, exec, s[48:49]
	s_and_b64 s[12:13], exec, s[42:43]
	s_or_b64 s[34:35], s[12:13], s[34:35]
	s_andn2_b64 s[12:13], s[36:37], exec
	s_and_b64 s[36:37], s[38:39], exec
	s_or_b64 s[36:37], s[12:13], s[36:37]
	s_andn2_b64 exec, exec, s[34:35]
	s_cbranch_execz .LBB1247_1083
.LBB1247_1088:                          ;   Parent Loop BB1247_1085 Depth=1
                                        ; =>  This Inner Loop Header: Depth=2
	flat_load_ushort v70, v[96:97]
	flat_load_ushort v85, v[86:87]
	s_mov_b64 s[42:43], -1
	s_mov_b64 s[46:47], 0
	s_mov_b64 s[44:45], -1
	s_waitcnt vmcnt(0) lgkmcnt(0)
	v_cmp_nlt_f16_e64 s[12:13], v70, v85
	s_and_saveexec_b64 s[48:49], s[12:13]
; %bb.1089:                             ;   in Loop: Header=BB1247_1088 Depth=2
	v_cmp_ngt_f16_e64 s[12:13], v70, v85
	s_and_b64 s[40:41], s[12:13], s[40:41]
	s_orn2_b64 s[44:45], s[40:41], exec
	s_and_b64 s[46:47], s[12:13], exec
; %bb.1090:                             ;   in Loop: Header=BB1247_1088 Depth=2
	s_or_b64 exec, exec, s[48:49]
	s_andn2_b64 s[12:13], s[38:39], exec
	s_and_b64 s[38:39], s[44:45], exec
	s_or_b64 s[38:39], s[12:13], s[38:39]
                                        ; implicit-def: $sgpr40_sgpr41
	s_and_saveexec_b64 s[48:49], s[46:47]
	s_cbranch_execz .LBB1247_1087
; %bb.1091:                             ;   in Loop: Header=BB1247_1088 Depth=2
	v_lshl_add_u64 v[98:99], v[98:99], 0, -1
	v_cmp_eq_u64_e64 s[12:13], 0, v[98:99]
	v_lshl_add_u64 v[86:87], v[86:87], 0, 2
	v_lshl_add_u64 v[96:97], v[96:97], 0, 2
	s_andn2_b64 s[38:39], s[38:39], exec
	s_and_b64 s[40:41], s[44:45], exec
	s_orn2_b64 s[42:43], s[12:13], exec
	s_branch .LBB1247_1087
.LBB1247_1092:
	s_or_b64 exec, exec, s[28:29]
.LBB1247_1093:
	s_or_b64 exec, exec, s[18:19]
	v_add_u32_e32 v71, v100, v103
	v_add_u32_e32 v70, v112, v102
	v_sub_u32_e32 v80, v71, v112
	v_cmp_le_u32_e64 s[12:13], v70, v100
	v_cmp_le_u32_e64 s[18:19], v80, v101
	s_or_b64 s[12:13], s[12:13], s[18:19]
	s_and_saveexec_b64 s[28:29], s[12:13]
	s_cbranch_execz .LBB1247_1181
; %bb.1094:
	v_cmp_ge_u32_e64 s[18:19], v70, v100
	v_cmp_lt_u32_e64 s[12:13], v70, v100
                                        ; implicit-def: $vgpr12_vgpr13
	s_and_saveexec_b64 s[30:31], s[12:13]
	s_cbranch_execz .LBB1247_1096
; %bb.1095:
	v_mov_b32_e32 v71, 0
	v_lshl_add_u64 v[12:13], v[70:71], 3, v[66:67]
	flat_load_dwordx2 v[12:13], v[12:13]
.LBB1247_1096:
	s_or_b64 exec, exec, s[30:31]
	v_cmp_ge_u32_e64 s[30:31], v80, v101
	v_cmp_lt_u32_e64 s[12:13], v80, v101
                                        ; implicit-def: $vgpr14_vgpr15
	s_and_saveexec_b64 s[34:35], s[12:13]
	s_cbranch_execz .LBB1247_1098
; %bb.1097:
	v_mov_b32_e32 v81, 0
	v_lshl_add_u64 v[14:15], v[80:81], 3, v[66:67]
	flat_load_dwordx2 v[14:15], v[14:15]
.LBB1247_1098:
	s_or_b64 exec, exec, s[34:35]
	s_or_b64 s[12:13], s[18:19], s[30:31]
	s_xor_b64 s[12:13], s[12:13], -1
	s_and_saveexec_b64 s[18:19], s[12:13]
	s_cbranch_execz .LBB1247_1108
; %bb.1099:
	s_mov_b64 s[12:13], 0
	s_and_saveexec_b64 s[34:35], s[16:17]
	s_cbranch_execz .LBB1247_1107
; %bb.1100:
	s_waitcnt vmcnt(0) lgkmcnt(0)
	v_mul_lo_u32 v18, v13, v6
	v_mul_lo_u32 v19, v12, v7
	v_mad_u64_u32 v[16:17], s[12:13], v12, v6, 0
	v_add3_u32 v17, v17, v19, v18
	v_mul_lo_u32 v20, v15, v6
	v_mul_lo_u32 v21, v14, v7
	v_mad_u64_u32 v[18:19], s[12:13], v14, v6, 0
	v_add3_u32 v19, v19, v21, v20
	v_lshl_add_u64 v[16:17], v[16:17], 1, v[8:9]
	v_lshl_add_u64 v[18:19], v[18:19], 1, v[8:9]
	s_mov_b64 s[36:37], 0
	v_mov_b64_e32 v[20:21], v[6:7]
                                        ; implicit-def: $sgpr38_sgpr39
                                        ; implicit-def: $sgpr40_sgpr41
                                        ; implicit-def: $sgpr42_sgpr43
	s_branch .LBB1247_1102
.LBB1247_1101:                          ;   in Loop: Header=BB1247_1102 Depth=1
	s_or_b64 exec, exec, s[48:49]
	s_and_b64 s[12:13], exec, s[12:13]
	s_or_b64 s[36:37], s[12:13], s[36:37]
	s_andn2_b64 s[12:13], s[38:39], exec
	s_and_b64 s[38:39], s[40:41], exec
	s_or_b64 s[38:39], s[12:13], s[38:39]
	s_andn2_b64 exec, exec, s[36:37]
	s_cbranch_execz .LBB1247_1106
.LBB1247_1102:                          ; =>This Inner Loop Header: Depth=1
	flat_load_ushort v22, v[18:19]
	flat_load_ushort v23, v[16:17]
	s_mov_b64 s[46:47], 0
	s_mov_b64 s[44:45], -1
	s_waitcnt vmcnt(0) lgkmcnt(0)
	v_cmp_nlt_f16_e64 s[12:13], v22, v23
	s_and_saveexec_b64 s[48:49], s[12:13]
; %bb.1103:                             ;   in Loop: Header=BB1247_1102 Depth=1
	v_cmp_ngt_f16_e64 s[12:13], v22, v23
	s_and_b64 s[42:43], s[12:13], s[42:43]
	s_orn2_b64 s[44:45], s[42:43], exec
	s_and_b64 s[46:47], s[12:13], exec
; %bb.1104:                             ;   in Loop: Header=BB1247_1102 Depth=1
	s_or_b64 exec, exec, s[48:49]
	s_andn2_b64 s[40:41], s[40:41], exec
	s_and_b64 s[42:43], s[44:45], exec
	s_mov_b64 s[12:13], -1
	s_or_b64 s[40:41], s[40:41], s[42:43]
                                        ; implicit-def: $sgpr42_sgpr43
	s_and_saveexec_b64 s[48:49], s[46:47]
	s_cbranch_execz .LBB1247_1101
; %bb.1105:                             ;   in Loop: Header=BB1247_1102 Depth=1
	v_lshl_add_u64 v[20:21], v[20:21], 0, -1
	v_cmp_eq_u64_e64 s[12:13], 0, v[20:21]
	v_lshl_add_u64 v[16:17], v[16:17], 0, 2
	v_lshl_add_u64 v[18:19], v[18:19], 0, 2
	s_andn2_b64 s[40:41], s[40:41], exec
	s_and_b64 s[42:43], s[44:45], exec
	s_orn2_b64 s[12:13], s[12:13], exec
	s_branch .LBB1247_1101
.LBB1247_1106:
	s_or_b64 exec, exec, s[36:37]
	s_and_b64 s[12:13], s[38:39], exec
.LBB1247_1107:
	s_or_b64 exec, exec, s[34:35]
	s_xor_b64 s[12:13], s[12:13], -1
	s_andn2_b64 s[30:31], s[30:31], exec
	s_and_b64 s[12:13], s[12:13], exec
	s_or_b64 s[30:31], s[30:31], s[12:13]
.LBB1247_1108:
	s_or_b64 exec, exec, s[18:19]
	v_cndmask_b32_e64 v16, v80, v70, s[30:31]
	v_cndmask_b32_e64 v17, v101, v100, s[30:31]
	v_add_u32_e32 v20, 1, v16
	v_add_u32_e32 v16, -1, v17
	v_min_u32_e32 v16, v20, v16
	v_mov_b32_e32 v17, 0
	v_lshl_add_u64 v[18:19], v[16:17], 3, v[66:67]
	flat_load_dwordx2 v[18:19], v[18:19]
	v_cndmask_b32_e64 v27, v20, v80, s[30:31]
	s_mov_b64 s[18:19], -1
	v_cndmask_b32_e64 v70, v70, v20, s[30:31]
	v_cmp_lt_u32_e64 s[12:13], v27, v101
	s_mov_b64 s[34:35], -1
	s_waitcnt vmcnt(0) lgkmcnt(0)
	v_cndmask_b32_e64 v24, v19, v15, s[30:31]
	v_cndmask_b32_e64 v25, v18, v14, s[30:31]
	;; [unrolled: 1-line block ×4, first 2 shown]
	s_and_saveexec_b64 s[36:37], s[12:13]
	s_cbranch_execz .LBB1247_1120
; %bb.1109:
	v_cmp_lt_u32_e64 s[12:13], v70, v100
	s_mov_b64 s[38:39], 0
	s_and_saveexec_b64 s[34:35], s[12:13]
	s_cbranch_execz .LBB1247_1119
; %bb.1110:
	s_mov_b64 s[12:13], 0
	s_and_saveexec_b64 s[38:39], s[16:17]
	s_cbranch_execz .LBB1247_1118
; %bb.1111:
	v_mul_lo_u32 v16, v26, v6
	v_mul_lo_u32 v20, v80, v7
	v_mad_u64_u32 v[18:19], s[12:13], v80, v6, 0
	v_add3_u32 v19, v19, v20, v16
	v_mul_lo_u32 v16, v24, v6
	v_mul_lo_u32 v22, v25, v7
	v_mad_u64_u32 v[20:21], s[12:13], v25, v6, 0
	v_add3_u32 v21, v21, v22, v16
	v_lshl_add_u64 v[18:19], v[18:19], 1, v[8:9]
	v_lshl_add_u64 v[20:21], v[20:21], 1, v[8:9]
	s_mov_b64 s[40:41], 0
	v_mov_b64_e32 v[22:23], v[6:7]
                                        ; implicit-def: $sgpr42_sgpr43
                                        ; implicit-def: $sgpr44_sgpr45
                                        ; implicit-def: $sgpr46_sgpr47
	s_branch .LBB1247_1113
.LBB1247_1112:                          ;   in Loop: Header=BB1247_1113 Depth=1
	s_or_b64 exec, exec, s[52:53]
	s_and_b64 s[12:13], exec, s[12:13]
	s_or_b64 s[40:41], s[12:13], s[40:41]
	s_andn2_b64 s[12:13], s[42:43], exec
	s_and_b64 s[42:43], s[44:45], exec
	s_or_b64 s[42:43], s[12:13], s[42:43]
	s_andn2_b64 exec, exec, s[40:41]
	s_cbranch_execz .LBB1247_1117
.LBB1247_1113:                          ; =>This Inner Loop Header: Depth=1
	flat_load_ushort v16, v[20:21]
	flat_load_ushort v71, v[18:19]
	s_mov_b64 s[50:51], 0
	s_mov_b64 s[48:49], -1
	s_waitcnt vmcnt(0) lgkmcnt(0)
	v_cmp_nlt_f16_e64 s[12:13], v16, v71
	s_and_saveexec_b64 s[52:53], s[12:13]
; %bb.1114:                             ;   in Loop: Header=BB1247_1113 Depth=1
	v_cmp_ngt_f16_e64 s[12:13], v16, v71
	s_and_b64 s[46:47], s[12:13], s[46:47]
	s_orn2_b64 s[48:49], s[46:47], exec
	s_and_b64 s[50:51], s[12:13], exec
; %bb.1115:                             ;   in Loop: Header=BB1247_1113 Depth=1
	s_or_b64 exec, exec, s[52:53]
	s_andn2_b64 s[44:45], s[44:45], exec
	s_and_b64 s[46:47], s[48:49], exec
	s_mov_b64 s[12:13], -1
	s_or_b64 s[44:45], s[44:45], s[46:47]
                                        ; implicit-def: $sgpr46_sgpr47
	s_and_saveexec_b64 s[52:53], s[50:51]
	s_cbranch_execz .LBB1247_1112
; %bb.1116:                             ;   in Loop: Header=BB1247_1113 Depth=1
	v_lshl_add_u64 v[22:23], v[22:23], 0, -1
	v_cmp_eq_u64_e64 s[12:13], 0, v[22:23]
	v_lshl_add_u64 v[18:19], v[18:19], 0, 2
	v_lshl_add_u64 v[20:21], v[20:21], 0, 2
	s_andn2_b64 s[44:45], s[44:45], exec
	s_and_b64 s[46:47], s[48:49], exec
	s_orn2_b64 s[12:13], s[12:13], exec
	s_branch .LBB1247_1112
.LBB1247_1117:
	s_or_b64 exec, exec, s[40:41]
	s_and_b64 s[12:13], s[42:43], exec
.LBB1247_1118:
	s_or_b64 exec, exec, s[38:39]
	s_xor_b64 s[12:13], s[12:13], -1
	s_and_b64 s[38:39], s[12:13], exec
.LBB1247_1119:
	s_or_b64 exec, exec, s[34:35]
	s_orn2_b64 s[34:35], s[38:39], exec
.LBB1247_1120:
	s_or_b64 exec, exec, s[36:37]
	v_cndmask_b32_e64 v16, v27, v70, s[34:35]
	v_cndmask_b32_e64 v18, v101, v100, s[34:35]
	v_add_u32_e32 v19, 1, v16
	v_add_u32_e32 v16, -1, v18
	v_min_u32_e32 v16, v19, v16
	v_lshl_add_u64 v[16:17], v[16:17], 3, v[66:67]
	flat_load_dwordx2 v[16:17], v[16:17]
	v_cndmask_b32_e64 v22, v19, v27, s[34:35]
	v_cndmask_b32_e64 v23, v70, v19, s[34:35]
	v_cmp_lt_u32_e64 s[12:13], v22, v101
	s_waitcnt vmcnt(0) lgkmcnt(0)
	v_cndmask_b32_e64 v27, v17, v24, s[34:35]
	v_cndmask_b32_e64 v81, v16, v25, s[34:35]
	;; [unrolled: 1-line block ×4, first 2 shown]
	s_and_saveexec_b64 s[36:37], s[12:13]
	s_cbranch_execz .LBB1247_1130
; %bb.1121:
	v_cmp_lt_u32_e64 s[18:19], v23, v100
	s_and_b64 s[12:13], s[18:19], s[26:27]
	s_and_saveexec_b64 s[38:39], s[12:13]
	s_cbranch_execz .LBB1247_1129
; %bb.1122:
	v_mul_lo_u32 v18, v82, v6
	v_mul_lo_u32 v19, v83, v7
	v_mad_u64_u32 v[16:17], s[12:13], v83, v6, 0
	v_add3_u32 v17, v17, v19, v18
	v_mul_lo_u32 v20, v27, v6
	v_mul_lo_u32 v21, v81, v7
	v_mad_u64_u32 v[18:19], s[12:13], v81, v6, 0
	v_add3_u32 v19, v19, v21, v20
	v_lshl_add_u64 v[16:17], v[16:17], 1, v[8:9]
	v_lshl_add_u64 v[18:19], v[18:19], 1, v[8:9]
	s_mov_b64 s[40:41], 0
	v_mov_b64_e32 v[20:21], v[6:7]
                                        ; implicit-def: $sgpr42_sgpr43
                                        ; implicit-def: $sgpr44_sgpr45
                                        ; implicit-def: $sgpr46_sgpr47
	s_branch .LBB1247_1124
.LBB1247_1123:                          ;   in Loop: Header=BB1247_1124 Depth=1
	s_or_b64 exec, exec, s[54:55]
	s_and_b64 s[12:13], exec, s[48:49]
	s_or_b64 s[40:41], s[12:13], s[40:41]
	s_andn2_b64 s[12:13], s[42:43], exec
	s_and_b64 s[42:43], s[44:45], exec
	s_or_b64 s[42:43], s[12:13], s[42:43]
	s_andn2_b64 exec, exec, s[40:41]
	s_cbranch_execz .LBB1247_1128
.LBB1247_1124:                          ; =>This Inner Loop Header: Depth=1
	flat_load_ushort v70, v[18:19]
	flat_load_ushort v71, v[16:17]
	s_mov_b64 s[48:49], -1
	s_mov_b64 s[52:53], 0
	s_mov_b64 s[50:51], -1
	s_waitcnt vmcnt(0) lgkmcnt(0)
	v_cmp_nlt_f16_e64 s[12:13], v70, v71
	s_and_saveexec_b64 s[54:55], s[12:13]
; %bb.1125:                             ;   in Loop: Header=BB1247_1124 Depth=1
	v_cmp_ngt_f16_e64 s[12:13], v70, v71
	s_and_b64 s[46:47], s[12:13], s[46:47]
	s_orn2_b64 s[50:51], s[46:47], exec
	s_and_b64 s[52:53], s[12:13], exec
; %bb.1126:                             ;   in Loop: Header=BB1247_1124 Depth=1
	s_or_b64 exec, exec, s[54:55]
	s_andn2_b64 s[12:13], s[44:45], exec
	s_and_b64 s[44:45], s[50:51], exec
	s_or_b64 s[44:45], s[12:13], s[44:45]
                                        ; implicit-def: $sgpr46_sgpr47
	s_and_saveexec_b64 s[54:55], s[52:53]
	s_cbranch_execz .LBB1247_1123
; %bb.1127:                             ;   in Loop: Header=BB1247_1124 Depth=1
	v_lshl_add_u64 v[20:21], v[20:21], 0, -1
	v_cmp_eq_u64_e64 s[12:13], 0, v[20:21]
	v_lshl_add_u64 v[16:17], v[16:17], 0, 2
	v_lshl_add_u64 v[18:19], v[18:19], 0, 2
	s_and_b64 s[46:47], s[50:51], exec
	s_andn2_b64 s[44:45], s[44:45], exec
	s_orn2_b64 s[48:49], s[12:13], exec
	s_branch .LBB1247_1123
.LBB1247_1128:
	s_or_b64 exec, exec, s[40:41]
	s_xor_b64 s[12:13], s[42:43], -1
	s_andn2_b64 s[18:19], s[18:19], exec
	s_and_b64 s[12:13], s[12:13], exec
	s_or_b64 s[18:19], s[18:19], s[12:13]
.LBB1247_1129:
	s_or_b64 exec, exec, s[38:39]
	s_orn2_b64 s[18:19], s[18:19], exec
.LBB1247_1130:
	s_or_b64 exec, exec, s[36:37]
	v_cndmask_b32_e64 v16, v22, v23, s[18:19]
	v_cndmask_b32_e64 v17, v101, v100, s[18:19]
	v_add_u32_e32 v20, 1, v16
	v_add_u32_e32 v16, -1, v17
	v_min_u32_e32 v16, v20, v16
	v_mov_b32_e32 v17, 0
	v_lshl_add_u64 v[18:19], v[16:17], 3, v[66:67]
	flat_load_dwordx2 v[18:19], v[18:19]
	v_cndmask_b32_e64 v70, v20, v22, s[18:19]
	s_mov_b64 s[36:37], -1
	v_cndmask_b32_e64 v71, v23, v20, s[18:19]
	v_cmp_lt_u32_e64 s[12:13], v70, v101
	s_mov_b64 s[38:39], -1
	s_waitcnt vmcnt(0) lgkmcnt(0)
	v_cndmask_b32_e64 v84, v19, v27, s[18:19]
	v_cndmask_b32_e64 v85, v18, v81, s[18:19]
	;; [unrolled: 1-line block ×4, first 2 shown]
	s_and_saveexec_b64 s[40:41], s[12:13]
	s_cbranch_execz .LBB1247_1140
; %bb.1131:
	v_cmp_lt_u32_e64 s[38:39], v71, v100
	s_and_b64 s[12:13], s[38:39], s[26:27]
	s_and_saveexec_b64 s[42:43], s[12:13]
	s_cbranch_execz .LBB1247_1139
; %bb.1132:
	v_mul_lo_u32 v16, v86, v6
	v_mul_lo_u32 v20, v87, v7
	v_mad_u64_u32 v[18:19], s[12:13], v87, v6, 0
	v_add3_u32 v19, v19, v20, v16
	v_mul_lo_u32 v16, v84, v6
	v_mul_lo_u32 v22, v85, v7
	v_mad_u64_u32 v[20:21], s[12:13], v85, v6, 0
	v_add3_u32 v21, v21, v22, v16
	v_lshl_add_u64 v[18:19], v[18:19], 1, v[8:9]
	v_lshl_add_u64 v[20:21], v[20:21], 1, v[8:9]
	s_mov_b64 s[44:45], 0
	v_mov_b64_e32 v[22:23], v[6:7]
                                        ; implicit-def: $sgpr46_sgpr47
                                        ; implicit-def: $sgpr48_sgpr49
                                        ; implicit-def: $sgpr50_sgpr51
	s_branch .LBB1247_1134
.LBB1247_1133:                          ;   in Loop: Header=BB1247_1134 Depth=1
	s_or_b64 exec, exec, s[58:59]
	s_and_b64 s[12:13], exec, s[52:53]
	s_or_b64 s[44:45], s[12:13], s[44:45]
	s_andn2_b64 s[12:13], s[46:47], exec
	s_and_b64 s[46:47], s[48:49], exec
	s_or_b64 s[46:47], s[12:13], s[46:47]
	s_andn2_b64 exec, exec, s[44:45]
	s_cbranch_execz .LBB1247_1138
.LBB1247_1134:                          ; =>This Inner Loop Header: Depth=1
	flat_load_ushort v16, v[20:21]
	flat_load_ushort v96, v[18:19]
	s_mov_b64 s[52:53], -1
	s_mov_b64 s[56:57], 0
	s_mov_b64 s[54:55], -1
	s_waitcnt vmcnt(0) lgkmcnt(0)
	v_cmp_nlt_f16_e64 s[12:13], v16, v96
	s_and_saveexec_b64 s[58:59], s[12:13]
; %bb.1135:                             ;   in Loop: Header=BB1247_1134 Depth=1
	v_cmp_ngt_f16_e64 s[12:13], v16, v96
	s_and_b64 s[50:51], s[12:13], s[50:51]
	s_orn2_b64 s[54:55], s[50:51], exec
	s_and_b64 s[56:57], s[12:13], exec
; %bb.1136:                             ;   in Loop: Header=BB1247_1134 Depth=1
	s_or_b64 exec, exec, s[58:59]
	s_andn2_b64 s[12:13], s[48:49], exec
	s_and_b64 s[48:49], s[54:55], exec
	s_or_b64 s[48:49], s[12:13], s[48:49]
                                        ; implicit-def: $sgpr50_sgpr51
	s_and_saveexec_b64 s[58:59], s[56:57]
	s_cbranch_execz .LBB1247_1133
; %bb.1137:                             ;   in Loop: Header=BB1247_1134 Depth=1
	v_lshl_add_u64 v[22:23], v[22:23], 0, -1
	v_cmp_eq_u64_e64 s[12:13], 0, v[22:23]
	v_lshl_add_u64 v[18:19], v[18:19], 0, 2
	v_lshl_add_u64 v[20:21], v[20:21], 0, 2
	s_and_b64 s[50:51], s[54:55], exec
	s_andn2_b64 s[48:49], s[48:49], exec
	s_orn2_b64 s[52:53], s[12:13], exec
	s_branch .LBB1247_1133
.LBB1247_1138:
	s_or_b64 exec, exec, s[44:45]
	s_xor_b64 s[12:13], s[46:47], -1
	s_andn2_b64 s[38:39], s[38:39], exec
	s_and_b64 s[12:13], s[12:13], exec
	s_or_b64 s[38:39], s[38:39], s[12:13]
.LBB1247_1139:
	s_or_b64 exec, exec, s[42:43]
	s_orn2_b64 s[38:39], s[38:39], exec
.LBB1247_1140:
	s_or_b64 exec, exec, s[40:41]
	v_cndmask_b32_e64 v16, v70, v71, s[38:39]
	v_cndmask_b32_e64 v18, v101, v100, s[38:39]
	v_add_u32_e32 v19, 1, v16
	v_add_u32_e32 v16, -1, v18
	v_min_u32_e32 v16, v19, v16
	v_lshl_add_u64 v[16:17], v[16:17], 3, v[66:67]
	flat_load_dwordx2 v[16:17], v[16:17]
	v_cndmask_b32_e64 v22, v19, v70, s[38:39]
	v_cndmask_b32_e64 v23, v71, v19, s[38:39]
	v_cmp_lt_u32_e64 s[12:13], v22, v101
	s_waitcnt vmcnt(0) lgkmcnt(0)
	v_cndmask_b32_e64 v96, v17, v84, s[38:39]
	v_cndmask_b32_e64 v97, v16, v85, s[38:39]
	;; [unrolled: 1-line block ×4, first 2 shown]
	s_and_saveexec_b64 s[40:41], s[12:13]
	s_cbranch_execz .LBB1247_1150
; %bb.1141:
	v_cmp_lt_u32_e64 s[36:37], v23, v100
	s_and_b64 s[12:13], s[36:37], s[26:27]
	s_and_saveexec_b64 s[42:43], s[12:13]
	s_cbranch_execz .LBB1247_1149
; %bb.1142:
	v_mul_lo_u32 v18, v98, v6
	v_mul_lo_u32 v19, v99, v7
	v_mad_u64_u32 v[16:17], s[12:13], v99, v6, 0
	v_add3_u32 v17, v17, v19, v18
	v_mul_lo_u32 v20, v96, v6
	v_mul_lo_u32 v21, v97, v7
	v_mad_u64_u32 v[18:19], s[12:13], v97, v6, 0
	v_add3_u32 v19, v19, v21, v20
	v_lshl_add_u64 v[16:17], v[16:17], 1, v[8:9]
	v_lshl_add_u64 v[18:19], v[18:19], 1, v[8:9]
	s_mov_b64 s[44:45], 0
	v_mov_b64_e32 v[20:21], v[6:7]
                                        ; implicit-def: $sgpr46_sgpr47
                                        ; implicit-def: $sgpr48_sgpr49
                                        ; implicit-def: $sgpr50_sgpr51
	s_branch .LBB1247_1144
.LBB1247_1143:                          ;   in Loop: Header=BB1247_1144 Depth=1
	s_or_b64 exec, exec, s[58:59]
	s_and_b64 s[12:13], exec, s[52:53]
	s_or_b64 s[44:45], s[12:13], s[44:45]
	s_andn2_b64 s[12:13], s[46:47], exec
	s_and_b64 s[46:47], s[48:49], exec
	s_or_b64 s[46:47], s[12:13], s[46:47]
	s_andn2_b64 exec, exec, s[44:45]
	s_cbranch_execz .LBB1247_1148
.LBB1247_1144:                          ; =>This Inner Loop Header: Depth=1
	flat_load_ushort v70, v[18:19]
	flat_load_ushort v71, v[16:17]
	s_mov_b64 s[52:53], -1
	s_mov_b64 s[56:57], 0
	s_mov_b64 s[54:55], -1
	s_waitcnt vmcnt(0) lgkmcnt(0)
	v_cmp_nlt_f16_e64 s[12:13], v70, v71
	s_and_saveexec_b64 s[58:59], s[12:13]
; %bb.1145:                             ;   in Loop: Header=BB1247_1144 Depth=1
	v_cmp_ngt_f16_e64 s[12:13], v70, v71
	s_and_b64 s[50:51], s[12:13], s[50:51]
	s_orn2_b64 s[54:55], s[50:51], exec
	s_and_b64 s[56:57], s[12:13], exec
; %bb.1146:                             ;   in Loop: Header=BB1247_1144 Depth=1
	s_or_b64 exec, exec, s[58:59]
	s_andn2_b64 s[12:13], s[48:49], exec
	s_and_b64 s[48:49], s[54:55], exec
	s_or_b64 s[48:49], s[12:13], s[48:49]
                                        ; implicit-def: $sgpr50_sgpr51
	s_and_saveexec_b64 s[58:59], s[56:57]
	s_cbranch_execz .LBB1247_1143
; %bb.1147:                             ;   in Loop: Header=BB1247_1144 Depth=1
	v_lshl_add_u64 v[20:21], v[20:21], 0, -1
	v_cmp_eq_u64_e64 s[12:13], 0, v[20:21]
	v_lshl_add_u64 v[16:17], v[16:17], 0, 2
	v_lshl_add_u64 v[18:19], v[18:19], 0, 2
	s_and_b64 s[50:51], s[54:55], exec
	s_andn2_b64 s[48:49], s[48:49], exec
	s_orn2_b64 s[52:53], s[12:13], exec
	s_branch .LBB1247_1143
.LBB1247_1148:
	s_or_b64 exec, exec, s[44:45]
	s_xor_b64 s[12:13], s[46:47], -1
	s_andn2_b64 s[36:37], s[36:37], exec
	s_and_b64 s[12:13], s[12:13], exec
	s_or_b64 s[36:37], s[36:37], s[12:13]
.LBB1247_1149:
	s_or_b64 exec, exec, s[42:43]
	s_orn2_b64 s[36:37], s[36:37], exec
.LBB1247_1150:
	s_or_b64 exec, exec, s[40:41]
	v_cndmask_b32_e64 v16, v22, v23, s[36:37]
	v_cndmask_b32_e64 v17, v101, v100, s[36:37]
	v_add_u32_e32 v20, 1, v16
	v_add_u32_e32 v16, -1, v17
	v_min_u32_e32 v16, v20, v16
	v_mov_b32_e32 v17, 0
	v_lshl_add_u64 v[18:19], v[16:17], 3, v[66:67]
	flat_load_dwordx2 v[18:19], v[18:19]
	v_cndmask_b32_e64 v70, v20, v22, s[36:37]
	s_mov_b64 s[40:41], -1
	v_cndmask_b32_e64 v71, v23, v20, s[36:37]
	v_cmp_lt_u32_e64 s[12:13], v70, v101
	s_mov_b64 s[42:43], -1
	s_waitcnt vmcnt(0) lgkmcnt(0)
	v_cndmask_b32_e64 v102, v19, v96, s[36:37]
	v_cndmask_b32_e64 v103, v18, v97, s[36:37]
	v_cndmask_b32_e64 v112, v98, v19, s[36:37]
	v_cndmask_b32_e64 v113, v99, v18, s[36:37]
	s_and_saveexec_b64 s[44:45], s[12:13]
	s_cbranch_execz .LBB1247_1160
; %bb.1151:
	v_cmp_lt_u32_e64 s[42:43], v71, v100
	s_and_b64 s[12:13], s[42:43], s[26:27]
	s_and_saveexec_b64 s[46:47], s[12:13]
	s_cbranch_execz .LBB1247_1159
; %bb.1152:
	v_mul_lo_u32 v16, v112, v6
	v_mul_lo_u32 v20, v113, v7
	v_mad_u64_u32 v[18:19], s[12:13], v113, v6, 0
	v_add3_u32 v19, v19, v20, v16
	v_mul_lo_u32 v16, v102, v6
	v_mul_lo_u32 v22, v103, v7
	v_mad_u64_u32 v[20:21], s[12:13], v103, v6, 0
	v_add3_u32 v21, v21, v22, v16
	v_lshl_add_u64 v[18:19], v[18:19], 1, v[8:9]
	v_lshl_add_u64 v[20:21], v[20:21], 1, v[8:9]
	s_mov_b64 s[48:49], 0
	v_mov_b64_e32 v[22:23], v[6:7]
                                        ; implicit-def: $sgpr50_sgpr51
                                        ; implicit-def: $sgpr52_sgpr53
                                        ; implicit-def: $sgpr54_sgpr55
	s_branch .LBB1247_1154
.LBB1247_1153:                          ;   in Loop: Header=BB1247_1154 Depth=1
	s_or_b64 exec, exec, s[62:63]
	s_and_b64 s[12:13], exec, s[56:57]
	s_or_b64 s[48:49], s[12:13], s[48:49]
	s_andn2_b64 s[12:13], s[50:51], exec
	s_and_b64 s[50:51], s[52:53], exec
	s_or_b64 s[50:51], s[12:13], s[50:51]
	s_andn2_b64 exec, exec, s[48:49]
	s_cbranch_execz .LBB1247_1158
.LBB1247_1154:                          ; =>This Inner Loop Header: Depth=1
	flat_load_ushort v16, v[20:21]
	flat_load_ushort v114, v[18:19]
	s_mov_b64 s[56:57], -1
	s_mov_b64 s[60:61], 0
	s_mov_b64 s[58:59], -1
	s_waitcnt vmcnt(0) lgkmcnt(0)
	v_cmp_nlt_f16_e64 s[12:13], v16, v114
	s_and_saveexec_b64 s[62:63], s[12:13]
; %bb.1155:                             ;   in Loop: Header=BB1247_1154 Depth=1
	v_cmp_ngt_f16_e64 s[12:13], v16, v114
	s_and_b64 s[54:55], s[12:13], s[54:55]
	s_orn2_b64 s[58:59], s[54:55], exec
	s_and_b64 s[60:61], s[12:13], exec
; %bb.1156:                             ;   in Loop: Header=BB1247_1154 Depth=1
	s_or_b64 exec, exec, s[62:63]
	s_andn2_b64 s[12:13], s[52:53], exec
	s_and_b64 s[52:53], s[58:59], exec
	s_or_b64 s[52:53], s[12:13], s[52:53]
                                        ; implicit-def: $sgpr54_sgpr55
	s_and_saveexec_b64 s[62:63], s[60:61]
	s_cbranch_execz .LBB1247_1153
; %bb.1157:                             ;   in Loop: Header=BB1247_1154 Depth=1
	v_lshl_add_u64 v[22:23], v[22:23], 0, -1
	v_cmp_eq_u64_e64 s[12:13], 0, v[22:23]
	v_lshl_add_u64 v[18:19], v[18:19], 0, 2
	v_lshl_add_u64 v[20:21], v[20:21], 0, 2
	s_and_b64 s[54:55], s[58:59], exec
	s_andn2_b64 s[52:53], s[52:53], exec
	s_orn2_b64 s[56:57], s[12:13], exec
	s_branch .LBB1247_1153
.LBB1247_1158:
	s_or_b64 exec, exec, s[48:49]
	s_xor_b64 s[12:13], s[50:51], -1
	s_andn2_b64 s[42:43], s[42:43], exec
	s_and_b64 s[12:13], s[12:13], exec
	s_or_b64 s[42:43], s[42:43], s[12:13]
.LBB1247_1159:
	s_or_b64 exec, exec, s[46:47]
	s_orn2_b64 s[42:43], s[42:43], exec
.LBB1247_1160:
	s_or_b64 exec, exec, s[44:45]
	v_cndmask_b32_e64 v16, v70, v71, s[42:43]
	v_cndmask_b32_e64 v18, v101, v100, s[42:43]
	v_add_u32_e32 v19, 1, v16
	v_add_u32_e32 v16, -1, v18
	v_min_u32_e32 v16, v19, v16
	v_lshl_add_u64 v[16:17], v[16:17], 3, v[66:67]
	flat_load_dwordx2 v[16:17], v[16:17]
	v_cndmask_b32_e64 v117, v19, v70, s[42:43]
	v_cndmask_b32_e64 v114, v71, v19, s[42:43]
	v_cmp_lt_u32_e64 s[12:13], v117, v101
	s_waitcnt vmcnt(0) lgkmcnt(0)
	v_cndmask_b32_e64 v115, v17, v102, s[42:43]
	v_cndmask_b32_e64 v116, v16, v103, s[42:43]
	;; [unrolled: 1-line block ×4, first 2 shown]
	s_and_saveexec_b64 s[44:45], s[12:13]
	s_cbranch_execz .LBB1247_1170
; %bb.1161:
	v_cmp_lt_u32_e64 s[40:41], v114, v100
	s_and_b64 s[12:13], s[40:41], s[26:27]
	s_and_saveexec_b64 s[46:47], s[12:13]
	s_cbranch_execz .LBB1247_1169
; %bb.1162:
	v_mul_lo_u32 v18, v118, v6
	v_mul_lo_u32 v19, v119, v7
	v_mad_u64_u32 v[16:17], s[12:13], v119, v6, 0
	v_add3_u32 v17, v17, v19, v18
	v_mul_lo_u32 v20, v115, v6
	v_mul_lo_u32 v21, v116, v7
	v_mad_u64_u32 v[18:19], s[12:13], v116, v6, 0
	v_add3_u32 v19, v19, v21, v20
	v_lshl_add_u64 v[16:17], v[16:17], 1, v[8:9]
	v_lshl_add_u64 v[18:19], v[18:19], 1, v[8:9]
	s_mov_b64 s[48:49], 0
	v_mov_b64_e32 v[20:21], v[6:7]
                                        ; implicit-def: $sgpr50_sgpr51
                                        ; implicit-def: $sgpr52_sgpr53
                                        ; implicit-def: $sgpr54_sgpr55
	s_branch .LBB1247_1164
.LBB1247_1163:                          ;   in Loop: Header=BB1247_1164 Depth=1
	s_or_b64 exec, exec, s[62:63]
	s_and_b64 s[12:13], exec, s[56:57]
	s_or_b64 s[48:49], s[12:13], s[48:49]
	s_andn2_b64 s[12:13], s[50:51], exec
	s_and_b64 s[50:51], s[52:53], exec
	s_or_b64 s[50:51], s[12:13], s[50:51]
	s_andn2_b64 exec, exec, s[48:49]
	s_cbranch_execz .LBB1247_1168
.LBB1247_1164:                          ; =>This Inner Loop Header: Depth=1
	flat_load_ushort v22, v[18:19]
	flat_load_ushort v23, v[16:17]
	s_mov_b64 s[56:57], -1
	s_mov_b64 s[60:61], 0
	s_mov_b64 s[58:59], -1
	s_waitcnt vmcnt(0) lgkmcnt(0)
	v_cmp_nlt_f16_e64 s[12:13], v22, v23
	s_and_saveexec_b64 s[62:63], s[12:13]
; %bb.1165:                             ;   in Loop: Header=BB1247_1164 Depth=1
	v_cmp_ngt_f16_e64 s[12:13], v22, v23
	s_and_b64 s[54:55], s[12:13], s[54:55]
	s_orn2_b64 s[58:59], s[54:55], exec
	s_and_b64 s[60:61], s[12:13], exec
; %bb.1166:                             ;   in Loop: Header=BB1247_1164 Depth=1
	s_or_b64 exec, exec, s[62:63]
	s_andn2_b64 s[12:13], s[52:53], exec
	s_and_b64 s[52:53], s[58:59], exec
	s_or_b64 s[52:53], s[12:13], s[52:53]
                                        ; implicit-def: $sgpr54_sgpr55
	s_and_saveexec_b64 s[62:63], s[60:61]
	s_cbranch_execz .LBB1247_1163
; %bb.1167:                             ;   in Loop: Header=BB1247_1164 Depth=1
	v_lshl_add_u64 v[20:21], v[20:21], 0, -1
	v_cmp_eq_u64_e64 s[12:13], 0, v[20:21]
	v_lshl_add_u64 v[16:17], v[16:17], 0, 2
	v_lshl_add_u64 v[18:19], v[18:19], 0, 2
	s_and_b64 s[54:55], s[58:59], exec
	s_andn2_b64 s[52:53], s[52:53], exec
	s_orn2_b64 s[56:57], s[12:13], exec
	s_branch .LBB1247_1163
.LBB1247_1168:
	s_or_b64 exec, exec, s[48:49]
	s_xor_b64 s[12:13], s[50:51], -1
	s_andn2_b64 s[40:41], s[40:41], exec
	s_and_b64 s[12:13], s[12:13], exec
	s_or_b64 s[40:41], s[40:41], s[12:13]
.LBB1247_1169:
	s_or_b64 exec, exec, s[46:47]
	s_orn2_b64 s[40:41], s[40:41], exec
.LBB1247_1170:
	s_or_b64 exec, exec, s[44:45]
	v_cndmask_b32_e64 v16, v117, v114, s[40:41]
	v_cndmask_b32_e64 v17, v101, v100, s[40:41]
	v_add_u32_e32 v128, 1, v16
	v_add_u32_e32 v16, -1, v17
	v_min_u32_e32 v16, v128, v16
	v_mov_b32_e32 v17, 0
	v_lshl_add_u64 v[16:17], v[16:17], 3, v[66:67]
	flat_load_dwordx2 v[70:71], v[16:17]
	v_cndmask_b32_e64 v21, v27, v82, s[18:19]
	v_cndmask_b32_e64 v27, v24, v26, s[34:35]
	;; [unrolled: 1-line block ×15, first 2 shown]
	v_cmp_lt_u32_e64 s[12:13], v80, v101
	s_waitcnt vmcnt(0) lgkmcnt(0)
	v_cndmask_b32_e64 v15, v118, v71, s[40:41]
	v_cndmask_b32_e64 v14, v119, v70, s[40:41]
	s_and_saveexec_b64 s[18:19], s[12:13]
	s_cbranch_execz .LBB1247_1180
; %bb.1171:
	v_cndmask_b32_e64 v85, v70, v116, s[40:41]
	v_cndmask_b32_e64 v70, v114, v128, s[40:41]
	v_cmp_ge_u32_e64 s[12:13], v70, v100
	v_cndmask_b32_e64 v84, v71, v115, s[40:41]
	s_or_b64 s[30:31], s[12:13], s[8:9]
	v_cndmask_b32_e64 v71, v15, v84, s[12:13]
	s_xor_b64 s[34:35], s[30:31], -1
	v_cndmask_b32_e64 v70, v14, v85, s[12:13]
	s_and_saveexec_b64 s[30:31], s[34:35]
	s_cbranch_execz .LBB1247_1179
; %bb.1172:
	v_mul_lo_u32 v80, v15, v6
	v_mul_lo_u32 v81, v14, v7
	v_mad_u64_u32 v[70:71], s[12:13], v14, v6, 0
	v_add3_u32 v71, v71, v81, v80
	v_mul_lo_u32 v82, v84, v6
	v_mul_lo_u32 v83, v85, v7
	v_mad_u64_u32 v[80:81], s[12:13], v85, v6, 0
	v_add3_u32 v81, v81, v83, v82
	v_lshl_add_u64 v[70:71], v[70:71], 1, v[8:9]
	v_lshl_add_u64 v[80:81], v[80:81], 1, v[8:9]
	s_mov_b64 s[34:35], 0
	v_mov_b64_e32 v[82:83], v[6:7]
                                        ; implicit-def: $sgpr36_sgpr37
                                        ; implicit-def: $sgpr38_sgpr39
                                        ; implicit-def: $sgpr40_sgpr41
	s_branch .LBB1247_1174
.LBB1247_1173:                          ;   in Loop: Header=BB1247_1174 Depth=1
	s_or_b64 exec, exec, s[48:49]
	s_and_b64 s[12:13], exec, s[42:43]
	s_or_b64 s[34:35], s[12:13], s[34:35]
	s_andn2_b64 s[12:13], s[36:37], exec
	s_and_b64 s[36:37], s[38:39], exec
	s_or_b64 s[36:37], s[12:13], s[36:37]
	s_andn2_b64 exec, exec, s[34:35]
	s_cbranch_execz .LBB1247_1178
.LBB1247_1174:                          ; =>This Inner Loop Header: Depth=1
	flat_load_ushort v86, v[80:81]
	flat_load_ushort v87, v[70:71]
	s_mov_b64 s[42:43], -1
	s_mov_b64 s[46:47], 0
	s_mov_b64 s[44:45], -1
	s_waitcnt vmcnt(0) lgkmcnt(0)
	v_cmp_nlt_f16_e64 s[12:13], v86, v87
	s_and_saveexec_b64 s[48:49], s[12:13]
; %bb.1175:                             ;   in Loop: Header=BB1247_1174 Depth=1
	v_cmp_ngt_f16_e64 s[12:13], v86, v87
	s_and_b64 s[40:41], s[12:13], s[40:41]
	s_orn2_b64 s[44:45], s[40:41], exec
	s_and_b64 s[46:47], s[12:13], exec
; %bb.1176:                             ;   in Loop: Header=BB1247_1174 Depth=1
	s_or_b64 exec, exec, s[48:49]
	s_andn2_b64 s[12:13], s[38:39], exec
	s_and_b64 s[38:39], s[44:45], exec
	s_or_b64 s[38:39], s[12:13], s[38:39]
                                        ; implicit-def: $sgpr40_sgpr41
	s_and_saveexec_b64 s[48:49], s[46:47]
	s_cbranch_execz .LBB1247_1173
; %bb.1177:                             ;   in Loop: Header=BB1247_1174 Depth=1
	v_lshl_add_u64 v[82:83], v[82:83], 0, -1
	v_cmp_eq_u64_e64 s[12:13], 0, v[82:83]
	v_lshl_add_u64 v[70:71], v[70:71], 0, 2
	v_lshl_add_u64 v[80:81], v[80:81], 0, 2
	s_and_b64 s[40:41], s[44:45], exec
	s_andn2_b64 s[38:39], s[38:39], exec
	s_orn2_b64 s[42:43], s[12:13], exec
	s_branch .LBB1247_1173
.LBB1247_1178:
	s_or_b64 exec, exec, s[34:35]
	v_cndmask_b32_e64 v71, v15, v84, s[36:37]
	v_cndmask_b32_e64 v70, v14, v85, s[36:37]
.LBB1247_1179:
	s_or_b64 exec, exec, s[30:31]
	v_mov_b64_e32 v[14:15], v[70:71]
.LBB1247_1180:
	s_or_b64 exec, exec, s[18:19]
.LBB1247_1181:
	s_or_b64 exec, exec, s[28:29]
	v_and_b32_e32 v102, 0x3e0, v31
	v_or_b32_e32 v70, 16, v102
	v_min_u32_e32 v100, v1, v70
	v_add_u32_e32 v70, 16, v100
	v_min_u32_e32 v101, v1, v70
	v_and_b32_e32 v70, 24, v31
	v_min_u32_e32 v103, v1, v70
	v_sub_u32_e32 v70, v100, v102
	v_sub_u32_e32 v71, v101, v100
	v_sub_u32_e64 v112, v103, v71 clamp
	v_min_u32_e32 v113, v103, v70
	v_cmp_lt_u32_e64 s[12:13], v112, v113
	; wave barrier
	flat_store_dwordx4 v[68:69], v[24:27]
	flat_store_dwordx4 v[68:69], v[20:23] offset:16
	flat_store_dwordx4 v[68:69], v[16:19] offset:32
	;; [unrolled: 1-line block ×3, first 2 shown]
	; wave barrier
	s_and_saveexec_b64 s[18:19], s[12:13]
	s_cbranch_execz .LBB1247_1193
; %bb.1182:
	v_lshlrev_b32_e32 v70, 3, v102
	v_mov_b32_e32 v71, 0
	v_lshl_add_u64 v[80:81], v[66:67], 0, v[70:71]
	v_lshlrev_b32_e32 v70, 3, v100
	v_lshl_add_u64 v[82:83], v[66:67], 0, v[70:71]
	s_mov_b64 s[28:29], 0
	s_branch .LBB1247_1185
.LBB1247_1183:                          ;   in Loop: Header=BB1247_1185 Depth=1
	s_or_b64 exec, exec, s[34:35]
	s_and_b64 s[12:13], s[36:37], exec
.LBB1247_1184:                          ;   in Loop: Header=BB1247_1185 Depth=1
	s_or_b64 exec, exec, s[30:31]
	v_add_u32_e32 v70, 1, v84
	v_cndmask_b32_e64 v113, v113, v84, s[12:13]
	v_cndmask_b32_e64 v112, v70, v112, s[12:13]
	v_cmp_ge_u32_e64 s[12:13], v112, v113
	s_or_b64 s[28:29], s[12:13], s[28:29]
	s_andn2_b64 exec, exec, s[28:29]
	s_cbranch_execz .LBB1247_1192
.LBB1247_1185:                          ; =>This Loop Header: Depth=1
                                        ;     Child Loop BB1247_1188 Depth 2
	v_add_u32_e32 v70, v113, v112
	v_lshrrev_b32_e32 v84, 1, v70
	s_mov_b64 s[12:13], 0
	s_and_saveexec_b64 s[30:31], s[16:17]
	s_cbranch_execz .LBB1247_1184
; %bb.1186:                             ;   in Loop: Header=BB1247_1185 Depth=1
	v_mov_b32_e32 v85, v71
	v_xad_u32 v70, v84, -1, v103
	v_lshl_add_u64 v[86:87], v[84:85], 3, v[80:81]
	v_lshl_add_u64 v[96:97], v[70:71], 3, v[82:83]
	flat_load_dwordx2 v[86:87], v[86:87]
	s_mov_b64 s[34:35], 0
	flat_load_dwordx2 v[96:97], v[96:97]
                                        ; implicit-def: $sgpr36_sgpr37
                                        ; implicit-def: $sgpr38_sgpr39
                                        ; implicit-def: $sgpr40_sgpr41
	s_waitcnt vmcnt(0) lgkmcnt(0)
	v_mul_lo_u32 v70, v64, v87
	v_mul_lo_u32 v85, v65, v86
	v_mad_u64_u32 v[86:87], s[12:13], v64, v86, v[8:9]
	v_mul_lo_u32 v98, v64, v97
	v_mul_lo_u32 v99, v65, v96
	v_mad_u64_u32 v[96:97], s[12:13], v64, v96, v[8:9]
	v_add3_u32 v87, v85, v87, v70
	v_add3_u32 v97, v99, v97, v98
	v_mov_b64_e32 v[98:99], v[6:7]
	s_branch .LBB1247_1188
.LBB1247_1187:                          ;   in Loop: Header=BB1247_1188 Depth=2
	s_or_b64 exec, exec, s[48:49]
	s_and_b64 s[12:13], exec, s[42:43]
	s_or_b64 s[34:35], s[12:13], s[34:35]
	s_andn2_b64 s[12:13], s[36:37], exec
	s_and_b64 s[36:37], s[38:39], exec
	s_or_b64 s[36:37], s[12:13], s[36:37]
	s_andn2_b64 exec, exec, s[34:35]
	s_cbranch_execz .LBB1247_1183
.LBB1247_1188:                          ;   Parent Loop BB1247_1185 Depth=1
                                        ; =>  This Inner Loop Header: Depth=2
	flat_load_ushort v70, v[96:97]
	flat_load_ushort v85, v[86:87]
	s_mov_b64 s[42:43], -1
	s_mov_b64 s[46:47], 0
	s_mov_b64 s[44:45], -1
	s_waitcnt vmcnt(0) lgkmcnt(0)
	v_cmp_nlt_f16_e64 s[12:13], v70, v85
	s_and_saveexec_b64 s[48:49], s[12:13]
; %bb.1189:                             ;   in Loop: Header=BB1247_1188 Depth=2
	v_cmp_ngt_f16_e64 s[12:13], v70, v85
	s_and_b64 s[40:41], s[12:13], s[40:41]
	s_orn2_b64 s[44:45], s[40:41], exec
	s_and_b64 s[46:47], s[12:13], exec
; %bb.1190:                             ;   in Loop: Header=BB1247_1188 Depth=2
	s_or_b64 exec, exec, s[48:49]
	s_andn2_b64 s[12:13], s[38:39], exec
	s_and_b64 s[38:39], s[44:45], exec
	s_or_b64 s[38:39], s[12:13], s[38:39]
                                        ; implicit-def: $sgpr40_sgpr41
	s_and_saveexec_b64 s[48:49], s[46:47]
	s_cbranch_execz .LBB1247_1187
; %bb.1191:                             ;   in Loop: Header=BB1247_1188 Depth=2
	v_lshl_add_u64 v[98:99], v[98:99], 0, -1
	v_cmp_eq_u64_e64 s[12:13], 0, v[98:99]
	v_lshl_add_u64 v[86:87], v[86:87], 0, 2
	v_lshl_add_u64 v[96:97], v[96:97], 0, 2
	s_andn2_b64 s[38:39], s[38:39], exec
	s_and_b64 s[40:41], s[44:45], exec
	s_orn2_b64 s[42:43], s[12:13], exec
	s_branch .LBB1247_1187
.LBB1247_1192:
	s_or_b64 exec, exec, s[28:29]
.LBB1247_1193:
	s_or_b64 exec, exec, s[18:19]
	v_add_u32_e32 v71, v100, v103
	v_add_u32_e32 v70, v112, v102
	v_sub_u32_e32 v80, v71, v112
	v_cmp_le_u32_e64 s[12:13], v70, v100
	v_cmp_le_u32_e64 s[18:19], v80, v101
	s_or_b64 s[12:13], s[12:13], s[18:19]
	s_and_saveexec_b64 s[28:29], s[12:13]
	s_cbranch_execz .LBB1247_1281
; %bb.1194:
	v_cmp_ge_u32_e64 s[18:19], v70, v100
	v_cmp_lt_u32_e64 s[12:13], v70, v100
                                        ; implicit-def: $vgpr12_vgpr13
	s_and_saveexec_b64 s[30:31], s[12:13]
	s_cbranch_execz .LBB1247_1196
; %bb.1195:
	v_mov_b32_e32 v71, 0
	v_lshl_add_u64 v[12:13], v[70:71], 3, v[66:67]
	flat_load_dwordx2 v[12:13], v[12:13]
.LBB1247_1196:
	s_or_b64 exec, exec, s[30:31]
	v_cmp_ge_u32_e64 s[30:31], v80, v101
	v_cmp_lt_u32_e64 s[12:13], v80, v101
                                        ; implicit-def: $vgpr14_vgpr15
	s_and_saveexec_b64 s[34:35], s[12:13]
	s_cbranch_execz .LBB1247_1198
; %bb.1197:
	v_mov_b32_e32 v81, 0
	v_lshl_add_u64 v[14:15], v[80:81], 3, v[66:67]
	flat_load_dwordx2 v[14:15], v[14:15]
.LBB1247_1198:
	s_or_b64 exec, exec, s[34:35]
	s_or_b64 s[12:13], s[18:19], s[30:31]
	s_xor_b64 s[12:13], s[12:13], -1
	s_and_saveexec_b64 s[18:19], s[12:13]
	s_cbranch_execz .LBB1247_1208
; %bb.1199:
	s_mov_b64 s[12:13], 0
	s_and_saveexec_b64 s[34:35], s[16:17]
	s_cbranch_execz .LBB1247_1207
; %bb.1200:
	s_waitcnt vmcnt(0) lgkmcnt(0)
	v_mul_lo_u32 v18, v13, v6
	v_mul_lo_u32 v19, v12, v7
	v_mad_u64_u32 v[16:17], s[12:13], v12, v6, 0
	v_add3_u32 v17, v17, v19, v18
	v_mul_lo_u32 v20, v15, v6
	v_mul_lo_u32 v21, v14, v7
	v_mad_u64_u32 v[18:19], s[12:13], v14, v6, 0
	v_add3_u32 v19, v19, v21, v20
	v_lshl_add_u64 v[16:17], v[16:17], 1, v[8:9]
	v_lshl_add_u64 v[18:19], v[18:19], 1, v[8:9]
	s_mov_b64 s[36:37], 0
	v_mov_b64_e32 v[20:21], v[6:7]
                                        ; implicit-def: $sgpr38_sgpr39
                                        ; implicit-def: $sgpr40_sgpr41
                                        ; implicit-def: $sgpr42_sgpr43
	s_branch .LBB1247_1202
.LBB1247_1201:                          ;   in Loop: Header=BB1247_1202 Depth=1
	s_or_b64 exec, exec, s[48:49]
	s_and_b64 s[12:13], exec, s[12:13]
	s_or_b64 s[36:37], s[12:13], s[36:37]
	s_andn2_b64 s[12:13], s[38:39], exec
	s_and_b64 s[38:39], s[40:41], exec
	s_or_b64 s[38:39], s[12:13], s[38:39]
	s_andn2_b64 exec, exec, s[36:37]
	s_cbranch_execz .LBB1247_1206
.LBB1247_1202:                          ; =>This Inner Loop Header: Depth=1
	flat_load_ushort v22, v[18:19]
	flat_load_ushort v23, v[16:17]
	s_mov_b64 s[46:47], 0
	s_mov_b64 s[44:45], -1
	s_waitcnt vmcnt(0) lgkmcnt(0)
	v_cmp_nlt_f16_e64 s[12:13], v22, v23
	s_and_saveexec_b64 s[48:49], s[12:13]
; %bb.1203:                             ;   in Loop: Header=BB1247_1202 Depth=1
	v_cmp_ngt_f16_e64 s[12:13], v22, v23
	s_and_b64 s[42:43], s[12:13], s[42:43]
	s_orn2_b64 s[44:45], s[42:43], exec
	s_and_b64 s[46:47], s[12:13], exec
; %bb.1204:                             ;   in Loop: Header=BB1247_1202 Depth=1
	s_or_b64 exec, exec, s[48:49]
	s_andn2_b64 s[40:41], s[40:41], exec
	s_and_b64 s[42:43], s[44:45], exec
	s_mov_b64 s[12:13], -1
	s_or_b64 s[40:41], s[40:41], s[42:43]
                                        ; implicit-def: $sgpr42_sgpr43
	s_and_saveexec_b64 s[48:49], s[46:47]
	s_cbranch_execz .LBB1247_1201
; %bb.1205:                             ;   in Loop: Header=BB1247_1202 Depth=1
	v_lshl_add_u64 v[20:21], v[20:21], 0, -1
	v_cmp_eq_u64_e64 s[12:13], 0, v[20:21]
	v_lshl_add_u64 v[16:17], v[16:17], 0, 2
	v_lshl_add_u64 v[18:19], v[18:19], 0, 2
	s_andn2_b64 s[40:41], s[40:41], exec
	s_and_b64 s[42:43], s[44:45], exec
	s_orn2_b64 s[12:13], s[12:13], exec
	s_branch .LBB1247_1201
.LBB1247_1206:
	s_or_b64 exec, exec, s[36:37]
	s_and_b64 s[12:13], s[38:39], exec
.LBB1247_1207:
	s_or_b64 exec, exec, s[34:35]
	s_xor_b64 s[12:13], s[12:13], -1
	s_andn2_b64 s[30:31], s[30:31], exec
	s_and_b64 s[12:13], s[12:13], exec
	s_or_b64 s[30:31], s[30:31], s[12:13]
.LBB1247_1208:
	s_or_b64 exec, exec, s[18:19]
	v_cndmask_b32_e64 v16, v80, v70, s[30:31]
	v_cndmask_b32_e64 v17, v101, v100, s[30:31]
	v_add_u32_e32 v20, 1, v16
	v_add_u32_e32 v16, -1, v17
	v_min_u32_e32 v16, v20, v16
	v_mov_b32_e32 v17, 0
	v_lshl_add_u64 v[18:19], v[16:17], 3, v[66:67]
	flat_load_dwordx2 v[18:19], v[18:19]
	v_cndmask_b32_e64 v27, v20, v80, s[30:31]
	s_mov_b64 s[18:19], -1
	v_cndmask_b32_e64 v70, v70, v20, s[30:31]
	v_cmp_lt_u32_e64 s[12:13], v27, v101
	s_mov_b64 s[34:35], -1
	s_waitcnt vmcnt(0) lgkmcnt(0)
	v_cndmask_b32_e64 v24, v19, v15, s[30:31]
	v_cndmask_b32_e64 v25, v18, v14, s[30:31]
	;; [unrolled: 1-line block ×4, first 2 shown]
	s_and_saveexec_b64 s[36:37], s[12:13]
	s_cbranch_execz .LBB1247_1220
; %bb.1209:
	v_cmp_lt_u32_e64 s[12:13], v70, v100
	s_mov_b64 s[38:39], 0
	s_and_saveexec_b64 s[34:35], s[12:13]
	s_cbranch_execz .LBB1247_1219
; %bb.1210:
	s_mov_b64 s[12:13], 0
	s_and_saveexec_b64 s[38:39], s[16:17]
	s_cbranch_execz .LBB1247_1218
; %bb.1211:
	v_mul_lo_u32 v16, v26, v6
	v_mul_lo_u32 v20, v80, v7
	v_mad_u64_u32 v[18:19], s[12:13], v80, v6, 0
	v_add3_u32 v19, v19, v20, v16
	v_mul_lo_u32 v16, v24, v6
	v_mul_lo_u32 v22, v25, v7
	v_mad_u64_u32 v[20:21], s[12:13], v25, v6, 0
	v_add3_u32 v21, v21, v22, v16
	v_lshl_add_u64 v[18:19], v[18:19], 1, v[8:9]
	v_lshl_add_u64 v[20:21], v[20:21], 1, v[8:9]
	s_mov_b64 s[40:41], 0
	v_mov_b64_e32 v[22:23], v[6:7]
                                        ; implicit-def: $sgpr42_sgpr43
                                        ; implicit-def: $sgpr44_sgpr45
                                        ; implicit-def: $sgpr46_sgpr47
	s_branch .LBB1247_1213
.LBB1247_1212:                          ;   in Loop: Header=BB1247_1213 Depth=1
	s_or_b64 exec, exec, s[52:53]
	s_and_b64 s[12:13], exec, s[12:13]
	s_or_b64 s[40:41], s[12:13], s[40:41]
	s_andn2_b64 s[12:13], s[42:43], exec
	s_and_b64 s[42:43], s[44:45], exec
	s_or_b64 s[42:43], s[12:13], s[42:43]
	s_andn2_b64 exec, exec, s[40:41]
	s_cbranch_execz .LBB1247_1217
.LBB1247_1213:                          ; =>This Inner Loop Header: Depth=1
	flat_load_ushort v16, v[20:21]
	flat_load_ushort v71, v[18:19]
	s_mov_b64 s[50:51], 0
	s_mov_b64 s[48:49], -1
	s_waitcnt vmcnt(0) lgkmcnt(0)
	v_cmp_nlt_f16_e64 s[12:13], v16, v71
	s_and_saveexec_b64 s[52:53], s[12:13]
; %bb.1214:                             ;   in Loop: Header=BB1247_1213 Depth=1
	v_cmp_ngt_f16_e64 s[12:13], v16, v71
	s_and_b64 s[46:47], s[12:13], s[46:47]
	s_orn2_b64 s[48:49], s[46:47], exec
	s_and_b64 s[50:51], s[12:13], exec
; %bb.1215:                             ;   in Loop: Header=BB1247_1213 Depth=1
	s_or_b64 exec, exec, s[52:53]
	s_andn2_b64 s[44:45], s[44:45], exec
	s_and_b64 s[46:47], s[48:49], exec
	s_mov_b64 s[12:13], -1
	s_or_b64 s[44:45], s[44:45], s[46:47]
                                        ; implicit-def: $sgpr46_sgpr47
	s_and_saveexec_b64 s[52:53], s[50:51]
	s_cbranch_execz .LBB1247_1212
; %bb.1216:                             ;   in Loop: Header=BB1247_1213 Depth=1
	v_lshl_add_u64 v[22:23], v[22:23], 0, -1
	v_cmp_eq_u64_e64 s[12:13], 0, v[22:23]
	v_lshl_add_u64 v[18:19], v[18:19], 0, 2
	v_lshl_add_u64 v[20:21], v[20:21], 0, 2
	s_andn2_b64 s[44:45], s[44:45], exec
	s_and_b64 s[46:47], s[48:49], exec
	s_orn2_b64 s[12:13], s[12:13], exec
	s_branch .LBB1247_1212
.LBB1247_1217:
	s_or_b64 exec, exec, s[40:41]
	s_and_b64 s[12:13], s[42:43], exec
.LBB1247_1218:
	s_or_b64 exec, exec, s[38:39]
	s_xor_b64 s[12:13], s[12:13], -1
	s_and_b64 s[38:39], s[12:13], exec
.LBB1247_1219:
	s_or_b64 exec, exec, s[34:35]
	s_orn2_b64 s[34:35], s[38:39], exec
.LBB1247_1220:
	s_or_b64 exec, exec, s[36:37]
	v_cndmask_b32_e64 v16, v27, v70, s[34:35]
	v_cndmask_b32_e64 v18, v101, v100, s[34:35]
	v_add_u32_e32 v19, 1, v16
	v_add_u32_e32 v16, -1, v18
	v_min_u32_e32 v16, v19, v16
	v_lshl_add_u64 v[16:17], v[16:17], 3, v[66:67]
	flat_load_dwordx2 v[16:17], v[16:17]
	v_cndmask_b32_e64 v22, v19, v27, s[34:35]
	v_cndmask_b32_e64 v23, v70, v19, s[34:35]
	v_cmp_lt_u32_e64 s[12:13], v22, v101
	s_waitcnt vmcnt(0) lgkmcnt(0)
	v_cndmask_b32_e64 v27, v17, v24, s[34:35]
	v_cndmask_b32_e64 v81, v16, v25, s[34:35]
	;; [unrolled: 1-line block ×4, first 2 shown]
	s_and_saveexec_b64 s[36:37], s[12:13]
	s_cbranch_execz .LBB1247_1230
; %bb.1221:
	v_cmp_lt_u32_e64 s[18:19], v23, v100
	s_and_b64 s[12:13], s[18:19], s[26:27]
	s_and_saveexec_b64 s[38:39], s[12:13]
	s_cbranch_execz .LBB1247_1229
; %bb.1222:
	v_mul_lo_u32 v18, v82, v6
	v_mul_lo_u32 v19, v83, v7
	v_mad_u64_u32 v[16:17], s[12:13], v83, v6, 0
	v_add3_u32 v17, v17, v19, v18
	v_mul_lo_u32 v20, v27, v6
	v_mul_lo_u32 v21, v81, v7
	v_mad_u64_u32 v[18:19], s[12:13], v81, v6, 0
	v_add3_u32 v19, v19, v21, v20
	v_lshl_add_u64 v[16:17], v[16:17], 1, v[8:9]
	v_lshl_add_u64 v[18:19], v[18:19], 1, v[8:9]
	s_mov_b64 s[40:41], 0
	v_mov_b64_e32 v[20:21], v[6:7]
                                        ; implicit-def: $sgpr42_sgpr43
                                        ; implicit-def: $sgpr44_sgpr45
                                        ; implicit-def: $sgpr46_sgpr47
	s_branch .LBB1247_1224
.LBB1247_1223:                          ;   in Loop: Header=BB1247_1224 Depth=1
	s_or_b64 exec, exec, s[54:55]
	s_and_b64 s[12:13], exec, s[48:49]
	s_or_b64 s[40:41], s[12:13], s[40:41]
	s_andn2_b64 s[12:13], s[42:43], exec
	s_and_b64 s[42:43], s[44:45], exec
	s_or_b64 s[42:43], s[12:13], s[42:43]
	s_andn2_b64 exec, exec, s[40:41]
	s_cbranch_execz .LBB1247_1228
.LBB1247_1224:                          ; =>This Inner Loop Header: Depth=1
	flat_load_ushort v70, v[18:19]
	flat_load_ushort v71, v[16:17]
	s_mov_b64 s[48:49], -1
	s_mov_b64 s[52:53], 0
	s_mov_b64 s[50:51], -1
	s_waitcnt vmcnt(0) lgkmcnt(0)
	v_cmp_nlt_f16_e64 s[12:13], v70, v71
	s_and_saveexec_b64 s[54:55], s[12:13]
; %bb.1225:                             ;   in Loop: Header=BB1247_1224 Depth=1
	v_cmp_ngt_f16_e64 s[12:13], v70, v71
	s_and_b64 s[46:47], s[12:13], s[46:47]
	s_orn2_b64 s[50:51], s[46:47], exec
	s_and_b64 s[52:53], s[12:13], exec
; %bb.1226:                             ;   in Loop: Header=BB1247_1224 Depth=1
	s_or_b64 exec, exec, s[54:55]
	s_andn2_b64 s[12:13], s[44:45], exec
	s_and_b64 s[44:45], s[50:51], exec
	s_or_b64 s[44:45], s[12:13], s[44:45]
                                        ; implicit-def: $sgpr46_sgpr47
	s_and_saveexec_b64 s[54:55], s[52:53]
	s_cbranch_execz .LBB1247_1223
; %bb.1227:                             ;   in Loop: Header=BB1247_1224 Depth=1
	v_lshl_add_u64 v[20:21], v[20:21], 0, -1
	v_cmp_eq_u64_e64 s[12:13], 0, v[20:21]
	v_lshl_add_u64 v[16:17], v[16:17], 0, 2
	v_lshl_add_u64 v[18:19], v[18:19], 0, 2
	s_and_b64 s[46:47], s[50:51], exec
	s_andn2_b64 s[44:45], s[44:45], exec
	s_orn2_b64 s[48:49], s[12:13], exec
	s_branch .LBB1247_1223
.LBB1247_1228:
	s_or_b64 exec, exec, s[40:41]
	s_xor_b64 s[12:13], s[42:43], -1
	s_andn2_b64 s[18:19], s[18:19], exec
	s_and_b64 s[12:13], s[12:13], exec
	s_or_b64 s[18:19], s[18:19], s[12:13]
.LBB1247_1229:
	s_or_b64 exec, exec, s[38:39]
	s_orn2_b64 s[18:19], s[18:19], exec
.LBB1247_1230:
	s_or_b64 exec, exec, s[36:37]
	v_cndmask_b32_e64 v16, v22, v23, s[18:19]
	v_cndmask_b32_e64 v17, v101, v100, s[18:19]
	v_add_u32_e32 v20, 1, v16
	v_add_u32_e32 v16, -1, v17
	v_min_u32_e32 v16, v20, v16
	v_mov_b32_e32 v17, 0
	v_lshl_add_u64 v[18:19], v[16:17], 3, v[66:67]
	flat_load_dwordx2 v[18:19], v[18:19]
	v_cndmask_b32_e64 v70, v20, v22, s[18:19]
	s_mov_b64 s[36:37], -1
	v_cndmask_b32_e64 v71, v23, v20, s[18:19]
	v_cmp_lt_u32_e64 s[12:13], v70, v101
	s_mov_b64 s[38:39], -1
	s_waitcnt vmcnt(0) lgkmcnt(0)
	v_cndmask_b32_e64 v84, v19, v27, s[18:19]
	v_cndmask_b32_e64 v85, v18, v81, s[18:19]
	;; [unrolled: 1-line block ×4, first 2 shown]
	s_and_saveexec_b64 s[40:41], s[12:13]
	s_cbranch_execz .LBB1247_1240
; %bb.1231:
	v_cmp_lt_u32_e64 s[38:39], v71, v100
	s_and_b64 s[12:13], s[38:39], s[26:27]
	s_and_saveexec_b64 s[42:43], s[12:13]
	s_cbranch_execz .LBB1247_1239
; %bb.1232:
	v_mul_lo_u32 v16, v86, v6
	v_mul_lo_u32 v20, v87, v7
	v_mad_u64_u32 v[18:19], s[12:13], v87, v6, 0
	v_add3_u32 v19, v19, v20, v16
	v_mul_lo_u32 v16, v84, v6
	v_mul_lo_u32 v22, v85, v7
	v_mad_u64_u32 v[20:21], s[12:13], v85, v6, 0
	v_add3_u32 v21, v21, v22, v16
	v_lshl_add_u64 v[18:19], v[18:19], 1, v[8:9]
	v_lshl_add_u64 v[20:21], v[20:21], 1, v[8:9]
	s_mov_b64 s[44:45], 0
	v_mov_b64_e32 v[22:23], v[6:7]
                                        ; implicit-def: $sgpr46_sgpr47
                                        ; implicit-def: $sgpr48_sgpr49
                                        ; implicit-def: $sgpr50_sgpr51
	s_branch .LBB1247_1234
.LBB1247_1233:                          ;   in Loop: Header=BB1247_1234 Depth=1
	s_or_b64 exec, exec, s[58:59]
	s_and_b64 s[12:13], exec, s[52:53]
	s_or_b64 s[44:45], s[12:13], s[44:45]
	s_andn2_b64 s[12:13], s[46:47], exec
	s_and_b64 s[46:47], s[48:49], exec
	s_or_b64 s[46:47], s[12:13], s[46:47]
	s_andn2_b64 exec, exec, s[44:45]
	s_cbranch_execz .LBB1247_1238
.LBB1247_1234:                          ; =>This Inner Loop Header: Depth=1
	flat_load_ushort v16, v[20:21]
	flat_load_ushort v96, v[18:19]
	s_mov_b64 s[52:53], -1
	s_mov_b64 s[56:57], 0
	s_mov_b64 s[54:55], -1
	s_waitcnt vmcnt(0) lgkmcnt(0)
	v_cmp_nlt_f16_e64 s[12:13], v16, v96
	s_and_saveexec_b64 s[58:59], s[12:13]
; %bb.1235:                             ;   in Loop: Header=BB1247_1234 Depth=1
	v_cmp_ngt_f16_e64 s[12:13], v16, v96
	s_and_b64 s[50:51], s[12:13], s[50:51]
	s_orn2_b64 s[54:55], s[50:51], exec
	s_and_b64 s[56:57], s[12:13], exec
; %bb.1236:                             ;   in Loop: Header=BB1247_1234 Depth=1
	s_or_b64 exec, exec, s[58:59]
	s_andn2_b64 s[12:13], s[48:49], exec
	s_and_b64 s[48:49], s[54:55], exec
	s_or_b64 s[48:49], s[12:13], s[48:49]
                                        ; implicit-def: $sgpr50_sgpr51
	s_and_saveexec_b64 s[58:59], s[56:57]
	s_cbranch_execz .LBB1247_1233
; %bb.1237:                             ;   in Loop: Header=BB1247_1234 Depth=1
	v_lshl_add_u64 v[22:23], v[22:23], 0, -1
	v_cmp_eq_u64_e64 s[12:13], 0, v[22:23]
	v_lshl_add_u64 v[18:19], v[18:19], 0, 2
	v_lshl_add_u64 v[20:21], v[20:21], 0, 2
	s_and_b64 s[50:51], s[54:55], exec
	s_andn2_b64 s[48:49], s[48:49], exec
	s_orn2_b64 s[52:53], s[12:13], exec
	s_branch .LBB1247_1233
.LBB1247_1238:
	s_or_b64 exec, exec, s[44:45]
	s_xor_b64 s[12:13], s[46:47], -1
	s_andn2_b64 s[38:39], s[38:39], exec
	s_and_b64 s[12:13], s[12:13], exec
	s_or_b64 s[38:39], s[38:39], s[12:13]
.LBB1247_1239:
	s_or_b64 exec, exec, s[42:43]
	s_orn2_b64 s[38:39], s[38:39], exec
.LBB1247_1240:
	s_or_b64 exec, exec, s[40:41]
	v_cndmask_b32_e64 v16, v70, v71, s[38:39]
	v_cndmask_b32_e64 v18, v101, v100, s[38:39]
	v_add_u32_e32 v19, 1, v16
	v_add_u32_e32 v16, -1, v18
	v_min_u32_e32 v16, v19, v16
	v_lshl_add_u64 v[16:17], v[16:17], 3, v[66:67]
	flat_load_dwordx2 v[16:17], v[16:17]
	v_cndmask_b32_e64 v22, v19, v70, s[38:39]
	v_cndmask_b32_e64 v23, v71, v19, s[38:39]
	v_cmp_lt_u32_e64 s[12:13], v22, v101
	s_waitcnt vmcnt(0) lgkmcnt(0)
	v_cndmask_b32_e64 v96, v17, v84, s[38:39]
	v_cndmask_b32_e64 v97, v16, v85, s[38:39]
	;; [unrolled: 1-line block ×4, first 2 shown]
	s_and_saveexec_b64 s[40:41], s[12:13]
	s_cbranch_execz .LBB1247_1250
; %bb.1241:
	v_cmp_lt_u32_e64 s[36:37], v23, v100
	s_and_b64 s[12:13], s[36:37], s[26:27]
	s_and_saveexec_b64 s[42:43], s[12:13]
	s_cbranch_execz .LBB1247_1249
; %bb.1242:
	v_mul_lo_u32 v18, v98, v6
	v_mul_lo_u32 v19, v99, v7
	v_mad_u64_u32 v[16:17], s[12:13], v99, v6, 0
	v_add3_u32 v17, v17, v19, v18
	v_mul_lo_u32 v20, v96, v6
	v_mul_lo_u32 v21, v97, v7
	v_mad_u64_u32 v[18:19], s[12:13], v97, v6, 0
	v_add3_u32 v19, v19, v21, v20
	v_lshl_add_u64 v[16:17], v[16:17], 1, v[8:9]
	v_lshl_add_u64 v[18:19], v[18:19], 1, v[8:9]
	s_mov_b64 s[44:45], 0
	v_mov_b64_e32 v[20:21], v[6:7]
                                        ; implicit-def: $sgpr46_sgpr47
                                        ; implicit-def: $sgpr48_sgpr49
                                        ; implicit-def: $sgpr50_sgpr51
	s_branch .LBB1247_1244
.LBB1247_1243:                          ;   in Loop: Header=BB1247_1244 Depth=1
	s_or_b64 exec, exec, s[58:59]
	s_and_b64 s[12:13], exec, s[52:53]
	s_or_b64 s[44:45], s[12:13], s[44:45]
	s_andn2_b64 s[12:13], s[46:47], exec
	s_and_b64 s[46:47], s[48:49], exec
	s_or_b64 s[46:47], s[12:13], s[46:47]
	s_andn2_b64 exec, exec, s[44:45]
	s_cbranch_execz .LBB1247_1248
.LBB1247_1244:                          ; =>This Inner Loop Header: Depth=1
	flat_load_ushort v70, v[18:19]
	flat_load_ushort v71, v[16:17]
	s_mov_b64 s[52:53], -1
	s_mov_b64 s[56:57], 0
	s_mov_b64 s[54:55], -1
	s_waitcnt vmcnt(0) lgkmcnt(0)
	v_cmp_nlt_f16_e64 s[12:13], v70, v71
	s_and_saveexec_b64 s[58:59], s[12:13]
; %bb.1245:                             ;   in Loop: Header=BB1247_1244 Depth=1
	v_cmp_ngt_f16_e64 s[12:13], v70, v71
	s_and_b64 s[50:51], s[12:13], s[50:51]
	s_orn2_b64 s[54:55], s[50:51], exec
	s_and_b64 s[56:57], s[12:13], exec
; %bb.1246:                             ;   in Loop: Header=BB1247_1244 Depth=1
	s_or_b64 exec, exec, s[58:59]
	s_andn2_b64 s[12:13], s[48:49], exec
	s_and_b64 s[48:49], s[54:55], exec
	s_or_b64 s[48:49], s[12:13], s[48:49]
                                        ; implicit-def: $sgpr50_sgpr51
	s_and_saveexec_b64 s[58:59], s[56:57]
	s_cbranch_execz .LBB1247_1243
; %bb.1247:                             ;   in Loop: Header=BB1247_1244 Depth=1
	v_lshl_add_u64 v[20:21], v[20:21], 0, -1
	v_cmp_eq_u64_e64 s[12:13], 0, v[20:21]
	v_lshl_add_u64 v[16:17], v[16:17], 0, 2
	v_lshl_add_u64 v[18:19], v[18:19], 0, 2
	s_and_b64 s[50:51], s[54:55], exec
	s_andn2_b64 s[48:49], s[48:49], exec
	s_orn2_b64 s[52:53], s[12:13], exec
	s_branch .LBB1247_1243
.LBB1247_1248:
	s_or_b64 exec, exec, s[44:45]
	s_xor_b64 s[12:13], s[46:47], -1
	s_andn2_b64 s[36:37], s[36:37], exec
	s_and_b64 s[12:13], s[12:13], exec
	s_or_b64 s[36:37], s[36:37], s[12:13]
.LBB1247_1249:
	s_or_b64 exec, exec, s[42:43]
	s_orn2_b64 s[36:37], s[36:37], exec
.LBB1247_1250:
	s_or_b64 exec, exec, s[40:41]
	v_cndmask_b32_e64 v16, v22, v23, s[36:37]
	v_cndmask_b32_e64 v17, v101, v100, s[36:37]
	v_add_u32_e32 v20, 1, v16
	v_add_u32_e32 v16, -1, v17
	v_min_u32_e32 v16, v20, v16
	v_mov_b32_e32 v17, 0
	v_lshl_add_u64 v[18:19], v[16:17], 3, v[66:67]
	flat_load_dwordx2 v[18:19], v[18:19]
	v_cndmask_b32_e64 v70, v20, v22, s[36:37]
	s_mov_b64 s[40:41], -1
	v_cndmask_b32_e64 v71, v23, v20, s[36:37]
	v_cmp_lt_u32_e64 s[12:13], v70, v101
	s_mov_b64 s[42:43], -1
	s_waitcnt vmcnt(0) lgkmcnt(0)
	v_cndmask_b32_e64 v102, v19, v96, s[36:37]
	v_cndmask_b32_e64 v103, v18, v97, s[36:37]
	;; [unrolled: 1-line block ×4, first 2 shown]
	s_and_saveexec_b64 s[44:45], s[12:13]
	s_cbranch_execz .LBB1247_1260
; %bb.1251:
	v_cmp_lt_u32_e64 s[42:43], v71, v100
	s_and_b64 s[12:13], s[42:43], s[26:27]
	s_and_saveexec_b64 s[46:47], s[12:13]
	s_cbranch_execz .LBB1247_1259
; %bb.1252:
	v_mul_lo_u32 v16, v112, v6
	v_mul_lo_u32 v20, v113, v7
	v_mad_u64_u32 v[18:19], s[12:13], v113, v6, 0
	v_add3_u32 v19, v19, v20, v16
	v_mul_lo_u32 v16, v102, v6
	v_mul_lo_u32 v22, v103, v7
	v_mad_u64_u32 v[20:21], s[12:13], v103, v6, 0
	v_add3_u32 v21, v21, v22, v16
	v_lshl_add_u64 v[18:19], v[18:19], 1, v[8:9]
	v_lshl_add_u64 v[20:21], v[20:21], 1, v[8:9]
	s_mov_b64 s[48:49], 0
	v_mov_b64_e32 v[22:23], v[6:7]
                                        ; implicit-def: $sgpr50_sgpr51
                                        ; implicit-def: $sgpr52_sgpr53
                                        ; implicit-def: $sgpr54_sgpr55
	s_branch .LBB1247_1254
.LBB1247_1253:                          ;   in Loop: Header=BB1247_1254 Depth=1
	s_or_b64 exec, exec, s[62:63]
	s_and_b64 s[12:13], exec, s[56:57]
	s_or_b64 s[48:49], s[12:13], s[48:49]
	s_andn2_b64 s[12:13], s[50:51], exec
	s_and_b64 s[50:51], s[52:53], exec
	s_or_b64 s[50:51], s[12:13], s[50:51]
	s_andn2_b64 exec, exec, s[48:49]
	s_cbranch_execz .LBB1247_1258
.LBB1247_1254:                          ; =>This Inner Loop Header: Depth=1
	flat_load_ushort v16, v[20:21]
	flat_load_ushort v114, v[18:19]
	s_mov_b64 s[56:57], -1
	s_mov_b64 s[60:61], 0
	s_mov_b64 s[58:59], -1
	s_waitcnt vmcnt(0) lgkmcnt(0)
	v_cmp_nlt_f16_e64 s[12:13], v16, v114
	s_and_saveexec_b64 s[62:63], s[12:13]
; %bb.1255:                             ;   in Loop: Header=BB1247_1254 Depth=1
	v_cmp_ngt_f16_e64 s[12:13], v16, v114
	s_and_b64 s[54:55], s[12:13], s[54:55]
	s_orn2_b64 s[58:59], s[54:55], exec
	s_and_b64 s[60:61], s[12:13], exec
; %bb.1256:                             ;   in Loop: Header=BB1247_1254 Depth=1
	s_or_b64 exec, exec, s[62:63]
	s_andn2_b64 s[12:13], s[52:53], exec
	s_and_b64 s[52:53], s[58:59], exec
	s_or_b64 s[52:53], s[12:13], s[52:53]
                                        ; implicit-def: $sgpr54_sgpr55
	s_and_saveexec_b64 s[62:63], s[60:61]
	s_cbranch_execz .LBB1247_1253
; %bb.1257:                             ;   in Loop: Header=BB1247_1254 Depth=1
	v_lshl_add_u64 v[22:23], v[22:23], 0, -1
	v_cmp_eq_u64_e64 s[12:13], 0, v[22:23]
	v_lshl_add_u64 v[18:19], v[18:19], 0, 2
	v_lshl_add_u64 v[20:21], v[20:21], 0, 2
	s_and_b64 s[54:55], s[58:59], exec
	s_andn2_b64 s[52:53], s[52:53], exec
	s_orn2_b64 s[56:57], s[12:13], exec
	s_branch .LBB1247_1253
.LBB1247_1258:
	s_or_b64 exec, exec, s[48:49]
	s_xor_b64 s[12:13], s[50:51], -1
	s_andn2_b64 s[42:43], s[42:43], exec
	s_and_b64 s[12:13], s[12:13], exec
	s_or_b64 s[42:43], s[42:43], s[12:13]
.LBB1247_1259:
	s_or_b64 exec, exec, s[46:47]
	s_orn2_b64 s[42:43], s[42:43], exec
.LBB1247_1260:
	s_or_b64 exec, exec, s[44:45]
	v_cndmask_b32_e64 v16, v70, v71, s[42:43]
	v_cndmask_b32_e64 v18, v101, v100, s[42:43]
	v_add_u32_e32 v19, 1, v16
	v_add_u32_e32 v16, -1, v18
	v_min_u32_e32 v16, v19, v16
	v_lshl_add_u64 v[16:17], v[16:17], 3, v[66:67]
	flat_load_dwordx2 v[16:17], v[16:17]
	v_cndmask_b32_e64 v117, v19, v70, s[42:43]
	v_cndmask_b32_e64 v114, v71, v19, s[42:43]
	v_cmp_lt_u32_e64 s[12:13], v117, v101
	s_waitcnt vmcnt(0) lgkmcnt(0)
	v_cndmask_b32_e64 v115, v17, v102, s[42:43]
	v_cndmask_b32_e64 v116, v16, v103, s[42:43]
	;; [unrolled: 1-line block ×4, first 2 shown]
	s_and_saveexec_b64 s[44:45], s[12:13]
	s_cbranch_execz .LBB1247_1270
; %bb.1261:
	v_cmp_lt_u32_e64 s[40:41], v114, v100
	s_and_b64 s[12:13], s[40:41], s[26:27]
	s_and_saveexec_b64 s[46:47], s[12:13]
	s_cbranch_execz .LBB1247_1269
; %bb.1262:
	v_mul_lo_u32 v18, v118, v6
	v_mul_lo_u32 v19, v119, v7
	v_mad_u64_u32 v[16:17], s[12:13], v119, v6, 0
	v_add3_u32 v17, v17, v19, v18
	v_mul_lo_u32 v20, v115, v6
	v_mul_lo_u32 v21, v116, v7
	v_mad_u64_u32 v[18:19], s[12:13], v116, v6, 0
	v_add3_u32 v19, v19, v21, v20
	v_lshl_add_u64 v[16:17], v[16:17], 1, v[8:9]
	v_lshl_add_u64 v[18:19], v[18:19], 1, v[8:9]
	s_mov_b64 s[48:49], 0
	v_mov_b64_e32 v[20:21], v[6:7]
                                        ; implicit-def: $sgpr50_sgpr51
                                        ; implicit-def: $sgpr52_sgpr53
                                        ; implicit-def: $sgpr54_sgpr55
	s_branch .LBB1247_1264
.LBB1247_1263:                          ;   in Loop: Header=BB1247_1264 Depth=1
	s_or_b64 exec, exec, s[62:63]
	s_and_b64 s[12:13], exec, s[56:57]
	s_or_b64 s[48:49], s[12:13], s[48:49]
	s_andn2_b64 s[12:13], s[50:51], exec
	s_and_b64 s[50:51], s[52:53], exec
	s_or_b64 s[50:51], s[12:13], s[50:51]
	s_andn2_b64 exec, exec, s[48:49]
	s_cbranch_execz .LBB1247_1268
.LBB1247_1264:                          ; =>This Inner Loop Header: Depth=1
	flat_load_ushort v22, v[18:19]
	flat_load_ushort v23, v[16:17]
	s_mov_b64 s[56:57], -1
	s_mov_b64 s[60:61], 0
	s_mov_b64 s[58:59], -1
	s_waitcnt vmcnt(0) lgkmcnt(0)
	v_cmp_nlt_f16_e64 s[12:13], v22, v23
	s_and_saveexec_b64 s[62:63], s[12:13]
; %bb.1265:                             ;   in Loop: Header=BB1247_1264 Depth=1
	v_cmp_ngt_f16_e64 s[12:13], v22, v23
	s_and_b64 s[54:55], s[12:13], s[54:55]
	s_orn2_b64 s[58:59], s[54:55], exec
	s_and_b64 s[60:61], s[12:13], exec
; %bb.1266:                             ;   in Loop: Header=BB1247_1264 Depth=1
	s_or_b64 exec, exec, s[62:63]
	s_andn2_b64 s[12:13], s[52:53], exec
	s_and_b64 s[52:53], s[58:59], exec
	s_or_b64 s[52:53], s[12:13], s[52:53]
                                        ; implicit-def: $sgpr54_sgpr55
	s_and_saveexec_b64 s[62:63], s[60:61]
	s_cbranch_execz .LBB1247_1263
; %bb.1267:                             ;   in Loop: Header=BB1247_1264 Depth=1
	v_lshl_add_u64 v[20:21], v[20:21], 0, -1
	v_cmp_eq_u64_e64 s[12:13], 0, v[20:21]
	v_lshl_add_u64 v[16:17], v[16:17], 0, 2
	v_lshl_add_u64 v[18:19], v[18:19], 0, 2
	s_and_b64 s[54:55], s[58:59], exec
	s_andn2_b64 s[52:53], s[52:53], exec
	s_orn2_b64 s[56:57], s[12:13], exec
	s_branch .LBB1247_1263
.LBB1247_1268:
	s_or_b64 exec, exec, s[48:49]
	s_xor_b64 s[12:13], s[50:51], -1
	s_andn2_b64 s[40:41], s[40:41], exec
	s_and_b64 s[12:13], s[12:13], exec
	s_or_b64 s[40:41], s[40:41], s[12:13]
.LBB1247_1269:
	s_or_b64 exec, exec, s[46:47]
	s_orn2_b64 s[40:41], s[40:41], exec
.LBB1247_1270:
	s_or_b64 exec, exec, s[44:45]
	v_cndmask_b32_e64 v16, v117, v114, s[40:41]
	v_cndmask_b32_e64 v17, v101, v100, s[40:41]
	v_add_u32_e32 v128, 1, v16
	v_add_u32_e32 v16, -1, v17
	v_min_u32_e32 v16, v128, v16
	v_mov_b32_e32 v17, 0
	v_lshl_add_u64 v[16:17], v[16:17], 3, v[66:67]
	flat_load_dwordx2 v[70:71], v[16:17]
	v_cndmask_b32_e64 v21, v27, v82, s[18:19]
	v_cndmask_b32_e64 v27, v24, v26, s[34:35]
	;; [unrolled: 1-line block ×15, first 2 shown]
	v_cmp_lt_u32_e64 s[12:13], v80, v101
	s_waitcnt vmcnt(0) lgkmcnt(0)
	v_cndmask_b32_e64 v15, v118, v71, s[40:41]
	v_cndmask_b32_e64 v14, v119, v70, s[40:41]
	s_and_saveexec_b64 s[18:19], s[12:13]
	s_cbranch_execz .LBB1247_1280
; %bb.1271:
	v_cndmask_b32_e64 v85, v70, v116, s[40:41]
	v_cndmask_b32_e64 v70, v114, v128, s[40:41]
	v_cmp_ge_u32_e64 s[12:13], v70, v100
	v_cndmask_b32_e64 v84, v71, v115, s[40:41]
	s_or_b64 s[30:31], s[12:13], s[8:9]
	v_cndmask_b32_e64 v71, v15, v84, s[12:13]
	s_xor_b64 s[34:35], s[30:31], -1
	v_cndmask_b32_e64 v70, v14, v85, s[12:13]
	s_and_saveexec_b64 s[30:31], s[34:35]
	s_cbranch_execz .LBB1247_1279
; %bb.1272:
	v_mul_lo_u32 v80, v15, v6
	v_mul_lo_u32 v81, v14, v7
	v_mad_u64_u32 v[70:71], s[12:13], v14, v6, 0
	v_add3_u32 v71, v71, v81, v80
	v_mul_lo_u32 v82, v84, v6
	v_mul_lo_u32 v83, v85, v7
	v_mad_u64_u32 v[80:81], s[12:13], v85, v6, 0
	v_add3_u32 v81, v81, v83, v82
	v_lshl_add_u64 v[70:71], v[70:71], 1, v[8:9]
	v_lshl_add_u64 v[80:81], v[80:81], 1, v[8:9]
	s_mov_b64 s[34:35], 0
	v_mov_b64_e32 v[82:83], v[6:7]
                                        ; implicit-def: $sgpr36_sgpr37
                                        ; implicit-def: $sgpr38_sgpr39
                                        ; implicit-def: $sgpr40_sgpr41
	s_branch .LBB1247_1274
.LBB1247_1273:                          ;   in Loop: Header=BB1247_1274 Depth=1
	s_or_b64 exec, exec, s[48:49]
	s_and_b64 s[12:13], exec, s[42:43]
	s_or_b64 s[34:35], s[12:13], s[34:35]
	s_andn2_b64 s[12:13], s[36:37], exec
	s_and_b64 s[36:37], s[38:39], exec
	s_or_b64 s[36:37], s[12:13], s[36:37]
	s_andn2_b64 exec, exec, s[34:35]
	s_cbranch_execz .LBB1247_1278
.LBB1247_1274:                          ; =>This Inner Loop Header: Depth=1
	flat_load_ushort v86, v[80:81]
	flat_load_ushort v87, v[70:71]
	s_mov_b64 s[42:43], -1
	s_mov_b64 s[46:47], 0
	s_mov_b64 s[44:45], -1
	s_waitcnt vmcnt(0) lgkmcnt(0)
	v_cmp_nlt_f16_e64 s[12:13], v86, v87
	s_and_saveexec_b64 s[48:49], s[12:13]
; %bb.1275:                             ;   in Loop: Header=BB1247_1274 Depth=1
	v_cmp_ngt_f16_e64 s[12:13], v86, v87
	s_and_b64 s[40:41], s[12:13], s[40:41]
	s_orn2_b64 s[44:45], s[40:41], exec
	s_and_b64 s[46:47], s[12:13], exec
; %bb.1276:                             ;   in Loop: Header=BB1247_1274 Depth=1
	s_or_b64 exec, exec, s[48:49]
	s_andn2_b64 s[12:13], s[38:39], exec
	s_and_b64 s[38:39], s[44:45], exec
	s_or_b64 s[38:39], s[12:13], s[38:39]
                                        ; implicit-def: $sgpr40_sgpr41
	s_and_saveexec_b64 s[48:49], s[46:47]
	s_cbranch_execz .LBB1247_1273
; %bb.1277:                             ;   in Loop: Header=BB1247_1274 Depth=1
	v_lshl_add_u64 v[82:83], v[82:83], 0, -1
	v_cmp_eq_u64_e64 s[12:13], 0, v[82:83]
	v_lshl_add_u64 v[70:71], v[70:71], 0, 2
	v_lshl_add_u64 v[80:81], v[80:81], 0, 2
	s_and_b64 s[40:41], s[44:45], exec
	s_andn2_b64 s[38:39], s[38:39], exec
	s_orn2_b64 s[42:43], s[12:13], exec
	s_branch .LBB1247_1273
.LBB1247_1278:
	s_or_b64 exec, exec, s[34:35]
	v_cndmask_b32_e64 v71, v15, v84, s[36:37]
	v_cndmask_b32_e64 v70, v14, v85, s[36:37]
.LBB1247_1279:
	s_or_b64 exec, exec, s[30:31]
	v_mov_b64_e32 v[14:15], v[70:71]
.LBB1247_1280:
	s_or_b64 exec, exec, s[18:19]
.LBB1247_1281:
	s_or_b64 exec, exec, s[28:29]
	v_and_b32_e32 v102, 0x3c0, v31
	v_or_b32_e32 v70, 32, v102
	v_min_u32_e32 v100, v1, v70
	v_add_u32_e32 v70, 32, v100
	v_min_u32_e32 v101, v1, v70
	v_and_b32_e32 v70, 56, v31
	v_min_u32_e32 v103, v1, v70
	v_sub_u32_e32 v70, v100, v102
	v_sub_u32_e32 v71, v101, v100
	v_sub_u32_e64 v112, v103, v71 clamp
	v_min_u32_e32 v113, v103, v70
	v_cmp_lt_u32_e64 s[12:13], v112, v113
	; wave barrier
	flat_store_dwordx4 v[68:69], v[24:27]
	flat_store_dwordx4 v[68:69], v[20:23] offset:16
	flat_store_dwordx4 v[68:69], v[16:19] offset:32
	;; [unrolled: 1-line block ×3, first 2 shown]
	; wave barrier
	s_and_saveexec_b64 s[18:19], s[12:13]
	s_cbranch_execz .LBB1247_1293
; %bb.1282:
	v_lshlrev_b32_e32 v70, 3, v102
	v_mov_b32_e32 v71, 0
	v_lshl_add_u64 v[80:81], v[66:67], 0, v[70:71]
	v_lshlrev_b32_e32 v70, 3, v100
	v_lshl_add_u64 v[82:83], v[66:67], 0, v[70:71]
	s_mov_b64 s[28:29], 0
	s_branch .LBB1247_1285
.LBB1247_1283:                          ;   in Loop: Header=BB1247_1285 Depth=1
	s_or_b64 exec, exec, s[34:35]
	s_and_b64 s[12:13], s[36:37], exec
.LBB1247_1284:                          ;   in Loop: Header=BB1247_1285 Depth=1
	s_or_b64 exec, exec, s[30:31]
	v_add_u32_e32 v70, 1, v84
	v_cndmask_b32_e64 v113, v113, v84, s[12:13]
	v_cndmask_b32_e64 v112, v70, v112, s[12:13]
	v_cmp_ge_u32_e64 s[12:13], v112, v113
	s_or_b64 s[28:29], s[12:13], s[28:29]
	s_andn2_b64 exec, exec, s[28:29]
	s_cbranch_execz .LBB1247_1292
.LBB1247_1285:                          ; =>This Loop Header: Depth=1
                                        ;     Child Loop BB1247_1288 Depth 2
	v_add_u32_e32 v70, v113, v112
	v_lshrrev_b32_e32 v84, 1, v70
	s_mov_b64 s[12:13], 0
	s_and_saveexec_b64 s[30:31], s[16:17]
	s_cbranch_execz .LBB1247_1284
; %bb.1286:                             ;   in Loop: Header=BB1247_1285 Depth=1
	v_mov_b32_e32 v85, v71
	v_xad_u32 v70, v84, -1, v103
	v_lshl_add_u64 v[86:87], v[84:85], 3, v[80:81]
	v_lshl_add_u64 v[96:97], v[70:71], 3, v[82:83]
	flat_load_dwordx2 v[86:87], v[86:87]
	s_mov_b64 s[34:35], 0
	flat_load_dwordx2 v[96:97], v[96:97]
                                        ; implicit-def: $sgpr36_sgpr37
                                        ; implicit-def: $sgpr38_sgpr39
                                        ; implicit-def: $sgpr40_sgpr41
	s_waitcnt vmcnt(0) lgkmcnt(0)
	v_mul_lo_u32 v70, v64, v87
	v_mul_lo_u32 v85, v65, v86
	v_mad_u64_u32 v[86:87], s[12:13], v64, v86, v[8:9]
	v_mul_lo_u32 v98, v64, v97
	v_mul_lo_u32 v99, v65, v96
	v_mad_u64_u32 v[96:97], s[12:13], v64, v96, v[8:9]
	v_add3_u32 v87, v85, v87, v70
	v_add3_u32 v97, v99, v97, v98
	v_mov_b64_e32 v[98:99], v[6:7]
	s_branch .LBB1247_1288
.LBB1247_1287:                          ;   in Loop: Header=BB1247_1288 Depth=2
	s_or_b64 exec, exec, s[48:49]
	s_and_b64 s[12:13], exec, s[42:43]
	s_or_b64 s[34:35], s[12:13], s[34:35]
	s_andn2_b64 s[12:13], s[36:37], exec
	s_and_b64 s[36:37], s[38:39], exec
	s_or_b64 s[36:37], s[12:13], s[36:37]
	s_andn2_b64 exec, exec, s[34:35]
	s_cbranch_execz .LBB1247_1283
.LBB1247_1288:                          ;   Parent Loop BB1247_1285 Depth=1
                                        ; =>  This Inner Loop Header: Depth=2
	flat_load_ushort v70, v[96:97]
	flat_load_ushort v85, v[86:87]
	s_mov_b64 s[42:43], -1
	s_mov_b64 s[46:47], 0
	s_mov_b64 s[44:45], -1
	s_waitcnt vmcnt(0) lgkmcnt(0)
	v_cmp_nlt_f16_e64 s[12:13], v70, v85
	s_and_saveexec_b64 s[48:49], s[12:13]
; %bb.1289:                             ;   in Loop: Header=BB1247_1288 Depth=2
	v_cmp_ngt_f16_e64 s[12:13], v70, v85
	s_and_b64 s[40:41], s[12:13], s[40:41]
	s_orn2_b64 s[44:45], s[40:41], exec
	s_and_b64 s[46:47], s[12:13], exec
; %bb.1290:                             ;   in Loop: Header=BB1247_1288 Depth=2
	s_or_b64 exec, exec, s[48:49]
	s_andn2_b64 s[12:13], s[38:39], exec
	s_and_b64 s[38:39], s[44:45], exec
	s_or_b64 s[38:39], s[12:13], s[38:39]
                                        ; implicit-def: $sgpr40_sgpr41
	s_and_saveexec_b64 s[48:49], s[46:47]
	s_cbranch_execz .LBB1247_1287
; %bb.1291:                             ;   in Loop: Header=BB1247_1288 Depth=2
	v_lshl_add_u64 v[98:99], v[98:99], 0, -1
	v_cmp_eq_u64_e64 s[12:13], 0, v[98:99]
	v_lshl_add_u64 v[86:87], v[86:87], 0, 2
	v_lshl_add_u64 v[96:97], v[96:97], 0, 2
	s_andn2_b64 s[38:39], s[38:39], exec
	s_and_b64 s[40:41], s[44:45], exec
	s_orn2_b64 s[42:43], s[12:13], exec
	s_branch .LBB1247_1287
.LBB1247_1292:
	s_or_b64 exec, exec, s[28:29]
.LBB1247_1293:
	s_or_b64 exec, exec, s[18:19]
	v_add_u32_e32 v71, v100, v103
	v_add_u32_e32 v70, v112, v102
	v_sub_u32_e32 v80, v71, v112
	v_cmp_le_u32_e64 s[12:13], v70, v100
	v_cmp_le_u32_e64 s[18:19], v80, v101
	s_or_b64 s[12:13], s[12:13], s[18:19]
	s_and_saveexec_b64 s[28:29], s[12:13]
	s_cbranch_execz .LBB1247_1381
; %bb.1294:
	v_cmp_ge_u32_e64 s[18:19], v70, v100
	v_cmp_lt_u32_e64 s[12:13], v70, v100
                                        ; implicit-def: $vgpr12_vgpr13
	s_and_saveexec_b64 s[30:31], s[12:13]
	s_cbranch_execz .LBB1247_1296
; %bb.1295:
	v_mov_b32_e32 v71, 0
	v_lshl_add_u64 v[12:13], v[70:71], 3, v[66:67]
	flat_load_dwordx2 v[12:13], v[12:13]
.LBB1247_1296:
	s_or_b64 exec, exec, s[30:31]
	v_cmp_ge_u32_e64 s[30:31], v80, v101
	v_cmp_lt_u32_e64 s[12:13], v80, v101
                                        ; implicit-def: $vgpr14_vgpr15
	s_and_saveexec_b64 s[34:35], s[12:13]
	s_cbranch_execz .LBB1247_1298
; %bb.1297:
	v_mov_b32_e32 v81, 0
	v_lshl_add_u64 v[14:15], v[80:81], 3, v[66:67]
	flat_load_dwordx2 v[14:15], v[14:15]
.LBB1247_1298:
	s_or_b64 exec, exec, s[34:35]
	s_or_b64 s[12:13], s[18:19], s[30:31]
	s_xor_b64 s[12:13], s[12:13], -1
	s_and_saveexec_b64 s[18:19], s[12:13]
	s_cbranch_execz .LBB1247_1308
; %bb.1299:
	s_mov_b64 s[12:13], 0
	s_and_saveexec_b64 s[34:35], s[16:17]
	s_cbranch_execz .LBB1247_1307
; %bb.1300:
	s_waitcnt vmcnt(0) lgkmcnt(0)
	v_mul_lo_u32 v18, v13, v6
	v_mul_lo_u32 v19, v12, v7
	v_mad_u64_u32 v[16:17], s[12:13], v12, v6, 0
	v_add3_u32 v17, v17, v19, v18
	v_mul_lo_u32 v20, v15, v6
	v_mul_lo_u32 v21, v14, v7
	v_mad_u64_u32 v[18:19], s[12:13], v14, v6, 0
	v_add3_u32 v19, v19, v21, v20
	v_lshl_add_u64 v[16:17], v[16:17], 1, v[8:9]
	v_lshl_add_u64 v[18:19], v[18:19], 1, v[8:9]
	s_mov_b64 s[36:37], 0
	v_mov_b64_e32 v[20:21], v[6:7]
                                        ; implicit-def: $sgpr38_sgpr39
                                        ; implicit-def: $sgpr40_sgpr41
                                        ; implicit-def: $sgpr42_sgpr43
	s_branch .LBB1247_1302
.LBB1247_1301:                          ;   in Loop: Header=BB1247_1302 Depth=1
	s_or_b64 exec, exec, s[48:49]
	s_and_b64 s[12:13], exec, s[12:13]
	s_or_b64 s[36:37], s[12:13], s[36:37]
	s_andn2_b64 s[12:13], s[38:39], exec
	s_and_b64 s[38:39], s[40:41], exec
	s_or_b64 s[38:39], s[12:13], s[38:39]
	s_andn2_b64 exec, exec, s[36:37]
	s_cbranch_execz .LBB1247_1306
.LBB1247_1302:                          ; =>This Inner Loop Header: Depth=1
	flat_load_ushort v22, v[18:19]
	flat_load_ushort v23, v[16:17]
	s_mov_b64 s[46:47], 0
	s_mov_b64 s[44:45], -1
	s_waitcnt vmcnt(0) lgkmcnt(0)
	v_cmp_nlt_f16_e64 s[12:13], v22, v23
	s_and_saveexec_b64 s[48:49], s[12:13]
; %bb.1303:                             ;   in Loop: Header=BB1247_1302 Depth=1
	v_cmp_ngt_f16_e64 s[12:13], v22, v23
	s_and_b64 s[42:43], s[12:13], s[42:43]
	s_orn2_b64 s[44:45], s[42:43], exec
	s_and_b64 s[46:47], s[12:13], exec
; %bb.1304:                             ;   in Loop: Header=BB1247_1302 Depth=1
	s_or_b64 exec, exec, s[48:49]
	s_andn2_b64 s[40:41], s[40:41], exec
	s_and_b64 s[42:43], s[44:45], exec
	s_mov_b64 s[12:13], -1
	s_or_b64 s[40:41], s[40:41], s[42:43]
                                        ; implicit-def: $sgpr42_sgpr43
	s_and_saveexec_b64 s[48:49], s[46:47]
	s_cbranch_execz .LBB1247_1301
; %bb.1305:                             ;   in Loop: Header=BB1247_1302 Depth=1
	v_lshl_add_u64 v[20:21], v[20:21], 0, -1
	v_cmp_eq_u64_e64 s[12:13], 0, v[20:21]
	v_lshl_add_u64 v[16:17], v[16:17], 0, 2
	v_lshl_add_u64 v[18:19], v[18:19], 0, 2
	s_andn2_b64 s[40:41], s[40:41], exec
	s_and_b64 s[42:43], s[44:45], exec
	s_orn2_b64 s[12:13], s[12:13], exec
	s_branch .LBB1247_1301
.LBB1247_1306:
	s_or_b64 exec, exec, s[36:37]
	s_and_b64 s[12:13], s[38:39], exec
.LBB1247_1307:
	s_or_b64 exec, exec, s[34:35]
	s_xor_b64 s[12:13], s[12:13], -1
	s_andn2_b64 s[30:31], s[30:31], exec
	s_and_b64 s[12:13], s[12:13], exec
	s_or_b64 s[30:31], s[30:31], s[12:13]
.LBB1247_1308:
	s_or_b64 exec, exec, s[18:19]
	v_cndmask_b32_e64 v16, v80, v70, s[30:31]
	v_cndmask_b32_e64 v17, v101, v100, s[30:31]
	v_add_u32_e32 v20, 1, v16
	v_add_u32_e32 v16, -1, v17
	v_min_u32_e32 v16, v20, v16
	v_mov_b32_e32 v17, 0
	v_lshl_add_u64 v[18:19], v[16:17], 3, v[66:67]
	flat_load_dwordx2 v[18:19], v[18:19]
	v_cndmask_b32_e64 v27, v20, v80, s[30:31]
	s_mov_b64 s[18:19], -1
	v_cndmask_b32_e64 v70, v70, v20, s[30:31]
	v_cmp_lt_u32_e64 s[12:13], v27, v101
	s_mov_b64 s[34:35], -1
	s_waitcnt vmcnt(0) lgkmcnt(0)
	v_cndmask_b32_e64 v24, v19, v15, s[30:31]
	v_cndmask_b32_e64 v25, v18, v14, s[30:31]
	;; [unrolled: 1-line block ×4, first 2 shown]
	s_and_saveexec_b64 s[36:37], s[12:13]
	s_cbranch_execz .LBB1247_1320
; %bb.1309:
	v_cmp_lt_u32_e64 s[12:13], v70, v100
	s_mov_b64 s[38:39], 0
	s_and_saveexec_b64 s[34:35], s[12:13]
	s_cbranch_execz .LBB1247_1319
; %bb.1310:
	s_mov_b64 s[12:13], 0
	s_and_saveexec_b64 s[38:39], s[16:17]
	s_cbranch_execz .LBB1247_1318
; %bb.1311:
	v_mul_lo_u32 v16, v26, v6
	v_mul_lo_u32 v20, v80, v7
	v_mad_u64_u32 v[18:19], s[12:13], v80, v6, 0
	v_add3_u32 v19, v19, v20, v16
	v_mul_lo_u32 v16, v24, v6
	v_mul_lo_u32 v22, v25, v7
	v_mad_u64_u32 v[20:21], s[12:13], v25, v6, 0
	v_add3_u32 v21, v21, v22, v16
	v_lshl_add_u64 v[18:19], v[18:19], 1, v[8:9]
	v_lshl_add_u64 v[20:21], v[20:21], 1, v[8:9]
	s_mov_b64 s[40:41], 0
	v_mov_b64_e32 v[22:23], v[6:7]
                                        ; implicit-def: $sgpr42_sgpr43
                                        ; implicit-def: $sgpr44_sgpr45
                                        ; implicit-def: $sgpr46_sgpr47
	s_branch .LBB1247_1313
.LBB1247_1312:                          ;   in Loop: Header=BB1247_1313 Depth=1
	s_or_b64 exec, exec, s[52:53]
	s_and_b64 s[12:13], exec, s[12:13]
	s_or_b64 s[40:41], s[12:13], s[40:41]
	s_andn2_b64 s[12:13], s[42:43], exec
	s_and_b64 s[42:43], s[44:45], exec
	s_or_b64 s[42:43], s[12:13], s[42:43]
	s_andn2_b64 exec, exec, s[40:41]
	s_cbranch_execz .LBB1247_1317
.LBB1247_1313:                          ; =>This Inner Loop Header: Depth=1
	flat_load_ushort v16, v[20:21]
	flat_load_ushort v71, v[18:19]
	s_mov_b64 s[50:51], 0
	s_mov_b64 s[48:49], -1
	s_waitcnt vmcnt(0) lgkmcnt(0)
	v_cmp_nlt_f16_e64 s[12:13], v16, v71
	s_and_saveexec_b64 s[52:53], s[12:13]
; %bb.1314:                             ;   in Loop: Header=BB1247_1313 Depth=1
	v_cmp_ngt_f16_e64 s[12:13], v16, v71
	s_and_b64 s[46:47], s[12:13], s[46:47]
	s_orn2_b64 s[48:49], s[46:47], exec
	s_and_b64 s[50:51], s[12:13], exec
; %bb.1315:                             ;   in Loop: Header=BB1247_1313 Depth=1
	s_or_b64 exec, exec, s[52:53]
	s_andn2_b64 s[44:45], s[44:45], exec
	s_and_b64 s[46:47], s[48:49], exec
	s_mov_b64 s[12:13], -1
	s_or_b64 s[44:45], s[44:45], s[46:47]
                                        ; implicit-def: $sgpr46_sgpr47
	s_and_saveexec_b64 s[52:53], s[50:51]
	s_cbranch_execz .LBB1247_1312
; %bb.1316:                             ;   in Loop: Header=BB1247_1313 Depth=1
	v_lshl_add_u64 v[22:23], v[22:23], 0, -1
	v_cmp_eq_u64_e64 s[12:13], 0, v[22:23]
	v_lshl_add_u64 v[18:19], v[18:19], 0, 2
	v_lshl_add_u64 v[20:21], v[20:21], 0, 2
	s_andn2_b64 s[44:45], s[44:45], exec
	s_and_b64 s[46:47], s[48:49], exec
	s_orn2_b64 s[12:13], s[12:13], exec
	s_branch .LBB1247_1312
.LBB1247_1317:
	s_or_b64 exec, exec, s[40:41]
	s_and_b64 s[12:13], s[42:43], exec
.LBB1247_1318:
	s_or_b64 exec, exec, s[38:39]
	s_xor_b64 s[12:13], s[12:13], -1
	s_and_b64 s[38:39], s[12:13], exec
.LBB1247_1319:
	s_or_b64 exec, exec, s[34:35]
	s_orn2_b64 s[34:35], s[38:39], exec
.LBB1247_1320:
	s_or_b64 exec, exec, s[36:37]
	v_cndmask_b32_e64 v16, v27, v70, s[34:35]
	v_cndmask_b32_e64 v18, v101, v100, s[34:35]
	v_add_u32_e32 v19, 1, v16
	v_add_u32_e32 v16, -1, v18
	v_min_u32_e32 v16, v19, v16
	v_lshl_add_u64 v[16:17], v[16:17], 3, v[66:67]
	flat_load_dwordx2 v[16:17], v[16:17]
	v_cndmask_b32_e64 v22, v19, v27, s[34:35]
	v_cndmask_b32_e64 v23, v70, v19, s[34:35]
	v_cmp_lt_u32_e64 s[12:13], v22, v101
	s_waitcnt vmcnt(0) lgkmcnt(0)
	v_cndmask_b32_e64 v27, v17, v24, s[34:35]
	v_cndmask_b32_e64 v81, v16, v25, s[34:35]
	;; [unrolled: 1-line block ×4, first 2 shown]
	s_and_saveexec_b64 s[36:37], s[12:13]
	s_cbranch_execz .LBB1247_1330
; %bb.1321:
	v_cmp_lt_u32_e64 s[18:19], v23, v100
	s_and_b64 s[12:13], s[18:19], s[26:27]
	s_and_saveexec_b64 s[38:39], s[12:13]
	s_cbranch_execz .LBB1247_1329
; %bb.1322:
	v_mul_lo_u32 v18, v82, v6
	v_mul_lo_u32 v19, v83, v7
	v_mad_u64_u32 v[16:17], s[12:13], v83, v6, 0
	v_add3_u32 v17, v17, v19, v18
	v_mul_lo_u32 v20, v27, v6
	v_mul_lo_u32 v21, v81, v7
	v_mad_u64_u32 v[18:19], s[12:13], v81, v6, 0
	v_add3_u32 v19, v19, v21, v20
	v_lshl_add_u64 v[16:17], v[16:17], 1, v[8:9]
	v_lshl_add_u64 v[18:19], v[18:19], 1, v[8:9]
	s_mov_b64 s[40:41], 0
	v_mov_b64_e32 v[20:21], v[6:7]
                                        ; implicit-def: $sgpr42_sgpr43
                                        ; implicit-def: $sgpr44_sgpr45
                                        ; implicit-def: $sgpr46_sgpr47
	s_branch .LBB1247_1324
.LBB1247_1323:                          ;   in Loop: Header=BB1247_1324 Depth=1
	s_or_b64 exec, exec, s[54:55]
	s_and_b64 s[12:13], exec, s[48:49]
	s_or_b64 s[40:41], s[12:13], s[40:41]
	s_andn2_b64 s[12:13], s[42:43], exec
	s_and_b64 s[42:43], s[44:45], exec
	s_or_b64 s[42:43], s[12:13], s[42:43]
	s_andn2_b64 exec, exec, s[40:41]
	s_cbranch_execz .LBB1247_1328
.LBB1247_1324:                          ; =>This Inner Loop Header: Depth=1
	flat_load_ushort v70, v[18:19]
	flat_load_ushort v71, v[16:17]
	s_mov_b64 s[48:49], -1
	s_mov_b64 s[52:53], 0
	s_mov_b64 s[50:51], -1
	s_waitcnt vmcnt(0) lgkmcnt(0)
	v_cmp_nlt_f16_e64 s[12:13], v70, v71
	s_and_saveexec_b64 s[54:55], s[12:13]
; %bb.1325:                             ;   in Loop: Header=BB1247_1324 Depth=1
	v_cmp_ngt_f16_e64 s[12:13], v70, v71
	s_and_b64 s[46:47], s[12:13], s[46:47]
	s_orn2_b64 s[50:51], s[46:47], exec
	s_and_b64 s[52:53], s[12:13], exec
; %bb.1326:                             ;   in Loop: Header=BB1247_1324 Depth=1
	s_or_b64 exec, exec, s[54:55]
	s_andn2_b64 s[12:13], s[44:45], exec
	s_and_b64 s[44:45], s[50:51], exec
	s_or_b64 s[44:45], s[12:13], s[44:45]
                                        ; implicit-def: $sgpr46_sgpr47
	s_and_saveexec_b64 s[54:55], s[52:53]
	s_cbranch_execz .LBB1247_1323
; %bb.1327:                             ;   in Loop: Header=BB1247_1324 Depth=1
	v_lshl_add_u64 v[20:21], v[20:21], 0, -1
	v_cmp_eq_u64_e64 s[12:13], 0, v[20:21]
	v_lshl_add_u64 v[16:17], v[16:17], 0, 2
	v_lshl_add_u64 v[18:19], v[18:19], 0, 2
	s_and_b64 s[46:47], s[50:51], exec
	s_andn2_b64 s[44:45], s[44:45], exec
	s_orn2_b64 s[48:49], s[12:13], exec
	s_branch .LBB1247_1323
.LBB1247_1328:
	s_or_b64 exec, exec, s[40:41]
	s_xor_b64 s[12:13], s[42:43], -1
	s_andn2_b64 s[18:19], s[18:19], exec
	s_and_b64 s[12:13], s[12:13], exec
	s_or_b64 s[18:19], s[18:19], s[12:13]
.LBB1247_1329:
	s_or_b64 exec, exec, s[38:39]
	s_orn2_b64 s[18:19], s[18:19], exec
.LBB1247_1330:
	s_or_b64 exec, exec, s[36:37]
	v_cndmask_b32_e64 v16, v22, v23, s[18:19]
	v_cndmask_b32_e64 v17, v101, v100, s[18:19]
	v_add_u32_e32 v20, 1, v16
	v_add_u32_e32 v16, -1, v17
	v_min_u32_e32 v16, v20, v16
	v_mov_b32_e32 v17, 0
	v_lshl_add_u64 v[18:19], v[16:17], 3, v[66:67]
	flat_load_dwordx2 v[18:19], v[18:19]
	v_cndmask_b32_e64 v70, v20, v22, s[18:19]
	s_mov_b64 s[36:37], -1
	v_cndmask_b32_e64 v71, v23, v20, s[18:19]
	v_cmp_lt_u32_e64 s[12:13], v70, v101
	s_mov_b64 s[38:39], -1
	s_waitcnt vmcnt(0) lgkmcnt(0)
	v_cndmask_b32_e64 v84, v19, v27, s[18:19]
	v_cndmask_b32_e64 v85, v18, v81, s[18:19]
	;; [unrolled: 1-line block ×4, first 2 shown]
	s_and_saveexec_b64 s[40:41], s[12:13]
	s_cbranch_execz .LBB1247_1340
; %bb.1331:
	v_cmp_lt_u32_e64 s[38:39], v71, v100
	s_and_b64 s[12:13], s[38:39], s[26:27]
	s_and_saveexec_b64 s[42:43], s[12:13]
	s_cbranch_execz .LBB1247_1339
; %bb.1332:
	v_mul_lo_u32 v16, v86, v6
	v_mul_lo_u32 v20, v87, v7
	v_mad_u64_u32 v[18:19], s[12:13], v87, v6, 0
	v_add3_u32 v19, v19, v20, v16
	v_mul_lo_u32 v16, v84, v6
	v_mul_lo_u32 v22, v85, v7
	v_mad_u64_u32 v[20:21], s[12:13], v85, v6, 0
	v_add3_u32 v21, v21, v22, v16
	v_lshl_add_u64 v[18:19], v[18:19], 1, v[8:9]
	v_lshl_add_u64 v[20:21], v[20:21], 1, v[8:9]
	s_mov_b64 s[44:45], 0
	v_mov_b64_e32 v[22:23], v[6:7]
                                        ; implicit-def: $sgpr46_sgpr47
                                        ; implicit-def: $sgpr48_sgpr49
                                        ; implicit-def: $sgpr50_sgpr51
	s_branch .LBB1247_1334
.LBB1247_1333:                          ;   in Loop: Header=BB1247_1334 Depth=1
	s_or_b64 exec, exec, s[58:59]
	s_and_b64 s[12:13], exec, s[52:53]
	s_or_b64 s[44:45], s[12:13], s[44:45]
	s_andn2_b64 s[12:13], s[46:47], exec
	s_and_b64 s[46:47], s[48:49], exec
	s_or_b64 s[46:47], s[12:13], s[46:47]
	s_andn2_b64 exec, exec, s[44:45]
	s_cbranch_execz .LBB1247_1338
.LBB1247_1334:                          ; =>This Inner Loop Header: Depth=1
	flat_load_ushort v16, v[20:21]
	flat_load_ushort v96, v[18:19]
	s_mov_b64 s[52:53], -1
	s_mov_b64 s[56:57], 0
	s_mov_b64 s[54:55], -1
	s_waitcnt vmcnt(0) lgkmcnt(0)
	v_cmp_nlt_f16_e64 s[12:13], v16, v96
	s_and_saveexec_b64 s[58:59], s[12:13]
; %bb.1335:                             ;   in Loop: Header=BB1247_1334 Depth=1
	v_cmp_ngt_f16_e64 s[12:13], v16, v96
	s_and_b64 s[50:51], s[12:13], s[50:51]
	s_orn2_b64 s[54:55], s[50:51], exec
	s_and_b64 s[56:57], s[12:13], exec
; %bb.1336:                             ;   in Loop: Header=BB1247_1334 Depth=1
	s_or_b64 exec, exec, s[58:59]
	s_andn2_b64 s[12:13], s[48:49], exec
	s_and_b64 s[48:49], s[54:55], exec
	s_or_b64 s[48:49], s[12:13], s[48:49]
                                        ; implicit-def: $sgpr50_sgpr51
	s_and_saveexec_b64 s[58:59], s[56:57]
	s_cbranch_execz .LBB1247_1333
; %bb.1337:                             ;   in Loop: Header=BB1247_1334 Depth=1
	v_lshl_add_u64 v[22:23], v[22:23], 0, -1
	v_cmp_eq_u64_e64 s[12:13], 0, v[22:23]
	v_lshl_add_u64 v[18:19], v[18:19], 0, 2
	v_lshl_add_u64 v[20:21], v[20:21], 0, 2
	s_and_b64 s[50:51], s[54:55], exec
	s_andn2_b64 s[48:49], s[48:49], exec
	s_orn2_b64 s[52:53], s[12:13], exec
	s_branch .LBB1247_1333
.LBB1247_1338:
	s_or_b64 exec, exec, s[44:45]
	s_xor_b64 s[12:13], s[46:47], -1
	s_andn2_b64 s[38:39], s[38:39], exec
	s_and_b64 s[12:13], s[12:13], exec
	s_or_b64 s[38:39], s[38:39], s[12:13]
.LBB1247_1339:
	s_or_b64 exec, exec, s[42:43]
	s_orn2_b64 s[38:39], s[38:39], exec
.LBB1247_1340:
	s_or_b64 exec, exec, s[40:41]
	v_cndmask_b32_e64 v16, v70, v71, s[38:39]
	v_cndmask_b32_e64 v18, v101, v100, s[38:39]
	v_add_u32_e32 v19, 1, v16
	v_add_u32_e32 v16, -1, v18
	v_min_u32_e32 v16, v19, v16
	v_lshl_add_u64 v[16:17], v[16:17], 3, v[66:67]
	flat_load_dwordx2 v[16:17], v[16:17]
	v_cndmask_b32_e64 v22, v19, v70, s[38:39]
	v_cndmask_b32_e64 v23, v71, v19, s[38:39]
	v_cmp_lt_u32_e64 s[12:13], v22, v101
	s_waitcnt vmcnt(0) lgkmcnt(0)
	v_cndmask_b32_e64 v96, v17, v84, s[38:39]
	v_cndmask_b32_e64 v97, v16, v85, s[38:39]
	;; [unrolled: 1-line block ×4, first 2 shown]
	s_and_saveexec_b64 s[40:41], s[12:13]
	s_cbranch_execz .LBB1247_1350
; %bb.1341:
	v_cmp_lt_u32_e64 s[36:37], v23, v100
	s_and_b64 s[12:13], s[36:37], s[26:27]
	s_and_saveexec_b64 s[42:43], s[12:13]
	s_cbranch_execz .LBB1247_1349
; %bb.1342:
	v_mul_lo_u32 v18, v98, v6
	v_mul_lo_u32 v19, v99, v7
	v_mad_u64_u32 v[16:17], s[12:13], v99, v6, 0
	v_add3_u32 v17, v17, v19, v18
	v_mul_lo_u32 v20, v96, v6
	v_mul_lo_u32 v21, v97, v7
	v_mad_u64_u32 v[18:19], s[12:13], v97, v6, 0
	v_add3_u32 v19, v19, v21, v20
	v_lshl_add_u64 v[16:17], v[16:17], 1, v[8:9]
	v_lshl_add_u64 v[18:19], v[18:19], 1, v[8:9]
	s_mov_b64 s[44:45], 0
	v_mov_b64_e32 v[20:21], v[6:7]
                                        ; implicit-def: $sgpr46_sgpr47
                                        ; implicit-def: $sgpr48_sgpr49
                                        ; implicit-def: $sgpr50_sgpr51
	s_branch .LBB1247_1344
.LBB1247_1343:                          ;   in Loop: Header=BB1247_1344 Depth=1
	s_or_b64 exec, exec, s[58:59]
	s_and_b64 s[12:13], exec, s[52:53]
	s_or_b64 s[44:45], s[12:13], s[44:45]
	s_andn2_b64 s[12:13], s[46:47], exec
	s_and_b64 s[46:47], s[48:49], exec
	s_or_b64 s[46:47], s[12:13], s[46:47]
	s_andn2_b64 exec, exec, s[44:45]
	s_cbranch_execz .LBB1247_1348
.LBB1247_1344:                          ; =>This Inner Loop Header: Depth=1
	flat_load_ushort v70, v[18:19]
	flat_load_ushort v71, v[16:17]
	s_mov_b64 s[52:53], -1
	s_mov_b64 s[56:57], 0
	s_mov_b64 s[54:55], -1
	s_waitcnt vmcnt(0) lgkmcnt(0)
	v_cmp_nlt_f16_e64 s[12:13], v70, v71
	s_and_saveexec_b64 s[58:59], s[12:13]
; %bb.1345:                             ;   in Loop: Header=BB1247_1344 Depth=1
	v_cmp_ngt_f16_e64 s[12:13], v70, v71
	s_and_b64 s[50:51], s[12:13], s[50:51]
	s_orn2_b64 s[54:55], s[50:51], exec
	s_and_b64 s[56:57], s[12:13], exec
; %bb.1346:                             ;   in Loop: Header=BB1247_1344 Depth=1
	s_or_b64 exec, exec, s[58:59]
	s_andn2_b64 s[12:13], s[48:49], exec
	s_and_b64 s[48:49], s[54:55], exec
	s_or_b64 s[48:49], s[12:13], s[48:49]
                                        ; implicit-def: $sgpr50_sgpr51
	s_and_saveexec_b64 s[58:59], s[56:57]
	s_cbranch_execz .LBB1247_1343
; %bb.1347:                             ;   in Loop: Header=BB1247_1344 Depth=1
	v_lshl_add_u64 v[20:21], v[20:21], 0, -1
	v_cmp_eq_u64_e64 s[12:13], 0, v[20:21]
	v_lshl_add_u64 v[16:17], v[16:17], 0, 2
	v_lshl_add_u64 v[18:19], v[18:19], 0, 2
	s_and_b64 s[50:51], s[54:55], exec
	s_andn2_b64 s[48:49], s[48:49], exec
	s_orn2_b64 s[52:53], s[12:13], exec
	s_branch .LBB1247_1343
.LBB1247_1348:
	s_or_b64 exec, exec, s[44:45]
	s_xor_b64 s[12:13], s[46:47], -1
	s_andn2_b64 s[36:37], s[36:37], exec
	s_and_b64 s[12:13], s[12:13], exec
	s_or_b64 s[36:37], s[36:37], s[12:13]
.LBB1247_1349:
	s_or_b64 exec, exec, s[42:43]
	s_orn2_b64 s[36:37], s[36:37], exec
.LBB1247_1350:
	s_or_b64 exec, exec, s[40:41]
	v_cndmask_b32_e64 v16, v22, v23, s[36:37]
	v_cndmask_b32_e64 v17, v101, v100, s[36:37]
	v_add_u32_e32 v20, 1, v16
	v_add_u32_e32 v16, -1, v17
	v_min_u32_e32 v16, v20, v16
	v_mov_b32_e32 v17, 0
	v_lshl_add_u64 v[18:19], v[16:17], 3, v[66:67]
	flat_load_dwordx2 v[18:19], v[18:19]
	v_cndmask_b32_e64 v70, v20, v22, s[36:37]
	s_mov_b64 s[40:41], -1
	v_cndmask_b32_e64 v71, v23, v20, s[36:37]
	v_cmp_lt_u32_e64 s[12:13], v70, v101
	s_mov_b64 s[42:43], -1
	s_waitcnt vmcnt(0) lgkmcnt(0)
	v_cndmask_b32_e64 v102, v19, v96, s[36:37]
	v_cndmask_b32_e64 v103, v18, v97, s[36:37]
	;; [unrolled: 1-line block ×4, first 2 shown]
	s_and_saveexec_b64 s[44:45], s[12:13]
	s_cbranch_execz .LBB1247_1360
; %bb.1351:
	v_cmp_lt_u32_e64 s[42:43], v71, v100
	s_and_b64 s[12:13], s[42:43], s[26:27]
	s_and_saveexec_b64 s[46:47], s[12:13]
	s_cbranch_execz .LBB1247_1359
; %bb.1352:
	v_mul_lo_u32 v16, v112, v6
	v_mul_lo_u32 v20, v113, v7
	v_mad_u64_u32 v[18:19], s[12:13], v113, v6, 0
	v_add3_u32 v19, v19, v20, v16
	v_mul_lo_u32 v16, v102, v6
	v_mul_lo_u32 v22, v103, v7
	v_mad_u64_u32 v[20:21], s[12:13], v103, v6, 0
	v_add3_u32 v21, v21, v22, v16
	v_lshl_add_u64 v[18:19], v[18:19], 1, v[8:9]
	v_lshl_add_u64 v[20:21], v[20:21], 1, v[8:9]
	s_mov_b64 s[48:49], 0
	v_mov_b64_e32 v[22:23], v[6:7]
                                        ; implicit-def: $sgpr50_sgpr51
                                        ; implicit-def: $sgpr52_sgpr53
                                        ; implicit-def: $sgpr54_sgpr55
	s_branch .LBB1247_1354
.LBB1247_1353:                          ;   in Loop: Header=BB1247_1354 Depth=1
	s_or_b64 exec, exec, s[62:63]
	s_and_b64 s[12:13], exec, s[56:57]
	s_or_b64 s[48:49], s[12:13], s[48:49]
	s_andn2_b64 s[12:13], s[50:51], exec
	s_and_b64 s[50:51], s[52:53], exec
	s_or_b64 s[50:51], s[12:13], s[50:51]
	s_andn2_b64 exec, exec, s[48:49]
	s_cbranch_execz .LBB1247_1358
.LBB1247_1354:                          ; =>This Inner Loop Header: Depth=1
	flat_load_ushort v16, v[20:21]
	flat_load_ushort v114, v[18:19]
	s_mov_b64 s[56:57], -1
	s_mov_b64 s[60:61], 0
	s_mov_b64 s[58:59], -1
	s_waitcnt vmcnt(0) lgkmcnt(0)
	v_cmp_nlt_f16_e64 s[12:13], v16, v114
	s_and_saveexec_b64 s[62:63], s[12:13]
; %bb.1355:                             ;   in Loop: Header=BB1247_1354 Depth=1
	v_cmp_ngt_f16_e64 s[12:13], v16, v114
	s_and_b64 s[54:55], s[12:13], s[54:55]
	s_orn2_b64 s[58:59], s[54:55], exec
	s_and_b64 s[60:61], s[12:13], exec
; %bb.1356:                             ;   in Loop: Header=BB1247_1354 Depth=1
	s_or_b64 exec, exec, s[62:63]
	s_andn2_b64 s[12:13], s[52:53], exec
	s_and_b64 s[52:53], s[58:59], exec
	s_or_b64 s[52:53], s[12:13], s[52:53]
                                        ; implicit-def: $sgpr54_sgpr55
	s_and_saveexec_b64 s[62:63], s[60:61]
	s_cbranch_execz .LBB1247_1353
; %bb.1357:                             ;   in Loop: Header=BB1247_1354 Depth=1
	v_lshl_add_u64 v[22:23], v[22:23], 0, -1
	v_cmp_eq_u64_e64 s[12:13], 0, v[22:23]
	v_lshl_add_u64 v[18:19], v[18:19], 0, 2
	v_lshl_add_u64 v[20:21], v[20:21], 0, 2
	s_and_b64 s[54:55], s[58:59], exec
	s_andn2_b64 s[52:53], s[52:53], exec
	s_orn2_b64 s[56:57], s[12:13], exec
	s_branch .LBB1247_1353
.LBB1247_1358:
	s_or_b64 exec, exec, s[48:49]
	s_xor_b64 s[12:13], s[50:51], -1
	s_andn2_b64 s[42:43], s[42:43], exec
	s_and_b64 s[12:13], s[12:13], exec
	s_or_b64 s[42:43], s[42:43], s[12:13]
.LBB1247_1359:
	s_or_b64 exec, exec, s[46:47]
	s_orn2_b64 s[42:43], s[42:43], exec
.LBB1247_1360:
	s_or_b64 exec, exec, s[44:45]
	v_cndmask_b32_e64 v16, v70, v71, s[42:43]
	v_cndmask_b32_e64 v18, v101, v100, s[42:43]
	v_add_u32_e32 v19, 1, v16
	v_add_u32_e32 v16, -1, v18
	v_min_u32_e32 v16, v19, v16
	v_lshl_add_u64 v[16:17], v[16:17], 3, v[66:67]
	flat_load_dwordx2 v[16:17], v[16:17]
	v_cndmask_b32_e64 v117, v19, v70, s[42:43]
	v_cndmask_b32_e64 v114, v71, v19, s[42:43]
	v_cmp_lt_u32_e64 s[12:13], v117, v101
	s_waitcnt vmcnt(0) lgkmcnt(0)
	v_cndmask_b32_e64 v115, v17, v102, s[42:43]
	v_cndmask_b32_e64 v116, v16, v103, s[42:43]
	v_cndmask_b32_e64 v118, v112, v17, s[42:43]
	v_cndmask_b32_e64 v119, v113, v16, s[42:43]
	s_and_saveexec_b64 s[44:45], s[12:13]
	s_cbranch_execz .LBB1247_1370
; %bb.1361:
	v_cmp_lt_u32_e64 s[40:41], v114, v100
	s_and_b64 s[12:13], s[40:41], s[26:27]
	s_and_saveexec_b64 s[46:47], s[12:13]
	s_cbranch_execz .LBB1247_1369
; %bb.1362:
	v_mul_lo_u32 v18, v118, v6
	v_mul_lo_u32 v19, v119, v7
	v_mad_u64_u32 v[16:17], s[12:13], v119, v6, 0
	v_add3_u32 v17, v17, v19, v18
	v_mul_lo_u32 v20, v115, v6
	v_mul_lo_u32 v21, v116, v7
	v_mad_u64_u32 v[18:19], s[12:13], v116, v6, 0
	v_add3_u32 v19, v19, v21, v20
	v_lshl_add_u64 v[16:17], v[16:17], 1, v[8:9]
	v_lshl_add_u64 v[18:19], v[18:19], 1, v[8:9]
	s_mov_b64 s[48:49], 0
	v_mov_b64_e32 v[20:21], v[6:7]
                                        ; implicit-def: $sgpr50_sgpr51
                                        ; implicit-def: $sgpr52_sgpr53
                                        ; implicit-def: $sgpr54_sgpr55
	s_branch .LBB1247_1364
.LBB1247_1363:                          ;   in Loop: Header=BB1247_1364 Depth=1
	s_or_b64 exec, exec, s[62:63]
	s_and_b64 s[12:13], exec, s[56:57]
	s_or_b64 s[48:49], s[12:13], s[48:49]
	s_andn2_b64 s[12:13], s[50:51], exec
	s_and_b64 s[50:51], s[52:53], exec
	s_or_b64 s[50:51], s[12:13], s[50:51]
	s_andn2_b64 exec, exec, s[48:49]
	s_cbranch_execz .LBB1247_1368
.LBB1247_1364:                          ; =>This Inner Loop Header: Depth=1
	flat_load_ushort v22, v[18:19]
	flat_load_ushort v23, v[16:17]
	s_mov_b64 s[56:57], -1
	s_mov_b64 s[60:61], 0
	s_mov_b64 s[58:59], -1
	s_waitcnt vmcnt(0) lgkmcnt(0)
	v_cmp_nlt_f16_e64 s[12:13], v22, v23
	s_and_saveexec_b64 s[62:63], s[12:13]
; %bb.1365:                             ;   in Loop: Header=BB1247_1364 Depth=1
	v_cmp_ngt_f16_e64 s[12:13], v22, v23
	s_and_b64 s[54:55], s[12:13], s[54:55]
	s_orn2_b64 s[58:59], s[54:55], exec
	s_and_b64 s[60:61], s[12:13], exec
; %bb.1366:                             ;   in Loop: Header=BB1247_1364 Depth=1
	s_or_b64 exec, exec, s[62:63]
	s_andn2_b64 s[12:13], s[52:53], exec
	s_and_b64 s[52:53], s[58:59], exec
	s_or_b64 s[52:53], s[12:13], s[52:53]
                                        ; implicit-def: $sgpr54_sgpr55
	s_and_saveexec_b64 s[62:63], s[60:61]
	s_cbranch_execz .LBB1247_1363
; %bb.1367:                             ;   in Loop: Header=BB1247_1364 Depth=1
	v_lshl_add_u64 v[20:21], v[20:21], 0, -1
	v_cmp_eq_u64_e64 s[12:13], 0, v[20:21]
	v_lshl_add_u64 v[16:17], v[16:17], 0, 2
	v_lshl_add_u64 v[18:19], v[18:19], 0, 2
	s_and_b64 s[54:55], s[58:59], exec
	s_andn2_b64 s[52:53], s[52:53], exec
	s_orn2_b64 s[56:57], s[12:13], exec
	s_branch .LBB1247_1363
.LBB1247_1368:
	s_or_b64 exec, exec, s[48:49]
	s_xor_b64 s[12:13], s[50:51], -1
	s_andn2_b64 s[40:41], s[40:41], exec
	s_and_b64 s[12:13], s[12:13], exec
	s_or_b64 s[40:41], s[40:41], s[12:13]
.LBB1247_1369:
	s_or_b64 exec, exec, s[46:47]
	s_orn2_b64 s[40:41], s[40:41], exec
.LBB1247_1370:
	s_or_b64 exec, exec, s[44:45]
	v_cndmask_b32_e64 v16, v117, v114, s[40:41]
	v_cndmask_b32_e64 v17, v101, v100, s[40:41]
	v_add_u32_e32 v128, 1, v16
	v_add_u32_e32 v16, -1, v17
	v_min_u32_e32 v16, v128, v16
	v_mov_b32_e32 v17, 0
	v_lshl_add_u64 v[16:17], v[16:17], 3, v[66:67]
	flat_load_dwordx2 v[70:71], v[16:17]
	v_cndmask_b32_e64 v21, v27, v82, s[18:19]
	v_cndmask_b32_e64 v27, v24, v26, s[34:35]
	;; [unrolled: 1-line block ×15, first 2 shown]
	v_cmp_lt_u32_e64 s[12:13], v80, v101
	s_waitcnt vmcnt(0) lgkmcnt(0)
	v_cndmask_b32_e64 v15, v118, v71, s[40:41]
	v_cndmask_b32_e64 v14, v119, v70, s[40:41]
	s_and_saveexec_b64 s[18:19], s[12:13]
	s_cbranch_execz .LBB1247_1380
; %bb.1371:
	v_cndmask_b32_e64 v85, v70, v116, s[40:41]
	v_cndmask_b32_e64 v70, v114, v128, s[40:41]
	v_cmp_ge_u32_e64 s[12:13], v70, v100
	v_cndmask_b32_e64 v84, v71, v115, s[40:41]
	s_or_b64 s[30:31], s[12:13], s[8:9]
	v_cndmask_b32_e64 v71, v15, v84, s[12:13]
	s_xor_b64 s[34:35], s[30:31], -1
	v_cndmask_b32_e64 v70, v14, v85, s[12:13]
	s_and_saveexec_b64 s[30:31], s[34:35]
	s_cbranch_execz .LBB1247_1379
; %bb.1372:
	v_mul_lo_u32 v80, v15, v6
	v_mul_lo_u32 v81, v14, v7
	v_mad_u64_u32 v[70:71], s[12:13], v14, v6, 0
	v_add3_u32 v71, v71, v81, v80
	v_mul_lo_u32 v82, v84, v6
	v_mul_lo_u32 v83, v85, v7
	v_mad_u64_u32 v[80:81], s[12:13], v85, v6, 0
	v_add3_u32 v81, v81, v83, v82
	v_lshl_add_u64 v[70:71], v[70:71], 1, v[8:9]
	v_lshl_add_u64 v[80:81], v[80:81], 1, v[8:9]
	s_mov_b64 s[34:35], 0
	v_mov_b64_e32 v[82:83], v[6:7]
                                        ; implicit-def: $sgpr36_sgpr37
                                        ; implicit-def: $sgpr38_sgpr39
                                        ; implicit-def: $sgpr40_sgpr41
	s_branch .LBB1247_1374
.LBB1247_1373:                          ;   in Loop: Header=BB1247_1374 Depth=1
	s_or_b64 exec, exec, s[48:49]
	s_and_b64 s[12:13], exec, s[42:43]
	s_or_b64 s[34:35], s[12:13], s[34:35]
	s_andn2_b64 s[12:13], s[36:37], exec
	s_and_b64 s[36:37], s[38:39], exec
	s_or_b64 s[36:37], s[12:13], s[36:37]
	s_andn2_b64 exec, exec, s[34:35]
	s_cbranch_execz .LBB1247_1378
.LBB1247_1374:                          ; =>This Inner Loop Header: Depth=1
	flat_load_ushort v86, v[80:81]
	flat_load_ushort v87, v[70:71]
	s_mov_b64 s[42:43], -1
	s_mov_b64 s[46:47], 0
	s_mov_b64 s[44:45], -1
	s_waitcnt vmcnt(0) lgkmcnt(0)
	v_cmp_nlt_f16_e64 s[12:13], v86, v87
	s_and_saveexec_b64 s[48:49], s[12:13]
; %bb.1375:                             ;   in Loop: Header=BB1247_1374 Depth=1
	v_cmp_ngt_f16_e64 s[12:13], v86, v87
	s_and_b64 s[40:41], s[12:13], s[40:41]
	s_orn2_b64 s[44:45], s[40:41], exec
	s_and_b64 s[46:47], s[12:13], exec
; %bb.1376:                             ;   in Loop: Header=BB1247_1374 Depth=1
	s_or_b64 exec, exec, s[48:49]
	s_andn2_b64 s[12:13], s[38:39], exec
	s_and_b64 s[38:39], s[44:45], exec
	s_or_b64 s[38:39], s[12:13], s[38:39]
                                        ; implicit-def: $sgpr40_sgpr41
	s_and_saveexec_b64 s[48:49], s[46:47]
	s_cbranch_execz .LBB1247_1373
; %bb.1377:                             ;   in Loop: Header=BB1247_1374 Depth=1
	v_lshl_add_u64 v[82:83], v[82:83], 0, -1
	v_cmp_eq_u64_e64 s[12:13], 0, v[82:83]
	v_lshl_add_u64 v[70:71], v[70:71], 0, 2
	v_lshl_add_u64 v[80:81], v[80:81], 0, 2
	s_and_b64 s[40:41], s[44:45], exec
	s_andn2_b64 s[38:39], s[38:39], exec
	s_orn2_b64 s[42:43], s[12:13], exec
	s_branch .LBB1247_1373
.LBB1247_1378:
	s_or_b64 exec, exec, s[34:35]
	v_cndmask_b32_e64 v71, v15, v84, s[36:37]
	v_cndmask_b32_e64 v70, v14, v85, s[36:37]
.LBB1247_1379:
	s_or_b64 exec, exec, s[30:31]
	v_mov_b64_e32 v[14:15], v[70:71]
.LBB1247_1380:
	s_or_b64 exec, exec, s[18:19]
.LBB1247_1381:
	s_or_b64 exec, exec, s[28:29]
	v_and_b32_e32 v100, 0x380, v31
	; wave barrier
	flat_store_dwordx4 v[68:69], v[24:27]
	flat_store_dwordx4 v[68:69], v[20:23] offset:16
	flat_store_dwordx4 v[68:69], v[16:19] offset:32
	;; [unrolled: 1-line block ×3, first 2 shown]
	v_or_b32_e32 v68, 64, v100
	v_min_u32_e32 v98, v1, v68
	v_add_u32_e32 v68, 64, v98
	v_min_u32_e32 v99, v1, v68
	v_and_b32_e32 v31, 0x78, v31
	v_min_u32_e32 v1, v1, v31
	v_sub_u32_e32 v68, v98, v100
	v_sub_u32_e32 v31, v99, v98
	v_sub_u32_e64 v31, v1, v31 clamp
	v_min_u32_e32 v101, v1, v68
	v_cmp_lt_u32_e64 s[12:13], v31, v101
	; wave barrier
	s_and_saveexec_b64 s[18:19], s[12:13]
	s_cbranch_execz .LBB1247_1393
; %bb.1382:
	v_lshlrev_b32_e32 v68, 3, v100
	v_mov_b32_e32 v69, 0
	v_lshl_add_u64 v[70:71], v[66:67], 0, v[68:69]
	v_lshlrev_b32_e32 v68, 3, v98
	v_lshl_add_u64 v[80:81], v[66:67], 0, v[68:69]
	s_mov_b64 s[28:29], 0
	s_branch .LBB1247_1385
.LBB1247_1383:                          ;   in Loop: Header=BB1247_1385 Depth=1
	s_or_b64 exec, exec, s[34:35]
	s_and_b64 s[12:13], s[36:37], exec
.LBB1247_1384:                          ;   in Loop: Header=BB1247_1385 Depth=1
	s_or_b64 exec, exec, s[30:31]
	v_add_u32_e32 v68, 1, v82
	v_cndmask_b32_e64 v101, v101, v82, s[12:13]
	v_cndmask_b32_e64 v31, v68, v31, s[12:13]
	v_cmp_ge_u32_e64 s[12:13], v31, v101
	s_or_b64 s[28:29], s[12:13], s[28:29]
	s_andn2_b64 exec, exec, s[28:29]
	s_cbranch_execz .LBB1247_1392
.LBB1247_1385:                          ; =>This Loop Header: Depth=1
                                        ;     Child Loop BB1247_1388 Depth 2
	v_add_u32_e32 v68, v101, v31
	v_lshrrev_b32_e32 v82, 1, v68
	s_mov_b64 s[12:13], 0
	s_and_saveexec_b64 s[30:31], s[16:17]
	s_cbranch_execz .LBB1247_1384
; %bb.1386:                             ;   in Loop: Header=BB1247_1385 Depth=1
	v_mov_b32_e32 v83, v69
	v_xad_u32 v68, v82, -1, v1
	v_lshl_add_u64 v[84:85], v[82:83], 3, v[70:71]
	v_lshl_add_u64 v[86:87], v[68:69], 3, v[80:81]
	flat_load_dwordx2 v[84:85], v[84:85]
	s_mov_b64 s[34:35], 0
	flat_load_dwordx2 v[86:87], v[86:87]
                                        ; implicit-def: $sgpr36_sgpr37
                                        ; implicit-def: $sgpr38_sgpr39
                                        ; implicit-def: $sgpr40_sgpr41
	s_waitcnt vmcnt(0) lgkmcnt(0)
	v_mul_lo_u32 v68, v64, v85
	v_mul_lo_u32 v83, v65, v84
	v_mad_u64_u32 v[84:85], s[12:13], v64, v84, v[8:9]
	v_mul_lo_u32 v96, v64, v87
	v_mul_lo_u32 v97, v65, v86
	v_mad_u64_u32 v[86:87], s[12:13], v64, v86, v[8:9]
	v_add3_u32 v85, v83, v85, v68
	v_add3_u32 v87, v97, v87, v96
	v_mov_b64_e32 v[96:97], v[6:7]
	s_branch .LBB1247_1388
.LBB1247_1387:                          ;   in Loop: Header=BB1247_1388 Depth=2
	s_or_b64 exec, exec, s[48:49]
	s_and_b64 s[12:13], exec, s[42:43]
	s_or_b64 s[34:35], s[12:13], s[34:35]
	s_andn2_b64 s[12:13], s[36:37], exec
	s_and_b64 s[36:37], s[38:39], exec
	s_or_b64 s[36:37], s[12:13], s[36:37]
	s_andn2_b64 exec, exec, s[34:35]
	s_cbranch_execz .LBB1247_1383
.LBB1247_1388:                          ;   Parent Loop BB1247_1385 Depth=1
                                        ; =>  This Inner Loop Header: Depth=2
	flat_load_ushort v68, v[86:87]
	flat_load_ushort v83, v[84:85]
	s_mov_b64 s[42:43], -1
	s_mov_b64 s[46:47], 0
	s_mov_b64 s[44:45], -1
	s_waitcnt vmcnt(0) lgkmcnt(0)
	v_cmp_nlt_f16_e64 s[12:13], v68, v83
	s_and_saveexec_b64 s[48:49], s[12:13]
; %bb.1389:                             ;   in Loop: Header=BB1247_1388 Depth=2
	v_cmp_ngt_f16_e64 s[12:13], v68, v83
	s_and_b64 s[40:41], s[12:13], s[40:41]
	s_orn2_b64 s[44:45], s[40:41], exec
	s_and_b64 s[46:47], s[12:13], exec
; %bb.1390:                             ;   in Loop: Header=BB1247_1388 Depth=2
	s_or_b64 exec, exec, s[48:49]
	s_andn2_b64 s[12:13], s[38:39], exec
	s_and_b64 s[38:39], s[44:45], exec
	s_or_b64 s[38:39], s[12:13], s[38:39]
                                        ; implicit-def: $sgpr40_sgpr41
	s_and_saveexec_b64 s[48:49], s[46:47]
	s_cbranch_execz .LBB1247_1387
; %bb.1391:                             ;   in Loop: Header=BB1247_1388 Depth=2
	v_lshl_add_u64 v[96:97], v[96:97], 0, -1
	v_cmp_eq_u64_e64 s[12:13], 0, v[96:97]
	v_lshl_add_u64 v[84:85], v[84:85], 0, 2
	v_lshl_add_u64 v[86:87], v[86:87], 0, 2
	s_andn2_b64 s[38:39], s[38:39], exec
	s_and_b64 s[40:41], s[44:45], exec
	s_orn2_b64 s[42:43], s[12:13], exec
	s_branch .LBB1247_1387
.LBB1247_1392:
	s_or_b64 exec, exec, s[28:29]
.LBB1247_1393:
	s_or_b64 exec, exec, s[18:19]
	v_add_u32_e32 v1, v98, v1
	v_add_u32_e32 v68, v31, v100
	v_sub_u32_e32 v70, v1, v31
	v_cmp_le_u32_e64 s[12:13], v68, v98
	v_cmp_le_u32_e64 s[18:19], v70, v99
	s_or_b64 s[12:13], s[12:13], s[18:19]
	s_and_saveexec_b64 s[28:29], s[12:13]
	s_cbranch_execz .LBB1247_1481
; %bb.1394:
	v_cmp_ge_u32_e64 s[18:19], v68, v98
	v_cmp_lt_u32_e64 s[12:13], v68, v98
                                        ; implicit-def: $vgpr12_vgpr13
	s_and_saveexec_b64 s[30:31], s[12:13]
	s_cbranch_execz .LBB1247_1396
; %bb.1395:
	v_mov_b32_e32 v69, 0
	v_lshl_add_u64 v[12:13], v[68:69], 3, v[66:67]
	flat_load_dwordx2 v[12:13], v[12:13]
.LBB1247_1396:
	s_or_b64 exec, exec, s[30:31]
	v_cmp_ge_u32_e64 s[30:31], v70, v99
	v_cmp_lt_u32_e64 s[12:13], v70, v99
                                        ; implicit-def: $vgpr14_vgpr15
	s_and_saveexec_b64 s[34:35], s[12:13]
	s_cbranch_execz .LBB1247_1398
; %bb.1397:
	v_mov_b32_e32 v71, 0
	v_lshl_add_u64 v[14:15], v[70:71], 3, v[66:67]
	flat_load_dwordx2 v[14:15], v[14:15]
.LBB1247_1398:
	s_or_b64 exec, exec, s[34:35]
	s_or_b64 s[12:13], s[18:19], s[30:31]
	s_xor_b64 s[12:13], s[12:13], -1
	s_and_saveexec_b64 s[18:19], s[12:13]
	s_cbranch_execz .LBB1247_1408
; %bb.1399:
	s_mov_b64 s[12:13], 0
	s_and_saveexec_b64 s[34:35], s[16:17]
	s_cbranch_execz .LBB1247_1407
; %bb.1400:
	s_waitcnt vmcnt(0) lgkmcnt(0)
	v_mul_lo_u32 v1, v13, v6
	v_mul_lo_u32 v18, v12, v7
	v_mad_u64_u32 v[16:17], s[12:13], v12, v6, 0
	v_add3_u32 v17, v17, v18, v1
	v_mul_lo_u32 v1, v15, v6
	v_mul_lo_u32 v20, v14, v7
	v_mad_u64_u32 v[18:19], s[12:13], v14, v6, 0
	v_add3_u32 v19, v19, v20, v1
	v_lshl_add_u64 v[16:17], v[16:17], 1, v[8:9]
	v_lshl_add_u64 v[18:19], v[18:19], 1, v[8:9]
	s_mov_b64 s[36:37], 0
	v_mov_b64_e32 v[20:21], v[6:7]
                                        ; implicit-def: $sgpr38_sgpr39
                                        ; implicit-def: $sgpr40_sgpr41
                                        ; implicit-def: $sgpr42_sgpr43
	s_branch .LBB1247_1402
.LBB1247_1401:                          ;   in Loop: Header=BB1247_1402 Depth=1
	s_or_b64 exec, exec, s[48:49]
	s_and_b64 s[12:13], exec, s[12:13]
	s_or_b64 s[36:37], s[12:13], s[36:37]
	s_andn2_b64 s[12:13], s[38:39], exec
	s_and_b64 s[38:39], s[40:41], exec
	s_or_b64 s[38:39], s[12:13], s[38:39]
	s_andn2_b64 exec, exec, s[36:37]
	s_cbranch_execz .LBB1247_1406
.LBB1247_1402:                          ; =>This Inner Loop Header: Depth=1
	flat_load_ushort v1, v[18:19]
	flat_load_ushort v22, v[16:17]
	s_mov_b64 s[46:47], 0
	s_mov_b64 s[44:45], -1
	s_waitcnt vmcnt(0) lgkmcnt(0)
	v_cmp_nlt_f16_e64 s[12:13], v1, v22
	s_and_saveexec_b64 s[48:49], s[12:13]
; %bb.1403:                             ;   in Loop: Header=BB1247_1402 Depth=1
	v_cmp_ngt_f16_e64 s[12:13], v1, v22
	s_and_b64 s[42:43], s[12:13], s[42:43]
	s_orn2_b64 s[44:45], s[42:43], exec
	s_and_b64 s[46:47], s[12:13], exec
; %bb.1404:                             ;   in Loop: Header=BB1247_1402 Depth=1
	s_or_b64 exec, exec, s[48:49]
	s_andn2_b64 s[40:41], s[40:41], exec
	s_and_b64 s[42:43], s[44:45], exec
	s_mov_b64 s[12:13], -1
	s_or_b64 s[40:41], s[40:41], s[42:43]
                                        ; implicit-def: $sgpr42_sgpr43
	s_and_saveexec_b64 s[48:49], s[46:47]
	s_cbranch_execz .LBB1247_1401
; %bb.1405:                             ;   in Loop: Header=BB1247_1402 Depth=1
	v_lshl_add_u64 v[20:21], v[20:21], 0, -1
	v_cmp_eq_u64_e64 s[12:13], 0, v[20:21]
	v_lshl_add_u64 v[16:17], v[16:17], 0, 2
	v_lshl_add_u64 v[18:19], v[18:19], 0, 2
	s_andn2_b64 s[40:41], s[40:41], exec
	s_and_b64 s[42:43], s[44:45], exec
	s_orn2_b64 s[12:13], s[12:13], exec
	s_branch .LBB1247_1401
.LBB1247_1406:
	s_or_b64 exec, exec, s[36:37]
	s_and_b64 s[12:13], s[38:39], exec
.LBB1247_1407:
	s_or_b64 exec, exec, s[34:35]
	s_xor_b64 s[12:13], s[12:13], -1
	s_andn2_b64 s[30:31], s[30:31], exec
	s_and_b64 s[12:13], s[12:13], exec
	s_or_b64 s[30:31], s[30:31], s[12:13]
.LBB1247_1408:
	s_or_b64 exec, exec, s[18:19]
	v_cndmask_b32_e64 v1, v70, v68, s[30:31]
	v_cndmask_b32_e64 v16, v99, v98, s[30:31]
	v_add_u32_e32 v1, 1, v1
	v_add_u32_e32 v16, -1, v16
	v_min_u32_e32 v16, v1, v16
	v_mov_b32_e32 v17, 0
	v_lshl_add_u64 v[18:19], v[16:17], 3, v[66:67]
	flat_load_dwordx2 v[18:19], v[18:19]
	v_cndmask_b32_e64 v27, v1, v70, s[30:31]
	s_mov_b64 s[18:19], -1
	v_cndmask_b32_e64 v31, v68, v1, s[30:31]
	v_cmp_lt_u32_e64 s[12:13], v27, v99
	s_mov_b64 s[34:35], -1
	s_waitcnt vmcnt(0) lgkmcnt(0)
	v_cndmask_b32_e64 v1, v19, v15, s[30:31]
	v_cndmask_b32_e64 v24, v18, v14, s[30:31]
	;; [unrolled: 1-line block ×4, first 2 shown]
	s_and_saveexec_b64 s[36:37], s[12:13]
	s_cbranch_execz .LBB1247_1420
; %bb.1409:
	v_cmp_lt_u32_e64 s[12:13], v31, v98
	s_mov_b64 s[38:39], 0
	s_and_saveexec_b64 s[34:35], s[12:13]
	s_cbranch_execz .LBB1247_1419
; %bb.1410:
	s_mov_b64 s[12:13], 0
	s_and_saveexec_b64 s[38:39], s[16:17]
	s_cbranch_execz .LBB1247_1418
; %bb.1411:
	v_mul_lo_u32 v16, v25, v6
	v_mul_lo_u32 v20, v26, v7
	v_mad_u64_u32 v[18:19], s[12:13], v26, v6, 0
	v_add3_u32 v19, v19, v20, v16
	v_mul_lo_u32 v16, v1, v6
	v_mul_lo_u32 v22, v24, v7
	v_mad_u64_u32 v[20:21], s[12:13], v24, v6, 0
	v_add3_u32 v21, v21, v22, v16
	v_lshl_add_u64 v[18:19], v[18:19], 1, v[8:9]
	v_lshl_add_u64 v[20:21], v[20:21], 1, v[8:9]
	s_mov_b64 s[40:41], 0
	v_mov_b64_e32 v[22:23], v[6:7]
                                        ; implicit-def: $sgpr42_sgpr43
                                        ; implicit-def: $sgpr44_sgpr45
                                        ; implicit-def: $sgpr46_sgpr47
	s_branch .LBB1247_1413
.LBB1247_1412:                          ;   in Loop: Header=BB1247_1413 Depth=1
	s_or_b64 exec, exec, s[52:53]
	s_and_b64 s[12:13], exec, s[12:13]
	s_or_b64 s[40:41], s[12:13], s[40:41]
	s_andn2_b64 s[12:13], s[42:43], exec
	s_and_b64 s[42:43], s[44:45], exec
	s_or_b64 s[42:43], s[12:13], s[42:43]
	s_andn2_b64 exec, exec, s[40:41]
	s_cbranch_execz .LBB1247_1417
.LBB1247_1413:                          ; =>This Inner Loop Header: Depth=1
	flat_load_ushort v16, v[20:21]
	flat_load_ushort v68, v[18:19]
	s_mov_b64 s[50:51], 0
	s_mov_b64 s[48:49], -1
	s_waitcnt vmcnt(0) lgkmcnt(0)
	v_cmp_nlt_f16_e64 s[12:13], v16, v68
	s_and_saveexec_b64 s[52:53], s[12:13]
; %bb.1414:                             ;   in Loop: Header=BB1247_1413 Depth=1
	v_cmp_ngt_f16_e64 s[12:13], v16, v68
	s_and_b64 s[46:47], s[12:13], s[46:47]
	s_orn2_b64 s[48:49], s[46:47], exec
	s_and_b64 s[50:51], s[12:13], exec
; %bb.1415:                             ;   in Loop: Header=BB1247_1413 Depth=1
	s_or_b64 exec, exec, s[52:53]
	s_andn2_b64 s[44:45], s[44:45], exec
	s_and_b64 s[46:47], s[48:49], exec
	s_mov_b64 s[12:13], -1
	s_or_b64 s[44:45], s[44:45], s[46:47]
                                        ; implicit-def: $sgpr46_sgpr47
	s_and_saveexec_b64 s[52:53], s[50:51]
	s_cbranch_execz .LBB1247_1412
; %bb.1416:                             ;   in Loop: Header=BB1247_1413 Depth=1
	v_lshl_add_u64 v[22:23], v[22:23], 0, -1
	v_cmp_eq_u64_e64 s[12:13], 0, v[22:23]
	v_lshl_add_u64 v[18:19], v[18:19], 0, 2
	v_lshl_add_u64 v[20:21], v[20:21], 0, 2
	s_andn2_b64 s[44:45], s[44:45], exec
	s_and_b64 s[46:47], s[48:49], exec
	s_orn2_b64 s[12:13], s[12:13], exec
	s_branch .LBB1247_1412
.LBB1247_1417:
	s_or_b64 exec, exec, s[40:41]
	s_and_b64 s[12:13], s[42:43], exec
.LBB1247_1418:
	s_or_b64 exec, exec, s[38:39]
	s_xor_b64 s[12:13], s[12:13], -1
	s_and_b64 s[38:39], s[12:13], exec
.LBB1247_1419:
	s_or_b64 exec, exec, s[34:35]
	s_orn2_b64 s[34:35], s[38:39], exec
.LBB1247_1420:
	s_or_b64 exec, exec, s[36:37]
	v_cndmask_b32_e64 v16, v27, v31, s[34:35]
	v_cndmask_b32_e64 v18, v99, v98, s[34:35]
	v_add_u32_e32 v19, 1, v16
	v_add_u32_e32 v16, -1, v18
	v_min_u32_e32 v16, v19, v16
	v_lshl_add_u64 v[16:17], v[16:17], 3, v[66:67]
	flat_load_dwordx2 v[16:17], v[16:17]
	v_cndmask_b32_e64 v22, v19, v27, s[34:35]
	v_cndmask_b32_e64 v23, v31, v19, s[34:35]
	v_cmp_lt_u32_e64 s[12:13], v22, v99
	s_waitcnt vmcnt(0) lgkmcnt(0)
	v_cndmask_b32_e64 v27, v17, v1, s[34:35]
	v_cndmask_b32_e64 v31, v16, v24, s[34:35]
	;; [unrolled: 1-line block ×4, first 2 shown]
	s_and_saveexec_b64 s[36:37], s[12:13]
	s_cbranch_execz .LBB1247_1430
; %bb.1421:
	v_cmp_lt_u32_e64 s[18:19], v23, v98
	s_and_b64 s[12:13], s[18:19], s[26:27]
	s_and_saveexec_b64 s[38:39], s[12:13]
	s_cbranch_execz .LBB1247_1429
; %bb.1422:
	v_mul_lo_u32 v18, v68, v6
	v_mul_lo_u32 v19, v69, v7
	v_mad_u64_u32 v[16:17], s[12:13], v69, v6, 0
	v_add3_u32 v17, v17, v19, v18
	v_mul_lo_u32 v20, v27, v6
	v_mul_lo_u32 v21, v31, v7
	v_mad_u64_u32 v[18:19], s[12:13], v31, v6, 0
	v_add3_u32 v19, v19, v21, v20
	v_lshl_add_u64 v[16:17], v[16:17], 1, v[8:9]
	v_lshl_add_u64 v[18:19], v[18:19], 1, v[8:9]
	s_mov_b64 s[40:41], 0
	v_mov_b64_e32 v[20:21], v[6:7]
                                        ; implicit-def: $sgpr42_sgpr43
                                        ; implicit-def: $sgpr44_sgpr45
                                        ; implicit-def: $sgpr46_sgpr47
	s_branch .LBB1247_1424
.LBB1247_1423:                          ;   in Loop: Header=BB1247_1424 Depth=1
	s_or_b64 exec, exec, s[54:55]
	s_and_b64 s[12:13], exec, s[48:49]
	s_or_b64 s[40:41], s[12:13], s[40:41]
	s_andn2_b64 s[12:13], s[42:43], exec
	s_and_b64 s[42:43], s[44:45], exec
	s_or_b64 s[42:43], s[12:13], s[42:43]
	s_andn2_b64 exec, exec, s[40:41]
	s_cbranch_execz .LBB1247_1428
.LBB1247_1424:                          ; =>This Inner Loop Header: Depth=1
	flat_load_ushort v70, v[18:19]
	flat_load_ushort v71, v[16:17]
	s_mov_b64 s[48:49], -1
	s_mov_b64 s[52:53], 0
	s_mov_b64 s[50:51], -1
	s_waitcnt vmcnt(0) lgkmcnt(0)
	v_cmp_nlt_f16_e64 s[12:13], v70, v71
	s_and_saveexec_b64 s[54:55], s[12:13]
; %bb.1425:                             ;   in Loop: Header=BB1247_1424 Depth=1
	v_cmp_ngt_f16_e64 s[12:13], v70, v71
	s_and_b64 s[46:47], s[12:13], s[46:47]
	s_orn2_b64 s[50:51], s[46:47], exec
	s_and_b64 s[52:53], s[12:13], exec
; %bb.1426:                             ;   in Loop: Header=BB1247_1424 Depth=1
	s_or_b64 exec, exec, s[54:55]
	s_andn2_b64 s[12:13], s[44:45], exec
	s_and_b64 s[44:45], s[50:51], exec
	s_or_b64 s[44:45], s[12:13], s[44:45]
                                        ; implicit-def: $sgpr46_sgpr47
	s_and_saveexec_b64 s[54:55], s[52:53]
	s_cbranch_execz .LBB1247_1423
; %bb.1427:                             ;   in Loop: Header=BB1247_1424 Depth=1
	v_lshl_add_u64 v[20:21], v[20:21], 0, -1
	v_cmp_eq_u64_e64 s[12:13], 0, v[20:21]
	v_lshl_add_u64 v[16:17], v[16:17], 0, 2
	v_lshl_add_u64 v[18:19], v[18:19], 0, 2
	s_and_b64 s[46:47], s[50:51], exec
	s_andn2_b64 s[44:45], s[44:45], exec
	s_orn2_b64 s[48:49], s[12:13], exec
	s_branch .LBB1247_1423
.LBB1247_1428:
	s_or_b64 exec, exec, s[40:41]
	s_xor_b64 s[12:13], s[42:43], -1
	s_andn2_b64 s[18:19], s[18:19], exec
	s_and_b64 s[12:13], s[12:13], exec
	s_or_b64 s[18:19], s[18:19], s[12:13]
.LBB1247_1429:
	s_or_b64 exec, exec, s[38:39]
	s_orn2_b64 s[18:19], s[18:19], exec
.LBB1247_1430:
	s_or_b64 exec, exec, s[36:37]
	v_cndmask_b32_e64 v16, v22, v23, s[18:19]
	v_cndmask_b32_e64 v17, v99, v98, s[18:19]
	v_add_u32_e32 v20, 1, v16
	v_add_u32_e32 v16, -1, v17
	v_min_u32_e32 v16, v20, v16
	v_mov_b32_e32 v17, 0
	v_lshl_add_u64 v[18:19], v[16:17], 3, v[66:67]
	flat_load_dwordx2 v[18:19], v[18:19]
	v_cndmask_b32_e64 v82, v20, v22, s[18:19]
	s_mov_b64 s[36:37], -1
	v_cndmask_b32_e64 v83, v23, v20, s[18:19]
	v_cmp_lt_u32_e64 s[12:13], v82, v99
	s_mov_b64 s[38:39], -1
	s_waitcnt vmcnt(0) lgkmcnt(0)
	v_cndmask_b32_e64 v70, v19, v27, s[18:19]
	v_cndmask_b32_e64 v71, v18, v31, s[18:19]
	;; [unrolled: 1-line block ×4, first 2 shown]
	s_and_saveexec_b64 s[40:41], s[12:13]
	s_cbranch_execz .LBB1247_1440
; %bb.1431:
	v_cmp_lt_u32_e64 s[38:39], v83, v98
	s_and_b64 s[12:13], s[38:39], s[26:27]
	s_and_saveexec_b64 s[42:43], s[12:13]
	s_cbranch_execz .LBB1247_1439
; %bb.1432:
	v_mul_lo_u32 v16, v80, v6
	v_mul_lo_u32 v20, v81, v7
	v_mad_u64_u32 v[18:19], s[12:13], v81, v6, 0
	v_add3_u32 v19, v19, v20, v16
	v_mul_lo_u32 v16, v70, v6
	v_mul_lo_u32 v22, v71, v7
	v_mad_u64_u32 v[20:21], s[12:13], v71, v6, 0
	v_add3_u32 v21, v21, v22, v16
	v_lshl_add_u64 v[18:19], v[18:19], 1, v[8:9]
	v_lshl_add_u64 v[20:21], v[20:21], 1, v[8:9]
	s_mov_b64 s[44:45], 0
	v_mov_b64_e32 v[22:23], v[6:7]
                                        ; implicit-def: $sgpr46_sgpr47
                                        ; implicit-def: $sgpr48_sgpr49
                                        ; implicit-def: $sgpr50_sgpr51
	s_branch .LBB1247_1434
.LBB1247_1433:                          ;   in Loop: Header=BB1247_1434 Depth=1
	s_or_b64 exec, exec, s[58:59]
	s_and_b64 s[12:13], exec, s[52:53]
	s_or_b64 s[44:45], s[12:13], s[44:45]
	s_andn2_b64 s[12:13], s[46:47], exec
	s_and_b64 s[46:47], s[48:49], exec
	s_or_b64 s[46:47], s[12:13], s[46:47]
	s_andn2_b64 exec, exec, s[44:45]
	s_cbranch_execz .LBB1247_1438
.LBB1247_1434:                          ; =>This Inner Loop Header: Depth=1
	flat_load_ushort v16, v[20:21]
	flat_load_ushort v84, v[18:19]
	s_mov_b64 s[52:53], -1
	s_mov_b64 s[56:57], 0
	s_mov_b64 s[54:55], -1
	s_waitcnt vmcnt(0) lgkmcnt(0)
	v_cmp_nlt_f16_e64 s[12:13], v16, v84
	s_and_saveexec_b64 s[58:59], s[12:13]
; %bb.1435:                             ;   in Loop: Header=BB1247_1434 Depth=1
	v_cmp_ngt_f16_e64 s[12:13], v16, v84
	s_and_b64 s[50:51], s[12:13], s[50:51]
	s_orn2_b64 s[54:55], s[50:51], exec
	s_and_b64 s[56:57], s[12:13], exec
; %bb.1436:                             ;   in Loop: Header=BB1247_1434 Depth=1
	s_or_b64 exec, exec, s[58:59]
	s_andn2_b64 s[12:13], s[48:49], exec
	s_and_b64 s[48:49], s[54:55], exec
	s_or_b64 s[48:49], s[12:13], s[48:49]
                                        ; implicit-def: $sgpr50_sgpr51
	s_and_saveexec_b64 s[58:59], s[56:57]
	s_cbranch_execz .LBB1247_1433
; %bb.1437:                             ;   in Loop: Header=BB1247_1434 Depth=1
	v_lshl_add_u64 v[22:23], v[22:23], 0, -1
	v_cmp_eq_u64_e64 s[12:13], 0, v[22:23]
	v_lshl_add_u64 v[18:19], v[18:19], 0, 2
	v_lshl_add_u64 v[20:21], v[20:21], 0, 2
	s_and_b64 s[50:51], s[54:55], exec
	s_andn2_b64 s[48:49], s[48:49], exec
	s_orn2_b64 s[52:53], s[12:13], exec
	s_branch .LBB1247_1433
.LBB1247_1438:
	s_or_b64 exec, exec, s[44:45]
	s_xor_b64 s[12:13], s[46:47], -1
	s_andn2_b64 s[38:39], s[38:39], exec
	s_and_b64 s[12:13], s[12:13], exec
	s_or_b64 s[38:39], s[38:39], s[12:13]
.LBB1247_1439:
	s_or_b64 exec, exec, s[42:43]
	s_orn2_b64 s[38:39], s[38:39], exec
.LBB1247_1440:
	s_or_b64 exec, exec, s[40:41]
	v_cndmask_b32_e64 v16, v82, v83, s[38:39]
	v_cndmask_b32_e64 v18, v99, v98, s[38:39]
	v_add_u32_e32 v19, 1, v16
	v_add_u32_e32 v16, -1, v18
	v_min_u32_e32 v16, v19, v16
	v_lshl_add_u64 v[16:17], v[16:17], 3, v[66:67]
	flat_load_dwordx2 v[16:17], v[16:17]
	v_cndmask_b32_e64 v22, v19, v82, s[38:39]
	v_cndmask_b32_e64 v23, v83, v19, s[38:39]
	v_cmp_lt_u32_e64 s[12:13], v22, v99
	s_waitcnt vmcnt(0) lgkmcnt(0)
	v_cndmask_b32_e64 v82, v17, v70, s[38:39]
	v_cndmask_b32_e64 v83, v16, v71, s[38:39]
	;; [unrolled: 1-line block ×4, first 2 shown]
	s_and_saveexec_b64 s[40:41], s[12:13]
	s_cbranch_execz .LBB1247_1450
; %bb.1441:
	v_cmp_lt_u32_e64 s[36:37], v23, v98
	s_and_b64 s[12:13], s[36:37], s[26:27]
	s_and_saveexec_b64 s[42:43], s[12:13]
	s_cbranch_execz .LBB1247_1449
; %bb.1442:
	v_mul_lo_u32 v18, v84, v6
	v_mul_lo_u32 v19, v85, v7
	v_mad_u64_u32 v[16:17], s[12:13], v85, v6, 0
	v_add3_u32 v17, v17, v19, v18
	v_mul_lo_u32 v20, v82, v6
	v_mul_lo_u32 v21, v83, v7
	v_mad_u64_u32 v[18:19], s[12:13], v83, v6, 0
	v_add3_u32 v19, v19, v21, v20
	v_lshl_add_u64 v[16:17], v[16:17], 1, v[8:9]
	v_lshl_add_u64 v[18:19], v[18:19], 1, v[8:9]
	s_mov_b64 s[44:45], 0
	v_mov_b64_e32 v[20:21], v[6:7]
                                        ; implicit-def: $sgpr46_sgpr47
                                        ; implicit-def: $sgpr48_sgpr49
                                        ; implicit-def: $sgpr50_sgpr51
	s_branch .LBB1247_1444
.LBB1247_1443:                          ;   in Loop: Header=BB1247_1444 Depth=1
	s_or_b64 exec, exec, s[58:59]
	s_and_b64 s[12:13], exec, s[52:53]
	s_or_b64 s[44:45], s[12:13], s[44:45]
	s_andn2_b64 s[12:13], s[46:47], exec
	s_and_b64 s[46:47], s[48:49], exec
	s_or_b64 s[46:47], s[12:13], s[46:47]
	s_andn2_b64 exec, exec, s[44:45]
	s_cbranch_execz .LBB1247_1448
.LBB1247_1444:                          ; =>This Inner Loop Header: Depth=1
	flat_load_ushort v86, v[18:19]
	flat_load_ushort v87, v[16:17]
	s_mov_b64 s[52:53], -1
	s_mov_b64 s[56:57], 0
	s_mov_b64 s[54:55], -1
	s_waitcnt vmcnt(0) lgkmcnt(0)
	v_cmp_nlt_f16_e64 s[12:13], v86, v87
	s_and_saveexec_b64 s[58:59], s[12:13]
; %bb.1445:                             ;   in Loop: Header=BB1247_1444 Depth=1
	v_cmp_ngt_f16_e64 s[12:13], v86, v87
	s_and_b64 s[50:51], s[12:13], s[50:51]
	s_orn2_b64 s[54:55], s[50:51], exec
	s_and_b64 s[56:57], s[12:13], exec
; %bb.1446:                             ;   in Loop: Header=BB1247_1444 Depth=1
	s_or_b64 exec, exec, s[58:59]
	s_andn2_b64 s[12:13], s[48:49], exec
	s_and_b64 s[48:49], s[54:55], exec
	s_or_b64 s[48:49], s[12:13], s[48:49]
                                        ; implicit-def: $sgpr50_sgpr51
	s_and_saveexec_b64 s[58:59], s[56:57]
	s_cbranch_execz .LBB1247_1443
; %bb.1447:                             ;   in Loop: Header=BB1247_1444 Depth=1
	v_lshl_add_u64 v[20:21], v[20:21], 0, -1
	v_cmp_eq_u64_e64 s[12:13], 0, v[20:21]
	v_lshl_add_u64 v[16:17], v[16:17], 0, 2
	v_lshl_add_u64 v[18:19], v[18:19], 0, 2
	s_and_b64 s[50:51], s[54:55], exec
	s_andn2_b64 s[48:49], s[48:49], exec
	s_orn2_b64 s[52:53], s[12:13], exec
	s_branch .LBB1247_1443
.LBB1247_1448:
	s_or_b64 exec, exec, s[44:45]
	s_xor_b64 s[12:13], s[46:47], -1
	s_andn2_b64 s[36:37], s[36:37], exec
	s_and_b64 s[12:13], s[12:13], exec
	s_or_b64 s[36:37], s[36:37], s[12:13]
.LBB1247_1449:
	s_or_b64 exec, exec, s[42:43]
	s_orn2_b64 s[36:37], s[36:37], exec
.LBB1247_1450:
	s_or_b64 exec, exec, s[40:41]
	v_cndmask_b32_e64 v16, v22, v23, s[36:37]
	v_cndmask_b32_e64 v17, v99, v98, s[36:37]
	v_add_u32_e32 v20, 1, v16
	v_add_u32_e32 v16, -1, v17
	v_min_u32_e32 v16, v20, v16
	v_mov_b32_e32 v17, 0
	v_lshl_add_u64 v[18:19], v[16:17], 3, v[66:67]
	flat_load_dwordx2 v[18:19], v[18:19]
	v_cndmask_b32_e64 v100, v20, v22, s[36:37]
	s_mov_b64 s[40:41], -1
	v_cndmask_b32_e64 v101, v23, v20, s[36:37]
	v_cmp_lt_u32_e64 s[12:13], v100, v99
	s_mov_b64 s[42:43], -1
	s_waitcnt vmcnt(0) lgkmcnt(0)
	v_cndmask_b32_e64 v86, v19, v82, s[36:37]
	v_cndmask_b32_e64 v87, v18, v83, s[36:37]
	;; [unrolled: 1-line block ×4, first 2 shown]
	s_and_saveexec_b64 s[44:45], s[12:13]
	s_cbranch_execz .LBB1247_1460
; %bb.1451:
	v_cmp_lt_u32_e64 s[42:43], v101, v98
	s_and_b64 s[12:13], s[42:43], s[26:27]
	s_and_saveexec_b64 s[46:47], s[12:13]
	s_cbranch_execz .LBB1247_1459
; %bb.1452:
	v_mul_lo_u32 v16, v96, v6
	v_mul_lo_u32 v20, v97, v7
	v_mad_u64_u32 v[18:19], s[12:13], v97, v6, 0
	v_add3_u32 v19, v19, v20, v16
	v_mul_lo_u32 v16, v86, v6
	v_mul_lo_u32 v22, v87, v7
	v_mad_u64_u32 v[20:21], s[12:13], v87, v6, 0
	v_add3_u32 v21, v21, v22, v16
	v_lshl_add_u64 v[18:19], v[18:19], 1, v[8:9]
	v_lshl_add_u64 v[20:21], v[20:21], 1, v[8:9]
	s_mov_b64 s[48:49], 0
	v_mov_b64_e32 v[22:23], v[6:7]
                                        ; implicit-def: $sgpr50_sgpr51
                                        ; implicit-def: $sgpr52_sgpr53
                                        ; implicit-def: $sgpr54_sgpr55
	s_branch .LBB1247_1454
.LBB1247_1453:                          ;   in Loop: Header=BB1247_1454 Depth=1
	s_or_b64 exec, exec, s[62:63]
	s_and_b64 s[12:13], exec, s[56:57]
	s_or_b64 s[48:49], s[12:13], s[48:49]
	s_andn2_b64 s[12:13], s[50:51], exec
	s_and_b64 s[50:51], s[52:53], exec
	s_or_b64 s[50:51], s[12:13], s[50:51]
	s_andn2_b64 exec, exec, s[48:49]
	s_cbranch_execz .LBB1247_1458
.LBB1247_1454:                          ; =>This Inner Loop Header: Depth=1
	flat_load_ushort v16, v[20:21]
	flat_load_ushort v102, v[18:19]
	s_mov_b64 s[56:57], -1
	s_mov_b64 s[60:61], 0
	s_mov_b64 s[58:59], -1
	s_waitcnt vmcnt(0) lgkmcnt(0)
	v_cmp_nlt_f16_e64 s[12:13], v16, v102
	s_and_saveexec_b64 s[62:63], s[12:13]
; %bb.1455:                             ;   in Loop: Header=BB1247_1454 Depth=1
	v_cmp_ngt_f16_e64 s[12:13], v16, v102
	s_and_b64 s[54:55], s[12:13], s[54:55]
	s_orn2_b64 s[58:59], s[54:55], exec
	s_and_b64 s[60:61], s[12:13], exec
; %bb.1456:                             ;   in Loop: Header=BB1247_1454 Depth=1
	s_or_b64 exec, exec, s[62:63]
	s_andn2_b64 s[12:13], s[52:53], exec
	s_and_b64 s[52:53], s[58:59], exec
	s_or_b64 s[52:53], s[12:13], s[52:53]
                                        ; implicit-def: $sgpr54_sgpr55
	s_and_saveexec_b64 s[62:63], s[60:61]
	s_cbranch_execz .LBB1247_1453
; %bb.1457:                             ;   in Loop: Header=BB1247_1454 Depth=1
	v_lshl_add_u64 v[22:23], v[22:23], 0, -1
	v_cmp_eq_u64_e64 s[12:13], 0, v[22:23]
	v_lshl_add_u64 v[18:19], v[18:19], 0, 2
	v_lshl_add_u64 v[20:21], v[20:21], 0, 2
	s_and_b64 s[54:55], s[58:59], exec
	s_andn2_b64 s[52:53], s[52:53], exec
	s_orn2_b64 s[56:57], s[12:13], exec
	s_branch .LBB1247_1453
.LBB1247_1458:
	s_or_b64 exec, exec, s[48:49]
	s_xor_b64 s[12:13], s[50:51], -1
	s_andn2_b64 s[42:43], s[42:43], exec
	s_and_b64 s[12:13], s[12:13], exec
	s_or_b64 s[42:43], s[42:43], s[12:13]
.LBB1247_1459:
	s_or_b64 exec, exec, s[46:47]
	s_orn2_b64 s[42:43], s[42:43], exec
.LBB1247_1460:
	s_or_b64 exec, exec, s[44:45]
	v_cndmask_b32_e64 v16, v100, v101, s[42:43]
	v_cndmask_b32_e64 v18, v99, v98, s[42:43]
	v_add_u32_e32 v19, 1, v16
	v_add_u32_e32 v16, -1, v18
	v_min_u32_e32 v16, v19, v16
	v_lshl_add_u64 v[16:17], v[16:17], 3, v[66:67]
	flat_load_dwordx2 v[16:17], v[16:17]
	v_cndmask_b32_e64 v103, v19, v100, s[42:43]
	v_cndmask_b32_e64 v100, v101, v19, s[42:43]
	v_cmp_lt_u32_e64 s[12:13], v103, v99
	s_waitcnt vmcnt(0) lgkmcnt(0)
	v_cndmask_b32_e64 v101, v17, v86, s[42:43]
	v_cndmask_b32_e64 v102, v16, v87, s[42:43]
	;; [unrolled: 1-line block ×4, first 2 shown]
	s_and_saveexec_b64 s[44:45], s[12:13]
	s_cbranch_execz .LBB1247_1470
; %bb.1461:
	v_cmp_lt_u32_e64 s[40:41], v100, v98
	s_and_b64 s[12:13], s[40:41], s[26:27]
	s_and_saveexec_b64 s[46:47], s[12:13]
	s_cbranch_execz .LBB1247_1469
; %bb.1462:
	v_mul_lo_u32 v18, v112, v6
	v_mul_lo_u32 v19, v113, v7
	v_mad_u64_u32 v[16:17], s[12:13], v113, v6, 0
	v_add3_u32 v17, v17, v19, v18
	v_mul_lo_u32 v20, v101, v6
	v_mul_lo_u32 v21, v102, v7
	v_mad_u64_u32 v[18:19], s[12:13], v102, v6, 0
	v_add3_u32 v19, v19, v21, v20
	v_lshl_add_u64 v[16:17], v[16:17], 1, v[8:9]
	v_lshl_add_u64 v[18:19], v[18:19], 1, v[8:9]
	s_mov_b64 s[48:49], 0
	v_mov_b64_e32 v[20:21], v[6:7]
                                        ; implicit-def: $sgpr50_sgpr51
                                        ; implicit-def: $sgpr52_sgpr53
                                        ; implicit-def: $sgpr54_sgpr55
	s_branch .LBB1247_1464
.LBB1247_1463:                          ;   in Loop: Header=BB1247_1464 Depth=1
	s_or_b64 exec, exec, s[62:63]
	s_and_b64 s[12:13], exec, s[56:57]
	s_or_b64 s[48:49], s[12:13], s[48:49]
	s_andn2_b64 s[12:13], s[50:51], exec
	s_and_b64 s[50:51], s[52:53], exec
	s_or_b64 s[50:51], s[12:13], s[50:51]
	s_andn2_b64 exec, exec, s[48:49]
	s_cbranch_execz .LBB1247_1468
.LBB1247_1464:                          ; =>This Inner Loop Header: Depth=1
	flat_load_ushort v22, v[18:19]
	flat_load_ushort v23, v[16:17]
	s_mov_b64 s[56:57], -1
	s_mov_b64 s[60:61], 0
	s_mov_b64 s[58:59], -1
	s_waitcnt vmcnt(0) lgkmcnt(0)
	v_cmp_nlt_f16_e64 s[12:13], v22, v23
	s_and_saveexec_b64 s[62:63], s[12:13]
; %bb.1465:                             ;   in Loop: Header=BB1247_1464 Depth=1
	v_cmp_ngt_f16_e64 s[12:13], v22, v23
	s_and_b64 s[54:55], s[12:13], s[54:55]
	s_orn2_b64 s[58:59], s[54:55], exec
	s_and_b64 s[60:61], s[12:13], exec
; %bb.1466:                             ;   in Loop: Header=BB1247_1464 Depth=1
	s_or_b64 exec, exec, s[62:63]
	s_andn2_b64 s[12:13], s[52:53], exec
	s_and_b64 s[52:53], s[58:59], exec
	s_or_b64 s[52:53], s[12:13], s[52:53]
                                        ; implicit-def: $sgpr54_sgpr55
	s_and_saveexec_b64 s[62:63], s[60:61]
	s_cbranch_execz .LBB1247_1463
; %bb.1467:                             ;   in Loop: Header=BB1247_1464 Depth=1
	v_lshl_add_u64 v[20:21], v[20:21], 0, -1
	v_cmp_eq_u64_e64 s[12:13], 0, v[20:21]
	v_lshl_add_u64 v[16:17], v[16:17], 0, 2
	v_lshl_add_u64 v[18:19], v[18:19], 0, 2
	s_and_b64 s[54:55], s[58:59], exec
	s_andn2_b64 s[52:53], s[52:53], exec
	s_orn2_b64 s[56:57], s[12:13], exec
	s_branch .LBB1247_1463
.LBB1247_1468:
	s_or_b64 exec, exec, s[48:49]
	s_xor_b64 s[12:13], s[50:51], -1
	s_andn2_b64 s[40:41], s[40:41], exec
	s_and_b64 s[12:13], s[12:13], exec
	s_or_b64 s[40:41], s[40:41], s[12:13]
.LBB1247_1469:
	s_or_b64 exec, exec, s[46:47]
	s_orn2_b64 s[40:41], s[40:41], exec
.LBB1247_1470:
	s_or_b64 exec, exec, s[44:45]
	v_cndmask_b32_e64 v16, v103, v100, s[40:41]
	v_cndmask_b32_e64 v17, v99, v98, s[40:41]
	v_add_u32_e32 v114, 1, v16
	v_add_u32_e32 v16, -1, v17
	v_min_u32_e32 v16, v114, v16
	v_mov_b32_e32 v17, 0
	v_lshl_add_u64 v[16:17], v[16:17], 3, v[66:67]
	flat_load_dwordx2 v[66:67], v[16:17]
	v_cndmask_b32_e64 v21, v27, v68, s[18:19]
	v_cndmask_b32_e64 v27, v1, v25, s[34:35]
	v_cndmask_b32_e64 v1, v114, v103, s[40:41]
	v_cndmask_b32_e64 v19, v86, v96, s[42:43]
	v_cndmask_b32_e64 v18, v87, v97, s[42:43]
	v_cndmask_b32_e64 v17, v82, v84, s[36:37]
	v_cndmask_b32_e64 v16, v83, v85, s[36:37]
	v_cndmask_b32_e64 v23, v70, v80, s[38:39]
	v_cndmask_b32_e64 v22, v71, v81, s[38:39]
	v_cndmask_b32_e64 v20, v31, v69, s[18:19]
	v_cndmask_b32_e64 v26, v24, v26, s[34:35]
	v_cndmask_b32_e64 v25, v15, v13, s[30:31]
	v_cndmask_b32_e64 v24, v14, v12, s[30:31]
	v_cndmask_b32_e64 v13, v101, v112, s[40:41]
	v_cndmask_b32_e64 v12, v102, v113, s[40:41]
	v_cmp_lt_u32_e64 s[12:13], v1, v99
	s_waitcnt vmcnt(0) lgkmcnt(0)
	v_cndmask_b32_e64 v15, v112, v67, s[40:41]
	v_cndmask_b32_e64 v14, v113, v66, s[40:41]
	s_and_saveexec_b64 s[18:19], s[12:13]
	s_cbranch_execz .LBB1247_1480
; %bb.1471:
	v_cndmask_b32_e64 v31, v66, v102, s[40:41]
	v_cndmask_b32_e64 v66, v100, v114, s[40:41]
	v_cmp_ge_u32_e64 s[12:13], v66, v98
	v_cndmask_b32_e64 v1, v67, v101, s[40:41]
	s_or_b64 s[30:31], s[12:13], s[8:9]
	v_cndmask_b32_e64 v67, v15, v1, s[12:13]
	s_xor_b64 s[34:35], s[30:31], -1
	v_cndmask_b32_e64 v66, v14, v31, s[12:13]
	s_and_saveexec_b64 s[30:31], s[34:35]
	s_cbranch_execz .LBB1247_1479
; %bb.1472:
	v_mul_lo_u32 v68, v15, v6
	v_mul_lo_u32 v69, v14, v7
	v_mad_u64_u32 v[66:67], s[12:13], v14, v6, 0
	v_add3_u32 v67, v67, v69, v68
	v_mul_lo_u32 v70, v1, v6
	v_mul_lo_u32 v71, v31, v7
	v_mad_u64_u32 v[68:69], s[12:13], v31, v6, 0
	v_add3_u32 v69, v69, v71, v70
	v_lshl_add_u64 v[66:67], v[66:67], 1, v[8:9]
	v_lshl_add_u64 v[68:69], v[68:69], 1, v[8:9]
	s_mov_b64 s[34:35], 0
	v_mov_b64_e32 v[70:71], v[6:7]
                                        ; implicit-def: $sgpr36_sgpr37
                                        ; implicit-def: $sgpr38_sgpr39
                                        ; implicit-def: $sgpr40_sgpr41
	s_branch .LBB1247_1474
.LBB1247_1473:                          ;   in Loop: Header=BB1247_1474 Depth=1
	s_or_b64 exec, exec, s[48:49]
	s_and_b64 s[12:13], exec, s[42:43]
	s_or_b64 s[34:35], s[12:13], s[34:35]
	s_andn2_b64 s[12:13], s[36:37], exec
	s_and_b64 s[36:37], s[38:39], exec
	s_or_b64 s[36:37], s[12:13], s[36:37]
	s_andn2_b64 exec, exec, s[34:35]
	s_cbranch_execz .LBB1247_1478
.LBB1247_1474:                          ; =>This Inner Loop Header: Depth=1
	flat_load_ushort v80, v[68:69]
	flat_load_ushort v81, v[66:67]
	s_mov_b64 s[42:43], -1
	s_mov_b64 s[46:47], 0
	s_mov_b64 s[44:45], -1
	s_waitcnt vmcnt(0) lgkmcnt(0)
	v_cmp_nlt_f16_e64 s[12:13], v80, v81
	s_and_saveexec_b64 s[48:49], s[12:13]
; %bb.1475:                             ;   in Loop: Header=BB1247_1474 Depth=1
	v_cmp_ngt_f16_e64 s[12:13], v80, v81
	s_and_b64 s[40:41], s[12:13], s[40:41]
	s_orn2_b64 s[44:45], s[40:41], exec
	s_and_b64 s[46:47], s[12:13], exec
; %bb.1476:                             ;   in Loop: Header=BB1247_1474 Depth=1
	s_or_b64 exec, exec, s[48:49]
	s_andn2_b64 s[12:13], s[38:39], exec
	s_and_b64 s[38:39], s[44:45], exec
	s_or_b64 s[38:39], s[12:13], s[38:39]
                                        ; implicit-def: $sgpr40_sgpr41
	s_and_saveexec_b64 s[48:49], s[46:47]
	s_cbranch_execz .LBB1247_1473
; %bb.1477:                             ;   in Loop: Header=BB1247_1474 Depth=1
	v_lshl_add_u64 v[70:71], v[70:71], 0, -1
	v_cmp_eq_u64_e64 s[12:13], 0, v[70:71]
	v_lshl_add_u64 v[66:67], v[66:67], 0, 2
	v_lshl_add_u64 v[68:69], v[68:69], 0, 2
	s_and_b64 s[40:41], s[44:45], exec
	s_andn2_b64 s[38:39], s[38:39], exec
	s_orn2_b64 s[42:43], s[12:13], exec
	s_branch .LBB1247_1473
.LBB1247_1478:
	s_or_b64 exec, exec, s[34:35]
	v_cndmask_b32_e64 v67, v15, v1, s[36:37]
	v_cndmask_b32_e64 v66, v14, v31, s[36:37]
.LBB1247_1479:
	s_or_b64 exec, exec, s[30:31]
	v_mov_b64_e32 v[14:15], v[66:67]
.LBB1247_1480:
	s_or_b64 exec, exec, s[18:19]
.LBB1247_1481:
	s_or_b64 exec, exec, s[28:29]
	s_movk_i32 s68, 0x80
	v_cmp_lt_u32_e64 s[12:13], s68, v0
	; wave barrier
	s_waitcnt lgkmcnt(0)
	s_barrier
	s_and_saveexec_b64 s[28:29], s[12:13]
	s_cbranch_execz .LBB1247_1585
; %bb.1482:
	v_lshlrev_b32_e32 v66, 3, v30
	v_mov_b32_e32 v67, 0
	v_lshl_add_u64 v[68:69], v[10:11], 0, v[66:67]
	s_mov_b64 s[30:31], 0
	s_branch .LBB1247_1487
.LBB1247_1483:                          ;   in Loop: Header=BB1247_1487 Depth=1
	s_or_b64 exec, exec, s[52:53]
	v_cndmask_b32_e64 v17, v15, v1, s[54:55]
	v_cndmask_b32_e64 v16, v14, v66, s[54:55]
.LBB1247_1484:                          ;   in Loop: Header=BB1247_1487 Depth=1
	s_or_b64 exec, exec, s[50:51]
	v_mov_b64_e32 v[14:15], v[16:17]
.LBB1247_1485:                          ;   in Loop: Header=BB1247_1487 Depth=1
	s_or_b64 exec, exec, s[48:49]
	v_cndmask_b32_e64 v19, v98, v100, s[46:47]
	v_cndmask_b32_e64 v18, v99, v101, s[46:47]
	;; [unrolled: 1-line block ×14, first 2 shown]
.LBB1247_1486:                          ;   in Loop: Header=BB1247_1487 Depth=1
	s_or_b64 exec, exec, s[34:35]
	v_cmp_ge_u32_e64 s[12:13], s68, v0
	s_or_b64 s[30:31], s[12:13], s[30:31]
	s_barrier
	s_andn2_b64 exec, exec, s[30:31]
	s_cbranch_execz .LBB1247_1584
.LBB1247_1487:                          ; =>This Loop Header: Depth=1
                                        ;     Child Loop BB1247_1491 Depth 2
                                        ;       Child Loop BB1247_1494 Depth 3
                                        ;     Child Loop BB1247_1508 Depth 2
                                        ;     Child Loop BB1247_1519 Depth 2
	;; [unrolled: 1-line block ×8, first 2 shown]
	s_mov_b32 s12, s68
	s_lshl_b32 s68, s68, 1
	s_sub_i32 s18, 0, s68
	v_and_b32_e32 v31, s18, v30
	v_add_u32_e32 v1, s12, v31
	v_min_u32_e32 v70, v1, v0
	s_add_i32 s13, s68, -1
	v_add_u32_e32 v1, s12, v70
	v_min_u32_e32 v1, v1, v0
	v_and_b32_e32 v66, s13, v30
	v_min_u32_e32 v100, v66, v0
	v_sub_u32_e32 v66, v70, v31
	v_sub_u32_e32 v71, v1, v70
	v_sub_u32_e64 v101, v100, v71 clamp
	v_min_u32_e32 v102, v100, v66
	v_cmp_lt_u32_e64 s[12:13], v101, v102
	flat_store_dwordx4 v[68:69], v[24:27]
	flat_store_dwordx4 v[68:69], v[20:23] offset:16
	flat_store_dwordx4 v[68:69], v[16:19] offset:32
	;; [unrolled: 1-line block ×3, first 2 shown]
	s_waitcnt lgkmcnt(0)
	s_barrier
	s_and_saveexec_b64 s[18:19], s[12:13]
	s_cbranch_execz .LBB1247_1499
; %bb.1488:                             ;   in Loop: Header=BB1247_1487 Depth=1
	v_lshlrev_b32_e32 v66, 3, v31
	v_mov_b32_e32 v71, v67
	v_lshl_add_u64 v[80:81], v[10:11], 0, v[66:67]
	v_lshl_add_u64 v[82:83], v[70:71], 3, v[10:11]
	s_mov_b64 s[34:35], 0
	s_branch .LBB1247_1491
.LBB1247_1489:                          ;   in Loop: Header=BB1247_1491 Depth=2
	s_or_b64 exec, exec, s[38:39]
	s_and_b64 s[12:13], s[40:41], exec
.LBB1247_1490:                          ;   in Loop: Header=BB1247_1491 Depth=2
	s_or_b64 exec, exec, s[36:37]
	v_add_u32_e32 v66, 1, v84
	v_cndmask_b32_e64 v102, v102, v84, s[12:13]
	v_cndmask_b32_e64 v101, v66, v101, s[12:13]
	v_cmp_ge_u32_e64 s[12:13], v101, v102
	s_or_b64 s[34:35], s[12:13], s[34:35]
	s_andn2_b64 exec, exec, s[34:35]
	s_cbranch_execz .LBB1247_1498
.LBB1247_1491:                          ;   Parent Loop BB1247_1487 Depth=1
                                        ; =>  This Loop Header: Depth=2
                                        ;       Child Loop BB1247_1494 Depth 3
	v_add_u32_e32 v66, v102, v101
	v_lshrrev_b32_e32 v84, 1, v66
	s_mov_b64 s[12:13], 0
	s_and_saveexec_b64 s[36:37], s[16:17]
	s_cbranch_execz .LBB1247_1490
; %bb.1492:                             ;   in Loop: Header=BB1247_1491 Depth=2
	v_mov_b32_e32 v85, v67
	v_xad_u32 v66, v84, -1, v100
	v_lshl_add_u64 v[86:87], v[84:85], 3, v[80:81]
	v_lshl_add_u64 v[96:97], v[66:67], 3, v[82:83]
	flat_load_dwordx2 v[86:87], v[86:87]
	s_mov_b64 s[38:39], 0
	flat_load_dwordx2 v[96:97], v[96:97]
                                        ; implicit-def: $sgpr40_sgpr41
                                        ; implicit-def: $sgpr42_sgpr43
                                        ; implicit-def: $sgpr44_sgpr45
	s_waitcnt vmcnt(0) lgkmcnt(0)
	v_mul_lo_u32 v66, v64, v87
	v_mul_lo_u32 v71, v65, v86
	v_mad_u64_u32 v[86:87], s[12:13], v64, v86, v[8:9]
	v_mul_lo_u32 v85, v64, v97
	v_mul_lo_u32 v98, v65, v96
	v_mad_u64_u32 v[96:97], s[12:13], v64, v96, v[8:9]
	v_add3_u32 v87, v71, v87, v66
	v_add3_u32 v97, v98, v97, v85
	v_mov_b64_e32 v[98:99], v[6:7]
	s_branch .LBB1247_1494
.LBB1247_1493:                          ;   in Loop: Header=BB1247_1494 Depth=3
	s_or_b64 exec, exec, s[52:53]
	s_and_b64 s[12:13], exec, s[46:47]
	s_or_b64 s[38:39], s[12:13], s[38:39]
	s_andn2_b64 s[12:13], s[40:41], exec
	s_and_b64 s[40:41], s[42:43], exec
	s_or_b64 s[40:41], s[12:13], s[40:41]
	s_andn2_b64 exec, exec, s[38:39]
	s_cbranch_execz .LBB1247_1489
.LBB1247_1494:                          ;   Parent Loop BB1247_1487 Depth=1
                                        ;     Parent Loop BB1247_1491 Depth=2
                                        ; =>    This Inner Loop Header: Depth=3
	flat_load_ushort v66, v[96:97]
	flat_load_ushort v71, v[86:87]
	s_mov_b64 s[46:47], -1
	s_mov_b64 s[50:51], 0
	s_mov_b64 s[48:49], -1
	s_waitcnt vmcnt(0) lgkmcnt(0)
	v_cmp_nlt_f16_e64 s[12:13], v66, v71
	s_and_saveexec_b64 s[52:53], s[12:13]
; %bb.1495:                             ;   in Loop: Header=BB1247_1494 Depth=3
	v_cmp_ngt_f16_e64 s[12:13], v66, v71
	s_and_b64 s[44:45], s[12:13], s[44:45]
	s_orn2_b64 s[48:49], s[44:45], exec
	s_and_b64 s[50:51], s[12:13], exec
; %bb.1496:                             ;   in Loop: Header=BB1247_1494 Depth=3
	s_or_b64 exec, exec, s[52:53]
	s_andn2_b64 s[12:13], s[42:43], exec
	s_and_b64 s[42:43], s[48:49], exec
	s_or_b64 s[42:43], s[12:13], s[42:43]
                                        ; implicit-def: $sgpr44_sgpr45
	s_and_saveexec_b64 s[52:53], s[50:51]
	s_cbranch_execz .LBB1247_1493
; %bb.1497:                             ;   in Loop: Header=BB1247_1494 Depth=3
	v_lshl_add_u64 v[98:99], v[98:99], 0, -1
	v_cmp_eq_u64_e64 s[12:13], 0, v[98:99]
	v_lshl_add_u64 v[86:87], v[86:87], 0, 2
	v_lshl_add_u64 v[96:97], v[96:97], 0, 2
	s_andn2_b64 s[42:43], s[42:43], exec
	s_and_b64 s[44:45], s[48:49], exec
	s_orn2_b64 s[46:47], s[12:13], exec
	s_branch .LBB1247_1493
.LBB1247_1498:                          ;   in Loop: Header=BB1247_1487 Depth=1
	s_or_b64 exec, exec, s[34:35]
.LBB1247_1499:                          ;   in Loop: Header=BB1247_1487 Depth=1
	s_or_b64 exec, exec, s[18:19]
	v_sub_u32_e32 v66, v100, v101
	v_add_u32_e32 v80, v101, v31
	v_add_u32_e32 v82, v66, v70
	v_cmp_le_u32_e64 s[12:13], v80, v70
	v_cmp_le_u32_e64 s[18:19], v82, v1
	s_or_b64 s[12:13], s[12:13], s[18:19]
	s_and_saveexec_b64 s[34:35], s[12:13]
	s_cbranch_execz .LBB1247_1486
; %bb.1500:                             ;   in Loop: Header=BB1247_1487 Depth=1
	v_cmp_ge_u32_e64 s[18:19], v80, v70
	v_cmp_lt_u32_e64 s[12:13], v80, v70
                                        ; implicit-def: $vgpr12_vgpr13
	s_and_saveexec_b64 s[36:37], s[12:13]
	s_cbranch_execz .LBB1247_1502
; %bb.1501:                             ;   in Loop: Header=BB1247_1487 Depth=1
	v_mov_b32_e32 v81, v67
	v_lshl_add_u64 v[12:13], v[80:81], 3, v[10:11]
	flat_load_dwordx2 v[12:13], v[12:13]
.LBB1247_1502:                          ;   in Loop: Header=BB1247_1487 Depth=1
	s_or_b64 exec, exec, s[36:37]
	v_cmp_ge_u32_e64 s[36:37], v82, v1
	v_cmp_lt_u32_e64 s[12:13], v82, v1
                                        ; implicit-def: $vgpr24_vgpr25
	s_and_saveexec_b64 s[38:39], s[12:13]
	s_cbranch_execz .LBB1247_1504
; %bb.1503:                             ;   in Loop: Header=BB1247_1487 Depth=1
	v_mov_b32_e32 v83, v67
	v_lshl_add_u64 v[14:15], v[82:83], 3, v[10:11]
	flat_load_dwordx2 v[24:25], v[14:15]
.LBB1247_1504:                          ;   in Loop: Header=BB1247_1487 Depth=1
	s_or_b64 exec, exec, s[38:39]
	s_or_b64 s[12:13], s[18:19], s[36:37]
	s_xor_b64 s[12:13], s[12:13], -1
	s_and_saveexec_b64 s[18:19], s[12:13]
	s_cbranch_execz .LBB1247_1514
; %bb.1505:                             ;   in Loop: Header=BB1247_1487 Depth=1
	s_mov_b64 s[12:13], 0
	s_and_saveexec_b64 s[38:39], s[16:17]
	s_cbranch_execz .LBB1247_1513
; %bb.1506:                             ;   in Loop: Header=BB1247_1487 Depth=1
	s_waitcnt vmcnt(0) lgkmcnt(0)
	v_mad_u64_u32 v[14:15], s[12:13], v64, v12, v[8:9]
	v_mul_lo_u32 v16, v64, v13
	v_mul_lo_u32 v17, v65, v12
	v_add3_u32 v15, v17, v15, v16
	v_mad_u64_u32 v[16:17], s[12:13], v64, v24, v[8:9]
	v_mul_lo_u32 v18, v64, v25
	v_mul_lo_u32 v19, v65, v24
	v_add3_u32 v17, v19, v17, v18
	s_mov_b64 s[40:41], 0
	v_mov_b64_e32 v[18:19], v[6:7]
                                        ; implicit-def: $sgpr42_sgpr43
                                        ; implicit-def: $sgpr44_sgpr45
                                        ; implicit-def: $sgpr46_sgpr47
	s_branch .LBB1247_1508
.LBB1247_1507:                          ;   in Loop: Header=BB1247_1508 Depth=2
	s_or_b64 exec, exec, s[54:55]
	s_and_b64 s[12:13], exec, s[48:49]
	s_or_b64 s[40:41], s[12:13], s[40:41]
	s_andn2_b64 s[12:13], s[42:43], exec
	s_and_b64 s[42:43], s[44:45], exec
	s_or_b64 s[42:43], s[12:13], s[42:43]
	s_andn2_b64 exec, exec, s[40:41]
	s_cbranch_execz .LBB1247_1512
.LBB1247_1508:                          ;   Parent Loop BB1247_1487 Depth=1
                                        ; =>  This Inner Loop Header: Depth=2
	flat_load_ushort v20, v[16:17]
	flat_load_ushort v21, v[14:15]
	s_mov_b64 s[48:49], -1
	s_mov_b64 s[52:53], 0
	s_mov_b64 s[50:51], -1
	s_waitcnt vmcnt(0) lgkmcnt(0)
	v_cmp_nlt_f16_e64 s[12:13], v20, v21
	s_and_saveexec_b64 s[54:55], s[12:13]
; %bb.1509:                             ;   in Loop: Header=BB1247_1508 Depth=2
	v_cmp_ngt_f16_e64 s[12:13], v20, v21
	s_and_b64 s[46:47], s[12:13], s[46:47]
	s_orn2_b64 s[50:51], s[46:47], exec
	s_and_b64 s[52:53], s[12:13], exec
; %bb.1510:                             ;   in Loop: Header=BB1247_1508 Depth=2
	s_or_b64 exec, exec, s[54:55]
	s_andn2_b64 s[12:13], s[44:45], exec
	s_and_b64 s[44:45], s[50:51], exec
	s_or_b64 s[44:45], s[12:13], s[44:45]
                                        ; implicit-def: $sgpr46_sgpr47
	s_and_saveexec_b64 s[54:55], s[52:53]
	s_cbranch_execz .LBB1247_1507
; %bb.1511:                             ;   in Loop: Header=BB1247_1508 Depth=2
	v_lshl_add_u64 v[18:19], v[18:19], 0, -1
	v_cmp_eq_u64_e64 s[12:13], 0, v[18:19]
	v_lshl_add_u64 v[14:15], v[14:15], 0, 2
	v_lshl_add_u64 v[16:17], v[16:17], 0, 2
	s_andn2_b64 s[44:45], s[44:45], exec
	s_and_b64 s[46:47], s[50:51], exec
	s_orn2_b64 s[48:49], s[12:13], exec
	s_branch .LBB1247_1507
.LBB1247_1512:                          ;   in Loop: Header=BB1247_1487 Depth=1
	s_or_b64 exec, exec, s[40:41]
	s_and_b64 s[12:13], s[42:43], exec
.LBB1247_1513:                          ;   in Loop: Header=BB1247_1487 Depth=1
	s_or_b64 exec, exec, s[38:39]
	s_xor_b64 s[12:13], s[12:13], -1
	s_andn2_b64 s[36:37], s[36:37], exec
	s_and_b64 s[12:13], s[12:13], exec
	s_or_b64 s[36:37], s[36:37], s[12:13]
.LBB1247_1514:                          ;   in Loop: Header=BB1247_1487 Depth=1
	s_or_b64 exec, exec, s[18:19]
	v_cndmask_b32_e64 v14, v82, v80, s[36:37]
	v_cndmask_b32_e64 v15, v1, v70, s[36:37]
	v_add_u32_e32 v16, 1, v14
	v_add_u32_e32 v14, -1, v15
	v_min_u32_e32 v66, v16, v14
	v_lshl_add_u64 v[14:15], v[66:67], 3, v[10:11]
	flat_load_dwordx2 v[14:15], v[14:15]
	v_cndmask_b32_e64 v20, v16, v82, s[36:37]
	s_mov_b64 s[18:19], -1
	v_cndmask_b32_e64 v21, v80, v16, s[36:37]
	v_cmp_lt_u32_e64 s[12:13], v20, v1
	s_mov_b64 s[38:39], -1
	s_waitcnt vmcnt(0) lgkmcnt(0)
	v_cndmask_b32_e64 v26, v15, v25, s[36:37]
	v_cndmask_b32_e64 v31, v14, v24, s[36:37]
	;; [unrolled: 1-line block ×4, first 2 shown]
	s_and_saveexec_b64 s[40:41], s[12:13]
	s_cbranch_execz .LBB1247_1526
; %bb.1515:                             ;   in Loop: Header=BB1247_1487 Depth=1
	v_cmp_lt_u32_e64 s[12:13], v21, v70
	s_mov_b64 s[42:43], 0
	s_and_saveexec_b64 s[38:39], s[12:13]
	s_cbranch_execz .LBB1247_1525
; %bb.1516:                             ;   in Loop: Header=BB1247_1487 Depth=1
	s_mov_b64 s[12:13], 0
	s_and_saveexec_b64 s[42:43], s[16:17]
	s_cbranch_execz .LBB1247_1524
; %bb.1517:                             ;   in Loop: Header=BB1247_1487 Depth=1
	v_mad_u64_u32 v[14:15], s[12:13], v64, v71, v[8:9]
	v_mul_lo_u32 v16, v64, v27
	v_mul_lo_u32 v17, v65, v71
	v_add3_u32 v15, v17, v15, v16
	v_mad_u64_u32 v[16:17], s[12:13], v64, v31, v[8:9]
	v_mul_lo_u32 v18, v64, v26
	v_mul_lo_u32 v19, v65, v31
	v_add3_u32 v17, v19, v17, v18
	s_mov_b64 s[44:45], 0
	v_mov_b64_e32 v[18:19], v[6:7]
                                        ; implicit-def: $sgpr46_sgpr47
                                        ; implicit-def: $sgpr48_sgpr49
                                        ; implicit-def: $sgpr50_sgpr51
	s_branch .LBB1247_1519
.LBB1247_1518:                          ;   in Loop: Header=BB1247_1519 Depth=2
	s_or_b64 exec, exec, s[58:59]
	s_and_b64 s[12:13], exec, s[52:53]
	s_or_b64 s[44:45], s[12:13], s[44:45]
	s_andn2_b64 s[12:13], s[46:47], exec
	s_and_b64 s[46:47], s[48:49], exec
	s_or_b64 s[46:47], s[12:13], s[46:47]
	s_andn2_b64 exec, exec, s[44:45]
	s_cbranch_execz .LBB1247_1523
.LBB1247_1519:                          ;   Parent Loop BB1247_1487 Depth=1
                                        ; =>  This Inner Loop Header: Depth=2
	flat_load_ushort v22, v[16:17]
	flat_load_ushort v23, v[14:15]
	s_mov_b64 s[52:53], -1
	s_mov_b64 s[56:57], 0
	s_mov_b64 s[54:55], -1
	s_waitcnt vmcnt(0) lgkmcnt(0)
	v_cmp_nlt_f16_e64 s[12:13], v22, v23
	s_and_saveexec_b64 s[58:59], s[12:13]
; %bb.1520:                             ;   in Loop: Header=BB1247_1519 Depth=2
	v_cmp_ngt_f16_e64 s[12:13], v22, v23
	s_and_b64 s[50:51], s[12:13], s[50:51]
	s_orn2_b64 s[54:55], s[50:51], exec
	s_and_b64 s[56:57], s[12:13], exec
; %bb.1521:                             ;   in Loop: Header=BB1247_1519 Depth=2
	s_or_b64 exec, exec, s[58:59]
	s_andn2_b64 s[12:13], s[48:49], exec
	s_and_b64 s[48:49], s[54:55], exec
	s_or_b64 s[48:49], s[12:13], s[48:49]
                                        ; implicit-def: $sgpr50_sgpr51
	s_and_saveexec_b64 s[58:59], s[56:57]
	s_cbranch_execz .LBB1247_1518
; %bb.1522:                             ;   in Loop: Header=BB1247_1519 Depth=2
	v_lshl_add_u64 v[18:19], v[18:19], 0, -1
	v_cmp_eq_u64_e64 s[12:13], 0, v[18:19]
	v_lshl_add_u64 v[14:15], v[14:15], 0, 2
	v_lshl_add_u64 v[16:17], v[16:17], 0, 2
	s_andn2_b64 s[48:49], s[48:49], exec
	s_and_b64 s[50:51], s[54:55], exec
	s_orn2_b64 s[52:53], s[12:13], exec
	s_branch .LBB1247_1518
.LBB1247_1523:                          ;   in Loop: Header=BB1247_1487 Depth=1
	s_or_b64 exec, exec, s[44:45]
	s_and_b64 s[12:13], s[46:47], exec
.LBB1247_1524:                          ;   in Loop: Header=BB1247_1487 Depth=1
	s_or_b64 exec, exec, s[42:43]
	s_xor_b64 s[12:13], s[12:13], -1
	s_and_b64 s[42:43], s[12:13], exec
.LBB1247_1525:                          ;   in Loop: Header=BB1247_1487 Depth=1
	s_or_b64 exec, exec, s[38:39]
	s_orn2_b64 s[38:39], s[42:43], exec
.LBB1247_1526:                          ;   in Loop: Header=BB1247_1487 Depth=1
	s_or_b64 exec, exec, s[40:41]
	v_cndmask_b32_e64 v14, v20, v21, s[38:39]
	v_cndmask_b32_e64 v15, v1, v70, s[38:39]
	v_add_u32_e32 v16, 1, v14
	v_add_u32_e32 v14, -1, v15
	v_min_u32_e32 v66, v16, v14
	v_lshl_add_u64 v[14:15], v[66:67], 3, v[10:11]
	flat_load_dwordx2 v[14:15], v[14:15]
	v_cndmask_b32_e64 v20, v16, v20, s[38:39]
	v_cndmask_b32_e64 v21, v21, v16, s[38:39]
	v_cmp_lt_u32_e64 s[12:13], v20, v1
	s_waitcnt vmcnt(0) lgkmcnt(0)
	v_cndmask_b32_e64 v80, v15, v26, s[38:39]
	v_cndmask_b32_e64 v81, v14, v31, s[38:39]
	;; [unrolled: 1-line block ×4, first 2 shown]
	s_and_saveexec_b64 s[40:41], s[12:13]
	s_cbranch_execz .LBB1247_1536
; %bb.1527:                             ;   in Loop: Header=BB1247_1487 Depth=1
	v_cmp_lt_u32_e64 s[18:19], v21, v70
	s_and_b64 s[12:13], s[18:19], s[26:27]
	s_and_saveexec_b64 s[42:43], s[12:13]
	s_cbranch_execz .LBB1247_1535
; %bb.1528:                             ;   in Loop: Header=BB1247_1487 Depth=1
	v_mad_u64_u32 v[14:15], s[12:13], v64, v83, v[8:9]
	v_mul_lo_u32 v16, v64, v82
	v_mul_lo_u32 v17, v65, v83
	v_add3_u32 v15, v17, v15, v16
	v_mad_u64_u32 v[16:17], s[12:13], v64, v81, v[8:9]
	v_mul_lo_u32 v18, v64, v80
	v_mul_lo_u32 v19, v65, v81
	v_add3_u32 v17, v19, v17, v18
	s_mov_b64 s[44:45], 0
	v_mov_b64_e32 v[18:19], v[6:7]
                                        ; implicit-def: $sgpr46_sgpr47
                                        ; implicit-def: $sgpr48_sgpr49
                                        ; implicit-def: $sgpr50_sgpr51
	s_branch .LBB1247_1530
.LBB1247_1529:                          ;   in Loop: Header=BB1247_1530 Depth=2
	s_or_b64 exec, exec, s[58:59]
	s_and_b64 s[12:13], exec, s[52:53]
	s_or_b64 s[44:45], s[12:13], s[44:45]
	s_andn2_b64 s[12:13], s[46:47], exec
	s_and_b64 s[46:47], s[48:49], exec
	s_or_b64 s[46:47], s[12:13], s[46:47]
	s_andn2_b64 exec, exec, s[44:45]
	s_cbranch_execz .LBB1247_1534
.LBB1247_1530:                          ;   Parent Loop BB1247_1487 Depth=1
                                        ; =>  This Inner Loop Header: Depth=2
	flat_load_ushort v22, v[16:17]
	flat_load_ushort v23, v[14:15]
	s_mov_b64 s[52:53], -1
	s_mov_b64 s[56:57], 0
	s_mov_b64 s[54:55], -1
	s_waitcnt vmcnt(0) lgkmcnt(0)
	v_cmp_nlt_f16_e64 s[12:13], v22, v23
	s_and_saveexec_b64 s[58:59], s[12:13]
; %bb.1531:                             ;   in Loop: Header=BB1247_1530 Depth=2
	v_cmp_ngt_f16_e64 s[12:13], v22, v23
	s_and_b64 s[50:51], s[12:13], s[50:51]
	s_orn2_b64 s[54:55], s[50:51], exec
	s_and_b64 s[56:57], s[12:13], exec
; %bb.1532:                             ;   in Loop: Header=BB1247_1530 Depth=2
	s_or_b64 exec, exec, s[58:59]
	s_andn2_b64 s[12:13], s[48:49], exec
	s_and_b64 s[48:49], s[54:55], exec
	s_or_b64 s[48:49], s[12:13], s[48:49]
                                        ; implicit-def: $sgpr50_sgpr51
	s_and_saveexec_b64 s[58:59], s[56:57]
	s_cbranch_execz .LBB1247_1529
; %bb.1533:                             ;   in Loop: Header=BB1247_1530 Depth=2
	v_lshl_add_u64 v[18:19], v[18:19], 0, -1
	v_cmp_eq_u64_e64 s[12:13], 0, v[18:19]
	v_lshl_add_u64 v[14:15], v[14:15], 0, 2
	v_lshl_add_u64 v[16:17], v[16:17], 0, 2
	s_and_b64 s[50:51], s[54:55], exec
	s_andn2_b64 s[48:49], s[48:49], exec
	s_orn2_b64 s[52:53], s[12:13], exec
	s_branch .LBB1247_1529
.LBB1247_1534:                          ;   in Loop: Header=BB1247_1487 Depth=1
	s_or_b64 exec, exec, s[44:45]
	s_xor_b64 s[12:13], s[46:47], -1
	s_andn2_b64 s[18:19], s[18:19], exec
	s_and_b64 s[12:13], s[12:13], exec
	s_or_b64 s[18:19], s[18:19], s[12:13]
.LBB1247_1535:                          ;   in Loop: Header=BB1247_1487 Depth=1
	s_or_b64 exec, exec, s[42:43]
	s_orn2_b64 s[18:19], s[18:19], exec
.LBB1247_1536:                          ;   in Loop: Header=BB1247_1487 Depth=1
	s_or_b64 exec, exec, s[40:41]
	v_cndmask_b32_e64 v14, v20, v21, s[18:19]
	v_cndmask_b32_e64 v15, v1, v70, s[18:19]
	v_add_u32_e32 v16, 1, v14
	v_add_u32_e32 v14, -1, v15
	v_min_u32_e32 v66, v16, v14
	v_lshl_add_u64 v[14:15], v[66:67], 3, v[10:11]
	flat_load_dwordx2 v[14:15], v[14:15]
	v_cndmask_b32_e64 v20, v16, v20, s[18:19]
	s_mov_b64 s[40:41], -1
	v_cndmask_b32_e64 v21, v21, v16, s[18:19]
	v_cmp_lt_u32_e64 s[12:13], v20, v1
	s_mov_b64 s[42:43], -1
	s_waitcnt vmcnt(0) lgkmcnt(0)
	v_cndmask_b32_e64 v22, v15, v80, s[18:19]
	v_cndmask_b32_e64 v84, v14, v81, s[18:19]
	v_cndmask_b32_e64 v23, v82, v15, s[18:19]
	v_cndmask_b32_e64 v85, v83, v14, s[18:19]
	s_and_saveexec_b64 s[44:45], s[12:13]
	s_cbranch_execz .LBB1247_1546
; %bb.1537:                             ;   in Loop: Header=BB1247_1487 Depth=1
	v_cmp_lt_u32_e64 s[42:43], v21, v70
	s_and_b64 s[12:13], s[42:43], s[26:27]
	s_and_saveexec_b64 s[46:47], s[12:13]
	s_cbranch_execz .LBB1247_1545
; %bb.1538:                             ;   in Loop: Header=BB1247_1487 Depth=1
	v_mad_u64_u32 v[14:15], s[12:13], v64, v85, v[8:9]
	v_mul_lo_u32 v16, v64, v23
	v_mul_lo_u32 v17, v65, v85
	v_add3_u32 v15, v17, v15, v16
	v_mad_u64_u32 v[16:17], s[12:13], v64, v84, v[8:9]
	v_mul_lo_u32 v18, v64, v22
	v_mul_lo_u32 v19, v65, v84
	v_add3_u32 v17, v19, v17, v18
	s_mov_b64 s[48:49], 0
	v_mov_b64_e32 v[18:19], v[6:7]
                                        ; implicit-def: $sgpr50_sgpr51
                                        ; implicit-def: $sgpr52_sgpr53
                                        ; implicit-def: $sgpr54_sgpr55
	s_branch .LBB1247_1540
.LBB1247_1539:                          ;   in Loop: Header=BB1247_1540 Depth=2
	s_or_b64 exec, exec, s[62:63]
	s_and_b64 s[12:13], exec, s[56:57]
	s_or_b64 s[48:49], s[12:13], s[48:49]
	s_andn2_b64 s[12:13], s[50:51], exec
	s_and_b64 s[50:51], s[52:53], exec
	s_or_b64 s[50:51], s[12:13], s[50:51]
	s_andn2_b64 exec, exec, s[48:49]
	s_cbranch_execz .LBB1247_1544
.LBB1247_1540:                          ;   Parent Loop BB1247_1487 Depth=1
                                        ; =>  This Inner Loop Header: Depth=2
	flat_load_ushort v66, v[16:17]
	flat_load_ushort v86, v[14:15]
	s_mov_b64 s[56:57], -1
	s_mov_b64 s[60:61], 0
	s_mov_b64 s[58:59], -1
	s_waitcnt vmcnt(0) lgkmcnt(0)
	v_cmp_nlt_f16_e64 s[12:13], v66, v86
	s_and_saveexec_b64 s[62:63], s[12:13]
; %bb.1541:                             ;   in Loop: Header=BB1247_1540 Depth=2
	v_cmp_ngt_f16_e64 s[12:13], v66, v86
	s_and_b64 s[54:55], s[12:13], s[54:55]
	s_orn2_b64 s[58:59], s[54:55], exec
	s_and_b64 s[60:61], s[12:13], exec
; %bb.1542:                             ;   in Loop: Header=BB1247_1540 Depth=2
	s_or_b64 exec, exec, s[62:63]
	s_andn2_b64 s[12:13], s[52:53], exec
	s_and_b64 s[52:53], s[58:59], exec
	s_or_b64 s[52:53], s[12:13], s[52:53]
                                        ; implicit-def: $sgpr54_sgpr55
	s_and_saveexec_b64 s[62:63], s[60:61]
	s_cbranch_execz .LBB1247_1539
; %bb.1543:                             ;   in Loop: Header=BB1247_1540 Depth=2
	v_lshl_add_u64 v[18:19], v[18:19], 0, -1
	v_cmp_eq_u64_e64 s[12:13], 0, v[18:19]
	v_lshl_add_u64 v[14:15], v[14:15], 0, 2
	v_lshl_add_u64 v[16:17], v[16:17], 0, 2
	s_and_b64 s[54:55], s[58:59], exec
	s_andn2_b64 s[52:53], s[52:53], exec
	s_orn2_b64 s[56:57], s[12:13], exec
	s_branch .LBB1247_1539
.LBB1247_1544:                          ;   in Loop: Header=BB1247_1487 Depth=1
	s_or_b64 exec, exec, s[48:49]
	s_xor_b64 s[12:13], s[50:51], -1
	s_andn2_b64 s[42:43], s[42:43], exec
	s_and_b64 s[12:13], s[12:13], exec
	s_or_b64 s[42:43], s[42:43], s[12:13]
.LBB1247_1545:                          ;   in Loop: Header=BB1247_1487 Depth=1
	s_or_b64 exec, exec, s[46:47]
	s_orn2_b64 s[42:43], s[42:43], exec
.LBB1247_1546:                          ;   in Loop: Header=BB1247_1487 Depth=1
	s_or_b64 exec, exec, s[44:45]
	v_cndmask_b32_e64 v14, v20, v21, s[42:43]
	v_cndmask_b32_e64 v15, v1, v70, s[42:43]
	v_add_u32_e32 v16, 1, v14
	v_add_u32_e32 v14, -1, v15
	v_min_u32_e32 v66, v16, v14
	v_lshl_add_u64 v[14:15], v[66:67], 3, v[10:11]
	flat_load_dwordx2 v[14:15], v[14:15]
	v_cndmask_b32_e64 v20, v16, v20, s[42:43]
	v_cndmask_b32_e64 v21, v21, v16, s[42:43]
	v_cmp_lt_u32_e64 s[12:13], v20, v1
	s_waitcnt vmcnt(0) lgkmcnt(0)
	v_cndmask_b32_e64 v86, v15, v22, s[42:43]
	v_cndmask_b32_e64 v87, v14, v84, s[42:43]
	;; [unrolled: 1-line block ×4, first 2 shown]
	s_and_saveexec_b64 s[44:45], s[12:13]
	s_cbranch_execz .LBB1247_1556
; %bb.1547:                             ;   in Loop: Header=BB1247_1487 Depth=1
	v_cmp_lt_u32_e64 s[40:41], v21, v70
	s_and_b64 s[12:13], s[40:41], s[26:27]
	s_and_saveexec_b64 s[46:47], s[12:13]
	s_cbranch_execz .LBB1247_1555
; %bb.1548:                             ;   in Loop: Header=BB1247_1487 Depth=1
	v_mad_u64_u32 v[14:15], s[12:13], v64, v97, v[8:9]
	v_mul_lo_u32 v16, v64, v96
	v_mul_lo_u32 v17, v65, v97
	v_add3_u32 v15, v17, v15, v16
	v_mad_u64_u32 v[16:17], s[12:13], v64, v87, v[8:9]
	v_mul_lo_u32 v18, v64, v86
	v_mul_lo_u32 v19, v65, v87
	v_add3_u32 v17, v19, v17, v18
	s_mov_b64 s[48:49], 0
	v_mov_b64_e32 v[18:19], v[6:7]
                                        ; implicit-def: $sgpr50_sgpr51
                                        ; implicit-def: $sgpr52_sgpr53
                                        ; implicit-def: $sgpr54_sgpr55
	s_branch .LBB1247_1550
.LBB1247_1549:                          ;   in Loop: Header=BB1247_1550 Depth=2
	s_or_b64 exec, exec, s[62:63]
	s_and_b64 s[12:13], exec, s[56:57]
	s_or_b64 s[48:49], s[12:13], s[48:49]
	s_andn2_b64 s[12:13], s[50:51], exec
	s_and_b64 s[50:51], s[52:53], exec
	s_or_b64 s[50:51], s[12:13], s[50:51]
	s_andn2_b64 exec, exec, s[48:49]
	s_cbranch_execz .LBB1247_1554
.LBB1247_1550:                          ;   Parent Loop BB1247_1487 Depth=1
                                        ; =>  This Inner Loop Header: Depth=2
	flat_load_ushort v66, v[16:17]
	flat_load_ushort v98, v[14:15]
	s_mov_b64 s[56:57], -1
	s_mov_b64 s[60:61], 0
	s_mov_b64 s[58:59], -1
	s_waitcnt vmcnt(0) lgkmcnt(0)
	v_cmp_nlt_f16_e64 s[12:13], v66, v98
	s_and_saveexec_b64 s[62:63], s[12:13]
; %bb.1551:                             ;   in Loop: Header=BB1247_1550 Depth=2
	v_cmp_ngt_f16_e64 s[12:13], v66, v98
	s_and_b64 s[54:55], s[12:13], s[54:55]
	s_orn2_b64 s[58:59], s[54:55], exec
	s_and_b64 s[60:61], s[12:13], exec
; %bb.1552:                             ;   in Loop: Header=BB1247_1550 Depth=2
	s_or_b64 exec, exec, s[62:63]
	s_andn2_b64 s[12:13], s[52:53], exec
	s_and_b64 s[52:53], s[58:59], exec
	s_or_b64 s[52:53], s[12:13], s[52:53]
                                        ; implicit-def: $sgpr54_sgpr55
	s_and_saveexec_b64 s[62:63], s[60:61]
	s_cbranch_execz .LBB1247_1549
; %bb.1553:                             ;   in Loop: Header=BB1247_1550 Depth=2
	v_lshl_add_u64 v[18:19], v[18:19], 0, -1
	v_cmp_eq_u64_e64 s[12:13], 0, v[18:19]
	v_lshl_add_u64 v[14:15], v[14:15], 0, 2
	v_lshl_add_u64 v[16:17], v[16:17], 0, 2
	s_and_b64 s[54:55], s[58:59], exec
	s_andn2_b64 s[52:53], s[52:53], exec
	s_orn2_b64 s[56:57], s[12:13], exec
	s_branch .LBB1247_1549
.LBB1247_1554:                          ;   in Loop: Header=BB1247_1487 Depth=1
	s_or_b64 exec, exec, s[48:49]
	s_xor_b64 s[12:13], s[50:51], -1
	s_andn2_b64 s[40:41], s[40:41], exec
	s_and_b64 s[12:13], s[12:13], exec
	s_or_b64 s[40:41], s[40:41], s[12:13]
.LBB1247_1555:                          ;   in Loop: Header=BB1247_1487 Depth=1
	s_or_b64 exec, exec, s[46:47]
	s_orn2_b64 s[40:41], s[40:41], exec
.LBB1247_1556:                          ;   in Loop: Header=BB1247_1487 Depth=1
	s_or_b64 exec, exec, s[44:45]
	v_cndmask_b32_e64 v14, v20, v21, s[40:41]
	v_cndmask_b32_e64 v15, v1, v70, s[40:41]
	v_add_u32_e32 v16, 1, v14
	v_add_u32_e32 v14, -1, v15
	v_min_u32_e32 v66, v16, v14
	v_lshl_add_u64 v[14:15], v[66:67], 3, v[10:11]
	flat_load_dwordx2 v[14:15], v[14:15]
	v_cndmask_b32_e64 v20, v16, v20, s[40:41]
	s_mov_b64 s[44:45], -1
	v_cndmask_b32_e64 v21, v21, v16, s[40:41]
	v_cmp_lt_u32_e64 s[12:13], v20, v1
	s_mov_b64 s[46:47], -1
	s_waitcnt vmcnt(0) lgkmcnt(0)
	v_cndmask_b32_e64 v98, v15, v86, s[40:41]
	v_cndmask_b32_e64 v99, v14, v87, s[40:41]
	;; [unrolled: 1-line block ×4, first 2 shown]
	s_and_saveexec_b64 s[48:49], s[12:13]
	s_cbranch_execz .LBB1247_1566
; %bb.1557:                             ;   in Loop: Header=BB1247_1487 Depth=1
	v_cmp_lt_u32_e64 s[46:47], v21, v70
	s_and_b64 s[12:13], s[46:47], s[26:27]
	s_and_saveexec_b64 s[50:51], s[12:13]
	s_cbranch_execz .LBB1247_1565
; %bb.1558:                             ;   in Loop: Header=BB1247_1487 Depth=1
	v_mad_u64_u32 v[14:15], s[12:13], v64, v101, v[8:9]
	v_mul_lo_u32 v16, v64, v100
	v_mul_lo_u32 v17, v65, v101
	v_add3_u32 v15, v17, v15, v16
	v_mad_u64_u32 v[16:17], s[12:13], v64, v99, v[8:9]
	v_mul_lo_u32 v18, v64, v98
	v_mul_lo_u32 v19, v65, v99
	v_add3_u32 v17, v19, v17, v18
	s_mov_b64 s[52:53], 0
	v_mov_b64_e32 v[18:19], v[6:7]
                                        ; implicit-def: $sgpr54_sgpr55
                                        ; implicit-def: $sgpr56_sgpr57
                                        ; implicit-def: $sgpr58_sgpr59
	s_branch .LBB1247_1560
.LBB1247_1559:                          ;   in Loop: Header=BB1247_1560 Depth=2
	s_or_b64 exec, exec, s[66:67]
	s_and_b64 s[12:13], exec, s[60:61]
	s_or_b64 s[52:53], s[12:13], s[52:53]
	s_andn2_b64 s[12:13], s[54:55], exec
	s_and_b64 s[54:55], s[56:57], exec
	s_or_b64 s[54:55], s[12:13], s[54:55]
	s_andn2_b64 exec, exec, s[52:53]
	s_cbranch_execz .LBB1247_1564
.LBB1247_1560:                          ;   Parent Loop BB1247_1487 Depth=1
                                        ; =>  This Inner Loop Header: Depth=2
	flat_load_ushort v66, v[16:17]
	flat_load_ushort v102, v[14:15]
	s_mov_b64 s[60:61], -1
	s_mov_b64 s[64:65], 0
	s_mov_b64 s[62:63], -1
	s_waitcnt vmcnt(0) lgkmcnt(0)
	v_cmp_nlt_f16_e64 s[12:13], v66, v102
	s_and_saveexec_b64 s[66:67], s[12:13]
; %bb.1561:                             ;   in Loop: Header=BB1247_1560 Depth=2
	v_cmp_ngt_f16_e64 s[12:13], v66, v102
	s_and_b64 s[58:59], s[12:13], s[58:59]
	s_orn2_b64 s[62:63], s[58:59], exec
	s_and_b64 s[64:65], s[12:13], exec
; %bb.1562:                             ;   in Loop: Header=BB1247_1560 Depth=2
	s_or_b64 exec, exec, s[66:67]
	s_andn2_b64 s[12:13], s[56:57], exec
	s_and_b64 s[56:57], s[62:63], exec
	s_or_b64 s[56:57], s[12:13], s[56:57]
                                        ; implicit-def: $sgpr58_sgpr59
	s_and_saveexec_b64 s[66:67], s[64:65]
	s_cbranch_execz .LBB1247_1559
; %bb.1563:                             ;   in Loop: Header=BB1247_1560 Depth=2
	v_lshl_add_u64 v[18:19], v[18:19], 0, -1
	v_cmp_eq_u64_e64 s[12:13], 0, v[18:19]
	v_lshl_add_u64 v[14:15], v[14:15], 0, 2
	v_lshl_add_u64 v[16:17], v[16:17], 0, 2
	s_and_b64 s[58:59], s[62:63], exec
	s_andn2_b64 s[56:57], s[56:57], exec
	s_orn2_b64 s[60:61], s[12:13], exec
	s_branch .LBB1247_1559
.LBB1247_1564:                          ;   in Loop: Header=BB1247_1487 Depth=1
	s_or_b64 exec, exec, s[52:53]
	s_xor_b64 s[12:13], s[54:55], -1
	s_andn2_b64 s[46:47], s[46:47], exec
	s_and_b64 s[12:13], s[12:13], exec
	s_or_b64 s[46:47], s[46:47], s[12:13]
.LBB1247_1565:                          ;   in Loop: Header=BB1247_1487 Depth=1
	s_or_b64 exec, exec, s[50:51]
	s_orn2_b64 s[46:47], s[46:47], exec
.LBB1247_1566:                          ;   in Loop: Header=BB1247_1487 Depth=1
	s_or_b64 exec, exec, s[48:49]
	v_cndmask_b32_e64 v14, v20, v21, s[46:47]
	v_cndmask_b32_e64 v15, v1, v70, s[46:47]
	v_add_u32_e32 v16, 1, v14
	v_add_u32_e32 v14, -1, v15
	v_min_u32_e32 v66, v16, v14
	v_lshl_add_u64 v[14:15], v[66:67], 3, v[10:11]
	flat_load_dwordx2 v[14:15], v[14:15]
	v_cndmask_b32_e64 v114, v16, v20, s[46:47]
	v_cndmask_b32_e64 v20, v21, v16, s[46:47]
	v_cmp_lt_u32_e64 s[12:13], v114, v1
	s_waitcnt vmcnt(0) lgkmcnt(0)
	v_cndmask_b32_e64 v102, v15, v98, s[46:47]
	v_cndmask_b32_e64 v103, v14, v99, s[46:47]
	;; [unrolled: 1-line block ×4, first 2 shown]
	s_and_saveexec_b64 s[48:49], s[12:13]
	s_cbranch_execz .LBB1247_1576
; %bb.1567:                             ;   in Loop: Header=BB1247_1487 Depth=1
	v_cmp_lt_u32_e64 s[44:45], v20, v70
	s_and_b64 s[12:13], s[44:45], s[26:27]
	s_and_saveexec_b64 s[50:51], s[12:13]
	s_cbranch_execz .LBB1247_1575
; %bb.1568:                             ;   in Loop: Header=BB1247_1487 Depth=1
	v_mad_u64_u32 v[14:15], s[12:13], v64, v113, v[8:9]
	v_mul_lo_u32 v16, v64, v112
	v_mul_lo_u32 v17, v65, v113
	v_add3_u32 v15, v17, v15, v16
	v_mad_u64_u32 v[16:17], s[12:13], v64, v103, v[8:9]
	v_mul_lo_u32 v18, v64, v102
	v_mul_lo_u32 v19, v65, v103
	v_add3_u32 v17, v19, v17, v18
	s_mov_b64 s[52:53], 0
	v_mov_b64_e32 v[18:19], v[6:7]
                                        ; implicit-def: $sgpr54_sgpr55
                                        ; implicit-def: $sgpr56_sgpr57
                                        ; implicit-def: $sgpr58_sgpr59
	s_branch .LBB1247_1570
.LBB1247_1569:                          ;   in Loop: Header=BB1247_1570 Depth=2
	s_or_b64 exec, exec, s[66:67]
	s_and_b64 s[12:13], exec, s[60:61]
	s_or_b64 s[52:53], s[12:13], s[52:53]
	s_andn2_b64 s[12:13], s[54:55], exec
	s_and_b64 s[54:55], s[56:57], exec
	s_or_b64 s[54:55], s[12:13], s[54:55]
	s_andn2_b64 exec, exec, s[52:53]
	s_cbranch_execz .LBB1247_1574
.LBB1247_1570:                          ;   Parent Loop BB1247_1487 Depth=1
                                        ; =>  This Inner Loop Header: Depth=2
	flat_load_ushort v21, v[16:17]
	flat_load_ushort v66, v[14:15]
	s_mov_b64 s[60:61], -1
	s_mov_b64 s[64:65], 0
	s_mov_b64 s[62:63], -1
	s_waitcnt vmcnt(0) lgkmcnt(0)
	v_cmp_nlt_f16_e64 s[12:13], v21, v66
	s_and_saveexec_b64 s[66:67], s[12:13]
; %bb.1571:                             ;   in Loop: Header=BB1247_1570 Depth=2
	v_cmp_ngt_f16_e64 s[12:13], v21, v66
	s_and_b64 s[58:59], s[12:13], s[58:59]
	s_orn2_b64 s[62:63], s[58:59], exec
	s_and_b64 s[64:65], s[12:13], exec
; %bb.1572:                             ;   in Loop: Header=BB1247_1570 Depth=2
	s_or_b64 exec, exec, s[66:67]
	s_andn2_b64 s[12:13], s[56:57], exec
	s_and_b64 s[56:57], s[62:63], exec
	s_or_b64 s[56:57], s[12:13], s[56:57]
                                        ; implicit-def: $sgpr58_sgpr59
	s_and_saveexec_b64 s[66:67], s[64:65]
	s_cbranch_execz .LBB1247_1569
; %bb.1573:                             ;   in Loop: Header=BB1247_1570 Depth=2
	v_lshl_add_u64 v[18:19], v[18:19], 0, -1
	v_cmp_eq_u64_e64 s[12:13], 0, v[18:19]
	v_lshl_add_u64 v[14:15], v[14:15], 0, 2
	v_lshl_add_u64 v[16:17], v[16:17], 0, 2
	s_and_b64 s[58:59], s[62:63], exec
	s_andn2_b64 s[56:57], s[56:57], exec
	s_orn2_b64 s[60:61], s[12:13], exec
	s_branch .LBB1247_1569
.LBB1247_1574:                          ;   in Loop: Header=BB1247_1487 Depth=1
	s_or_b64 exec, exec, s[52:53]
	s_xor_b64 s[12:13], s[54:55], -1
	s_andn2_b64 s[44:45], s[44:45], exec
	s_and_b64 s[12:13], s[12:13], exec
	s_or_b64 s[44:45], s[44:45], s[12:13]
.LBB1247_1575:                          ;   in Loop: Header=BB1247_1487 Depth=1
	s_or_b64 exec, exec, s[50:51]
	s_orn2_b64 s[44:45], s[44:45], exec
.LBB1247_1576:                          ;   in Loop: Header=BB1247_1487 Depth=1
	s_or_b64 exec, exec, s[48:49]
	v_cndmask_b32_e64 v14, v114, v20, s[44:45]
	v_cndmask_b32_e64 v15, v1, v70, s[44:45]
	v_add_u32_e32 v18, 1, v14
	v_add_u32_e32 v14, -1, v15
	v_min_u32_e32 v66, v18, v14
	v_lshl_add_u64 v[14:15], v[66:67], 3, v[10:11]
	flat_load_dwordx2 v[16:17], v[14:15]
	v_cndmask_b32_e64 v19, v18, v114, s[44:45]
	v_cmp_lt_u32_e64 s[12:13], v19, v1
	s_waitcnt vmcnt(0) lgkmcnt(0)
	v_cndmask_b32_e64 v15, v112, v17, s[44:45]
	v_cndmask_b32_e64 v14, v113, v16, s[44:45]
	s_and_saveexec_b64 s[48:49], s[12:13]
	s_cbranch_execz .LBB1247_1485
; %bb.1577:                             ;   in Loop: Header=BB1247_1487 Depth=1
	v_cndmask_b32_e64 v66, v16, v103, s[44:45]
	v_cndmask_b32_e64 v16, v20, v18, s[44:45]
	v_cmp_ge_u32_e64 s[12:13], v16, v70
	v_cndmask_b32_e64 v1, v17, v102, s[44:45]
	s_or_b64 s[50:51], s[12:13], s[8:9]
	v_cndmask_b32_e64 v17, v15, v1, s[12:13]
	s_xor_b64 s[52:53], s[50:51], -1
	v_cndmask_b32_e64 v16, v14, v66, s[12:13]
	s_and_saveexec_b64 s[50:51], s[52:53]
	s_cbranch_execz .LBB1247_1484
; %bb.1578:                             ;   in Loop: Header=BB1247_1487 Depth=1
	v_mad_u64_u32 v[16:17], s[12:13], v64, v14, v[8:9]
	v_mul_lo_u32 v18, v64, v15
	v_mul_lo_u32 v19, v65, v14
	v_add3_u32 v17, v19, v17, v18
	v_mad_u64_u32 v[18:19], s[12:13], v64, v66, v[8:9]
	v_mul_lo_u32 v20, v64, v1
	v_mul_lo_u32 v21, v65, v66
	v_add3_u32 v19, v21, v19, v20
	s_mov_b64 s[52:53], 0
	v_mov_b64_e32 v[20:21], v[6:7]
                                        ; implicit-def: $sgpr54_sgpr55
                                        ; implicit-def: $sgpr56_sgpr57
                                        ; implicit-def: $sgpr58_sgpr59
	s_branch .LBB1247_1580
.LBB1247_1579:                          ;   in Loop: Header=BB1247_1580 Depth=2
	s_or_b64 exec, exec, s[66:67]
	s_and_b64 s[12:13], exec, s[60:61]
	s_or_b64 s[52:53], s[12:13], s[52:53]
	s_andn2_b64 s[12:13], s[54:55], exec
	s_and_b64 s[54:55], s[56:57], exec
	s_or_b64 s[54:55], s[12:13], s[54:55]
	s_andn2_b64 exec, exec, s[52:53]
	s_cbranch_execz .LBB1247_1483
.LBB1247_1580:                          ;   Parent Loop BB1247_1487 Depth=1
                                        ; =>  This Inner Loop Header: Depth=2
	flat_load_ushort v70, v[18:19]
	flat_load_ushort v114, v[16:17]
	s_mov_b64 s[60:61], -1
	s_mov_b64 s[64:65], 0
	s_mov_b64 s[62:63], -1
	s_waitcnt vmcnt(0) lgkmcnt(0)
	v_cmp_nlt_f16_e64 s[12:13], v70, v114
	s_and_saveexec_b64 s[66:67], s[12:13]
; %bb.1581:                             ;   in Loop: Header=BB1247_1580 Depth=2
	v_cmp_ngt_f16_e64 s[12:13], v70, v114
	s_and_b64 s[58:59], s[12:13], s[58:59]
	s_orn2_b64 s[62:63], s[58:59], exec
	s_and_b64 s[64:65], s[12:13], exec
; %bb.1582:                             ;   in Loop: Header=BB1247_1580 Depth=2
	s_or_b64 exec, exec, s[66:67]
	s_andn2_b64 s[12:13], s[56:57], exec
	s_and_b64 s[56:57], s[62:63], exec
	s_or_b64 s[56:57], s[12:13], s[56:57]
                                        ; implicit-def: $sgpr58_sgpr59
	s_and_saveexec_b64 s[66:67], s[64:65]
	s_cbranch_execz .LBB1247_1579
; %bb.1583:                             ;   in Loop: Header=BB1247_1580 Depth=2
	v_lshl_add_u64 v[20:21], v[20:21], 0, -1
	v_cmp_eq_u64_e64 s[12:13], 0, v[20:21]
	v_lshl_add_u64 v[16:17], v[16:17], 0, 2
	v_lshl_add_u64 v[18:19], v[18:19], 0, 2
	s_and_b64 s[58:59], s[62:63], exec
	s_andn2_b64 s[56:57], s[56:57], exec
	s_orn2_b64 s[60:61], s[12:13], exec
	s_branch .LBB1247_1579
.LBB1247_1584:
	s_or_b64 exec, exec, s[30:31]
.LBB1247_1585:
	s_or_b64 exec, exec, s[28:29]
	s_barrier
	flat_store_dwordx4 v[54:55], v[24:27]
	flat_store_dwordx4 v[54:55], v[20:23] offset:16
	flat_store_dwordx4 v[54:55], v[16:19] offset:32
	;; [unrolled: 1-line block ×3, first 2 shown]
	s_waitcnt lgkmcnt(0)
	s_barrier
	flat_load_dwordx2 v[18:19], v[32:33] offset:2048
	flat_load_dwordx2 v[16:17], v[34:35]
	flat_load_dwordx2 v[14:15], v[36:37]
	;; [unrolled: 1-line block ×6, first 2 shown]
	v_mov_b32_e32 v31, 0
	v_lshl_add_u64 v[8:9], v[4:5], 0, v[30:31]
	s_and_saveexec_b64 s[8:9], vcc
	s_cbranch_execnz .LBB1247_1594
; %bb.1586:
	s_or_b64 exec, exec, s[8:9]
	s_and_saveexec_b64 s[8:9], s[0:1]
	s_cbranch_execnz .LBB1247_1595
.LBB1247_1587:
	s_or_b64 exec, exec, s[8:9]
	s_and_saveexec_b64 s[0:1], s[2:3]
	s_cbranch_execnz .LBB1247_1596
.LBB1247_1588:
	s_or_b64 exec, exec, s[0:1]
	s_and_saveexec_b64 s[0:1], s[4:5]
	s_cbranch_execnz .LBB1247_1597
.LBB1247_1589:
	s_or_b64 exec, exec, s[0:1]
	s_and_saveexec_b64 s[0:1], s[6:7]
	s_cbranch_execnz .LBB1247_1598
.LBB1247_1590:
	s_or_b64 exec, exec, s[0:1]
	s_and_saveexec_b64 s[0:1], s[10:11]
	s_cbranch_execnz .LBB1247_1599
.LBB1247_1591:
	s_or_b64 exec, exec, s[0:1]
	s_and_saveexec_b64 s[0:1], s[20:21]
	s_cbranch_execz .LBB1247_1593
.LBB1247_1592:
	v_add_co_u32_e32 v2, vcc, 0x3000, v8
	s_nop 1
	v_addc_co_u32_e32 v3, vcc, 0, v9, vcc
	s_waitcnt vmcnt(0) lgkmcnt(0)
	flat_store_dwordx2 v[2:3], v[0:1]
.LBB1247_1593:
	s_or_b64 exec, exec, s[0:1]
	s_andn2_b64 s[0:1], s[22:23], exec
	s_and_b64 s[2:3], s[14:15], exec
	s_or_b64 s[22:23], s[0:1], s[2:3]
	s_or_b64 exec, exec, s[24:25]
	s_and_saveexec_b64 s[0:1], s[22:23]
	s_cbranch_execnz .LBB1247_3
	s_branch .LBB1247_4
.LBB1247_1594:
	flat_load_dwordx2 v[2:3], v[2:3]
	s_waitcnt vmcnt(0) lgkmcnt(0)
	flat_store_dwordx2 v[8:9], v[2:3]
	s_or_b64 exec, exec, s[8:9]
	s_and_saveexec_b64 s[8:9], s[0:1]
	s_cbranch_execz .LBB1247_1587
.LBB1247_1595:
	s_waitcnt vmcnt(0) lgkmcnt(0)
	flat_store_dwordx2 v[8:9], v[18:19] offset:2048
	s_or_b64 exec, exec, s[8:9]
	s_and_saveexec_b64 s[0:1], s[2:3]
	s_cbranch_execz .LBB1247_1588
.LBB1247_1596:
	v_add_co_u32_e32 v2, vcc, 0x1000, v8
	s_nop 1
	v_addc_co_u32_e32 v3, vcc, 0, v9, vcc
	s_waitcnt vmcnt(0) lgkmcnt(0)
	flat_store_dwordx2 v[2:3], v[16:17]
	s_or_b64 exec, exec, s[0:1]
	s_and_saveexec_b64 s[0:1], s[4:5]
	s_cbranch_execz .LBB1247_1589
.LBB1247_1597:
	v_add_co_u32_e32 v2, vcc, 0x1000, v8
	s_nop 1
	v_addc_co_u32_e32 v3, vcc, 0, v9, vcc
	s_waitcnt vmcnt(0) lgkmcnt(0)
	flat_store_dwordx2 v[2:3], v[14:15] offset:2048
	s_or_b64 exec, exec, s[0:1]
	s_and_saveexec_b64 s[0:1], s[6:7]
	s_cbranch_execz .LBB1247_1590
.LBB1247_1598:
	v_add_co_u32_e32 v2, vcc, 0x2000, v8
	s_nop 1
	v_addc_co_u32_e32 v3, vcc, 0, v9, vcc
	s_waitcnt vmcnt(0) lgkmcnt(0)
	flat_store_dwordx2 v[2:3], v[10:11]
	s_or_b64 exec, exec, s[0:1]
	s_and_saveexec_b64 s[0:1], s[10:11]
	s_cbranch_execz .LBB1247_1591
.LBB1247_1599:
	v_add_co_u32_e32 v2, vcc, 0x2000, v8
	s_nop 1
	v_addc_co_u32_e32 v3, vcc, 0, v9, vcc
	s_waitcnt vmcnt(0) lgkmcnt(0)
	flat_store_dwordx2 v[2:3], v[6:7] offset:2048
	s_or_b64 exec, exec, s[0:1]
	s_and_saveexec_b64 s[0:1], s[20:21]
	s_cbranch_execnz .LBB1247_1592
	s_branch .LBB1247_1593
.Lfunc_end1247:
	.size	_ZN7rocprim17ROCPRIM_400000_NS6detail15block_sort_implIlNS0_10empty_typeELj256ELj8ELNS0_4arch9wavefront6targetE1EvE4sortIPlS9_PS3_SA_ZN2at6native12_GLOBAL__N_124unique_dim_cuda_templateIN3c104HalfEEESt5tupleIJNSB_6TensorESI_SI_EERKSI_lbbbEUlllE_EEvjbT_T0_T1_T2_T3_RNS7_12storage_typeE, .Lfunc_end1247-_ZN7rocprim17ROCPRIM_400000_NS6detail15block_sort_implIlNS0_10empty_typeELj256ELj8ELNS0_4arch9wavefront6targetE1EvE4sortIPlS9_PS3_SA_ZN2at6native12_GLOBAL__N_124unique_dim_cuda_templateIN3c104HalfEEESt5tupleIJNSB_6TensorESI_SI_EERKSI_lbbbEUlllE_EEvjbT_T0_T1_T2_T3_RNS7_12storage_typeE
                                        ; -- End function
	.section	.AMDGPU.csdata,"",@progbits
; Function info:
; codeLenInByte = 63748
; NumSgprs: 75
; NumVgprs: 129
; NumAgprs: 0
; TotalNumVgprs: 129
; ScratchSize: 8
; MemoryBound: 1
	.section	.text._ZN7rocprim17ROCPRIM_400000_NS6detail17trampoline_kernelINS0_14default_configENS1_37merge_sort_block_sort_config_selectorIlNS0_10empty_typeEEEZNS1_21merge_sort_block_sortIS3_PlS8_PS5_S9_ZN2at6native12_GLOBAL__N_124unique_dim_cuda_templateIN3c104HalfEEESt5tupleIJNSA_6TensorESH_SH_EERKSH_lbbbEUlllE_EE10hipError_tT0_T1_T2_T3_mRjT4_P12ihipStream_tbNS1_7vsmem_tEEUlT_E_NS1_11comp_targetILNS1_3genE5ELNS1_11target_archE942ELNS1_3gpuE9ELNS1_3repE0EEENS1_30default_config_static_selectorELNS0_4arch9wavefront6targetE1EEEvSO_,"axG",@progbits,_ZN7rocprim17ROCPRIM_400000_NS6detail17trampoline_kernelINS0_14default_configENS1_37merge_sort_block_sort_config_selectorIlNS0_10empty_typeEEEZNS1_21merge_sort_block_sortIS3_PlS8_PS5_S9_ZN2at6native12_GLOBAL__N_124unique_dim_cuda_templateIN3c104HalfEEESt5tupleIJNSA_6TensorESH_SH_EERKSH_lbbbEUlllE_EE10hipError_tT0_T1_T2_T3_mRjT4_P12ihipStream_tbNS1_7vsmem_tEEUlT_E_NS1_11comp_targetILNS1_3genE5ELNS1_11target_archE942ELNS1_3gpuE9ELNS1_3repE0EEENS1_30default_config_static_selectorELNS0_4arch9wavefront6targetE1EEEvSO_,comdat
	.globl	_ZN7rocprim17ROCPRIM_400000_NS6detail17trampoline_kernelINS0_14default_configENS1_37merge_sort_block_sort_config_selectorIlNS0_10empty_typeEEEZNS1_21merge_sort_block_sortIS3_PlS8_PS5_S9_ZN2at6native12_GLOBAL__N_124unique_dim_cuda_templateIN3c104HalfEEESt5tupleIJNSA_6TensorESH_SH_EERKSH_lbbbEUlllE_EE10hipError_tT0_T1_T2_T3_mRjT4_P12ihipStream_tbNS1_7vsmem_tEEUlT_E_NS1_11comp_targetILNS1_3genE5ELNS1_11target_archE942ELNS1_3gpuE9ELNS1_3repE0EEENS1_30default_config_static_selectorELNS0_4arch9wavefront6targetE1EEEvSO_ ; -- Begin function _ZN7rocprim17ROCPRIM_400000_NS6detail17trampoline_kernelINS0_14default_configENS1_37merge_sort_block_sort_config_selectorIlNS0_10empty_typeEEEZNS1_21merge_sort_block_sortIS3_PlS8_PS5_S9_ZN2at6native12_GLOBAL__N_124unique_dim_cuda_templateIN3c104HalfEEESt5tupleIJNSA_6TensorESH_SH_EERKSH_lbbbEUlllE_EE10hipError_tT0_T1_T2_T3_mRjT4_P12ihipStream_tbNS1_7vsmem_tEEUlT_E_NS1_11comp_targetILNS1_3genE5ELNS1_11target_archE942ELNS1_3gpuE9ELNS1_3repE0EEENS1_30default_config_static_selectorELNS0_4arch9wavefront6targetE1EEEvSO_
	.p2align	8
	.type	_ZN7rocprim17ROCPRIM_400000_NS6detail17trampoline_kernelINS0_14default_configENS1_37merge_sort_block_sort_config_selectorIlNS0_10empty_typeEEEZNS1_21merge_sort_block_sortIS3_PlS8_PS5_S9_ZN2at6native12_GLOBAL__N_124unique_dim_cuda_templateIN3c104HalfEEESt5tupleIJNSA_6TensorESH_SH_EERKSH_lbbbEUlllE_EE10hipError_tT0_T1_T2_T3_mRjT4_P12ihipStream_tbNS1_7vsmem_tEEUlT_E_NS1_11comp_targetILNS1_3genE5ELNS1_11target_archE942ELNS1_3gpuE9ELNS1_3repE0EEENS1_30default_config_static_selectorELNS0_4arch9wavefront6targetE1EEEvSO_,@function
_ZN7rocprim17ROCPRIM_400000_NS6detail17trampoline_kernelINS0_14default_configENS1_37merge_sort_block_sort_config_selectorIlNS0_10empty_typeEEEZNS1_21merge_sort_block_sortIS3_PlS8_PS5_S9_ZN2at6native12_GLOBAL__N_124unique_dim_cuda_templateIN3c104HalfEEESt5tupleIJNSA_6TensorESH_SH_EERKSH_lbbbEUlllE_EE10hipError_tT0_T1_T2_T3_mRjT4_P12ihipStream_tbNS1_7vsmem_tEEUlT_E_NS1_11comp_targetILNS1_3genE5ELNS1_11target_archE942ELNS1_3gpuE9ELNS1_3repE0EEENS1_30default_config_static_selectorELNS0_4arch9wavefront6targetE1EEEvSO_: ; @_ZN7rocprim17ROCPRIM_400000_NS6detail17trampoline_kernelINS0_14default_configENS1_37merge_sort_block_sort_config_selectorIlNS0_10empty_typeEEEZNS1_21merge_sort_block_sortIS3_PlS8_PS5_S9_ZN2at6native12_GLOBAL__N_124unique_dim_cuda_templateIN3c104HalfEEESt5tupleIJNSA_6TensorESH_SH_EERKSH_lbbbEUlllE_EE10hipError_tT0_T1_T2_T3_mRjT4_P12ihipStream_tbNS1_7vsmem_tEEUlT_E_NS1_11comp_targetILNS1_3genE5ELNS1_11target_archE942ELNS1_3gpuE9ELNS1_3repE0EEENS1_30default_config_static_selectorELNS0_4arch9wavefront6targetE1EEEvSO_
; %bb.0:
	s_load_dwordx2 s[6:7], s[0:1], 0x48
	s_load_dword s5, s[0:1], 0x0
	s_mov_b32 s32, 0
	s_waitcnt lgkmcnt(0)
	s_mul_i32 s4, s7, s4
	s_add_i32 s4, s4, s3
	s_mul_i32 s4, s4, s6
	s_add_i32 s4, s4, s2
	s_cmp_ge_u32 s4, s5
	s_cbranch_scc1 .LBB1248_2
; %bb.1:
	s_load_dwordx4 s[8:11], s[0:1], 0x18
	s_load_dwordx2 s[6:7], s[0:1], 0x8
	s_load_dwordx4 s[16:19], s[0:1], 0x38
	s_mov_b32 s5, 0
	s_lshl_b64 s[12:13], s[4:5], 14
	s_waitcnt lgkmcnt(0)
	s_add_u32 s10, s10, s12
	s_addc_u32 s11, s11, s13
	s_add_u32 s14, s8, s12
	s_addc_u32 s15, s9, s13
	s_lshr_b64 s[8:9], s[6:7], 11
	s_cmp_eq_u64 s[8:9], s[4:5]
	s_cselect_b64 s[8:9], -1, 0
	s_lshl_b32 s4, s4, 11
	s_sub_i32 s6, s6, s4
	v_cndmask_b32_e64 v1, 0, 1, s[8:9]
	s_add_u32 s8, s0, 0x48
	s_addc_u32 s9, s1, 0
	s_mov_b64 s[0:1], src_shared_base
	s_mov_b32 s12, s2
	s_mov_b32 s13, s3
	v_mov_b32_e32 v31, v0
	v_mov_b32_e32 v0, s6
	;; [unrolled: 1-line block ×12, first 2 shown]
	s_getpc_b64 s[4:5]
	s_add_u32 s4, s4, _ZN7rocprim17ROCPRIM_400000_NS6detail15block_sort_implIlNS0_10empty_typeELj256ELj8ELNS0_4arch9wavefront6targetE1EvE4sortIPlS9_PS3_SA_ZN2at6native12_GLOBAL__N_124unique_dim_cuda_templateIN3c104HalfEEESt5tupleIJNSB_6TensorESI_SI_EERKSI_lbbbEUlllE_EEvjbT_T0_T1_T2_T3_RNS7_12storage_typeE@rel32@lo+4
	s_addc_u32 s5, s5, _ZN7rocprim17ROCPRIM_400000_NS6detail15block_sort_implIlNS0_10empty_typeELj256ELj8ELNS0_4arch9wavefront6targetE1EvE4sortIPlS9_PS3_SA_ZN2at6native12_GLOBAL__N_124unique_dim_cuda_templateIN3c104HalfEEESt5tupleIJNSB_6TensorESI_SI_EERKSI_lbbbEUlllE_EEvjbT_T0_T1_T2_T3_RNS7_12storage_typeE@rel32@hi+12
	s_swappc_b64 s[30:31], s[4:5]
.LBB1248_2:
	s_endpgm
	.section	.rodata,"a",@progbits
	.p2align	6, 0x0
	.amdhsa_kernel _ZN7rocprim17ROCPRIM_400000_NS6detail17trampoline_kernelINS0_14default_configENS1_37merge_sort_block_sort_config_selectorIlNS0_10empty_typeEEEZNS1_21merge_sort_block_sortIS3_PlS8_PS5_S9_ZN2at6native12_GLOBAL__N_124unique_dim_cuda_templateIN3c104HalfEEESt5tupleIJNSA_6TensorESH_SH_EERKSH_lbbbEUlllE_EE10hipError_tT0_T1_T2_T3_mRjT4_P12ihipStream_tbNS1_7vsmem_tEEUlT_E_NS1_11comp_targetILNS1_3genE5ELNS1_11target_archE942ELNS1_3gpuE9ELNS1_3repE0EEENS1_30default_config_static_selectorELNS0_4arch9wavefront6targetE1EEEvSO_
		.amdhsa_group_segment_fixed_size 16896
		.amdhsa_private_segment_fixed_size 8
		.amdhsa_kernarg_size 328
		.amdhsa_user_sgpr_count 2
		.amdhsa_user_sgpr_dispatch_ptr 0
		.amdhsa_user_sgpr_queue_ptr 0
		.amdhsa_user_sgpr_kernarg_segment_ptr 1
		.amdhsa_user_sgpr_dispatch_id 0
		.amdhsa_user_sgpr_kernarg_preload_length 0
		.amdhsa_user_sgpr_kernarg_preload_offset 0
		.amdhsa_user_sgpr_private_segment_size 0
		.amdhsa_uses_dynamic_stack 0
		.amdhsa_enable_private_segment 1
		.amdhsa_system_sgpr_workgroup_id_x 1
		.amdhsa_system_sgpr_workgroup_id_y 1
		.amdhsa_system_sgpr_workgroup_id_z 1
		.amdhsa_system_sgpr_workgroup_info 0
		.amdhsa_system_vgpr_workitem_id 2
		.amdhsa_next_free_vgpr 129
		.amdhsa_next_free_sgpr 69
		.amdhsa_accum_offset 132
		.amdhsa_reserve_vcc 1
		.amdhsa_float_round_mode_32 0
		.amdhsa_float_round_mode_16_64 0
		.amdhsa_float_denorm_mode_32 3
		.amdhsa_float_denorm_mode_16_64 3
		.amdhsa_dx10_clamp 1
		.amdhsa_ieee_mode 1
		.amdhsa_fp16_overflow 0
		.amdhsa_tg_split 0
		.amdhsa_exception_fp_ieee_invalid_op 0
		.amdhsa_exception_fp_denorm_src 0
		.amdhsa_exception_fp_ieee_div_zero 0
		.amdhsa_exception_fp_ieee_overflow 0
		.amdhsa_exception_fp_ieee_underflow 0
		.amdhsa_exception_fp_ieee_inexact 0
		.amdhsa_exception_int_div_zero 0
	.end_amdhsa_kernel
	.section	.text._ZN7rocprim17ROCPRIM_400000_NS6detail17trampoline_kernelINS0_14default_configENS1_37merge_sort_block_sort_config_selectorIlNS0_10empty_typeEEEZNS1_21merge_sort_block_sortIS3_PlS8_PS5_S9_ZN2at6native12_GLOBAL__N_124unique_dim_cuda_templateIN3c104HalfEEESt5tupleIJNSA_6TensorESH_SH_EERKSH_lbbbEUlllE_EE10hipError_tT0_T1_T2_T3_mRjT4_P12ihipStream_tbNS1_7vsmem_tEEUlT_E_NS1_11comp_targetILNS1_3genE5ELNS1_11target_archE942ELNS1_3gpuE9ELNS1_3repE0EEENS1_30default_config_static_selectorELNS0_4arch9wavefront6targetE1EEEvSO_,"axG",@progbits,_ZN7rocprim17ROCPRIM_400000_NS6detail17trampoline_kernelINS0_14default_configENS1_37merge_sort_block_sort_config_selectorIlNS0_10empty_typeEEEZNS1_21merge_sort_block_sortIS3_PlS8_PS5_S9_ZN2at6native12_GLOBAL__N_124unique_dim_cuda_templateIN3c104HalfEEESt5tupleIJNSA_6TensorESH_SH_EERKSH_lbbbEUlllE_EE10hipError_tT0_T1_T2_T3_mRjT4_P12ihipStream_tbNS1_7vsmem_tEEUlT_E_NS1_11comp_targetILNS1_3genE5ELNS1_11target_archE942ELNS1_3gpuE9ELNS1_3repE0EEENS1_30default_config_static_selectorELNS0_4arch9wavefront6targetE1EEEvSO_,comdat
.Lfunc_end1248:
	.size	_ZN7rocprim17ROCPRIM_400000_NS6detail17trampoline_kernelINS0_14default_configENS1_37merge_sort_block_sort_config_selectorIlNS0_10empty_typeEEEZNS1_21merge_sort_block_sortIS3_PlS8_PS5_S9_ZN2at6native12_GLOBAL__N_124unique_dim_cuda_templateIN3c104HalfEEESt5tupleIJNSA_6TensorESH_SH_EERKSH_lbbbEUlllE_EE10hipError_tT0_T1_T2_T3_mRjT4_P12ihipStream_tbNS1_7vsmem_tEEUlT_E_NS1_11comp_targetILNS1_3genE5ELNS1_11target_archE942ELNS1_3gpuE9ELNS1_3repE0EEENS1_30default_config_static_selectorELNS0_4arch9wavefront6targetE1EEEvSO_, .Lfunc_end1248-_ZN7rocprim17ROCPRIM_400000_NS6detail17trampoline_kernelINS0_14default_configENS1_37merge_sort_block_sort_config_selectorIlNS0_10empty_typeEEEZNS1_21merge_sort_block_sortIS3_PlS8_PS5_S9_ZN2at6native12_GLOBAL__N_124unique_dim_cuda_templateIN3c104HalfEEESt5tupleIJNSA_6TensorESH_SH_EERKSH_lbbbEUlllE_EE10hipError_tT0_T1_T2_T3_mRjT4_P12ihipStream_tbNS1_7vsmem_tEEUlT_E_NS1_11comp_targetILNS1_3genE5ELNS1_11target_archE942ELNS1_3gpuE9ELNS1_3repE0EEENS1_30default_config_static_selectorELNS0_4arch9wavefront6targetE1EEEvSO_
                                        ; -- End function
	.section	.AMDGPU.csdata,"",@progbits
; Kernel info:
; codeLenInByte = 228
; NumSgprs: 75
; NumVgprs: 129
; NumAgprs: 0
; TotalNumVgprs: 129
; ScratchSize: 8
; MemoryBound: 0
; FloatMode: 240
; IeeeMode: 1
; LDSByteSize: 16896 bytes/workgroup (compile time only)
; SGPRBlocks: 9
; VGPRBlocks: 16
; NumSGPRsForWavesPerEU: 75
; NumVGPRsForWavesPerEU: 129
; AccumOffset: 132
; Occupancy: 3
; WaveLimiterHint : 1
; COMPUTE_PGM_RSRC2:SCRATCH_EN: 1
; COMPUTE_PGM_RSRC2:USER_SGPR: 2
; COMPUTE_PGM_RSRC2:TRAP_HANDLER: 0
; COMPUTE_PGM_RSRC2:TGID_X_EN: 1
; COMPUTE_PGM_RSRC2:TGID_Y_EN: 1
; COMPUTE_PGM_RSRC2:TGID_Z_EN: 1
; COMPUTE_PGM_RSRC2:TIDIG_COMP_CNT: 2
; COMPUTE_PGM_RSRC3_GFX90A:ACCUM_OFFSET: 32
; COMPUTE_PGM_RSRC3_GFX90A:TG_SPLIT: 0
	.section	.text._ZN7rocprim17ROCPRIM_400000_NS6detail17trampoline_kernelINS0_14default_configENS1_37merge_sort_block_sort_config_selectorIlNS0_10empty_typeEEEZNS1_21merge_sort_block_sortIS3_PlS8_PS5_S9_ZN2at6native12_GLOBAL__N_124unique_dim_cuda_templateIN3c104HalfEEESt5tupleIJNSA_6TensorESH_SH_EERKSH_lbbbEUlllE_EE10hipError_tT0_T1_T2_T3_mRjT4_P12ihipStream_tbNS1_7vsmem_tEEUlT_E_NS1_11comp_targetILNS1_3genE4ELNS1_11target_archE910ELNS1_3gpuE8ELNS1_3repE0EEENS1_30default_config_static_selectorELNS0_4arch9wavefront6targetE1EEEvSO_,"axG",@progbits,_ZN7rocprim17ROCPRIM_400000_NS6detail17trampoline_kernelINS0_14default_configENS1_37merge_sort_block_sort_config_selectorIlNS0_10empty_typeEEEZNS1_21merge_sort_block_sortIS3_PlS8_PS5_S9_ZN2at6native12_GLOBAL__N_124unique_dim_cuda_templateIN3c104HalfEEESt5tupleIJNSA_6TensorESH_SH_EERKSH_lbbbEUlllE_EE10hipError_tT0_T1_T2_T3_mRjT4_P12ihipStream_tbNS1_7vsmem_tEEUlT_E_NS1_11comp_targetILNS1_3genE4ELNS1_11target_archE910ELNS1_3gpuE8ELNS1_3repE0EEENS1_30default_config_static_selectorELNS0_4arch9wavefront6targetE1EEEvSO_,comdat
	.globl	_ZN7rocprim17ROCPRIM_400000_NS6detail17trampoline_kernelINS0_14default_configENS1_37merge_sort_block_sort_config_selectorIlNS0_10empty_typeEEEZNS1_21merge_sort_block_sortIS3_PlS8_PS5_S9_ZN2at6native12_GLOBAL__N_124unique_dim_cuda_templateIN3c104HalfEEESt5tupleIJNSA_6TensorESH_SH_EERKSH_lbbbEUlllE_EE10hipError_tT0_T1_T2_T3_mRjT4_P12ihipStream_tbNS1_7vsmem_tEEUlT_E_NS1_11comp_targetILNS1_3genE4ELNS1_11target_archE910ELNS1_3gpuE8ELNS1_3repE0EEENS1_30default_config_static_selectorELNS0_4arch9wavefront6targetE1EEEvSO_ ; -- Begin function _ZN7rocprim17ROCPRIM_400000_NS6detail17trampoline_kernelINS0_14default_configENS1_37merge_sort_block_sort_config_selectorIlNS0_10empty_typeEEEZNS1_21merge_sort_block_sortIS3_PlS8_PS5_S9_ZN2at6native12_GLOBAL__N_124unique_dim_cuda_templateIN3c104HalfEEESt5tupleIJNSA_6TensorESH_SH_EERKSH_lbbbEUlllE_EE10hipError_tT0_T1_T2_T3_mRjT4_P12ihipStream_tbNS1_7vsmem_tEEUlT_E_NS1_11comp_targetILNS1_3genE4ELNS1_11target_archE910ELNS1_3gpuE8ELNS1_3repE0EEENS1_30default_config_static_selectorELNS0_4arch9wavefront6targetE1EEEvSO_
	.p2align	8
	.type	_ZN7rocprim17ROCPRIM_400000_NS6detail17trampoline_kernelINS0_14default_configENS1_37merge_sort_block_sort_config_selectorIlNS0_10empty_typeEEEZNS1_21merge_sort_block_sortIS3_PlS8_PS5_S9_ZN2at6native12_GLOBAL__N_124unique_dim_cuda_templateIN3c104HalfEEESt5tupleIJNSA_6TensorESH_SH_EERKSH_lbbbEUlllE_EE10hipError_tT0_T1_T2_T3_mRjT4_P12ihipStream_tbNS1_7vsmem_tEEUlT_E_NS1_11comp_targetILNS1_3genE4ELNS1_11target_archE910ELNS1_3gpuE8ELNS1_3repE0EEENS1_30default_config_static_selectorELNS0_4arch9wavefront6targetE1EEEvSO_,@function
_ZN7rocprim17ROCPRIM_400000_NS6detail17trampoline_kernelINS0_14default_configENS1_37merge_sort_block_sort_config_selectorIlNS0_10empty_typeEEEZNS1_21merge_sort_block_sortIS3_PlS8_PS5_S9_ZN2at6native12_GLOBAL__N_124unique_dim_cuda_templateIN3c104HalfEEESt5tupleIJNSA_6TensorESH_SH_EERKSH_lbbbEUlllE_EE10hipError_tT0_T1_T2_T3_mRjT4_P12ihipStream_tbNS1_7vsmem_tEEUlT_E_NS1_11comp_targetILNS1_3genE4ELNS1_11target_archE910ELNS1_3gpuE8ELNS1_3repE0EEENS1_30default_config_static_selectorELNS0_4arch9wavefront6targetE1EEEvSO_: ; @_ZN7rocprim17ROCPRIM_400000_NS6detail17trampoline_kernelINS0_14default_configENS1_37merge_sort_block_sort_config_selectorIlNS0_10empty_typeEEEZNS1_21merge_sort_block_sortIS3_PlS8_PS5_S9_ZN2at6native12_GLOBAL__N_124unique_dim_cuda_templateIN3c104HalfEEESt5tupleIJNSA_6TensorESH_SH_EERKSH_lbbbEUlllE_EE10hipError_tT0_T1_T2_T3_mRjT4_P12ihipStream_tbNS1_7vsmem_tEEUlT_E_NS1_11comp_targetILNS1_3genE4ELNS1_11target_archE910ELNS1_3gpuE8ELNS1_3repE0EEENS1_30default_config_static_selectorELNS0_4arch9wavefront6targetE1EEEvSO_
; %bb.0:
	.section	.rodata,"a",@progbits
	.p2align	6, 0x0
	.amdhsa_kernel _ZN7rocprim17ROCPRIM_400000_NS6detail17trampoline_kernelINS0_14default_configENS1_37merge_sort_block_sort_config_selectorIlNS0_10empty_typeEEEZNS1_21merge_sort_block_sortIS3_PlS8_PS5_S9_ZN2at6native12_GLOBAL__N_124unique_dim_cuda_templateIN3c104HalfEEESt5tupleIJNSA_6TensorESH_SH_EERKSH_lbbbEUlllE_EE10hipError_tT0_T1_T2_T3_mRjT4_P12ihipStream_tbNS1_7vsmem_tEEUlT_E_NS1_11comp_targetILNS1_3genE4ELNS1_11target_archE910ELNS1_3gpuE8ELNS1_3repE0EEENS1_30default_config_static_selectorELNS0_4arch9wavefront6targetE1EEEvSO_
		.amdhsa_group_segment_fixed_size 0
		.amdhsa_private_segment_fixed_size 0
		.amdhsa_kernarg_size 72
		.amdhsa_user_sgpr_count 2
		.amdhsa_user_sgpr_dispatch_ptr 0
		.amdhsa_user_sgpr_queue_ptr 0
		.amdhsa_user_sgpr_kernarg_segment_ptr 1
		.amdhsa_user_sgpr_dispatch_id 0
		.amdhsa_user_sgpr_kernarg_preload_length 0
		.amdhsa_user_sgpr_kernarg_preload_offset 0
		.amdhsa_user_sgpr_private_segment_size 0
		.amdhsa_uses_dynamic_stack 0
		.amdhsa_enable_private_segment 0
		.amdhsa_system_sgpr_workgroup_id_x 1
		.amdhsa_system_sgpr_workgroup_id_y 0
		.amdhsa_system_sgpr_workgroup_id_z 0
		.amdhsa_system_sgpr_workgroup_info 0
		.amdhsa_system_vgpr_workitem_id 0
		.amdhsa_next_free_vgpr 1
		.amdhsa_next_free_sgpr 0
		.amdhsa_accum_offset 4
		.amdhsa_reserve_vcc 0
		.amdhsa_float_round_mode_32 0
		.amdhsa_float_round_mode_16_64 0
		.amdhsa_float_denorm_mode_32 3
		.amdhsa_float_denorm_mode_16_64 3
		.amdhsa_dx10_clamp 1
		.amdhsa_ieee_mode 1
		.amdhsa_fp16_overflow 0
		.amdhsa_tg_split 0
		.amdhsa_exception_fp_ieee_invalid_op 0
		.amdhsa_exception_fp_denorm_src 0
		.amdhsa_exception_fp_ieee_div_zero 0
		.amdhsa_exception_fp_ieee_overflow 0
		.amdhsa_exception_fp_ieee_underflow 0
		.amdhsa_exception_fp_ieee_inexact 0
		.amdhsa_exception_int_div_zero 0
	.end_amdhsa_kernel
	.section	.text._ZN7rocprim17ROCPRIM_400000_NS6detail17trampoline_kernelINS0_14default_configENS1_37merge_sort_block_sort_config_selectorIlNS0_10empty_typeEEEZNS1_21merge_sort_block_sortIS3_PlS8_PS5_S9_ZN2at6native12_GLOBAL__N_124unique_dim_cuda_templateIN3c104HalfEEESt5tupleIJNSA_6TensorESH_SH_EERKSH_lbbbEUlllE_EE10hipError_tT0_T1_T2_T3_mRjT4_P12ihipStream_tbNS1_7vsmem_tEEUlT_E_NS1_11comp_targetILNS1_3genE4ELNS1_11target_archE910ELNS1_3gpuE8ELNS1_3repE0EEENS1_30default_config_static_selectorELNS0_4arch9wavefront6targetE1EEEvSO_,"axG",@progbits,_ZN7rocprim17ROCPRIM_400000_NS6detail17trampoline_kernelINS0_14default_configENS1_37merge_sort_block_sort_config_selectorIlNS0_10empty_typeEEEZNS1_21merge_sort_block_sortIS3_PlS8_PS5_S9_ZN2at6native12_GLOBAL__N_124unique_dim_cuda_templateIN3c104HalfEEESt5tupleIJNSA_6TensorESH_SH_EERKSH_lbbbEUlllE_EE10hipError_tT0_T1_T2_T3_mRjT4_P12ihipStream_tbNS1_7vsmem_tEEUlT_E_NS1_11comp_targetILNS1_3genE4ELNS1_11target_archE910ELNS1_3gpuE8ELNS1_3repE0EEENS1_30default_config_static_selectorELNS0_4arch9wavefront6targetE1EEEvSO_,comdat
.Lfunc_end1249:
	.size	_ZN7rocprim17ROCPRIM_400000_NS6detail17trampoline_kernelINS0_14default_configENS1_37merge_sort_block_sort_config_selectorIlNS0_10empty_typeEEEZNS1_21merge_sort_block_sortIS3_PlS8_PS5_S9_ZN2at6native12_GLOBAL__N_124unique_dim_cuda_templateIN3c104HalfEEESt5tupleIJNSA_6TensorESH_SH_EERKSH_lbbbEUlllE_EE10hipError_tT0_T1_T2_T3_mRjT4_P12ihipStream_tbNS1_7vsmem_tEEUlT_E_NS1_11comp_targetILNS1_3genE4ELNS1_11target_archE910ELNS1_3gpuE8ELNS1_3repE0EEENS1_30default_config_static_selectorELNS0_4arch9wavefront6targetE1EEEvSO_, .Lfunc_end1249-_ZN7rocprim17ROCPRIM_400000_NS6detail17trampoline_kernelINS0_14default_configENS1_37merge_sort_block_sort_config_selectorIlNS0_10empty_typeEEEZNS1_21merge_sort_block_sortIS3_PlS8_PS5_S9_ZN2at6native12_GLOBAL__N_124unique_dim_cuda_templateIN3c104HalfEEESt5tupleIJNSA_6TensorESH_SH_EERKSH_lbbbEUlllE_EE10hipError_tT0_T1_T2_T3_mRjT4_P12ihipStream_tbNS1_7vsmem_tEEUlT_E_NS1_11comp_targetILNS1_3genE4ELNS1_11target_archE910ELNS1_3gpuE8ELNS1_3repE0EEENS1_30default_config_static_selectorELNS0_4arch9wavefront6targetE1EEEvSO_
                                        ; -- End function
	.section	.AMDGPU.csdata,"",@progbits
; Kernel info:
; codeLenInByte = 0
; NumSgprs: 6
; NumVgprs: 0
; NumAgprs: 0
; TotalNumVgprs: 0
; ScratchSize: 0
; MemoryBound: 0
; FloatMode: 240
; IeeeMode: 1
; LDSByteSize: 0 bytes/workgroup (compile time only)
; SGPRBlocks: 0
; VGPRBlocks: 0
; NumSGPRsForWavesPerEU: 6
; NumVGPRsForWavesPerEU: 1
; AccumOffset: 4
; Occupancy: 8
; WaveLimiterHint : 0
; COMPUTE_PGM_RSRC2:SCRATCH_EN: 0
; COMPUTE_PGM_RSRC2:USER_SGPR: 2
; COMPUTE_PGM_RSRC2:TRAP_HANDLER: 0
; COMPUTE_PGM_RSRC2:TGID_X_EN: 1
; COMPUTE_PGM_RSRC2:TGID_Y_EN: 0
; COMPUTE_PGM_RSRC2:TGID_Z_EN: 0
; COMPUTE_PGM_RSRC2:TIDIG_COMP_CNT: 0
; COMPUTE_PGM_RSRC3_GFX90A:ACCUM_OFFSET: 0
; COMPUTE_PGM_RSRC3_GFX90A:TG_SPLIT: 0
	.section	.text._ZN7rocprim17ROCPRIM_400000_NS6detail17trampoline_kernelINS0_14default_configENS1_37merge_sort_block_sort_config_selectorIlNS0_10empty_typeEEEZNS1_21merge_sort_block_sortIS3_PlS8_PS5_S9_ZN2at6native12_GLOBAL__N_124unique_dim_cuda_templateIN3c104HalfEEESt5tupleIJNSA_6TensorESH_SH_EERKSH_lbbbEUlllE_EE10hipError_tT0_T1_T2_T3_mRjT4_P12ihipStream_tbNS1_7vsmem_tEEUlT_E_NS1_11comp_targetILNS1_3genE3ELNS1_11target_archE908ELNS1_3gpuE7ELNS1_3repE0EEENS1_30default_config_static_selectorELNS0_4arch9wavefront6targetE1EEEvSO_,"axG",@progbits,_ZN7rocprim17ROCPRIM_400000_NS6detail17trampoline_kernelINS0_14default_configENS1_37merge_sort_block_sort_config_selectorIlNS0_10empty_typeEEEZNS1_21merge_sort_block_sortIS3_PlS8_PS5_S9_ZN2at6native12_GLOBAL__N_124unique_dim_cuda_templateIN3c104HalfEEESt5tupleIJNSA_6TensorESH_SH_EERKSH_lbbbEUlllE_EE10hipError_tT0_T1_T2_T3_mRjT4_P12ihipStream_tbNS1_7vsmem_tEEUlT_E_NS1_11comp_targetILNS1_3genE3ELNS1_11target_archE908ELNS1_3gpuE7ELNS1_3repE0EEENS1_30default_config_static_selectorELNS0_4arch9wavefront6targetE1EEEvSO_,comdat
	.globl	_ZN7rocprim17ROCPRIM_400000_NS6detail17trampoline_kernelINS0_14default_configENS1_37merge_sort_block_sort_config_selectorIlNS0_10empty_typeEEEZNS1_21merge_sort_block_sortIS3_PlS8_PS5_S9_ZN2at6native12_GLOBAL__N_124unique_dim_cuda_templateIN3c104HalfEEESt5tupleIJNSA_6TensorESH_SH_EERKSH_lbbbEUlllE_EE10hipError_tT0_T1_T2_T3_mRjT4_P12ihipStream_tbNS1_7vsmem_tEEUlT_E_NS1_11comp_targetILNS1_3genE3ELNS1_11target_archE908ELNS1_3gpuE7ELNS1_3repE0EEENS1_30default_config_static_selectorELNS0_4arch9wavefront6targetE1EEEvSO_ ; -- Begin function _ZN7rocprim17ROCPRIM_400000_NS6detail17trampoline_kernelINS0_14default_configENS1_37merge_sort_block_sort_config_selectorIlNS0_10empty_typeEEEZNS1_21merge_sort_block_sortIS3_PlS8_PS5_S9_ZN2at6native12_GLOBAL__N_124unique_dim_cuda_templateIN3c104HalfEEESt5tupleIJNSA_6TensorESH_SH_EERKSH_lbbbEUlllE_EE10hipError_tT0_T1_T2_T3_mRjT4_P12ihipStream_tbNS1_7vsmem_tEEUlT_E_NS1_11comp_targetILNS1_3genE3ELNS1_11target_archE908ELNS1_3gpuE7ELNS1_3repE0EEENS1_30default_config_static_selectorELNS0_4arch9wavefront6targetE1EEEvSO_
	.p2align	8
	.type	_ZN7rocprim17ROCPRIM_400000_NS6detail17trampoline_kernelINS0_14default_configENS1_37merge_sort_block_sort_config_selectorIlNS0_10empty_typeEEEZNS1_21merge_sort_block_sortIS3_PlS8_PS5_S9_ZN2at6native12_GLOBAL__N_124unique_dim_cuda_templateIN3c104HalfEEESt5tupleIJNSA_6TensorESH_SH_EERKSH_lbbbEUlllE_EE10hipError_tT0_T1_T2_T3_mRjT4_P12ihipStream_tbNS1_7vsmem_tEEUlT_E_NS1_11comp_targetILNS1_3genE3ELNS1_11target_archE908ELNS1_3gpuE7ELNS1_3repE0EEENS1_30default_config_static_selectorELNS0_4arch9wavefront6targetE1EEEvSO_,@function
_ZN7rocprim17ROCPRIM_400000_NS6detail17trampoline_kernelINS0_14default_configENS1_37merge_sort_block_sort_config_selectorIlNS0_10empty_typeEEEZNS1_21merge_sort_block_sortIS3_PlS8_PS5_S9_ZN2at6native12_GLOBAL__N_124unique_dim_cuda_templateIN3c104HalfEEESt5tupleIJNSA_6TensorESH_SH_EERKSH_lbbbEUlllE_EE10hipError_tT0_T1_T2_T3_mRjT4_P12ihipStream_tbNS1_7vsmem_tEEUlT_E_NS1_11comp_targetILNS1_3genE3ELNS1_11target_archE908ELNS1_3gpuE7ELNS1_3repE0EEENS1_30default_config_static_selectorELNS0_4arch9wavefront6targetE1EEEvSO_: ; @_ZN7rocprim17ROCPRIM_400000_NS6detail17trampoline_kernelINS0_14default_configENS1_37merge_sort_block_sort_config_selectorIlNS0_10empty_typeEEEZNS1_21merge_sort_block_sortIS3_PlS8_PS5_S9_ZN2at6native12_GLOBAL__N_124unique_dim_cuda_templateIN3c104HalfEEESt5tupleIJNSA_6TensorESH_SH_EERKSH_lbbbEUlllE_EE10hipError_tT0_T1_T2_T3_mRjT4_P12ihipStream_tbNS1_7vsmem_tEEUlT_E_NS1_11comp_targetILNS1_3genE3ELNS1_11target_archE908ELNS1_3gpuE7ELNS1_3repE0EEENS1_30default_config_static_selectorELNS0_4arch9wavefront6targetE1EEEvSO_
; %bb.0:
	.section	.rodata,"a",@progbits
	.p2align	6, 0x0
	.amdhsa_kernel _ZN7rocprim17ROCPRIM_400000_NS6detail17trampoline_kernelINS0_14default_configENS1_37merge_sort_block_sort_config_selectorIlNS0_10empty_typeEEEZNS1_21merge_sort_block_sortIS3_PlS8_PS5_S9_ZN2at6native12_GLOBAL__N_124unique_dim_cuda_templateIN3c104HalfEEESt5tupleIJNSA_6TensorESH_SH_EERKSH_lbbbEUlllE_EE10hipError_tT0_T1_T2_T3_mRjT4_P12ihipStream_tbNS1_7vsmem_tEEUlT_E_NS1_11comp_targetILNS1_3genE3ELNS1_11target_archE908ELNS1_3gpuE7ELNS1_3repE0EEENS1_30default_config_static_selectorELNS0_4arch9wavefront6targetE1EEEvSO_
		.amdhsa_group_segment_fixed_size 0
		.amdhsa_private_segment_fixed_size 0
		.amdhsa_kernarg_size 72
		.amdhsa_user_sgpr_count 2
		.amdhsa_user_sgpr_dispatch_ptr 0
		.amdhsa_user_sgpr_queue_ptr 0
		.amdhsa_user_sgpr_kernarg_segment_ptr 1
		.amdhsa_user_sgpr_dispatch_id 0
		.amdhsa_user_sgpr_kernarg_preload_length 0
		.amdhsa_user_sgpr_kernarg_preload_offset 0
		.amdhsa_user_sgpr_private_segment_size 0
		.amdhsa_uses_dynamic_stack 0
		.amdhsa_enable_private_segment 0
		.amdhsa_system_sgpr_workgroup_id_x 1
		.amdhsa_system_sgpr_workgroup_id_y 0
		.amdhsa_system_sgpr_workgroup_id_z 0
		.amdhsa_system_sgpr_workgroup_info 0
		.amdhsa_system_vgpr_workitem_id 0
		.amdhsa_next_free_vgpr 1
		.amdhsa_next_free_sgpr 0
		.amdhsa_accum_offset 4
		.amdhsa_reserve_vcc 0
		.amdhsa_float_round_mode_32 0
		.amdhsa_float_round_mode_16_64 0
		.amdhsa_float_denorm_mode_32 3
		.amdhsa_float_denorm_mode_16_64 3
		.amdhsa_dx10_clamp 1
		.amdhsa_ieee_mode 1
		.amdhsa_fp16_overflow 0
		.amdhsa_tg_split 0
		.amdhsa_exception_fp_ieee_invalid_op 0
		.amdhsa_exception_fp_denorm_src 0
		.amdhsa_exception_fp_ieee_div_zero 0
		.amdhsa_exception_fp_ieee_overflow 0
		.amdhsa_exception_fp_ieee_underflow 0
		.amdhsa_exception_fp_ieee_inexact 0
		.amdhsa_exception_int_div_zero 0
	.end_amdhsa_kernel
	.section	.text._ZN7rocprim17ROCPRIM_400000_NS6detail17trampoline_kernelINS0_14default_configENS1_37merge_sort_block_sort_config_selectorIlNS0_10empty_typeEEEZNS1_21merge_sort_block_sortIS3_PlS8_PS5_S9_ZN2at6native12_GLOBAL__N_124unique_dim_cuda_templateIN3c104HalfEEESt5tupleIJNSA_6TensorESH_SH_EERKSH_lbbbEUlllE_EE10hipError_tT0_T1_T2_T3_mRjT4_P12ihipStream_tbNS1_7vsmem_tEEUlT_E_NS1_11comp_targetILNS1_3genE3ELNS1_11target_archE908ELNS1_3gpuE7ELNS1_3repE0EEENS1_30default_config_static_selectorELNS0_4arch9wavefront6targetE1EEEvSO_,"axG",@progbits,_ZN7rocprim17ROCPRIM_400000_NS6detail17trampoline_kernelINS0_14default_configENS1_37merge_sort_block_sort_config_selectorIlNS0_10empty_typeEEEZNS1_21merge_sort_block_sortIS3_PlS8_PS5_S9_ZN2at6native12_GLOBAL__N_124unique_dim_cuda_templateIN3c104HalfEEESt5tupleIJNSA_6TensorESH_SH_EERKSH_lbbbEUlllE_EE10hipError_tT0_T1_T2_T3_mRjT4_P12ihipStream_tbNS1_7vsmem_tEEUlT_E_NS1_11comp_targetILNS1_3genE3ELNS1_11target_archE908ELNS1_3gpuE7ELNS1_3repE0EEENS1_30default_config_static_selectorELNS0_4arch9wavefront6targetE1EEEvSO_,comdat
.Lfunc_end1250:
	.size	_ZN7rocprim17ROCPRIM_400000_NS6detail17trampoline_kernelINS0_14default_configENS1_37merge_sort_block_sort_config_selectorIlNS0_10empty_typeEEEZNS1_21merge_sort_block_sortIS3_PlS8_PS5_S9_ZN2at6native12_GLOBAL__N_124unique_dim_cuda_templateIN3c104HalfEEESt5tupleIJNSA_6TensorESH_SH_EERKSH_lbbbEUlllE_EE10hipError_tT0_T1_T2_T3_mRjT4_P12ihipStream_tbNS1_7vsmem_tEEUlT_E_NS1_11comp_targetILNS1_3genE3ELNS1_11target_archE908ELNS1_3gpuE7ELNS1_3repE0EEENS1_30default_config_static_selectorELNS0_4arch9wavefront6targetE1EEEvSO_, .Lfunc_end1250-_ZN7rocprim17ROCPRIM_400000_NS6detail17trampoline_kernelINS0_14default_configENS1_37merge_sort_block_sort_config_selectorIlNS0_10empty_typeEEEZNS1_21merge_sort_block_sortIS3_PlS8_PS5_S9_ZN2at6native12_GLOBAL__N_124unique_dim_cuda_templateIN3c104HalfEEESt5tupleIJNSA_6TensorESH_SH_EERKSH_lbbbEUlllE_EE10hipError_tT0_T1_T2_T3_mRjT4_P12ihipStream_tbNS1_7vsmem_tEEUlT_E_NS1_11comp_targetILNS1_3genE3ELNS1_11target_archE908ELNS1_3gpuE7ELNS1_3repE0EEENS1_30default_config_static_selectorELNS0_4arch9wavefront6targetE1EEEvSO_
                                        ; -- End function
	.section	.AMDGPU.csdata,"",@progbits
; Kernel info:
; codeLenInByte = 0
; NumSgprs: 6
; NumVgprs: 0
; NumAgprs: 0
; TotalNumVgprs: 0
; ScratchSize: 0
; MemoryBound: 0
; FloatMode: 240
; IeeeMode: 1
; LDSByteSize: 0 bytes/workgroup (compile time only)
; SGPRBlocks: 0
; VGPRBlocks: 0
; NumSGPRsForWavesPerEU: 6
; NumVGPRsForWavesPerEU: 1
; AccumOffset: 4
; Occupancy: 8
; WaveLimiterHint : 0
; COMPUTE_PGM_RSRC2:SCRATCH_EN: 0
; COMPUTE_PGM_RSRC2:USER_SGPR: 2
; COMPUTE_PGM_RSRC2:TRAP_HANDLER: 0
; COMPUTE_PGM_RSRC2:TGID_X_EN: 1
; COMPUTE_PGM_RSRC2:TGID_Y_EN: 0
; COMPUTE_PGM_RSRC2:TGID_Z_EN: 0
; COMPUTE_PGM_RSRC2:TIDIG_COMP_CNT: 0
; COMPUTE_PGM_RSRC3_GFX90A:ACCUM_OFFSET: 0
; COMPUTE_PGM_RSRC3_GFX90A:TG_SPLIT: 0
	.section	.text._ZN7rocprim17ROCPRIM_400000_NS6detail17trampoline_kernelINS0_14default_configENS1_37merge_sort_block_sort_config_selectorIlNS0_10empty_typeEEEZNS1_21merge_sort_block_sortIS3_PlS8_PS5_S9_ZN2at6native12_GLOBAL__N_124unique_dim_cuda_templateIN3c104HalfEEESt5tupleIJNSA_6TensorESH_SH_EERKSH_lbbbEUlllE_EE10hipError_tT0_T1_T2_T3_mRjT4_P12ihipStream_tbNS1_7vsmem_tEEUlT_E_NS1_11comp_targetILNS1_3genE2ELNS1_11target_archE906ELNS1_3gpuE6ELNS1_3repE0EEENS1_30default_config_static_selectorELNS0_4arch9wavefront6targetE1EEEvSO_,"axG",@progbits,_ZN7rocprim17ROCPRIM_400000_NS6detail17trampoline_kernelINS0_14default_configENS1_37merge_sort_block_sort_config_selectorIlNS0_10empty_typeEEEZNS1_21merge_sort_block_sortIS3_PlS8_PS5_S9_ZN2at6native12_GLOBAL__N_124unique_dim_cuda_templateIN3c104HalfEEESt5tupleIJNSA_6TensorESH_SH_EERKSH_lbbbEUlllE_EE10hipError_tT0_T1_T2_T3_mRjT4_P12ihipStream_tbNS1_7vsmem_tEEUlT_E_NS1_11comp_targetILNS1_3genE2ELNS1_11target_archE906ELNS1_3gpuE6ELNS1_3repE0EEENS1_30default_config_static_selectorELNS0_4arch9wavefront6targetE1EEEvSO_,comdat
	.globl	_ZN7rocprim17ROCPRIM_400000_NS6detail17trampoline_kernelINS0_14default_configENS1_37merge_sort_block_sort_config_selectorIlNS0_10empty_typeEEEZNS1_21merge_sort_block_sortIS3_PlS8_PS5_S9_ZN2at6native12_GLOBAL__N_124unique_dim_cuda_templateIN3c104HalfEEESt5tupleIJNSA_6TensorESH_SH_EERKSH_lbbbEUlllE_EE10hipError_tT0_T1_T2_T3_mRjT4_P12ihipStream_tbNS1_7vsmem_tEEUlT_E_NS1_11comp_targetILNS1_3genE2ELNS1_11target_archE906ELNS1_3gpuE6ELNS1_3repE0EEENS1_30default_config_static_selectorELNS0_4arch9wavefront6targetE1EEEvSO_ ; -- Begin function _ZN7rocprim17ROCPRIM_400000_NS6detail17trampoline_kernelINS0_14default_configENS1_37merge_sort_block_sort_config_selectorIlNS0_10empty_typeEEEZNS1_21merge_sort_block_sortIS3_PlS8_PS5_S9_ZN2at6native12_GLOBAL__N_124unique_dim_cuda_templateIN3c104HalfEEESt5tupleIJNSA_6TensorESH_SH_EERKSH_lbbbEUlllE_EE10hipError_tT0_T1_T2_T3_mRjT4_P12ihipStream_tbNS1_7vsmem_tEEUlT_E_NS1_11comp_targetILNS1_3genE2ELNS1_11target_archE906ELNS1_3gpuE6ELNS1_3repE0EEENS1_30default_config_static_selectorELNS0_4arch9wavefront6targetE1EEEvSO_
	.p2align	8
	.type	_ZN7rocprim17ROCPRIM_400000_NS6detail17trampoline_kernelINS0_14default_configENS1_37merge_sort_block_sort_config_selectorIlNS0_10empty_typeEEEZNS1_21merge_sort_block_sortIS3_PlS8_PS5_S9_ZN2at6native12_GLOBAL__N_124unique_dim_cuda_templateIN3c104HalfEEESt5tupleIJNSA_6TensorESH_SH_EERKSH_lbbbEUlllE_EE10hipError_tT0_T1_T2_T3_mRjT4_P12ihipStream_tbNS1_7vsmem_tEEUlT_E_NS1_11comp_targetILNS1_3genE2ELNS1_11target_archE906ELNS1_3gpuE6ELNS1_3repE0EEENS1_30default_config_static_selectorELNS0_4arch9wavefront6targetE1EEEvSO_,@function
_ZN7rocprim17ROCPRIM_400000_NS6detail17trampoline_kernelINS0_14default_configENS1_37merge_sort_block_sort_config_selectorIlNS0_10empty_typeEEEZNS1_21merge_sort_block_sortIS3_PlS8_PS5_S9_ZN2at6native12_GLOBAL__N_124unique_dim_cuda_templateIN3c104HalfEEESt5tupleIJNSA_6TensorESH_SH_EERKSH_lbbbEUlllE_EE10hipError_tT0_T1_T2_T3_mRjT4_P12ihipStream_tbNS1_7vsmem_tEEUlT_E_NS1_11comp_targetILNS1_3genE2ELNS1_11target_archE906ELNS1_3gpuE6ELNS1_3repE0EEENS1_30default_config_static_selectorELNS0_4arch9wavefront6targetE1EEEvSO_: ; @_ZN7rocprim17ROCPRIM_400000_NS6detail17trampoline_kernelINS0_14default_configENS1_37merge_sort_block_sort_config_selectorIlNS0_10empty_typeEEEZNS1_21merge_sort_block_sortIS3_PlS8_PS5_S9_ZN2at6native12_GLOBAL__N_124unique_dim_cuda_templateIN3c104HalfEEESt5tupleIJNSA_6TensorESH_SH_EERKSH_lbbbEUlllE_EE10hipError_tT0_T1_T2_T3_mRjT4_P12ihipStream_tbNS1_7vsmem_tEEUlT_E_NS1_11comp_targetILNS1_3genE2ELNS1_11target_archE906ELNS1_3gpuE6ELNS1_3repE0EEENS1_30default_config_static_selectorELNS0_4arch9wavefront6targetE1EEEvSO_
; %bb.0:
	.section	.rodata,"a",@progbits
	.p2align	6, 0x0
	.amdhsa_kernel _ZN7rocprim17ROCPRIM_400000_NS6detail17trampoline_kernelINS0_14default_configENS1_37merge_sort_block_sort_config_selectorIlNS0_10empty_typeEEEZNS1_21merge_sort_block_sortIS3_PlS8_PS5_S9_ZN2at6native12_GLOBAL__N_124unique_dim_cuda_templateIN3c104HalfEEESt5tupleIJNSA_6TensorESH_SH_EERKSH_lbbbEUlllE_EE10hipError_tT0_T1_T2_T3_mRjT4_P12ihipStream_tbNS1_7vsmem_tEEUlT_E_NS1_11comp_targetILNS1_3genE2ELNS1_11target_archE906ELNS1_3gpuE6ELNS1_3repE0EEENS1_30default_config_static_selectorELNS0_4arch9wavefront6targetE1EEEvSO_
		.amdhsa_group_segment_fixed_size 0
		.amdhsa_private_segment_fixed_size 0
		.amdhsa_kernarg_size 72
		.amdhsa_user_sgpr_count 2
		.amdhsa_user_sgpr_dispatch_ptr 0
		.amdhsa_user_sgpr_queue_ptr 0
		.amdhsa_user_sgpr_kernarg_segment_ptr 1
		.amdhsa_user_sgpr_dispatch_id 0
		.amdhsa_user_sgpr_kernarg_preload_length 0
		.amdhsa_user_sgpr_kernarg_preload_offset 0
		.amdhsa_user_sgpr_private_segment_size 0
		.amdhsa_uses_dynamic_stack 0
		.amdhsa_enable_private_segment 0
		.amdhsa_system_sgpr_workgroup_id_x 1
		.amdhsa_system_sgpr_workgroup_id_y 0
		.amdhsa_system_sgpr_workgroup_id_z 0
		.amdhsa_system_sgpr_workgroup_info 0
		.amdhsa_system_vgpr_workitem_id 0
		.amdhsa_next_free_vgpr 1
		.amdhsa_next_free_sgpr 0
		.amdhsa_accum_offset 4
		.amdhsa_reserve_vcc 0
		.amdhsa_float_round_mode_32 0
		.amdhsa_float_round_mode_16_64 0
		.amdhsa_float_denorm_mode_32 3
		.amdhsa_float_denorm_mode_16_64 3
		.amdhsa_dx10_clamp 1
		.amdhsa_ieee_mode 1
		.amdhsa_fp16_overflow 0
		.amdhsa_tg_split 0
		.amdhsa_exception_fp_ieee_invalid_op 0
		.amdhsa_exception_fp_denorm_src 0
		.amdhsa_exception_fp_ieee_div_zero 0
		.amdhsa_exception_fp_ieee_overflow 0
		.amdhsa_exception_fp_ieee_underflow 0
		.amdhsa_exception_fp_ieee_inexact 0
		.amdhsa_exception_int_div_zero 0
	.end_amdhsa_kernel
	.section	.text._ZN7rocprim17ROCPRIM_400000_NS6detail17trampoline_kernelINS0_14default_configENS1_37merge_sort_block_sort_config_selectorIlNS0_10empty_typeEEEZNS1_21merge_sort_block_sortIS3_PlS8_PS5_S9_ZN2at6native12_GLOBAL__N_124unique_dim_cuda_templateIN3c104HalfEEESt5tupleIJNSA_6TensorESH_SH_EERKSH_lbbbEUlllE_EE10hipError_tT0_T1_T2_T3_mRjT4_P12ihipStream_tbNS1_7vsmem_tEEUlT_E_NS1_11comp_targetILNS1_3genE2ELNS1_11target_archE906ELNS1_3gpuE6ELNS1_3repE0EEENS1_30default_config_static_selectorELNS0_4arch9wavefront6targetE1EEEvSO_,"axG",@progbits,_ZN7rocprim17ROCPRIM_400000_NS6detail17trampoline_kernelINS0_14default_configENS1_37merge_sort_block_sort_config_selectorIlNS0_10empty_typeEEEZNS1_21merge_sort_block_sortIS3_PlS8_PS5_S9_ZN2at6native12_GLOBAL__N_124unique_dim_cuda_templateIN3c104HalfEEESt5tupleIJNSA_6TensorESH_SH_EERKSH_lbbbEUlllE_EE10hipError_tT0_T1_T2_T3_mRjT4_P12ihipStream_tbNS1_7vsmem_tEEUlT_E_NS1_11comp_targetILNS1_3genE2ELNS1_11target_archE906ELNS1_3gpuE6ELNS1_3repE0EEENS1_30default_config_static_selectorELNS0_4arch9wavefront6targetE1EEEvSO_,comdat
.Lfunc_end1251:
	.size	_ZN7rocprim17ROCPRIM_400000_NS6detail17trampoline_kernelINS0_14default_configENS1_37merge_sort_block_sort_config_selectorIlNS0_10empty_typeEEEZNS1_21merge_sort_block_sortIS3_PlS8_PS5_S9_ZN2at6native12_GLOBAL__N_124unique_dim_cuda_templateIN3c104HalfEEESt5tupleIJNSA_6TensorESH_SH_EERKSH_lbbbEUlllE_EE10hipError_tT0_T1_T2_T3_mRjT4_P12ihipStream_tbNS1_7vsmem_tEEUlT_E_NS1_11comp_targetILNS1_3genE2ELNS1_11target_archE906ELNS1_3gpuE6ELNS1_3repE0EEENS1_30default_config_static_selectorELNS0_4arch9wavefront6targetE1EEEvSO_, .Lfunc_end1251-_ZN7rocprim17ROCPRIM_400000_NS6detail17trampoline_kernelINS0_14default_configENS1_37merge_sort_block_sort_config_selectorIlNS0_10empty_typeEEEZNS1_21merge_sort_block_sortIS3_PlS8_PS5_S9_ZN2at6native12_GLOBAL__N_124unique_dim_cuda_templateIN3c104HalfEEESt5tupleIJNSA_6TensorESH_SH_EERKSH_lbbbEUlllE_EE10hipError_tT0_T1_T2_T3_mRjT4_P12ihipStream_tbNS1_7vsmem_tEEUlT_E_NS1_11comp_targetILNS1_3genE2ELNS1_11target_archE906ELNS1_3gpuE6ELNS1_3repE0EEENS1_30default_config_static_selectorELNS0_4arch9wavefront6targetE1EEEvSO_
                                        ; -- End function
	.section	.AMDGPU.csdata,"",@progbits
; Kernel info:
; codeLenInByte = 0
; NumSgprs: 6
; NumVgprs: 0
; NumAgprs: 0
; TotalNumVgprs: 0
; ScratchSize: 0
; MemoryBound: 0
; FloatMode: 240
; IeeeMode: 1
; LDSByteSize: 0 bytes/workgroup (compile time only)
; SGPRBlocks: 0
; VGPRBlocks: 0
; NumSGPRsForWavesPerEU: 6
; NumVGPRsForWavesPerEU: 1
; AccumOffset: 4
; Occupancy: 8
; WaveLimiterHint : 0
; COMPUTE_PGM_RSRC2:SCRATCH_EN: 0
; COMPUTE_PGM_RSRC2:USER_SGPR: 2
; COMPUTE_PGM_RSRC2:TRAP_HANDLER: 0
; COMPUTE_PGM_RSRC2:TGID_X_EN: 1
; COMPUTE_PGM_RSRC2:TGID_Y_EN: 0
; COMPUTE_PGM_RSRC2:TGID_Z_EN: 0
; COMPUTE_PGM_RSRC2:TIDIG_COMP_CNT: 0
; COMPUTE_PGM_RSRC3_GFX90A:ACCUM_OFFSET: 0
; COMPUTE_PGM_RSRC3_GFX90A:TG_SPLIT: 0
	.section	.text._ZN7rocprim17ROCPRIM_400000_NS6detail17trampoline_kernelINS0_14default_configENS1_37merge_sort_block_sort_config_selectorIlNS0_10empty_typeEEEZNS1_21merge_sort_block_sortIS3_PlS8_PS5_S9_ZN2at6native12_GLOBAL__N_124unique_dim_cuda_templateIN3c104HalfEEESt5tupleIJNSA_6TensorESH_SH_EERKSH_lbbbEUlllE_EE10hipError_tT0_T1_T2_T3_mRjT4_P12ihipStream_tbNS1_7vsmem_tEEUlT_E_NS1_11comp_targetILNS1_3genE10ELNS1_11target_archE1201ELNS1_3gpuE5ELNS1_3repE0EEENS1_30default_config_static_selectorELNS0_4arch9wavefront6targetE1EEEvSO_,"axG",@progbits,_ZN7rocprim17ROCPRIM_400000_NS6detail17trampoline_kernelINS0_14default_configENS1_37merge_sort_block_sort_config_selectorIlNS0_10empty_typeEEEZNS1_21merge_sort_block_sortIS3_PlS8_PS5_S9_ZN2at6native12_GLOBAL__N_124unique_dim_cuda_templateIN3c104HalfEEESt5tupleIJNSA_6TensorESH_SH_EERKSH_lbbbEUlllE_EE10hipError_tT0_T1_T2_T3_mRjT4_P12ihipStream_tbNS1_7vsmem_tEEUlT_E_NS1_11comp_targetILNS1_3genE10ELNS1_11target_archE1201ELNS1_3gpuE5ELNS1_3repE0EEENS1_30default_config_static_selectorELNS0_4arch9wavefront6targetE1EEEvSO_,comdat
	.globl	_ZN7rocprim17ROCPRIM_400000_NS6detail17trampoline_kernelINS0_14default_configENS1_37merge_sort_block_sort_config_selectorIlNS0_10empty_typeEEEZNS1_21merge_sort_block_sortIS3_PlS8_PS5_S9_ZN2at6native12_GLOBAL__N_124unique_dim_cuda_templateIN3c104HalfEEESt5tupleIJNSA_6TensorESH_SH_EERKSH_lbbbEUlllE_EE10hipError_tT0_T1_T2_T3_mRjT4_P12ihipStream_tbNS1_7vsmem_tEEUlT_E_NS1_11comp_targetILNS1_3genE10ELNS1_11target_archE1201ELNS1_3gpuE5ELNS1_3repE0EEENS1_30default_config_static_selectorELNS0_4arch9wavefront6targetE1EEEvSO_ ; -- Begin function _ZN7rocprim17ROCPRIM_400000_NS6detail17trampoline_kernelINS0_14default_configENS1_37merge_sort_block_sort_config_selectorIlNS0_10empty_typeEEEZNS1_21merge_sort_block_sortIS3_PlS8_PS5_S9_ZN2at6native12_GLOBAL__N_124unique_dim_cuda_templateIN3c104HalfEEESt5tupleIJNSA_6TensorESH_SH_EERKSH_lbbbEUlllE_EE10hipError_tT0_T1_T2_T3_mRjT4_P12ihipStream_tbNS1_7vsmem_tEEUlT_E_NS1_11comp_targetILNS1_3genE10ELNS1_11target_archE1201ELNS1_3gpuE5ELNS1_3repE0EEENS1_30default_config_static_selectorELNS0_4arch9wavefront6targetE1EEEvSO_
	.p2align	8
	.type	_ZN7rocprim17ROCPRIM_400000_NS6detail17trampoline_kernelINS0_14default_configENS1_37merge_sort_block_sort_config_selectorIlNS0_10empty_typeEEEZNS1_21merge_sort_block_sortIS3_PlS8_PS5_S9_ZN2at6native12_GLOBAL__N_124unique_dim_cuda_templateIN3c104HalfEEESt5tupleIJNSA_6TensorESH_SH_EERKSH_lbbbEUlllE_EE10hipError_tT0_T1_T2_T3_mRjT4_P12ihipStream_tbNS1_7vsmem_tEEUlT_E_NS1_11comp_targetILNS1_3genE10ELNS1_11target_archE1201ELNS1_3gpuE5ELNS1_3repE0EEENS1_30default_config_static_selectorELNS0_4arch9wavefront6targetE1EEEvSO_,@function
_ZN7rocprim17ROCPRIM_400000_NS6detail17trampoline_kernelINS0_14default_configENS1_37merge_sort_block_sort_config_selectorIlNS0_10empty_typeEEEZNS1_21merge_sort_block_sortIS3_PlS8_PS5_S9_ZN2at6native12_GLOBAL__N_124unique_dim_cuda_templateIN3c104HalfEEESt5tupleIJNSA_6TensorESH_SH_EERKSH_lbbbEUlllE_EE10hipError_tT0_T1_T2_T3_mRjT4_P12ihipStream_tbNS1_7vsmem_tEEUlT_E_NS1_11comp_targetILNS1_3genE10ELNS1_11target_archE1201ELNS1_3gpuE5ELNS1_3repE0EEENS1_30default_config_static_selectorELNS0_4arch9wavefront6targetE1EEEvSO_: ; @_ZN7rocprim17ROCPRIM_400000_NS6detail17trampoline_kernelINS0_14default_configENS1_37merge_sort_block_sort_config_selectorIlNS0_10empty_typeEEEZNS1_21merge_sort_block_sortIS3_PlS8_PS5_S9_ZN2at6native12_GLOBAL__N_124unique_dim_cuda_templateIN3c104HalfEEESt5tupleIJNSA_6TensorESH_SH_EERKSH_lbbbEUlllE_EE10hipError_tT0_T1_T2_T3_mRjT4_P12ihipStream_tbNS1_7vsmem_tEEUlT_E_NS1_11comp_targetILNS1_3genE10ELNS1_11target_archE1201ELNS1_3gpuE5ELNS1_3repE0EEENS1_30default_config_static_selectorELNS0_4arch9wavefront6targetE1EEEvSO_
; %bb.0:
	.section	.rodata,"a",@progbits
	.p2align	6, 0x0
	.amdhsa_kernel _ZN7rocprim17ROCPRIM_400000_NS6detail17trampoline_kernelINS0_14default_configENS1_37merge_sort_block_sort_config_selectorIlNS0_10empty_typeEEEZNS1_21merge_sort_block_sortIS3_PlS8_PS5_S9_ZN2at6native12_GLOBAL__N_124unique_dim_cuda_templateIN3c104HalfEEESt5tupleIJNSA_6TensorESH_SH_EERKSH_lbbbEUlllE_EE10hipError_tT0_T1_T2_T3_mRjT4_P12ihipStream_tbNS1_7vsmem_tEEUlT_E_NS1_11comp_targetILNS1_3genE10ELNS1_11target_archE1201ELNS1_3gpuE5ELNS1_3repE0EEENS1_30default_config_static_selectorELNS0_4arch9wavefront6targetE1EEEvSO_
		.amdhsa_group_segment_fixed_size 0
		.amdhsa_private_segment_fixed_size 0
		.amdhsa_kernarg_size 72
		.amdhsa_user_sgpr_count 2
		.amdhsa_user_sgpr_dispatch_ptr 0
		.amdhsa_user_sgpr_queue_ptr 0
		.amdhsa_user_sgpr_kernarg_segment_ptr 1
		.amdhsa_user_sgpr_dispatch_id 0
		.amdhsa_user_sgpr_kernarg_preload_length 0
		.amdhsa_user_sgpr_kernarg_preload_offset 0
		.amdhsa_user_sgpr_private_segment_size 0
		.amdhsa_uses_dynamic_stack 0
		.amdhsa_enable_private_segment 0
		.amdhsa_system_sgpr_workgroup_id_x 1
		.amdhsa_system_sgpr_workgroup_id_y 0
		.amdhsa_system_sgpr_workgroup_id_z 0
		.amdhsa_system_sgpr_workgroup_info 0
		.amdhsa_system_vgpr_workitem_id 0
		.amdhsa_next_free_vgpr 1
		.amdhsa_next_free_sgpr 0
		.amdhsa_accum_offset 4
		.amdhsa_reserve_vcc 0
		.amdhsa_float_round_mode_32 0
		.amdhsa_float_round_mode_16_64 0
		.amdhsa_float_denorm_mode_32 3
		.amdhsa_float_denorm_mode_16_64 3
		.amdhsa_dx10_clamp 1
		.amdhsa_ieee_mode 1
		.amdhsa_fp16_overflow 0
		.amdhsa_tg_split 0
		.amdhsa_exception_fp_ieee_invalid_op 0
		.amdhsa_exception_fp_denorm_src 0
		.amdhsa_exception_fp_ieee_div_zero 0
		.amdhsa_exception_fp_ieee_overflow 0
		.amdhsa_exception_fp_ieee_underflow 0
		.amdhsa_exception_fp_ieee_inexact 0
		.amdhsa_exception_int_div_zero 0
	.end_amdhsa_kernel
	.section	.text._ZN7rocprim17ROCPRIM_400000_NS6detail17trampoline_kernelINS0_14default_configENS1_37merge_sort_block_sort_config_selectorIlNS0_10empty_typeEEEZNS1_21merge_sort_block_sortIS3_PlS8_PS5_S9_ZN2at6native12_GLOBAL__N_124unique_dim_cuda_templateIN3c104HalfEEESt5tupleIJNSA_6TensorESH_SH_EERKSH_lbbbEUlllE_EE10hipError_tT0_T1_T2_T3_mRjT4_P12ihipStream_tbNS1_7vsmem_tEEUlT_E_NS1_11comp_targetILNS1_3genE10ELNS1_11target_archE1201ELNS1_3gpuE5ELNS1_3repE0EEENS1_30default_config_static_selectorELNS0_4arch9wavefront6targetE1EEEvSO_,"axG",@progbits,_ZN7rocprim17ROCPRIM_400000_NS6detail17trampoline_kernelINS0_14default_configENS1_37merge_sort_block_sort_config_selectorIlNS0_10empty_typeEEEZNS1_21merge_sort_block_sortIS3_PlS8_PS5_S9_ZN2at6native12_GLOBAL__N_124unique_dim_cuda_templateIN3c104HalfEEESt5tupleIJNSA_6TensorESH_SH_EERKSH_lbbbEUlllE_EE10hipError_tT0_T1_T2_T3_mRjT4_P12ihipStream_tbNS1_7vsmem_tEEUlT_E_NS1_11comp_targetILNS1_3genE10ELNS1_11target_archE1201ELNS1_3gpuE5ELNS1_3repE0EEENS1_30default_config_static_selectorELNS0_4arch9wavefront6targetE1EEEvSO_,comdat
.Lfunc_end1252:
	.size	_ZN7rocprim17ROCPRIM_400000_NS6detail17trampoline_kernelINS0_14default_configENS1_37merge_sort_block_sort_config_selectorIlNS0_10empty_typeEEEZNS1_21merge_sort_block_sortIS3_PlS8_PS5_S9_ZN2at6native12_GLOBAL__N_124unique_dim_cuda_templateIN3c104HalfEEESt5tupleIJNSA_6TensorESH_SH_EERKSH_lbbbEUlllE_EE10hipError_tT0_T1_T2_T3_mRjT4_P12ihipStream_tbNS1_7vsmem_tEEUlT_E_NS1_11comp_targetILNS1_3genE10ELNS1_11target_archE1201ELNS1_3gpuE5ELNS1_3repE0EEENS1_30default_config_static_selectorELNS0_4arch9wavefront6targetE1EEEvSO_, .Lfunc_end1252-_ZN7rocprim17ROCPRIM_400000_NS6detail17trampoline_kernelINS0_14default_configENS1_37merge_sort_block_sort_config_selectorIlNS0_10empty_typeEEEZNS1_21merge_sort_block_sortIS3_PlS8_PS5_S9_ZN2at6native12_GLOBAL__N_124unique_dim_cuda_templateIN3c104HalfEEESt5tupleIJNSA_6TensorESH_SH_EERKSH_lbbbEUlllE_EE10hipError_tT0_T1_T2_T3_mRjT4_P12ihipStream_tbNS1_7vsmem_tEEUlT_E_NS1_11comp_targetILNS1_3genE10ELNS1_11target_archE1201ELNS1_3gpuE5ELNS1_3repE0EEENS1_30default_config_static_selectorELNS0_4arch9wavefront6targetE1EEEvSO_
                                        ; -- End function
	.section	.AMDGPU.csdata,"",@progbits
; Kernel info:
; codeLenInByte = 0
; NumSgprs: 6
; NumVgprs: 0
; NumAgprs: 0
; TotalNumVgprs: 0
; ScratchSize: 0
; MemoryBound: 0
; FloatMode: 240
; IeeeMode: 1
; LDSByteSize: 0 bytes/workgroup (compile time only)
; SGPRBlocks: 0
; VGPRBlocks: 0
; NumSGPRsForWavesPerEU: 6
; NumVGPRsForWavesPerEU: 1
; AccumOffset: 4
; Occupancy: 8
; WaveLimiterHint : 0
; COMPUTE_PGM_RSRC2:SCRATCH_EN: 0
; COMPUTE_PGM_RSRC2:USER_SGPR: 2
; COMPUTE_PGM_RSRC2:TRAP_HANDLER: 0
; COMPUTE_PGM_RSRC2:TGID_X_EN: 1
; COMPUTE_PGM_RSRC2:TGID_Y_EN: 0
; COMPUTE_PGM_RSRC2:TGID_Z_EN: 0
; COMPUTE_PGM_RSRC2:TIDIG_COMP_CNT: 0
; COMPUTE_PGM_RSRC3_GFX90A:ACCUM_OFFSET: 0
; COMPUTE_PGM_RSRC3_GFX90A:TG_SPLIT: 0
	.section	.text._ZN7rocprim17ROCPRIM_400000_NS6detail17trampoline_kernelINS0_14default_configENS1_37merge_sort_block_sort_config_selectorIlNS0_10empty_typeEEEZNS1_21merge_sort_block_sortIS3_PlS8_PS5_S9_ZN2at6native12_GLOBAL__N_124unique_dim_cuda_templateIN3c104HalfEEESt5tupleIJNSA_6TensorESH_SH_EERKSH_lbbbEUlllE_EE10hipError_tT0_T1_T2_T3_mRjT4_P12ihipStream_tbNS1_7vsmem_tEEUlT_E_NS1_11comp_targetILNS1_3genE10ELNS1_11target_archE1200ELNS1_3gpuE4ELNS1_3repE0EEENS1_30default_config_static_selectorELNS0_4arch9wavefront6targetE1EEEvSO_,"axG",@progbits,_ZN7rocprim17ROCPRIM_400000_NS6detail17trampoline_kernelINS0_14default_configENS1_37merge_sort_block_sort_config_selectorIlNS0_10empty_typeEEEZNS1_21merge_sort_block_sortIS3_PlS8_PS5_S9_ZN2at6native12_GLOBAL__N_124unique_dim_cuda_templateIN3c104HalfEEESt5tupleIJNSA_6TensorESH_SH_EERKSH_lbbbEUlllE_EE10hipError_tT0_T1_T2_T3_mRjT4_P12ihipStream_tbNS1_7vsmem_tEEUlT_E_NS1_11comp_targetILNS1_3genE10ELNS1_11target_archE1200ELNS1_3gpuE4ELNS1_3repE0EEENS1_30default_config_static_selectorELNS0_4arch9wavefront6targetE1EEEvSO_,comdat
	.globl	_ZN7rocprim17ROCPRIM_400000_NS6detail17trampoline_kernelINS0_14default_configENS1_37merge_sort_block_sort_config_selectorIlNS0_10empty_typeEEEZNS1_21merge_sort_block_sortIS3_PlS8_PS5_S9_ZN2at6native12_GLOBAL__N_124unique_dim_cuda_templateIN3c104HalfEEESt5tupleIJNSA_6TensorESH_SH_EERKSH_lbbbEUlllE_EE10hipError_tT0_T1_T2_T3_mRjT4_P12ihipStream_tbNS1_7vsmem_tEEUlT_E_NS1_11comp_targetILNS1_3genE10ELNS1_11target_archE1200ELNS1_3gpuE4ELNS1_3repE0EEENS1_30default_config_static_selectorELNS0_4arch9wavefront6targetE1EEEvSO_ ; -- Begin function _ZN7rocprim17ROCPRIM_400000_NS6detail17trampoline_kernelINS0_14default_configENS1_37merge_sort_block_sort_config_selectorIlNS0_10empty_typeEEEZNS1_21merge_sort_block_sortIS3_PlS8_PS5_S9_ZN2at6native12_GLOBAL__N_124unique_dim_cuda_templateIN3c104HalfEEESt5tupleIJNSA_6TensorESH_SH_EERKSH_lbbbEUlllE_EE10hipError_tT0_T1_T2_T3_mRjT4_P12ihipStream_tbNS1_7vsmem_tEEUlT_E_NS1_11comp_targetILNS1_3genE10ELNS1_11target_archE1200ELNS1_3gpuE4ELNS1_3repE0EEENS1_30default_config_static_selectorELNS0_4arch9wavefront6targetE1EEEvSO_
	.p2align	8
	.type	_ZN7rocprim17ROCPRIM_400000_NS6detail17trampoline_kernelINS0_14default_configENS1_37merge_sort_block_sort_config_selectorIlNS0_10empty_typeEEEZNS1_21merge_sort_block_sortIS3_PlS8_PS5_S9_ZN2at6native12_GLOBAL__N_124unique_dim_cuda_templateIN3c104HalfEEESt5tupleIJNSA_6TensorESH_SH_EERKSH_lbbbEUlllE_EE10hipError_tT0_T1_T2_T3_mRjT4_P12ihipStream_tbNS1_7vsmem_tEEUlT_E_NS1_11comp_targetILNS1_3genE10ELNS1_11target_archE1200ELNS1_3gpuE4ELNS1_3repE0EEENS1_30default_config_static_selectorELNS0_4arch9wavefront6targetE1EEEvSO_,@function
_ZN7rocprim17ROCPRIM_400000_NS6detail17trampoline_kernelINS0_14default_configENS1_37merge_sort_block_sort_config_selectorIlNS0_10empty_typeEEEZNS1_21merge_sort_block_sortIS3_PlS8_PS5_S9_ZN2at6native12_GLOBAL__N_124unique_dim_cuda_templateIN3c104HalfEEESt5tupleIJNSA_6TensorESH_SH_EERKSH_lbbbEUlllE_EE10hipError_tT0_T1_T2_T3_mRjT4_P12ihipStream_tbNS1_7vsmem_tEEUlT_E_NS1_11comp_targetILNS1_3genE10ELNS1_11target_archE1200ELNS1_3gpuE4ELNS1_3repE0EEENS1_30default_config_static_selectorELNS0_4arch9wavefront6targetE1EEEvSO_: ; @_ZN7rocprim17ROCPRIM_400000_NS6detail17trampoline_kernelINS0_14default_configENS1_37merge_sort_block_sort_config_selectorIlNS0_10empty_typeEEEZNS1_21merge_sort_block_sortIS3_PlS8_PS5_S9_ZN2at6native12_GLOBAL__N_124unique_dim_cuda_templateIN3c104HalfEEESt5tupleIJNSA_6TensorESH_SH_EERKSH_lbbbEUlllE_EE10hipError_tT0_T1_T2_T3_mRjT4_P12ihipStream_tbNS1_7vsmem_tEEUlT_E_NS1_11comp_targetILNS1_3genE10ELNS1_11target_archE1200ELNS1_3gpuE4ELNS1_3repE0EEENS1_30default_config_static_selectorELNS0_4arch9wavefront6targetE1EEEvSO_
; %bb.0:
	.section	.rodata,"a",@progbits
	.p2align	6, 0x0
	.amdhsa_kernel _ZN7rocprim17ROCPRIM_400000_NS6detail17trampoline_kernelINS0_14default_configENS1_37merge_sort_block_sort_config_selectorIlNS0_10empty_typeEEEZNS1_21merge_sort_block_sortIS3_PlS8_PS5_S9_ZN2at6native12_GLOBAL__N_124unique_dim_cuda_templateIN3c104HalfEEESt5tupleIJNSA_6TensorESH_SH_EERKSH_lbbbEUlllE_EE10hipError_tT0_T1_T2_T3_mRjT4_P12ihipStream_tbNS1_7vsmem_tEEUlT_E_NS1_11comp_targetILNS1_3genE10ELNS1_11target_archE1200ELNS1_3gpuE4ELNS1_3repE0EEENS1_30default_config_static_selectorELNS0_4arch9wavefront6targetE1EEEvSO_
		.amdhsa_group_segment_fixed_size 0
		.amdhsa_private_segment_fixed_size 0
		.amdhsa_kernarg_size 72
		.amdhsa_user_sgpr_count 2
		.amdhsa_user_sgpr_dispatch_ptr 0
		.amdhsa_user_sgpr_queue_ptr 0
		.amdhsa_user_sgpr_kernarg_segment_ptr 1
		.amdhsa_user_sgpr_dispatch_id 0
		.amdhsa_user_sgpr_kernarg_preload_length 0
		.amdhsa_user_sgpr_kernarg_preload_offset 0
		.amdhsa_user_sgpr_private_segment_size 0
		.amdhsa_uses_dynamic_stack 0
		.amdhsa_enable_private_segment 0
		.amdhsa_system_sgpr_workgroup_id_x 1
		.amdhsa_system_sgpr_workgroup_id_y 0
		.amdhsa_system_sgpr_workgroup_id_z 0
		.amdhsa_system_sgpr_workgroup_info 0
		.amdhsa_system_vgpr_workitem_id 0
		.amdhsa_next_free_vgpr 1
		.amdhsa_next_free_sgpr 0
		.amdhsa_accum_offset 4
		.amdhsa_reserve_vcc 0
		.amdhsa_float_round_mode_32 0
		.amdhsa_float_round_mode_16_64 0
		.amdhsa_float_denorm_mode_32 3
		.amdhsa_float_denorm_mode_16_64 3
		.amdhsa_dx10_clamp 1
		.amdhsa_ieee_mode 1
		.amdhsa_fp16_overflow 0
		.amdhsa_tg_split 0
		.amdhsa_exception_fp_ieee_invalid_op 0
		.amdhsa_exception_fp_denorm_src 0
		.amdhsa_exception_fp_ieee_div_zero 0
		.amdhsa_exception_fp_ieee_overflow 0
		.amdhsa_exception_fp_ieee_underflow 0
		.amdhsa_exception_fp_ieee_inexact 0
		.amdhsa_exception_int_div_zero 0
	.end_amdhsa_kernel
	.section	.text._ZN7rocprim17ROCPRIM_400000_NS6detail17trampoline_kernelINS0_14default_configENS1_37merge_sort_block_sort_config_selectorIlNS0_10empty_typeEEEZNS1_21merge_sort_block_sortIS3_PlS8_PS5_S9_ZN2at6native12_GLOBAL__N_124unique_dim_cuda_templateIN3c104HalfEEESt5tupleIJNSA_6TensorESH_SH_EERKSH_lbbbEUlllE_EE10hipError_tT0_T1_T2_T3_mRjT4_P12ihipStream_tbNS1_7vsmem_tEEUlT_E_NS1_11comp_targetILNS1_3genE10ELNS1_11target_archE1200ELNS1_3gpuE4ELNS1_3repE0EEENS1_30default_config_static_selectorELNS0_4arch9wavefront6targetE1EEEvSO_,"axG",@progbits,_ZN7rocprim17ROCPRIM_400000_NS6detail17trampoline_kernelINS0_14default_configENS1_37merge_sort_block_sort_config_selectorIlNS0_10empty_typeEEEZNS1_21merge_sort_block_sortIS3_PlS8_PS5_S9_ZN2at6native12_GLOBAL__N_124unique_dim_cuda_templateIN3c104HalfEEESt5tupleIJNSA_6TensorESH_SH_EERKSH_lbbbEUlllE_EE10hipError_tT0_T1_T2_T3_mRjT4_P12ihipStream_tbNS1_7vsmem_tEEUlT_E_NS1_11comp_targetILNS1_3genE10ELNS1_11target_archE1200ELNS1_3gpuE4ELNS1_3repE0EEENS1_30default_config_static_selectorELNS0_4arch9wavefront6targetE1EEEvSO_,comdat
.Lfunc_end1253:
	.size	_ZN7rocprim17ROCPRIM_400000_NS6detail17trampoline_kernelINS0_14default_configENS1_37merge_sort_block_sort_config_selectorIlNS0_10empty_typeEEEZNS1_21merge_sort_block_sortIS3_PlS8_PS5_S9_ZN2at6native12_GLOBAL__N_124unique_dim_cuda_templateIN3c104HalfEEESt5tupleIJNSA_6TensorESH_SH_EERKSH_lbbbEUlllE_EE10hipError_tT0_T1_T2_T3_mRjT4_P12ihipStream_tbNS1_7vsmem_tEEUlT_E_NS1_11comp_targetILNS1_3genE10ELNS1_11target_archE1200ELNS1_3gpuE4ELNS1_3repE0EEENS1_30default_config_static_selectorELNS0_4arch9wavefront6targetE1EEEvSO_, .Lfunc_end1253-_ZN7rocprim17ROCPRIM_400000_NS6detail17trampoline_kernelINS0_14default_configENS1_37merge_sort_block_sort_config_selectorIlNS0_10empty_typeEEEZNS1_21merge_sort_block_sortIS3_PlS8_PS5_S9_ZN2at6native12_GLOBAL__N_124unique_dim_cuda_templateIN3c104HalfEEESt5tupleIJNSA_6TensorESH_SH_EERKSH_lbbbEUlllE_EE10hipError_tT0_T1_T2_T3_mRjT4_P12ihipStream_tbNS1_7vsmem_tEEUlT_E_NS1_11comp_targetILNS1_3genE10ELNS1_11target_archE1200ELNS1_3gpuE4ELNS1_3repE0EEENS1_30default_config_static_selectorELNS0_4arch9wavefront6targetE1EEEvSO_
                                        ; -- End function
	.section	.AMDGPU.csdata,"",@progbits
; Kernel info:
; codeLenInByte = 0
; NumSgprs: 6
; NumVgprs: 0
; NumAgprs: 0
; TotalNumVgprs: 0
; ScratchSize: 0
; MemoryBound: 0
; FloatMode: 240
; IeeeMode: 1
; LDSByteSize: 0 bytes/workgroup (compile time only)
; SGPRBlocks: 0
; VGPRBlocks: 0
; NumSGPRsForWavesPerEU: 6
; NumVGPRsForWavesPerEU: 1
; AccumOffset: 4
; Occupancy: 8
; WaveLimiterHint : 0
; COMPUTE_PGM_RSRC2:SCRATCH_EN: 0
; COMPUTE_PGM_RSRC2:USER_SGPR: 2
; COMPUTE_PGM_RSRC2:TRAP_HANDLER: 0
; COMPUTE_PGM_RSRC2:TGID_X_EN: 1
; COMPUTE_PGM_RSRC2:TGID_Y_EN: 0
; COMPUTE_PGM_RSRC2:TGID_Z_EN: 0
; COMPUTE_PGM_RSRC2:TIDIG_COMP_CNT: 0
; COMPUTE_PGM_RSRC3_GFX90A:ACCUM_OFFSET: 0
; COMPUTE_PGM_RSRC3_GFX90A:TG_SPLIT: 0
	.section	.text._ZN7rocprim17ROCPRIM_400000_NS6detail17trampoline_kernelINS0_14default_configENS1_37merge_sort_block_sort_config_selectorIlNS0_10empty_typeEEEZNS1_21merge_sort_block_sortIS3_PlS8_PS5_S9_ZN2at6native12_GLOBAL__N_124unique_dim_cuda_templateIN3c104HalfEEESt5tupleIJNSA_6TensorESH_SH_EERKSH_lbbbEUlllE_EE10hipError_tT0_T1_T2_T3_mRjT4_P12ihipStream_tbNS1_7vsmem_tEEUlT_E_NS1_11comp_targetILNS1_3genE9ELNS1_11target_archE1100ELNS1_3gpuE3ELNS1_3repE0EEENS1_30default_config_static_selectorELNS0_4arch9wavefront6targetE1EEEvSO_,"axG",@progbits,_ZN7rocprim17ROCPRIM_400000_NS6detail17trampoline_kernelINS0_14default_configENS1_37merge_sort_block_sort_config_selectorIlNS0_10empty_typeEEEZNS1_21merge_sort_block_sortIS3_PlS8_PS5_S9_ZN2at6native12_GLOBAL__N_124unique_dim_cuda_templateIN3c104HalfEEESt5tupleIJNSA_6TensorESH_SH_EERKSH_lbbbEUlllE_EE10hipError_tT0_T1_T2_T3_mRjT4_P12ihipStream_tbNS1_7vsmem_tEEUlT_E_NS1_11comp_targetILNS1_3genE9ELNS1_11target_archE1100ELNS1_3gpuE3ELNS1_3repE0EEENS1_30default_config_static_selectorELNS0_4arch9wavefront6targetE1EEEvSO_,comdat
	.globl	_ZN7rocprim17ROCPRIM_400000_NS6detail17trampoline_kernelINS0_14default_configENS1_37merge_sort_block_sort_config_selectorIlNS0_10empty_typeEEEZNS1_21merge_sort_block_sortIS3_PlS8_PS5_S9_ZN2at6native12_GLOBAL__N_124unique_dim_cuda_templateIN3c104HalfEEESt5tupleIJNSA_6TensorESH_SH_EERKSH_lbbbEUlllE_EE10hipError_tT0_T1_T2_T3_mRjT4_P12ihipStream_tbNS1_7vsmem_tEEUlT_E_NS1_11comp_targetILNS1_3genE9ELNS1_11target_archE1100ELNS1_3gpuE3ELNS1_3repE0EEENS1_30default_config_static_selectorELNS0_4arch9wavefront6targetE1EEEvSO_ ; -- Begin function _ZN7rocprim17ROCPRIM_400000_NS6detail17trampoline_kernelINS0_14default_configENS1_37merge_sort_block_sort_config_selectorIlNS0_10empty_typeEEEZNS1_21merge_sort_block_sortIS3_PlS8_PS5_S9_ZN2at6native12_GLOBAL__N_124unique_dim_cuda_templateIN3c104HalfEEESt5tupleIJNSA_6TensorESH_SH_EERKSH_lbbbEUlllE_EE10hipError_tT0_T1_T2_T3_mRjT4_P12ihipStream_tbNS1_7vsmem_tEEUlT_E_NS1_11comp_targetILNS1_3genE9ELNS1_11target_archE1100ELNS1_3gpuE3ELNS1_3repE0EEENS1_30default_config_static_selectorELNS0_4arch9wavefront6targetE1EEEvSO_
	.p2align	8
	.type	_ZN7rocprim17ROCPRIM_400000_NS6detail17trampoline_kernelINS0_14default_configENS1_37merge_sort_block_sort_config_selectorIlNS0_10empty_typeEEEZNS1_21merge_sort_block_sortIS3_PlS8_PS5_S9_ZN2at6native12_GLOBAL__N_124unique_dim_cuda_templateIN3c104HalfEEESt5tupleIJNSA_6TensorESH_SH_EERKSH_lbbbEUlllE_EE10hipError_tT0_T1_T2_T3_mRjT4_P12ihipStream_tbNS1_7vsmem_tEEUlT_E_NS1_11comp_targetILNS1_3genE9ELNS1_11target_archE1100ELNS1_3gpuE3ELNS1_3repE0EEENS1_30default_config_static_selectorELNS0_4arch9wavefront6targetE1EEEvSO_,@function
_ZN7rocprim17ROCPRIM_400000_NS6detail17trampoline_kernelINS0_14default_configENS1_37merge_sort_block_sort_config_selectorIlNS0_10empty_typeEEEZNS1_21merge_sort_block_sortIS3_PlS8_PS5_S9_ZN2at6native12_GLOBAL__N_124unique_dim_cuda_templateIN3c104HalfEEESt5tupleIJNSA_6TensorESH_SH_EERKSH_lbbbEUlllE_EE10hipError_tT0_T1_T2_T3_mRjT4_P12ihipStream_tbNS1_7vsmem_tEEUlT_E_NS1_11comp_targetILNS1_3genE9ELNS1_11target_archE1100ELNS1_3gpuE3ELNS1_3repE0EEENS1_30default_config_static_selectorELNS0_4arch9wavefront6targetE1EEEvSO_: ; @_ZN7rocprim17ROCPRIM_400000_NS6detail17trampoline_kernelINS0_14default_configENS1_37merge_sort_block_sort_config_selectorIlNS0_10empty_typeEEEZNS1_21merge_sort_block_sortIS3_PlS8_PS5_S9_ZN2at6native12_GLOBAL__N_124unique_dim_cuda_templateIN3c104HalfEEESt5tupleIJNSA_6TensorESH_SH_EERKSH_lbbbEUlllE_EE10hipError_tT0_T1_T2_T3_mRjT4_P12ihipStream_tbNS1_7vsmem_tEEUlT_E_NS1_11comp_targetILNS1_3genE9ELNS1_11target_archE1100ELNS1_3gpuE3ELNS1_3repE0EEENS1_30default_config_static_selectorELNS0_4arch9wavefront6targetE1EEEvSO_
; %bb.0:
	.section	.rodata,"a",@progbits
	.p2align	6, 0x0
	.amdhsa_kernel _ZN7rocprim17ROCPRIM_400000_NS6detail17trampoline_kernelINS0_14default_configENS1_37merge_sort_block_sort_config_selectorIlNS0_10empty_typeEEEZNS1_21merge_sort_block_sortIS3_PlS8_PS5_S9_ZN2at6native12_GLOBAL__N_124unique_dim_cuda_templateIN3c104HalfEEESt5tupleIJNSA_6TensorESH_SH_EERKSH_lbbbEUlllE_EE10hipError_tT0_T1_T2_T3_mRjT4_P12ihipStream_tbNS1_7vsmem_tEEUlT_E_NS1_11comp_targetILNS1_3genE9ELNS1_11target_archE1100ELNS1_3gpuE3ELNS1_3repE0EEENS1_30default_config_static_selectorELNS0_4arch9wavefront6targetE1EEEvSO_
		.amdhsa_group_segment_fixed_size 0
		.amdhsa_private_segment_fixed_size 0
		.amdhsa_kernarg_size 72
		.amdhsa_user_sgpr_count 2
		.amdhsa_user_sgpr_dispatch_ptr 0
		.amdhsa_user_sgpr_queue_ptr 0
		.amdhsa_user_sgpr_kernarg_segment_ptr 1
		.amdhsa_user_sgpr_dispatch_id 0
		.amdhsa_user_sgpr_kernarg_preload_length 0
		.amdhsa_user_sgpr_kernarg_preload_offset 0
		.amdhsa_user_sgpr_private_segment_size 0
		.amdhsa_uses_dynamic_stack 0
		.amdhsa_enable_private_segment 0
		.amdhsa_system_sgpr_workgroup_id_x 1
		.amdhsa_system_sgpr_workgroup_id_y 0
		.amdhsa_system_sgpr_workgroup_id_z 0
		.amdhsa_system_sgpr_workgroup_info 0
		.amdhsa_system_vgpr_workitem_id 0
		.amdhsa_next_free_vgpr 1
		.amdhsa_next_free_sgpr 0
		.amdhsa_accum_offset 4
		.amdhsa_reserve_vcc 0
		.amdhsa_float_round_mode_32 0
		.amdhsa_float_round_mode_16_64 0
		.amdhsa_float_denorm_mode_32 3
		.amdhsa_float_denorm_mode_16_64 3
		.amdhsa_dx10_clamp 1
		.amdhsa_ieee_mode 1
		.amdhsa_fp16_overflow 0
		.amdhsa_tg_split 0
		.amdhsa_exception_fp_ieee_invalid_op 0
		.amdhsa_exception_fp_denorm_src 0
		.amdhsa_exception_fp_ieee_div_zero 0
		.amdhsa_exception_fp_ieee_overflow 0
		.amdhsa_exception_fp_ieee_underflow 0
		.amdhsa_exception_fp_ieee_inexact 0
		.amdhsa_exception_int_div_zero 0
	.end_amdhsa_kernel
	.section	.text._ZN7rocprim17ROCPRIM_400000_NS6detail17trampoline_kernelINS0_14default_configENS1_37merge_sort_block_sort_config_selectorIlNS0_10empty_typeEEEZNS1_21merge_sort_block_sortIS3_PlS8_PS5_S9_ZN2at6native12_GLOBAL__N_124unique_dim_cuda_templateIN3c104HalfEEESt5tupleIJNSA_6TensorESH_SH_EERKSH_lbbbEUlllE_EE10hipError_tT0_T1_T2_T3_mRjT4_P12ihipStream_tbNS1_7vsmem_tEEUlT_E_NS1_11comp_targetILNS1_3genE9ELNS1_11target_archE1100ELNS1_3gpuE3ELNS1_3repE0EEENS1_30default_config_static_selectorELNS0_4arch9wavefront6targetE1EEEvSO_,"axG",@progbits,_ZN7rocprim17ROCPRIM_400000_NS6detail17trampoline_kernelINS0_14default_configENS1_37merge_sort_block_sort_config_selectorIlNS0_10empty_typeEEEZNS1_21merge_sort_block_sortIS3_PlS8_PS5_S9_ZN2at6native12_GLOBAL__N_124unique_dim_cuda_templateIN3c104HalfEEESt5tupleIJNSA_6TensorESH_SH_EERKSH_lbbbEUlllE_EE10hipError_tT0_T1_T2_T3_mRjT4_P12ihipStream_tbNS1_7vsmem_tEEUlT_E_NS1_11comp_targetILNS1_3genE9ELNS1_11target_archE1100ELNS1_3gpuE3ELNS1_3repE0EEENS1_30default_config_static_selectorELNS0_4arch9wavefront6targetE1EEEvSO_,comdat
.Lfunc_end1254:
	.size	_ZN7rocprim17ROCPRIM_400000_NS6detail17trampoline_kernelINS0_14default_configENS1_37merge_sort_block_sort_config_selectorIlNS0_10empty_typeEEEZNS1_21merge_sort_block_sortIS3_PlS8_PS5_S9_ZN2at6native12_GLOBAL__N_124unique_dim_cuda_templateIN3c104HalfEEESt5tupleIJNSA_6TensorESH_SH_EERKSH_lbbbEUlllE_EE10hipError_tT0_T1_T2_T3_mRjT4_P12ihipStream_tbNS1_7vsmem_tEEUlT_E_NS1_11comp_targetILNS1_3genE9ELNS1_11target_archE1100ELNS1_3gpuE3ELNS1_3repE0EEENS1_30default_config_static_selectorELNS0_4arch9wavefront6targetE1EEEvSO_, .Lfunc_end1254-_ZN7rocprim17ROCPRIM_400000_NS6detail17trampoline_kernelINS0_14default_configENS1_37merge_sort_block_sort_config_selectorIlNS0_10empty_typeEEEZNS1_21merge_sort_block_sortIS3_PlS8_PS5_S9_ZN2at6native12_GLOBAL__N_124unique_dim_cuda_templateIN3c104HalfEEESt5tupleIJNSA_6TensorESH_SH_EERKSH_lbbbEUlllE_EE10hipError_tT0_T1_T2_T3_mRjT4_P12ihipStream_tbNS1_7vsmem_tEEUlT_E_NS1_11comp_targetILNS1_3genE9ELNS1_11target_archE1100ELNS1_3gpuE3ELNS1_3repE0EEENS1_30default_config_static_selectorELNS0_4arch9wavefront6targetE1EEEvSO_
                                        ; -- End function
	.section	.AMDGPU.csdata,"",@progbits
; Kernel info:
; codeLenInByte = 0
; NumSgprs: 6
; NumVgprs: 0
; NumAgprs: 0
; TotalNumVgprs: 0
; ScratchSize: 0
; MemoryBound: 0
; FloatMode: 240
; IeeeMode: 1
; LDSByteSize: 0 bytes/workgroup (compile time only)
; SGPRBlocks: 0
; VGPRBlocks: 0
; NumSGPRsForWavesPerEU: 6
; NumVGPRsForWavesPerEU: 1
; AccumOffset: 4
; Occupancy: 8
; WaveLimiterHint : 0
; COMPUTE_PGM_RSRC2:SCRATCH_EN: 0
; COMPUTE_PGM_RSRC2:USER_SGPR: 2
; COMPUTE_PGM_RSRC2:TRAP_HANDLER: 0
; COMPUTE_PGM_RSRC2:TGID_X_EN: 1
; COMPUTE_PGM_RSRC2:TGID_Y_EN: 0
; COMPUTE_PGM_RSRC2:TGID_Z_EN: 0
; COMPUTE_PGM_RSRC2:TIDIG_COMP_CNT: 0
; COMPUTE_PGM_RSRC3_GFX90A:ACCUM_OFFSET: 0
; COMPUTE_PGM_RSRC3_GFX90A:TG_SPLIT: 0
	.section	.text._ZN7rocprim17ROCPRIM_400000_NS6detail17trampoline_kernelINS0_14default_configENS1_37merge_sort_block_sort_config_selectorIlNS0_10empty_typeEEEZNS1_21merge_sort_block_sortIS3_PlS8_PS5_S9_ZN2at6native12_GLOBAL__N_124unique_dim_cuda_templateIN3c104HalfEEESt5tupleIJNSA_6TensorESH_SH_EERKSH_lbbbEUlllE_EE10hipError_tT0_T1_T2_T3_mRjT4_P12ihipStream_tbNS1_7vsmem_tEEUlT_E_NS1_11comp_targetILNS1_3genE8ELNS1_11target_archE1030ELNS1_3gpuE2ELNS1_3repE0EEENS1_30default_config_static_selectorELNS0_4arch9wavefront6targetE1EEEvSO_,"axG",@progbits,_ZN7rocprim17ROCPRIM_400000_NS6detail17trampoline_kernelINS0_14default_configENS1_37merge_sort_block_sort_config_selectorIlNS0_10empty_typeEEEZNS1_21merge_sort_block_sortIS3_PlS8_PS5_S9_ZN2at6native12_GLOBAL__N_124unique_dim_cuda_templateIN3c104HalfEEESt5tupleIJNSA_6TensorESH_SH_EERKSH_lbbbEUlllE_EE10hipError_tT0_T1_T2_T3_mRjT4_P12ihipStream_tbNS1_7vsmem_tEEUlT_E_NS1_11comp_targetILNS1_3genE8ELNS1_11target_archE1030ELNS1_3gpuE2ELNS1_3repE0EEENS1_30default_config_static_selectorELNS0_4arch9wavefront6targetE1EEEvSO_,comdat
	.globl	_ZN7rocprim17ROCPRIM_400000_NS6detail17trampoline_kernelINS0_14default_configENS1_37merge_sort_block_sort_config_selectorIlNS0_10empty_typeEEEZNS1_21merge_sort_block_sortIS3_PlS8_PS5_S9_ZN2at6native12_GLOBAL__N_124unique_dim_cuda_templateIN3c104HalfEEESt5tupleIJNSA_6TensorESH_SH_EERKSH_lbbbEUlllE_EE10hipError_tT0_T1_T2_T3_mRjT4_P12ihipStream_tbNS1_7vsmem_tEEUlT_E_NS1_11comp_targetILNS1_3genE8ELNS1_11target_archE1030ELNS1_3gpuE2ELNS1_3repE0EEENS1_30default_config_static_selectorELNS0_4arch9wavefront6targetE1EEEvSO_ ; -- Begin function _ZN7rocprim17ROCPRIM_400000_NS6detail17trampoline_kernelINS0_14default_configENS1_37merge_sort_block_sort_config_selectorIlNS0_10empty_typeEEEZNS1_21merge_sort_block_sortIS3_PlS8_PS5_S9_ZN2at6native12_GLOBAL__N_124unique_dim_cuda_templateIN3c104HalfEEESt5tupleIJNSA_6TensorESH_SH_EERKSH_lbbbEUlllE_EE10hipError_tT0_T1_T2_T3_mRjT4_P12ihipStream_tbNS1_7vsmem_tEEUlT_E_NS1_11comp_targetILNS1_3genE8ELNS1_11target_archE1030ELNS1_3gpuE2ELNS1_3repE0EEENS1_30default_config_static_selectorELNS0_4arch9wavefront6targetE1EEEvSO_
	.p2align	8
	.type	_ZN7rocprim17ROCPRIM_400000_NS6detail17trampoline_kernelINS0_14default_configENS1_37merge_sort_block_sort_config_selectorIlNS0_10empty_typeEEEZNS1_21merge_sort_block_sortIS3_PlS8_PS5_S9_ZN2at6native12_GLOBAL__N_124unique_dim_cuda_templateIN3c104HalfEEESt5tupleIJNSA_6TensorESH_SH_EERKSH_lbbbEUlllE_EE10hipError_tT0_T1_T2_T3_mRjT4_P12ihipStream_tbNS1_7vsmem_tEEUlT_E_NS1_11comp_targetILNS1_3genE8ELNS1_11target_archE1030ELNS1_3gpuE2ELNS1_3repE0EEENS1_30default_config_static_selectorELNS0_4arch9wavefront6targetE1EEEvSO_,@function
_ZN7rocprim17ROCPRIM_400000_NS6detail17trampoline_kernelINS0_14default_configENS1_37merge_sort_block_sort_config_selectorIlNS0_10empty_typeEEEZNS1_21merge_sort_block_sortIS3_PlS8_PS5_S9_ZN2at6native12_GLOBAL__N_124unique_dim_cuda_templateIN3c104HalfEEESt5tupleIJNSA_6TensorESH_SH_EERKSH_lbbbEUlllE_EE10hipError_tT0_T1_T2_T3_mRjT4_P12ihipStream_tbNS1_7vsmem_tEEUlT_E_NS1_11comp_targetILNS1_3genE8ELNS1_11target_archE1030ELNS1_3gpuE2ELNS1_3repE0EEENS1_30default_config_static_selectorELNS0_4arch9wavefront6targetE1EEEvSO_: ; @_ZN7rocprim17ROCPRIM_400000_NS6detail17trampoline_kernelINS0_14default_configENS1_37merge_sort_block_sort_config_selectorIlNS0_10empty_typeEEEZNS1_21merge_sort_block_sortIS3_PlS8_PS5_S9_ZN2at6native12_GLOBAL__N_124unique_dim_cuda_templateIN3c104HalfEEESt5tupleIJNSA_6TensorESH_SH_EERKSH_lbbbEUlllE_EE10hipError_tT0_T1_T2_T3_mRjT4_P12ihipStream_tbNS1_7vsmem_tEEUlT_E_NS1_11comp_targetILNS1_3genE8ELNS1_11target_archE1030ELNS1_3gpuE2ELNS1_3repE0EEENS1_30default_config_static_selectorELNS0_4arch9wavefront6targetE1EEEvSO_
; %bb.0:
	.section	.rodata,"a",@progbits
	.p2align	6, 0x0
	.amdhsa_kernel _ZN7rocprim17ROCPRIM_400000_NS6detail17trampoline_kernelINS0_14default_configENS1_37merge_sort_block_sort_config_selectorIlNS0_10empty_typeEEEZNS1_21merge_sort_block_sortIS3_PlS8_PS5_S9_ZN2at6native12_GLOBAL__N_124unique_dim_cuda_templateIN3c104HalfEEESt5tupleIJNSA_6TensorESH_SH_EERKSH_lbbbEUlllE_EE10hipError_tT0_T1_T2_T3_mRjT4_P12ihipStream_tbNS1_7vsmem_tEEUlT_E_NS1_11comp_targetILNS1_3genE8ELNS1_11target_archE1030ELNS1_3gpuE2ELNS1_3repE0EEENS1_30default_config_static_selectorELNS0_4arch9wavefront6targetE1EEEvSO_
		.amdhsa_group_segment_fixed_size 0
		.amdhsa_private_segment_fixed_size 0
		.amdhsa_kernarg_size 72
		.amdhsa_user_sgpr_count 2
		.amdhsa_user_sgpr_dispatch_ptr 0
		.amdhsa_user_sgpr_queue_ptr 0
		.amdhsa_user_sgpr_kernarg_segment_ptr 1
		.amdhsa_user_sgpr_dispatch_id 0
		.amdhsa_user_sgpr_kernarg_preload_length 0
		.amdhsa_user_sgpr_kernarg_preload_offset 0
		.amdhsa_user_sgpr_private_segment_size 0
		.amdhsa_uses_dynamic_stack 0
		.amdhsa_enable_private_segment 0
		.amdhsa_system_sgpr_workgroup_id_x 1
		.amdhsa_system_sgpr_workgroup_id_y 0
		.amdhsa_system_sgpr_workgroup_id_z 0
		.amdhsa_system_sgpr_workgroup_info 0
		.amdhsa_system_vgpr_workitem_id 0
		.amdhsa_next_free_vgpr 1
		.amdhsa_next_free_sgpr 0
		.amdhsa_accum_offset 4
		.amdhsa_reserve_vcc 0
		.amdhsa_float_round_mode_32 0
		.amdhsa_float_round_mode_16_64 0
		.amdhsa_float_denorm_mode_32 3
		.amdhsa_float_denorm_mode_16_64 3
		.amdhsa_dx10_clamp 1
		.amdhsa_ieee_mode 1
		.amdhsa_fp16_overflow 0
		.amdhsa_tg_split 0
		.amdhsa_exception_fp_ieee_invalid_op 0
		.amdhsa_exception_fp_denorm_src 0
		.amdhsa_exception_fp_ieee_div_zero 0
		.amdhsa_exception_fp_ieee_overflow 0
		.amdhsa_exception_fp_ieee_underflow 0
		.amdhsa_exception_fp_ieee_inexact 0
		.amdhsa_exception_int_div_zero 0
	.end_amdhsa_kernel
	.section	.text._ZN7rocprim17ROCPRIM_400000_NS6detail17trampoline_kernelINS0_14default_configENS1_37merge_sort_block_sort_config_selectorIlNS0_10empty_typeEEEZNS1_21merge_sort_block_sortIS3_PlS8_PS5_S9_ZN2at6native12_GLOBAL__N_124unique_dim_cuda_templateIN3c104HalfEEESt5tupleIJNSA_6TensorESH_SH_EERKSH_lbbbEUlllE_EE10hipError_tT0_T1_T2_T3_mRjT4_P12ihipStream_tbNS1_7vsmem_tEEUlT_E_NS1_11comp_targetILNS1_3genE8ELNS1_11target_archE1030ELNS1_3gpuE2ELNS1_3repE0EEENS1_30default_config_static_selectorELNS0_4arch9wavefront6targetE1EEEvSO_,"axG",@progbits,_ZN7rocprim17ROCPRIM_400000_NS6detail17trampoline_kernelINS0_14default_configENS1_37merge_sort_block_sort_config_selectorIlNS0_10empty_typeEEEZNS1_21merge_sort_block_sortIS3_PlS8_PS5_S9_ZN2at6native12_GLOBAL__N_124unique_dim_cuda_templateIN3c104HalfEEESt5tupleIJNSA_6TensorESH_SH_EERKSH_lbbbEUlllE_EE10hipError_tT0_T1_T2_T3_mRjT4_P12ihipStream_tbNS1_7vsmem_tEEUlT_E_NS1_11comp_targetILNS1_3genE8ELNS1_11target_archE1030ELNS1_3gpuE2ELNS1_3repE0EEENS1_30default_config_static_selectorELNS0_4arch9wavefront6targetE1EEEvSO_,comdat
.Lfunc_end1255:
	.size	_ZN7rocprim17ROCPRIM_400000_NS6detail17trampoline_kernelINS0_14default_configENS1_37merge_sort_block_sort_config_selectorIlNS0_10empty_typeEEEZNS1_21merge_sort_block_sortIS3_PlS8_PS5_S9_ZN2at6native12_GLOBAL__N_124unique_dim_cuda_templateIN3c104HalfEEESt5tupleIJNSA_6TensorESH_SH_EERKSH_lbbbEUlllE_EE10hipError_tT0_T1_T2_T3_mRjT4_P12ihipStream_tbNS1_7vsmem_tEEUlT_E_NS1_11comp_targetILNS1_3genE8ELNS1_11target_archE1030ELNS1_3gpuE2ELNS1_3repE0EEENS1_30default_config_static_selectorELNS0_4arch9wavefront6targetE1EEEvSO_, .Lfunc_end1255-_ZN7rocprim17ROCPRIM_400000_NS6detail17trampoline_kernelINS0_14default_configENS1_37merge_sort_block_sort_config_selectorIlNS0_10empty_typeEEEZNS1_21merge_sort_block_sortIS3_PlS8_PS5_S9_ZN2at6native12_GLOBAL__N_124unique_dim_cuda_templateIN3c104HalfEEESt5tupleIJNSA_6TensorESH_SH_EERKSH_lbbbEUlllE_EE10hipError_tT0_T1_T2_T3_mRjT4_P12ihipStream_tbNS1_7vsmem_tEEUlT_E_NS1_11comp_targetILNS1_3genE8ELNS1_11target_archE1030ELNS1_3gpuE2ELNS1_3repE0EEENS1_30default_config_static_selectorELNS0_4arch9wavefront6targetE1EEEvSO_
                                        ; -- End function
	.section	.AMDGPU.csdata,"",@progbits
; Kernel info:
; codeLenInByte = 0
; NumSgprs: 6
; NumVgprs: 0
; NumAgprs: 0
; TotalNumVgprs: 0
; ScratchSize: 0
; MemoryBound: 0
; FloatMode: 240
; IeeeMode: 1
; LDSByteSize: 0 bytes/workgroup (compile time only)
; SGPRBlocks: 0
; VGPRBlocks: 0
; NumSGPRsForWavesPerEU: 6
; NumVGPRsForWavesPerEU: 1
; AccumOffset: 4
; Occupancy: 8
; WaveLimiterHint : 0
; COMPUTE_PGM_RSRC2:SCRATCH_EN: 0
; COMPUTE_PGM_RSRC2:USER_SGPR: 2
; COMPUTE_PGM_RSRC2:TRAP_HANDLER: 0
; COMPUTE_PGM_RSRC2:TGID_X_EN: 1
; COMPUTE_PGM_RSRC2:TGID_Y_EN: 0
; COMPUTE_PGM_RSRC2:TGID_Z_EN: 0
; COMPUTE_PGM_RSRC2:TIDIG_COMP_CNT: 0
; COMPUTE_PGM_RSRC3_GFX90A:ACCUM_OFFSET: 0
; COMPUTE_PGM_RSRC3_GFX90A:TG_SPLIT: 0
	.section	.text._ZN7rocprim17ROCPRIM_400000_NS6detail17trampoline_kernelINS0_14default_configENS1_38merge_sort_block_merge_config_selectorIlNS0_10empty_typeEEEZZNS1_27merge_sort_block_merge_implIS3_PlPS5_mZN2at6native12_GLOBAL__N_124unique_dim_cuda_templateIN3c104HalfEEESt5tupleIJNSA_6TensorESH_SH_EERKSH_lbbbEUlllE_EE10hipError_tT0_T1_T2_jT3_P12ihipStream_tbPNSt15iterator_traitsISN_E10value_typeEPNST_ISO_E10value_typeEPSP_NS1_7vsmem_tEENKUlT_SN_SO_SP_E_clIS8_S8_S9_S9_EESM_S12_SN_SO_SP_EUlS12_E_NS1_11comp_targetILNS1_3genE0ELNS1_11target_archE4294967295ELNS1_3gpuE0ELNS1_3repE0EEENS1_48merge_mergepath_partition_config_static_selectorELNS0_4arch9wavefront6targetE1EEEvSO_,"axG",@progbits,_ZN7rocprim17ROCPRIM_400000_NS6detail17trampoline_kernelINS0_14default_configENS1_38merge_sort_block_merge_config_selectorIlNS0_10empty_typeEEEZZNS1_27merge_sort_block_merge_implIS3_PlPS5_mZN2at6native12_GLOBAL__N_124unique_dim_cuda_templateIN3c104HalfEEESt5tupleIJNSA_6TensorESH_SH_EERKSH_lbbbEUlllE_EE10hipError_tT0_T1_T2_jT3_P12ihipStream_tbPNSt15iterator_traitsISN_E10value_typeEPNST_ISO_E10value_typeEPSP_NS1_7vsmem_tEENKUlT_SN_SO_SP_E_clIS8_S8_S9_S9_EESM_S12_SN_SO_SP_EUlS12_E_NS1_11comp_targetILNS1_3genE0ELNS1_11target_archE4294967295ELNS1_3gpuE0ELNS1_3repE0EEENS1_48merge_mergepath_partition_config_static_selectorELNS0_4arch9wavefront6targetE1EEEvSO_,comdat
	.globl	_ZN7rocprim17ROCPRIM_400000_NS6detail17trampoline_kernelINS0_14default_configENS1_38merge_sort_block_merge_config_selectorIlNS0_10empty_typeEEEZZNS1_27merge_sort_block_merge_implIS3_PlPS5_mZN2at6native12_GLOBAL__N_124unique_dim_cuda_templateIN3c104HalfEEESt5tupleIJNSA_6TensorESH_SH_EERKSH_lbbbEUlllE_EE10hipError_tT0_T1_T2_jT3_P12ihipStream_tbPNSt15iterator_traitsISN_E10value_typeEPNST_ISO_E10value_typeEPSP_NS1_7vsmem_tEENKUlT_SN_SO_SP_E_clIS8_S8_S9_S9_EESM_S12_SN_SO_SP_EUlS12_E_NS1_11comp_targetILNS1_3genE0ELNS1_11target_archE4294967295ELNS1_3gpuE0ELNS1_3repE0EEENS1_48merge_mergepath_partition_config_static_selectorELNS0_4arch9wavefront6targetE1EEEvSO_ ; -- Begin function _ZN7rocprim17ROCPRIM_400000_NS6detail17trampoline_kernelINS0_14default_configENS1_38merge_sort_block_merge_config_selectorIlNS0_10empty_typeEEEZZNS1_27merge_sort_block_merge_implIS3_PlPS5_mZN2at6native12_GLOBAL__N_124unique_dim_cuda_templateIN3c104HalfEEESt5tupleIJNSA_6TensorESH_SH_EERKSH_lbbbEUlllE_EE10hipError_tT0_T1_T2_jT3_P12ihipStream_tbPNSt15iterator_traitsISN_E10value_typeEPNST_ISO_E10value_typeEPSP_NS1_7vsmem_tEENKUlT_SN_SO_SP_E_clIS8_S8_S9_S9_EESM_S12_SN_SO_SP_EUlS12_E_NS1_11comp_targetILNS1_3genE0ELNS1_11target_archE4294967295ELNS1_3gpuE0ELNS1_3repE0EEENS1_48merge_mergepath_partition_config_static_selectorELNS0_4arch9wavefront6targetE1EEEvSO_
	.p2align	8
	.type	_ZN7rocprim17ROCPRIM_400000_NS6detail17trampoline_kernelINS0_14default_configENS1_38merge_sort_block_merge_config_selectorIlNS0_10empty_typeEEEZZNS1_27merge_sort_block_merge_implIS3_PlPS5_mZN2at6native12_GLOBAL__N_124unique_dim_cuda_templateIN3c104HalfEEESt5tupleIJNSA_6TensorESH_SH_EERKSH_lbbbEUlllE_EE10hipError_tT0_T1_T2_jT3_P12ihipStream_tbPNSt15iterator_traitsISN_E10value_typeEPNST_ISO_E10value_typeEPSP_NS1_7vsmem_tEENKUlT_SN_SO_SP_E_clIS8_S8_S9_S9_EESM_S12_SN_SO_SP_EUlS12_E_NS1_11comp_targetILNS1_3genE0ELNS1_11target_archE4294967295ELNS1_3gpuE0ELNS1_3repE0EEENS1_48merge_mergepath_partition_config_static_selectorELNS0_4arch9wavefront6targetE1EEEvSO_,@function
_ZN7rocprim17ROCPRIM_400000_NS6detail17trampoline_kernelINS0_14default_configENS1_38merge_sort_block_merge_config_selectorIlNS0_10empty_typeEEEZZNS1_27merge_sort_block_merge_implIS3_PlPS5_mZN2at6native12_GLOBAL__N_124unique_dim_cuda_templateIN3c104HalfEEESt5tupleIJNSA_6TensorESH_SH_EERKSH_lbbbEUlllE_EE10hipError_tT0_T1_T2_jT3_P12ihipStream_tbPNSt15iterator_traitsISN_E10value_typeEPNST_ISO_E10value_typeEPSP_NS1_7vsmem_tEENKUlT_SN_SO_SP_E_clIS8_S8_S9_S9_EESM_S12_SN_SO_SP_EUlS12_E_NS1_11comp_targetILNS1_3genE0ELNS1_11target_archE4294967295ELNS1_3gpuE0ELNS1_3repE0EEENS1_48merge_mergepath_partition_config_static_selectorELNS0_4arch9wavefront6targetE1EEEvSO_: ; @_ZN7rocprim17ROCPRIM_400000_NS6detail17trampoline_kernelINS0_14default_configENS1_38merge_sort_block_merge_config_selectorIlNS0_10empty_typeEEEZZNS1_27merge_sort_block_merge_implIS3_PlPS5_mZN2at6native12_GLOBAL__N_124unique_dim_cuda_templateIN3c104HalfEEESt5tupleIJNSA_6TensorESH_SH_EERKSH_lbbbEUlllE_EE10hipError_tT0_T1_T2_jT3_P12ihipStream_tbPNSt15iterator_traitsISN_E10value_typeEPNST_ISO_E10value_typeEPSP_NS1_7vsmem_tEENKUlT_SN_SO_SP_E_clIS8_S8_S9_S9_EESM_S12_SN_SO_SP_EUlS12_E_NS1_11comp_targetILNS1_3genE0ELNS1_11target_archE4294967295ELNS1_3gpuE0ELNS1_3repE0EEENS1_48merge_mergepath_partition_config_static_selectorELNS0_4arch9wavefront6targetE1EEEvSO_
; %bb.0:
	.section	.rodata,"a",@progbits
	.p2align	6, 0x0
	.amdhsa_kernel _ZN7rocprim17ROCPRIM_400000_NS6detail17trampoline_kernelINS0_14default_configENS1_38merge_sort_block_merge_config_selectorIlNS0_10empty_typeEEEZZNS1_27merge_sort_block_merge_implIS3_PlPS5_mZN2at6native12_GLOBAL__N_124unique_dim_cuda_templateIN3c104HalfEEESt5tupleIJNSA_6TensorESH_SH_EERKSH_lbbbEUlllE_EE10hipError_tT0_T1_T2_jT3_P12ihipStream_tbPNSt15iterator_traitsISN_E10value_typeEPNST_ISO_E10value_typeEPSP_NS1_7vsmem_tEENKUlT_SN_SO_SP_E_clIS8_S8_S9_S9_EESM_S12_SN_SO_SP_EUlS12_E_NS1_11comp_targetILNS1_3genE0ELNS1_11target_archE4294967295ELNS1_3gpuE0ELNS1_3repE0EEENS1_48merge_mergepath_partition_config_static_selectorELNS0_4arch9wavefront6targetE1EEEvSO_
		.amdhsa_group_segment_fixed_size 0
		.amdhsa_private_segment_fixed_size 0
		.amdhsa_kernarg_size 56
		.amdhsa_user_sgpr_count 2
		.amdhsa_user_sgpr_dispatch_ptr 0
		.amdhsa_user_sgpr_queue_ptr 0
		.amdhsa_user_sgpr_kernarg_segment_ptr 1
		.amdhsa_user_sgpr_dispatch_id 0
		.amdhsa_user_sgpr_kernarg_preload_length 0
		.amdhsa_user_sgpr_kernarg_preload_offset 0
		.amdhsa_user_sgpr_private_segment_size 0
		.amdhsa_uses_dynamic_stack 0
		.amdhsa_enable_private_segment 0
		.amdhsa_system_sgpr_workgroup_id_x 1
		.amdhsa_system_sgpr_workgroup_id_y 0
		.amdhsa_system_sgpr_workgroup_id_z 0
		.amdhsa_system_sgpr_workgroup_info 0
		.amdhsa_system_vgpr_workitem_id 0
		.amdhsa_next_free_vgpr 1
		.amdhsa_next_free_sgpr 0
		.amdhsa_accum_offset 4
		.amdhsa_reserve_vcc 0
		.amdhsa_float_round_mode_32 0
		.amdhsa_float_round_mode_16_64 0
		.amdhsa_float_denorm_mode_32 3
		.amdhsa_float_denorm_mode_16_64 3
		.amdhsa_dx10_clamp 1
		.amdhsa_ieee_mode 1
		.amdhsa_fp16_overflow 0
		.amdhsa_tg_split 0
		.amdhsa_exception_fp_ieee_invalid_op 0
		.amdhsa_exception_fp_denorm_src 0
		.amdhsa_exception_fp_ieee_div_zero 0
		.amdhsa_exception_fp_ieee_overflow 0
		.amdhsa_exception_fp_ieee_underflow 0
		.amdhsa_exception_fp_ieee_inexact 0
		.amdhsa_exception_int_div_zero 0
	.end_amdhsa_kernel
	.section	.text._ZN7rocprim17ROCPRIM_400000_NS6detail17trampoline_kernelINS0_14default_configENS1_38merge_sort_block_merge_config_selectorIlNS0_10empty_typeEEEZZNS1_27merge_sort_block_merge_implIS3_PlPS5_mZN2at6native12_GLOBAL__N_124unique_dim_cuda_templateIN3c104HalfEEESt5tupleIJNSA_6TensorESH_SH_EERKSH_lbbbEUlllE_EE10hipError_tT0_T1_T2_jT3_P12ihipStream_tbPNSt15iterator_traitsISN_E10value_typeEPNST_ISO_E10value_typeEPSP_NS1_7vsmem_tEENKUlT_SN_SO_SP_E_clIS8_S8_S9_S9_EESM_S12_SN_SO_SP_EUlS12_E_NS1_11comp_targetILNS1_3genE0ELNS1_11target_archE4294967295ELNS1_3gpuE0ELNS1_3repE0EEENS1_48merge_mergepath_partition_config_static_selectorELNS0_4arch9wavefront6targetE1EEEvSO_,"axG",@progbits,_ZN7rocprim17ROCPRIM_400000_NS6detail17trampoline_kernelINS0_14default_configENS1_38merge_sort_block_merge_config_selectorIlNS0_10empty_typeEEEZZNS1_27merge_sort_block_merge_implIS3_PlPS5_mZN2at6native12_GLOBAL__N_124unique_dim_cuda_templateIN3c104HalfEEESt5tupleIJNSA_6TensorESH_SH_EERKSH_lbbbEUlllE_EE10hipError_tT0_T1_T2_jT3_P12ihipStream_tbPNSt15iterator_traitsISN_E10value_typeEPNST_ISO_E10value_typeEPSP_NS1_7vsmem_tEENKUlT_SN_SO_SP_E_clIS8_S8_S9_S9_EESM_S12_SN_SO_SP_EUlS12_E_NS1_11comp_targetILNS1_3genE0ELNS1_11target_archE4294967295ELNS1_3gpuE0ELNS1_3repE0EEENS1_48merge_mergepath_partition_config_static_selectorELNS0_4arch9wavefront6targetE1EEEvSO_,comdat
.Lfunc_end1256:
	.size	_ZN7rocprim17ROCPRIM_400000_NS6detail17trampoline_kernelINS0_14default_configENS1_38merge_sort_block_merge_config_selectorIlNS0_10empty_typeEEEZZNS1_27merge_sort_block_merge_implIS3_PlPS5_mZN2at6native12_GLOBAL__N_124unique_dim_cuda_templateIN3c104HalfEEESt5tupleIJNSA_6TensorESH_SH_EERKSH_lbbbEUlllE_EE10hipError_tT0_T1_T2_jT3_P12ihipStream_tbPNSt15iterator_traitsISN_E10value_typeEPNST_ISO_E10value_typeEPSP_NS1_7vsmem_tEENKUlT_SN_SO_SP_E_clIS8_S8_S9_S9_EESM_S12_SN_SO_SP_EUlS12_E_NS1_11comp_targetILNS1_3genE0ELNS1_11target_archE4294967295ELNS1_3gpuE0ELNS1_3repE0EEENS1_48merge_mergepath_partition_config_static_selectorELNS0_4arch9wavefront6targetE1EEEvSO_, .Lfunc_end1256-_ZN7rocprim17ROCPRIM_400000_NS6detail17trampoline_kernelINS0_14default_configENS1_38merge_sort_block_merge_config_selectorIlNS0_10empty_typeEEEZZNS1_27merge_sort_block_merge_implIS3_PlPS5_mZN2at6native12_GLOBAL__N_124unique_dim_cuda_templateIN3c104HalfEEESt5tupleIJNSA_6TensorESH_SH_EERKSH_lbbbEUlllE_EE10hipError_tT0_T1_T2_jT3_P12ihipStream_tbPNSt15iterator_traitsISN_E10value_typeEPNST_ISO_E10value_typeEPSP_NS1_7vsmem_tEENKUlT_SN_SO_SP_E_clIS8_S8_S9_S9_EESM_S12_SN_SO_SP_EUlS12_E_NS1_11comp_targetILNS1_3genE0ELNS1_11target_archE4294967295ELNS1_3gpuE0ELNS1_3repE0EEENS1_48merge_mergepath_partition_config_static_selectorELNS0_4arch9wavefront6targetE1EEEvSO_
                                        ; -- End function
	.section	.AMDGPU.csdata,"",@progbits
; Kernel info:
; codeLenInByte = 0
; NumSgprs: 6
; NumVgprs: 0
; NumAgprs: 0
; TotalNumVgprs: 0
; ScratchSize: 0
; MemoryBound: 0
; FloatMode: 240
; IeeeMode: 1
; LDSByteSize: 0 bytes/workgroup (compile time only)
; SGPRBlocks: 0
; VGPRBlocks: 0
; NumSGPRsForWavesPerEU: 6
; NumVGPRsForWavesPerEU: 1
; AccumOffset: 4
; Occupancy: 8
; WaveLimiterHint : 0
; COMPUTE_PGM_RSRC2:SCRATCH_EN: 0
; COMPUTE_PGM_RSRC2:USER_SGPR: 2
; COMPUTE_PGM_RSRC2:TRAP_HANDLER: 0
; COMPUTE_PGM_RSRC2:TGID_X_EN: 1
; COMPUTE_PGM_RSRC2:TGID_Y_EN: 0
; COMPUTE_PGM_RSRC2:TGID_Z_EN: 0
; COMPUTE_PGM_RSRC2:TIDIG_COMP_CNT: 0
; COMPUTE_PGM_RSRC3_GFX90A:ACCUM_OFFSET: 0
; COMPUTE_PGM_RSRC3_GFX90A:TG_SPLIT: 0
	.section	.text._ZN7rocprim17ROCPRIM_400000_NS6detail17trampoline_kernelINS0_14default_configENS1_38merge_sort_block_merge_config_selectorIlNS0_10empty_typeEEEZZNS1_27merge_sort_block_merge_implIS3_PlPS5_mZN2at6native12_GLOBAL__N_124unique_dim_cuda_templateIN3c104HalfEEESt5tupleIJNSA_6TensorESH_SH_EERKSH_lbbbEUlllE_EE10hipError_tT0_T1_T2_jT3_P12ihipStream_tbPNSt15iterator_traitsISN_E10value_typeEPNST_ISO_E10value_typeEPSP_NS1_7vsmem_tEENKUlT_SN_SO_SP_E_clIS8_S8_S9_S9_EESM_S12_SN_SO_SP_EUlS12_E_NS1_11comp_targetILNS1_3genE10ELNS1_11target_archE1201ELNS1_3gpuE5ELNS1_3repE0EEENS1_48merge_mergepath_partition_config_static_selectorELNS0_4arch9wavefront6targetE1EEEvSO_,"axG",@progbits,_ZN7rocprim17ROCPRIM_400000_NS6detail17trampoline_kernelINS0_14default_configENS1_38merge_sort_block_merge_config_selectorIlNS0_10empty_typeEEEZZNS1_27merge_sort_block_merge_implIS3_PlPS5_mZN2at6native12_GLOBAL__N_124unique_dim_cuda_templateIN3c104HalfEEESt5tupleIJNSA_6TensorESH_SH_EERKSH_lbbbEUlllE_EE10hipError_tT0_T1_T2_jT3_P12ihipStream_tbPNSt15iterator_traitsISN_E10value_typeEPNST_ISO_E10value_typeEPSP_NS1_7vsmem_tEENKUlT_SN_SO_SP_E_clIS8_S8_S9_S9_EESM_S12_SN_SO_SP_EUlS12_E_NS1_11comp_targetILNS1_3genE10ELNS1_11target_archE1201ELNS1_3gpuE5ELNS1_3repE0EEENS1_48merge_mergepath_partition_config_static_selectorELNS0_4arch9wavefront6targetE1EEEvSO_,comdat
	.globl	_ZN7rocprim17ROCPRIM_400000_NS6detail17trampoline_kernelINS0_14default_configENS1_38merge_sort_block_merge_config_selectorIlNS0_10empty_typeEEEZZNS1_27merge_sort_block_merge_implIS3_PlPS5_mZN2at6native12_GLOBAL__N_124unique_dim_cuda_templateIN3c104HalfEEESt5tupleIJNSA_6TensorESH_SH_EERKSH_lbbbEUlllE_EE10hipError_tT0_T1_T2_jT3_P12ihipStream_tbPNSt15iterator_traitsISN_E10value_typeEPNST_ISO_E10value_typeEPSP_NS1_7vsmem_tEENKUlT_SN_SO_SP_E_clIS8_S8_S9_S9_EESM_S12_SN_SO_SP_EUlS12_E_NS1_11comp_targetILNS1_3genE10ELNS1_11target_archE1201ELNS1_3gpuE5ELNS1_3repE0EEENS1_48merge_mergepath_partition_config_static_selectorELNS0_4arch9wavefront6targetE1EEEvSO_ ; -- Begin function _ZN7rocprim17ROCPRIM_400000_NS6detail17trampoline_kernelINS0_14default_configENS1_38merge_sort_block_merge_config_selectorIlNS0_10empty_typeEEEZZNS1_27merge_sort_block_merge_implIS3_PlPS5_mZN2at6native12_GLOBAL__N_124unique_dim_cuda_templateIN3c104HalfEEESt5tupleIJNSA_6TensorESH_SH_EERKSH_lbbbEUlllE_EE10hipError_tT0_T1_T2_jT3_P12ihipStream_tbPNSt15iterator_traitsISN_E10value_typeEPNST_ISO_E10value_typeEPSP_NS1_7vsmem_tEENKUlT_SN_SO_SP_E_clIS8_S8_S9_S9_EESM_S12_SN_SO_SP_EUlS12_E_NS1_11comp_targetILNS1_3genE10ELNS1_11target_archE1201ELNS1_3gpuE5ELNS1_3repE0EEENS1_48merge_mergepath_partition_config_static_selectorELNS0_4arch9wavefront6targetE1EEEvSO_
	.p2align	8
	.type	_ZN7rocprim17ROCPRIM_400000_NS6detail17trampoline_kernelINS0_14default_configENS1_38merge_sort_block_merge_config_selectorIlNS0_10empty_typeEEEZZNS1_27merge_sort_block_merge_implIS3_PlPS5_mZN2at6native12_GLOBAL__N_124unique_dim_cuda_templateIN3c104HalfEEESt5tupleIJNSA_6TensorESH_SH_EERKSH_lbbbEUlllE_EE10hipError_tT0_T1_T2_jT3_P12ihipStream_tbPNSt15iterator_traitsISN_E10value_typeEPNST_ISO_E10value_typeEPSP_NS1_7vsmem_tEENKUlT_SN_SO_SP_E_clIS8_S8_S9_S9_EESM_S12_SN_SO_SP_EUlS12_E_NS1_11comp_targetILNS1_3genE10ELNS1_11target_archE1201ELNS1_3gpuE5ELNS1_3repE0EEENS1_48merge_mergepath_partition_config_static_selectorELNS0_4arch9wavefront6targetE1EEEvSO_,@function
_ZN7rocprim17ROCPRIM_400000_NS6detail17trampoline_kernelINS0_14default_configENS1_38merge_sort_block_merge_config_selectorIlNS0_10empty_typeEEEZZNS1_27merge_sort_block_merge_implIS3_PlPS5_mZN2at6native12_GLOBAL__N_124unique_dim_cuda_templateIN3c104HalfEEESt5tupleIJNSA_6TensorESH_SH_EERKSH_lbbbEUlllE_EE10hipError_tT0_T1_T2_jT3_P12ihipStream_tbPNSt15iterator_traitsISN_E10value_typeEPNST_ISO_E10value_typeEPSP_NS1_7vsmem_tEENKUlT_SN_SO_SP_E_clIS8_S8_S9_S9_EESM_S12_SN_SO_SP_EUlS12_E_NS1_11comp_targetILNS1_3genE10ELNS1_11target_archE1201ELNS1_3gpuE5ELNS1_3repE0EEENS1_48merge_mergepath_partition_config_static_selectorELNS0_4arch9wavefront6targetE1EEEvSO_: ; @_ZN7rocprim17ROCPRIM_400000_NS6detail17trampoline_kernelINS0_14default_configENS1_38merge_sort_block_merge_config_selectorIlNS0_10empty_typeEEEZZNS1_27merge_sort_block_merge_implIS3_PlPS5_mZN2at6native12_GLOBAL__N_124unique_dim_cuda_templateIN3c104HalfEEESt5tupleIJNSA_6TensorESH_SH_EERKSH_lbbbEUlllE_EE10hipError_tT0_T1_T2_jT3_P12ihipStream_tbPNSt15iterator_traitsISN_E10value_typeEPNST_ISO_E10value_typeEPSP_NS1_7vsmem_tEENKUlT_SN_SO_SP_E_clIS8_S8_S9_S9_EESM_S12_SN_SO_SP_EUlS12_E_NS1_11comp_targetILNS1_3genE10ELNS1_11target_archE1201ELNS1_3gpuE5ELNS1_3repE0EEENS1_48merge_mergepath_partition_config_static_selectorELNS0_4arch9wavefront6targetE1EEEvSO_
; %bb.0:
	.section	.rodata,"a",@progbits
	.p2align	6, 0x0
	.amdhsa_kernel _ZN7rocprim17ROCPRIM_400000_NS6detail17trampoline_kernelINS0_14default_configENS1_38merge_sort_block_merge_config_selectorIlNS0_10empty_typeEEEZZNS1_27merge_sort_block_merge_implIS3_PlPS5_mZN2at6native12_GLOBAL__N_124unique_dim_cuda_templateIN3c104HalfEEESt5tupleIJNSA_6TensorESH_SH_EERKSH_lbbbEUlllE_EE10hipError_tT0_T1_T2_jT3_P12ihipStream_tbPNSt15iterator_traitsISN_E10value_typeEPNST_ISO_E10value_typeEPSP_NS1_7vsmem_tEENKUlT_SN_SO_SP_E_clIS8_S8_S9_S9_EESM_S12_SN_SO_SP_EUlS12_E_NS1_11comp_targetILNS1_3genE10ELNS1_11target_archE1201ELNS1_3gpuE5ELNS1_3repE0EEENS1_48merge_mergepath_partition_config_static_selectorELNS0_4arch9wavefront6targetE1EEEvSO_
		.amdhsa_group_segment_fixed_size 0
		.amdhsa_private_segment_fixed_size 0
		.amdhsa_kernarg_size 56
		.amdhsa_user_sgpr_count 2
		.amdhsa_user_sgpr_dispatch_ptr 0
		.amdhsa_user_sgpr_queue_ptr 0
		.amdhsa_user_sgpr_kernarg_segment_ptr 1
		.amdhsa_user_sgpr_dispatch_id 0
		.amdhsa_user_sgpr_kernarg_preload_length 0
		.amdhsa_user_sgpr_kernarg_preload_offset 0
		.amdhsa_user_sgpr_private_segment_size 0
		.amdhsa_uses_dynamic_stack 0
		.amdhsa_enable_private_segment 0
		.amdhsa_system_sgpr_workgroup_id_x 1
		.amdhsa_system_sgpr_workgroup_id_y 0
		.amdhsa_system_sgpr_workgroup_id_z 0
		.amdhsa_system_sgpr_workgroup_info 0
		.amdhsa_system_vgpr_workitem_id 0
		.amdhsa_next_free_vgpr 1
		.amdhsa_next_free_sgpr 0
		.amdhsa_accum_offset 4
		.amdhsa_reserve_vcc 0
		.amdhsa_float_round_mode_32 0
		.amdhsa_float_round_mode_16_64 0
		.amdhsa_float_denorm_mode_32 3
		.amdhsa_float_denorm_mode_16_64 3
		.amdhsa_dx10_clamp 1
		.amdhsa_ieee_mode 1
		.amdhsa_fp16_overflow 0
		.amdhsa_tg_split 0
		.amdhsa_exception_fp_ieee_invalid_op 0
		.amdhsa_exception_fp_denorm_src 0
		.amdhsa_exception_fp_ieee_div_zero 0
		.amdhsa_exception_fp_ieee_overflow 0
		.amdhsa_exception_fp_ieee_underflow 0
		.amdhsa_exception_fp_ieee_inexact 0
		.amdhsa_exception_int_div_zero 0
	.end_amdhsa_kernel
	.section	.text._ZN7rocprim17ROCPRIM_400000_NS6detail17trampoline_kernelINS0_14default_configENS1_38merge_sort_block_merge_config_selectorIlNS0_10empty_typeEEEZZNS1_27merge_sort_block_merge_implIS3_PlPS5_mZN2at6native12_GLOBAL__N_124unique_dim_cuda_templateIN3c104HalfEEESt5tupleIJNSA_6TensorESH_SH_EERKSH_lbbbEUlllE_EE10hipError_tT0_T1_T2_jT3_P12ihipStream_tbPNSt15iterator_traitsISN_E10value_typeEPNST_ISO_E10value_typeEPSP_NS1_7vsmem_tEENKUlT_SN_SO_SP_E_clIS8_S8_S9_S9_EESM_S12_SN_SO_SP_EUlS12_E_NS1_11comp_targetILNS1_3genE10ELNS1_11target_archE1201ELNS1_3gpuE5ELNS1_3repE0EEENS1_48merge_mergepath_partition_config_static_selectorELNS0_4arch9wavefront6targetE1EEEvSO_,"axG",@progbits,_ZN7rocprim17ROCPRIM_400000_NS6detail17trampoline_kernelINS0_14default_configENS1_38merge_sort_block_merge_config_selectorIlNS0_10empty_typeEEEZZNS1_27merge_sort_block_merge_implIS3_PlPS5_mZN2at6native12_GLOBAL__N_124unique_dim_cuda_templateIN3c104HalfEEESt5tupleIJNSA_6TensorESH_SH_EERKSH_lbbbEUlllE_EE10hipError_tT0_T1_T2_jT3_P12ihipStream_tbPNSt15iterator_traitsISN_E10value_typeEPNST_ISO_E10value_typeEPSP_NS1_7vsmem_tEENKUlT_SN_SO_SP_E_clIS8_S8_S9_S9_EESM_S12_SN_SO_SP_EUlS12_E_NS1_11comp_targetILNS1_3genE10ELNS1_11target_archE1201ELNS1_3gpuE5ELNS1_3repE0EEENS1_48merge_mergepath_partition_config_static_selectorELNS0_4arch9wavefront6targetE1EEEvSO_,comdat
.Lfunc_end1257:
	.size	_ZN7rocprim17ROCPRIM_400000_NS6detail17trampoline_kernelINS0_14default_configENS1_38merge_sort_block_merge_config_selectorIlNS0_10empty_typeEEEZZNS1_27merge_sort_block_merge_implIS3_PlPS5_mZN2at6native12_GLOBAL__N_124unique_dim_cuda_templateIN3c104HalfEEESt5tupleIJNSA_6TensorESH_SH_EERKSH_lbbbEUlllE_EE10hipError_tT0_T1_T2_jT3_P12ihipStream_tbPNSt15iterator_traitsISN_E10value_typeEPNST_ISO_E10value_typeEPSP_NS1_7vsmem_tEENKUlT_SN_SO_SP_E_clIS8_S8_S9_S9_EESM_S12_SN_SO_SP_EUlS12_E_NS1_11comp_targetILNS1_3genE10ELNS1_11target_archE1201ELNS1_3gpuE5ELNS1_3repE0EEENS1_48merge_mergepath_partition_config_static_selectorELNS0_4arch9wavefront6targetE1EEEvSO_, .Lfunc_end1257-_ZN7rocprim17ROCPRIM_400000_NS6detail17trampoline_kernelINS0_14default_configENS1_38merge_sort_block_merge_config_selectorIlNS0_10empty_typeEEEZZNS1_27merge_sort_block_merge_implIS3_PlPS5_mZN2at6native12_GLOBAL__N_124unique_dim_cuda_templateIN3c104HalfEEESt5tupleIJNSA_6TensorESH_SH_EERKSH_lbbbEUlllE_EE10hipError_tT0_T1_T2_jT3_P12ihipStream_tbPNSt15iterator_traitsISN_E10value_typeEPNST_ISO_E10value_typeEPSP_NS1_7vsmem_tEENKUlT_SN_SO_SP_E_clIS8_S8_S9_S9_EESM_S12_SN_SO_SP_EUlS12_E_NS1_11comp_targetILNS1_3genE10ELNS1_11target_archE1201ELNS1_3gpuE5ELNS1_3repE0EEENS1_48merge_mergepath_partition_config_static_selectorELNS0_4arch9wavefront6targetE1EEEvSO_
                                        ; -- End function
	.section	.AMDGPU.csdata,"",@progbits
; Kernel info:
; codeLenInByte = 0
; NumSgprs: 6
; NumVgprs: 0
; NumAgprs: 0
; TotalNumVgprs: 0
; ScratchSize: 0
; MemoryBound: 0
; FloatMode: 240
; IeeeMode: 1
; LDSByteSize: 0 bytes/workgroup (compile time only)
; SGPRBlocks: 0
; VGPRBlocks: 0
; NumSGPRsForWavesPerEU: 6
; NumVGPRsForWavesPerEU: 1
; AccumOffset: 4
; Occupancy: 8
; WaveLimiterHint : 0
; COMPUTE_PGM_RSRC2:SCRATCH_EN: 0
; COMPUTE_PGM_RSRC2:USER_SGPR: 2
; COMPUTE_PGM_RSRC2:TRAP_HANDLER: 0
; COMPUTE_PGM_RSRC2:TGID_X_EN: 1
; COMPUTE_PGM_RSRC2:TGID_Y_EN: 0
; COMPUTE_PGM_RSRC2:TGID_Z_EN: 0
; COMPUTE_PGM_RSRC2:TIDIG_COMP_CNT: 0
; COMPUTE_PGM_RSRC3_GFX90A:ACCUM_OFFSET: 0
; COMPUTE_PGM_RSRC3_GFX90A:TG_SPLIT: 0
	.section	.text._ZN7rocprim17ROCPRIM_400000_NS6detail17trampoline_kernelINS0_14default_configENS1_38merge_sort_block_merge_config_selectorIlNS0_10empty_typeEEEZZNS1_27merge_sort_block_merge_implIS3_PlPS5_mZN2at6native12_GLOBAL__N_124unique_dim_cuda_templateIN3c104HalfEEESt5tupleIJNSA_6TensorESH_SH_EERKSH_lbbbEUlllE_EE10hipError_tT0_T1_T2_jT3_P12ihipStream_tbPNSt15iterator_traitsISN_E10value_typeEPNST_ISO_E10value_typeEPSP_NS1_7vsmem_tEENKUlT_SN_SO_SP_E_clIS8_S8_S9_S9_EESM_S12_SN_SO_SP_EUlS12_E_NS1_11comp_targetILNS1_3genE5ELNS1_11target_archE942ELNS1_3gpuE9ELNS1_3repE0EEENS1_48merge_mergepath_partition_config_static_selectorELNS0_4arch9wavefront6targetE1EEEvSO_,"axG",@progbits,_ZN7rocprim17ROCPRIM_400000_NS6detail17trampoline_kernelINS0_14default_configENS1_38merge_sort_block_merge_config_selectorIlNS0_10empty_typeEEEZZNS1_27merge_sort_block_merge_implIS3_PlPS5_mZN2at6native12_GLOBAL__N_124unique_dim_cuda_templateIN3c104HalfEEESt5tupleIJNSA_6TensorESH_SH_EERKSH_lbbbEUlllE_EE10hipError_tT0_T1_T2_jT3_P12ihipStream_tbPNSt15iterator_traitsISN_E10value_typeEPNST_ISO_E10value_typeEPSP_NS1_7vsmem_tEENKUlT_SN_SO_SP_E_clIS8_S8_S9_S9_EESM_S12_SN_SO_SP_EUlS12_E_NS1_11comp_targetILNS1_3genE5ELNS1_11target_archE942ELNS1_3gpuE9ELNS1_3repE0EEENS1_48merge_mergepath_partition_config_static_selectorELNS0_4arch9wavefront6targetE1EEEvSO_,comdat
	.globl	_ZN7rocprim17ROCPRIM_400000_NS6detail17trampoline_kernelINS0_14default_configENS1_38merge_sort_block_merge_config_selectorIlNS0_10empty_typeEEEZZNS1_27merge_sort_block_merge_implIS3_PlPS5_mZN2at6native12_GLOBAL__N_124unique_dim_cuda_templateIN3c104HalfEEESt5tupleIJNSA_6TensorESH_SH_EERKSH_lbbbEUlllE_EE10hipError_tT0_T1_T2_jT3_P12ihipStream_tbPNSt15iterator_traitsISN_E10value_typeEPNST_ISO_E10value_typeEPSP_NS1_7vsmem_tEENKUlT_SN_SO_SP_E_clIS8_S8_S9_S9_EESM_S12_SN_SO_SP_EUlS12_E_NS1_11comp_targetILNS1_3genE5ELNS1_11target_archE942ELNS1_3gpuE9ELNS1_3repE0EEENS1_48merge_mergepath_partition_config_static_selectorELNS0_4arch9wavefront6targetE1EEEvSO_ ; -- Begin function _ZN7rocprim17ROCPRIM_400000_NS6detail17trampoline_kernelINS0_14default_configENS1_38merge_sort_block_merge_config_selectorIlNS0_10empty_typeEEEZZNS1_27merge_sort_block_merge_implIS3_PlPS5_mZN2at6native12_GLOBAL__N_124unique_dim_cuda_templateIN3c104HalfEEESt5tupleIJNSA_6TensorESH_SH_EERKSH_lbbbEUlllE_EE10hipError_tT0_T1_T2_jT3_P12ihipStream_tbPNSt15iterator_traitsISN_E10value_typeEPNST_ISO_E10value_typeEPSP_NS1_7vsmem_tEENKUlT_SN_SO_SP_E_clIS8_S8_S9_S9_EESM_S12_SN_SO_SP_EUlS12_E_NS1_11comp_targetILNS1_3genE5ELNS1_11target_archE942ELNS1_3gpuE9ELNS1_3repE0EEENS1_48merge_mergepath_partition_config_static_selectorELNS0_4arch9wavefront6targetE1EEEvSO_
	.p2align	8
	.type	_ZN7rocprim17ROCPRIM_400000_NS6detail17trampoline_kernelINS0_14default_configENS1_38merge_sort_block_merge_config_selectorIlNS0_10empty_typeEEEZZNS1_27merge_sort_block_merge_implIS3_PlPS5_mZN2at6native12_GLOBAL__N_124unique_dim_cuda_templateIN3c104HalfEEESt5tupleIJNSA_6TensorESH_SH_EERKSH_lbbbEUlllE_EE10hipError_tT0_T1_T2_jT3_P12ihipStream_tbPNSt15iterator_traitsISN_E10value_typeEPNST_ISO_E10value_typeEPSP_NS1_7vsmem_tEENKUlT_SN_SO_SP_E_clIS8_S8_S9_S9_EESM_S12_SN_SO_SP_EUlS12_E_NS1_11comp_targetILNS1_3genE5ELNS1_11target_archE942ELNS1_3gpuE9ELNS1_3repE0EEENS1_48merge_mergepath_partition_config_static_selectorELNS0_4arch9wavefront6targetE1EEEvSO_,@function
_ZN7rocprim17ROCPRIM_400000_NS6detail17trampoline_kernelINS0_14default_configENS1_38merge_sort_block_merge_config_selectorIlNS0_10empty_typeEEEZZNS1_27merge_sort_block_merge_implIS3_PlPS5_mZN2at6native12_GLOBAL__N_124unique_dim_cuda_templateIN3c104HalfEEESt5tupleIJNSA_6TensorESH_SH_EERKSH_lbbbEUlllE_EE10hipError_tT0_T1_T2_jT3_P12ihipStream_tbPNSt15iterator_traitsISN_E10value_typeEPNST_ISO_E10value_typeEPSP_NS1_7vsmem_tEENKUlT_SN_SO_SP_E_clIS8_S8_S9_S9_EESM_S12_SN_SO_SP_EUlS12_E_NS1_11comp_targetILNS1_3genE5ELNS1_11target_archE942ELNS1_3gpuE9ELNS1_3repE0EEENS1_48merge_mergepath_partition_config_static_selectorELNS0_4arch9wavefront6targetE1EEEvSO_: ; @_ZN7rocprim17ROCPRIM_400000_NS6detail17trampoline_kernelINS0_14default_configENS1_38merge_sort_block_merge_config_selectorIlNS0_10empty_typeEEEZZNS1_27merge_sort_block_merge_implIS3_PlPS5_mZN2at6native12_GLOBAL__N_124unique_dim_cuda_templateIN3c104HalfEEESt5tupleIJNSA_6TensorESH_SH_EERKSH_lbbbEUlllE_EE10hipError_tT0_T1_T2_jT3_P12ihipStream_tbPNSt15iterator_traitsISN_E10value_typeEPNST_ISO_E10value_typeEPSP_NS1_7vsmem_tEENKUlT_SN_SO_SP_E_clIS8_S8_S9_S9_EESM_S12_SN_SO_SP_EUlS12_E_NS1_11comp_targetILNS1_3genE5ELNS1_11target_archE942ELNS1_3gpuE9ELNS1_3repE0EEENS1_48merge_mergepath_partition_config_static_selectorELNS0_4arch9wavefront6targetE1EEEvSO_
; %bb.0:
	s_load_dword s3, s[0:1], 0x0
	v_lshl_or_b32 v0, s2, 7, v0
	s_waitcnt lgkmcnt(0)
	v_cmp_gt_u32_e32 vcc, s3, v0
	s_and_saveexec_b64 s[2:3], vcc
	s_cbranch_execz .LBB1258_14
; %bb.1:
	s_load_dwordx4 s[12:15], s[0:1], 0x8
	s_load_dwordx8 s[4:11], s[0:1], 0x18
	v_mov_b32_e32 v5, 0
	v_mov_b32_e32 v7, v5
	s_waitcnt lgkmcnt(0)
	v_mov_b32_e32 v1, s12
	v_alignbit_b32 v1, s13, v1, 9
	v_and_b32_e32 v1, -2, v1
	v_add_u32_e32 v2, -1, v1
	v_sub_u32_e32 v1, 0, v1
	v_and_b32_e32 v4, v0, v1
	v_lshlrev_b64 v[8:9], 10, v[4:5]
	v_mov_b32_e32 v1, s15
	v_cmp_lt_u64_e32 vcc, s[14:15], v[8:9]
	v_mov_b32_e32 v4, s14
	v_and_b32_e32 v6, v2, v0
	v_cndmask_b32_e32 v3, v9, v1, vcc
	v_cndmask_b32_e32 v2, v8, v4, vcc
	v_lshl_add_u64 v[8:9], v[8:9], 0, s[12:13]
	v_cmp_lt_u64_e32 vcc, s[14:15], v[8:9]
	s_nop 1
	v_cndmask_b32_e32 v11, v9, v1, vcc
	v_cndmask_b32_e32 v10, v8, v4, vcc
	v_lshl_add_u64 v[8:9], v[10:11], 0, s[12:13]
	v_cmp_lt_u64_e32 vcc, s[14:15], v[8:9]
	s_nop 1
	v_cndmask_b32_e32 v14, v8, v4, vcc
	v_cndmask_b32_e32 v1, v9, v1, vcc
	v_sub_co_u32_e32 v8, vcc, v14, v2
	v_lshlrev_b64 v[4:5], 10, v[6:7]
	s_nop 0
	v_subb_co_u32_e32 v9, vcc, v1, v3, vcc
	v_cmp_lt_u64_e32 vcc, v[8:9], v[4:5]
	s_nop 1
	v_cndmask_b32_e32 v13, v5, v9, vcc
	v_cndmask_b32_e32 v12, v4, v8, vcc
	v_sub_co_u32_e32 v6, vcc, v10, v2
	s_nop 1
	v_subb_co_u32_e32 v7, vcc, v11, v3, vcc
	v_sub_co_u32_e32 v4, vcc, v10, v14
	s_nop 1
	v_subb_co_u32_e32 v5, vcc, v11, v1, vcc
	v_lshl_add_u64 v[4:5], v[12:13], 0, v[4:5]
	v_cmp_gt_u64_e32 vcc, v[4:5], v[12:13]
	s_nop 1
	v_cndmask_b32_e64 v5, v5, 0, vcc
	v_cndmask_b32_e64 v4, v4, 0, vcc
	v_cmp_lt_u64_e32 vcc, v[12:13], v[6:7]
	s_nop 1
	v_cndmask_b32_e32 v7, v7, v13, vcc
	v_cndmask_b32_e32 v6, v6, v12, vcc
	v_cmp_lt_u64_e32 vcc, v[4:5], v[6:7]
	s_and_saveexec_b64 s[2:3], vcc
	s_cbranch_execz .LBB1258_13
; %bb.2:
	v_cmp_gt_i64_e64 s[0:1], s[6:7], 0
	v_lshl_add_u64 v[10:11], v[10:11], 3, s[4:5]
	v_lshl_add_u64 v[8:9], v[2:3], 3, s[4:5]
	v_cndmask_b32_e64 v1, 0, 1, s[0:1]
	s_mov_b64 s[4:5], 0
	v_lshl_add_u64 v[10:11], v[12:13], 3, v[10:11]
	s_lshl_b64 s[12:13], s[6:7], 1
	v_cmp_ne_u32_e64 s[0:1], 1, v1
	s_branch .LBB1258_5
.LBB1258_3:                             ;   in Loop: Header=BB1258_5 Depth=1
	s_or_b64 exec, exec, s[16:17]
.LBB1258_4:                             ;   in Loop: Header=BB1258_5 Depth=1
	v_lshl_add_u64 v[14:15], v[12:13], 0, 1
	v_cndmask_b32_e64 v7, v7, v13, s[14:15]
	v_cndmask_b32_e64 v6, v6, v12, s[14:15]
	v_cndmask_b32_e64 v5, v15, v5, s[14:15]
	v_cndmask_b32_e64 v4, v14, v4, s[14:15]
	v_cmp_ge_u64_e32 vcc, v[4:5], v[6:7]
	s_or_b64 s[4:5], vcc, s[4:5]
	s_andn2_b64 exec, exec, s[4:5]
	s_cbranch_execz .LBB1258_12
.LBB1258_5:                             ; =>This Loop Header: Depth=1
                                        ;     Child Loop BB1258_8 Depth 2
	v_lshl_add_u64 v[12:13], v[6:7], 0, v[4:5]
	v_lshrrev_b64 v[12:13], 1, v[12:13]
	s_and_b64 vcc, exec, s[0:1]
	s_mov_b64 s[14:15], 0
	s_cbranch_vccnz .LBB1258_4
; %bb.6:                                ;   in Loop: Header=BB1258_5 Depth=1
	v_not_b32_e32 v15, v13
	v_not_b32_e32 v14, v12
	v_lshl_add_u64 v[14:15], v[14:15], 3, v[10:11]
	v_lshl_add_u64 v[16:17], v[12:13], 3, v[8:9]
	global_load_dwordx2 v[14:15], v[14:15], off
	v_mov_b64_e32 v[18:19], s[8:9]
	global_load_dwordx2 v[16:17], v[16:17], off
	s_mov_b64 s[16:17], 0
                                        ; implicit-def: $sgpr14_sgpr15
                                        ; implicit-def: $sgpr18_sgpr19
                                        ; implicit-def: $sgpr22_sgpr23
	s_waitcnt vmcnt(1)
	v_mul_lo_u32 v1, s12, v15
	v_mul_lo_u32 v20, s13, v14
	v_mad_u64_u32 v[14:15], s[20:21], s12, v14, v[18:19]
	s_waitcnt vmcnt(0)
	v_mul_lo_u32 v21, s12, v17
	v_mul_lo_u32 v22, s13, v16
	v_mad_u64_u32 v[16:17], s[20:21], s12, v16, v[18:19]
	v_add3_u32 v15, v20, v15, v1
	v_add3_u32 v17, v22, v17, v21
	s_mov_b64 s[20:21], s[6:7]
	s_branch .LBB1258_8
.LBB1258_7:                             ;   in Loop: Header=BB1258_8 Depth=2
	s_or_b64 exec, exec, s[28:29]
	s_and_b64 s[24:25], exec, s[24:25]
	s_or_b64 s[16:17], s[24:25], s[16:17]
	s_andn2_b64 s[14:15], s[14:15], exec
	s_and_b64 s[24:25], s[18:19], exec
	s_or_b64 s[14:15], s[14:15], s[24:25]
	s_andn2_b64 exec, exec, s[16:17]
	s_cbranch_execz .LBB1258_3
.LBB1258_8:                             ;   Parent Loop BB1258_5 Depth=1
                                        ; =>  This Inner Loop Header: Depth=2
	global_load_ushort v1, v[14:15], off
	global_load_ushort v18, v[16:17], off
	s_mov_b64 s[24:25], -1
	s_mov_b64 s[30:31], 0
	s_mov_b64 s[26:27], -1
	s_waitcnt vmcnt(0)
	v_cmp_nlt_f16_e32 vcc, v1, v18
	s_and_saveexec_b64 s[28:29], vcc
; %bb.9:                                ;   in Loop: Header=BB1258_8 Depth=2
	v_cmp_ngt_f16_e32 vcc, v1, v18
	s_and_b64 s[22:23], vcc, s[22:23]
	s_orn2_b64 s[26:27], s[22:23], exec
	s_and_b64 s[30:31], vcc, exec
; %bb.10:                               ;   in Loop: Header=BB1258_8 Depth=2
	s_or_b64 exec, exec, s[28:29]
	s_andn2_b64 s[18:19], s[18:19], exec
	s_and_b64 s[22:23], s[26:27], exec
	s_or_b64 s[18:19], s[18:19], s[22:23]
                                        ; implicit-def: $sgpr22_sgpr23
	s_and_saveexec_b64 s[28:29], s[30:31]
	s_cbranch_execz .LBB1258_7
; %bb.11:                               ;   in Loop: Header=BB1258_8 Depth=2
	s_add_u32 s20, s20, -1
	s_addc_u32 s21, s21, -1
	s_cmp_eq_u64 s[20:21], 0
	s_cselect_b64 s[24:25], -1, 0
	v_lshl_add_u64 v[14:15], v[14:15], 0, 2
	v_lshl_add_u64 v[16:17], v[16:17], 0, 2
	s_andn2_b64 s[18:19], s[18:19], exec
	s_and_b64 s[22:23], s[26:27], exec
	s_orn2_b64 s[24:25], s[24:25], exec
	s_branch .LBB1258_7
.LBB1258_12:
	s_or_b64 exec, exec, s[4:5]
.LBB1258_13:
	s_or_b64 exec, exec, s[2:3]
	v_mov_b32_e32 v6, s10
	v_mov_b32_e32 v7, s11
	;; [unrolled: 1-line block ×3, first 2 shown]
	v_lshl_add_u64 v[2:3], v[4:5], 0, v[2:3]
	v_lshl_add_u64 v[0:1], v[0:1], 3, v[6:7]
	global_store_dwordx2 v[0:1], v[2:3], off
.LBB1258_14:
	s_endpgm
	.section	.rodata,"a",@progbits
	.p2align	6, 0x0
	.amdhsa_kernel _ZN7rocprim17ROCPRIM_400000_NS6detail17trampoline_kernelINS0_14default_configENS1_38merge_sort_block_merge_config_selectorIlNS0_10empty_typeEEEZZNS1_27merge_sort_block_merge_implIS3_PlPS5_mZN2at6native12_GLOBAL__N_124unique_dim_cuda_templateIN3c104HalfEEESt5tupleIJNSA_6TensorESH_SH_EERKSH_lbbbEUlllE_EE10hipError_tT0_T1_T2_jT3_P12ihipStream_tbPNSt15iterator_traitsISN_E10value_typeEPNST_ISO_E10value_typeEPSP_NS1_7vsmem_tEENKUlT_SN_SO_SP_E_clIS8_S8_S9_S9_EESM_S12_SN_SO_SP_EUlS12_E_NS1_11comp_targetILNS1_3genE5ELNS1_11target_archE942ELNS1_3gpuE9ELNS1_3repE0EEENS1_48merge_mergepath_partition_config_static_selectorELNS0_4arch9wavefront6targetE1EEEvSO_
		.amdhsa_group_segment_fixed_size 0
		.amdhsa_private_segment_fixed_size 0
		.amdhsa_kernarg_size 56
		.amdhsa_user_sgpr_count 2
		.amdhsa_user_sgpr_dispatch_ptr 0
		.amdhsa_user_sgpr_queue_ptr 0
		.amdhsa_user_sgpr_kernarg_segment_ptr 1
		.amdhsa_user_sgpr_dispatch_id 0
		.amdhsa_user_sgpr_kernarg_preload_length 0
		.amdhsa_user_sgpr_kernarg_preload_offset 0
		.amdhsa_user_sgpr_private_segment_size 0
		.amdhsa_uses_dynamic_stack 0
		.amdhsa_enable_private_segment 0
		.amdhsa_system_sgpr_workgroup_id_x 1
		.amdhsa_system_sgpr_workgroup_id_y 0
		.amdhsa_system_sgpr_workgroup_id_z 0
		.amdhsa_system_sgpr_workgroup_info 0
		.amdhsa_system_vgpr_workitem_id 0
		.amdhsa_next_free_vgpr 23
		.amdhsa_next_free_sgpr 32
		.amdhsa_accum_offset 24
		.amdhsa_reserve_vcc 1
		.amdhsa_float_round_mode_32 0
		.amdhsa_float_round_mode_16_64 0
		.amdhsa_float_denorm_mode_32 3
		.amdhsa_float_denorm_mode_16_64 3
		.amdhsa_dx10_clamp 1
		.amdhsa_ieee_mode 1
		.amdhsa_fp16_overflow 0
		.amdhsa_tg_split 0
		.amdhsa_exception_fp_ieee_invalid_op 0
		.amdhsa_exception_fp_denorm_src 0
		.amdhsa_exception_fp_ieee_div_zero 0
		.amdhsa_exception_fp_ieee_overflow 0
		.amdhsa_exception_fp_ieee_underflow 0
		.amdhsa_exception_fp_ieee_inexact 0
		.amdhsa_exception_int_div_zero 0
	.end_amdhsa_kernel
	.section	.text._ZN7rocprim17ROCPRIM_400000_NS6detail17trampoline_kernelINS0_14default_configENS1_38merge_sort_block_merge_config_selectorIlNS0_10empty_typeEEEZZNS1_27merge_sort_block_merge_implIS3_PlPS5_mZN2at6native12_GLOBAL__N_124unique_dim_cuda_templateIN3c104HalfEEESt5tupleIJNSA_6TensorESH_SH_EERKSH_lbbbEUlllE_EE10hipError_tT0_T1_T2_jT3_P12ihipStream_tbPNSt15iterator_traitsISN_E10value_typeEPNST_ISO_E10value_typeEPSP_NS1_7vsmem_tEENKUlT_SN_SO_SP_E_clIS8_S8_S9_S9_EESM_S12_SN_SO_SP_EUlS12_E_NS1_11comp_targetILNS1_3genE5ELNS1_11target_archE942ELNS1_3gpuE9ELNS1_3repE0EEENS1_48merge_mergepath_partition_config_static_selectorELNS0_4arch9wavefront6targetE1EEEvSO_,"axG",@progbits,_ZN7rocprim17ROCPRIM_400000_NS6detail17trampoline_kernelINS0_14default_configENS1_38merge_sort_block_merge_config_selectorIlNS0_10empty_typeEEEZZNS1_27merge_sort_block_merge_implIS3_PlPS5_mZN2at6native12_GLOBAL__N_124unique_dim_cuda_templateIN3c104HalfEEESt5tupleIJNSA_6TensorESH_SH_EERKSH_lbbbEUlllE_EE10hipError_tT0_T1_T2_jT3_P12ihipStream_tbPNSt15iterator_traitsISN_E10value_typeEPNST_ISO_E10value_typeEPSP_NS1_7vsmem_tEENKUlT_SN_SO_SP_E_clIS8_S8_S9_S9_EESM_S12_SN_SO_SP_EUlS12_E_NS1_11comp_targetILNS1_3genE5ELNS1_11target_archE942ELNS1_3gpuE9ELNS1_3repE0EEENS1_48merge_mergepath_partition_config_static_selectorELNS0_4arch9wavefront6targetE1EEEvSO_,comdat
.Lfunc_end1258:
	.size	_ZN7rocprim17ROCPRIM_400000_NS6detail17trampoline_kernelINS0_14default_configENS1_38merge_sort_block_merge_config_selectorIlNS0_10empty_typeEEEZZNS1_27merge_sort_block_merge_implIS3_PlPS5_mZN2at6native12_GLOBAL__N_124unique_dim_cuda_templateIN3c104HalfEEESt5tupleIJNSA_6TensorESH_SH_EERKSH_lbbbEUlllE_EE10hipError_tT0_T1_T2_jT3_P12ihipStream_tbPNSt15iterator_traitsISN_E10value_typeEPNST_ISO_E10value_typeEPSP_NS1_7vsmem_tEENKUlT_SN_SO_SP_E_clIS8_S8_S9_S9_EESM_S12_SN_SO_SP_EUlS12_E_NS1_11comp_targetILNS1_3genE5ELNS1_11target_archE942ELNS1_3gpuE9ELNS1_3repE0EEENS1_48merge_mergepath_partition_config_static_selectorELNS0_4arch9wavefront6targetE1EEEvSO_, .Lfunc_end1258-_ZN7rocprim17ROCPRIM_400000_NS6detail17trampoline_kernelINS0_14default_configENS1_38merge_sort_block_merge_config_selectorIlNS0_10empty_typeEEEZZNS1_27merge_sort_block_merge_implIS3_PlPS5_mZN2at6native12_GLOBAL__N_124unique_dim_cuda_templateIN3c104HalfEEESt5tupleIJNSA_6TensorESH_SH_EERKSH_lbbbEUlllE_EE10hipError_tT0_T1_T2_jT3_P12ihipStream_tbPNSt15iterator_traitsISN_E10value_typeEPNST_ISO_E10value_typeEPSP_NS1_7vsmem_tEENKUlT_SN_SO_SP_E_clIS8_S8_S9_S9_EESM_S12_SN_SO_SP_EUlS12_E_NS1_11comp_targetILNS1_3genE5ELNS1_11target_archE942ELNS1_3gpuE9ELNS1_3repE0EEENS1_48merge_mergepath_partition_config_static_selectorELNS0_4arch9wavefront6targetE1EEEvSO_
                                        ; -- End function
	.section	.AMDGPU.csdata,"",@progbits
; Kernel info:
; codeLenInByte = 772
; NumSgprs: 38
; NumVgprs: 23
; NumAgprs: 0
; TotalNumVgprs: 23
; ScratchSize: 0
; MemoryBound: 0
; FloatMode: 240
; IeeeMode: 1
; LDSByteSize: 0 bytes/workgroup (compile time only)
; SGPRBlocks: 4
; VGPRBlocks: 2
; NumSGPRsForWavesPerEU: 38
; NumVGPRsForWavesPerEU: 23
; AccumOffset: 24
; Occupancy: 8
; WaveLimiterHint : 0
; COMPUTE_PGM_RSRC2:SCRATCH_EN: 0
; COMPUTE_PGM_RSRC2:USER_SGPR: 2
; COMPUTE_PGM_RSRC2:TRAP_HANDLER: 0
; COMPUTE_PGM_RSRC2:TGID_X_EN: 1
; COMPUTE_PGM_RSRC2:TGID_Y_EN: 0
; COMPUTE_PGM_RSRC2:TGID_Z_EN: 0
; COMPUTE_PGM_RSRC2:TIDIG_COMP_CNT: 0
; COMPUTE_PGM_RSRC3_GFX90A:ACCUM_OFFSET: 5
; COMPUTE_PGM_RSRC3_GFX90A:TG_SPLIT: 0
	.section	.text._ZN7rocprim17ROCPRIM_400000_NS6detail17trampoline_kernelINS0_14default_configENS1_38merge_sort_block_merge_config_selectorIlNS0_10empty_typeEEEZZNS1_27merge_sort_block_merge_implIS3_PlPS5_mZN2at6native12_GLOBAL__N_124unique_dim_cuda_templateIN3c104HalfEEESt5tupleIJNSA_6TensorESH_SH_EERKSH_lbbbEUlllE_EE10hipError_tT0_T1_T2_jT3_P12ihipStream_tbPNSt15iterator_traitsISN_E10value_typeEPNST_ISO_E10value_typeEPSP_NS1_7vsmem_tEENKUlT_SN_SO_SP_E_clIS8_S8_S9_S9_EESM_S12_SN_SO_SP_EUlS12_E_NS1_11comp_targetILNS1_3genE4ELNS1_11target_archE910ELNS1_3gpuE8ELNS1_3repE0EEENS1_48merge_mergepath_partition_config_static_selectorELNS0_4arch9wavefront6targetE1EEEvSO_,"axG",@progbits,_ZN7rocprim17ROCPRIM_400000_NS6detail17trampoline_kernelINS0_14default_configENS1_38merge_sort_block_merge_config_selectorIlNS0_10empty_typeEEEZZNS1_27merge_sort_block_merge_implIS3_PlPS5_mZN2at6native12_GLOBAL__N_124unique_dim_cuda_templateIN3c104HalfEEESt5tupleIJNSA_6TensorESH_SH_EERKSH_lbbbEUlllE_EE10hipError_tT0_T1_T2_jT3_P12ihipStream_tbPNSt15iterator_traitsISN_E10value_typeEPNST_ISO_E10value_typeEPSP_NS1_7vsmem_tEENKUlT_SN_SO_SP_E_clIS8_S8_S9_S9_EESM_S12_SN_SO_SP_EUlS12_E_NS1_11comp_targetILNS1_3genE4ELNS1_11target_archE910ELNS1_3gpuE8ELNS1_3repE0EEENS1_48merge_mergepath_partition_config_static_selectorELNS0_4arch9wavefront6targetE1EEEvSO_,comdat
	.globl	_ZN7rocprim17ROCPRIM_400000_NS6detail17trampoline_kernelINS0_14default_configENS1_38merge_sort_block_merge_config_selectorIlNS0_10empty_typeEEEZZNS1_27merge_sort_block_merge_implIS3_PlPS5_mZN2at6native12_GLOBAL__N_124unique_dim_cuda_templateIN3c104HalfEEESt5tupleIJNSA_6TensorESH_SH_EERKSH_lbbbEUlllE_EE10hipError_tT0_T1_T2_jT3_P12ihipStream_tbPNSt15iterator_traitsISN_E10value_typeEPNST_ISO_E10value_typeEPSP_NS1_7vsmem_tEENKUlT_SN_SO_SP_E_clIS8_S8_S9_S9_EESM_S12_SN_SO_SP_EUlS12_E_NS1_11comp_targetILNS1_3genE4ELNS1_11target_archE910ELNS1_3gpuE8ELNS1_3repE0EEENS1_48merge_mergepath_partition_config_static_selectorELNS0_4arch9wavefront6targetE1EEEvSO_ ; -- Begin function _ZN7rocprim17ROCPRIM_400000_NS6detail17trampoline_kernelINS0_14default_configENS1_38merge_sort_block_merge_config_selectorIlNS0_10empty_typeEEEZZNS1_27merge_sort_block_merge_implIS3_PlPS5_mZN2at6native12_GLOBAL__N_124unique_dim_cuda_templateIN3c104HalfEEESt5tupleIJNSA_6TensorESH_SH_EERKSH_lbbbEUlllE_EE10hipError_tT0_T1_T2_jT3_P12ihipStream_tbPNSt15iterator_traitsISN_E10value_typeEPNST_ISO_E10value_typeEPSP_NS1_7vsmem_tEENKUlT_SN_SO_SP_E_clIS8_S8_S9_S9_EESM_S12_SN_SO_SP_EUlS12_E_NS1_11comp_targetILNS1_3genE4ELNS1_11target_archE910ELNS1_3gpuE8ELNS1_3repE0EEENS1_48merge_mergepath_partition_config_static_selectorELNS0_4arch9wavefront6targetE1EEEvSO_
	.p2align	8
	.type	_ZN7rocprim17ROCPRIM_400000_NS6detail17trampoline_kernelINS0_14default_configENS1_38merge_sort_block_merge_config_selectorIlNS0_10empty_typeEEEZZNS1_27merge_sort_block_merge_implIS3_PlPS5_mZN2at6native12_GLOBAL__N_124unique_dim_cuda_templateIN3c104HalfEEESt5tupleIJNSA_6TensorESH_SH_EERKSH_lbbbEUlllE_EE10hipError_tT0_T1_T2_jT3_P12ihipStream_tbPNSt15iterator_traitsISN_E10value_typeEPNST_ISO_E10value_typeEPSP_NS1_7vsmem_tEENKUlT_SN_SO_SP_E_clIS8_S8_S9_S9_EESM_S12_SN_SO_SP_EUlS12_E_NS1_11comp_targetILNS1_3genE4ELNS1_11target_archE910ELNS1_3gpuE8ELNS1_3repE0EEENS1_48merge_mergepath_partition_config_static_selectorELNS0_4arch9wavefront6targetE1EEEvSO_,@function
_ZN7rocprim17ROCPRIM_400000_NS6detail17trampoline_kernelINS0_14default_configENS1_38merge_sort_block_merge_config_selectorIlNS0_10empty_typeEEEZZNS1_27merge_sort_block_merge_implIS3_PlPS5_mZN2at6native12_GLOBAL__N_124unique_dim_cuda_templateIN3c104HalfEEESt5tupleIJNSA_6TensorESH_SH_EERKSH_lbbbEUlllE_EE10hipError_tT0_T1_T2_jT3_P12ihipStream_tbPNSt15iterator_traitsISN_E10value_typeEPNST_ISO_E10value_typeEPSP_NS1_7vsmem_tEENKUlT_SN_SO_SP_E_clIS8_S8_S9_S9_EESM_S12_SN_SO_SP_EUlS12_E_NS1_11comp_targetILNS1_3genE4ELNS1_11target_archE910ELNS1_3gpuE8ELNS1_3repE0EEENS1_48merge_mergepath_partition_config_static_selectorELNS0_4arch9wavefront6targetE1EEEvSO_: ; @_ZN7rocprim17ROCPRIM_400000_NS6detail17trampoline_kernelINS0_14default_configENS1_38merge_sort_block_merge_config_selectorIlNS0_10empty_typeEEEZZNS1_27merge_sort_block_merge_implIS3_PlPS5_mZN2at6native12_GLOBAL__N_124unique_dim_cuda_templateIN3c104HalfEEESt5tupleIJNSA_6TensorESH_SH_EERKSH_lbbbEUlllE_EE10hipError_tT0_T1_T2_jT3_P12ihipStream_tbPNSt15iterator_traitsISN_E10value_typeEPNST_ISO_E10value_typeEPSP_NS1_7vsmem_tEENKUlT_SN_SO_SP_E_clIS8_S8_S9_S9_EESM_S12_SN_SO_SP_EUlS12_E_NS1_11comp_targetILNS1_3genE4ELNS1_11target_archE910ELNS1_3gpuE8ELNS1_3repE0EEENS1_48merge_mergepath_partition_config_static_selectorELNS0_4arch9wavefront6targetE1EEEvSO_
; %bb.0:
	.section	.rodata,"a",@progbits
	.p2align	6, 0x0
	.amdhsa_kernel _ZN7rocprim17ROCPRIM_400000_NS6detail17trampoline_kernelINS0_14default_configENS1_38merge_sort_block_merge_config_selectorIlNS0_10empty_typeEEEZZNS1_27merge_sort_block_merge_implIS3_PlPS5_mZN2at6native12_GLOBAL__N_124unique_dim_cuda_templateIN3c104HalfEEESt5tupleIJNSA_6TensorESH_SH_EERKSH_lbbbEUlllE_EE10hipError_tT0_T1_T2_jT3_P12ihipStream_tbPNSt15iterator_traitsISN_E10value_typeEPNST_ISO_E10value_typeEPSP_NS1_7vsmem_tEENKUlT_SN_SO_SP_E_clIS8_S8_S9_S9_EESM_S12_SN_SO_SP_EUlS12_E_NS1_11comp_targetILNS1_3genE4ELNS1_11target_archE910ELNS1_3gpuE8ELNS1_3repE0EEENS1_48merge_mergepath_partition_config_static_selectorELNS0_4arch9wavefront6targetE1EEEvSO_
		.amdhsa_group_segment_fixed_size 0
		.amdhsa_private_segment_fixed_size 0
		.amdhsa_kernarg_size 56
		.amdhsa_user_sgpr_count 2
		.amdhsa_user_sgpr_dispatch_ptr 0
		.amdhsa_user_sgpr_queue_ptr 0
		.amdhsa_user_sgpr_kernarg_segment_ptr 1
		.amdhsa_user_sgpr_dispatch_id 0
		.amdhsa_user_sgpr_kernarg_preload_length 0
		.amdhsa_user_sgpr_kernarg_preload_offset 0
		.amdhsa_user_sgpr_private_segment_size 0
		.amdhsa_uses_dynamic_stack 0
		.amdhsa_enable_private_segment 0
		.amdhsa_system_sgpr_workgroup_id_x 1
		.amdhsa_system_sgpr_workgroup_id_y 0
		.amdhsa_system_sgpr_workgroup_id_z 0
		.amdhsa_system_sgpr_workgroup_info 0
		.amdhsa_system_vgpr_workitem_id 0
		.amdhsa_next_free_vgpr 1
		.amdhsa_next_free_sgpr 0
		.amdhsa_accum_offset 4
		.amdhsa_reserve_vcc 0
		.amdhsa_float_round_mode_32 0
		.amdhsa_float_round_mode_16_64 0
		.amdhsa_float_denorm_mode_32 3
		.amdhsa_float_denorm_mode_16_64 3
		.amdhsa_dx10_clamp 1
		.amdhsa_ieee_mode 1
		.amdhsa_fp16_overflow 0
		.amdhsa_tg_split 0
		.amdhsa_exception_fp_ieee_invalid_op 0
		.amdhsa_exception_fp_denorm_src 0
		.amdhsa_exception_fp_ieee_div_zero 0
		.amdhsa_exception_fp_ieee_overflow 0
		.amdhsa_exception_fp_ieee_underflow 0
		.amdhsa_exception_fp_ieee_inexact 0
		.amdhsa_exception_int_div_zero 0
	.end_amdhsa_kernel
	.section	.text._ZN7rocprim17ROCPRIM_400000_NS6detail17trampoline_kernelINS0_14default_configENS1_38merge_sort_block_merge_config_selectorIlNS0_10empty_typeEEEZZNS1_27merge_sort_block_merge_implIS3_PlPS5_mZN2at6native12_GLOBAL__N_124unique_dim_cuda_templateIN3c104HalfEEESt5tupleIJNSA_6TensorESH_SH_EERKSH_lbbbEUlllE_EE10hipError_tT0_T1_T2_jT3_P12ihipStream_tbPNSt15iterator_traitsISN_E10value_typeEPNST_ISO_E10value_typeEPSP_NS1_7vsmem_tEENKUlT_SN_SO_SP_E_clIS8_S8_S9_S9_EESM_S12_SN_SO_SP_EUlS12_E_NS1_11comp_targetILNS1_3genE4ELNS1_11target_archE910ELNS1_3gpuE8ELNS1_3repE0EEENS1_48merge_mergepath_partition_config_static_selectorELNS0_4arch9wavefront6targetE1EEEvSO_,"axG",@progbits,_ZN7rocprim17ROCPRIM_400000_NS6detail17trampoline_kernelINS0_14default_configENS1_38merge_sort_block_merge_config_selectorIlNS0_10empty_typeEEEZZNS1_27merge_sort_block_merge_implIS3_PlPS5_mZN2at6native12_GLOBAL__N_124unique_dim_cuda_templateIN3c104HalfEEESt5tupleIJNSA_6TensorESH_SH_EERKSH_lbbbEUlllE_EE10hipError_tT0_T1_T2_jT3_P12ihipStream_tbPNSt15iterator_traitsISN_E10value_typeEPNST_ISO_E10value_typeEPSP_NS1_7vsmem_tEENKUlT_SN_SO_SP_E_clIS8_S8_S9_S9_EESM_S12_SN_SO_SP_EUlS12_E_NS1_11comp_targetILNS1_3genE4ELNS1_11target_archE910ELNS1_3gpuE8ELNS1_3repE0EEENS1_48merge_mergepath_partition_config_static_selectorELNS0_4arch9wavefront6targetE1EEEvSO_,comdat
.Lfunc_end1259:
	.size	_ZN7rocprim17ROCPRIM_400000_NS6detail17trampoline_kernelINS0_14default_configENS1_38merge_sort_block_merge_config_selectorIlNS0_10empty_typeEEEZZNS1_27merge_sort_block_merge_implIS3_PlPS5_mZN2at6native12_GLOBAL__N_124unique_dim_cuda_templateIN3c104HalfEEESt5tupleIJNSA_6TensorESH_SH_EERKSH_lbbbEUlllE_EE10hipError_tT0_T1_T2_jT3_P12ihipStream_tbPNSt15iterator_traitsISN_E10value_typeEPNST_ISO_E10value_typeEPSP_NS1_7vsmem_tEENKUlT_SN_SO_SP_E_clIS8_S8_S9_S9_EESM_S12_SN_SO_SP_EUlS12_E_NS1_11comp_targetILNS1_3genE4ELNS1_11target_archE910ELNS1_3gpuE8ELNS1_3repE0EEENS1_48merge_mergepath_partition_config_static_selectorELNS0_4arch9wavefront6targetE1EEEvSO_, .Lfunc_end1259-_ZN7rocprim17ROCPRIM_400000_NS6detail17trampoline_kernelINS0_14default_configENS1_38merge_sort_block_merge_config_selectorIlNS0_10empty_typeEEEZZNS1_27merge_sort_block_merge_implIS3_PlPS5_mZN2at6native12_GLOBAL__N_124unique_dim_cuda_templateIN3c104HalfEEESt5tupleIJNSA_6TensorESH_SH_EERKSH_lbbbEUlllE_EE10hipError_tT0_T1_T2_jT3_P12ihipStream_tbPNSt15iterator_traitsISN_E10value_typeEPNST_ISO_E10value_typeEPSP_NS1_7vsmem_tEENKUlT_SN_SO_SP_E_clIS8_S8_S9_S9_EESM_S12_SN_SO_SP_EUlS12_E_NS1_11comp_targetILNS1_3genE4ELNS1_11target_archE910ELNS1_3gpuE8ELNS1_3repE0EEENS1_48merge_mergepath_partition_config_static_selectorELNS0_4arch9wavefront6targetE1EEEvSO_
                                        ; -- End function
	.section	.AMDGPU.csdata,"",@progbits
; Kernel info:
; codeLenInByte = 0
; NumSgprs: 6
; NumVgprs: 0
; NumAgprs: 0
; TotalNumVgprs: 0
; ScratchSize: 0
; MemoryBound: 0
; FloatMode: 240
; IeeeMode: 1
; LDSByteSize: 0 bytes/workgroup (compile time only)
; SGPRBlocks: 0
; VGPRBlocks: 0
; NumSGPRsForWavesPerEU: 6
; NumVGPRsForWavesPerEU: 1
; AccumOffset: 4
; Occupancy: 8
; WaveLimiterHint : 0
; COMPUTE_PGM_RSRC2:SCRATCH_EN: 0
; COMPUTE_PGM_RSRC2:USER_SGPR: 2
; COMPUTE_PGM_RSRC2:TRAP_HANDLER: 0
; COMPUTE_PGM_RSRC2:TGID_X_EN: 1
; COMPUTE_PGM_RSRC2:TGID_Y_EN: 0
; COMPUTE_PGM_RSRC2:TGID_Z_EN: 0
; COMPUTE_PGM_RSRC2:TIDIG_COMP_CNT: 0
; COMPUTE_PGM_RSRC3_GFX90A:ACCUM_OFFSET: 0
; COMPUTE_PGM_RSRC3_GFX90A:TG_SPLIT: 0
	.section	.text._ZN7rocprim17ROCPRIM_400000_NS6detail17trampoline_kernelINS0_14default_configENS1_38merge_sort_block_merge_config_selectorIlNS0_10empty_typeEEEZZNS1_27merge_sort_block_merge_implIS3_PlPS5_mZN2at6native12_GLOBAL__N_124unique_dim_cuda_templateIN3c104HalfEEESt5tupleIJNSA_6TensorESH_SH_EERKSH_lbbbEUlllE_EE10hipError_tT0_T1_T2_jT3_P12ihipStream_tbPNSt15iterator_traitsISN_E10value_typeEPNST_ISO_E10value_typeEPSP_NS1_7vsmem_tEENKUlT_SN_SO_SP_E_clIS8_S8_S9_S9_EESM_S12_SN_SO_SP_EUlS12_E_NS1_11comp_targetILNS1_3genE3ELNS1_11target_archE908ELNS1_3gpuE7ELNS1_3repE0EEENS1_48merge_mergepath_partition_config_static_selectorELNS0_4arch9wavefront6targetE1EEEvSO_,"axG",@progbits,_ZN7rocprim17ROCPRIM_400000_NS6detail17trampoline_kernelINS0_14default_configENS1_38merge_sort_block_merge_config_selectorIlNS0_10empty_typeEEEZZNS1_27merge_sort_block_merge_implIS3_PlPS5_mZN2at6native12_GLOBAL__N_124unique_dim_cuda_templateIN3c104HalfEEESt5tupleIJNSA_6TensorESH_SH_EERKSH_lbbbEUlllE_EE10hipError_tT0_T1_T2_jT3_P12ihipStream_tbPNSt15iterator_traitsISN_E10value_typeEPNST_ISO_E10value_typeEPSP_NS1_7vsmem_tEENKUlT_SN_SO_SP_E_clIS8_S8_S9_S9_EESM_S12_SN_SO_SP_EUlS12_E_NS1_11comp_targetILNS1_3genE3ELNS1_11target_archE908ELNS1_3gpuE7ELNS1_3repE0EEENS1_48merge_mergepath_partition_config_static_selectorELNS0_4arch9wavefront6targetE1EEEvSO_,comdat
	.globl	_ZN7rocprim17ROCPRIM_400000_NS6detail17trampoline_kernelINS0_14default_configENS1_38merge_sort_block_merge_config_selectorIlNS0_10empty_typeEEEZZNS1_27merge_sort_block_merge_implIS3_PlPS5_mZN2at6native12_GLOBAL__N_124unique_dim_cuda_templateIN3c104HalfEEESt5tupleIJNSA_6TensorESH_SH_EERKSH_lbbbEUlllE_EE10hipError_tT0_T1_T2_jT3_P12ihipStream_tbPNSt15iterator_traitsISN_E10value_typeEPNST_ISO_E10value_typeEPSP_NS1_7vsmem_tEENKUlT_SN_SO_SP_E_clIS8_S8_S9_S9_EESM_S12_SN_SO_SP_EUlS12_E_NS1_11comp_targetILNS1_3genE3ELNS1_11target_archE908ELNS1_3gpuE7ELNS1_3repE0EEENS1_48merge_mergepath_partition_config_static_selectorELNS0_4arch9wavefront6targetE1EEEvSO_ ; -- Begin function _ZN7rocprim17ROCPRIM_400000_NS6detail17trampoline_kernelINS0_14default_configENS1_38merge_sort_block_merge_config_selectorIlNS0_10empty_typeEEEZZNS1_27merge_sort_block_merge_implIS3_PlPS5_mZN2at6native12_GLOBAL__N_124unique_dim_cuda_templateIN3c104HalfEEESt5tupleIJNSA_6TensorESH_SH_EERKSH_lbbbEUlllE_EE10hipError_tT0_T1_T2_jT3_P12ihipStream_tbPNSt15iterator_traitsISN_E10value_typeEPNST_ISO_E10value_typeEPSP_NS1_7vsmem_tEENKUlT_SN_SO_SP_E_clIS8_S8_S9_S9_EESM_S12_SN_SO_SP_EUlS12_E_NS1_11comp_targetILNS1_3genE3ELNS1_11target_archE908ELNS1_3gpuE7ELNS1_3repE0EEENS1_48merge_mergepath_partition_config_static_selectorELNS0_4arch9wavefront6targetE1EEEvSO_
	.p2align	8
	.type	_ZN7rocprim17ROCPRIM_400000_NS6detail17trampoline_kernelINS0_14default_configENS1_38merge_sort_block_merge_config_selectorIlNS0_10empty_typeEEEZZNS1_27merge_sort_block_merge_implIS3_PlPS5_mZN2at6native12_GLOBAL__N_124unique_dim_cuda_templateIN3c104HalfEEESt5tupleIJNSA_6TensorESH_SH_EERKSH_lbbbEUlllE_EE10hipError_tT0_T1_T2_jT3_P12ihipStream_tbPNSt15iterator_traitsISN_E10value_typeEPNST_ISO_E10value_typeEPSP_NS1_7vsmem_tEENKUlT_SN_SO_SP_E_clIS8_S8_S9_S9_EESM_S12_SN_SO_SP_EUlS12_E_NS1_11comp_targetILNS1_3genE3ELNS1_11target_archE908ELNS1_3gpuE7ELNS1_3repE0EEENS1_48merge_mergepath_partition_config_static_selectorELNS0_4arch9wavefront6targetE1EEEvSO_,@function
_ZN7rocprim17ROCPRIM_400000_NS6detail17trampoline_kernelINS0_14default_configENS1_38merge_sort_block_merge_config_selectorIlNS0_10empty_typeEEEZZNS1_27merge_sort_block_merge_implIS3_PlPS5_mZN2at6native12_GLOBAL__N_124unique_dim_cuda_templateIN3c104HalfEEESt5tupleIJNSA_6TensorESH_SH_EERKSH_lbbbEUlllE_EE10hipError_tT0_T1_T2_jT3_P12ihipStream_tbPNSt15iterator_traitsISN_E10value_typeEPNST_ISO_E10value_typeEPSP_NS1_7vsmem_tEENKUlT_SN_SO_SP_E_clIS8_S8_S9_S9_EESM_S12_SN_SO_SP_EUlS12_E_NS1_11comp_targetILNS1_3genE3ELNS1_11target_archE908ELNS1_3gpuE7ELNS1_3repE0EEENS1_48merge_mergepath_partition_config_static_selectorELNS0_4arch9wavefront6targetE1EEEvSO_: ; @_ZN7rocprim17ROCPRIM_400000_NS6detail17trampoline_kernelINS0_14default_configENS1_38merge_sort_block_merge_config_selectorIlNS0_10empty_typeEEEZZNS1_27merge_sort_block_merge_implIS3_PlPS5_mZN2at6native12_GLOBAL__N_124unique_dim_cuda_templateIN3c104HalfEEESt5tupleIJNSA_6TensorESH_SH_EERKSH_lbbbEUlllE_EE10hipError_tT0_T1_T2_jT3_P12ihipStream_tbPNSt15iterator_traitsISN_E10value_typeEPNST_ISO_E10value_typeEPSP_NS1_7vsmem_tEENKUlT_SN_SO_SP_E_clIS8_S8_S9_S9_EESM_S12_SN_SO_SP_EUlS12_E_NS1_11comp_targetILNS1_3genE3ELNS1_11target_archE908ELNS1_3gpuE7ELNS1_3repE0EEENS1_48merge_mergepath_partition_config_static_selectorELNS0_4arch9wavefront6targetE1EEEvSO_
; %bb.0:
	.section	.rodata,"a",@progbits
	.p2align	6, 0x0
	.amdhsa_kernel _ZN7rocprim17ROCPRIM_400000_NS6detail17trampoline_kernelINS0_14default_configENS1_38merge_sort_block_merge_config_selectorIlNS0_10empty_typeEEEZZNS1_27merge_sort_block_merge_implIS3_PlPS5_mZN2at6native12_GLOBAL__N_124unique_dim_cuda_templateIN3c104HalfEEESt5tupleIJNSA_6TensorESH_SH_EERKSH_lbbbEUlllE_EE10hipError_tT0_T1_T2_jT3_P12ihipStream_tbPNSt15iterator_traitsISN_E10value_typeEPNST_ISO_E10value_typeEPSP_NS1_7vsmem_tEENKUlT_SN_SO_SP_E_clIS8_S8_S9_S9_EESM_S12_SN_SO_SP_EUlS12_E_NS1_11comp_targetILNS1_3genE3ELNS1_11target_archE908ELNS1_3gpuE7ELNS1_3repE0EEENS1_48merge_mergepath_partition_config_static_selectorELNS0_4arch9wavefront6targetE1EEEvSO_
		.amdhsa_group_segment_fixed_size 0
		.amdhsa_private_segment_fixed_size 0
		.amdhsa_kernarg_size 56
		.amdhsa_user_sgpr_count 2
		.amdhsa_user_sgpr_dispatch_ptr 0
		.amdhsa_user_sgpr_queue_ptr 0
		.amdhsa_user_sgpr_kernarg_segment_ptr 1
		.amdhsa_user_sgpr_dispatch_id 0
		.amdhsa_user_sgpr_kernarg_preload_length 0
		.amdhsa_user_sgpr_kernarg_preload_offset 0
		.amdhsa_user_sgpr_private_segment_size 0
		.amdhsa_uses_dynamic_stack 0
		.amdhsa_enable_private_segment 0
		.amdhsa_system_sgpr_workgroup_id_x 1
		.amdhsa_system_sgpr_workgroup_id_y 0
		.amdhsa_system_sgpr_workgroup_id_z 0
		.amdhsa_system_sgpr_workgroup_info 0
		.amdhsa_system_vgpr_workitem_id 0
		.amdhsa_next_free_vgpr 1
		.amdhsa_next_free_sgpr 0
		.amdhsa_accum_offset 4
		.amdhsa_reserve_vcc 0
		.amdhsa_float_round_mode_32 0
		.amdhsa_float_round_mode_16_64 0
		.amdhsa_float_denorm_mode_32 3
		.amdhsa_float_denorm_mode_16_64 3
		.amdhsa_dx10_clamp 1
		.amdhsa_ieee_mode 1
		.amdhsa_fp16_overflow 0
		.amdhsa_tg_split 0
		.amdhsa_exception_fp_ieee_invalid_op 0
		.amdhsa_exception_fp_denorm_src 0
		.amdhsa_exception_fp_ieee_div_zero 0
		.amdhsa_exception_fp_ieee_overflow 0
		.amdhsa_exception_fp_ieee_underflow 0
		.amdhsa_exception_fp_ieee_inexact 0
		.amdhsa_exception_int_div_zero 0
	.end_amdhsa_kernel
	.section	.text._ZN7rocprim17ROCPRIM_400000_NS6detail17trampoline_kernelINS0_14default_configENS1_38merge_sort_block_merge_config_selectorIlNS0_10empty_typeEEEZZNS1_27merge_sort_block_merge_implIS3_PlPS5_mZN2at6native12_GLOBAL__N_124unique_dim_cuda_templateIN3c104HalfEEESt5tupleIJNSA_6TensorESH_SH_EERKSH_lbbbEUlllE_EE10hipError_tT0_T1_T2_jT3_P12ihipStream_tbPNSt15iterator_traitsISN_E10value_typeEPNST_ISO_E10value_typeEPSP_NS1_7vsmem_tEENKUlT_SN_SO_SP_E_clIS8_S8_S9_S9_EESM_S12_SN_SO_SP_EUlS12_E_NS1_11comp_targetILNS1_3genE3ELNS1_11target_archE908ELNS1_3gpuE7ELNS1_3repE0EEENS1_48merge_mergepath_partition_config_static_selectorELNS0_4arch9wavefront6targetE1EEEvSO_,"axG",@progbits,_ZN7rocprim17ROCPRIM_400000_NS6detail17trampoline_kernelINS0_14default_configENS1_38merge_sort_block_merge_config_selectorIlNS0_10empty_typeEEEZZNS1_27merge_sort_block_merge_implIS3_PlPS5_mZN2at6native12_GLOBAL__N_124unique_dim_cuda_templateIN3c104HalfEEESt5tupleIJNSA_6TensorESH_SH_EERKSH_lbbbEUlllE_EE10hipError_tT0_T1_T2_jT3_P12ihipStream_tbPNSt15iterator_traitsISN_E10value_typeEPNST_ISO_E10value_typeEPSP_NS1_7vsmem_tEENKUlT_SN_SO_SP_E_clIS8_S8_S9_S9_EESM_S12_SN_SO_SP_EUlS12_E_NS1_11comp_targetILNS1_3genE3ELNS1_11target_archE908ELNS1_3gpuE7ELNS1_3repE0EEENS1_48merge_mergepath_partition_config_static_selectorELNS0_4arch9wavefront6targetE1EEEvSO_,comdat
.Lfunc_end1260:
	.size	_ZN7rocprim17ROCPRIM_400000_NS6detail17trampoline_kernelINS0_14default_configENS1_38merge_sort_block_merge_config_selectorIlNS0_10empty_typeEEEZZNS1_27merge_sort_block_merge_implIS3_PlPS5_mZN2at6native12_GLOBAL__N_124unique_dim_cuda_templateIN3c104HalfEEESt5tupleIJNSA_6TensorESH_SH_EERKSH_lbbbEUlllE_EE10hipError_tT0_T1_T2_jT3_P12ihipStream_tbPNSt15iterator_traitsISN_E10value_typeEPNST_ISO_E10value_typeEPSP_NS1_7vsmem_tEENKUlT_SN_SO_SP_E_clIS8_S8_S9_S9_EESM_S12_SN_SO_SP_EUlS12_E_NS1_11comp_targetILNS1_3genE3ELNS1_11target_archE908ELNS1_3gpuE7ELNS1_3repE0EEENS1_48merge_mergepath_partition_config_static_selectorELNS0_4arch9wavefront6targetE1EEEvSO_, .Lfunc_end1260-_ZN7rocprim17ROCPRIM_400000_NS6detail17trampoline_kernelINS0_14default_configENS1_38merge_sort_block_merge_config_selectorIlNS0_10empty_typeEEEZZNS1_27merge_sort_block_merge_implIS3_PlPS5_mZN2at6native12_GLOBAL__N_124unique_dim_cuda_templateIN3c104HalfEEESt5tupleIJNSA_6TensorESH_SH_EERKSH_lbbbEUlllE_EE10hipError_tT0_T1_T2_jT3_P12ihipStream_tbPNSt15iterator_traitsISN_E10value_typeEPNST_ISO_E10value_typeEPSP_NS1_7vsmem_tEENKUlT_SN_SO_SP_E_clIS8_S8_S9_S9_EESM_S12_SN_SO_SP_EUlS12_E_NS1_11comp_targetILNS1_3genE3ELNS1_11target_archE908ELNS1_3gpuE7ELNS1_3repE0EEENS1_48merge_mergepath_partition_config_static_selectorELNS0_4arch9wavefront6targetE1EEEvSO_
                                        ; -- End function
	.section	.AMDGPU.csdata,"",@progbits
; Kernel info:
; codeLenInByte = 0
; NumSgprs: 6
; NumVgprs: 0
; NumAgprs: 0
; TotalNumVgprs: 0
; ScratchSize: 0
; MemoryBound: 0
; FloatMode: 240
; IeeeMode: 1
; LDSByteSize: 0 bytes/workgroup (compile time only)
; SGPRBlocks: 0
; VGPRBlocks: 0
; NumSGPRsForWavesPerEU: 6
; NumVGPRsForWavesPerEU: 1
; AccumOffset: 4
; Occupancy: 8
; WaveLimiterHint : 0
; COMPUTE_PGM_RSRC2:SCRATCH_EN: 0
; COMPUTE_PGM_RSRC2:USER_SGPR: 2
; COMPUTE_PGM_RSRC2:TRAP_HANDLER: 0
; COMPUTE_PGM_RSRC2:TGID_X_EN: 1
; COMPUTE_PGM_RSRC2:TGID_Y_EN: 0
; COMPUTE_PGM_RSRC2:TGID_Z_EN: 0
; COMPUTE_PGM_RSRC2:TIDIG_COMP_CNT: 0
; COMPUTE_PGM_RSRC3_GFX90A:ACCUM_OFFSET: 0
; COMPUTE_PGM_RSRC3_GFX90A:TG_SPLIT: 0
	.section	.text._ZN7rocprim17ROCPRIM_400000_NS6detail17trampoline_kernelINS0_14default_configENS1_38merge_sort_block_merge_config_selectorIlNS0_10empty_typeEEEZZNS1_27merge_sort_block_merge_implIS3_PlPS5_mZN2at6native12_GLOBAL__N_124unique_dim_cuda_templateIN3c104HalfEEESt5tupleIJNSA_6TensorESH_SH_EERKSH_lbbbEUlllE_EE10hipError_tT0_T1_T2_jT3_P12ihipStream_tbPNSt15iterator_traitsISN_E10value_typeEPNST_ISO_E10value_typeEPSP_NS1_7vsmem_tEENKUlT_SN_SO_SP_E_clIS8_S8_S9_S9_EESM_S12_SN_SO_SP_EUlS12_E_NS1_11comp_targetILNS1_3genE2ELNS1_11target_archE906ELNS1_3gpuE6ELNS1_3repE0EEENS1_48merge_mergepath_partition_config_static_selectorELNS0_4arch9wavefront6targetE1EEEvSO_,"axG",@progbits,_ZN7rocprim17ROCPRIM_400000_NS6detail17trampoline_kernelINS0_14default_configENS1_38merge_sort_block_merge_config_selectorIlNS0_10empty_typeEEEZZNS1_27merge_sort_block_merge_implIS3_PlPS5_mZN2at6native12_GLOBAL__N_124unique_dim_cuda_templateIN3c104HalfEEESt5tupleIJNSA_6TensorESH_SH_EERKSH_lbbbEUlllE_EE10hipError_tT0_T1_T2_jT3_P12ihipStream_tbPNSt15iterator_traitsISN_E10value_typeEPNST_ISO_E10value_typeEPSP_NS1_7vsmem_tEENKUlT_SN_SO_SP_E_clIS8_S8_S9_S9_EESM_S12_SN_SO_SP_EUlS12_E_NS1_11comp_targetILNS1_3genE2ELNS1_11target_archE906ELNS1_3gpuE6ELNS1_3repE0EEENS1_48merge_mergepath_partition_config_static_selectorELNS0_4arch9wavefront6targetE1EEEvSO_,comdat
	.globl	_ZN7rocprim17ROCPRIM_400000_NS6detail17trampoline_kernelINS0_14default_configENS1_38merge_sort_block_merge_config_selectorIlNS0_10empty_typeEEEZZNS1_27merge_sort_block_merge_implIS3_PlPS5_mZN2at6native12_GLOBAL__N_124unique_dim_cuda_templateIN3c104HalfEEESt5tupleIJNSA_6TensorESH_SH_EERKSH_lbbbEUlllE_EE10hipError_tT0_T1_T2_jT3_P12ihipStream_tbPNSt15iterator_traitsISN_E10value_typeEPNST_ISO_E10value_typeEPSP_NS1_7vsmem_tEENKUlT_SN_SO_SP_E_clIS8_S8_S9_S9_EESM_S12_SN_SO_SP_EUlS12_E_NS1_11comp_targetILNS1_3genE2ELNS1_11target_archE906ELNS1_3gpuE6ELNS1_3repE0EEENS1_48merge_mergepath_partition_config_static_selectorELNS0_4arch9wavefront6targetE1EEEvSO_ ; -- Begin function _ZN7rocprim17ROCPRIM_400000_NS6detail17trampoline_kernelINS0_14default_configENS1_38merge_sort_block_merge_config_selectorIlNS0_10empty_typeEEEZZNS1_27merge_sort_block_merge_implIS3_PlPS5_mZN2at6native12_GLOBAL__N_124unique_dim_cuda_templateIN3c104HalfEEESt5tupleIJNSA_6TensorESH_SH_EERKSH_lbbbEUlllE_EE10hipError_tT0_T1_T2_jT3_P12ihipStream_tbPNSt15iterator_traitsISN_E10value_typeEPNST_ISO_E10value_typeEPSP_NS1_7vsmem_tEENKUlT_SN_SO_SP_E_clIS8_S8_S9_S9_EESM_S12_SN_SO_SP_EUlS12_E_NS1_11comp_targetILNS1_3genE2ELNS1_11target_archE906ELNS1_3gpuE6ELNS1_3repE0EEENS1_48merge_mergepath_partition_config_static_selectorELNS0_4arch9wavefront6targetE1EEEvSO_
	.p2align	8
	.type	_ZN7rocprim17ROCPRIM_400000_NS6detail17trampoline_kernelINS0_14default_configENS1_38merge_sort_block_merge_config_selectorIlNS0_10empty_typeEEEZZNS1_27merge_sort_block_merge_implIS3_PlPS5_mZN2at6native12_GLOBAL__N_124unique_dim_cuda_templateIN3c104HalfEEESt5tupleIJNSA_6TensorESH_SH_EERKSH_lbbbEUlllE_EE10hipError_tT0_T1_T2_jT3_P12ihipStream_tbPNSt15iterator_traitsISN_E10value_typeEPNST_ISO_E10value_typeEPSP_NS1_7vsmem_tEENKUlT_SN_SO_SP_E_clIS8_S8_S9_S9_EESM_S12_SN_SO_SP_EUlS12_E_NS1_11comp_targetILNS1_3genE2ELNS1_11target_archE906ELNS1_3gpuE6ELNS1_3repE0EEENS1_48merge_mergepath_partition_config_static_selectorELNS0_4arch9wavefront6targetE1EEEvSO_,@function
_ZN7rocprim17ROCPRIM_400000_NS6detail17trampoline_kernelINS0_14default_configENS1_38merge_sort_block_merge_config_selectorIlNS0_10empty_typeEEEZZNS1_27merge_sort_block_merge_implIS3_PlPS5_mZN2at6native12_GLOBAL__N_124unique_dim_cuda_templateIN3c104HalfEEESt5tupleIJNSA_6TensorESH_SH_EERKSH_lbbbEUlllE_EE10hipError_tT0_T1_T2_jT3_P12ihipStream_tbPNSt15iterator_traitsISN_E10value_typeEPNST_ISO_E10value_typeEPSP_NS1_7vsmem_tEENKUlT_SN_SO_SP_E_clIS8_S8_S9_S9_EESM_S12_SN_SO_SP_EUlS12_E_NS1_11comp_targetILNS1_3genE2ELNS1_11target_archE906ELNS1_3gpuE6ELNS1_3repE0EEENS1_48merge_mergepath_partition_config_static_selectorELNS0_4arch9wavefront6targetE1EEEvSO_: ; @_ZN7rocprim17ROCPRIM_400000_NS6detail17trampoline_kernelINS0_14default_configENS1_38merge_sort_block_merge_config_selectorIlNS0_10empty_typeEEEZZNS1_27merge_sort_block_merge_implIS3_PlPS5_mZN2at6native12_GLOBAL__N_124unique_dim_cuda_templateIN3c104HalfEEESt5tupleIJNSA_6TensorESH_SH_EERKSH_lbbbEUlllE_EE10hipError_tT0_T1_T2_jT3_P12ihipStream_tbPNSt15iterator_traitsISN_E10value_typeEPNST_ISO_E10value_typeEPSP_NS1_7vsmem_tEENKUlT_SN_SO_SP_E_clIS8_S8_S9_S9_EESM_S12_SN_SO_SP_EUlS12_E_NS1_11comp_targetILNS1_3genE2ELNS1_11target_archE906ELNS1_3gpuE6ELNS1_3repE0EEENS1_48merge_mergepath_partition_config_static_selectorELNS0_4arch9wavefront6targetE1EEEvSO_
; %bb.0:
	.section	.rodata,"a",@progbits
	.p2align	6, 0x0
	.amdhsa_kernel _ZN7rocprim17ROCPRIM_400000_NS6detail17trampoline_kernelINS0_14default_configENS1_38merge_sort_block_merge_config_selectorIlNS0_10empty_typeEEEZZNS1_27merge_sort_block_merge_implIS3_PlPS5_mZN2at6native12_GLOBAL__N_124unique_dim_cuda_templateIN3c104HalfEEESt5tupleIJNSA_6TensorESH_SH_EERKSH_lbbbEUlllE_EE10hipError_tT0_T1_T2_jT3_P12ihipStream_tbPNSt15iterator_traitsISN_E10value_typeEPNST_ISO_E10value_typeEPSP_NS1_7vsmem_tEENKUlT_SN_SO_SP_E_clIS8_S8_S9_S9_EESM_S12_SN_SO_SP_EUlS12_E_NS1_11comp_targetILNS1_3genE2ELNS1_11target_archE906ELNS1_3gpuE6ELNS1_3repE0EEENS1_48merge_mergepath_partition_config_static_selectorELNS0_4arch9wavefront6targetE1EEEvSO_
		.amdhsa_group_segment_fixed_size 0
		.amdhsa_private_segment_fixed_size 0
		.amdhsa_kernarg_size 56
		.amdhsa_user_sgpr_count 2
		.amdhsa_user_sgpr_dispatch_ptr 0
		.amdhsa_user_sgpr_queue_ptr 0
		.amdhsa_user_sgpr_kernarg_segment_ptr 1
		.amdhsa_user_sgpr_dispatch_id 0
		.amdhsa_user_sgpr_kernarg_preload_length 0
		.amdhsa_user_sgpr_kernarg_preload_offset 0
		.amdhsa_user_sgpr_private_segment_size 0
		.amdhsa_uses_dynamic_stack 0
		.amdhsa_enable_private_segment 0
		.amdhsa_system_sgpr_workgroup_id_x 1
		.amdhsa_system_sgpr_workgroup_id_y 0
		.amdhsa_system_sgpr_workgroup_id_z 0
		.amdhsa_system_sgpr_workgroup_info 0
		.amdhsa_system_vgpr_workitem_id 0
		.amdhsa_next_free_vgpr 1
		.amdhsa_next_free_sgpr 0
		.amdhsa_accum_offset 4
		.amdhsa_reserve_vcc 0
		.amdhsa_float_round_mode_32 0
		.amdhsa_float_round_mode_16_64 0
		.amdhsa_float_denorm_mode_32 3
		.amdhsa_float_denorm_mode_16_64 3
		.amdhsa_dx10_clamp 1
		.amdhsa_ieee_mode 1
		.amdhsa_fp16_overflow 0
		.amdhsa_tg_split 0
		.amdhsa_exception_fp_ieee_invalid_op 0
		.amdhsa_exception_fp_denorm_src 0
		.amdhsa_exception_fp_ieee_div_zero 0
		.amdhsa_exception_fp_ieee_overflow 0
		.amdhsa_exception_fp_ieee_underflow 0
		.amdhsa_exception_fp_ieee_inexact 0
		.amdhsa_exception_int_div_zero 0
	.end_amdhsa_kernel
	.section	.text._ZN7rocprim17ROCPRIM_400000_NS6detail17trampoline_kernelINS0_14default_configENS1_38merge_sort_block_merge_config_selectorIlNS0_10empty_typeEEEZZNS1_27merge_sort_block_merge_implIS3_PlPS5_mZN2at6native12_GLOBAL__N_124unique_dim_cuda_templateIN3c104HalfEEESt5tupleIJNSA_6TensorESH_SH_EERKSH_lbbbEUlllE_EE10hipError_tT0_T1_T2_jT3_P12ihipStream_tbPNSt15iterator_traitsISN_E10value_typeEPNST_ISO_E10value_typeEPSP_NS1_7vsmem_tEENKUlT_SN_SO_SP_E_clIS8_S8_S9_S9_EESM_S12_SN_SO_SP_EUlS12_E_NS1_11comp_targetILNS1_3genE2ELNS1_11target_archE906ELNS1_3gpuE6ELNS1_3repE0EEENS1_48merge_mergepath_partition_config_static_selectorELNS0_4arch9wavefront6targetE1EEEvSO_,"axG",@progbits,_ZN7rocprim17ROCPRIM_400000_NS6detail17trampoline_kernelINS0_14default_configENS1_38merge_sort_block_merge_config_selectorIlNS0_10empty_typeEEEZZNS1_27merge_sort_block_merge_implIS3_PlPS5_mZN2at6native12_GLOBAL__N_124unique_dim_cuda_templateIN3c104HalfEEESt5tupleIJNSA_6TensorESH_SH_EERKSH_lbbbEUlllE_EE10hipError_tT0_T1_T2_jT3_P12ihipStream_tbPNSt15iterator_traitsISN_E10value_typeEPNST_ISO_E10value_typeEPSP_NS1_7vsmem_tEENKUlT_SN_SO_SP_E_clIS8_S8_S9_S9_EESM_S12_SN_SO_SP_EUlS12_E_NS1_11comp_targetILNS1_3genE2ELNS1_11target_archE906ELNS1_3gpuE6ELNS1_3repE0EEENS1_48merge_mergepath_partition_config_static_selectorELNS0_4arch9wavefront6targetE1EEEvSO_,comdat
.Lfunc_end1261:
	.size	_ZN7rocprim17ROCPRIM_400000_NS6detail17trampoline_kernelINS0_14default_configENS1_38merge_sort_block_merge_config_selectorIlNS0_10empty_typeEEEZZNS1_27merge_sort_block_merge_implIS3_PlPS5_mZN2at6native12_GLOBAL__N_124unique_dim_cuda_templateIN3c104HalfEEESt5tupleIJNSA_6TensorESH_SH_EERKSH_lbbbEUlllE_EE10hipError_tT0_T1_T2_jT3_P12ihipStream_tbPNSt15iterator_traitsISN_E10value_typeEPNST_ISO_E10value_typeEPSP_NS1_7vsmem_tEENKUlT_SN_SO_SP_E_clIS8_S8_S9_S9_EESM_S12_SN_SO_SP_EUlS12_E_NS1_11comp_targetILNS1_3genE2ELNS1_11target_archE906ELNS1_3gpuE6ELNS1_3repE0EEENS1_48merge_mergepath_partition_config_static_selectorELNS0_4arch9wavefront6targetE1EEEvSO_, .Lfunc_end1261-_ZN7rocprim17ROCPRIM_400000_NS6detail17trampoline_kernelINS0_14default_configENS1_38merge_sort_block_merge_config_selectorIlNS0_10empty_typeEEEZZNS1_27merge_sort_block_merge_implIS3_PlPS5_mZN2at6native12_GLOBAL__N_124unique_dim_cuda_templateIN3c104HalfEEESt5tupleIJNSA_6TensorESH_SH_EERKSH_lbbbEUlllE_EE10hipError_tT0_T1_T2_jT3_P12ihipStream_tbPNSt15iterator_traitsISN_E10value_typeEPNST_ISO_E10value_typeEPSP_NS1_7vsmem_tEENKUlT_SN_SO_SP_E_clIS8_S8_S9_S9_EESM_S12_SN_SO_SP_EUlS12_E_NS1_11comp_targetILNS1_3genE2ELNS1_11target_archE906ELNS1_3gpuE6ELNS1_3repE0EEENS1_48merge_mergepath_partition_config_static_selectorELNS0_4arch9wavefront6targetE1EEEvSO_
                                        ; -- End function
	.section	.AMDGPU.csdata,"",@progbits
; Kernel info:
; codeLenInByte = 0
; NumSgprs: 6
; NumVgprs: 0
; NumAgprs: 0
; TotalNumVgprs: 0
; ScratchSize: 0
; MemoryBound: 0
; FloatMode: 240
; IeeeMode: 1
; LDSByteSize: 0 bytes/workgroup (compile time only)
; SGPRBlocks: 0
; VGPRBlocks: 0
; NumSGPRsForWavesPerEU: 6
; NumVGPRsForWavesPerEU: 1
; AccumOffset: 4
; Occupancy: 8
; WaveLimiterHint : 0
; COMPUTE_PGM_RSRC2:SCRATCH_EN: 0
; COMPUTE_PGM_RSRC2:USER_SGPR: 2
; COMPUTE_PGM_RSRC2:TRAP_HANDLER: 0
; COMPUTE_PGM_RSRC2:TGID_X_EN: 1
; COMPUTE_PGM_RSRC2:TGID_Y_EN: 0
; COMPUTE_PGM_RSRC2:TGID_Z_EN: 0
; COMPUTE_PGM_RSRC2:TIDIG_COMP_CNT: 0
; COMPUTE_PGM_RSRC3_GFX90A:ACCUM_OFFSET: 0
; COMPUTE_PGM_RSRC3_GFX90A:TG_SPLIT: 0
	.section	.text._ZN7rocprim17ROCPRIM_400000_NS6detail17trampoline_kernelINS0_14default_configENS1_38merge_sort_block_merge_config_selectorIlNS0_10empty_typeEEEZZNS1_27merge_sort_block_merge_implIS3_PlPS5_mZN2at6native12_GLOBAL__N_124unique_dim_cuda_templateIN3c104HalfEEESt5tupleIJNSA_6TensorESH_SH_EERKSH_lbbbEUlllE_EE10hipError_tT0_T1_T2_jT3_P12ihipStream_tbPNSt15iterator_traitsISN_E10value_typeEPNST_ISO_E10value_typeEPSP_NS1_7vsmem_tEENKUlT_SN_SO_SP_E_clIS8_S8_S9_S9_EESM_S12_SN_SO_SP_EUlS12_E_NS1_11comp_targetILNS1_3genE9ELNS1_11target_archE1100ELNS1_3gpuE3ELNS1_3repE0EEENS1_48merge_mergepath_partition_config_static_selectorELNS0_4arch9wavefront6targetE1EEEvSO_,"axG",@progbits,_ZN7rocprim17ROCPRIM_400000_NS6detail17trampoline_kernelINS0_14default_configENS1_38merge_sort_block_merge_config_selectorIlNS0_10empty_typeEEEZZNS1_27merge_sort_block_merge_implIS3_PlPS5_mZN2at6native12_GLOBAL__N_124unique_dim_cuda_templateIN3c104HalfEEESt5tupleIJNSA_6TensorESH_SH_EERKSH_lbbbEUlllE_EE10hipError_tT0_T1_T2_jT3_P12ihipStream_tbPNSt15iterator_traitsISN_E10value_typeEPNST_ISO_E10value_typeEPSP_NS1_7vsmem_tEENKUlT_SN_SO_SP_E_clIS8_S8_S9_S9_EESM_S12_SN_SO_SP_EUlS12_E_NS1_11comp_targetILNS1_3genE9ELNS1_11target_archE1100ELNS1_3gpuE3ELNS1_3repE0EEENS1_48merge_mergepath_partition_config_static_selectorELNS0_4arch9wavefront6targetE1EEEvSO_,comdat
	.globl	_ZN7rocprim17ROCPRIM_400000_NS6detail17trampoline_kernelINS0_14default_configENS1_38merge_sort_block_merge_config_selectorIlNS0_10empty_typeEEEZZNS1_27merge_sort_block_merge_implIS3_PlPS5_mZN2at6native12_GLOBAL__N_124unique_dim_cuda_templateIN3c104HalfEEESt5tupleIJNSA_6TensorESH_SH_EERKSH_lbbbEUlllE_EE10hipError_tT0_T1_T2_jT3_P12ihipStream_tbPNSt15iterator_traitsISN_E10value_typeEPNST_ISO_E10value_typeEPSP_NS1_7vsmem_tEENKUlT_SN_SO_SP_E_clIS8_S8_S9_S9_EESM_S12_SN_SO_SP_EUlS12_E_NS1_11comp_targetILNS1_3genE9ELNS1_11target_archE1100ELNS1_3gpuE3ELNS1_3repE0EEENS1_48merge_mergepath_partition_config_static_selectorELNS0_4arch9wavefront6targetE1EEEvSO_ ; -- Begin function _ZN7rocprim17ROCPRIM_400000_NS6detail17trampoline_kernelINS0_14default_configENS1_38merge_sort_block_merge_config_selectorIlNS0_10empty_typeEEEZZNS1_27merge_sort_block_merge_implIS3_PlPS5_mZN2at6native12_GLOBAL__N_124unique_dim_cuda_templateIN3c104HalfEEESt5tupleIJNSA_6TensorESH_SH_EERKSH_lbbbEUlllE_EE10hipError_tT0_T1_T2_jT3_P12ihipStream_tbPNSt15iterator_traitsISN_E10value_typeEPNST_ISO_E10value_typeEPSP_NS1_7vsmem_tEENKUlT_SN_SO_SP_E_clIS8_S8_S9_S9_EESM_S12_SN_SO_SP_EUlS12_E_NS1_11comp_targetILNS1_3genE9ELNS1_11target_archE1100ELNS1_3gpuE3ELNS1_3repE0EEENS1_48merge_mergepath_partition_config_static_selectorELNS0_4arch9wavefront6targetE1EEEvSO_
	.p2align	8
	.type	_ZN7rocprim17ROCPRIM_400000_NS6detail17trampoline_kernelINS0_14default_configENS1_38merge_sort_block_merge_config_selectorIlNS0_10empty_typeEEEZZNS1_27merge_sort_block_merge_implIS3_PlPS5_mZN2at6native12_GLOBAL__N_124unique_dim_cuda_templateIN3c104HalfEEESt5tupleIJNSA_6TensorESH_SH_EERKSH_lbbbEUlllE_EE10hipError_tT0_T1_T2_jT3_P12ihipStream_tbPNSt15iterator_traitsISN_E10value_typeEPNST_ISO_E10value_typeEPSP_NS1_7vsmem_tEENKUlT_SN_SO_SP_E_clIS8_S8_S9_S9_EESM_S12_SN_SO_SP_EUlS12_E_NS1_11comp_targetILNS1_3genE9ELNS1_11target_archE1100ELNS1_3gpuE3ELNS1_3repE0EEENS1_48merge_mergepath_partition_config_static_selectorELNS0_4arch9wavefront6targetE1EEEvSO_,@function
_ZN7rocprim17ROCPRIM_400000_NS6detail17trampoline_kernelINS0_14default_configENS1_38merge_sort_block_merge_config_selectorIlNS0_10empty_typeEEEZZNS1_27merge_sort_block_merge_implIS3_PlPS5_mZN2at6native12_GLOBAL__N_124unique_dim_cuda_templateIN3c104HalfEEESt5tupleIJNSA_6TensorESH_SH_EERKSH_lbbbEUlllE_EE10hipError_tT0_T1_T2_jT3_P12ihipStream_tbPNSt15iterator_traitsISN_E10value_typeEPNST_ISO_E10value_typeEPSP_NS1_7vsmem_tEENKUlT_SN_SO_SP_E_clIS8_S8_S9_S9_EESM_S12_SN_SO_SP_EUlS12_E_NS1_11comp_targetILNS1_3genE9ELNS1_11target_archE1100ELNS1_3gpuE3ELNS1_3repE0EEENS1_48merge_mergepath_partition_config_static_selectorELNS0_4arch9wavefront6targetE1EEEvSO_: ; @_ZN7rocprim17ROCPRIM_400000_NS6detail17trampoline_kernelINS0_14default_configENS1_38merge_sort_block_merge_config_selectorIlNS0_10empty_typeEEEZZNS1_27merge_sort_block_merge_implIS3_PlPS5_mZN2at6native12_GLOBAL__N_124unique_dim_cuda_templateIN3c104HalfEEESt5tupleIJNSA_6TensorESH_SH_EERKSH_lbbbEUlllE_EE10hipError_tT0_T1_T2_jT3_P12ihipStream_tbPNSt15iterator_traitsISN_E10value_typeEPNST_ISO_E10value_typeEPSP_NS1_7vsmem_tEENKUlT_SN_SO_SP_E_clIS8_S8_S9_S9_EESM_S12_SN_SO_SP_EUlS12_E_NS1_11comp_targetILNS1_3genE9ELNS1_11target_archE1100ELNS1_3gpuE3ELNS1_3repE0EEENS1_48merge_mergepath_partition_config_static_selectorELNS0_4arch9wavefront6targetE1EEEvSO_
; %bb.0:
	.section	.rodata,"a",@progbits
	.p2align	6, 0x0
	.amdhsa_kernel _ZN7rocprim17ROCPRIM_400000_NS6detail17trampoline_kernelINS0_14default_configENS1_38merge_sort_block_merge_config_selectorIlNS0_10empty_typeEEEZZNS1_27merge_sort_block_merge_implIS3_PlPS5_mZN2at6native12_GLOBAL__N_124unique_dim_cuda_templateIN3c104HalfEEESt5tupleIJNSA_6TensorESH_SH_EERKSH_lbbbEUlllE_EE10hipError_tT0_T1_T2_jT3_P12ihipStream_tbPNSt15iterator_traitsISN_E10value_typeEPNST_ISO_E10value_typeEPSP_NS1_7vsmem_tEENKUlT_SN_SO_SP_E_clIS8_S8_S9_S9_EESM_S12_SN_SO_SP_EUlS12_E_NS1_11comp_targetILNS1_3genE9ELNS1_11target_archE1100ELNS1_3gpuE3ELNS1_3repE0EEENS1_48merge_mergepath_partition_config_static_selectorELNS0_4arch9wavefront6targetE1EEEvSO_
		.amdhsa_group_segment_fixed_size 0
		.amdhsa_private_segment_fixed_size 0
		.amdhsa_kernarg_size 56
		.amdhsa_user_sgpr_count 2
		.amdhsa_user_sgpr_dispatch_ptr 0
		.amdhsa_user_sgpr_queue_ptr 0
		.amdhsa_user_sgpr_kernarg_segment_ptr 1
		.amdhsa_user_sgpr_dispatch_id 0
		.amdhsa_user_sgpr_kernarg_preload_length 0
		.amdhsa_user_sgpr_kernarg_preload_offset 0
		.amdhsa_user_sgpr_private_segment_size 0
		.amdhsa_uses_dynamic_stack 0
		.amdhsa_enable_private_segment 0
		.amdhsa_system_sgpr_workgroup_id_x 1
		.amdhsa_system_sgpr_workgroup_id_y 0
		.amdhsa_system_sgpr_workgroup_id_z 0
		.amdhsa_system_sgpr_workgroup_info 0
		.amdhsa_system_vgpr_workitem_id 0
		.amdhsa_next_free_vgpr 1
		.amdhsa_next_free_sgpr 0
		.amdhsa_accum_offset 4
		.amdhsa_reserve_vcc 0
		.amdhsa_float_round_mode_32 0
		.amdhsa_float_round_mode_16_64 0
		.amdhsa_float_denorm_mode_32 3
		.amdhsa_float_denorm_mode_16_64 3
		.amdhsa_dx10_clamp 1
		.amdhsa_ieee_mode 1
		.amdhsa_fp16_overflow 0
		.amdhsa_tg_split 0
		.amdhsa_exception_fp_ieee_invalid_op 0
		.amdhsa_exception_fp_denorm_src 0
		.amdhsa_exception_fp_ieee_div_zero 0
		.amdhsa_exception_fp_ieee_overflow 0
		.amdhsa_exception_fp_ieee_underflow 0
		.amdhsa_exception_fp_ieee_inexact 0
		.amdhsa_exception_int_div_zero 0
	.end_amdhsa_kernel
	.section	.text._ZN7rocprim17ROCPRIM_400000_NS6detail17trampoline_kernelINS0_14default_configENS1_38merge_sort_block_merge_config_selectorIlNS0_10empty_typeEEEZZNS1_27merge_sort_block_merge_implIS3_PlPS5_mZN2at6native12_GLOBAL__N_124unique_dim_cuda_templateIN3c104HalfEEESt5tupleIJNSA_6TensorESH_SH_EERKSH_lbbbEUlllE_EE10hipError_tT0_T1_T2_jT3_P12ihipStream_tbPNSt15iterator_traitsISN_E10value_typeEPNST_ISO_E10value_typeEPSP_NS1_7vsmem_tEENKUlT_SN_SO_SP_E_clIS8_S8_S9_S9_EESM_S12_SN_SO_SP_EUlS12_E_NS1_11comp_targetILNS1_3genE9ELNS1_11target_archE1100ELNS1_3gpuE3ELNS1_3repE0EEENS1_48merge_mergepath_partition_config_static_selectorELNS0_4arch9wavefront6targetE1EEEvSO_,"axG",@progbits,_ZN7rocprim17ROCPRIM_400000_NS6detail17trampoline_kernelINS0_14default_configENS1_38merge_sort_block_merge_config_selectorIlNS0_10empty_typeEEEZZNS1_27merge_sort_block_merge_implIS3_PlPS5_mZN2at6native12_GLOBAL__N_124unique_dim_cuda_templateIN3c104HalfEEESt5tupleIJNSA_6TensorESH_SH_EERKSH_lbbbEUlllE_EE10hipError_tT0_T1_T2_jT3_P12ihipStream_tbPNSt15iterator_traitsISN_E10value_typeEPNST_ISO_E10value_typeEPSP_NS1_7vsmem_tEENKUlT_SN_SO_SP_E_clIS8_S8_S9_S9_EESM_S12_SN_SO_SP_EUlS12_E_NS1_11comp_targetILNS1_3genE9ELNS1_11target_archE1100ELNS1_3gpuE3ELNS1_3repE0EEENS1_48merge_mergepath_partition_config_static_selectorELNS0_4arch9wavefront6targetE1EEEvSO_,comdat
.Lfunc_end1262:
	.size	_ZN7rocprim17ROCPRIM_400000_NS6detail17trampoline_kernelINS0_14default_configENS1_38merge_sort_block_merge_config_selectorIlNS0_10empty_typeEEEZZNS1_27merge_sort_block_merge_implIS3_PlPS5_mZN2at6native12_GLOBAL__N_124unique_dim_cuda_templateIN3c104HalfEEESt5tupleIJNSA_6TensorESH_SH_EERKSH_lbbbEUlllE_EE10hipError_tT0_T1_T2_jT3_P12ihipStream_tbPNSt15iterator_traitsISN_E10value_typeEPNST_ISO_E10value_typeEPSP_NS1_7vsmem_tEENKUlT_SN_SO_SP_E_clIS8_S8_S9_S9_EESM_S12_SN_SO_SP_EUlS12_E_NS1_11comp_targetILNS1_3genE9ELNS1_11target_archE1100ELNS1_3gpuE3ELNS1_3repE0EEENS1_48merge_mergepath_partition_config_static_selectorELNS0_4arch9wavefront6targetE1EEEvSO_, .Lfunc_end1262-_ZN7rocprim17ROCPRIM_400000_NS6detail17trampoline_kernelINS0_14default_configENS1_38merge_sort_block_merge_config_selectorIlNS0_10empty_typeEEEZZNS1_27merge_sort_block_merge_implIS3_PlPS5_mZN2at6native12_GLOBAL__N_124unique_dim_cuda_templateIN3c104HalfEEESt5tupleIJNSA_6TensorESH_SH_EERKSH_lbbbEUlllE_EE10hipError_tT0_T1_T2_jT3_P12ihipStream_tbPNSt15iterator_traitsISN_E10value_typeEPNST_ISO_E10value_typeEPSP_NS1_7vsmem_tEENKUlT_SN_SO_SP_E_clIS8_S8_S9_S9_EESM_S12_SN_SO_SP_EUlS12_E_NS1_11comp_targetILNS1_3genE9ELNS1_11target_archE1100ELNS1_3gpuE3ELNS1_3repE0EEENS1_48merge_mergepath_partition_config_static_selectorELNS0_4arch9wavefront6targetE1EEEvSO_
                                        ; -- End function
	.section	.AMDGPU.csdata,"",@progbits
; Kernel info:
; codeLenInByte = 0
; NumSgprs: 6
; NumVgprs: 0
; NumAgprs: 0
; TotalNumVgprs: 0
; ScratchSize: 0
; MemoryBound: 0
; FloatMode: 240
; IeeeMode: 1
; LDSByteSize: 0 bytes/workgroup (compile time only)
; SGPRBlocks: 0
; VGPRBlocks: 0
; NumSGPRsForWavesPerEU: 6
; NumVGPRsForWavesPerEU: 1
; AccumOffset: 4
; Occupancy: 8
; WaveLimiterHint : 0
; COMPUTE_PGM_RSRC2:SCRATCH_EN: 0
; COMPUTE_PGM_RSRC2:USER_SGPR: 2
; COMPUTE_PGM_RSRC2:TRAP_HANDLER: 0
; COMPUTE_PGM_RSRC2:TGID_X_EN: 1
; COMPUTE_PGM_RSRC2:TGID_Y_EN: 0
; COMPUTE_PGM_RSRC2:TGID_Z_EN: 0
; COMPUTE_PGM_RSRC2:TIDIG_COMP_CNT: 0
; COMPUTE_PGM_RSRC3_GFX90A:ACCUM_OFFSET: 0
; COMPUTE_PGM_RSRC3_GFX90A:TG_SPLIT: 0
	.section	.text._ZN7rocprim17ROCPRIM_400000_NS6detail17trampoline_kernelINS0_14default_configENS1_38merge_sort_block_merge_config_selectorIlNS0_10empty_typeEEEZZNS1_27merge_sort_block_merge_implIS3_PlPS5_mZN2at6native12_GLOBAL__N_124unique_dim_cuda_templateIN3c104HalfEEESt5tupleIJNSA_6TensorESH_SH_EERKSH_lbbbEUlllE_EE10hipError_tT0_T1_T2_jT3_P12ihipStream_tbPNSt15iterator_traitsISN_E10value_typeEPNST_ISO_E10value_typeEPSP_NS1_7vsmem_tEENKUlT_SN_SO_SP_E_clIS8_S8_S9_S9_EESM_S12_SN_SO_SP_EUlS12_E_NS1_11comp_targetILNS1_3genE8ELNS1_11target_archE1030ELNS1_3gpuE2ELNS1_3repE0EEENS1_48merge_mergepath_partition_config_static_selectorELNS0_4arch9wavefront6targetE1EEEvSO_,"axG",@progbits,_ZN7rocprim17ROCPRIM_400000_NS6detail17trampoline_kernelINS0_14default_configENS1_38merge_sort_block_merge_config_selectorIlNS0_10empty_typeEEEZZNS1_27merge_sort_block_merge_implIS3_PlPS5_mZN2at6native12_GLOBAL__N_124unique_dim_cuda_templateIN3c104HalfEEESt5tupleIJNSA_6TensorESH_SH_EERKSH_lbbbEUlllE_EE10hipError_tT0_T1_T2_jT3_P12ihipStream_tbPNSt15iterator_traitsISN_E10value_typeEPNST_ISO_E10value_typeEPSP_NS1_7vsmem_tEENKUlT_SN_SO_SP_E_clIS8_S8_S9_S9_EESM_S12_SN_SO_SP_EUlS12_E_NS1_11comp_targetILNS1_3genE8ELNS1_11target_archE1030ELNS1_3gpuE2ELNS1_3repE0EEENS1_48merge_mergepath_partition_config_static_selectorELNS0_4arch9wavefront6targetE1EEEvSO_,comdat
	.globl	_ZN7rocprim17ROCPRIM_400000_NS6detail17trampoline_kernelINS0_14default_configENS1_38merge_sort_block_merge_config_selectorIlNS0_10empty_typeEEEZZNS1_27merge_sort_block_merge_implIS3_PlPS5_mZN2at6native12_GLOBAL__N_124unique_dim_cuda_templateIN3c104HalfEEESt5tupleIJNSA_6TensorESH_SH_EERKSH_lbbbEUlllE_EE10hipError_tT0_T1_T2_jT3_P12ihipStream_tbPNSt15iterator_traitsISN_E10value_typeEPNST_ISO_E10value_typeEPSP_NS1_7vsmem_tEENKUlT_SN_SO_SP_E_clIS8_S8_S9_S9_EESM_S12_SN_SO_SP_EUlS12_E_NS1_11comp_targetILNS1_3genE8ELNS1_11target_archE1030ELNS1_3gpuE2ELNS1_3repE0EEENS1_48merge_mergepath_partition_config_static_selectorELNS0_4arch9wavefront6targetE1EEEvSO_ ; -- Begin function _ZN7rocprim17ROCPRIM_400000_NS6detail17trampoline_kernelINS0_14default_configENS1_38merge_sort_block_merge_config_selectorIlNS0_10empty_typeEEEZZNS1_27merge_sort_block_merge_implIS3_PlPS5_mZN2at6native12_GLOBAL__N_124unique_dim_cuda_templateIN3c104HalfEEESt5tupleIJNSA_6TensorESH_SH_EERKSH_lbbbEUlllE_EE10hipError_tT0_T1_T2_jT3_P12ihipStream_tbPNSt15iterator_traitsISN_E10value_typeEPNST_ISO_E10value_typeEPSP_NS1_7vsmem_tEENKUlT_SN_SO_SP_E_clIS8_S8_S9_S9_EESM_S12_SN_SO_SP_EUlS12_E_NS1_11comp_targetILNS1_3genE8ELNS1_11target_archE1030ELNS1_3gpuE2ELNS1_3repE0EEENS1_48merge_mergepath_partition_config_static_selectorELNS0_4arch9wavefront6targetE1EEEvSO_
	.p2align	8
	.type	_ZN7rocprim17ROCPRIM_400000_NS6detail17trampoline_kernelINS0_14default_configENS1_38merge_sort_block_merge_config_selectorIlNS0_10empty_typeEEEZZNS1_27merge_sort_block_merge_implIS3_PlPS5_mZN2at6native12_GLOBAL__N_124unique_dim_cuda_templateIN3c104HalfEEESt5tupleIJNSA_6TensorESH_SH_EERKSH_lbbbEUlllE_EE10hipError_tT0_T1_T2_jT3_P12ihipStream_tbPNSt15iterator_traitsISN_E10value_typeEPNST_ISO_E10value_typeEPSP_NS1_7vsmem_tEENKUlT_SN_SO_SP_E_clIS8_S8_S9_S9_EESM_S12_SN_SO_SP_EUlS12_E_NS1_11comp_targetILNS1_3genE8ELNS1_11target_archE1030ELNS1_3gpuE2ELNS1_3repE0EEENS1_48merge_mergepath_partition_config_static_selectorELNS0_4arch9wavefront6targetE1EEEvSO_,@function
_ZN7rocprim17ROCPRIM_400000_NS6detail17trampoline_kernelINS0_14default_configENS1_38merge_sort_block_merge_config_selectorIlNS0_10empty_typeEEEZZNS1_27merge_sort_block_merge_implIS3_PlPS5_mZN2at6native12_GLOBAL__N_124unique_dim_cuda_templateIN3c104HalfEEESt5tupleIJNSA_6TensorESH_SH_EERKSH_lbbbEUlllE_EE10hipError_tT0_T1_T2_jT3_P12ihipStream_tbPNSt15iterator_traitsISN_E10value_typeEPNST_ISO_E10value_typeEPSP_NS1_7vsmem_tEENKUlT_SN_SO_SP_E_clIS8_S8_S9_S9_EESM_S12_SN_SO_SP_EUlS12_E_NS1_11comp_targetILNS1_3genE8ELNS1_11target_archE1030ELNS1_3gpuE2ELNS1_3repE0EEENS1_48merge_mergepath_partition_config_static_selectorELNS0_4arch9wavefront6targetE1EEEvSO_: ; @_ZN7rocprim17ROCPRIM_400000_NS6detail17trampoline_kernelINS0_14default_configENS1_38merge_sort_block_merge_config_selectorIlNS0_10empty_typeEEEZZNS1_27merge_sort_block_merge_implIS3_PlPS5_mZN2at6native12_GLOBAL__N_124unique_dim_cuda_templateIN3c104HalfEEESt5tupleIJNSA_6TensorESH_SH_EERKSH_lbbbEUlllE_EE10hipError_tT0_T1_T2_jT3_P12ihipStream_tbPNSt15iterator_traitsISN_E10value_typeEPNST_ISO_E10value_typeEPSP_NS1_7vsmem_tEENKUlT_SN_SO_SP_E_clIS8_S8_S9_S9_EESM_S12_SN_SO_SP_EUlS12_E_NS1_11comp_targetILNS1_3genE8ELNS1_11target_archE1030ELNS1_3gpuE2ELNS1_3repE0EEENS1_48merge_mergepath_partition_config_static_selectorELNS0_4arch9wavefront6targetE1EEEvSO_
; %bb.0:
	.section	.rodata,"a",@progbits
	.p2align	6, 0x0
	.amdhsa_kernel _ZN7rocprim17ROCPRIM_400000_NS6detail17trampoline_kernelINS0_14default_configENS1_38merge_sort_block_merge_config_selectorIlNS0_10empty_typeEEEZZNS1_27merge_sort_block_merge_implIS3_PlPS5_mZN2at6native12_GLOBAL__N_124unique_dim_cuda_templateIN3c104HalfEEESt5tupleIJNSA_6TensorESH_SH_EERKSH_lbbbEUlllE_EE10hipError_tT0_T1_T2_jT3_P12ihipStream_tbPNSt15iterator_traitsISN_E10value_typeEPNST_ISO_E10value_typeEPSP_NS1_7vsmem_tEENKUlT_SN_SO_SP_E_clIS8_S8_S9_S9_EESM_S12_SN_SO_SP_EUlS12_E_NS1_11comp_targetILNS1_3genE8ELNS1_11target_archE1030ELNS1_3gpuE2ELNS1_3repE0EEENS1_48merge_mergepath_partition_config_static_selectorELNS0_4arch9wavefront6targetE1EEEvSO_
		.amdhsa_group_segment_fixed_size 0
		.amdhsa_private_segment_fixed_size 0
		.amdhsa_kernarg_size 56
		.amdhsa_user_sgpr_count 2
		.amdhsa_user_sgpr_dispatch_ptr 0
		.amdhsa_user_sgpr_queue_ptr 0
		.amdhsa_user_sgpr_kernarg_segment_ptr 1
		.amdhsa_user_sgpr_dispatch_id 0
		.amdhsa_user_sgpr_kernarg_preload_length 0
		.amdhsa_user_sgpr_kernarg_preload_offset 0
		.amdhsa_user_sgpr_private_segment_size 0
		.amdhsa_uses_dynamic_stack 0
		.amdhsa_enable_private_segment 0
		.amdhsa_system_sgpr_workgroup_id_x 1
		.amdhsa_system_sgpr_workgroup_id_y 0
		.amdhsa_system_sgpr_workgroup_id_z 0
		.amdhsa_system_sgpr_workgroup_info 0
		.amdhsa_system_vgpr_workitem_id 0
		.amdhsa_next_free_vgpr 1
		.amdhsa_next_free_sgpr 0
		.amdhsa_accum_offset 4
		.amdhsa_reserve_vcc 0
		.amdhsa_float_round_mode_32 0
		.amdhsa_float_round_mode_16_64 0
		.amdhsa_float_denorm_mode_32 3
		.amdhsa_float_denorm_mode_16_64 3
		.amdhsa_dx10_clamp 1
		.amdhsa_ieee_mode 1
		.amdhsa_fp16_overflow 0
		.amdhsa_tg_split 0
		.amdhsa_exception_fp_ieee_invalid_op 0
		.amdhsa_exception_fp_denorm_src 0
		.amdhsa_exception_fp_ieee_div_zero 0
		.amdhsa_exception_fp_ieee_overflow 0
		.amdhsa_exception_fp_ieee_underflow 0
		.amdhsa_exception_fp_ieee_inexact 0
		.amdhsa_exception_int_div_zero 0
	.end_amdhsa_kernel
	.section	.text._ZN7rocprim17ROCPRIM_400000_NS6detail17trampoline_kernelINS0_14default_configENS1_38merge_sort_block_merge_config_selectorIlNS0_10empty_typeEEEZZNS1_27merge_sort_block_merge_implIS3_PlPS5_mZN2at6native12_GLOBAL__N_124unique_dim_cuda_templateIN3c104HalfEEESt5tupleIJNSA_6TensorESH_SH_EERKSH_lbbbEUlllE_EE10hipError_tT0_T1_T2_jT3_P12ihipStream_tbPNSt15iterator_traitsISN_E10value_typeEPNST_ISO_E10value_typeEPSP_NS1_7vsmem_tEENKUlT_SN_SO_SP_E_clIS8_S8_S9_S9_EESM_S12_SN_SO_SP_EUlS12_E_NS1_11comp_targetILNS1_3genE8ELNS1_11target_archE1030ELNS1_3gpuE2ELNS1_3repE0EEENS1_48merge_mergepath_partition_config_static_selectorELNS0_4arch9wavefront6targetE1EEEvSO_,"axG",@progbits,_ZN7rocprim17ROCPRIM_400000_NS6detail17trampoline_kernelINS0_14default_configENS1_38merge_sort_block_merge_config_selectorIlNS0_10empty_typeEEEZZNS1_27merge_sort_block_merge_implIS3_PlPS5_mZN2at6native12_GLOBAL__N_124unique_dim_cuda_templateIN3c104HalfEEESt5tupleIJNSA_6TensorESH_SH_EERKSH_lbbbEUlllE_EE10hipError_tT0_T1_T2_jT3_P12ihipStream_tbPNSt15iterator_traitsISN_E10value_typeEPNST_ISO_E10value_typeEPSP_NS1_7vsmem_tEENKUlT_SN_SO_SP_E_clIS8_S8_S9_S9_EESM_S12_SN_SO_SP_EUlS12_E_NS1_11comp_targetILNS1_3genE8ELNS1_11target_archE1030ELNS1_3gpuE2ELNS1_3repE0EEENS1_48merge_mergepath_partition_config_static_selectorELNS0_4arch9wavefront6targetE1EEEvSO_,comdat
.Lfunc_end1263:
	.size	_ZN7rocprim17ROCPRIM_400000_NS6detail17trampoline_kernelINS0_14default_configENS1_38merge_sort_block_merge_config_selectorIlNS0_10empty_typeEEEZZNS1_27merge_sort_block_merge_implIS3_PlPS5_mZN2at6native12_GLOBAL__N_124unique_dim_cuda_templateIN3c104HalfEEESt5tupleIJNSA_6TensorESH_SH_EERKSH_lbbbEUlllE_EE10hipError_tT0_T1_T2_jT3_P12ihipStream_tbPNSt15iterator_traitsISN_E10value_typeEPNST_ISO_E10value_typeEPSP_NS1_7vsmem_tEENKUlT_SN_SO_SP_E_clIS8_S8_S9_S9_EESM_S12_SN_SO_SP_EUlS12_E_NS1_11comp_targetILNS1_3genE8ELNS1_11target_archE1030ELNS1_3gpuE2ELNS1_3repE0EEENS1_48merge_mergepath_partition_config_static_selectorELNS0_4arch9wavefront6targetE1EEEvSO_, .Lfunc_end1263-_ZN7rocprim17ROCPRIM_400000_NS6detail17trampoline_kernelINS0_14default_configENS1_38merge_sort_block_merge_config_selectorIlNS0_10empty_typeEEEZZNS1_27merge_sort_block_merge_implIS3_PlPS5_mZN2at6native12_GLOBAL__N_124unique_dim_cuda_templateIN3c104HalfEEESt5tupleIJNSA_6TensorESH_SH_EERKSH_lbbbEUlllE_EE10hipError_tT0_T1_T2_jT3_P12ihipStream_tbPNSt15iterator_traitsISN_E10value_typeEPNST_ISO_E10value_typeEPSP_NS1_7vsmem_tEENKUlT_SN_SO_SP_E_clIS8_S8_S9_S9_EESM_S12_SN_SO_SP_EUlS12_E_NS1_11comp_targetILNS1_3genE8ELNS1_11target_archE1030ELNS1_3gpuE2ELNS1_3repE0EEENS1_48merge_mergepath_partition_config_static_selectorELNS0_4arch9wavefront6targetE1EEEvSO_
                                        ; -- End function
	.section	.AMDGPU.csdata,"",@progbits
; Kernel info:
; codeLenInByte = 0
; NumSgprs: 6
; NumVgprs: 0
; NumAgprs: 0
; TotalNumVgprs: 0
; ScratchSize: 0
; MemoryBound: 0
; FloatMode: 240
; IeeeMode: 1
; LDSByteSize: 0 bytes/workgroup (compile time only)
; SGPRBlocks: 0
; VGPRBlocks: 0
; NumSGPRsForWavesPerEU: 6
; NumVGPRsForWavesPerEU: 1
; AccumOffset: 4
; Occupancy: 8
; WaveLimiterHint : 0
; COMPUTE_PGM_RSRC2:SCRATCH_EN: 0
; COMPUTE_PGM_RSRC2:USER_SGPR: 2
; COMPUTE_PGM_RSRC2:TRAP_HANDLER: 0
; COMPUTE_PGM_RSRC2:TGID_X_EN: 1
; COMPUTE_PGM_RSRC2:TGID_Y_EN: 0
; COMPUTE_PGM_RSRC2:TGID_Z_EN: 0
; COMPUTE_PGM_RSRC2:TIDIG_COMP_CNT: 0
; COMPUTE_PGM_RSRC3_GFX90A:ACCUM_OFFSET: 0
; COMPUTE_PGM_RSRC3_GFX90A:TG_SPLIT: 0
	.section	.text._ZN7rocprim17ROCPRIM_400000_NS6detail17trampoline_kernelINS0_14default_configENS1_38merge_sort_block_merge_config_selectorIlNS0_10empty_typeEEEZZNS1_27merge_sort_block_merge_implIS3_PlPS5_mZN2at6native12_GLOBAL__N_124unique_dim_cuda_templateIN3c104HalfEEESt5tupleIJNSA_6TensorESH_SH_EERKSH_lbbbEUlllE_EE10hipError_tT0_T1_T2_jT3_P12ihipStream_tbPNSt15iterator_traitsISN_E10value_typeEPNST_ISO_E10value_typeEPSP_NS1_7vsmem_tEENKUlT_SN_SO_SP_E_clIS8_S8_S9_S9_EESM_S12_SN_SO_SP_EUlS12_E0_NS1_11comp_targetILNS1_3genE0ELNS1_11target_archE4294967295ELNS1_3gpuE0ELNS1_3repE0EEENS1_38merge_mergepath_config_static_selectorELNS0_4arch9wavefront6targetE1EEEvSO_,"axG",@progbits,_ZN7rocprim17ROCPRIM_400000_NS6detail17trampoline_kernelINS0_14default_configENS1_38merge_sort_block_merge_config_selectorIlNS0_10empty_typeEEEZZNS1_27merge_sort_block_merge_implIS3_PlPS5_mZN2at6native12_GLOBAL__N_124unique_dim_cuda_templateIN3c104HalfEEESt5tupleIJNSA_6TensorESH_SH_EERKSH_lbbbEUlllE_EE10hipError_tT0_T1_T2_jT3_P12ihipStream_tbPNSt15iterator_traitsISN_E10value_typeEPNST_ISO_E10value_typeEPSP_NS1_7vsmem_tEENKUlT_SN_SO_SP_E_clIS8_S8_S9_S9_EESM_S12_SN_SO_SP_EUlS12_E0_NS1_11comp_targetILNS1_3genE0ELNS1_11target_archE4294967295ELNS1_3gpuE0ELNS1_3repE0EEENS1_38merge_mergepath_config_static_selectorELNS0_4arch9wavefront6targetE1EEEvSO_,comdat
	.globl	_ZN7rocprim17ROCPRIM_400000_NS6detail17trampoline_kernelINS0_14default_configENS1_38merge_sort_block_merge_config_selectorIlNS0_10empty_typeEEEZZNS1_27merge_sort_block_merge_implIS3_PlPS5_mZN2at6native12_GLOBAL__N_124unique_dim_cuda_templateIN3c104HalfEEESt5tupleIJNSA_6TensorESH_SH_EERKSH_lbbbEUlllE_EE10hipError_tT0_T1_T2_jT3_P12ihipStream_tbPNSt15iterator_traitsISN_E10value_typeEPNST_ISO_E10value_typeEPSP_NS1_7vsmem_tEENKUlT_SN_SO_SP_E_clIS8_S8_S9_S9_EESM_S12_SN_SO_SP_EUlS12_E0_NS1_11comp_targetILNS1_3genE0ELNS1_11target_archE4294967295ELNS1_3gpuE0ELNS1_3repE0EEENS1_38merge_mergepath_config_static_selectorELNS0_4arch9wavefront6targetE1EEEvSO_ ; -- Begin function _ZN7rocprim17ROCPRIM_400000_NS6detail17trampoline_kernelINS0_14default_configENS1_38merge_sort_block_merge_config_selectorIlNS0_10empty_typeEEEZZNS1_27merge_sort_block_merge_implIS3_PlPS5_mZN2at6native12_GLOBAL__N_124unique_dim_cuda_templateIN3c104HalfEEESt5tupleIJNSA_6TensorESH_SH_EERKSH_lbbbEUlllE_EE10hipError_tT0_T1_T2_jT3_P12ihipStream_tbPNSt15iterator_traitsISN_E10value_typeEPNST_ISO_E10value_typeEPSP_NS1_7vsmem_tEENKUlT_SN_SO_SP_E_clIS8_S8_S9_S9_EESM_S12_SN_SO_SP_EUlS12_E0_NS1_11comp_targetILNS1_3genE0ELNS1_11target_archE4294967295ELNS1_3gpuE0ELNS1_3repE0EEENS1_38merge_mergepath_config_static_selectorELNS0_4arch9wavefront6targetE1EEEvSO_
	.p2align	8
	.type	_ZN7rocprim17ROCPRIM_400000_NS6detail17trampoline_kernelINS0_14default_configENS1_38merge_sort_block_merge_config_selectorIlNS0_10empty_typeEEEZZNS1_27merge_sort_block_merge_implIS3_PlPS5_mZN2at6native12_GLOBAL__N_124unique_dim_cuda_templateIN3c104HalfEEESt5tupleIJNSA_6TensorESH_SH_EERKSH_lbbbEUlllE_EE10hipError_tT0_T1_T2_jT3_P12ihipStream_tbPNSt15iterator_traitsISN_E10value_typeEPNST_ISO_E10value_typeEPSP_NS1_7vsmem_tEENKUlT_SN_SO_SP_E_clIS8_S8_S9_S9_EESM_S12_SN_SO_SP_EUlS12_E0_NS1_11comp_targetILNS1_3genE0ELNS1_11target_archE4294967295ELNS1_3gpuE0ELNS1_3repE0EEENS1_38merge_mergepath_config_static_selectorELNS0_4arch9wavefront6targetE1EEEvSO_,@function
_ZN7rocprim17ROCPRIM_400000_NS6detail17trampoline_kernelINS0_14default_configENS1_38merge_sort_block_merge_config_selectorIlNS0_10empty_typeEEEZZNS1_27merge_sort_block_merge_implIS3_PlPS5_mZN2at6native12_GLOBAL__N_124unique_dim_cuda_templateIN3c104HalfEEESt5tupleIJNSA_6TensorESH_SH_EERKSH_lbbbEUlllE_EE10hipError_tT0_T1_T2_jT3_P12ihipStream_tbPNSt15iterator_traitsISN_E10value_typeEPNST_ISO_E10value_typeEPSP_NS1_7vsmem_tEENKUlT_SN_SO_SP_E_clIS8_S8_S9_S9_EESM_S12_SN_SO_SP_EUlS12_E0_NS1_11comp_targetILNS1_3genE0ELNS1_11target_archE4294967295ELNS1_3gpuE0ELNS1_3repE0EEENS1_38merge_mergepath_config_static_selectorELNS0_4arch9wavefront6targetE1EEEvSO_: ; @_ZN7rocprim17ROCPRIM_400000_NS6detail17trampoline_kernelINS0_14default_configENS1_38merge_sort_block_merge_config_selectorIlNS0_10empty_typeEEEZZNS1_27merge_sort_block_merge_implIS3_PlPS5_mZN2at6native12_GLOBAL__N_124unique_dim_cuda_templateIN3c104HalfEEESt5tupleIJNSA_6TensorESH_SH_EERKSH_lbbbEUlllE_EE10hipError_tT0_T1_T2_jT3_P12ihipStream_tbPNSt15iterator_traitsISN_E10value_typeEPNST_ISO_E10value_typeEPSP_NS1_7vsmem_tEENKUlT_SN_SO_SP_E_clIS8_S8_S9_S9_EESM_S12_SN_SO_SP_EUlS12_E0_NS1_11comp_targetILNS1_3genE0ELNS1_11target_archE4294967295ELNS1_3gpuE0ELNS1_3repE0EEENS1_38merge_mergepath_config_static_selectorELNS0_4arch9wavefront6targetE1EEEvSO_
; %bb.0:
	.section	.rodata,"a",@progbits
	.p2align	6, 0x0
	.amdhsa_kernel _ZN7rocprim17ROCPRIM_400000_NS6detail17trampoline_kernelINS0_14default_configENS1_38merge_sort_block_merge_config_selectorIlNS0_10empty_typeEEEZZNS1_27merge_sort_block_merge_implIS3_PlPS5_mZN2at6native12_GLOBAL__N_124unique_dim_cuda_templateIN3c104HalfEEESt5tupleIJNSA_6TensorESH_SH_EERKSH_lbbbEUlllE_EE10hipError_tT0_T1_T2_jT3_P12ihipStream_tbPNSt15iterator_traitsISN_E10value_typeEPNST_ISO_E10value_typeEPSP_NS1_7vsmem_tEENKUlT_SN_SO_SP_E_clIS8_S8_S9_S9_EESM_S12_SN_SO_SP_EUlS12_E0_NS1_11comp_targetILNS1_3genE0ELNS1_11target_archE4294967295ELNS1_3gpuE0ELNS1_3repE0EEENS1_38merge_mergepath_config_static_selectorELNS0_4arch9wavefront6targetE1EEEvSO_
		.amdhsa_group_segment_fixed_size 0
		.amdhsa_private_segment_fixed_size 0
		.amdhsa_kernarg_size 88
		.amdhsa_user_sgpr_count 2
		.amdhsa_user_sgpr_dispatch_ptr 0
		.amdhsa_user_sgpr_queue_ptr 0
		.amdhsa_user_sgpr_kernarg_segment_ptr 1
		.amdhsa_user_sgpr_dispatch_id 0
		.amdhsa_user_sgpr_kernarg_preload_length 0
		.amdhsa_user_sgpr_kernarg_preload_offset 0
		.amdhsa_user_sgpr_private_segment_size 0
		.amdhsa_uses_dynamic_stack 0
		.amdhsa_enable_private_segment 0
		.amdhsa_system_sgpr_workgroup_id_x 1
		.amdhsa_system_sgpr_workgroup_id_y 0
		.amdhsa_system_sgpr_workgroup_id_z 0
		.amdhsa_system_sgpr_workgroup_info 0
		.amdhsa_system_vgpr_workitem_id 0
		.amdhsa_next_free_vgpr 1
		.amdhsa_next_free_sgpr 0
		.amdhsa_accum_offset 4
		.amdhsa_reserve_vcc 0
		.amdhsa_float_round_mode_32 0
		.amdhsa_float_round_mode_16_64 0
		.amdhsa_float_denorm_mode_32 3
		.amdhsa_float_denorm_mode_16_64 3
		.amdhsa_dx10_clamp 1
		.amdhsa_ieee_mode 1
		.amdhsa_fp16_overflow 0
		.amdhsa_tg_split 0
		.amdhsa_exception_fp_ieee_invalid_op 0
		.amdhsa_exception_fp_denorm_src 0
		.amdhsa_exception_fp_ieee_div_zero 0
		.amdhsa_exception_fp_ieee_overflow 0
		.amdhsa_exception_fp_ieee_underflow 0
		.amdhsa_exception_fp_ieee_inexact 0
		.amdhsa_exception_int_div_zero 0
	.end_amdhsa_kernel
	.section	.text._ZN7rocprim17ROCPRIM_400000_NS6detail17trampoline_kernelINS0_14default_configENS1_38merge_sort_block_merge_config_selectorIlNS0_10empty_typeEEEZZNS1_27merge_sort_block_merge_implIS3_PlPS5_mZN2at6native12_GLOBAL__N_124unique_dim_cuda_templateIN3c104HalfEEESt5tupleIJNSA_6TensorESH_SH_EERKSH_lbbbEUlllE_EE10hipError_tT0_T1_T2_jT3_P12ihipStream_tbPNSt15iterator_traitsISN_E10value_typeEPNST_ISO_E10value_typeEPSP_NS1_7vsmem_tEENKUlT_SN_SO_SP_E_clIS8_S8_S9_S9_EESM_S12_SN_SO_SP_EUlS12_E0_NS1_11comp_targetILNS1_3genE0ELNS1_11target_archE4294967295ELNS1_3gpuE0ELNS1_3repE0EEENS1_38merge_mergepath_config_static_selectorELNS0_4arch9wavefront6targetE1EEEvSO_,"axG",@progbits,_ZN7rocprim17ROCPRIM_400000_NS6detail17trampoline_kernelINS0_14default_configENS1_38merge_sort_block_merge_config_selectorIlNS0_10empty_typeEEEZZNS1_27merge_sort_block_merge_implIS3_PlPS5_mZN2at6native12_GLOBAL__N_124unique_dim_cuda_templateIN3c104HalfEEESt5tupleIJNSA_6TensorESH_SH_EERKSH_lbbbEUlllE_EE10hipError_tT0_T1_T2_jT3_P12ihipStream_tbPNSt15iterator_traitsISN_E10value_typeEPNST_ISO_E10value_typeEPSP_NS1_7vsmem_tEENKUlT_SN_SO_SP_E_clIS8_S8_S9_S9_EESM_S12_SN_SO_SP_EUlS12_E0_NS1_11comp_targetILNS1_3genE0ELNS1_11target_archE4294967295ELNS1_3gpuE0ELNS1_3repE0EEENS1_38merge_mergepath_config_static_selectorELNS0_4arch9wavefront6targetE1EEEvSO_,comdat
.Lfunc_end1264:
	.size	_ZN7rocprim17ROCPRIM_400000_NS6detail17trampoline_kernelINS0_14default_configENS1_38merge_sort_block_merge_config_selectorIlNS0_10empty_typeEEEZZNS1_27merge_sort_block_merge_implIS3_PlPS5_mZN2at6native12_GLOBAL__N_124unique_dim_cuda_templateIN3c104HalfEEESt5tupleIJNSA_6TensorESH_SH_EERKSH_lbbbEUlllE_EE10hipError_tT0_T1_T2_jT3_P12ihipStream_tbPNSt15iterator_traitsISN_E10value_typeEPNST_ISO_E10value_typeEPSP_NS1_7vsmem_tEENKUlT_SN_SO_SP_E_clIS8_S8_S9_S9_EESM_S12_SN_SO_SP_EUlS12_E0_NS1_11comp_targetILNS1_3genE0ELNS1_11target_archE4294967295ELNS1_3gpuE0ELNS1_3repE0EEENS1_38merge_mergepath_config_static_selectorELNS0_4arch9wavefront6targetE1EEEvSO_, .Lfunc_end1264-_ZN7rocprim17ROCPRIM_400000_NS6detail17trampoline_kernelINS0_14default_configENS1_38merge_sort_block_merge_config_selectorIlNS0_10empty_typeEEEZZNS1_27merge_sort_block_merge_implIS3_PlPS5_mZN2at6native12_GLOBAL__N_124unique_dim_cuda_templateIN3c104HalfEEESt5tupleIJNSA_6TensorESH_SH_EERKSH_lbbbEUlllE_EE10hipError_tT0_T1_T2_jT3_P12ihipStream_tbPNSt15iterator_traitsISN_E10value_typeEPNST_ISO_E10value_typeEPSP_NS1_7vsmem_tEENKUlT_SN_SO_SP_E_clIS8_S8_S9_S9_EESM_S12_SN_SO_SP_EUlS12_E0_NS1_11comp_targetILNS1_3genE0ELNS1_11target_archE4294967295ELNS1_3gpuE0ELNS1_3repE0EEENS1_38merge_mergepath_config_static_selectorELNS0_4arch9wavefront6targetE1EEEvSO_
                                        ; -- End function
	.section	.AMDGPU.csdata,"",@progbits
; Kernel info:
; codeLenInByte = 0
; NumSgprs: 6
; NumVgprs: 0
; NumAgprs: 0
; TotalNumVgprs: 0
; ScratchSize: 0
; MemoryBound: 0
; FloatMode: 240
; IeeeMode: 1
; LDSByteSize: 0 bytes/workgroup (compile time only)
; SGPRBlocks: 0
; VGPRBlocks: 0
; NumSGPRsForWavesPerEU: 6
; NumVGPRsForWavesPerEU: 1
; AccumOffset: 4
; Occupancy: 8
; WaveLimiterHint : 0
; COMPUTE_PGM_RSRC2:SCRATCH_EN: 0
; COMPUTE_PGM_RSRC2:USER_SGPR: 2
; COMPUTE_PGM_RSRC2:TRAP_HANDLER: 0
; COMPUTE_PGM_RSRC2:TGID_X_EN: 1
; COMPUTE_PGM_RSRC2:TGID_Y_EN: 0
; COMPUTE_PGM_RSRC2:TGID_Z_EN: 0
; COMPUTE_PGM_RSRC2:TIDIG_COMP_CNT: 0
; COMPUTE_PGM_RSRC3_GFX90A:ACCUM_OFFSET: 0
; COMPUTE_PGM_RSRC3_GFX90A:TG_SPLIT: 0
	.section	.text._ZN7rocprim17ROCPRIM_400000_NS6detail17trampoline_kernelINS0_14default_configENS1_38merge_sort_block_merge_config_selectorIlNS0_10empty_typeEEEZZNS1_27merge_sort_block_merge_implIS3_PlPS5_mZN2at6native12_GLOBAL__N_124unique_dim_cuda_templateIN3c104HalfEEESt5tupleIJNSA_6TensorESH_SH_EERKSH_lbbbEUlllE_EE10hipError_tT0_T1_T2_jT3_P12ihipStream_tbPNSt15iterator_traitsISN_E10value_typeEPNST_ISO_E10value_typeEPSP_NS1_7vsmem_tEENKUlT_SN_SO_SP_E_clIS8_S8_S9_S9_EESM_S12_SN_SO_SP_EUlS12_E0_NS1_11comp_targetILNS1_3genE10ELNS1_11target_archE1201ELNS1_3gpuE5ELNS1_3repE0EEENS1_38merge_mergepath_config_static_selectorELNS0_4arch9wavefront6targetE1EEEvSO_,"axG",@progbits,_ZN7rocprim17ROCPRIM_400000_NS6detail17trampoline_kernelINS0_14default_configENS1_38merge_sort_block_merge_config_selectorIlNS0_10empty_typeEEEZZNS1_27merge_sort_block_merge_implIS3_PlPS5_mZN2at6native12_GLOBAL__N_124unique_dim_cuda_templateIN3c104HalfEEESt5tupleIJNSA_6TensorESH_SH_EERKSH_lbbbEUlllE_EE10hipError_tT0_T1_T2_jT3_P12ihipStream_tbPNSt15iterator_traitsISN_E10value_typeEPNST_ISO_E10value_typeEPSP_NS1_7vsmem_tEENKUlT_SN_SO_SP_E_clIS8_S8_S9_S9_EESM_S12_SN_SO_SP_EUlS12_E0_NS1_11comp_targetILNS1_3genE10ELNS1_11target_archE1201ELNS1_3gpuE5ELNS1_3repE0EEENS1_38merge_mergepath_config_static_selectorELNS0_4arch9wavefront6targetE1EEEvSO_,comdat
	.globl	_ZN7rocprim17ROCPRIM_400000_NS6detail17trampoline_kernelINS0_14default_configENS1_38merge_sort_block_merge_config_selectorIlNS0_10empty_typeEEEZZNS1_27merge_sort_block_merge_implIS3_PlPS5_mZN2at6native12_GLOBAL__N_124unique_dim_cuda_templateIN3c104HalfEEESt5tupleIJNSA_6TensorESH_SH_EERKSH_lbbbEUlllE_EE10hipError_tT0_T1_T2_jT3_P12ihipStream_tbPNSt15iterator_traitsISN_E10value_typeEPNST_ISO_E10value_typeEPSP_NS1_7vsmem_tEENKUlT_SN_SO_SP_E_clIS8_S8_S9_S9_EESM_S12_SN_SO_SP_EUlS12_E0_NS1_11comp_targetILNS1_3genE10ELNS1_11target_archE1201ELNS1_3gpuE5ELNS1_3repE0EEENS1_38merge_mergepath_config_static_selectorELNS0_4arch9wavefront6targetE1EEEvSO_ ; -- Begin function _ZN7rocprim17ROCPRIM_400000_NS6detail17trampoline_kernelINS0_14default_configENS1_38merge_sort_block_merge_config_selectorIlNS0_10empty_typeEEEZZNS1_27merge_sort_block_merge_implIS3_PlPS5_mZN2at6native12_GLOBAL__N_124unique_dim_cuda_templateIN3c104HalfEEESt5tupleIJNSA_6TensorESH_SH_EERKSH_lbbbEUlllE_EE10hipError_tT0_T1_T2_jT3_P12ihipStream_tbPNSt15iterator_traitsISN_E10value_typeEPNST_ISO_E10value_typeEPSP_NS1_7vsmem_tEENKUlT_SN_SO_SP_E_clIS8_S8_S9_S9_EESM_S12_SN_SO_SP_EUlS12_E0_NS1_11comp_targetILNS1_3genE10ELNS1_11target_archE1201ELNS1_3gpuE5ELNS1_3repE0EEENS1_38merge_mergepath_config_static_selectorELNS0_4arch9wavefront6targetE1EEEvSO_
	.p2align	8
	.type	_ZN7rocprim17ROCPRIM_400000_NS6detail17trampoline_kernelINS0_14default_configENS1_38merge_sort_block_merge_config_selectorIlNS0_10empty_typeEEEZZNS1_27merge_sort_block_merge_implIS3_PlPS5_mZN2at6native12_GLOBAL__N_124unique_dim_cuda_templateIN3c104HalfEEESt5tupleIJNSA_6TensorESH_SH_EERKSH_lbbbEUlllE_EE10hipError_tT0_T1_T2_jT3_P12ihipStream_tbPNSt15iterator_traitsISN_E10value_typeEPNST_ISO_E10value_typeEPSP_NS1_7vsmem_tEENKUlT_SN_SO_SP_E_clIS8_S8_S9_S9_EESM_S12_SN_SO_SP_EUlS12_E0_NS1_11comp_targetILNS1_3genE10ELNS1_11target_archE1201ELNS1_3gpuE5ELNS1_3repE0EEENS1_38merge_mergepath_config_static_selectorELNS0_4arch9wavefront6targetE1EEEvSO_,@function
_ZN7rocprim17ROCPRIM_400000_NS6detail17trampoline_kernelINS0_14default_configENS1_38merge_sort_block_merge_config_selectorIlNS0_10empty_typeEEEZZNS1_27merge_sort_block_merge_implIS3_PlPS5_mZN2at6native12_GLOBAL__N_124unique_dim_cuda_templateIN3c104HalfEEESt5tupleIJNSA_6TensorESH_SH_EERKSH_lbbbEUlllE_EE10hipError_tT0_T1_T2_jT3_P12ihipStream_tbPNSt15iterator_traitsISN_E10value_typeEPNST_ISO_E10value_typeEPSP_NS1_7vsmem_tEENKUlT_SN_SO_SP_E_clIS8_S8_S9_S9_EESM_S12_SN_SO_SP_EUlS12_E0_NS1_11comp_targetILNS1_3genE10ELNS1_11target_archE1201ELNS1_3gpuE5ELNS1_3repE0EEENS1_38merge_mergepath_config_static_selectorELNS0_4arch9wavefront6targetE1EEEvSO_: ; @_ZN7rocprim17ROCPRIM_400000_NS6detail17trampoline_kernelINS0_14default_configENS1_38merge_sort_block_merge_config_selectorIlNS0_10empty_typeEEEZZNS1_27merge_sort_block_merge_implIS3_PlPS5_mZN2at6native12_GLOBAL__N_124unique_dim_cuda_templateIN3c104HalfEEESt5tupleIJNSA_6TensorESH_SH_EERKSH_lbbbEUlllE_EE10hipError_tT0_T1_T2_jT3_P12ihipStream_tbPNSt15iterator_traitsISN_E10value_typeEPNST_ISO_E10value_typeEPSP_NS1_7vsmem_tEENKUlT_SN_SO_SP_E_clIS8_S8_S9_S9_EESM_S12_SN_SO_SP_EUlS12_E0_NS1_11comp_targetILNS1_3genE10ELNS1_11target_archE1201ELNS1_3gpuE5ELNS1_3repE0EEENS1_38merge_mergepath_config_static_selectorELNS0_4arch9wavefront6targetE1EEEvSO_
; %bb.0:
	.section	.rodata,"a",@progbits
	.p2align	6, 0x0
	.amdhsa_kernel _ZN7rocprim17ROCPRIM_400000_NS6detail17trampoline_kernelINS0_14default_configENS1_38merge_sort_block_merge_config_selectorIlNS0_10empty_typeEEEZZNS1_27merge_sort_block_merge_implIS3_PlPS5_mZN2at6native12_GLOBAL__N_124unique_dim_cuda_templateIN3c104HalfEEESt5tupleIJNSA_6TensorESH_SH_EERKSH_lbbbEUlllE_EE10hipError_tT0_T1_T2_jT3_P12ihipStream_tbPNSt15iterator_traitsISN_E10value_typeEPNST_ISO_E10value_typeEPSP_NS1_7vsmem_tEENKUlT_SN_SO_SP_E_clIS8_S8_S9_S9_EESM_S12_SN_SO_SP_EUlS12_E0_NS1_11comp_targetILNS1_3genE10ELNS1_11target_archE1201ELNS1_3gpuE5ELNS1_3repE0EEENS1_38merge_mergepath_config_static_selectorELNS0_4arch9wavefront6targetE1EEEvSO_
		.amdhsa_group_segment_fixed_size 0
		.amdhsa_private_segment_fixed_size 0
		.amdhsa_kernarg_size 88
		.amdhsa_user_sgpr_count 2
		.amdhsa_user_sgpr_dispatch_ptr 0
		.amdhsa_user_sgpr_queue_ptr 0
		.amdhsa_user_sgpr_kernarg_segment_ptr 1
		.amdhsa_user_sgpr_dispatch_id 0
		.amdhsa_user_sgpr_kernarg_preload_length 0
		.amdhsa_user_sgpr_kernarg_preload_offset 0
		.amdhsa_user_sgpr_private_segment_size 0
		.amdhsa_uses_dynamic_stack 0
		.amdhsa_enable_private_segment 0
		.amdhsa_system_sgpr_workgroup_id_x 1
		.amdhsa_system_sgpr_workgroup_id_y 0
		.amdhsa_system_sgpr_workgroup_id_z 0
		.amdhsa_system_sgpr_workgroup_info 0
		.amdhsa_system_vgpr_workitem_id 0
		.amdhsa_next_free_vgpr 1
		.amdhsa_next_free_sgpr 0
		.amdhsa_accum_offset 4
		.amdhsa_reserve_vcc 0
		.amdhsa_float_round_mode_32 0
		.amdhsa_float_round_mode_16_64 0
		.amdhsa_float_denorm_mode_32 3
		.amdhsa_float_denorm_mode_16_64 3
		.amdhsa_dx10_clamp 1
		.amdhsa_ieee_mode 1
		.amdhsa_fp16_overflow 0
		.amdhsa_tg_split 0
		.amdhsa_exception_fp_ieee_invalid_op 0
		.amdhsa_exception_fp_denorm_src 0
		.amdhsa_exception_fp_ieee_div_zero 0
		.amdhsa_exception_fp_ieee_overflow 0
		.amdhsa_exception_fp_ieee_underflow 0
		.amdhsa_exception_fp_ieee_inexact 0
		.amdhsa_exception_int_div_zero 0
	.end_amdhsa_kernel
	.section	.text._ZN7rocprim17ROCPRIM_400000_NS6detail17trampoline_kernelINS0_14default_configENS1_38merge_sort_block_merge_config_selectorIlNS0_10empty_typeEEEZZNS1_27merge_sort_block_merge_implIS3_PlPS5_mZN2at6native12_GLOBAL__N_124unique_dim_cuda_templateIN3c104HalfEEESt5tupleIJNSA_6TensorESH_SH_EERKSH_lbbbEUlllE_EE10hipError_tT0_T1_T2_jT3_P12ihipStream_tbPNSt15iterator_traitsISN_E10value_typeEPNST_ISO_E10value_typeEPSP_NS1_7vsmem_tEENKUlT_SN_SO_SP_E_clIS8_S8_S9_S9_EESM_S12_SN_SO_SP_EUlS12_E0_NS1_11comp_targetILNS1_3genE10ELNS1_11target_archE1201ELNS1_3gpuE5ELNS1_3repE0EEENS1_38merge_mergepath_config_static_selectorELNS0_4arch9wavefront6targetE1EEEvSO_,"axG",@progbits,_ZN7rocprim17ROCPRIM_400000_NS6detail17trampoline_kernelINS0_14default_configENS1_38merge_sort_block_merge_config_selectorIlNS0_10empty_typeEEEZZNS1_27merge_sort_block_merge_implIS3_PlPS5_mZN2at6native12_GLOBAL__N_124unique_dim_cuda_templateIN3c104HalfEEESt5tupleIJNSA_6TensorESH_SH_EERKSH_lbbbEUlllE_EE10hipError_tT0_T1_T2_jT3_P12ihipStream_tbPNSt15iterator_traitsISN_E10value_typeEPNST_ISO_E10value_typeEPSP_NS1_7vsmem_tEENKUlT_SN_SO_SP_E_clIS8_S8_S9_S9_EESM_S12_SN_SO_SP_EUlS12_E0_NS1_11comp_targetILNS1_3genE10ELNS1_11target_archE1201ELNS1_3gpuE5ELNS1_3repE0EEENS1_38merge_mergepath_config_static_selectorELNS0_4arch9wavefront6targetE1EEEvSO_,comdat
.Lfunc_end1265:
	.size	_ZN7rocprim17ROCPRIM_400000_NS6detail17trampoline_kernelINS0_14default_configENS1_38merge_sort_block_merge_config_selectorIlNS0_10empty_typeEEEZZNS1_27merge_sort_block_merge_implIS3_PlPS5_mZN2at6native12_GLOBAL__N_124unique_dim_cuda_templateIN3c104HalfEEESt5tupleIJNSA_6TensorESH_SH_EERKSH_lbbbEUlllE_EE10hipError_tT0_T1_T2_jT3_P12ihipStream_tbPNSt15iterator_traitsISN_E10value_typeEPNST_ISO_E10value_typeEPSP_NS1_7vsmem_tEENKUlT_SN_SO_SP_E_clIS8_S8_S9_S9_EESM_S12_SN_SO_SP_EUlS12_E0_NS1_11comp_targetILNS1_3genE10ELNS1_11target_archE1201ELNS1_3gpuE5ELNS1_3repE0EEENS1_38merge_mergepath_config_static_selectorELNS0_4arch9wavefront6targetE1EEEvSO_, .Lfunc_end1265-_ZN7rocprim17ROCPRIM_400000_NS6detail17trampoline_kernelINS0_14default_configENS1_38merge_sort_block_merge_config_selectorIlNS0_10empty_typeEEEZZNS1_27merge_sort_block_merge_implIS3_PlPS5_mZN2at6native12_GLOBAL__N_124unique_dim_cuda_templateIN3c104HalfEEESt5tupleIJNSA_6TensorESH_SH_EERKSH_lbbbEUlllE_EE10hipError_tT0_T1_T2_jT3_P12ihipStream_tbPNSt15iterator_traitsISN_E10value_typeEPNST_ISO_E10value_typeEPSP_NS1_7vsmem_tEENKUlT_SN_SO_SP_E_clIS8_S8_S9_S9_EESM_S12_SN_SO_SP_EUlS12_E0_NS1_11comp_targetILNS1_3genE10ELNS1_11target_archE1201ELNS1_3gpuE5ELNS1_3repE0EEENS1_38merge_mergepath_config_static_selectorELNS0_4arch9wavefront6targetE1EEEvSO_
                                        ; -- End function
	.section	.AMDGPU.csdata,"",@progbits
; Kernel info:
; codeLenInByte = 0
; NumSgprs: 6
; NumVgprs: 0
; NumAgprs: 0
; TotalNumVgprs: 0
; ScratchSize: 0
; MemoryBound: 0
; FloatMode: 240
; IeeeMode: 1
; LDSByteSize: 0 bytes/workgroup (compile time only)
; SGPRBlocks: 0
; VGPRBlocks: 0
; NumSGPRsForWavesPerEU: 6
; NumVGPRsForWavesPerEU: 1
; AccumOffset: 4
; Occupancy: 8
; WaveLimiterHint : 0
; COMPUTE_PGM_RSRC2:SCRATCH_EN: 0
; COMPUTE_PGM_RSRC2:USER_SGPR: 2
; COMPUTE_PGM_RSRC2:TRAP_HANDLER: 0
; COMPUTE_PGM_RSRC2:TGID_X_EN: 1
; COMPUTE_PGM_RSRC2:TGID_Y_EN: 0
; COMPUTE_PGM_RSRC2:TGID_Z_EN: 0
; COMPUTE_PGM_RSRC2:TIDIG_COMP_CNT: 0
; COMPUTE_PGM_RSRC3_GFX90A:ACCUM_OFFSET: 0
; COMPUTE_PGM_RSRC3_GFX90A:TG_SPLIT: 0
	.section	.text._ZN7rocprim17ROCPRIM_400000_NS6detail17trampoline_kernelINS0_14default_configENS1_38merge_sort_block_merge_config_selectorIlNS0_10empty_typeEEEZZNS1_27merge_sort_block_merge_implIS3_PlPS5_mZN2at6native12_GLOBAL__N_124unique_dim_cuda_templateIN3c104HalfEEESt5tupleIJNSA_6TensorESH_SH_EERKSH_lbbbEUlllE_EE10hipError_tT0_T1_T2_jT3_P12ihipStream_tbPNSt15iterator_traitsISN_E10value_typeEPNST_ISO_E10value_typeEPSP_NS1_7vsmem_tEENKUlT_SN_SO_SP_E_clIS8_S8_S9_S9_EESM_S12_SN_SO_SP_EUlS12_E0_NS1_11comp_targetILNS1_3genE5ELNS1_11target_archE942ELNS1_3gpuE9ELNS1_3repE0EEENS1_38merge_mergepath_config_static_selectorELNS0_4arch9wavefront6targetE1EEEvSO_,"axG",@progbits,_ZN7rocprim17ROCPRIM_400000_NS6detail17trampoline_kernelINS0_14default_configENS1_38merge_sort_block_merge_config_selectorIlNS0_10empty_typeEEEZZNS1_27merge_sort_block_merge_implIS3_PlPS5_mZN2at6native12_GLOBAL__N_124unique_dim_cuda_templateIN3c104HalfEEESt5tupleIJNSA_6TensorESH_SH_EERKSH_lbbbEUlllE_EE10hipError_tT0_T1_T2_jT3_P12ihipStream_tbPNSt15iterator_traitsISN_E10value_typeEPNST_ISO_E10value_typeEPSP_NS1_7vsmem_tEENKUlT_SN_SO_SP_E_clIS8_S8_S9_S9_EESM_S12_SN_SO_SP_EUlS12_E0_NS1_11comp_targetILNS1_3genE5ELNS1_11target_archE942ELNS1_3gpuE9ELNS1_3repE0EEENS1_38merge_mergepath_config_static_selectorELNS0_4arch9wavefront6targetE1EEEvSO_,comdat
	.globl	_ZN7rocprim17ROCPRIM_400000_NS6detail17trampoline_kernelINS0_14default_configENS1_38merge_sort_block_merge_config_selectorIlNS0_10empty_typeEEEZZNS1_27merge_sort_block_merge_implIS3_PlPS5_mZN2at6native12_GLOBAL__N_124unique_dim_cuda_templateIN3c104HalfEEESt5tupleIJNSA_6TensorESH_SH_EERKSH_lbbbEUlllE_EE10hipError_tT0_T1_T2_jT3_P12ihipStream_tbPNSt15iterator_traitsISN_E10value_typeEPNST_ISO_E10value_typeEPSP_NS1_7vsmem_tEENKUlT_SN_SO_SP_E_clIS8_S8_S9_S9_EESM_S12_SN_SO_SP_EUlS12_E0_NS1_11comp_targetILNS1_3genE5ELNS1_11target_archE942ELNS1_3gpuE9ELNS1_3repE0EEENS1_38merge_mergepath_config_static_selectorELNS0_4arch9wavefront6targetE1EEEvSO_ ; -- Begin function _ZN7rocprim17ROCPRIM_400000_NS6detail17trampoline_kernelINS0_14default_configENS1_38merge_sort_block_merge_config_selectorIlNS0_10empty_typeEEEZZNS1_27merge_sort_block_merge_implIS3_PlPS5_mZN2at6native12_GLOBAL__N_124unique_dim_cuda_templateIN3c104HalfEEESt5tupleIJNSA_6TensorESH_SH_EERKSH_lbbbEUlllE_EE10hipError_tT0_T1_T2_jT3_P12ihipStream_tbPNSt15iterator_traitsISN_E10value_typeEPNST_ISO_E10value_typeEPSP_NS1_7vsmem_tEENKUlT_SN_SO_SP_E_clIS8_S8_S9_S9_EESM_S12_SN_SO_SP_EUlS12_E0_NS1_11comp_targetILNS1_3genE5ELNS1_11target_archE942ELNS1_3gpuE9ELNS1_3repE0EEENS1_38merge_mergepath_config_static_selectorELNS0_4arch9wavefront6targetE1EEEvSO_
	.p2align	8
	.type	_ZN7rocprim17ROCPRIM_400000_NS6detail17trampoline_kernelINS0_14default_configENS1_38merge_sort_block_merge_config_selectorIlNS0_10empty_typeEEEZZNS1_27merge_sort_block_merge_implIS3_PlPS5_mZN2at6native12_GLOBAL__N_124unique_dim_cuda_templateIN3c104HalfEEESt5tupleIJNSA_6TensorESH_SH_EERKSH_lbbbEUlllE_EE10hipError_tT0_T1_T2_jT3_P12ihipStream_tbPNSt15iterator_traitsISN_E10value_typeEPNST_ISO_E10value_typeEPSP_NS1_7vsmem_tEENKUlT_SN_SO_SP_E_clIS8_S8_S9_S9_EESM_S12_SN_SO_SP_EUlS12_E0_NS1_11comp_targetILNS1_3genE5ELNS1_11target_archE942ELNS1_3gpuE9ELNS1_3repE0EEENS1_38merge_mergepath_config_static_selectorELNS0_4arch9wavefront6targetE1EEEvSO_,@function
_ZN7rocprim17ROCPRIM_400000_NS6detail17trampoline_kernelINS0_14default_configENS1_38merge_sort_block_merge_config_selectorIlNS0_10empty_typeEEEZZNS1_27merge_sort_block_merge_implIS3_PlPS5_mZN2at6native12_GLOBAL__N_124unique_dim_cuda_templateIN3c104HalfEEESt5tupleIJNSA_6TensorESH_SH_EERKSH_lbbbEUlllE_EE10hipError_tT0_T1_T2_jT3_P12ihipStream_tbPNSt15iterator_traitsISN_E10value_typeEPNST_ISO_E10value_typeEPSP_NS1_7vsmem_tEENKUlT_SN_SO_SP_E_clIS8_S8_S9_S9_EESM_S12_SN_SO_SP_EUlS12_E0_NS1_11comp_targetILNS1_3genE5ELNS1_11target_archE942ELNS1_3gpuE9ELNS1_3repE0EEENS1_38merge_mergepath_config_static_selectorELNS0_4arch9wavefront6targetE1EEEvSO_: ; @_ZN7rocprim17ROCPRIM_400000_NS6detail17trampoline_kernelINS0_14default_configENS1_38merge_sort_block_merge_config_selectorIlNS0_10empty_typeEEEZZNS1_27merge_sort_block_merge_implIS3_PlPS5_mZN2at6native12_GLOBAL__N_124unique_dim_cuda_templateIN3c104HalfEEESt5tupleIJNSA_6TensorESH_SH_EERKSH_lbbbEUlllE_EE10hipError_tT0_T1_T2_jT3_P12ihipStream_tbPNSt15iterator_traitsISN_E10value_typeEPNST_ISO_E10value_typeEPSP_NS1_7vsmem_tEENKUlT_SN_SO_SP_E_clIS8_S8_S9_S9_EESM_S12_SN_SO_SP_EUlS12_E0_NS1_11comp_targetILNS1_3genE5ELNS1_11target_archE942ELNS1_3gpuE9ELNS1_3repE0EEENS1_38merge_mergepath_config_static_selectorELNS0_4arch9wavefront6targetE1EEEvSO_
; %bb.0:
	s_load_dwordx2 s[24:25], s[0:1], 0x58
	s_load_dword s5, s[0:1], 0x38
	s_add_u32 s22, s0, 0x58
	s_addc_u32 s23, s1, 0
	s_waitcnt lgkmcnt(0)
	s_mul_i32 s4, s25, s4
	s_add_i32 s3, s4, s3
	s_mul_i32 s3, s3, s24
	s_add_i32 s6, s3, s2
	s_cmp_ge_u32 s6, s5
	s_cbranch_scc1 .LBB1266_138
; %bb.1:
	s_load_dwordx2 s[4:5], s[0:1], 0x50
	s_load_dwordx4 s[12:15], s[0:1], 0x8
	s_load_dwordx4 s[8:11], s[0:1], 0x28
	s_mov_b32 s7, 0
	s_lshl_b64 s[16:17], s[6:7], 3
	s_waitcnt lgkmcnt(0)
	s_add_u32 s4, s4, s16
	s_addc_u32 s5, s5, s17
	v_mov_b32_e32 v1, s10
	v_alignbit_b32 v1, s11, v1, 9
	v_and_b32_e32 v1, -2, v1
	v_sub_u32_e32 v1, 0, v1
	s_load_dwordx4 s[16:19], s[4:5], 0x0
	v_and_b32_e32 v2, s6, v1
	v_mov_b32_e32 v3, 0
	v_lshlrev_b64 v[6:7], 10, v[2:3]
	s_lshl_b64 s[20:21], s[6:7], 10
	v_mov_b32_e32 v5, s21
	v_sub_co_u32_e32 v4, vcc, s20, v6
	v_lshlrev_b64 v[2:3], 11, v[2:3]
	s_nop 0
	v_subb_co_u32_e32 v5, vcc, v5, v7, vcc
	v_lshl_add_u64 v[8:9], v[2:3], 0, s[10:11]
	v_lshl_add_u64 v[2:3], v[8:9], 0, v[4:5]
	s_waitcnt lgkmcnt(0)
	v_mov_b32_e32 v5, s19
	v_subrev_co_u32_e32 v4, vcc, s18, v2
	s_mov_b64 s[4:5], 0x400
	s_nop 0
	v_subb_co_u32_e32 v5, vcc, v3, v5, vcc
	v_or_b32_e32 v1, s6, v1
	v_lshl_add_u64 v[10:11], v[4:5], 0, s[4:5]
	v_cmp_ne_u32_e32 vcc, -1, v1
	v_cmp_lt_u64_e64 s[4:5], s[8:9], v[10:11]
	s_cbranch_vccz .LBB1266_3
; %bb.2:
	v_mov_b32_e32 v1, s8
	v_mov_b64_e32 v[4:5], s[18:19]
	v_cndmask_b32_e64 v6, v10, v1, s[4:5]
	s_branch .LBB1266_4
.LBB1266_3:
	v_sub_co_u32_e32 v6, vcc, v8, v6
	v_mov_b32_e32 v1, s8
	s_nop 0
	v_subb_co_u32_e32 v7, vcc, v9, v7, vcc
	v_cmp_lt_u64_e32 vcc, s[8:9], v[6:7]
	s_nop 1
	v_cndmask_b32_e32 v4, v6, v1, vcc
	v_lshl_add_u64 v[6:7], v[6:7], 0, s[10:11]
	v_cmp_lt_u64_e32 vcc, s[8:9], v[6:7]
	s_nop 1
	v_cndmask_b32_e32 v6, v6, v1, vcc
.LBB1266_4:
	s_lshr_b64 s[18:19], s[8:9], 10
	s_cmp_lg_u64 s[18:19], s[6:7]
	s_cselect_b64 s[10:11], -1, 0
	s_lshl_b64 s[4:5], s[16:17], 3
	s_add_u32 s4, s12, s4
	s_addc_u32 s5, s13, s5
	s_cmp_lt_u32 s2, s24
	v_mov_b32_e32 v19, 0
	s_cselect_b32 s2, 12, 18
	global_load_dword v5, v19, s[22:23] offset:14
	s_add_u32 s2, s22, s2
	s_addc_u32 s3, s23, 0
	global_load_ushort v7, v19, s[2:3]
	v_mov_b32_e32 v8, s17
	v_subrev_co_u32_e32 v2, vcc, s16, v2
	v_mov_b32_e32 v9, s9
	s_nop 0
	v_subb_co_u32_e32 v3, vcc, v3, v8, vcc
	v_mov_b32_e32 v10, s8
	v_cmp_lt_u64_e32 vcc, s[8:9], v[2:3]
	v_subrev_u32_e32 v1, s16, v4
	s_cmp_eq_u64 s[18:19], s[6:7]
	v_cndmask_b32_e32 v3, v3, v9, vcc
	v_cndmask_b32_e32 v2, v2, v10, vcc
	v_sub_u32_e32 v25, v6, v2
	v_lshlrev_b64 v[2:3], 3, v[2:3]
	v_lshl_add_u64 v[20:21], s[12:13], 0, v[2:3]
	v_lshlrev_b32_e32 v18, 3, v0
	s_waitcnt vmcnt(1)
	v_lshrrev_b32_e32 v2, 16, v5
	v_and_b32_e32 v3, 0xffff, v5
	v_mul_lo_u32 v2, v3, v2
	s_waitcnt vmcnt(0)
	v_mul_lo_u32 v26, v2, v7
	s_cbranch_scc1 .LBB1266_6
; %bb.5:
	v_sub_u32_e32 v4, v0, v1
	v_mov_b32_e32 v5, v19
	v_add_u32_e32 v6, v26, v0
	v_lshl_add_u64 v[2:3], s[4:5], 0, v[18:19]
	v_lshl_add_u64 v[4:5], v[4:5], 3, v[20:21]
	v_cmp_lt_u32_e32 vcc, v0, v1
	v_mov_b32_e32 v7, v19
	v_sub_u32_e32 v8, v6, v1
	v_mov_b32_e32 v9, v19
	v_cndmask_b32_e32 v3, v5, v3, vcc
	v_cndmask_b32_e32 v2, v4, v2, vcc
	v_lshl_add_u64 v[4:5], v[6:7], 3, s[4:5]
	v_lshl_add_u64 v[8:9], v[8:9], 3, v[20:21]
	v_cmp_lt_u32_e32 vcc, v6, v1
	v_mov_b32_e32 v11, v19
	v_mov_b32_e32 v13, v19
	v_cndmask_b32_e32 v4, v8, v4, vcc
	v_add_u32_e32 v8, v6, v26
	v_cndmask_b32_e32 v5, v9, v5, vcc
	v_mov_b32_e32 v9, v19
	v_sub_u32_e32 v10, v8, v1
	v_lshl_add_u64 v[6:7], v[8:9], 3, s[4:5]
	v_lshl_add_u64 v[10:11], v[10:11], 3, v[20:21]
	v_cmp_lt_u32_e32 vcc, v8, v1
	v_mov_b32_e32 v15, v19
	v_mov_b32_e32 v17, v19
	v_cndmask_b32_e32 v6, v10, v6, vcc
	v_add_u32_e32 v10, v8, v26
	v_cndmask_b32_e32 v7, v11, v7, vcc
	v_mov_b32_e32 v11, v19
	v_sub_u32_e32 v12, v10, v1
	;; [unrolled: 10-line block ×3, first 2 shown]
	v_lshl_add_u64 v[10:11], v[12:13], 3, s[4:5]
	v_lshl_add_u64 v[14:15], v[14:15], 3, v[20:21]
	v_cmp_lt_u32_e32 vcc, v12, v1
	global_load_dwordx2 v[2:3], v[2:3], off
	v_add_u32_e32 v24, v1, v25
	v_cndmask_b32_e32 v10, v14, v10, vcc
	v_add_u32_e32 v14, v12, v26
	v_cndmask_b32_e32 v11, v15, v11, vcc
	v_mov_b32_e32 v15, v19
	v_sub_u32_e32 v16, v14, v1
	v_lshl_add_u64 v[12:13], v[14:15], 3, s[4:5]
	v_lshl_add_u64 v[16:17], v[16:17], 3, v[20:21]
	v_cmp_lt_u32_e32 vcc, v14, v1
	global_load_dwordx2 v[4:5], v[4:5], off
	s_nop 0
	v_cndmask_b32_e32 v13, v17, v13, vcc
	v_cndmask_b32_e32 v12, v16, v12, vcc
	v_add_u32_e32 v16, v14, v26
	v_mov_b32_e32 v17, v19
	v_lshl_add_u64 v[14:15], v[16:17], 3, s[4:5]
	v_sub_u32_e32 v22, v16, v1
	v_cmp_lt_u32_e32 vcc, v16, v1
	v_add_u32_e32 v16, v16, v26
	v_lshl_add_u64 v[22:23], v[22:23], 3, v[20:21]
	v_sub_u32_e32 v28, v16, v1
	v_cndmask_b32_e32 v15, v23, v15, vcc
	v_cndmask_b32_e32 v14, v22, v14, vcc
	v_lshl_add_u64 v[22:23], v[16:17], 3, s[4:5]
	v_lshl_add_u64 v[28:29], v[28:29], 3, v[20:21]
	v_cmp_lt_u32_e32 vcc, v16, v1
	global_load_dwordx2 v[6:7], v[6:7], off
	s_nop 0
	v_cndmask_b32_e32 v17, v29, v23, vcc
	v_cndmask_b32_e32 v16, v28, v22, vcc
	global_load_dwordx2 v[8:9], v[8:9], off
	s_nop 0
	global_load_dwordx2 v[10:11], v[10:11], off
	s_nop 0
	global_load_dwordx2 v[12:13], v[12:13], off
	s_nop 0
	global_load_dwordx2 v[14:15], v[14:15], off
	s_nop 0
	global_load_dwordx2 v[16:17], v[16:17], off
	s_cbranch_execz .LBB1266_7
	s_branch .LBB1266_24
.LBB1266_6:
                                        ; implicit-def: $vgpr2_vgpr3_vgpr4_vgpr5_vgpr6_vgpr7_vgpr8_vgpr9_vgpr10_vgpr11_vgpr12_vgpr13_vgpr14_vgpr15_vgpr16_vgpr17
                                        ; implicit-def: $vgpr24
.LBB1266_7:
	v_add_u32_e32 v24, v1, v25
	v_cmp_lt_u32_e32 vcc, v0, v24
                                        ; implicit-def: $vgpr2_vgpr3_vgpr4_vgpr5_vgpr6_vgpr7_vgpr8_vgpr9_vgpr10_vgpr11_vgpr12_vgpr13_vgpr14_vgpr15_vgpr16_vgpr17
	s_and_saveexec_b64 s[2:3], vcc
	s_cbranch_execz .LBB1266_9
; %bb.8:
	v_mov_b32_e32 v19, 0
	s_waitcnt vmcnt(6)
	v_sub_u32_e32 v4, v0, v1
	v_mov_b32_e32 v5, v19
	v_lshl_add_u64 v[2:3], s[4:5], 0, v[18:19]
	v_lshl_add_u64 v[4:5], v[4:5], 3, v[20:21]
	v_cmp_lt_u32_e32 vcc, v0, v1
	s_nop 1
	v_cndmask_b32_e32 v3, v5, v3, vcc
	v_cndmask_b32_e32 v2, v4, v2, vcc
	global_load_dwordx2 v[2:3], v[2:3], off
.LBB1266_9:
	s_or_b64 exec, exec, s[2:3]
	v_add_u32_e32 v22, v26, v0
	v_cmp_lt_u32_e32 vcc, v22, v24
	s_and_saveexec_b64 s[2:3], vcc
	s_cbranch_execz .LBB1266_11
; %bb.10:
	v_mov_b32_e32 v23, 0
	v_sub_u32_e32 v28, v22, v1
	v_mov_b32_e32 v29, v23
	s_waitcnt vmcnt(6)
	v_lshl_add_u64 v[4:5], v[22:23], 3, s[4:5]
	v_lshl_add_u64 v[28:29], v[28:29], 3, v[20:21]
	v_cmp_lt_u32_e32 vcc, v22, v1
	s_nop 1
	v_cndmask_b32_e32 v5, v29, v5, vcc
	v_cndmask_b32_e32 v4, v28, v4, vcc
	global_load_dwordx2 v[4:5], v[4:5], off
.LBB1266_11:
	s_or_b64 exec, exec, s[2:3]
	v_add_u32_e32 v22, v22, v26
	v_cmp_lt_u32_e32 vcc, v22, v24
	s_and_saveexec_b64 s[2:3], vcc
	s_cbranch_execz .LBB1266_13
; %bb.12:
	v_mov_b32_e32 v23, 0
	v_sub_u32_e32 v28, v22, v1
	v_mov_b32_e32 v29, v23
	s_waitcnt vmcnt(5)
	v_lshl_add_u64 v[6:7], v[22:23], 3, s[4:5]
	v_lshl_add_u64 v[28:29], v[28:29], 3, v[20:21]
	v_cmp_lt_u32_e32 vcc, v22, v1
	s_nop 1
	v_cndmask_b32_e32 v7, v29, v7, vcc
	v_cndmask_b32_e32 v6, v28, v6, vcc
	global_load_dwordx2 v[6:7], v[6:7], off
.LBB1266_13:
	;; [unrolled: 18-line block ×6, first 2 shown]
	s_or_b64 exec, exec, s[2:3]
	v_add_u32_e32 v22, v22, v26
	v_cmp_lt_u32_e32 vcc, v22, v24
	s_and_saveexec_b64 s[2:3], vcc
	s_cbranch_execz .LBB1266_23
; %bb.22:
	v_mov_b32_e32 v23, 0
	s_waitcnt vmcnt(0)
	v_lshl_add_u64 v[16:17], v[22:23], 3, s[4:5]
	v_cmp_lt_u32_e32 vcc, v22, v1
	v_sub_u32_e32 v22, v22, v1
	v_lshl_add_u64 v[20:21], v[22:23], 3, v[20:21]
	v_cndmask_b32_e32 v17, v21, v17, vcc
	v_cndmask_b32_e32 v16, v20, v16, vcc
	global_load_dwordx2 v[16:17], v[16:17], off
.LBB1266_23:
	s_or_b64 exec, exec, s[2:3]
.LBB1266_24:
	s_load_dwordx4 s[4:7], s[0:1], 0x40
	v_min_u32_e32 v19, v24, v18
	v_sub_u32_e64 v25, v19, v25 clamp
	v_min_u32_e32 v26, v19, v1
	v_cmp_lt_u32_e32 vcc, v25, v26
	s_waitcnt vmcnt(0)
	ds_write2st64_b64 v18, v[2:3], v[4:5] offset1:2
	ds_write2st64_b64 v18, v[6:7], v[8:9] offset0:4 offset1:6
	ds_write2st64_b64 v18, v[10:11], v[12:13] offset0:8 offset1:10
	;; [unrolled: 1-line block ×3, first 2 shown]
	s_waitcnt lgkmcnt(0)
	s_barrier
	s_and_saveexec_b64 s[2:3], vcc
	s_cbranch_execz .LBB1266_36
; %bb.25:
	v_lshlrev_b32_e32 v20, 3, v19
	v_cmp_gt_i64_e64 s[0:1], s[4:5], 0
	v_lshl_add_u32 v27, v1, 3, v20
	s_mov_b64 s[12:13], 0
	v_cndmask_b32_e64 v20, 0, 1, s[0:1]
	s_lshl_b64 s[16:17], s[4:5], 1
	v_cmp_ne_u32_e64 s[0:1], 1, v20
	s_branch .LBB1266_28
.LBB1266_26:                            ;   in Loop: Header=BB1266_28 Depth=1
	s_or_b64 exec, exec, s[22:23]
.LBB1266_27:                            ;   in Loop: Header=BB1266_28 Depth=1
	v_add_u32_e32 v20, 1, v28
	v_cndmask_b32_e64 v26, v26, v28, s[18:19]
	v_cndmask_b32_e64 v25, v20, v25, s[18:19]
	v_cmp_ge_u32_e32 vcc, v25, v26
	s_or_b64 s[12:13], vcc, s[12:13]
	s_andn2_b64 exec, exec, s[12:13]
	s_cbranch_execz .LBB1266_35
.LBB1266_28:                            ; =>This Loop Header: Depth=1
                                        ;     Child Loop BB1266_31 Depth 2
	v_add_u32_e32 v20, v26, v25
	v_lshrrev_b32_e32 v28, 1, v20
	s_and_b64 vcc, exec, s[0:1]
	s_mov_b64 s[18:19], 0
	s_cbranch_vccnz .LBB1266_27
; %bb.29:                               ;   in Loop: Header=BB1266_28 Depth=1
	v_not_b32_e32 v20, v28
	v_lshl_add_u32 v20, v20, 3, v27
	ds_read_b64 v[20:21], v20
	v_lshlrev_b32_e32 v29, 3, v28
	ds_read_b64 v[30:31], v29
	v_mov_b64_e32 v[22:23], s[6:7]
	s_mov_b64 s[22:23], 0
	s_waitcnt lgkmcnt(1)
	v_mul_lo_u32 v29, s16, v21
	v_mul_lo_u32 v32, s17, v20
	v_mad_u64_u32 v[20:21], s[18:19], s16, v20, v[22:23]
	v_add3_u32 v21, v32, v21, v29
	s_waitcnt lgkmcnt(0)
	v_mul_lo_u32 v29, s16, v31
	v_mul_lo_u32 v31, s17, v30
	v_mad_u64_u32 v[22:23], s[18:19], s16, v30, v[22:23]
	v_add3_u32 v23, v31, v23, v29
	s_mov_b64 s[26:27], s[4:5]
                                        ; implicit-def: $sgpr18_sgpr19
                                        ; implicit-def: $sgpr24_sgpr25
                                        ; implicit-def: $sgpr28_sgpr29
	s_branch .LBB1266_31
.LBB1266_30:                            ;   in Loop: Header=BB1266_31 Depth=2
	s_or_b64 exec, exec, s[36:37]
	s_and_b64 s[30:31], exec, s[30:31]
	s_or_b64 s[22:23], s[30:31], s[22:23]
	s_andn2_b64 s[18:19], s[18:19], exec
	s_and_b64 s[30:31], s[24:25], exec
	s_or_b64 s[18:19], s[18:19], s[30:31]
	s_andn2_b64 exec, exec, s[22:23]
	s_cbranch_execz .LBB1266_26
.LBB1266_31:                            ;   Parent Loop BB1266_28 Depth=1
                                        ; =>  This Inner Loop Header: Depth=2
	global_load_ushort v29, v[20:21], off
	global_load_ushort v30, v[22:23], off
	s_mov_b64 s[30:31], -1
	s_mov_b64 s[38:39], 0
	s_mov_b64 s[34:35], -1
	s_waitcnt vmcnt(0)
	v_cmp_nlt_f16_e32 vcc, v29, v30
	s_and_saveexec_b64 s[36:37], vcc
; %bb.32:                               ;   in Loop: Header=BB1266_31 Depth=2
	v_cmp_ngt_f16_e32 vcc, v29, v30
	s_and_b64 s[28:29], vcc, s[28:29]
	s_orn2_b64 s[34:35], s[28:29], exec
	s_and_b64 s[38:39], vcc, exec
; %bb.33:                               ;   in Loop: Header=BB1266_31 Depth=2
	s_or_b64 exec, exec, s[36:37]
	s_andn2_b64 s[24:25], s[24:25], exec
	s_and_b64 s[28:29], s[34:35], exec
	s_or_b64 s[24:25], s[24:25], s[28:29]
                                        ; implicit-def: $sgpr28_sgpr29
	s_and_saveexec_b64 s[36:37], s[38:39]
	s_cbranch_execz .LBB1266_30
; %bb.34:                               ;   in Loop: Header=BB1266_31 Depth=2
	s_add_u32 s26, s26, -1
	s_addc_u32 s27, s27, -1
	s_cmp_eq_u64 s[26:27], 0
	s_cselect_b64 s[30:31], -1, 0
	v_lshl_add_u64 v[20:21], v[20:21], 0, 2
	v_lshl_add_u64 v[22:23], v[22:23], 0, 2
	s_andn2_b64 s[24:25], s[24:25], exec
	s_and_b64 s[28:29], s[34:35], exec
	s_orn2_b64 s[30:31], s[30:31], exec
	s_branch .LBB1266_30
.LBB1266_35:
	s_or_b64 exec, exec, s[12:13]
.LBB1266_36:
	s_or_b64 exec, exec, s[2:3]
	v_sub_u32_e32 v19, v19, v25
	v_add_u32_e32 v23, v19, v1
	v_cmp_le_u32_e32 vcc, v25, v1
	v_cmp_le_u32_e64 s[0:1], v23, v24
	s_or_b64 s[0:1], vcc, s[0:1]
	s_and_saveexec_b64 s[2:3], s[0:1]
	s_cbranch_execz .LBB1266_124
; %bb.37:
	v_cmp_ge_u32_e32 vcc, v25, v1
	v_cmp_lt_u32_e64 s[0:1], v25, v1
                                        ; implicit-def: $vgpr2_vgpr3
	s_and_saveexec_b64 s[12:13], s[0:1]
	s_cbranch_execz .LBB1266_39
; %bb.38:
	v_lshlrev_b32_e32 v2, 3, v25
	ds_read_b64 v[2:3], v2
.LBB1266_39:
	s_or_b64 exec, exec, s[12:13]
	v_cmp_ge_u32_e64 s[12:13], v23, v24
	v_cmp_lt_u32_e64 s[0:1], v23, v24
                                        ; implicit-def: $vgpr16_vgpr17
	s_and_saveexec_b64 s[16:17], s[0:1]
	s_cbranch_execz .LBB1266_41
; %bb.40:
	v_lshlrev_b32_e32 v4, 3, v23
	ds_read_b64 v[16:17], v4
.LBB1266_41:
	s_or_b64 exec, exec, s[16:17]
	s_or_b64 s[16:17], vcc, s[12:13]
	v_cmp_lt_i64_e64 s[0:1], s[4:5], 1
	s_mov_b64 s[18:19], 0
	v_cmp_gt_i64_e64 s[22:23], s[4:5], 0
	s_xor_b64 s[24:25], s[16:17], -1
	s_and_saveexec_b64 s[16:17], s[24:25]
	s_cbranch_execz .LBB1266_51
; %bb.42:
	s_andn2_b64 vcc, exec, s[22:23]
	s_cbranch_vccnz .LBB1266_50
; %bb.43:
	s_waitcnt lgkmcnt(0)
	v_mul_lo_u32 v6, v17, s4
	v_mul_lo_u32 v7, v16, s5
	v_mad_u64_u32 v[4:5], s[18:19], v16, s4, 0
	v_add3_u32 v5, v5, v7, v6
	v_mul_lo_u32 v8, v3, s4
	v_mul_lo_u32 v9, v2, s5
	v_mad_u64_u32 v[6:7], s[18:19], v2, s4, 0
	v_add3_u32 v7, v7, v9, v8
	v_lshl_add_u64 v[4:5], v[4:5], 1, s[6:7]
	v_lshl_add_u64 v[6:7], v[6:7], 1, s[6:7]
	s_mov_b64 s[24:25], 0
	s_mov_b64 s[28:29], s[4:5]
                                        ; implicit-def: $sgpr18_sgpr19
                                        ; implicit-def: $sgpr26_sgpr27
                                        ; implicit-def: $sgpr30_sgpr31
	s_branch .LBB1266_45
.LBB1266_44:                            ;   in Loop: Header=BB1266_45 Depth=1
	s_or_b64 exec, exec, s[38:39]
	s_and_b64 s[34:35], exec, s[36:37]
	s_or_b64 s[24:25], s[34:35], s[24:25]
	s_andn2_b64 s[18:19], s[18:19], exec
	s_and_b64 s[34:35], s[26:27], exec
	s_or_b64 s[18:19], s[18:19], s[34:35]
	s_andn2_b64 exec, exec, s[24:25]
	s_cbranch_execz .LBB1266_49
.LBB1266_45:                            ; =>This Inner Loop Header: Depth=1
	global_load_ushort v8, v[4:5], off
	global_load_ushort v9, v[6:7], off
	s_mov_b64 s[40:41], 0
	s_mov_b64 s[34:35], -1
	s_waitcnt vmcnt(0)
	v_cmp_nlt_f16_e32 vcc, v8, v9
	s_and_saveexec_b64 s[36:37], vcc
; %bb.46:                               ;   in Loop: Header=BB1266_45 Depth=1
	v_cmp_ngt_f16_e32 vcc, v8, v9
	s_and_b64 s[30:31], vcc, s[30:31]
	s_orn2_b64 s[34:35], s[30:31], exec
	s_and_b64 s[40:41], vcc, exec
; %bb.47:                               ;   in Loop: Header=BB1266_45 Depth=1
	s_or_b64 exec, exec, s[36:37]
	s_andn2_b64 s[26:27], s[26:27], exec
	s_and_b64 s[30:31], s[34:35], exec
	s_mov_b64 s[36:37], -1
	s_or_b64 s[26:27], s[26:27], s[30:31]
                                        ; implicit-def: $sgpr30_sgpr31
	s_and_saveexec_b64 s[38:39], s[40:41]
	s_cbranch_execz .LBB1266_44
; %bb.48:                               ;   in Loop: Header=BB1266_45 Depth=1
	s_add_u32 s28, s28, -1
	s_addc_u32 s29, s29, -1
	s_cmp_eq_u64 s[28:29], 0
	s_cselect_b64 s[36:37], -1, 0
	v_lshl_add_u64 v[4:5], v[4:5], 0, 2
	v_lshl_add_u64 v[6:7], v[6:7], 0, 2
	s_andn2_b64 s[26:27], s[26:27], exec
	s_and_b64 s[30:31], s[34:35], exec
	s_orn2_b64 s[36:37], s[36:37], exec
	s_branch .LBB1266_44
.LBB1266_49:
	s_or_b64 exec, exec, s[24:25]
.LBB1266_50:
	s_xor_b64 s[18:19], s[18:19], -1
	s_andn2_b64 s[12:13], s[12:13], exec
	s_and_b64 s[18:19], s[18:19], exec
	s_or_b64 s[12:13], s[12:13], s[18:19]
.LBB1266_51:
	s_or_b64 exec, exec, s[16:17]
	v_cndmask_b32_e64 v4, v23, v25, s[12:13]
	v_cndmask_b32_e64 v5, v24, v1, s[12:13]
	v_add_u32_e32 v6, 1, v4
	v_add_u32_e32 v4, -1, v5
	v_min_u32_e32 v4, v6, v4
	v_lshlrev_b32_e32 v4, 3, v4
	ds_read_b64 v[4:5], v4
	v_cndmask_b32_e64 v8, v6, v23, s[12:13]
	v_cndmask_b32_e64 v9, v25, v6, s[12:13]
	v_cmp_lt_u32_e32 vcc, v8, v24
	s_mov_b64 s[16:17], -1
	s_waitcnt lgkmcnt(0)
	v_cndmask_b32_e64 v19, v5, v17, s[12:13]
	v_cndmask_b32_e64 v20, v4, v16, s[12:13]
	;; [unrolled: 1-line block ×4, first 2 shown]
	s_mov_b64 s[18:19], -1
	s_and_saveexec_b64 s[24:25], vcc
	s_cbranch_execz .LBB1266_63
; %bb.52:
	v_cmp_lt_u32_e32 vcc, v9, v1
	s_mov_b64 s[26:27], 0
	s_and_saveexec_b64 s[18:19], vcc
	s_cbranch_execz .LBB1266_62
; %bb.53:
	s_andn2_b64 vcc, exec, s[22:23]
	s_mov_b64 s[22:23], 0
	s_cbranch_vccnz .LBB1266_61
; %bb.54:
	v_mul_lo_u32 v6, v19, s4
	v_mul_lo_u32 v7, v20, s5
	v_mad_u64_u32 v[4:5], s[22:23], v20, s4, 0
	v_add3_u32 v5, v5, v7, v6
	v_mul_lo_u32 v10, v21, s4
	v_mul_lo_u32 v11, v22, s5
	v_mad_u64_u32 v[6:7], s[22:23], v22, s4, 0
	v_add3_u32 v7, v7, v11, v10
	v_lshl_add_u64 v[4:5], v[4:5], 1, s[6:7]
	v_lshl_add_u64 v[6:7], v[6:7], 1, s[6:7]
	s_mov_b64 s[30:31], s[4:5]
                                        ; implicit-def: $sgpr22_sgpr23
                                        ; implicit-def: $sgpr28_sgpr29
                                        ; implicit-def: $sgpr34_sgpr35
	s_branch .LBB1266_56
.LBB1266_55:                            ;   in Loop: Header=BB1266_56 Depth=1
	s_or_b64 exec, exec, s[42:43]
	s_and_b64 s[36:37], exec, s[38:39]
	s_or_b64 s[26:27], s[36:37], s[26:27]
	s_andn2_b64 s[22:23], s[22:23], exec
	s_and_b64 s[36:37], s[28:29], exec
	s_or_b64 s[22:23], s[22:23], s[36:37]
	s_andn2_b64 exec, exec, s[26:27]
	s_cbranch_execz .LBB1266_60
.LBB1266_56:                            ; =>This Inner Loop Header: Depth=1
	global_load_ushort v10, v[4:5], off
	global_load_ushort v11, v[6:7], off
	s_mov_b64 s[40:41], 0
	s_mov_b64 s[36:37], -1
	s_waitcnt vmcnt(0)
	v_cmp_nlt_f16_e32 vcc, v10, v11
	s_and_saveexec_b64 s[38:39], vcc
; %bb.57:                               ;   in Loop: Header=BB1266_56 Depth=1
	v_cmp_ngt_f16_e32 vcc, v10, v11
	s_and_b64 s[34:35], vcc, s[34:35]
	s_orn2_b64 s[36:37], s[34:35], exec
	s_and_b64 s[40:41], vcc, exec
; %bb.58:                               ;   in Loop: Header=BB1266_56 Depth=1
	s_or_b64 exec, exec, s[38:39]
	s_andn2_b64 s[28:29], s[28:29], exec
	s_and_b64 s[34:35], s[36:37], exec
	s_mov_b64 s[38:39], -1
	s_or_b64 s[28:29], s[28:29], s[34:35]
                                        ; implicit-def: $sgpr34_sgpr35
	s_and_saveexec_b64 s[42:43], s[40:41]
	s_cbranch_execz .LBB1266_55
; %bb.59:                               ;   in Loop: Header=BB1266_56 Depth=1
	s_add_u32 s30, s30, -1
	s_addc_u32 s31, s31, -1
	s_cmp_eq_u64 s[30:31], 0
	s_cselect_b64 s[38:39], -1, 0
	v_lshl_add_u64 v[4:5], v[4:5], 0, 2
	v_lshl_add_u64 v[6:7], v[6:7], 0, 2
	s_andn2_b64 s[28:29], s[28:29], exec
	s_and_b64 s[34:35], s[36:37], exec
	s_orn2_b64 s[38:39], s[38:39], exec
	s_branch .LBB1266_55
.LBB1266_60:
	s_or_b64 exec, exec, s[26:27]
.LBB1266_61:
	s_xor_b64 s[22:23], s[22:23], -1
	s_and_b64 s[26:27], s[22:23], exec
.LBB1266_62:
	s_or_b64 exec, exec, s[18:19]
	s_orn2_b64 s[18:19], s[26:27], exec
.LBB1266_63:
	s_or_b64 exec, exec, s[24:25]
	v_cndmask_b32_e64 v4, v8, v9, s[18:19]
	v_cndmask_b32_e64 v5, v24, v1, s[18:19]
	v_add_u32_e32 v6, 1, v4
	v_add_u32_e32 v4, -1, v5
	v_min_u32_e32 v4, v6, v4
	v_lshlrev_b32_e32 v4, 3, v4
	ds_read_b64 v[4:5], v4
	v_cndmask_b32_e64 v10, v6, v8, s[18:19]
	v_cndmask_b32_e64 v11, v9, v6, s[18:19]
	v_cmp_lt_u32_e32 vcc, v10, v24
	s_waitcnt lgkmcnt(0)
	v_cndmask_b32_e64 v23, v5, v19, s[18:19]
	v_cndmask_b32_e64 v25, v4, v20, s[18:19]
	;; [unrolled: 1-line block ×4, first 2 shown]
	s_and_saveexec_b64 s[22:23], vcc
	s_cbranch_execz .LBB1266_73
; %bb.64:
	v_cmp_lt_u32_e64 s[16:17], v11, v1
	s_xor_b64 s[24:25], s[0:1], -1
	s_and_b64 s[26:27], s[16:17], s[24:25]
	s_and_saveexec_b64 s[24:25], s[26:27]
	s_cbranch_execz .LBB1266_72
; %bb.65:
	v_mul_lo_u32 v6, v23, s4
	v_mul_lo_u32 v7, v25, s5
	v_mad_u64_u32 v[4:5], s[26:27], v25, s4, 0
	v_add3_u32 v5, v5, v7, v6
	v_mul_lo_u32 v8, v26, s4
	v_mul_lo_u32 v9, v27, s5
	v_mad_u64_u32 v[6:7], s[26:27], v27, s4, 0
	v_add3_u32 v7, v7, v9, v8
	v_lshl_add_u64 v[4:5], v[4:5], 1, s[6:7]
	v_lshl_add_u64 v[6:7], v[6:7], 1, s[6:7]
	s_mov_b64 s[26:27], 0
	s_mov_b64 s[34:35], s[4:5]
                                        ; implicit-def: $sgpr28_sgpr29
                                        ; implicit-def: $sgpr30_sgpr31
                                        ; implicit-def: $sgpr36_sgpr37
	s_branch .LBB1266_67
.LBB1266_66:                            ;   in Loop: Header=BB1266_67 Depth=1
	s_or_b64 exec, exec, s[44:45]
	s_and_b64 s[38:39], exec, s[40:41]
	s_or_b64 s[26:27], s[38:39], s[26:27]
	s_andn2_b64 s[28:29], s[28:29], exec
	s_and_b64 s[38:39], s[30:31], exec
	s_or_b64 s[28:29], s[28:29], s[38:39]
	s_andn2_b64 exec, exec, s[26:27]
	s_cbranch_execz .LBB1266_71
.LBB1266_67:                            ; =>This Inner Loop Header: Depth=1
	global_load_ushort v8, v[4:5], off
	global_load_ushort v9, v[6:7], off
	s_mov_b64 s[42:43], 0
	s_mov_b64 s[38:39], -1
	s_waitcnt vmcnt(0)
	v_cmp_nlt_f16_e32 vcc, v8, v9
	s_and_saveexec_b64 s[40:41], vcc
; %bb.68:                               ;   in Loop: Header=BB1266_67 Depth=1
	v_cmp_ngt_f16_e32 vcc, v8, v9
	s_and_b64 s[36:37], vcc, s[36:37]
	s_orn2_b64 s[38:39], s[36:37], exec
	s_and_b64 s[42:43], vcc, exec
; %bb.69:                               ;   in Loop: Header=BB1266_67 Depth=1
	s_or_b64 exec, exec, s[40:41]
	s_andn2_b64 s[30:31], s[30:31], exec
	s_and_b64 s[36:37], s[38:39], exec
	s_mov_b64 s[40:41], -1
	s_or_b64 s[30:31], s[30:31], s[36:37]
                                        ; implicit-def: $sgpr36_sgpr37
	s_and_saveexec_b64 s[44:45], s[42:43]
	s_cbranch_execz .LBB1266_66
; %bb.70:                               ;   in Loop: Header=BB1266_67 Depth=1
	s_add_u32 s34, s34, -1
	s_addc_u32 s35, s35, -1
	s_cmp_eq_u64 s[34:35], 0
	s_cselect_b64 s[40:41], -1, 0
	v_lshl_add_u64 v[4:5], v[4:5], 0, 2
	v_lshl_add_u64 v[6:7], v[6:7], 0, 2
	s_and_b64 s[36:37], s[38:39], exec
	s_andn2_b64 s[30:31], s[30:31], exec
	s_orn2_b64 s[40:41], s[40:41], exec
	s_branch .LBB1266_66
.LBB1266_71:
	s_or_b64 exec, exec, s[26:27]
	s_xor_b64 s[26:27], s[28:29], -1
	s_andn2_b64 s[16:17], s[16:17], exec
	s_and_b64 s[26:27], s[26:27], exec
	s_or_b64 s[16:17], s[16:17], s[26:27]
.LBB1266_72:
	s_or_b64 exec, exec, s[24:25]
	s_orn2_b64 s[16:17], s[16:17], exec
.LBB1266_73:
	s_or_b64 exec, exec, s[22:23]
	v_cndmask_b32_e64 v4, v10, v11, s[16:17]
	v_cndmask_b32_e64 v5, v24, v1, s[16:17]
	v_add_u32_e32 v6, 1, v4
	v_add_u32_e32 v4, -1, v5
	v_min_u32_e32 v4, v6, v4
	v_lshlrev_b32_e32 v4, 3, v4
	ds_read_b64 v[4:5], v4
	v_cndmask_b32_e64 v12, v6, v10, s[16:17]
	v_cndmask_b32_e64 v13, v11, v6, s[16:17]
	v_cmp_lt_u32_e32 vcc, v12, v24
	s_mov_b64 s[24:25], -1
	s_waitcnt lgkmcnt(0)
	v_cndmask_b32_e64 v8, v5, v23, s[16:17]
	v_cndmask_b32_e64 v28, v4, v25, s[16:17]
	;; [unrolled: 1-line block ×4, first 2 shown]
	s_mov_b64 s[22:23], -1
	s_and_saveexec_b64 s[26:27], vcc
	s_cbranch_execz .LBB1266_83
; %bb.74:
	v_cmp_lt_u32_e64 s[22:23], v13, v1
	s_xor_b64 s[28:29], s[0:1], -1
	s_and_b64 s[30:31], s[22:23], s[28:29]
	s_and_saveexec_b64 s[28:29], s[30:31]
	s_cbranch_execz .LBB1266_82
; %bb.75:
	v_mul_lo_u32 v6, v8, s4
	v_mul_lo_u32 v7, v28, s5
	v_mad_u64_u32 v[4:5], s[30:31], v28, s4, 0
	v_add3_u32 v5, v5, v7, v6
	v_mul_lo_u32 v10, v9, s4
	v_mul_lo_u32 v11, v29, s5
	v_mad_u64_u32 v[6:7], s[30:31], v29, s4, 0
	v_add3_u32 v7, v7, v11, v10
	v_lshl_add_u64 v[4:5], v[4:5], 1, s[6:7]
	v_lshl_add_u64 v[6:7], v[6:7], 1, s[6:7]
	s_mov_b64 s[30:31], 0
	s_mov_b64 s[38:39], s[4:5]
                                        ; implicit-def: $sgpr34_sgpr35
                                        ; implicit-def: $sgpr36_sgpr37
                                        ; implicit-def: $sgpr40_sgpr41
	s_branch .LBB1266_77
.LBB1266_76:                            ;   in Loop: Header=BB1266_77 Depth=1
	s_or_b64 exec, exec, s[48:49]
	s_and_b64 s[42:43], exec, s[44:45]
	s_or_b64 s[30:31], s[42:43], s[30:31]
	s_andn2_b64 s[34:35], s[34:35], exec
	s_and_b64 s[42:43], s[36:37], exec
	s_or_b64 s[34:35], s[34:35], s[42:43]
	s_andn2_b64 exec, exec, s[30:31]
	s_cbranch_execz .LBB1266_81
.LBB1266_77:                            ; =>This Inner Loop Header: Depth=1
	global_load_ushort v10, v[4:5], off
	global_load_ushort v11, v[6:7], off
	s_mov_b64 s[46:47], 0
	s_mov_b64 s[42:43], -1
	s_waitcnt vmcnt(0)
	v_cmp_nlt_f16_e32 vcc, v10, v11
	s_and_saveexec_b64 s[44:45], vcc
; %bb.78:                               ;   in Loop: Header=BB1266_77 Depth=1
	v_cmp_ngt_f16_e32 vcc, v10, v11
	s_and_b64 s[40:41], vcc, s[40:41]
	s_orn2_b64 s[42:43], s[40:41], exec
	s_and_b64 s[46:47], vcc, exec
; %bb.79:                               ;   in Loop: Header=BB1266_77 Depth=1
	s_or_b64 exec, exec, s[44:45]
	s_andn2_b64 s[36:37], s[36:37], exec
	s_and_b64 s[40:41], s[42:43], exec
	s_mov_b64 s[44:45], -1
	s_or_b64 s[36:37], s[36:37], s[40:41]
                                        ; implicit-def: $sgpr40_sgpr41
	s_and_saveexec_b64 s[48:49], s[46:47]
	s_cbranch_execz .LBB1266_76
; %bb.80:                               ;   in Loop: Header=BB1266_77 Depth=1
	s_add_u32 s38, s38, -1
	s_addc_u32 s39, s39, -1
	s_cmp_eq_u64 s[38:39], 0
	s_cselect_b64 s[44:45], -1, 0
	v_lshl_add_u64 v[4:5], v[4:5], 0, 2
	v_lshl_add_u64 v[6:7], v[6:7], 0, 2
	s_and_b64 s[40:41], s[42:43], exec
	s_andn2_b64 s[36:37], s[36:37], exec
	s_orn2_b64 s[44:45], s[44:45], exec
	s_branch .LBB1266_76
.LBB1266_81:
	s_or_b64 exec, exec, s[30:31]
	s_xor_b64 s[30:31], s[34:35], -1
	s_andn2_b64 s[22:23], s[22:23], exec
	s_and_b64 s[30:31], s[30:31], exec
	s_or_b64 s[22:23], s[22:23], s[30:31]
.LBB1266_82:
	s_or_b64 exec, exec, s[28:29]
	s_orn2_b64 s[22:23], s[22:23], exec
.LBB1266_83:
	s_or_b64 exec, exec, s[26:27]
	v_cndmask_b32_e64 v4, v12, v13, s[22:23]
	v_cndmask_b32_e64 v5, v24, v1, s[22:23]
	v_add_u32_e32 v6, 1, v4
	v_add_u32_e32 v4, -1, v5
	v_min_u32_e32 v4, v6, v4
	v_lshlrev_b32_e32 v4, 3, v4
	ds_read_b64 v[4:5], v4
	v_cndmask_b32_e64 v14, v6, v12, s[22:23]
	v_cndmask_b32_e64 v15, v13, v6, s[22:23]
	v_cmp_lt_u32_e32 vcc, v14, v24
	s_waitcnt lgkmcnt(0)
	v_cndmask_b32_e64 v10, v5, v8, s[22:23]
	v_cndmask_b32_e64 v30, v4, v28, s[22:23]
	;; [unrolled: 1-line block ×4, first 2 shown]
	s_and_saveexec_b64 s[26:27], vcc
	s_cbranch_execz .LBB1266_93
; %bb.84:
	v_cmp_lt_u32_e64 s[24:25], v15, v1
	s_xor_b64 s[28:29], s[0:1], -1
	s_and_b64 s[30:31], s[24:25], s[28:29]
	s_and_saveexec_b64 s[28:29], s[30:31]
	s_cbranch_execz .LBB1266_92
; %bb.85:
	v_mul_lo_u32 v6, v10, s4
	v_mul_lo_u32 v7, v30, s5
	v_mad_u64_u32 v[4:5], s[30:31], v30, s4, 0
	v_add3_u32 v5, v5, v7, v6
	v_mul_lo_u32 v12, v11, s4
	v_mul_lo_u32 v13, v31, s5
	v_mad_u64_u32 v[6:7], s[30:31], v31, s4, 0
	v_add3_u32 v7, v7, v13, v12
	v_lshl_add_u64 v[4:5], v[4:5], 1, s[6:7]
	v_lshl_add_u64 v[6:7], v[6:7], 1, s[6:7]
	s_mov_b64 s[30:31], 0
	s_mov_b64 s[38:39], s[4:5]
                                        ; implicit-def: $sgpr34_sgpr35
                                        ; implicit-def: $sgpr36_sgpr37
                                        ; implicit-def: $sgpr40_sgpr41
	s_branch .LBB1266_87
.LBB1266_86:                            ;   in Loop: Header=BB1266_87 Depth=1
	s_or_b64 exec, exec, s[48:49]
	s_and_b64 s[42:43], exec, s[44:45]
	s_or_b64 s[30:31], s[42:43], s[30:31]
	s_andn2_b64 s[34:35], s[34:35], exec
	s_and_b64 s[42:43], s[36:37], exec
	s_or_b64 s[34:35], s[34:35], s[42:43]
	s_andn2_b64 exec, exec, s[30:31]
	s_cbranch_execz .LBB1266_91
.LBB1266_87:                            ; =>This Inner Loop Header: Depth=1
	global_load_ushort v12, v[4:5], off
	global_load_ushort v13, v[6:7], off
	s_mov_b64 s[46:47], 0
	s_mov_b64 s[42:43], -1
	s_waitcnt vmcnt(0)
	v_cmp_nlt_f16_e32 vcc, v12, v13
	s_and_saveexec_b64 s[44:45], vcc
; %bb.88:                               ;   in Loop: Header=BB1266_87 Depth=1
	v_cmp_ngt_f16_e32 vcc, v12, v13
	s_and_b64 s[40:41], vcc, s[40:41]
	s_orn2_b64 s[42:43], s[40:41], exec
	s_and_b64 s[46:47], vcc, exec
; %bb.89:                               ;   in Loop: Header=BB1266_87 Depth=1
	s_or_b64 exec, exec, s[44:45]
	s_andn2_b64 s[36:37], s[36:37], exec
	s_and_b64 s[40:41], s[42:43], exec
	s_mov_b64 s[44:45], -1
	s_or_b64 s[36:37], s[36:37], s[40:41]
                                        ; implicit-def: $sgpr40_sgpr41
	s_and_saveexec_b64 s[48:49], s[46:47]
	s_cbranch_execz .LBB1266_86
; %bb.90:                               ;   in Loop: Header=BB1266_87 Depth=1
	s_add_u32 s38, s38, -1
	s_addc_u32 s39, s39, -1
	s_cmp_eq_u64 s[38:39], 0
	s_cselect_b64 s[44:45], -1, 0
	v_lshl_add_u64 v[4:5], v[4:5], 0, 2
	v_lshl_add_u64 v[6:7], v[6:7], 0, 2
	s_and_b64 s[40:41], s[42:43], exec
	s_andn2_b64 s[36:37], s[36:37], exec
	s_orn2_b64 s[44:45], s[44:45], exec
	s_branch .LBB1266_86
.LBB1266_91:
	s_or_b64 exec, exec, s[30:31]
	s_xor_b64 s[30:31], s[34:35], -1
	s_andn2_b64 s[24:25], s[24:25], exec
	s_and_b64 s[30:31], s[30:31], exec
	s_or_b64 s[24:25], s[24:25], s[30:31]
.LBB1266_92:
	s_or_b64 exec, exec, s[28:29]
	s_orn2_b64 s[24:25], s[24:25], exec
.LBB1266_93:
	s_or_b64 exec, exec, s[26:27]
	v_cndmask_b32_e64 v4, v14, v15, s[24:25]
	v_cndmask_b32_e64 v5, v24, v1, s[24:25]
	v_add_u32_e32 v6, 1, v4
	v_add_u32_e32 v4, -1, v5
	v_min_u32_e32 v4, v6, v4
	v_lshlrev_b32_e32 v4, 3, v4
	ds_read_b64 v[4:5], v4
	v_cndmask_b32_e64 v36, v6, v14, s[24:25]
	v_cndmask_b32_e64 v37, v15, v6, s[24:25]
	v_cmp_lt_u32_e32 vcc, v36, v24
	s_mov_b64 s[28:29], -1
	s_waitcnt lgkmcnt(0)
	v_cndmask_b32_e64 v12, v5, v10, s[24:25]
	v_cndmask_b32_e64 v32, v4, v30, s[24:25]
	;; [unrolled: 1-line block ×4, first 2 shown]
	s_mov_b64 s[26:27], -1
	s_and_saveexec_b64 s[30:31], vcc
	s_cbranch_execz .LBB1266_103
; %bb.94:
	v_cmp_lt_u32_e64 s[26:27], v37, v1
	s_xor_b64 s[34:35], s[0:1], -1
	s_and_b64 s[36:37], s[26:27], s[34:35]
	s_and_saveexec_b64 s[34:35], s[36:37]
	s_cbranch_execz .LBB1266_102
; %bb.95:
	v_mul_lo_u32 v6, v12, s4
	v_mul_lo_u32 v7, v32, s5
	v_mad_u64_u32 v[4:5], s[36:37], v32, s4, 0
	v_add3_u32 v5, v5, v7, v6
	v_mul_lo_u32 v14, v13, s4
	v_mul_lo_u32 v15, v33, s5
	v_mad_u64_u32 v[6:7], s[36:37], v33, s4, 0
	v_add3_u32 v7, v7, v15, v14
	v_lshl_add_u64 v[4:5], v[4:5], 1, s[6:7]
	v_lshl_add_u64 v[6:7], v[6:7], 1, s[6:7]
	s_mov_b64 s[36:37], 0
	s_mov_b64 s[42:43], s[4:5]
                                        ; implicit-def: $sgpr38_sgpr39
                                        ; implicit-def: $sgpr40_sgpr41
                                        ; implicit-def: $sgpr44_sgpr45
	s_branch .LBB1266_97
.LBB1266_96:                            ;   in Loop: Header=BB1266_97 Depth=1
	s_or_b64 exec, exec, s[52:53]
	s_and_b64 s[46:47], exec, s[48:49]
	s_or_b64 s[36:37], s[46:47], s[36:37]
	s_andn2_b64 s[38:39], s[38:39], exec
	s_and_b64 s[46:47], s[40:41], exec
	s_or_b64 s[38:39], s[38:39], s[46:47]
	s_andn2_b64 exec, exec, s[36:37]
	s_cbranch_execz .LBB1266_101
.LBB1266_97:                            ; =>This Inner Loop Header: Depth=1
	global_load_ushort v14, v[4:5], off
	global_load_ushort v15, v[6:7], off
	s_mov_b64 s[50:51], 0
	s_mov_b64 s[46:47], -1
	s_waitcnt vmcnt(0)
	v_cmp_nlt_f16_e32 vcc, v14, v15
	s_and_saveexec_b64 s[48:49], vcc
; %bb.98:                               ;   in Loop: Header=BB1266_97 Depth=1
	v_cmp_ngt_f16_e32 vcc, v14, v15
	s_and_b64 s[44:45], vcc, s[44:45]
	s_orn2_b64 s[46:47], s[44:45], exec
	s_and_b64 s[50:51], vcc, exec
; %bb.99:                               ;   in Loop: Header=BB1266_97 Depth=1
	s_or_b64 exec, exec, s[48:49]
	s_andn2_b64 s[40:41], s[40:41], exec
	s_and_b64 s[44:45], s[46:47], exec
	s_mov_b64 s[48:49], -1
	s_or_b64 s[40:41], s[40:41], s[44:45]
                                        ; implicit-def: $sgpr44_sgpr45
	s_and_saveexec_b64 s[52:53], s[50:51]
	s_cbranch_execz .LBB1266_96
; %bb.100:                              ;   in Loop: Header=BB1266_97 Depth=1
	s_add_u32 s42, s42, -1
	s_addc_u32 s43, s43, -1
	s_cmp_eq_u64 s[42:43], 0
	s_cselect_b64 s[48:49], -1, 0
	v_lshl_add_u64 v[4:5], v[4:5], 0, 2
	v_lshl_add_u64 v[6:7], v[6:7], 0, 2
	s_and_b64 s[44:45], s[46:47], exec
	s_andn2_b64 s[40:41], s[40:41], exec
	s_orn2_b64 s[48:49], s[48:49], exec
	s_branch .LBB1266_96
.LBB1266_101:
	s_or_b64 exec, exec, s[36:37]
	s_xor_b64 s[36:37], s[38:39], -1
	s_andn2_b64 s[26:27], s[26:27], exec
	s_and_b64 s[36:37], s[36:37], exec
	s_or_b64 s[26:27], s[26:27], s[36:37]
.LBB1266_102:
	s_or_b64 exec, exec, s[34:35]
	s_orn2_b64 s[26:27], s[26:27], exec
.LBB1266_103:
	s_or_b64 exec, exec, s[30:31]
	v_cndmask_b32_e64 v4, v36, v37, s[26:27]
	v_cndmask_b32_e64 v5, v24, v1, s[26:27]
	v_add_u32_e32 v6, 1, v4
	v_add_u32_e32 v4, -1, v5
	v_min_u32_e32 v4, v6, v4
	v_lshlrev_b32_e32 v4, 3, v4
	ds_read_b64 v[4:5], v4
	v_cndmask_b32_e64 v41, v6, v36, s[26:27]
	v_cndmask_b32_e64 v40, v37, v6, s[26:27]
	v_cmp_lt_u32_e32 vcc, v41, v24
	s_waitcnt lgkmcnt(0)
	v_cndmask_b32_e64 v14, v5, v12, s[26:27]
	v_cndmask_b32_e64 v34, v4, v32, s[26:27]
	;; [unrolled: 1-line block ×4, first 2 shown]
	s_and_saveexec_b64 s[30:31], vcc
	s_cbranch_execz .LBB1266_113
; %bb.104:
	v_cmp_lt_u32_e64 s[28:29], v40, v1
	s_xor_b64 s[34:35], s[0:1], -1
	s_and_b64 s[36:37], s[28:29], s[34:35]
	s_and_saveexec_b64 s[34:35], s[36:37]
	s_cbranch_execz .LBB1266_112
; %bb.105:
	v_mul_lo_u32 v6, v14, s4
	v_mul_lo_u32 v7, v34, s5
	v_mad_u64_u32 v[4:5], s[36:37], v34, s4, 0
	v_add3_u32 v5, v5, v7, v6
	v_mul_lo_u32 v36, v15, s4
	v_mul_lo_u32 v37, v35, s5
	v_mad_u64_u32 v[6:7], s[36:37], v35, s4, 0
	v_add3_u32 v7, v7, v37, v36
	v_lshl_add_u64 v[4:5], v[4:5], 1, s[6:7]
	v_lshl_add_u64 v[6:7], v[6:7], 1, s[6:7]
	s_mov_b64 s[36:37], 0
	s_mov_b64 s[42:43], s[4:5]
                                        ; implicit-def: $sgpr38_sgpr39
                                        ; implicit-def: $sgpr40_sgpr41
                                        ; implicit-def: $sgpr44_sgpr45
	s_branch .LBB1266_107
.LBB1266_106:                           ;   in Loop: Header=BB1266_107 Depth=1
	s_or_b64 exec, exec, s[52:53]
	s_and_b64 s[46:47], exec, s[48:49]
	s_or_b64 s[36:37], s[46:47], s[36:37]
	s_andn2_b64 s[38:39], s[38:39], exec
	s_and_b64 s[46:47], s[40:41], exec
	s_or_b64 s[38:39], s[38:39], s[46:47]
	s_andn2_b64 exec, exec, s[36:37]
	s_cbranch_execz .LBB1266_111
.LBB1266_107:                           ; =>This Inner Loop Header: Depth=1
	global_load_ushort v36, v[4:5], off
	global_load_ushort v37, v[6:7], off
	s_mov_b64 s[50:51], 0
	s_mov_b64 s[46:47], -1
	s_waitcnt vmcnt(0)
	v_cmp_nlt_f16_e32 vcc, v36, v37
	s_and_saveexec_b64 s[48:49], vcc
; %bb.108:                              ;   in Loop: Header=BB1266_107 Depth=1
	v_cmp_ngt_f16_e32 vcc, v36, v37
	s_and_b64 s[44:45], vcc, s[44:45]
	s_orn2_b64 s[46:47], s[44:45], exec
	s_and_b64 s[50:51], vcc, exec
; %bb.109:                              ;   in Loop: Header=BB1266_107 Depth=1
	s_or_b64 exec, exec, s[48:49]
	s_andn2_b64 s[40:41], s[40:41], exec
	s_and_b64 s[44:45], s[46:47], exec
	s_mov_b64 s[48:49], -1
	s_or_b64 s[40:41], s[40:41], s[44:45]
                                        ; implicit-def: $sgpr44_sgpr45
	s_and_saveexec_b64 s[52:53], s[50:51]
	s_cbranch_execz .LBB1266_106
; %bb.110:                              ;   in Loop: Header=BB1266_107 Depth=1
	s_add_u32 s42, s42, -1
	s_addc_u32 s43, s43, -1
	s_cmp_eq_u64 s[42:43], 0
	s_cselect_b64 s[48:49], -1, 0
	v_lshl_add_u64 v[4:5], v[4:5], 0, 2
	v_lshl_add_u64 v[6:7], v[6:7], 0, 2
	s_and_b64 s[44:45], s[46:47], exec
	s_andn2_b64 s[40:41], s[40:41], exec
	s_orn2_b64 s[48:49], s[48:49], exec
	s_branch .LBB1266_106
.LBB1266_111:
	s_or_b64 exec, exec, s[36:37]
	s_xor_b64 s[36:37], s[38:39], -1
	s_andn2_b64 s[28:29], s[28:29], exec
	s_and_b64 s[36:37], s[36:37], exec
	s_or_b64 s[28:29], s[28:29], s[36:37]
.LBB1266_112:
	s_or_b64 exec, exec, s[34:35]
	s_orn2_b64 s[28:29], s[28:29], exec
.LBB1266_113:
	s_or_b64 exec, exec, s[30:31]
	v_cndmask_b32_e64 v4, v41, v40, s[28:29]
	v_cndmask_b32_e64 v5, v24, v1, s[28:29]
	v_add_u32_e32 v4, 1, v4
	v_add_u32_e32 v5, -1, v5
	v_min_u32_e32 v5, v4, v5
	v_lshlrev_b32_e32 v5, 3, v5
	ds_read_b64 v[6:7], v5
	v_cndmask_b32_e64 v5, v4, v41, s[28:29]
	v_cmp_lt_u32_e32 vcc, v5, v24
	s_mov_b64 s[34:35], -1
	s_waitcnt lgkmcnt(0)
	v_cndmask_b32_e64 v36, v7, v14, s[28:29]
	v_cndmask_b32_e64 v37, v6, v34, s[28:29]
	v_cndmask_b32_e64 v38, v15, v7, s[28:29]
	v_cndmask_b32_e64 v39, v35, v6, s[28:29]
	s_and_saveexec_b64 s[30:31], vcc
	s_cbranch_execz .LBB1266_123
; %bb.114:
	v_cndmask_b32_e64 v4, v40, v4, s[28:29]
	v_cmp_lt_u32_e64 s[34:35], v4, v1
	s_xor_b64 s[0:1], s[0:1], -1
	s_and_b64 s[36:37], s[34:35], s[0:1]
	s_and_saveexec_b64 s[0:1], s[36:37]
	s_cbranch_execz .LBB1266_122
; %bb.115:
	v_mul_lo_u32 v1, v36, s4
	v_mul_lo_u32 v6, v37, s5
	v_mad_u64_u32 v[4:5], s[36:37], v37, s4, 0
	v_add3_u32 v5, v5, v6, v1
	v_mul_lo_u32 v1, v38, s4
	v_mul_lo_u32 v24, v39, s5
	v_mad_u64_u32 v[6:7], s[36:37], v39, s4, 0
	v_add3_u32 v7, v7, v24, v1
	v_lshl_add_u64 v[4:5], v[4:5], 1, s[6:7]
	v_lshl_add_u64 v[6:7], v[6:7], 1, s[6:7]
	s_mov_b64 s[6:7], 0
                                        ; implicit-def: $sgpr36_sgpr37
                                        ; implicit-def: $sgpr38_sgpr39
                                        ; implicit-def: $sgpr40_sgpr41
	s_branch .LBB1266_117
.LBB1266_116:                           ;   in Loop: Header=BB1266_117 Depth=1
	s_or_b64 exec, exec, s[48:49]
	s_and_b64 s[42:43], exec, s[44:45]
	s_or_b64 s[6:7], s[42:43], s[6:7]
	s_andn2_b64 s[36:37], s[36:37], exec
	s_and_b64 s[42:43], s[38:39], exec
	s_or_b64 s[36:37], s[36:37], s[42:43]
	s_andn2_b64 exec, exec, s[6:7]
	s_cbranch_execz .LBB1266_121
.LBB1266_117:                           ; =>This Inner Loop Header: Depth=1
	global_load_ushort v1, v[4:5], off
	global_load_ushort v24, v[6:7], off
	s_mov_b64 s[46:47], 0
	s_mov_b64 s[42:43], -1
	s_waitcnt vmcnt(0)
	v_cmp_nlt_f16_e32 vcc, v1, v24
	s_and_saveexec_b64 s[44:45], vcc
; %bb.118:                              ;   in Loop: Header=BB1266_117 Depth=1
	v_cmp_ngt_f16_e32 vcc, v1, v24
	s_and_b64 s[40:41], vcc, s[40:41]
	s_orn2_b64 s[42:43], s[40:41], exec
	s_and_b64 s[46:47], vcc, exec
; %bb.119:                              ;   in Loop: Header=BB1266_117 Depth=1
	s_or_b64 exec, exec, s[44:45]
	s_andn2_b64 s[38:39], s[38:39], exec
	s_and_b64 s[40:41], s[42:43], exec
	s_mov_b64 s[44:45], -1
	s_or_b64 s[38:39], s[38:39], s[40:41]
                                        ; implicit-def: $sgpr40_sgpr41
	s_and_saveexec_b64 s[48:49], s[46:47]
	s_cbranch_execz .LBB1266_116
; %bb.120:                              ;   in Loop: Header=BB1266_117 Depth=1
	s_add_u32 s4, s4, -1
	s_addc_u32 s5, s5, -1
	s_cmp_eq_u64 s[4:5], 0
	s_cselect_b64 s[44:45], -1, 0
	v_lshl_add_u64 v[4:5], v[4:5], 0, 2
	v_lshl_add_u64 v[6:7], v[6:7], 0, 2
	s_and_b64 s[40:41], s[42:43], exec
	s_andn2_b64 s[38:39], s[38:39], exec
	s_orn2_b64 s[44:45], s[44:45], exec
	s_branch .LBB1266_116
.LBB1266_121:
	s_or_b64 exec, exec, s[6:7]
	s_xor_b64 s[4:5], s[36:37], -1
	s_andn2_b64 s[6:7], s[34:35], exec
	s_and_b64 s[4:5], s[4:5], exec
	s_or_b64 s[34:35], s[6:7], s[4:5]
.LBB1266_122:
	s_or_b64 exec, exec, s[0:1]
	s_orn2_b64 s[34:35], s[34:35], exec
.LBB1266_123:
	s_or_b64 exec, exec, s[30:31]
	v_cndmask_b32_e64 v15, v14, v15, s[28:29]
	v_cndmask_b32_e64 v14, v34, v35, s[28:29]
	;; [unrolled: 1-line block ×16, first 2 shown]
.LBB1266_124:
	s_or_b64 exec, exec, s[2:3]
	v_lshrrev_b32_e32 v1, 2, v0
	v_lshlrev_b32_e32 v19, 3, v18
	v_lshl_add_u32 v19, v1, 3, v19
	v_and_b32_e32 v1, 24, v1
	v_or_b32_e32 v25, 0x80, v0
	v_add_u32_e32 v26, v18, v1
	v_lshrrev_b32_e32 v1, 2, v25
	v_and_b32_e32 v1, 56, v1
	v_or_b32_e32 v24, 0x100, v0
	s_barrier
	s_barrier
	ds_write2_b64 v19, v[2:3], v[4:5] offset1:1
	ds_write2_b64 v19, v[6:7], v[8:9] offset0:2 offset1:3
	ds_write2_b64 v19, v[10:11], v[12:13] offset0:4 offset1:5
	;; [unrolled: 1-line block ×3, first 2 shown]
	v_add_u32_e32 v6, v18, v1
	v_lshrrev_b32_e32 v1, 2, v24
	v_and_b32_e32 v1, 0x58, v1
	v_or_b32_e32 v23, 0x180, v0
	v_add_u32_e32 v7, v18, v1
	v_lshrrev_b32_e32 v1, 2, v23
	v_and_b32_e32 v1, 0x78, v1
	v_or_b32_e32 v22, 0x200, v0
	;; [unrolled: 4-line block ×4, first 2 shown]
	v_add_u32_e32 v27, v18, v1
	v_lshrrev_b32_e32 v1, 2, v20
	v_and_b32_e32 v1, 0xd8, v1
	s_lshl_b64 s[0:1], s[20:21], 3
	v_add_u32_e32 v28, v18, v1
	v_or_b32_e32 v1, 0x380, v0
	s_add_u32 s0, s14, s0
	v_lshrrev_b32_e32 v2, 2, v1
	s_addc_u32 s1, s15, s1
	v_and_b32_e32 v2, 0xf8, v2
	v_mov_b32_e32 v19, 0
	v_add_u32_e32 v29, v18, v2
	v_lshl_add_u64 v[2:3], s[0:1], 0, v[18:19]
	s_and_b64 vcc, exec, s[10:11]
	s_waitcnt lgkmcnt(0)
	s_cbranch_vccz .LBB1266_126
; %bb.125:
	s_barrier
	ds_read_b64 v[10:11], v26
	ds_read_b64 v[12:13], v6 offset:1024
	ds_read_b64 v[14:15], v7 offset:2048
	;; [unrolled: 1-line block ×7, first 2 shown]
	s_waitcnt lgkmcnt(7)
	global_store_dwordx2 v[2:3], v[10:11], off
	s_waitcnt lgkmcnt(6)
	global_store_dwordx2 v[2:3], v[12:13], off offset:1024
	s_waitcnt lgkmcnt(5)
	global_store_dwordx2 v[2:3], v[14:15], off offset:2048
	;; [unrolled: 2-line block ×3, first 2 shown]
	v_add_co_u32_e32 v10, vcc, 0x1000, v2
	s_nop 1
	v_addc_co_u32_e32 v11, vcc, 0, v3, vcc
	s_waitcnt lgkmcnt(3)
	global_store_dwordx2 v[10:11], v[18:19], off
	s_waitcnt lgkmcnt(2)
	global_store_dwordx2 v[10:11], v[30:31], off offset:1024
	s_waitcnt lgkmcnt(1)
	global_store_dwordx2 v[10:11], v[32:33], off offset:2048
	s_mov_b64 s[0:1], -1
	s_cbranch_execz .LBB1266_127
	s_branch .LBB1266_136
.LBB1266_126:
	s_mov_b64 s[0:1], 0
                                        ; implicit-def: $vgpr4_vgpr5
.LBB1266_127:
	s_barrier
	s_waitcnt lgkmcnt(0)
	ds_read_b64 v[16:17], v6 offset:1024
	ds_read_b64 v[14:15], v7 offset:2048
	;; [unrolled: 1-line block ×7, first 2 shown]
	s_sub_i32 s2, s8, s20
	v_cmp_gt_u32_e32 vcc, s2, v0
	s_and_saveexec_b64 s[0:1], vcc
	s_cbranch_execnz .LBB1266_139
; %bb.128:
	s_or_b64 exec, exec, s[0:1]
	v_cmp_gt_u32_e32 vcc, s2, v25
	s_and_saveexec_b64 s[0:1], vcc
	s_cbranch_execnz .LBB1266_140
.LBB1266_129:
	s_or_b64 exec, exec, s[0:1]
	v_cmp_gt_u32_e32 vcc, s2, v24
	s_and_saveexec_b64 s[0:1], vcc
	s_cbranch_execnz .LBB1266_141
.LBB1266_130:
	s_or_b64 exec, exec, s[0:1]
	v_cmp_gt_u32_e32 vcc, s2, v23
	s_and_saveexec_b64 s[0:1], vcc
	s_cbranch_execnz .LBB1266_142
.LBB1266_131:
	s_or_b64 exec, exec, s[0:1]
	v_cmp_gt_u32_e32 vcc, s2, v22
	s_and_saveexec_b64 s[0:1], vcc
	s_cbranch_execnz .LBB1266_143
.LBB1266_132:
	s_or_b64 exec, exec, s[0:1]
	v_cmp_gt_u32_e32 vcc, s2, v21
	s_and_saveexec_b64 s[0:1], vcc
	s_cbranch_execnz .LBB1266_144
.LBB1266_133:
	s_or_b64 exec, exec, s[0:1]
	v_cmp_gt_u32_e32 vcc, s2, v20
	s_and_saveexec_b64 s[0:1], vcc
	s_cbranch_execz .LBB1266_135
.LBB1266_134:
	s_waitcnt lgkmcnt(2)
	v_add_co_u32_e32 v8, vcc, 0x1000, v2
	s_nop 1
	v_addc_co_u32_e32 v9, vcc, 0, v3, vcc
	s_waitcnt lgkmcnt(1)
	global_store_dwordx2 v[8:9], v[6:7], off offset:2048
.LBB1266_135:
	s_or_b64 exec, exec, s[0:1]
	v_cmp_gt_u32_e64 s[0:1], s2, v1
.LBB1266_136:
	s_and_saveexec_b64 s[2:3], s[0:1]
	s_cbranch_execz .LBB1266_138
; %bb.137:
	v_add_co_u32_e32 v0, vcc, 0x1000, v2
	s_nop 1
	v_addc_co_u32_e32 v1, vcc, 0, v3, vcc
	s_waitcnt lgkmcnt(0)
	global_store_dwordx2 v[0:1], v[4:5], off offset:3072
.LBB1266_138:
	s_endpgm
.LBB1266_139:
	ds_read_b64 v[18:19], v26
	s_waitcnt lgkmcnt(0)
	global_store_dwordx2 v[2:3], v[18:19], off
	s_or_b64 exec, exec, s[0:1]
	v_cmp_gt_u32_e32 vcc, s2, v25
	s_and_saveexec_b64 s[0:1], vcc
	s_cbranch_execz .LBB1266_129
.LBB1266_140:
	s_waitcnt lgkmcnt(6)
	global_store_dwordx2 v[2:3], v[16:17], off offset:1024
	s_or_b64 exec, exec, s[0:1]
	v_cmp_gt_u32_e32 vcc, s2, v24
	s_and_saveexec_b64 s[0:1], vcc
	s_cbranch_execz .LBB1266_130
.LBB1266_141:
	s_waitcnt lgkmcnt(5)
	global_store_dwordx2 v[2:3], v[14:15], off offset:2048
	s_or_b64 exec, exec, s[0:1]
	v_cmp_gt_u32_e32 vcc, s2, v23
	s_and_saveexec_b64 s[0:1], vcc
	s_cbranch_execz .LBB1266_131
.LBB1266_142:
	s_waitcnt lgkmcnt(4)
	global_store_dwordx2 v[2:3], v[12:13], off offset:3072
	s_or_b64 exec, exec, s[0:1]
	v_cmp_gt_u32_e32 vcc, s2, v22
	s_and_saveexec_b64 s[0:1], vcc
	s_cbranch_execz .LBB1266_132
.LBB1266_143:
	s_waitcnt lgkmcnt(4)
	v_add_co_u32_e32 v12, vcc, 0x1000, v2
	s_nop 1
	v_addc_co_u32_e32 v13, vcc, 0, v3, vcc
	s_waitcnt lgkmcnt(3)
	global_store_dwordx2 v[12:13], v[10:11], off
	s_or_b64 exec, exec, s[0:1]
	v_cmp_gt_u32_e32 vcc, s2, v21
	s_and_saveexec_b64 s[0:1], vcc
	s_cbranch_execz .LBB1266_133
.LBB1266_144:
	s_waitcnt lgkmcnt(3)
	v_add_co_u32_e32 v10, vcc, 0x1000, v2
	s_nop 1
	v_addc_co_u32_e32 v11, vcc, 0, v3, vcc
	s_waitcnt lgkmcnt(2)
	global_store_dwordx2 v[10:11], v[8:9], off offset:1024
	s_or_b64 exec, exec, s[0:1]
	v_cmp_gt_u32_e32 vcc, s2, v20
	s_and_saveexec_b64 s[0:1], vcc
	s_cbranch_execnz .LBB1266_134
	s_branch .LBB1266_135
	.section	.rodata,"a",@progbits
	.p2align	6, 0x0
	.amdhsa_kernel _ZN7rocprim17ROCPRIM_400000_NS6detail17trampoline_kernelINS0_14default_configENS1_38merge_sort_block_merge_config_selectorIlNS0_10empty_typeEEEZZNS1_27merge_sort_block_merge_implIS3_PlPS5_mZN2at6native12_GLOBAL__N_124unique_dim_cuda_templateIN3c104HalfEEESt5tupleIJNSA_6TensorESH_SH_EERKSH_lbbbEUlllE_EE10hipError_tT0_T1_T2_jT3_P12ihipStream_tbPNSt15iterator_traitsISN_E10value_typeEPNST_ISO_E10value_typeEPSP_NS1_7vsmem_tEENKUlT_SN_SO_SP_E_clIS8_S8_S9_S9_EESM_S12_SN_SO_SP_EUlS12_E0_NS1_11comp_targetILNS1_3genE5ELNS1_11target_archE942ELNS1_3gpuE9ELNS1_3repE0EEENS1_38merge_mergepath_config_static_selectorELNS0_4arch9wavefront6targetE1EEEvSO_
		.amdhsa_group_segment_fixed_size 8448
		.amdhsa_private_segment_fixed_size 0
		.amdhsa_kernarg_size 344
		.amdhsa_user_sgpr_count 2
		.amdhsa_user_sgpr_dispatch_ptr 0
		.amdhsa_user_sgpr_queue_ptr 0
		.amdhsa_user_sgpr_kernarg_segment_ptr 1
		.amdhsa_user_sgpr_dispatch_id 0
		.amdhsa_user_sgpr_kernarg_preload_length 0
		.amdhsa_user_sgpr_kernarg_preload_offset 0
		.amdhsa_user_sgpr_private_segment_size 0
		.amdhsa_uses_dynamic_stack 0
		.amdhsa_enable_private_segment 0
		.amdhsa_system_sgpr_workgroup_id_x 1
		.amdhsa_system_sgpr_workgroup_id_y 1
		.amdhsa_system_sgpr_workgroup_id_z 1
		.amdhsa_system_sgpr_workgroup_info 0
		.amdhsa_system_vgpr_workitem_id 0
		.amdhsa_next_free_vgpr 42
		.amdhsa_next_free_sgpr 54
		.amdhsa_accum_offset 44
		.amdhsa_reserve_vcc 1
		.amdhsa_float_round_mode_32 0
		.amdhsa_float_round_mode_16_64 0
		.amdhsa_float_denorm_mode_32 3
		.amdhsa_float_denorm_mode_16_64 3
		.amdhsa_dx10_clamp 1
		.amdhsa_ieee_mode 1
		.amdhsa_fp16_overflow 0
		.amdhsa_tg_split 0
		.amdhsa_exception_fp_ieee_invalid_op 0
		.amdhsa_exception_fp_denorm_src 0
		.amdhsa_exception_fp_ieee_div_zero 0
		.amdhsa_exception_fp_ieee_overflow 0
		.amdhsa_exception_fp_ieee_underflow 0
		.amdhsa_exception_fp_ieee_inexact 0
		.amdhsa_exception_int_div_zero 0
	.end_amdhsa_kernel
	.section	.text._ZN7rocprim17ROCPRIM_400000_NS6detail17trampoline_kernelINS0_14default_configENS1_38merge_sort_block_merge_config_selectorIlNS0_10empty_typeEEEZZNS1_27merge_sort_block_merge_implIS3_PlPS5_mZN2at6native12_GLOBAL__N_124unique_dim_cuda_templateIN3c104HalfEEESt5tupleIJNSA_6TensorESH_SH_EERKSH_lbbbEUlllE_EE10hipError_tT0_T1_T2_jT3_P12ihipStream_tbPNSt15iterator_traitsISN_E10value_typeEPNST_ISO_E10value_typeEPSP_NS1_7vsmem_tEENKUlT_SN_SO_SP_E_clIS8_S8_S9_S9_EESM_S12_SN_SO_SP_EUlS12_E0_NS1_11comp_targetILNS1_3genE5ELNS1_11target_archE942ELNS1_3gpuE9ELNS1_3repE0EEENS1_38merge_mergepath_config_static_selectorELNS0_4arch9wavefront6targetE1EEEvSO_,"axG",@progbits,_ZN7rocprim17ROCPRIM_400000_NS6detail17trampoline_kernelINS0_14default_configENS1_38merge_sort_block_merge_config_selectorIlNS0_10empty_typeEEEZZNS1_27merge_sort_block_merge_implIS3_PlPS5_mZN2at6native12_GLOBAL__N_124unique_dim_cuda_templateIN3c104HalfEEESt5tupleIJNSA_6TensorESH_SH_EERKSH_lbbbEUlllE_EE10hipError_tT0_T1_T2_jT3_P12ihipStream_tbPNSt15iterator_traitsISN_E10value_typeEPNST_ISO_E10value_typeEPSP_NS1_7vsmem_tEENKUlT_SN_SO_SP_E_clIS8_S8_S9_S9_EESM_S12_SN_SO_SP_EUlS12_E0_NS1_11comp_targetILNS1_3genE5ELNS1_11target_archE942ELNS1_3gpuE9ELNS1_3repE0EEENS1_38merge_mergepath_config_static_selectorELNS0_4arch9wavefront6targetE1EEEvSO_,comdat
.Lfunc_end1266:
	.size	_ZN7rocprim17ROCPRIM_400000_NS6detail17trampoline_kernelINS0_14default_configENS1_38merge_sort_block_merge_config_selectorIlNS0_10empty_typeEEEZZNS1_27merge_sort_block_merge_implIS3_PlPS5_mZN2at6native12_GLOBAL__N_124unique_dim_cuda_templateIN3c104HalfEEESt5tupleIJNSA_6TensorESH_SH_EERKSH_lbbbEUlllE_EE10hipError_tT0_T1_T2_jT3_P12ihipStream_tbPNSt15iterator_traitsISN_E10value_typeEPNST_ISO_E10value_typeEPSP_NS1_7vsmem_tEENKUlT_SN_SO_SP_E_clIS8_S8_S9_S9_EESM_S12_SN_SO_SP_EUlS12_E0_NS1_11comp_targetILNS1_3genE5ELNS1_11target_archE942ELNS1_3gpuE9ELNS1_3repE0EEENS1_38merge_mergepath_config_static_selectorELNS0_4arch9wavefront6targetE1EEEvSO_, .Lfunc_end1266-_ZN7rocprim17ROCPRIM_400000_NS6detail17trampoline_kernelINS0_14default_configENS1_38merge_sort_block_merge_config_selectorIlNS0_10empty_typeEEEZZNS1_27merge_sort_block_merge_implIS3_PlPS5_mZN2at6native12_GLOBAL__N_124unique_dim_cuda_templateIN3c104HalfEEESt5tupleIJNSA_6TensorESH_SH_EERKSH_lbbbEUlllE_EE10hipError_tT0_T1_T2_jT3_P12ihipStream_tbPNSt15iterator_traitsISN_E10value_typeEPNST_ISO_E10value_typeEPSP_NS1_7vsmem_tEENKUlT_SN_SO_SP_E_clIS8_S8_S9_S9_EESM_S12_SN_SO_SP_EUlS12_E0_NS1_11comp_targetILNS1_3genE5ELNS1_11target_archE942ELNS1_3gpuE9ELNS1_3repE0EEENS1_38merge_mergepath_config_static_selectorELNS0_4arch9wavefront6targetE1EEEvSO_
                                        ; -- End function
	.section	.AMDGPU.csdata,"",@progbits
; Kernel info:
; codeLenInByte = 6388
; NumSgprs: 60
; NumVgprs: 42
; NumAgprs: 0
; TotalNumVgprs: 42
; ScratchSize: 0
; MemoryBound: 0
; FloatMode: 240
; IeeeMode: 1
; LDSByteSize: 8448 bytes/workgroup (compile time only)
; SGPRBlocks: 7
; VGPRBlocks: 5
; NumSGPRsForWavesPerEU: 60
; NumVGPRsForWavesPerEU: 42
; AccumOffset: 44
; Occupancy: 4
; WaveLimiterHint : 1
; COMPUTE_PGM_RSRC2:SCRATCH_EN: 0
; COMPUTE_PGM_RSRC2:USER_SGPR: 2
; COMPUTE_PGM_RSRC2:TRAP_HANDLER: 0
; COMPUTE_PGM_RSRC2:TGID_X_EN: 1
; COMPUTE_PGM_RSRC2:TGID_Y_EN: 1
; COMPUTE_PGM_RSRC2:TGID_Z_EN: 1
; COMPUTE_PGM_RSRC2:TIDIG_COMP_CNT: 0
; COMPUTE_PGM_RSRC3_GFX90A:ACCUM_OFFSET: 10
; COMPUTE_PGM_RSRC3_GFX90A:TG_SPLIT: 0
	.section	.text._ZN7rocprim17ROCPRIM_400000_NS6detail17trampoline_kernelINS0_14default_configENS1_38merge_sort_block_merge_config_selectorIlNS0_10empty_typeEEEZZNS1_27merge_sort_block_merge_implIS3_PlPS5_mZN2at6native12_GLOBAL__N_124unique_dim_cuda_templateIN3c104HalfEEESt5tupleIJNSA_6TensorESH_SH_EERKSH_lbbbEUlllE_EE10hipError_tT0_T1_T2_jT3_P12ihipStream_tbPNSt15iterator_traitsISN_E10value_typeEPNST_ISO_E10value_typeEPSP_NS1_7vsmem_tEENKUlT_SN_SO_SP_E_clIS8_S8_S9_S9_EESM_S12_SN_SO_SP_EUlS12_E0_NS1_11comp_targetILNS1_3genE4ELNS1_11target_archE910ELNS1_3gpuE8ELNS1_3repE0EEENS1_38merge_mergepath_config_static_selectorELNS0_4arch9wavefront6targetE1EEEvSO_,"axG",@progbits,_ZN7rocprim17ROCPRIM_400000_NS6detail17trampoline_kernelINS0_14default_configENS1_38merge_sort_block_merge_config_selectorIlNS0_10empty_typeEEEZZNS1_27merge_sort_block_merge_implIS3_PlPS5_mZN2at6native12_GLOBAL__N_124unique_dim_cuda_templateIN3c104HalfEEESt5tupleIJNSA_6TensorESH_SH_EERKSH_lbbbEUlllE_EE10hipError_tT0_T1_T2_jT3_P12ihipStream_tbPNSt15iterator_traitsISN_E10value_typeEPNST_ISO_E10value_typeEPSP_NS1_7vsmem_tEENKUlT_SN_SO_SP_E_clIS8_S8_S9_S9_EESM_S12_SN_SO_SP_EUlS12_E0_NS1_11comp_targetILNS1_3genE4ELNS1_11target_archE910ELNS1_3gpuE8ELNS1_3repE0EEENS1_38merge_mergepath_config_static_selectorELNS0_4arch9wavefront6targetE1EEEvSO_,comdat
	.globl	_ZN7rocprim17ROCPRIM_400000_NS6detail17trampoline_kernelINS0_14default_configENS1_38merge_sort_block_merge_config_selectorIlNS0_10empty_typeEEEZZNS1_27merge_sort_block_merge_implIS3_PlPS5_mZN2at6native12_GLOBAL__N_124unique_dim_cuda_templateIN3c104HalfEEESt5tupleIJNSA_6TensorESH_SH_EERKSH_lbbbEUlllE_EE10hipError_tT0_T1_T2_jT3_P12ihipStream_tbPNSt15iterator_traitsISN_E10value_typeEPNST_ISO_E10value_typeEPSP_NS1_7vsmem_tEENKUlT_SN_SO_SP_E_clIS8_S8_S9_S9_EESM_S12_SN_SO_SP_EUlS12_E0_NS1_11comp_targetILNS1_3genE4ELNS1_11target_archE910ELNS1_3gpuE8ELNS1_3repE0EEENS1_38merge_mergepath_config_static_selectorELNS0_4arch9wavefront6targetE1EEEvSO_ ; -- Begin function _ZN7rocprim17ROCPRIM_400000_NS6detail17trampoline_kernelINS0_14default_configENS1_38merge_sort_block_merge_config_selectorIlNS0_10empty_typeEEEZZNS1_27merge_sort_block_merge_implIS3_PlPS5_mZN2at6native12_GLOBAL__N_124unique_dim_cuda_templateIN3c104HalfEEESt5tupleIJNSA_6TensorESH_SH_EERKSH_lbbbEUlllE_EE10hipError_tT0_T1_T2_jT3_P12ihipStream_tbPNSt15iterator_traitsISN_E10value_typeEPNST_ISO_E10value_typeEPSP_NS1_7vsmem_tEENKUlT_SN_SO_SP_E_clIS8_S8_S9_S9_EESM_S12_SN_SO_SP_EUlS12_E0_NS1_11comp_targetILNS1_3genE4ELNS1_11target_archE910ELNS1_3gpuE8ELNS1_3repE0EEENS1_38merge_mergepath_config_static_selectorELNS0_4arch9wavefront6targetE1EEEvSO_
	.p2align	8
	.type	_ZN7rocprim17ROCPRIM_400000_NS6detail17trampoline_kernelINS0_14default_configENS1_38merge_sort_block_merge_config_selectorIlNS0_10empty_typeEEEZZNS1_27merge_sort_block_merge_implIS3_PlPS5_mZN2at6native12_GLOBAL__N_124unique_dim_cuda_templateIN3c104HalfEEESt5tupleIJNSA_6TensorESH_SH_EERKSH_lbbbEUlllE_EE10hipError_tT0_T1_T2_jT3_P12ihipStream_tbPNSt15iterator_traitsISN_E10value_typeEPNST_ISO_E10value_typeEPSP_NS1_7vsmem_tEENKUlT_SN_SO_SP_E_clIS8_S8_S9_S9_EESM_S12_SN_SO_SP_EUlS12_E0_NS1_11comp_targetILNS1_3genE4ELNS1_11target_archE910ELNS1_3gpuE8ELNS1_3repE0EEENS1_38merge_mergepath_config_static_selectorELNS0_4arch9wavefront6targetE1EEEvSO_,@function
_ZN7rocprim17ROCPRIM_400000_NS6detail17trampoline_kernelINS0_14default_configENS1_38merge_sort_block_merge_config_selectorIlNS0_10empty_typeEEEZZNS1_27merge_sort_block_merge_implIS3_PlPS5_mZN2at6native12_GLOBAL__N_124unique_dim_cuda_templateIN3c104HalfEEESt5tupleIJNSA_6TensorESH_SH_EERKSH_lbbbEUlllE_EE10hipError_tT0_T1_T2_jT3_P12ihipStream_tbPNSt15iterator_traitsISN_E10value_typeEPNST_ISO_E10value_typeEPSP_NS1_7vsmem_tEENKUlT_SN_SO_SP_E_clIS8_S8_S9_S9_EESM_S12_SN_SO_SP_EUlS12_E0_NS1_11comp_targetILNS1_3genE4ELNS1_11target_archE910ELNS1_3gpuE8ELNS1_3repE0EEENS1_38merge_mergepath_config_static_selectorELNS0_4arch9wavefront6targetE1EEEvSO_: ; @_ZN7rocprim17ROCPRIM_400000_NS6detail17trampoline_kernelINS0_14default_configENS1_38merge_sort_block_merge_config_selectorIlNS0_10empty_typeEEEZZNS1_27merge_sort_block_merge_implIS3_PlPS5_mZN2at6native12_GLOBAL__N_124unique_dim_cuda_templateIN3c104HalfEEESt5tupleIJNSA_6TensorESH_SH_EERKSH_lbbbEUlllE_EE10hipError_tT0_T1_T2_jT3_P12ihipStream_tbPNSt15iterator_traitsISN_E10value_typeEPNST_ISO_E10value_typeEPSP_NS1_7vsmem_tEENKUlT_SN_SO_SP_E_clIS8_S8_S9_S9_EESM_S12_SN_SO_SP_EUlS12_E0_NS1_11comp_targetILNS1_3genE4ELNS1_11target_archE910ELNS1_3gpuE8ELNS1_3repE0EEENS1_38merge_mergepath_config_static_selectorELNS0_4arch9wavefront6targetE1EEEvSO_
; %bb.0:
	.section	.rodata,"a",@progbits
	.p2align	6, 0x0
	.amdhsa_kernel _ZN7rocprim17ROCPRIM_400000_NS6detail17trampoline_kernelINS0_14default_configENS1_38merge_sort_block_merge_config_selectorIlNS0_10empty_typeEEEZZNS1_27merge_sort_block_merge_implIS3_PlPS5_mZN2at6native12_GLOBAL__N_124unique_dim_cuda_templateIN3c104HalfEEESt5tupleIJNSA_6TensorESH_SH_EERKSH_lbbbEUlllE_EE10hipError_tT0_T1_T2_jT3_P12ihipStream_tbPNSt15iterator_traitsISN_E10value_typeEPNST_ISO_E10value_typeEPSP_NS1_7vsmem_tEENKUlT_SN_SO_SP_E_clIS8_S8_S9_S9_EESM_S12_SN_SO_SP_EUlS12_E0_NS1_11comp_targetILNS1_3genE4ELNS1_11target_archE910ELNS1_3gpuE8ELNS1_3repE0EEENS1_38merge_mergepath_config_static_selectorELNS0_4arch9wavefront6targetE1EEEvSO_
		.amdhsa_group_segment_fixed_size 0
		.amdhsa_private_segment_fixed_size 0
		.amdhsa_kernarg_size 88
		.amdhsa_user_sgpr_count 2
		.amdhsa_user_sgpr_dispatch_ptr 0
		.amdhsa_user_sgpr_queue_ptr 0
		.amdhsa_user_sgpr_kernarg_segment_ptr 1
		.amdhsa_user_sgpr_dispatch_id 0
		.amdhsa_user_sgpr_kernarg_preload_length 0
		.amdhsa_user_sgpr_kernarg_preload_offset 0
		.amdhsa_user_sgpr_private_segment_size 0
		.amdhsa_uses_dynamic_stack 0
		.amdhsa_enable_private_segment 0
		.amdhsa_system_sgpr_workgroup_id_x 1
		.amdhsa_system_sgpr_workgroup_id_y 0
		.amdhsa_system_sgpr_workgroup_id_z 0
		.amdhsa_system_sgpr_workgroup_info 0
		.amdhsa_system_vgpr_workitem_id 0
		.amdhsa_next_free_vgpr 1
		.amdhsa_next_free_sgpr 0
		.amdhsa_accum_offset 4
		.amdhsa_reserve_vcc 0
		.amdhsa_float_round_mode_32 0
		.amdhsa_float_round_mode_16_64 0
		.amdhsa_float_denorm_mode_32 3
		.amdhsa_float_denorm_mode_16_64 3
		.amdhsa_dx10_clamp 1
		.amdhsa_ieee_mode 1
		.amdhsa_fp16_overflow 0
		.amdhsa_tg_split 0
		.amdhsa_exception_fp_ieee_invalid_op 0
		.amdhsa_exception_fp_denorm_src 0
		.amdhsa_exception_fp_ieee_div_zero 0
		.amdhsa_exception_fp_ieee_overflow 0
		.amdhsa_exception_fp_ieee_underflow 0
		.amdhsa_exception_fp_ieee_inexact 0
		.amdhsa_exception_int_div_zero 0
	.end_amdhsa_kernel
	.section	.text._ZN7rocprim17ROCPRIM_400000_NS6detail17trampoline_kernelINS0_14default_configENS1_38merge_sort_block_merge_config_selectorIlNS0_10empty_typeEEEZZNS1_27merge_sort_block_merge_implIS3_PlPS5_mZN2at6native12_GLOBAL__N_124unique_dim_cuda_templateIN3c104HalfEEESt5tupleIJNSA_6TensorESH_SH_EERKSH_lbbbEUlllE_EE10hipError_tT0_T1_T2_jT3_P12ihipStream_tbPNSt15iterator_traitsISN_E10value_typeEPNST_ISO_E10value_typeEPSP_NS1_7vsmem_tEENKUlT_SN_SO_SP_E_clIS8_S8_S9_S9_EESM_S12_SN_SO_SP_EUlS12_E0_NS1_11comp_targetILNS1_3genE4ELNS1_11target_archE910ELNS1_3gpuE8ELNS1_3repE0EEENS1_38merge_mergepath_config_static_selectorELNS0_4arch9wavefront6targetE1EEEvSO_,"axG",@progbits,_ZN7rocprim17ROCPRIM_400000_NS6detail17trampoline_kernelINS0_14default_configENS1_38merge_sort_block_merge_config_selectorIlNS0_10empty_typeEEEZZNS1_27merge_sort_block_merge_implIS3_PlPS5_mZN2at6native12_GLOBAL__N_124unique_dim_cuda_templateIN3c104HalfEEESt5tupleIJNSA_6TensorESH_SH_EERKSH_lbbbEUlllE_EE10hipError_tT0_T1_T2_jT3_P12ihipStream_tbPNSt15iterator_traitsISN_E10value_typeEPNST_ISO_E10value_typeEPSP_NS1_7vsmem_tEENKUlT_SN_SO_SP_E_clIS8_S8_S9_S9_EESM_S12_SN_SO_SP_EUlS12_E0_NS1_11comp_targetILNS1_3genE4ELNS1_11target_archE910ELNS1_3gpuE8ELNS1_3repE0EEENS1_38merge_mergepath_config_static_selectorELNS0_4arch9wavefront6targetE1EEEvSO_,comdat
.Lfunc_end1267:
	.size	_ZN7rocprim17ROCPRIM_400000_NS6detail17trampoline_kernelINS0_14default_configENS1_38merge_sort_block_merge_config_selectorIlNS0_10empty_typeEEEZZNS1_27merge_sort_block_merge_implIS3_PlPS5_mZN2at6native12_GLOBAL__N_124unique_dim_cuda_templateIN3c104HalfEEESt5tupleIJNSA_6TensorESH_SH_EERKSH_lbbbEUlllE_EE10hipError_tT0_T1_T2_jT3_P12ihipStream_tbPNSt15iterator_traitsISN_E10value_typeEPNST_ISO_E10value_typeEPSP_NS1_7vsmem_tEENKUlT_SN_SO_SP_E_clIS8_S8_S9_S9_EESM_S12_SN_SO_SP_EUlS12_E0_NS1_11comp_targetILNS1_3genE4ELNS1_11target_archE910ELNS1_3gpuE8ELNS1_3repE0EEENS1_38merge_mergepath_config_static_selectorELNS0_4arch9wavefront6targetE1EEEvSO_, .Lfunc_end1267-_ZN7rocprim17ROCPRIM_400000_NS6detail17trampoline_kernelINS0_14default_configENS1_38merge_sort_block_merge_config_selectorIlNS0_10empty_typeEEEZZNS1_27merge_sort_block_merge_implIS3_PlPS5_mZN2at6native12_GLOBAL__N_124unique_dim_cuda_templateIN3c104HalfEEESt5tupleIJNSA_6TensorESH_SH_EERKSH_lbbbEUlllE_EE10hipError_tT0_T1_T2_jT3_P12ihipStream_tbPNSt15iterator_traitsISN_E10value_typeEPNST_ISO_E10value_typeEPSP_NS1_7vsmem_tEENKUlT_SN_SO_SP_E_clIS8_S8_S9_S9_EESM_S12_SN_SO_SP_EUlS12_E0_NS1_11comp_targetILNS1_3genE4ELNS1_11target_archE910ELNS1_3gpuE8ELNS1_3repE0EEENS1_38merge_mergepath_config_static_selectorELNS0_4arch9wavefront6targetE1EEEvSO_
                                        ; -- End function
	.section	.AMDGPU.csdata,"",@progbits
; Kernel info:
; codeLenInByte = 0
; NumSgprs: 6
; NumVgprs: 0
; NumAgprs: 0
; TotalNumVgprs: 0
; ScratchSize: 0
; MemoryBound: 0
; FloatMode: 240
; IeeeMode: 1
; LDSByteSize: 0 bytes/workgroup (compile time only)
; SGPRBlocks: 0
; VGPRBlocks: 0
; NumSGPRsForWavesPerEU: 6
; NumVGPRsForWavesPerEU: 1
; AccumOffset: 4
; Occupancy: 8
; WaveLimiterHint : 0
; COMPUTE_PGM_RSRC2:SCRATCH_EN: 0
; COMPUTE_PGM_RSRC2:USER_SGPR: 2
; COMPUTE_PGM_RSRC2:TRAP_HANDLER: 0
; COMPUTE_PGM_RSRC2:TGID_X_EN: 1
; COMPUTE_PGM_RSRC2:TGID_Y_EN: 0
; COMPUTE_PGM_RSRC2:TGID_Z_EN: 0
; COMPUTE_PGM_RSRC2:TIDIG_COMP_CNT: 0
; COMPUTE_PGM_RSRC3_GFX90A:ACCUM_OFFSET: 0
; COMPUTE_PGM_RSRC3_GFX90A:TG_SPLIT: 0
	.section	.text._ZN7rocprim17ROCPRIM_400000_NS6detail17trampoline_kernelINS0_14default_configENS1_38merge_sort_block_merge_config_selectorIlNS0_10empty_typeEEEZZNS1_27merge_sort_block_merge_implIS3_PlPS5_mZN2at6native12_GLOBAL__N_124unique_dim_cuda_templateIN3c104HalfEEESt5tupleIJNSA_6TensorESH_SH_EERKSH_lbbbEUlllE_EE10hipError_tT0_T1_T2_jT3_P12ihipStream_tbPNSt15iterator_traitsISN_E10value_typeEPNST_ISO_E10value_typeEPSP_NS1_7vsmem_tEENKUlT_SN_SO_SP_E_clIS8_S8_S9_S9_EESM_S12_SN_SO_SP_EUlS12_E0_NS1_11comp_targetILNS1_3genE3ELNS1_11target_archE908ELNS1_3gpuE7ELNS1_3repE0EEENS1_38merge_mergepath_config_static_selectorELNS0_4arch9wavefront6targetE1EEEvSO_,"axG",@progbits,_ZN7rocprim17ROCPRIM_400000_NS6detail17trampoline_kernelINS0_14default_configENS1_38merge_sort_block_merge_config_selectorIlNS0_10empty_typeEEEZZNS1_27merge_sort_block_merge_implIS3_PlPS5_mZN2at6native12_GLOBAL__N_124unique_dim_cuda_templateIN3c104HalfEEESt5tupleIJNSA_6TensorESH_SH_EERKSH_lbbbEUlllE_EE10hipError_tT0_T1_T2_jT3_P12ihipStream_tbPNSt15iterator_traitsISN_E10value_typeEPNST_ISO_E10value_typeEPSP_NS1_7vsmem_tEENKUlT_SN_SO_SP_E_clIS8_S8_S9_S9_EESM_S12_SN_SO_SP_EUlS12_E0_NS1_11comp_targetILNS1_3genE3ELNS1_11target_archE908ELNS1_3gpuE7ELNS1_3repE0EEENS1_38merge_mergepath_config_static_selectorELNS0_4arch9wavefront6targetE1EEEvSO_,comdat
	.globl	_ZN7rocprim17ROCPRIM_400000_NS6detail17trampoline_kernelINS0_14default_configENS1_38merge_sort_block_merge_config_selectorIlNS0_10empty_typeEEEZZNS1_27merge_sort_block_merge_implIS3_PlPS5_mZN2at6native12_GLOBAL__N_124unique_dim_cuda_templateIN3c104HalfEEESt5tupleIJNSA_6TensorESH_SH_EERKSH_lbbbEUlllE_EE10hipError_tT0_T1_T2_jT3_P12ihipStream_tbPNSt15iterator_traitsISN_E10value_typeEPNST_ISO_E10value_typeEPSP_NS1_7vsmem_tEENKUlT_SN_SO_SP_E_clIS8_S8_S9_S9_EESM_S12_SN_SO_SP_EUlS12_E0_NS1_11comp_targetILNS1_3genE3ELNS1_11target_archE908ELNS1_3gpuE7ELNS1_3repE0EEENS1_38merge_mergepath_config_static_selectorELNS0_4arch9wavefront6targetE1EEEvSO_ ; -- Begin function _ZN7rocprim17ROCPRIM_400000_NS6detail17trampoline_kernelINS0_14default_configENS1_38merge_sort_block_merge_config_selectorIlNS0_10empty_typeEEEZZNS1_27merge_sort_block_merge_implIS3_PlPS5_mZN2at6native12_GLOBAL__N_124unique_dim_cuda_templateIN3c104HalfEEESt5tupleIJNSA_6TensorESH_SH_EERKSH_lbbbEUlllE_EE10hipError_tT0_T1_T2_jT3_P12ihipStream_tbPNSt15iterator_traitsISN_E10value_typeEPNST_ISO_E10value_typeEPSP_NS1_7vsmem_tEENKUlT_SN_SO_SP_E_clIS8_S8_S9_S9_EESM_S12_SN_SO_SP_EUlS12_E0_NS1_11comp_targetILNS1_3genE3ELNS1_11target_archE908ELNS1_3gpuE7ELNS1_3repE0EEENS1_38merge_mergepath_config_static_selectorELNS0_4arch9wavefront6targetE1EEEvSO_
	.p2align	8
	.type	_ZN7rocprim17ROCPRIM_400000_NS6detail17trampoline_kernelINS0_14default_configENS1_38merge_sort_block_merge_config_selectorIlNS0_10empty_typeEEEZZNS1_27merge_sort_block_merge_implIS3_PlPS5_mZN2at6native12_GLOBAL__N_124unique_dim_cuda_templateIN3c104HalfEEESt5tupleIJNSA_6TensorESH_SH_EERKSH_lbbbEUlllE_EE10hipError_tT0_T1_T2_jT3_P12ihipStream_tbPNSt15iterator_traitsISN_E10value_typeEPNST_ISO_E10value_typeEPSP_NS1_7vsmem_tEENKUlT_SN_SO_SP_E_clIS8_S8_S9_S9_EESM_S12_SN_SO_SP_EUlS12_E0_NS1_11comp_targetILNS1_3genE3ELNS1_11target_archE908ELNS1_3gpuE7ELNS1_3repE0EEENS1_38merge_mergepath_config_static_selectorELNS0_4arch9wavefront6targetE1EEEvSO_,@function
_ZN7rocprim17ROCPRIM_400000_NS6detail17trampoline_kernelINS0_14default_configENS1_38merge_sort_block_merge_config_selectorIlNS0_10empty_typeEEEZZNS1_27merge_sort_block_merge_implIS3_PlPS5_mZN2at6native12_GLOBAL__N_124unique_dim_cuda_templateIN3c104HalfEEESt5tupleIJNSA_6TensorESH_SH_EERKSH_lbbbEUlllE_EE10hipError_tT0_T1_T2_jT3_P12ihipStream_tbPNSt15iterator_traitsISN_E10value_typeEPNST_ISO_E10value_typeEPSP_NS1_7vsmem_tEENKUlT_SN_SO_SP_E_clIS8_S8_S9_S9_EESM_S12_SN_SO_SP_EUlS12_E0_NS1_11comp_targetILNS1_3genE3ELNS1_11target_archE908ELNS1_3gpuE7ELNS1_3repE0EEENS1_38merge_mergepath_config_static_selectorELNS0_4arch9wavefront6targetE1EEEvSO_: ; @_ZN7rocprim17ROCPRIM_400000_NS6detail17trampoline_kernelINS0_14default_configENS1_38merge_sort_block_merge_config_selectorIlNS0_10empty_typeEEEZZNS1_27merge_sort_block_merge_implIS3_PlPS5_mZN2at6native12_GLOBAL__N_124unique_dim_cuda_templateIN3c104HalfEEESt5tupleIJNSA_6TensorESH_SH_EERKSH_lbbbEUlllE_EE10hipError_tT0_T1_T2_jT3_P12ihipStream_tbPNSt15iterator_traitsISN_E10value_typeEPNST_ISO_E10value_typeEPSP_NS1_7vsmem_tEENKUlT_SN_SO_SP_E_clIS8_S8_S9_S9_EESM_S12_SN_SO_SP_EUlS12_E0_NS1_11comp_targetILNS1_3genE3ELNS1_11target_archE908ELNS1_3gpuE7ELNS1_3repE0EEENS1_38merge_mergepath_config_static_selectorELNS0_4arch9wavefront6targetE1EEEvSO_
; %bb.0:
	.section	.rodata,"a",@progbits
	.p2align	6, 0x0
	.amdhsa_kernel _ZN7rocprim17ROCPRIM_400000_NS6detail17trampoline_kernelINS0_14default_configENS1_38merge_sort_block_merge_config_selectorIlNS0_10empty_typeEEEZZNS1_27merge_sort_block_merge_implIS3_PlPS5_mZN2at6native12_GLOBAL__N_124unique_dim_cuda_templateIN3c104HalfEEESt5tupleIJNSA_6TensorESH_SH_EERKSH_lbbbEUlllE_EE10hipError_tT0_T1_T2_jT3_P12ihipStream_tbPNSt15iterator_traitsISN_E10value_typeEPNST_ISO_E10value_typeEPSP_NS1_7vsmem_tEENKUlT_SN_SO_SP_E_clIS8_S8_S9_S9_EESM_S12_SN_SO_SP_EUlS12_E0_NS1_11comp_targetILNS1_3genE3ELNS1_11target_archE908ELNS1_3gpuE7ELNS1_3repE0EEENS1_38merge_mergepath_config_static_selectorELNS0_4arch9wavefront6targetE1EEEvSO_
		.amdhsa_group_segment_fixed_size 0
		.amdhsa_private_segment_fixed_size 0
		.amdhsa_kernarg_size 88
		.amdhsa_user_sgpr_count 2
		.amdhsa_user_sgpr_dispatch_ptr 0
		.amdhsa_user_sgpr_queue_ptr 0
		.amdhsa_user_sgpr_kernarg_segment_ptr 1
		.amdhsa_user_sgpr_dispatch_id 0
		.amdhsa_user_sgpr_kernarg_preload_length 0
		.amdhsa_user_sgpr_kernarg_preload_offset 0
		.amdhsa_user_sgpr_private_segment_size 0
		.amdhsa_uses_dynamic_stack 0
		.amdhsa_enable_private_segment 0
		.amdhsa_system_sgpr_workgroup_id_x 1
		.amdhsa_system_sgpr_workgroup_id_y 0
		.amdhsa_system_sgpr_workgroup_id_z 0
		.amdhsa_system_sgpr_workgroup_info 0
		.amdhsa_system_vgpr_workitem_id 0
		.amdhsa_next_free_vgpr 1
		.amdhsa_next_free_sgpr 0
		.amdhsa_accum_offset 4
		.amdhsa_reserve_vcc 0
		.amdhsa_float_round_mode_32 0
		.amdhsa_float_round_mode_16_64 0
		.amdhsa_float_denorm_mode_32 3
		.amdhsa_float_denorm_mode_16_64 3
		.amdhsa_dx10_clamp 1
		.amdhsa_ieee_mode 1
		.amdhsa_fp16_overflow 0
		.amdhsa_tg_split 0
		.amdhsa_exception_fp_ieee_invalid_op 0
		.amdhsa_exception_fp_denorm_src 0
		.amdhsa_exception_fp_ieee_div_zero 0
		.amdhsa_exception_fp_ieee_overflow 0
		.amdhsa_exception_fp_ieee_underflow 0
		.amdhsa_exception_fp_ieee_inexact 0
		.amdhsa_exception_int_div_zero 0
	.end_amdhsa_kernel
	.section	.text._ZN7rocprim17ROCPRIM_400000_NS6detail17trampoline_kernelINS0_14default_configENS1_38merge_sort_block_merge_config_selectorIlNS0_10empty_typeEEEZZNS1_27merge_sort_block_merge_implIS3_PlPS5_mZN2at6native12_GLOBAL__N_124unique_dim_cuda_templateIN3c104HalfEEESt5tupleIJNSA_6TensorESH_SH_EERKSH_lbbbEUlllE_EE10hipError_tT0_T1_T2_jT3_P12ihipStream_tbPNSt15iterator_traitsISN_E10value_typeEPNST_ISO_E10value_typeEPSP_NS1_7vsmem_tEENKUlT_SN_SO_SP_E_clIS8_S8_S9_S9_EESM_S12_SN_SO_SP_EUlS12_E0_NS1_11comp_targetILNS1_3genE3ELNS1_11target_archE908ELNS1_3gpuE7ELNS1_3repE0EEENS1_38merge_mergepath_config_static_selectorELNS0_4arch9wavefront6targetE1EEEvSO_,"axG",@progbits,_ZN7rocprim17ROCPRIM_400000_NS6detail17trampoline_kernelINS0_14default_configENS1_38merge_sort_block_merge_config_selectorIlNS0_10empty_typeEEEZZNS1_27merge_sort_block_merge_implIS3_PlPS5_mZN2at6native12_GLOBAL__N_124unique_dim_cuda_templateIN3c104HalfEEESt5tupleIJNSA_6TensorESH_SH_EERKSH_lbbbEUlllE_EE10hipError_tT0_T1_T2_jT3_P12ihipStream_tbPNSt15iterator_traitsISN_E10value_typeEPNST_ISO_E10value_typeEPSP_NS1_7vsmem_tEENKUlT_SN_SO_SP_E_clIS8_S8_S9_S9_EESM_S12_SN_SO_SP_EUlS12_E0_NS1_11comp_targetILNS1_3genE3ELNS1_11target_archE908ELNS1_3gpuE7ELNS1_3repE0EEENS1_38merge_mergepath_config_static_selectorELNS0_4arch9wavefront6targetE1EEEvSO_,comdat
.Lfunc_end1268:
	.size	_ZN7rocprim17ROCPRIM_400000_NS6detail17trampoline_kernelINS0_14default_configENS1_38merge_sort_block_merge_config_selectorIlNS0_10empty_typeEEEZZNS1_27merge_sort_block_merge_implIS3_PlPS5_mZN2at6native12_GLOBAL__N_124unique_dim_cuda_templateIN3c104HalfEEESt5tupleIJNSA_6TensorESH_SH_EERKSH_lbbbEUlllE_EE10hipError_tT0_T1_T2_jT3_P12ihipStream_tbPNSt15iterator_traitsISN_E10value_typeEPNST_ISO_E10value_typeEPSP_NS1_7vsmem_tEENKUlT_SN_SO_SP_E_clIS8_S8_S9_S9_EESM_S12_SN_SO_SP_EUlS12_E0_NS1_11comp_targetILNS1_3genE3ELNS1_11target_archE908ELNS1_3gpuE7ELNS1_3repE0EEENS1_38merge_mergepath_config_static_selectorELNS0_4arch9wavefront6targetE1EEEvSO_, .Lfunc_end1268-_ZN7rocprim17ROCPRIM_400000_NS6detail17trampoline_kernelINS0_14default_configENS1_38merge_sort_block_merge_config_selectorIlNS0_10empty_typeEEEZZNS1_27merge_sort_block_merge_implIS3_PlPS5_mZN2at6native12_GLOBAL__N_124unique_dim_cuda_templateIN3c104HalfEEESt5tupleIJNSA_6TensorESH_SH_EERKSH_lbbbEUlllE_EE10hipError_tT0_T1_T2_jT3_P12ihipStream_tbPNSt15iterator_traitsISN_E10value_typeEPNST_ISO_E10value_typeEPSP_NS1_7vsmem_tEENKUlT_SN_SO_SP_E_clIS8_S8_S9_S9_EESM_S12_SN_SO_SP_EUlS12_E0_NS1_11comp_targetILNS1_3genE3ELNS1_11target_archE908ELNS1_3gpuE7ELNS1_3repE0EEENS1_38merge_mergepath_config_static_selectorELNS0_4arch9wavefront6targetE1EEEvSO_
                                        ; -- End function
	.section	.AMDGPU.csdata,"",@progbits
; Kernel info:
; codeLenInByte = 0
; NumSgprs: 6
; NumVgprs: 0
; NumAgprs: 0
; TotalNumVgprs: 0
; ScratchSize: 0
; MemoryBound: 0
; FloatMode: 240
; IeeeMode: 1
; LDSByteSize: 0 bytes/workgroup (compile time only)
; SGPRBlocks: 0
; VGPRBlocks: 0
; NumSGPRsForWavesPerEU: 6
; NumVGPRsForWavesPerEU: 1
; AccumOffset: 4
; Occupancy: 8
; WaveLimiterHint : 0
; COMPUTE_PGM_RSRC2:SCRATCH_EN: 0
; COMPUTE_PGM_RSRC2:USER_SGPR: 2
; COMPUTE_PGM_RSRC2:TRAP_HANDLER: 0
; COMPUTE_PGM_RSRC2:TGID_X_EN: 1
; COMPUTE_PGM_RSRC2:TGID_Y_EN: 0
; COMPUTE_PGM_RSRC2:TGID_Z_EN: 0
; COMPUTE_PGM_RSRC2:TIDIG_COMP_CNT: 0
; COMPUTE_PGM_RSRC3_GFX90A:ACCUM_OFFSET: 0
; COMPUTE_PGM_RSRC3_GFX90A:TG_SPLIT: 0
	.section	.text._ZN7rocprim17ROCPRIM_400000_NS6detail17trampoline_kernelINS0_14default_configENS1_38merge_sort_block_merge_config_selectorIlNS0_10empty_typeEEEZZNS1_27merge_sort_block_merge_implIS3_PlPS5_mZN2at6native12_GLOBAL__N_124unique_dim_cuda_templateIN3c104HalfEEESt5tupleIJNSA_6TensorESH_SH_EERKSH_lbbbEUlllE_EE10hipError_tT0_T1_T2_jT3_P12ihipStream_tbPNSt15iterator_traitsISN_E10value_typeEPNST_ISO_E10value_typeEPSP_NS1_7vsmem_tEENKUlT_SN_SO_SP_E_clIS8_S8_S9_S9_EESM_S12_SN_SO_SP_EUlS12_E0_NS1_11comp_targetILNS1_3genE2ELNS1_11target_archE906ELNS1_3gpuE6ELNS1_3repE0EEENS1_38merge_mergepath_config_static_selectorELNS0_4arch9wavefront6targetE1EEEvSO_,"axG",@progbits,_ZN7rocprim17ROCPRIM_400000_NS6detail17trampoline_kernelINS0_14default_configENS1_38merge_sort_block_merge_config_selectorIlNS0_10empty_typeEEEZZNS1_27merge_sort_block_merge_implIS3_PlPS5_mZN2at6native12_GLOBAL__N_124unique_dim_cuda_templateIN3c104HalfEEESt5tupleIJNSA_6TensorESH_SH_EERKSH_lbbbEUlllE_EE10hipError_tT0_T1_T2_jT3_P12ihipStream_tbPNSt15iterator_traitsISN_E10value_typeEPNST_ISO_E10value_typeEPSP_NS1_7vsmem_tEENKUlT_SN_SO_SP_E_clIS8_S8_S9_S9_EESM_S12_SN_SO_SP_EUlS12_E0_NS1_11comp_targetILNS1_3genE2ELNS1_11target_archE906ELNS1_3gpuE6ELNS1_3repE0EEENS1_38merge_mergepath_config_static_selectorELNS0_4arch9wavefront6targetE1EEEvSO_,comdat
	.globl	_ZN7rocprim17ROCPRIM_400000_NS6detail17trampoline_kernelINS0_14default_configENS1_38merge_sort_block_merge_config_selectorIlNS0_10empty_typeEEEZZNS1_27merge_sort_block_merge_implIS3_PlPS5_mZN2at6native12_GLOBAL__N_124unique_dim_cuda_templateIN3c104HalfEEESt5tupleIJNSA_6TensorESH_SH_EERKSH_lbbbEUlllE_EE10hipError_tT0_T1_T2_jT3_P12ihipStream_tbPNSt15iterator_traitsISN_E10value_typeEPNST_ISO_E10value_typeEPSP_NS1_7vsmem_tEENKUlT_SN_SO_SP_E_clIS8_S8_S9_S9_EESM_S12_SN_SO_SP_EUlS12_E0_NS1_11comp_targetILNS1_3genE2ELNS1_11target_archE906ELNS1_3gpuE6ELNS1_3repE0EEENS1_38merge_mergepath_config_static_selectorELNS0_4arch9wavefront6targetE1EEEvSO_ ; -- Begin function _ZN7rocprim17ROCPRIM_400000_NS6detail17trampoline_kernelINS0_14default_configENS1_38merge_sort_block_merge_config_selectorIlNS0_10empty_typeEEEZZNS1_27merge_sort_block_merge_implIS3_PlPS5_mZN2at6native12_GLOBAL__N_124unique_dim_cuda_templateIN3c104HalfEEESt5tupleIJNSA_6TensorESH_SH_EERKSH_lbbbEUlllE_EE10hipError_tT0_T1_T2_jT3_P12ihipStream_tbPNSt15iterator_traitsISN_E10value_typeEPNST_ISO_E10value_typeEPSP_NS1_7vsmem_tEENKUlT_SN_SO_SP_E_clIS8_S8_S9_S9_EESM_S12_SN_SO_SP_EUlS12_E0_NS1_11comp_targetILNS1_3genE2ELNS1_11target_archE906ELNS1_3gpuE6ELNS1_3repE0EEENS1_38merge_mergepath_config_static_selectorELNS0_4arch9wavefront6targetE1EEEvSO_
	.p2align	8
	.type	_ZN7rocprim17ROCPRIM_400000_NS6detail17trampoline_kernelINS0_14default_configENS1_38merge_sort_block_merge_config_selectorIlNS0_10empty_typeEEEZZNS1_27merge_sort_block_merge_implIS3_PlPS5_mZN2at6native12_GLOBAL__N_124unique_dim_cuda_templateIN3c104HalfEEESt5tupleIJNSA_6TensorESH_SH_EERKSH_lbbbEUlllE_EE10hipError_tT0_T1_T2_jT3_P12ihipStream_tbPNSt15iterator_traitsISN_E10value_typeEPNST_ISO_E10value_typeEPSP_NS1_7vsmem_tEENKUlT_SN_SO_SP_E_clIS8_S8_S9_S9_EESM_S12_SN_SO_SP_EUlS12_E0_NS1_11comp_targetILNS1_3genE2ELNS1_11target_archE906ELNS1_3gpuE6ELNS1_3repE0EEENS1_38merge_mergepath_config_static_selectorELNS0_4arch9wavefront6targetE1EEEvSO_,@function
_ZN7rocprim17ROCPRIM_400000_NS6detail17trampoline_kernelINS0_14default_configENS1_38merge_sort_block_merge_config_selectorIlNS0_10empty_typeEEEZZNS1_27merge_sort_block_merge_implIS3_PlPS5_mZN2at6native12_GLOBAL__N_124unique_dim_cuda_templateIN3c104HalfEEESt5tupleIJNSA_6TensorESH_SH_EERKSH_lbbbEUlllE_EE10hipError_tT0_T1_T2_jT3_P12ihipStream_tbPNSt15iterator_traitsISN_E10value_typeEPNST_ISO_E10value_typeEPSP_NS1_7vsmem_tEENKUlT_SN_SO_SP_E_clIS8_S8_S9_S9_EESM_S12_SN_SO_SP_EUlS12_E0_NS1_11comp_targetILNS1_3genE2ELNS1_11target_archE906ELNS1_3gpuE6ELNS1_3repE0EEENS1_38merge_mergepath_config_static_selectorELNS0_4arch9wavefront6targetE1EEEvSO_: ; @_ZN7rocprim17ROCPRIM_400000_NS6detail17trampoline_kernelINS0_14default_configENS1_38merge_sort_block_merge_config_selectorIlNS0_10empty_typeEEEZZNS1_27merge_sort_block_merge_implIS3_PlPS5_mZN2at6native12_GLOBAL__N_124unique_dim_cuda_templateIN3c104HalfEEESt5tupleIJNSA_6TensorESH_SH_EERKSH_lbbbEUlllE_EE10hipError_tT0_T1_T2_jT3_P12ihipStream_tbPNSt15iterator_traitsISN_E10value_typeEPNST_ISO_E10value_typeEPSP_NS1_7vsmem_tEENKUlT_SN_SO_SP_E_clIS8_S8_S9_S9_EESM_S12_SN_SO_SP_EUlS12_E0_NS1_11comp_targetILNS1_3genE2ELNS1_11target_archE906ELNS1_3gpuE6ELNS1_3repE0EEENS1_38merge_mergepath_config_static_selectorELNS0_4arch9wavefront6targetE1EEEvSO_
; %bb.0:
	.section	.rodata,"a",@progbits
	.p2align	6, 0x0
	.amdhsa_kernel _ZN7rocprim17ROCPRIM_400000_NS6detail17trampoline_kernelINS0_14default_configENS1_38merge_sort_block_merge_config_selectorIlNS0_10empty_typeEEEZZNS1_27merge_sort_block_merge_implIS3_PlPS5_mZN2at6native12_GLOBAL__N_124unique_dim_cuda_templateIN3c104HalfEEESt5tupleIJNSA_6TensorESH_SH_EERKSH_lbbbEUlllE_EE10hipError_tT0_T1_T2_jT3_P12ihipStream_tbPNSt15iterator_traitsISN_E10value_typeEPNST_ISO_E10value_typeEPSP_NS1_7vsmem_tEENKUlT_SN_SO_SP_E_clIS8_S8_S9_S9_EESM_S12_SN_SO_SP_EUlS12_E0_NS1_11comp_targetILNS1_3genE2ELNS1_11target_archE906ELNS1_3gpuE6ELNS1_3repE0EEENS1_38merge_mergepath_config_static_selectorELNS0_4arch9wavefront6targetE1EEEvSO_
		.amdhsa_group_segment_fixed_size 0
		.amdhsa_private_segment_fixed_size 0
		.amdhsa_kernarg_size 88
		.amdhsa_user_sgpr_count 2
		.amdhsa_user_sgpr_dispatch_ptr 0
		.amdhsa_user_sgpr_queue_ptr 0
		.amdhsa_user_sgpr_kernarg_segment_ptr 1
		.amdhsa_user_sgpr_dispatch_id 0
		.amdhsa_user_sgpr_kernarg_preload_length 0
		.amdhsa_user_sgpr_kernarg_preload_offset 0
		.amdhsa_user_sgpr_private_segment_size 0
		.amdhsa_uses_dynamic_stack 0
		.amdhsa_enable_private_segment 0
		.amdhsa_system_sgpr_workgroup_id_x 1
		.amdhsa_system_sgpr_workgroup_id_y 0
		.amdhsa_system_sgpr_workgroup_id_z 0
		.amdhsa_system_sgpr_workgroup_info 0
		.amdhsa_system_vgpr_workitem_id 0
		.amdhsa_next_free_vgpr 1
		.amdhsa_next_free_sgpr 0
		.amdhsa_accum_offset 4
		.amdhsa_reserve_vcc 0
		.amdhsa_float_round_mode_32 0
		.amdhsa_float_round_mode_16_64 0
		.amdhsa_float_denorm_mode_32 3
		.amdhsa_float_denorm_mode_16_64 3
		.amdhsa_dx10_clamp 1
		.amdhsa_ieee_mode 1
		.amdhsa_fp16_overflow 0
		.amdhsa_tg_split 0
		.amdhsa_exception_fp_ieee_invalid_op 0
		.amdhsa_exception_fp_denorm_src 0
		.amdhsa_exception_fp_ieee_div_zero 0
		.amdhsa_exception_fp_ieee_overflow 0
		.amdhsa_exception_fp_ieee_underflow 0
		.amdhsa_exception_fp_ieee_inexact 0
		.amdhsa_exception_int_div_zero 0
	.end_amdhsa_kernel
	.section	.text._ZN7rocprim17ROCPRIM_400000_NS6detail17trampoline_kernelINS0_14default_configENS1_38merge_sort_block_merge_config_selectorIlNS0_10empty_typeEEEZZNS1_27merge_sort_block_merge_implIS3_PlPS5_mZN2at6native12_GLOBAL__N_124unique_dim_cuda_templateIN3c104HalfEEESt5tupleIJNSA_6TensorESH_SH_EERKSH_lbbbEUlllE_EE10hipError_tT0_T1_T2_jT3_P12ihipStream_tbPNSt15iterator_traitsISN_E10value_typeEPNST_ISO_E10value_typeEPSP_NS1_7vsmem_tEENKUlT_SN_SO_SP_E_clIS8_S8_S9_S9_EESM_S12_SN_SO_SP_EUlS12_E0_NS1_11comp_targetILNS1_3genE2ELNS1_11target_archE906ELNS1_3gpuE6ELNS1_3repE0EEENS1_38merge_mergepath_config_static_selectorELNS0_4arch9wavefront6targetE1EEEvSO_,"axG",@progbits,_ZN7rocprim17ROCPRIM_400000_NS6detail17trampoline_kernelINS0_14default_configENS1_38merge_sort_block_merge_config_selectorIlNS0_10empty_typeEEEZZNS1_27merge_sort_block_merge_implIS3_PlPS5_mZN2at6native12_GLOBAL__N_124unique_dim_cuda_templateIN3c104HalfEEESt5tupleIJNSA_6TensorESH_SH_EERKSH_lbbbEUlllE_EE10hipError_tT0_T1_T2_jT3_P12ihipStream_tbPNSt15iterator_traitsISN_E10value_typeEPNST_ISO_E10value_typeEPSP_NS1_7vsmem_tEENKUlT_SN_SO_SP_E_clIS8_S8_S9_S9_EESM_S12_SN_SO_SP_EUlS12_E0_NS1_11comp_targetILNS1_3genE2ELNS1_11target_archE906ELNS1_3gpuE6ELNS1_3repE0EEENS1_38merge_mergepath_config_static_selectorELNS0_4arch9wavefront6targetE1EEEvSO_,comdat
.Lfunc_end1269:
	.size	_ZN7rocprim17ROCPRIM_400000_NS6detail17trampoline_kernelINS0_14default_configENS1_38merge_sort_block_merge_config_selectorIlNS0_10empty_typeEEEZZNS1_27merge_sort_block_merge_implIS3_PlPS5_mZN2at6native12_GLOBAL__N_124unique_dim_cuda_templateIN3c104HalfEEESt5tupleIJNSA_6TensorESH_SH_EERKSH_lbbbEUlllE_EE10hipError_tT0_T1_T2_jT3_P12ihipStream_tbPNSt15iterator_traitsISN_E10value_typeEPNST_ISO_E10value_typeEPSP_NS1_7vsmem_tEENKUlT_SN_SO_SP_E_clIS8_S8_S9_S9_EESM_S12_SN_SO_SP_EUlS12_E0_NS1_11comp_targetILNS1_3genE2ELNS1_11target_archE906ELNS1_3gpuE6ELNS1_3repE0EEENS1_38merge_mergepath_config_static_selectorELNS0_4arch9wavefront6targetE1EEEvSO_, .Lfunc_end1269-_ZN7rocprim17ROCPRIM_400000_NS6detail17trampoline_kernelINS0_14default_configENS1_38merge_sort_block_merge_config_selectorIlNS0_10empty_typeEEEZZNS1_27merge_sort_block_merge_implIS3_PlPS5_mZN2at6native12_GLOBAL__N_124unique_dim_cuda_templateIN3c104HalfEEESt5tupleIJNSA_6TensorESH_SH_EERKSH_lbbbEUlllE_EE10hipError_tT0_T1_T2_jT3_P12ihipStream_tbPNSt15iterator_traitsISN_E10value_typeEPNST_ISO_E10value_typeEPSP_NS1_7vsmem_tEENKUlT_SN_SO_SP_E_clIS8_S8_S9_S9_EESM_S12_SN_SO_SP_EUlS12_E0_NS1_11comp_targetILNS1_3genE2ELNS1_11target_archE906ELNS1_3gpuE6ELNS1_3repE0EEENS1_38merge_mergepath_config_static_selectorELNS0_4arch9wavefront6targetE1EEEvSO_
                                        ; -- End function
	.section	.AMDGPU.csdata,"",@progbits
; Kernel info:
; codeLenInByte = 0
; NumSgprs: 6
; NumVgprs: 0
; NumAgprs: 0
; TotalNumVgprs: 0
; ScratchSize: 0
; MemoryBound: 0
; FloatMode: 240
; IeeeMode: 1
; LDSByteSize: 0 bytes/workgroup (compile time only)
; SGPRBlocks: 0
; VGPRBlocks: 0
; NumSGPRsForWavesPerEU: 6
; NumVGPRsForWavesPerEU: 1
; AccumOffset: 4
; Occupancy: 8
; WaveLimiterHint : 0
; COMPUTE_PGM_RSRC2:SCRATCH_EN: 0
; COMPUTE_PGM_RSRC2:USER_SGPR: 2
; COMPUTE_PGM_RSRC2:TRAP_HANDLER: 0
; COMPUTE_PGM_RSRC2:TGID_X_EN: 1
; COMPUTE_PGM_RSRC2:TGID_Y_EN: 0
; COMPUTE_PGM_RSRC2:TGID_Z_EN: 0
; COMPUTE_PGM_RSRC2:TIDIG_COMP_CNT: 0
; COMPUTE_PGM_RSRC3_GFX90A:ACCUM_OFFSET: 0
; COMPUTE_PGM_RSRC3_GFX90A:TG_SPLIT: 0
	.section	.text._ZN7rocprim17ROCPRIM_400000_NS6detail17trampoline_kernelINS0_14default_configENS1_38merge_sort_block_merge_config_selectorIlNS0_10empty_typeEEEZZNS1_27merge_sort_block_merge_implIS3_PlPS5_mZN2at6native12_GLOBAL__N_124unique_dim_cuda_templateIN3c104HalfEEESt5tupleIJNSA_6TensorESH_SH_EERKSH_lbbbEUlllE_EE10hipError_tT0_T1_T2_jT3_P12ihipStream_tbPNSt15iterator_traitsISN_E10value_typeEPNST_ISO_E10value_typeEPSP_NS1_7vsmem_tEENKUlT_SN_SO_SP_E_clIS8_S8_S9_S9_EESM_S12_SN_SO_SP_EUlS12_E0_NS1_11comp_targetILNS1_3genE9ELNS1_11target_archE1100ELNS1_3gpuE3ELNS1_3repE0EEENS1_38merge_mergepath_config_static_selectorELNS0_4arch9wavefront6targetE1EEEvSO_,"axG",@progbits,_ZN7rocprim17ROCPRIM_400000_NS6detail17trampoline_kernelINS0_14default_configENS1_38merge_sort_block_merge_config_selectorIlNS0_10empty_typeEEEZZNS1_27merge_sort_block_merge_implIS3_PlPS5_mZN2at6native12_GLOBAL__N_124unique_dim_cuda_templateIN3c104HalfEEESt5tupleIJNSA_6TensorESH_SH_EERKSH_lbbbEUlllE_EE10hipError_tT0_T1_T2_jT3_P12ihipStream_tbPNSt15iterator_traitsISN_E10value_typeEPNST_ISO_E10value_typeEPSP_NS1_7vsmem_tEENKUlT_SN_SO_SP_E_clIS8_S8_S9_S9_EESM_S12_SN_SO_SP_EUlS12_E0_NS1_11comp_targetILNS1_3genE9ELNS1_11target_archE1100ELNS1_3gpuE3ELNS1_3repE0EEENS1_38merge_mergepath_config_static_selectorELNS0_4arch9wavefront6targetE1EEEvSO_,comdat
	.globl	_ZN7rocprim17ROCPRIM_400000_NS6detail17trampoline_kernelINS0_14default_configENS1_38merge_sort_block_merge_config_selectorIlNS0_10empty_typeEEEZZNS1_27merge_sort_block_merge_implIS3_PlPS5_mZN2at6native12_GLOBAL__N_124unique_dim_cuda_templateIN3c104HalfEEESt5tupleIJNSA_6TensorESH_SH_EERKSH_lbbbEUlllE_EE10hipError_tT0_T1_T2_jT3_P12ihipStream_tbPNSt15iterator_traitsISN_E10value_typeEPNST_ISO_E10value_typeEPSP_NS1_7vsmem_tEENKUlT_SN_SO_SP_E_clIS8_S8_S9_S9_EESM_S12_SN_SO_SP_EUlS12_E0_NS1_11comp_targetILNS1_3genE9ELNS1_11target_archE1100ELNS1_3gpuE3ELNS1_3repE0EEENS1_38merge_mergepath_config_static_selectorELNS0_4arch9wavefront6targetE1EEEvSO_ ; -- Begin function _ZN7rocprim17ROCPRIM_400000_NS6detail17trampoline_kernelINS0_14default_configENS1_38merge_sort_block_merge_config_selectorIlNS0_10empty_typeEEEZZNS1_27merge_sort_block_merge_implIS3_PlPS5_mZN2at6native12_GLOBAL__N_124unique_dim_cuda_templateIN3c104HalfEEESt5tupleIJNSA_6TensorESH_SH_EERKSH_lbbbEUlllE_EE10hipError_tT0_T1_T2_jT3_P12ihipStream_tbPNSt15iterator_traitsISN_E10value_typeEPNST_ISO_E10value_typeEPSP_NS1_7vsmem_tEENKUlT_SN_SO_SP_E_clIS8_S8_S9_S9_EESM_S12_SN_SO_SP_EUlS12_E0_NS1_11comp_targetILNS1_3genE9ELNS1_11target_archE1100ELNS1_3gpuE3ELNS1_3repE0EEENS1_38merge_mergepath_config_static_selectorELNS0_4arch9wavefront6targetE1EEEvSO_
	.p2align	8
	.type	_ZN7rocprim17ROCPRIM_400000_NS6detail17trampoline_kernelINS0_14default_configENS1_38merge_sort_block_merge_config_selectorIlNS0_10empty_typeEEEZZNS1_27merge_sort_block_merge_implIS3_PlPS5_mZN2at6native12_GLOBAL__N_124unique_dim_cuda_templateIN3c104HalfEEESt5tupleIJNSA_6TensorESH_SH_EERKSH_lbbbEUlllE_EE10hipError_tT0_T1_T2_jT3_P12ihipStream_tbPNSt15iterator_traitsISN_E10value_typeEPNST_ISO_E10value_typeEPSP_NS1_7vsmem_tEENKUlT_SN_SO_SP_E_clIS8_S8_S9_S9_EESM_S12_SN_SO_SP_EUlS12_E0_NS1_11comp_targetILNS1_3genE9ELNS1_11target_archE1100ELNS1_3gpuE3ELNS1_3repE0EEENS1_38merge_mergepath_config_static_selectorELNS0_4arch9wavefront6targetE1EEEvSO_,@function
_ZN7rocprim17ROCPRIM_400000_NS6detail17trampoline_kernelINS0_14default_configENS1_38merge_sort_block_merge_config_selectorIlNS0_10empty_typeEEEZZNS1_27merge_sort_block_merge_implIS3_PlPS5_mZN2at6native12_GLOBAL__N_124unique_dim_cuda_templateIN3c104HalfEEESt5tupleIJNSA_6TensorESH_SH_EERKSH_lbbbEUlllE_EE10hipError_tT0_T1_T2_jT3_P12ihipStream_tbPNSt15iterator_traitsISN_E10value_typeEPNST_ISO_E10value_typeEPSP_NS1_7vsmem_tEENKUlT_SN_SO_SP_E_clIS8_S8_S9_S9_EESM_S12_SN_SO_SP_EUlS12_E0_NS1_11comp_targetILNS1_3genE9ELNS1_11target_archE1100ELNS1_3gpuE3ELNS1_3repE0EEENS1_38merge_mergepath_config_static_selectorELNS0_4arch9wavefront6targetE1EEEvSO_: ; @_ZN7rocprim17ROCPRIM_400000_NS6detail17trampoline_kernelINS0_14default_configENS1_38merge_sort_block_merge_config_selectorIlNS0_10empty_typeEEEZZNS1_27merge_sort_block_merge_implIS3_PlPS5_mZN2at6native12_GLOBAL__N_124unique_dim_cuda_templateIN3c104HalfEEESt5tupleIJNSA_6TensorESH_SH_EERKSH_lbbbEUlllE_EE10hipError_tT0_T1_T2_jT3_P12ihipStream_tbPNSt15iterator_traitsISN_E10value_typeEPNST_ISO_E10value_typeEPSP_NS1_7vsmem_tEENKUlT_SN_SO_SP_E_clIS8_S8_S9_S9_EESM_S12_SN_SO_SP_EUlS12_E0_NS1_11comp_targetILNS1_3genE9ELNS1_11target_archE1100ELNS1_3gpuE3ELNS1_3repE0EEENS1_38merge_mergepath_config_static_selectorELNS0_4arch9wavefront6targetE1EEEvSO_
; %bb.0:
	.section	.rodata,"a",@progbits
	.p2align	6, 0x0
	.amdhsa_kernel _ZN7rocprim17ROCPRIM_400000_NS6detail17trampoline_kernelINS0_14default_configENS1_38merge_sort_block_merge_config_selectorIlNS0_10empty_typeEEEZZNS1_27merge_sort_block_merge_implIS3_PlPS5_mZN2at6native12_GLOBAL__N_124unique_dim_cuda_templateIN3c104HalfEEESt5tupleIJNSA_6TensorESH_SH_EERKSH_lbbbEUlllE_EE10hipError_tT0_T1_T2_jT3_P12ihipStream_tbPNSt15iterator_traitsISN_E10value_typeEPNST_ISO_E10value_typeEPSP_NS1_7vsmem_tEENKUlT_SN_SO_SP_E_clIS8_S8_S9_S9_EESM_S12_SN_SO_SP_EUlS12_E0_NS1_11comp_targetILNS1_3genE9ELNS1_11target_archE1100ELNS1_3gpuE3ELNS1_3repE0EEENS1_38merge_mergepath_config_static_selectorELNS0_4arch9wavefront6targetE1EEEvSO_
		.amdhsa_group_segment_fixed_size 0
		.amdhsa_private_segment_fixed_size 0
		.amdhsa_kernarg_size 88
		.amdhsa_user_sgpr_count 2
		.amdhsa_user_sgpr_dispatch_ptr 0
		.amdhsa_user_sgpr_queue_ptr 0
		.amdhsa_user_sgpr_kernarg_segment_ptr 1
		.amdhsa_user_sgpr_dispatch_id 0
		.amdhsa_user_sgpr_kernarg_preload_length 0
		.amdhsa_user_sgpr_kernarg_preload_offset 0
		.amdhsa_user_sgpr_private_segment_size 0
		.amdhsa_uses_dynamic_stack 0
		.amdhsa_enable_private_segment 0
		.amdhsa_system_sgpr_workgroup_id_x 1
		.amdhsa_system_sgpr_workgroup_id_y 0
		.amdhsa_system_sgpr_workgroup_id_z 0
		.amdhsa_system_sgpr_workgroup_info 0
		.amdhsa_system_vgpr_workitem_id 0
		.amdhsa_next_free_vgpr 1
		.amdhsa_next_free_sgpr 0
		.amdhsa_accum_offset 4
		.amdhsa_reserve_vcc 0
		.amdhsa_float_round_mode_32 0
		.amdhsa_float_round_mode_16_64 0
		.amdhsa_float_denorm_mode_32 3
		.amdhsa_float_denorm_mode_16_64 3
		.amdhsa_dx10_clamp 1
		.amdhsa_ieee_mode 1
		.amdhsa_fp16_overflow 0
		.amdhsa_tg_split 0
		.amdhsa_exception_fp_ieee_invalid_op 0
		.amdhsa_exception_fp_denorm_src 0
		.amdhsa_exception_fp_ieee_div_zero 0
		.amdhsa_exception_fp_ieee_overflow 0
		.amdhsa_exception_fp_ieee_underflow 0
		.amdhsa_exception_fp_ieee_inexact 0
		.amdhsa_exception_int_div_zero 0
	.end_amdhsa_kernel
	.section	.text._ZN7rocprim17ROCPRIM_400000_NS6detail17trampoline_kernelINS0_14default_configENS1_38merge_sort_block_merge_config_selectorIlNS0_10empty_typeEEEZZNS1_27merge_sort_block_merge_implIS3_PlPS5_mZN2at6native12_GLOBAL__N_124unique_dim_cuda_templateIN3c104HalfEEESt5tupleIJNSA_6TensorESH_SH_EERKSH_lbbbEUlllE_EE10hipError_tT0_T1_T2_jT3_P12ihipStream_tbPNSt15iterator_traitsISN_E10value_typeEPNST_ISO_E10value_typeEPSP_NS1_7vsmem_tEENKUlT_SN_SO_SP_E_clIS8_S8_S9_S9_EESM_S12_SN_SO_SP_EUlS12_E0_NS1_11comp_targetILNS1_3genE9ELNS1_11target_archE1100ELNS1_3gpuE3ELNS1_3repE0EEENS1_38merge_mergepath_config_static_selectorELNS0_4arch9wavefront6targetE1EEEvSO_,"axG",@progbits,_ZN7rocprim17ROCPRIM_400000_NS6detail17trampoline_kernelINS0_14default_configENS1_38merge_sort_block_merge_config_selectorIlNS0_10empty_typeEEEZZNS1_27merge_sort_block_merge_implIS3_PlPS5_mZN2at6native12_GLOBAL__N_124unique_dim_cuda_templateIN3c104HalfEEESt5tupleIJNSA_6TensorESH_SH_EERKSH_lbbbEUlllE_EE10hipError_tT0_T1_T2_jT3_P12ihipStream_tbPNSt15iterator_traitsISN_E10value_typeEPNST_ISO_E10value_typeEPSP_NS1_7vsmem_tEENKUlT_SN_SO_SP_E_clIS8_S8_S9_S9_EESM_S12_SN_SO_SP_EUlS12_E0_NS1_11comp_targetILNS1_3genE9ELNS1_11target_archE1100ELNS1_3gpuE3ELNS1_3repE0EEENS1_38merge_mergepath_config_static_selectorELNS0_4arch9wavefront6targetE1EEEvSO_,comdat
.Lfunc_end1270:
	.size	_ZN7rocprim17ROCPRIM_400000_NS6detail17trampoline_kernelINS0_14default_configENS1_38merge_sort_block_merge_config_selectorIlNS0_10empty_typeEEEZZNS1_27merge_sort_block_merge_implIS3_PlPS5_mZN2at6native12_GLOBAL__N_124unique_dim_cuda_templateIN3c104HalfEEESt5tupleIJNSA_6TensorESH_SH_EERKSH_lbbbEUlllE_EE10hipError_tT0_T1_T2_jT3_P12ihipStream_tbPNSt15iterator_traitsISN_E10value_typeEPNST_ISO_E10value_typeEPSP_NS1_7vsmem_tEENKUlT_SN_SO_SP_E_clIS8_S8_S9_S9_EESM_S12_SN_SO_SP_EUlS12_E0_NS1_11comp_targetILNS1_3genE9ELNS1_11target_archE1100ELNS1_3gpuE3ELNS1_3repE0EEENS1_38merge_mergepath_config_static_selectorELNS0_4arch9wavefront6targetE1EEEvSO_, .Lfunc_end1270-_ZN7rocprim17ROCPRIM_400000_NS6detail17trampoline_kernelINS0_14default_configENS1_38merge_sort_block_merge_config_selectorIlNS0_10empty_typeEEEZZNS1_27merge_sort_block_merge_implIS3_PlPS5_mZN2at6native12_GLOBAL__N_124unique_dim_cuda_templateIN3c104HalfEEESt5tupleIJNSA_6TensorESH_SH_EERKSH_lbbbEUlllE_EE10hipError_tT0_T1_T2_jT3_P12ihipStream_tbPNSt15iterator_traitsISN_E10value_typeEPNST_ISO_E10value_typeEPSP_NS1_7vsmem_tEENKUlT_SN_SO_SP_E_clIS8_S8_S9_S9_EESM_S12_SN_SO_SP_EUlS12_E0_NS1_11comp_targetILNS1_3genE9ELNS1_11target_archE1100ELNS1_3gpuE3ELNS1_3repE0EEENS1_38merge_mergepath_config_static_selectorELNS0_4arch9wavefront6targetE1EEEvSO_
                                        ; -- End function
	.section	.AMDGPU.csdata,"",@progbits
; Kernel info:
; codeLenInByte = 0
; NumSgprs: 6
; NumVgprs: 0
; NumAgprs: 0
; TotalNumVgprs: 0
; ScratchSize: 0
; MemoryBound: 0
; FloatMode: 240
; IeeeMode: 1
; LDSByteSize: 0 bytes/workgroup (compile time only)
; SGPRBlocks: 0
; VGPRBlocks: 0
; NumSGPRsForWavesPerEU: 6
; NumVGPRsForWavesPerEU: 1
; AccumOffset: 4
; Occupancy: 8
; WaveLimiterHint : 0
; COMPUTE_PGM_RSRC2:SCRATCH_EN: 0
; COMPUTE_PGM_RSRC2:USER_SGPR: 2
; COMPUTE_PGM_RSRC2:TRAP_HANDLER: 0
; COMPUTE_PGM_RSRC2:TGID_X_EN: 1
; COMPUTE_PGM_RSRC2:TGID_Y_EN: 0
; COMPUTE_PGM_RSRC2:TGID_Z_EN: 0
; COMPUTE_PGM_RSRC2:TIDIG_COMP_CNT: 0
; COMPUTE_PGM_RSRC3_GFX90A:ACCUM_OFFSET: 0
; COMPUTE_PGM_RSRC3_GFX90A:TG_SPLIT: 0
	.section	.text._ZN7rocprim17ROCPRIM_400000_NS6detail17trampoline_kernelINS0_14default_configENS1_38merge_sort_block_merge_config_selectorIlNS0_10empty_typeEEEZZNS1_27merge_sort_block_merge_implIS3_PlPS5_mZN2at6native12_GLOBAL__N_124unique_dim_cuda_templateIN3c104HalfEEESt5tupleIJNSA_6TensorESH_SH_EERKSH_lbbbEUlllE_EE10hipError_tT0_T1_T2_jT3_P12ihipStream_tbPNSt15iterator_traitsISN_E10value_typeEPNST_ISO_E10value_typeEPSP_NS1_7vsmem_tEENKUlT_SN_SO_SP_E_clIS8_S8_S9_S9_EESM_S12_SN_SO_SP_EUlS12_E0_NS1_11comp_targetILNS1_3genE8ELNS1_11target_archE1030ELNS1_3gpuE2ELNS1_3repE0EEENS1_38merge_mergepath_config_static_selectorELNS0_4arch9wavefront6targetE1EEEvSO_,"axG",@progbits,_ZN7rocprim17ROCPRIM_400000_NS6detail17trampoline_kernelINS0_14default_configENS1_38merge_sort_block_merge_config_selectorIlNS0_10empty_typeEEEZZNS1_27merge_sort_block_merge_implIS3_PlPS5_mZN2at6native12_GLOBAL__N_124unique_dim_cuda_templateIN3c104HalfEEESt5tupleIJNSA_6TensorESH_SH_EERKSH_lbbbEUlllE_EE10hipError_tT0_T1_T2_jT3_P12ihipStream_tbPNSt15iterator_traitsISN_E10value_typeEPNST_ISO_E10value_typeEPSP_NS1_7vsmem_tEENKUlT_SN_SO_SP_E_clIS8_S8_S9_S9_EESM_S12_SN_SO_SP_EUlS12_E0_NS1_11comp_targetILNS1_3genE8ELNS1_11target_archE1030ELNS1_3gpuE2ELNS1_3repE0EEENS1_38merge_mergepath_config_static_selectorELNS0_4arch9wavefront6targetE1EEEvSO_,comdat
	.globl	_ZN7rocprim17ROCPRIM_400000_NS6detail17trampoline_kernelINS0_14default_configENS1_38merge_sort_block_merge_config_selectorIlNS0_10empty_typeEEEZZNS1_27merge_sort_block_merge_implIS3_PlPS5_mZN2at6native12_GLOBAL__N_124unique_dim_cuda_templateIN3c104HalfEEESt5tupleIJNSA_6TensorESH_SH_EERKSH_lbbbEUlllE_EE10hipError_tT0_T1_T2_jT3_P12ihipStream_tbPNSt15iterator_traitsISN_E10value_typeEPNST_ISO_E10value_typeEPSP_NS1_7vsmem_tEENKUlT_SN_SO_SP_E_clIS8_S8_S9_S9_EESM_S12_SN_SO_SP_EUlS12_E0_NS1_11comp_targetILNS1_3genE8ELNS1_11target_archE1030ELNS1_3gpuE2ELNS1_3repE0EEENS1_38merge_mergepath_config_static_selectorELNS0_4arch9wavefront6targetE1EEEvSO_ ; -- Begin function _ZN7rocprim17ROCPRIM_400000_NS6detail17trampoline_kernelINS0_14default_configENS1_38merge_sort_block_merge_config_selectorIlNS0_10empty_typeEEEZZNS1_27merge_sort_block_merge_implIS3_PlPS5_mZN2at6native12_GLOBAL__N_124unique_dim_cuda_templateIN3c104HalfEEESt5tupleIJNSA_6TensorESH_SH_EERKSH_lbbbEUlllE_EE10hipError_tT0_T1_T2_jT3_P12ihipStream_tbPNSt15iterator_traitsISN_E10value_typeEPNST_ISO_E10value_typeEPSP_NS1_7vsmem_tEENKUlT_SN_SO_SP_E_clIS8_S8_S9_S9_EESM_S12_SN_SO_SP_EUlS12_E0_NS1_11comp_targetILNS1_3genE8ELNS1_11target_archE1030ELNS1_3gpuE2ELNS1_3repE0EEENS1_38merge_mergepath_config_static_selectorELNS0_4arch9wavefront6targetE1EEEvSO_
	.p2align	8
	.type	_ZN7rocprim17ROCPRIM_400000_NS6detail17trampoline_kernelINS0_14default_configENS1_38merge_sort_block_merge_config_selectorIlNS0_10empty_typeEEEZZNS1_27merge_sort_block_merge_implIS3_PlPS5_mZN2at6native12_GLOBAL__N_124unique_dim_cuda_templateIN3c104HalfEEESt5tupleIJNSA_6TensorESH_SH_EERKSH_lbbbEUlllE_EE10hipError_tT0_T1_T2_jT3_P12ihipStream_tbPNSt15iterator_traitsISN_E10value_typeEPNST_ISO_E10value_typeEPSP_NS1_7vsmem_tEENKUlT_SN_SO_SP_E_clIS8_S8_S9_S9_EESM_S12_SN_SO_SP_EUlS12_E0_NS1_11comp_targetILNS1_3genE8ELNS1_11target_archE1030ELNS1_3gpuE2ELNS1_3repE0EEENS1_38merge_mergepath_config_static_selectorELNS0_4arch9wavefront6targetE1EEEvSO_,@function
_ZN7rocprim17ROCPRIM_400000_NS6detail17trampoline_kernelINS0_14default_configENS1_38merge_sort_block_merge_config_selectorIlNS0_10empty_typeEEEZZNS1_27merge_sort_block_merge_implIS3_PlPS5_mZN2at6native12_GLOBAL__N_124unique_dim_cuda_templateIN3c104HalfEEESt5tupleIJNSA_6TensorESH_SH_EERKSH_lbbbEUlllE_EE10hipError_tT0_T1_T2_jT3_P12ihipStream_tbPNSt15iterator_traitsISN_E10value_typeEPNST_ISO_E10value_typeEPSP_NS1_7vsmem_tEENKUlT_SN_SO_SP_E_clIS8_S8_S9_S9_EESM_S12_SN_SO_SP_EUlS12_E0_NS1_11comp_targetILNS1_3genE8ELNS1_11target_archE1030ELNS1_3gpuE2ELNS1_3repE0EEENS1_38merge_mergepath_config_static_selectorELNS0_4arch9wavefront6targetE1EEEvSO_: ; @_ZN7rocprim17ROCPRIM_400000_NS6detail17trampoline_kernelINS0_14default_configENS1_38merge_sort_block_merge_config_selectorIlNS0_10empty_typeEEEZZNS1_27merge_sort_block_merge_implIS3_PlPS5_mZN2at6native12_GLOBAL__N_124unique_dim_cuda_templateIN3c104HalfEEESt5tupleIJNSA_6TensorESH_SH_EERKSH_lbbbEUlllE_EE10hipError_tT0_T1_T2_jT3_P12ihipStream_tbPNSt15iterator_traitsISN_E10value_typeEPNST_ISO_E10value_typeEPSP_NS1_7vsmem_tEENKUlT_SN_SO_SP_E_clIS8_S8_S9_S9_EESM_S12_SN_SO_SP_EUlS12_E0_NS1_11comp_targetILNS1_3genE8ELNS1_11target_archE1030ELNS1_3gpuE2ELNS1_3repE0EEENS1_38merge_mergepath_config_static_selectorELNS0_4arch9wavefront6targetE1EEEvSO_
; %bb.0:
	.section	.rodata,"a",@progbits
	.p2align	6, 0x0
	.amdhsa_kernel _ZN7rocprim17ROCPRIM_400000_NS6detail17trampoline_kernelINS0_14default_configENS1_38merge_sort_block_merge_config_selectorIlNS0_10empty_typeEEEZZNS1_27merge_sort_block_merge_implIS3_PlPS5_mZN2at6native12_GLOBAL__N_124unique_dim_cuda_templateIN3c104HalfEEESt5tupleIJNSA_6TensorESH_SH_EERKSH_lbbbEUlllE_EE10hipError_tT0_T1_T2_jT3_P12ihipStream_tbPNSt15iterator_traitsISN_E10value_typeEPNST_ISO_E10value_typeEPSP_NS1_7vsmem_tEENKUlT_SN_SO_SP_E_clIS8_S8_S9_S9_EESM_S12_SN_SO_SP_EUlS12_E0_NS1_11comp_targetILNS1_3genE8ELNS1_11target_archE1030ELNS1_3gpuE2ELNS1_3repE0EEENS1_38merge_mergepath_config_static_selectorELNS0_4arch9wavefront6targetE1EEEvSO_
		.amdhsa_group_segment_fixed_size 0
		.amdhsa_private_segment_fixed_size 0
		.amdhsa_kernarg_size 88
		.amdhsa_user_sgpr_count 2
		.amdhsa_user_sgpr_dispatch_ptr 0
		.amdhsa_user_sgpr_queue_ptr 0
		.amdhsa_user_sgpr_kernarg_segment_ptr 1
		.amdhsa_user_sgpr_dispatch_id 0
		.amdhsa_user_sgpr_kernarg_preload_length 0
		.amdhsa_user_sgpr_kernarg_preload_offset 0
		.amdhsa_user_sgpr_private_segment_size 0
		.amdhsa_uses_dynamic_stack 0
		.amdhsa_enable_private_segment 0
		.amdhsa_system_sgpr_workgroup_id_x 1
		.amdhsa_system_sgpr_workgroup_id_y 0
		.amdhsa_system_sgpr_workgroup_id_z 0
		.amdhsa_system_sgpr_workgroup_info 0
		.amdhsa_system_vgpr_workitem_id 0
		.amdhsa_next_free_vgpr 1
		.amdhsa_next_free_sgpr 0
		.amdhsa_accum_offset 4
		.amdhsa_reserve_vcc 0
		.amdhsa_float_round_mode_32 0
		.amdhsa_float_round_mode_16_64 0
		.amdhsa_float_denorm_mode_32 3
		.amdhsa_float_denorm_mode_16_64 3
		.amdhsa_dx10_clamp 1
		.amdhsa_ieee_mode 1
		.amdhsa_fp16_overflow 0
		.amdhsa_tg_split 0
		.amdhsa_exception_fp_ieee_invalid_op 0
		.amdhsa_exception_fp_denorm_src 0
		.amdhsa_exception_fp_ieee_div_zero 0
		.amdhsa_exception_fp_ieee_overflow 0
		.amdhsa_exception_fp_ieee_underflow 0
		.amdhsa_exception_fp_ieee_inexact 0
		.amdhsa_exception_int_div_zero 0
	.end_amdhsa_kernel
	.section	.text._ZN7rocprim17ROCPRIM_400000_NS6detail17trampoline_kernelINS0_14default_configENS1_38merge_sort_block_merge_config_selectorIlNS0_10empty_typeEEEZZNS1_27merge_sort_block_merge_implIS3_PlPS5_mZN2at6native12_GLOBAL__N_124unique_dim_cuda_templateIN3c104HalfEEESt5tupleIJNSA_6TensorESH_SH_EERKSH_lbbbEUlllE_EE10hipError_tT0_T1_T2_jT3_P12ihipStream_tbPNSt15iterator_traitsISN_E10value_typeEPNST_ISO_E10value_typeEPSP_NS1_7vsmem_tEENKUlT_SN_SO_SP_E_clIS8_S8_S9_S9_EESM_S12_SN_SO_SP_EUlS12_E0_NS1_11comp_targetILNS1_3genE8ELNS1_11target_archE1030ELNS1_3gpuE2ELNS1_3repE0EEENS1_38merge_mergepath_config_static_selectorELNS0_4arch9wavefront6targetE1EEEvSO_,"axG",@progbits,_ZN7rocprim17ROCPRIM_400000_NS6detail17trampoline_kernelINS0_14default_configENS1_38merge_sort_block_merge_config_selectorIlNS0_10empty_typeEEEZZNS1_27merge_sort_block_merge_implIS3_PlPS5_mZN2at6native12_GLOBAL__N_124unique_dim_cuda_templateIN3c104HalfEEESt5tupleIJNSA_6TensorESH_SH_EERKSH_lbbbEUlllE_EE10hipError_tT0_T1_T2_jT3_P12ihipStream_tbPNSt15iterator_traitsISN_E10value_typeEPNST_ISO_E10value_typeEPSP_NS1_7vsmem_tEENKUlT_SN_SO_SP_E_clIS8_S8_S9_S9_EESM_S12_SN_SO_SP_EUlS12_E0_NS1_11comp_targetILNS1_3genE8ELNS1_11target_archE1030ELNS1_3gpuE2ELNS1_3repE0EEENS1_38merge_mergepath_config_static_selectorELNS0_4arch9wavefront6targetE1EEEvSO_,comdat
.Lfunc_end1271:
	.size	_ZN7rocprim17ROCPRIM_400000_NS6detail17trampoline_kernelINS0_14default_configENS1_38merge_sort_block_merge_config_selectorIlNS0_10empty_typeEEEZZNS1_27merge_sort_block_merge_implIS3_PlPS5_mZN2at6native12_GLOBAL__N_124unique_dim_cuda_templateIN3c104HalfEEESt5tupleIJNSA_6TensorESH_SH_EERKSH_lbbbEUlllE_EE10hipError_tT0_T1_T2_jT3_P12ihipStream_tbPNSt15iterator_traitsISN_E10value_typeEPNST_ISO_E10value_typeEPSP_NS1_7vsmem_tEENKUlT_SN_SO_SP_E_clIS8_S8_S9_S9_EESM_S12_SN_SO_SP_EUlS12_E0_NS1_11comp_targetILNS1_3genE8ELNS1_11target_archE1030ELNS1_3gpuE2ELNS1_3repE0EEENS1_38merge_mergepath_config_static_selectorELNS0_4arch9wavefront6targetE1EEEvSO_, .Lfunc_end1271-_ZN7rocprim17ROCPRIM_400000_NS6detail17trampoline_kernelINS0_14default_configENS1_38merge_sort_block_merge_config_selectorIlNS0_10empty_typeEEEZZNS1_27merge_sort_block_merge_implIS3_PlPS5_mZN2at6native12_GLOBAL__N_124unique_dim_cuda_templateIN3c104HalfEEESt5tupleIJNSA_6TensorESH_SH_EERKSH_lbbbEUlllE_EE10hipError_tT0_T1_T2_jT3_P12ihipStream_tbPNSt15iterator_traitsISN_E10value_typeEPNST_ISO_E10value_typeEPSP_NS1_7vsmem_tEENKUlT_SN_SO_SP_E_clIS8_S8_S9_S9_EESM_S12_SN_SO_SP_EUlS12_E0_NS1_11comp_targetILNS1_3genE8ELNS1_11target_archE1030ELNS1_3gpuE2ELNS1_3repE0EEENS1_38merge_mergepath_config_static_selectorELNS0_4arch9wavefront6targetE1EEEvSO_
                                        ; -- End function
	.section	.AMDGPU.csdata,"",@progbits
; Kernel info:
; codeLenInByte = 0
; NumSgprs: 6
; NumVgprs: 0
; NumAgprs: 0
; TotalNumVgprs: 0
; ScratchSize: 0
; MemoryBound: 0
; FloatMode: 240
; IeeeMode: 1
; LDSByteSize: 0 bytes/workgroup (compile time only)
; SGPRBlocks: 0
; VGPRBlocks: 0
; NumSGPRsForWavesPerEU: 6
; NumVGPRsForWavesPerEU: 1
; AccumOffset: 4
; Occupancy: 8
; WaveLimiterHint : 0
; COMPUTE_PGM_RSRC2:SCRATCH_EN: 0
; COMPUTE_PGM_RSRC2:USER_SGPR: 2
; COMPUTE_PGM_RSRC2:TRAP_HANDLER: 0
; COMPUTE_PGM_RSRC2:TGID_X_EN: 1
; COMPUTE_PGM_RSRC2:TGID_Y_EN: 0
; COMPUTE_PGM_RSRC2:TGID_Z_EN: 0
; COMPUTE_PGM_RSRC2:TIDIG_COMP_CNT: 0
; COMPUTE_PGM_RSRC3_GFX90A:ACCUM_OFFSET: 0
; COMPUTE_PGM_RSRC3_GFX90A:TG_SPLIT: 0
	.section	.text._ZN7rocprim17ROCPRIM_400000_NS6detail17trampoline_kernelINS0_14default_configENS1_38merge_sort_block_merge_config_selectorIlNS0_10empty_typeEEEZZNS1_27merge_sort_block_merge_implIS3_PlPS5_mZN2at6native12_GLOBAL__N_124unique_dim_cuda_templateIN3c104HalfEEESt5tupleIJNSA_6TensorESH_SH_EERKSH_lbbbEUlllE_EE10hipError_tT0_T1_T2_jT3_P12ihipStream_tbPNSt15iterator_traitsISN_E10value_typeEPNST_ISO_E10value_typeEPSP_NS1_7vsmem_tEENKUlT_SN_SO_SP_E_clIS8_S8_S9_S9_EESM_S12_SN_SO_SP_EUlS12_E1_NS1_11comp_targetILNS1_3genE0ELNS1_11target_archE4294967295ELNS1_3gpuE0ELNS1_3repE0EEENS1_36merge_oddeven_config_static_selectorELNS0_4arch9wavefront6targetE1EEEvSO_,"axG",@progbits,_ZN7rocprim17ROCPRIM_400000_NS6detail17trampoline_kernelINS0_14default_configENS1_38merge_sort_block_merge_config_selectorIlNS0_10empty_typeEEEZZNS1_27merge_sort_block_merge_implIS3_PlPS5_mZN2at6native12_GLOBAL__N_124unique_dim_cuda_templateIN3c104HalfEEESt5tupleIJNSA_6TensorESH_SH_EERKSH_lbbbEUlllE_EE10hipError_tT0_T1_T2_jT3_P12ihipStream_tbPNSt15iterator_traitsISN_E10value_typeEPNST_ISO_E10value_typeEPSP_NS1_7vsmem_tEENKUlT_SN_SO_SP_E_clIS8_S8_S9_S9_EESM_S12_SN_SO_SP_EUlS12_E1_NS1_11comp_targetILNS1_3genE0ELNS1_11target_archE4294967295ELNS1_3gpuE0ELNS1_3repE0EEENS1_36merge_oddeven_config_static_selectorELNS0_4arch9wavefront6targetE1EEEvSO_,comdat
	.globl	_ZN7rocprim17ROCPRIM_400000_NS6detail17trampoline_kernelINS0_14default_configENS1_38merge_sort_block_merge_config_selectorIlNS0_10empty_typeEEEZZNS1_27merge_sort_block_merge_implIS3_PlPS5_mZN2at6native12_GLOBAL__N_124unique_dim_cuda_templateIN3c104HalfEEESt5tupleIJNSA_6TensorESH_SH_EERKSH_lbbbEUlllE_EE10hipError_tT0_T1_T2_jT3_P12ihipStream_tbPNSt15iterator_traitsISN_E10value_typeEPNST_ISO_E10value_typeEPSP_NS1_7vsmem_tEENKUlT_SN_SO_SP_E_clIS8_S8_S9_S9_EESM_S12_SN_SO_SP_EUlS12_E1_NS1_11comp_targetILNS1_3genE0ELNS1_11target_archE4294967295ELNS1_3gpuE0ELNS1_3repE0EEENS1_36merge_oddeven_config_static_selectorELNS0_4arch9wavefront6targetE1EEEvSO_ ; -- Begin function _ZN7rocprim17ROCPRIM_400000_NS6detail17trampoline_kernelINS0_14default_configENS1_38merge_sort_block_merge_config_selectorIlNS0_10empty_typeEEEZZNS1_27merge_sort_block_merge_implIS3_PlPS5_mZN2at6native12_GLOBAL__N_124unique_dim_cuda_templateIN3c104HalfEEESt5tupleIJNSA_6TensorESH_SH_EERKSH_lbbbEUlllE_EE10hipError_tT0_T1_T2_jT3_P12ihipStream_tbPNSt15iterator_traitsISN_E10value_typeEPNST_ISO_E10value_typeEPSP_NS1_7vsmem_tEENKUlT_SN_SO_SP_E_clIS8_S8_S9_S9_EESM_S12_SN_SO_SP_EUlS12_E1_NS1_11comp_targetILNS1_3genE0ELNS1_11target_archE4294967295ELNS1_3gpuE0ELNS1_3repE0EEENS1_36merge_oddeven_config_static_selectorELNS0_4arch9wavefront6targetE1EEEvSO_
	.p2align	8
	.type	_ZN7rocprim17ROCPRIM_400000_NS6detail17trampoline_kernelINS0_14default_configENS1_38merge_sort_block_merge_config_selectorIlNS0_10empty_typeEEEZZNS1_27merge_sort_block_merge_implIS3_PlPS5_mZN2at6native12_GLOBAL__N_124unique_dim_cuda_templateIN3c104HalfEEESt5tupleIJNSA_6TensorESH_SH_EERKSH_lbbbEUlllE_EE10hipError_tT0_T1_T2_jT3_P12ihipStream_tbPNSt15iterator_traitsISN_E10value_typeEPNST_ISO_E10value_typeEPSP_NS1_7vsmem_tEENKUlT_SN_SO_SP_E_clIS8_S8_S9_S9_EESM_S12_SN_SO_SP_EUlS12_E1_NS1_11comp_targetILNS1_3genE0ELNS1_11target_archE4294967295ELNS1_3gpuE0ELNS1_3repE0EEENS1_36merge_oddeven_config_static_selectorELNS0_4arch9wavefront6targetE1EEEvSO_,@function
_ZN7rocprim17ROCPRIM_400000_NS6detail17trampoline_kernelINS0_14default_configENS1_38merge_sort_block_merge_config_selectorIlNS0_10empty_typeEEEZZNS1_27merge_sort_block_merge_implIS3_PlPS5_mZN2at6native12_GLOBAL__N_124unique_dim_cuda_templateIN3c104HalfEEESt5tupleIJNSA_6TensorESH_SH_EERKSH_lbbbEUlllE_EE10hipError_tT0_T1_T2_jT3_P12ihipStream_tbPNSt15iterator_traitsISN_E10value_typeEPNST_ISO_E10value_typeEPSP_NS1_7vsmem_tEENKUlT_SN_SO_SP_E_clIS8_S8_S9_S9_EESM_S12_SN_SO_SP_EUlS12_E1_NS1_11comp_targetILNS1_3genE0ELNS1_11target_archE4294967295ELNS1_3gpuE0ELNS1_3repE0EEENS1_36merge_oddeven_config_static_selectorELNS0_4arch9wavefront6targetE1EEEvSO_: ; @_ZN7rocprim17ROCPRIM_400000_NS6detail17trampoline_kernelINS0_14default_configENS1_38merge_sort_block_merge_config_selectorIlNS0_10empty_typeEEEZZNS1_27merge_sort_block_merge_implIS3_PlPS5_mZN2at6native12_GLOBAL__N_124unique_dim_cuda_templateIN3c104HalfEEESt5tupleIJNSA_6TensorESH_SH_EERKSH_lbbbEUlllE_EE10hipError_tT0_T1_T2_jT3_P12ihipStream_tbPNSt15iterator_traitsISN_E10value_typeEPNST_ISO_E10value_typeEPSP_NS1_7vsmem_tEENKUlT_SN_SO_SP_E_clIS8_S8_S9_S9_EESM_S12_SN_SO_SP_EUlS12_E1_NS1_11comp_targetILNS1_3genE0ELNS1_11target_archE4294967295ELNS1_3gpuE0ELNS1_3repE0EEENS1_36merge_oddeven_config_static_selectorELNS0_4arch9wavefront6targetE1EEEvSO_
; %bb.0:
	.section	.rodata,"a",@progbits
	.p2align	6, 0x0
	.amdhsa_kernel _ZN7rocprim17ROCPRIM_400000_NS6detail17trampoline_kernelINS0_14default_configENS1_38merge_sort_block_merge_config_selectorIlNS0_10empty_typeEEEZZNS1_27merge_sort_block_merge_implIS3_PlPS5_mZN2at6native12_GLOBAL__N_124unique_dim_cuda_templateIN3c104HalfEEESt5tupleIJNSA_6TensorESH_SH_EERKSH_lbbbEUlllE_EE10hipError_tT0_T1_T2_jT3_P12ihipStream_tbPNSt15iterator_traitsISN_E10value_typeEPNST_ISO_E10value_typeEPSP_NS1_7vsmem_tEENKUlT_SN_SO_SP_E_clIS8_S8_S9_S9_EESM_S12_SN_SO_SP_EUlS12_E1_NS1_11comp_targetILNS1_3genE0ELNS1_11target_archE4294967295ELNS1_3gpuE0ELNS1_3repE0EEENS1_36merge_oddeven_config_static_selectorELNS0_4arch9wavefront6targetE1EEEvSO_
		.amdhsa_group_segment_fixed_size 0
		.amdhsa_private_segment_fixed_size 0
		.amdhsa_kernarg_size 64
		.amdhsa_user_sgpr_count 2
		.amdhsa_user_sgpr_dispatch_ptr 0
		.amdhsa_user_sgpr_queue_ptr 0
		.amdhsa_user_sgpr_kernarg_segment_ptr 1
		.amdhsa_user_sgpr_dispatch_id 0
		.amdhsa_user_sgpr_kernarg_preload_length 0
		.amdhsa_user_sgpr_kernarg_preload_offset 0
		.amdhsa_user_sgpr_private_segment_size 0
		.amdhsa_uses_dynamic_stack 0
		.amdhsa_enable_private_segment 0
		.amdhsa_system_sgpr_workgroup_id_x 1
		.amdhsa_system_sgpr_workgroup_id_y 0
		.amdhsa_system_sgpr_workgroup_id_z 0
		.amdhsa_system_sgpr_workgroup_info 0
		.amdhsa_system_vgpr_workitem_id 0
		.amdhsa_next_free_vgpr 1
		.amdhsa_next_free_sgpr 0
		.amdhsa_accum_offset 4
		.amdhsa_reserve_vcc 0
		.amdhsa_float_round_mode_32 0
		.amdhsa_float_round_mode_16_64 0
		.amdhsa_float_denorm_mode_32 3
		.amdhsa_float_denorm_mode_16_64 3
		.amdhsa_dx10_clamp 1
		.amdhsa_ieee_mode 1
		.amdhsa_fp16_overflow 0
		.amdhsa_tg_split 0
		.amdhsa_exception_fp_ieee_invalid_op 0
		.amdhsa_exception_fp_denorm_src 0
		.amdhsa_exception_fp_ieee_div_zero 0
		.amdhsa_exception_fp_ieee_overflow 0
		.amdhsa_exception_fp_ieee_underflow 0
		.amdhsa_exception_fp_ieee_inexact 0
		.amdhsa_exception_int_div_zero 0
	.end_amdhsa_kernel
	.section	.text._ZN7rocprim17ROCPRIM_400000_NS6detail17trampoline_kernelINS0_14default_configENS1_38merge_sort_block_merge_config_selectorIlNS0_10empty_typeEEEZZNS1_27merge_sort_block_merge_implIS3_PlPS5_mZN2at6native12_GLOBAL__N_124unique_dim_cuda_templateIN3c104HalfEEESt5tupleIJNSA_6TensorESH_SH_EERKSH_lbbbEUlllE_EE10hipError_tT0_T1_T2_jT3_P12ihipStream_tbPNSt15iterator_traitsISN_E10value_typeEPNST_ISO_E10value_typeEPSP_NS1_7vsmem_tEENKUlT_SN_SO_SP_E_clIS8_S8_S9_S9_EESM_S12_SN_SO_SP_EUlS12_E1_NS1_11comp_targetILNS1_3genE0ELNS1_11target_archE4294967295ELNS1_3gpuE0ELNS1_3repE0EEENS1_36merge_oddeven_config_static_selectorELNS0_4arch9wavefront6targetE1EEEvSO_,"axG",@progbits,_ZN7rocprim17ROCPRIM_400000_NS6detail17trampoline_kernelINS0_14default_configENS1_38merge_sort_block_merge_config_selectorIlNS0_10empty_typeEEEZZNS1_27merge_sort_block_merge_implIS3_PlPS5_mZN2at6native12_GLOBAL__N_124unique_dim_cuda_templateIN3c104HalfEEESt5tupleIJNSA_6TensorESH_SH_EERKSH_lbbbEUlllE_EE10hipError_tT0_T1_T2_jT3_P12ihipStream_tbPNSt15iterator_traitsISN_E10value_typeEPNST_ISO_E10value_typeEPSP_NS1_7vsmem_tEENKUlT_SN_SO_SP_E_clIS8_S8_S9_S9_EESM_S12_SN_SO_SP_EUlS12_E1_NS1_11comp_targetILNS1_3genE0ELNS1_11target_archE4294967295ELNS1_3gpuE0ELNS1_3repE0EEENS1_36merge_oddeven_config_static_selectorELNS0_4arch9wavefront6targetE1EEEvSO_,comdat
.Lfunc_end1272:
	.size	_ZN7rocprim17ROCPRIM_400000_NS6detail17trampoline_kernelINS0_14default_configENS1_38merge_sort_block_merge_config_selectorIlNS0_10empty_typeEEEZZNS1_27merge_sort_block_merge_implIS3_PlPS5_mZN2at6native12_GLOBAL__N_124unique_dim_cuda_templateIN3c104HalfEEESt5tupleIJNSA_6TensorESH_SH_EERKSH_lbbbEUlllE_EE10hipError_tT0_T1_T2_jT3_P12ihipStream_tbPNSt15iterator_traitsISN_E10value_typeEPNST_ISO_E10value_typeEPSP_NS1_7vsmem_tEENKUlT_SN_SO_SP_E_clIS8_S8_S9_S9_EESM_S12_SN_SO_SP_EUlS12_E1_NS1_11comp_targetILNS1_3genE0ELNS1_11target_archE4294967295ELNS1_3gpuE0ELNS1_3repE0EEENS1_36merge_oddeven_config_static_selectorELNS0_4arch9wavefront6targetE1EEEvSO_, .Lfunc_end1272-_ZN7rocprim17ROCPRIM_400000_NS6detail17trampoline_kernelINS0_14default_configENS1_38merge_sort_block_merge_config_selectorIlNS0_10empty_typeEEEZZNS1_27merge_sort_block_merge_implIS3_PlPS5_mZN2at6native12_GLOBAL__N_124unique_dim_cuda_templateIN3c104HalfEEESt5tupleIJNSA_6TensorESH_SH_EERKSH_lbbbEUlllE_EE10hipError_tT0_T1_T2_jT3_P12ihipStream_tbPNSt15iterator_traitsISN_E10value_typeEPNST_ISO_E10value_typeEPSP_NS1_7vsmem_tEENKUlT_SN_SO_SP_E_clIS8_S8_S9_S9_EESM_S12_SN_SO_SP_EUlS12_E1_NS1_11comp_targetILNS1_3genE0ELNS1_11target_archE4294967295ELNS1_3gpuE0ELNS1_3repE0EEENS1_36merge_oddeven_config_static_selectorELNS0_4arch9wavefront6targetE1EEEvSO_
                                        ; -- End function
	.section	.AMDGPU.csdata,"",@progbits
; Kernel info:
; codeLenInByte = 0
; NumSgprs: 6
; NumVgprs: 0
; NumAgprs: 0
; TotalNumVgprs: 0
; ScratchSize: 0
; MemoryBound: 0
; FloatMode: 240
; IeeeMode: 1
; LDSByteSize: 0 bytes/workgroup (compile time only)
; SGPRBlocks: 0
; VGPRBlocks: 0
; NumSGPRsForWavesPerEU: 6
; NumVGPRsForWavesPerEU: 1
; AccumOffset: 4
; Occupancy: 8
; WaveLimiterHint : 0
; COMPUTE_PGM_RSRC2:SCRATCH_EN: 0
; COMPUTE_PGM_RSRC2:USER_SGPR: 2
; COMPUTE_PGM_RSRC2:TRAP_HANDLER: 0
; COMPUTE_PGM_RSRC2:TGID_X_EN: 1
; COMPUTE_PGM_RSRC2:TGID_Y_EN: 0
; COMPUTE_PGM_RSRC2:TGID_Z_EN: 0
; COMPUTE_PGM_RSRC2:TIDIG_COMP_CNT: 0
; COMPUTE_PGM_RSRC3_GFX90A:ACCUM_OFFSET: 0
; COMPUTE_PGM_RSRC3_GFX90A:TG_SPLIT: 0
	.section	.text._ZN7rocprim17ROCPRIM_400000_NS6detail17trampoline_kernelINS0_14default_configENS1_38merge_sort_block_merge_config_selectorIlNS0_10empty_typeEEEZZNS1_27merge_sort_block_merge_implIS3_PlPS5_mZN2at6native12_GLOBAL__N_124unique_dim_cuda_templateIN3c104HalfEEESt5tupleIJNSA_6TensorESH_SH_EERKSH_lbbbEUlllE_EE10hipError_tT0_T1_T2_jT3_P12ihipStream_tbPNSt15iterator_traitsISN_E10value_typeEPNST_ISO_E10value_typeEPSP_NS1_7vsmem_tEENKUlT_SN_SO_SP_E_clIS8_S8_S9_S9_EESM_S12_SN_SO_SP_EUlS12_E1_NS1_11comp_targetILNS1_3genE10ELNS1_11target_archE1201ELNS1_3gpuE5ELNS1_3repE0EEENS1_36merge_oddeven_config_static_selectorELNS0_4arch9wavefront6targetE1EEEvSO_,"axG",@progbits,_ZN7rocprim17ROCPRIM_400000_NS6detail17trampoline_kernelINS0_14default_configENS1_38merge_sort_block_merge_config_selectorIlNS0_10empty_typeEEEZZNS1_27merge_sort_block_merge_implIS3_PlPS5_mZN2at6native12_GLOBAL__N_124unique_dim_cuda_templateIN3c104HalfEEESt5tupleIJNSA_6TensorESH_SH_EERKSH_lbbbEUlllE_EE10hipError_tT0_T1_T2_jT3_P12ihipStream_tbPNSt15iterator_traitsISN_E10value_typeEPNST_ISO_E10value_typeEPSP_NS1_7vsmem_tEENKUlT_SN_SO_SP_E_clIS8_S8_S9_S9_EESM_S12_SN_SO_SP_EUlS12_E1_NS1_11comp_targetILNS1_3genE10ELNS1_11target_archE1201ELNS1_3gpuE5ELNS1_3repE0EEENS1_36merge_oddeven_config_static_selectorELNS0_4arch9wavefront6targetE1EEEvSO_,comdat
	.globl	_ZN7rocprim17ROCPRIM_400000_NS6detail17trampoline_kernelINS0_14default_configENS1_38merge_sort_block_merge_config_selectorIlNS0_10empty_typeEEEZZNS1_27merge_sort_block_merge_implIS3_PlPS5_mZN2at6native12_GLOBAL__N_124unique_dim_cuda_templateIN3c104HalfEEESt5tupleIJNSA_6TensorESH_SH_EERKSH_lbbbEUlllE_EE10hipError_tT0_T1_T2_jT3_P12ihipStream_tbPNSt15iterator_traitsISN_E10value_typeEPNST_ISO_E10value_typeEPSP_NS1_7vsmem_tEENKUlT_SN_SO_SP_E_clIS8_S8_S9_S9_EESM_S12_SN_SO_SP_EUlS12_E1_NS1_11comp_targetILNS1_3genE10ELNS1_11target_archE1201ELNS1_3gpuE5ELNS1_3repE0EEENS1_36merge_oddeven_config_static_selectorELNS0_4arch9wavefront6targetE1EEEvSO_ ; -- Begin function _ZN7rocprim17ROCPRIM_400000_NS6detail17trampoline_kernelINS0_14default_configENS1_38merge_sort_block_merge_config_selectorIlNS0_10empty_typeEEEZZNS1_27merge_sort_block_merge_implIS3_PlPS5_mZN2at6native12_GLOBAL__N_124unique_dim_cuda_templateIN3c104HalfEEESt5tupleIJNSA_6TensorESH_SH_EERKSH_lbbbEUlllE_EE10hipError_tT0_T1_T2_jT3_P12ihipStream_tbPNSt15iterator_traitsISN_E10value_typeEPNST_ISO_E10value_typeEPSP_NS1_7vsmem_tEENKUlT_SN_SO_SP_E_clIS8_S8_S9_S9_EESM_S12_SN_SO_SP_EUlS12_E1_NS1_11comp_targetILNS1_3genE10ELNS1_11target_archE1201ELNS1_3gpuE5ELNS1_3repE0EEENS1_36merge_oddeven_config_static_selectorELNS0_4arch9wavefront6targetE1EEEvSO_
	.p2align	8
	.type	_ZN7rocprim17ROCPRIM_400000_NS6detail17trampoline_kernelINS0_14default_configENS1_38merge_sort_block_merge_config_selectorIlNS0_10empty_typeEEEZZNS1_27merge_sort_block_merge_implIS3_PlPS5_mZN2at6native12_GLOBAL__N_124unique_dim_cuda_templateIN3c104HalfEEESt5tupleIJNSA_6TensorESH_SH_EERKSH_lbbbEUlllE_EE10hipError_tT0_T1_T2_jT3_P12ihipStream_tbPNSt15iterator_traitsISN_E10value_typeEPNST_ISO_E10value_typeEPSP_NS1_7vsmem_tEENKUlT_SN_SO_SP_E_clIS8_S8_S9_S9_EESM_S12_SN_SO_SP_EUlS12_E1_NS1_11comp_targetILNS1_3genE10ELNS1_11target_archE1201ELNS1_3gpuE5ELNS1_3repE0EEENS1_36merge_oddeven_config_static_selectorELNS0_4arch9wavefront6targetE1EEEvSO_,@function
_ZN7rocprim17ROCPRIM_400000_NS6detail17trampoline_kernelINS0_14default_configENS1_38merge_sort_block_merge_config_selectorIlNS0_10empty_typeEEEZZNS1_27merge_sort_block_merge_implIS3_PlPS5_mZN2at6native12_GLOBAL__N_124unique_dim_cuda_templateIN3c104HalfEEESt5tupleIJNSA_6TensorESH_SH_EERKSH_lbbbEUlllE_EE10hipError_tT0_T1_T2_jT3_P12ihipStream_tbPNSt15iterator_traitsISN_E10value_typeEPNST_ISO_E10value_typeEPSP_NS1_7vsmem_tEENKUlT_SN_SO_SP_E_clIS8_S8_S9_S9_EESM_S12_SN_SO_SP_EUlS12_E1_NS1_11comp_targetILNS1_3genE10ELNS1_11target_archE1201ELNS1_3gpuE5ELNS1_3repE0EEENS1_36merge_oddeven_config_static_selectorELNS0_4arch9wavefront6targetE1EEEvSO_: ; @_ZN7rocprim17ROCPRIM_400000_NS6detail17trampoline_kernelINS0_14default_configENS1_38merge_sort_block_merge_config_selectorIlNS0_10empty_typeEEEZZNS1_27merge_sort_block_merge_implIS3_PlPS5_mZN2at6native12_GLOBAL__N_124unique_dim_cuda_templateIN3c104HalfEEESt5tupleIJNSA_6TensorESH_SH_EERKSH_lbbbEUlllE_EE10hipError_tT0_T1_T2_jT3_P12ihipStream_tbPNSt15iterator_traitsISN_E10value_typeEPNST_ISO_E10value_typeEPSP_NS1_7vsmem_tEENKUlT_SN_SO_SP_E_clIS8_S8_S9_S9_EESM_S12_SN_SO_SP_EUlS12_E1_NS1_11comp_targetILNS1_3genE10ELNS1_11target_archE1201ELNS1_3gpuE5ELNS1_3repE0EEENS1_36merge_oddeven_config_static_selectorELNS0_4arch9wavefront6targetE1EEEvSO_
; %bb.0:
	.section	.rodata,"a",@progbits
	.p2align	6, 0x0
	.amdhsa_kernel _ZN7rocprim17ROCPRIM_400000_NS6detail17trampoline_kernelINS0_14default_configENS1_38merge_sort_block_merge_config_selectorIlNS0_10empty_typeEEEZZNS1_27merge_sort_block_merge_implIS3_PlPS5_mZN2at6native12_GLOBAL__N_124unique_dim_cuda_templateIN3c104HalfEEESt5tupleIJNSA_6TensorESH_SH_EERKSH_lbbbEUlllE_EE10hipError_tT0_T1_T2_jT3_P12ihipStream_tbPNSt15iterator_traitsISN_E10value_typeEPNST_ISO_E10value_typeEPSP_NS1_7vsmem_tEENKUlT_SN_SO_SP_E_clIS8_S8_S9_S9_EESM_S12_SN_SO_SP_EUlS12_E1_NS1_11comp_targetILNS1_3genE10ELNS1_11target_archE1201ELNS1_3gpuE5ELNS1_3repE0EEENS1_36merge_oddeven_config_static_selectorELNS0_4arch9wavefront6targetE1EEEvSO_
		.amdhsa_group_segment_fixed_size 0
		.amdhsa_private_segment_fixed_size 0
		.amdhsa_kernarg_size 64
		.amdhsa_user_sgpr_count 2
		.amdhsa_user_sgpr_dispatch_ptr 0
		.amdhsa_user_sgpr_queue_ptr 0
		.amdhsa_user_sgpr_kernarg_segment_ptr 1
		.amdhsa_user_sgpr_dispatch_id 0
		.amdhsa_user_sgpr_kernarg_preload_length 0
		.amdhsa_user_sgpr_kernarg_preload_offset 0
		.amdhsa_user_sgpr_private_segment_size 0
		.amdhsa_uses_dynamic_stack 0
		.amdhsa_enable_private_segment 0
		.amdhsa_system_sgpr_workgroup_id_x 1
		.amdhsa_system_sgpr_workgroup_id_y 0
		.amdhsa_system_sgpr_workgroup_id_z 0
		.amdhsa_system_sgpr_workgroup_info 0
		.amdhsa_system_vgpr_workitem_id 0
		.amdhsa_next_free_vgpr 1
		.amdhsa_next_free_sgpr 0
		.amdhsa_accum_offset 4
		.amdhsa_reserve_vcc 0
		.amdhsa_float_round_mode_32 0
		.amdhsa_float_round_mode_16_64 0
		.amdhsa_float_denorm_mode_32 3
		.amdhsa_float_denorm_mode_16_64 3
		.amdhsa_dx10_clamp 1
		.amdhsa_ieee_mode 1
		.amdhsa_fp16_overflow 0
		.amdhsa_tg_split 0
		.amdhsa_exception_fp_ieee_invalid_op 0
		.amdhsa_exception_fp_denorm_src 0
		.amdhsa_exception_fp_ieee_div_zero 0
		.amdhsa_exception_fp_ieee_overflow 0
		.amdhsa_exception_fp_ieee_underflow 0
		.amdhsa_exception_fp_ieee_inexact 0
		.amdhsa_exception_int_div_zero 0
	.end_amdhsa_kernel
	.section	.text._ZN7rocprim17ROCPRIM_400000_NS6detail17trampoline_kernelINS0_14default_configENS1_38merge_sort_block_merge_config_selectorIlNS0_10empty_typeEEEZZNS1_27merge_sort_block_merge_implIS3_PlPS5_mZN2at6native12_GLOBAL__N_124unique_dim_cuda_templateIN3c104HalfEEESt5tupleIJNSA_6TensorESH_SH_EERKSH_lbbbEUlllE_EE10hipError_tT0_T1_T2_jT3_P12ihipStream_tbPNSt15iterator_traitsISN_E10value_typeEPNST_ISO_E10value_typeEPSP_NS1_7vsmem_tEENKUlT_SN_SO_SP_E_clIS8_S8_S9_S9_EESM_S12_SN_SO_SP_EUlS12_E1_NS1_11comp_targetILNS1_3genE10ELNS1_11target_archE1201ELNS1_3gpuE5ELNS1_3repE0EEENS1_36merge_oddeven_config_static_selectorELNS0_4arch9wavefront6targetE1EEEvSO_,"axG",@progbits,_ZN7rocprim17ROCPRIM_400000_NS6detail17trampoline_kernelINS0_14default_configENS1_38merge_sort_block_merge_config_selectorIlNS0_10empty_typeEEEZZNS1_27merge_sort_block_merge_implIS3_PlPS5_mZN2at6native12_GLOBAL__N_124unique_dim_cuda_templateIN3c104HalfEEESt5tupleIJNSA_6TensorESH_SH_EERKSH_lbbbEUlllE_EE10hipError_tT0_T1_T2_jT3_P12ihipStream_tbPNSt15iterator_traitsISN_E10value_typeEPNST_ISO_E10value_typeEPSP_NS1_7vsmem_tEENKUlT_SN_SO_SP_E_clIS8_S8_S9_S9_EESM_S12_SN_SO_SP_EUlS12_E1_NS1_11comp_targetILNS1_3genE10ELNS1_11target_archE1201ELNS1_3gpuE5ELNS1_3repE0EEENS1_36merge_oddeven_config_static_selectorELNS0_4arch9wavefront6targetE1EEEvSO_,comdat
.Lfunc_end1273:
	.size	_ZN7rocprim17ROCPRIM_400000_NS6detail17trampoline_kernelINS0_14default_configENS1_38merge_sort_block_merge_config_selectorIlNS0_10empty_typeEEEZZNS1_27merge_sort_block_merge_implIS3_PlPS5_mZN2at6native12_GLOBAL__N_124unique_dim_cuda_templateIN3c104HalfEEESt5tupleIJNSA_6TensorESH_SH_EERKSH_lbbbEUlllE_EE10hipError_tT0_T1_T2_jT3_P12ihipStream_tbPNSt15iterator_traitsISN_E10value_typeEPNST_ISO_E10value_typeEPSP_NS1_7vsmem_tEENKUlT_SN_SO_SP_E_clIS8_S8_S9_S9_EESM_S12_SN_SO_SP_EUlS12_E1_NS1_11comp_targetILNS1_3genE10ELNS1_11target_archE1201ELNS1_3gpuE5ELNS1_3repE0EEENS1_36merge_oddeven_config_static_selectorELNS0_4arch9wavefront6targetE1EEEvSO_, .Lfunc_end1273-_ZN7rocprim17ROCPRIM_400000_NS6detail17trampoline_kernelINS0_14default_configENS1_38merge_sort_block_merge_config_selectorIlNS0_10empty_typeEEEZZNS1_27merge_sort_block_merge_implIS3_PlPS5_mZN2at6native12_GLOBAL__N_124unique_dim_cuda_templateIN3c104HalfEEESt5tupleIJNSA_6TensorESH_SH_EERKSH_lbbbEUlllE_EE10hipError_tT0_T1_T2_jT3_P12ihipStream_tbPNSt15iterator_traitsISN_E10value_typeEPNST_ISO_E10value_typeEPSP_NS1_7vsmem_tEENKUlT_SN_SO_SP_E_clIS8_S8_S9_S9_EESM_S12_SN_SO_SP_EUlS12_E1_NS1_11comp_targetILNS1_3genE10ELNS1_11target_archE1201ELNS1_3gpuE5ELNS1_3repE0EEENS1_36merge_oddeven_config_static_selectorELNS0_4arch9wavefront6targetE1EEEvSO_
                                        ; -- End function
	.section	.AMDGPU.csdata,"",@progbits
; Kernel info:
; codeLenInByte = 0
; NumSgprs: 6
; NumVgprs: 0
; NumAgprs: 0
; TotalNumVgprs: 0
; ScratchSize: 0
; MemoryBound: 0
; FloatMode: 240
; IeeeMode: 1
; LDSByteSize: 0 bytes/workgroup (compile time only)
; SGPRBlocks: 0
; VGPRBlocks: 0
; NumSGPRsForWavesPerEU: 6
; NumVGPRsForWavesPerEU: 1
; AccumOffset: 4
; Occupancy: 8
; WaveLimiterHint : 0
; COMPUTE_PGM_RSRC2:SCRATCH_EN: 0
; COMPUTE_PGM_RSRC2:USER_SGPR: 2
; COMPUTE_PGM_RSRC2:TRAP_HANDLER: 0
; COMPUTE_PGM_RSRC2:TGID_X_EN: 1
; COMPUTE_PGM_RSRC2:TGID_Y_EN: 0
; COMPUTE_PGM_RSRC2:TGID_Z_EN: 0
; COMPUTE_PGM_RSRC2:TIDIG_COMP_CNT: 0
; COMPUTE_PGM_RSRC3_GFX90A:ACCUM_OFFSET: 0
; COMPUTE_PGM_RSRC3_GFX90A:TG_SPLIT: 0
	.section	.text._ZN7rocprim17ROCPRIM_400000_NS6detail17trampoline_kernelINS0_14default_configENS1_38merge_sort_block_merge_config_selectorIlNS0_10empty_typeEEEZZNS1_27merge_sort_block_merge_implIS3_PlPS5_mZN2at6native12_GLOBAL__N_124unique_dim_cuda_templateIN3c104HalfEEESt5tupleIJNSA_6TensorESH_SH_EERKSH_lbbbEUlllE_EE10hipError_tT0_T1_T2_jT3_P12ihipStream_tbPNSt15iterator_traitsISN_E10value_typeEPNST_ISO_E10value_typeEPSP_NS1_7vsmem_tEENKUlT_SN_SO_SP_E_clIS8_S8_S9_S9_EESM_S12_SN_SO_SP_EUlS12_E1_NS1_11comp_targetILNS1_3genE5ELNS1_11target_archE942ELNS1_3gpuE9ELNS1_3repE0EEENS1_36merge_oddeven_config_static_selectorELNS0_4arch9wavefront6targetE1EEEvSO_,"axG",@progbits,_ZN7rocprim17ROCPRIM_400000_NS6detail17trampoline_kernelINS0_14default_configENS1_38merge_sort_block_merge_config_selectorIlNS0_10empty_typeEEEZZNS1_27merge_sort_block_merge_implIS3_PlPS5_mZN2at6native12_GLOBAL__N_124unique_dim_cuda_templateIN3c104HalfEEESt5tupleIJNSA_6TensorESH_SH_EERKSH_lbbbEUlllE_EE10hipError_tT0_T1_T2_jT3_P12ihipStream_tbPNSt15iterator_traitsISN_E10value_typeEPNST_ISO_E10value_typeEPSP_NS1_7vsmem_tEENKUlT_SN_SO_SP_E_clIS8_S8_S9_S9_EESM_S12_SN_SO_SP_EUlS12_E1_NS1_11comp_targetILNS1_3genE5ELNS1_11target_archE942ELNS1_3gpuE9ELNS1_3repE0EEENS1_36merge_oddeven_config_static_selectorELNS0_4arch9wavefront6targetE1EEEvSO_,comdat
	.globl	_ZN7rocprim17ROCPRIM_400000_NS6detail17trampoline_kernelINS0_14default_configENS1_38merge_sort_block_merge_config_selectorIlNS0_10empty_typeEEEZZNS1_27merge_sort_block_merge_implIS3_PlPS5_mZN2at6native12_GLOBAL__N_124unique_dim_cuda_templateIN3c104HalfEEESt5tupleIJNSA_6TensorESH_SH_EERKSH_lbbbEUlllE_EE10hipError_tT0_T1_T2_jT3_P12ihipStream_tbPNSt15iterator_traitsISN_E10value_typeEPNST_ISO_E10value_typeEPSP_NS1_7vsmem_tEENKUlT_SN_SO_SP_E_clIS8_S8_S9_S9_EESM_S12_SN_SO_SP_EUlS12_E1_NS1_11comp_targetILNS1_3genE5ELNS1_11target_archE942ELNS1_3gpuE9ELNS1_3repE0EEENS1_36merge_oddeven_config_static_selectorELNS0_4arch9wavefront6targetE1EEEvSO_ ; -- Begin function _ZN7rocprim17ROCPRIM_400000_NS6detail17trampoline_kernelINS0_14default_configENS1_38merge_sort_block_merge_config_selectorIlNS0_10empty_typeEEEZZNS1_27merge_sort_block_merge_implIS3_PlPS5_mZN2at6native12_GLOBAL__N_124unique_dim_cuda_templateIN3c104HalfEEESt5tupleIJNSA_6TensorESH_SH_EERKSH_lbbbEUlllE_EE10hipError_tT0_T1_T2_jT3_P12ihipStream_tbPNSt15iterator_traitsISN_E10value_typeEPNST_ISO_E10value_typeEPSP_NS1_7vsmem_tEENKUlT_SN_SO_SP_E_clIS8_S8_S9_S9_EESM_S12_SN_SO_SP_EUlS12_E1_NS1_11comp_targetILNS1_3genE5ELNS1_11target_archE942ELNS1_3gpuE9ELNS1_3repE0EEENS1_36merge_oddeven_config_static_selectorELNS0_4arch9wavefront6targetE1EEEvSO_
	.p2align	8
	.type	_ZN7rocprim17ROCPRIM_400000_NS6detail17trampoline_kernelINS0_14default_configENS1_38merge_sort_block_merge_config_selectorIlNS0_10empty_typeEEEZZNS1_27merge_sort_block_merge_implIS3_PlPS5_mZN2at6native12_GLOBAL__N_124unique_dim_cuda_templateIN3c104HalfEEESt5tupleIJNSA_6TensorESH_SH_EERKSH_lbbbEUlllE_EE10hipError_tT0_T1_T2_jT3_P12ihipStream_tbPNSt15iterator_traitsISN_E10value_typeEPNST_ISO_E10value_typeEPSP_NS1_7vsmem_tEENKUlT_SN_SO_SP_E_clIS8_S8_S9_S9_EESM_S12_SN_SO_SP_EUlS12_E1_NS1_11comp_targetILNS1_3genE5ELNS1_11target_archE942ELNS1_3gpuE9ELNS1_3repE0EEENS1_36merge_oddeven_config_static_selectorELNS0_4arch9wavefront6targetE1EEEvSO_,@function
_ZN7rocprim17ROCPRIM_400000_NS6detail17trampoline_kernelINS0_14default_configENS1_38merge_sort_block_merge_config_selectorIlNS0_10empty_typeEEEZZNS1_27merge_sort_block_merge_implIS3_PlPS5_mZN2at6native12_GLOBAL__N_124unique_dim_cuda_templateIN3c104HalfEEESt5tupleIJNSA_6TensorESH_SH_EERKSH_lbbbEUlllE_EE10hipError_tT0_T1_T2_jT3_P12ihipStream_tbPNSt15iterator_traitsISN_E10value_typeEPNST_ISO_E10value_typeEPSP_NS1_7vsmem_tEENKUlT_SN_SO_SP_E_clIS8_S8_S9_S9_EESM_S12_SN_SO_SP_EUlS12_E1_NS1_11comp_targetILNS1_3genE5ELNS1_11target_archE942ELNS1_3gpuE9ELNS1_3repE0EEENS1_36merge_oddeven_config_static_selectorELNS0_4arch9wavefront6targetE1EEEvSO_: ; @_ZN7rocprim17ROCPRIM_400000_NS6detail17trampoline_kernelINS0_14default_configENS1_38merge_sort_block_merge_config_selectorIlNS0_10empty_typeEEEZZNS1_27merge_sort_block_merge_implIS3_PlPS5_mZN2at6native12_GLOBAL__N_124unique_dim_cuda_templateIN3c104HalfEEESt5tupleIJNSA_6TensorESH_SH_EERKSH_lbbbEUlllE_EE10hipError_tT0_T1_T2_jT3_P12ihipStream_tbPNSt15iterator_traitsISN_E10value_typeEPNST_ISO_E10value_typeEPSP_NS1_7vsmem_tEENKUlT_SN_SO_SP_E_clIS8_S8_S9_S9_EESM_S12_SN_SO_SP_EUlS12_E1_NS1_11comp_targetILNS1_3genE5ELNS1_11target_archE942ELNS1_3gpuE9ELNS1_3repE0EEENS1_36merge_oddeven_config_static_selectorELNS0_4arch9wavefront6targetE1EEEvSO_
; %bb.0:
	s_load_dword s22, s[0:1], 0x20
	s_waitcnt lgkmcnt(0)
	s_lshr_b32 s3, s22, 8
	s_cmp_lg_u32 s2, s3
	s_cselect_b64 s[12:13], -1, 0
	s_cmp_eq_u32 s2, s3
	s_cselect_b64 s[18:19], -1, 0
	s_lshl_b32 s20, s2, 8
	s_sub_i32 s3, s22, s20
	v_cmp_gt_u32_e64 s[4:5], s3, v0
	s_or_b64 s[6:7], s[12:13], s[4:5]
	s_and_saveexec_b64 s[8:9], s[6:7]
	s_cbranch_execz .LBB1274_62
; %bb.1:
	s_load_dwordx4 s[8:11], s[0:1], 0x0
	s_load_dword s23, s[0:1], 0x28
	s_mov_b32 s21, 0
	s_lshl_b64 s[6:7], s[20:21], 3
	v_lshlrev_b32_e32 v1, 3, v0
	s_waitcnt lgkmcnt(0)
	s_add_u32 s6, s8, s6
	s_addc_u32 s7, s9, s7
	global_load_dwordx2 v[2:3], v1, s[6:7]
	s_lshr_b32 s3, s23, 8
	s_sub_i32 s6, 0, s3
	s_and_b32 s2, s2, s6
	s_and_b32 s3, s2, s3
	s_cmp_lg_u32 s3, 0
	s_cselect_b64 s[6:7], -1, 0
	s_lshl_b32 s21, s2, 8
	s_sub_i32 s2, 0, s23
	s_cmp_eq_u32 s3, 0
	s_cselect_b32 s33, s23, s2
	s_add_i32 s33, s33, s21
	s_cmp_lt_u32 s33, s22
	s_cbranch_scc1 .LBB1274_3
; %bb.2:
	v_add_u32_e32 v4, s20, v0
	v_cmp_gt_u32_e32 vcc, s22, v4
	s_or_b64 s[12:13], vcc, s[12:13]
	s_and_b64 s[16:17], s[12:13], exec
	s_cbranch_execz .LBB1274_4
	s_branch .LBB1274_60
.LBB1274_3:
	s_mov_b64 s[16:17], 0
                                        ; implicit-def: $vgpr4
.LBB1274_4:
	s_load_dwordx4 s[12:15], s[0:1], 0x30
	s_min_u32 s42, s33, s22
	s_add_i32 s0, s42, s23
	s_min_u32 s43, s0, s22
	s_min_u32 s0, s21, s42
	v_add_u32_e32 v0, s20, v0
	s_add_i32 s21, s21, s42
	v_subrev_u32_e32 v0, s21, v0
	v_add_u32_e32 v14, s0, v0
	s_and_b64 vcc, exec, s[18:19]
	s_cbranch_vccz .LBB1274_30
; %bb.5:
                                        ; implicit-def: $vgpr4
	s_and_saveexec_b64 s[18:19], s[4:5]
	s_cbranch_execz .LBB1274_33
; %bb.6:
	s_cmp_ge_u32 s33, s43
	v_mov_b32_e32 v15, s42
	s_cbranch_scc1 .LBB1274_32
; %bb.7:
	s_waitcnt vmcnt(0) lgkmcnt(0)
	v_mul_lo_u32 v0, v3, s12
	v_mul_lo_u32 v1, v2, s13
	v_mad_u64_u32 v[4:5], s[0:1], v2, s12, 0
	v_cndmask_b32_e64 v6, 0, 1, s[6:7]
	v_cmp_gt_i64_e64 s[2:3], s[12:13], 0
	v_add3_u32 v5, v5, v1, v0
	v_cmp_ne_u32_e64 s[0:1], 1, v6
	v_cndmask_b32_e64 v6, 0, 1, s[2:3]
	s_mov_b64 s[4:5], 0
	v_mov_b64_e32 v[0:1], s[14:15]
	v_lshl_add_u64 v[4:5], v[4:5], 1, s[14:15]
	s_lshl_b64 s[20:21], s[12:13], 1
	v_mov_b32_e32 v16, s43
	v_mov_b32_e32 v15, s42
	;; [unrolled: 1-line block ×3, first 2 shown]
	v_cmp_ne_u32_e64 s[2:3], 1, v6
	s_branch .LBB1274_10
.LBB1274_8:                             ;   in Loop: Header=BB1274_10 Depth=1
	s_or_b64 exec, exec, s[24:25]
.LBB1274_9:                             ;   in Loop: Header=BB1274_10 Depth=1
	s_waitcnt vmcnt(0)
	v_add_u32_e32 v8, 1, v6
	v_cndmask_b32_e64 v16, v6, v16, s[22:23]
	v_cndmask_b32_e64 v15, v15, v8, s[22:23]
	v_cmp_ge_u32_e32 vcc, v15, v16
	s_or_b64 s[4:5], vcc, s[4:5]
	s_andn2_b64 exec, exec, s[4:5]
	s_cbranch_execz .LBB1274_31
.LBB1274_10:                            ; =>This Loop Header: Depth=1
                                        ;     Child Loop BB1274_14 Depth 2
                                        ;     Child Loop BB1274_25 Depth 2
	v_add_u32_e32 v6, v15, v16
	v_lshrrev_b32_e32 v6, 1, v6
	v_lshl_add_u64 v[8:9], v[6:7], 3, s[8:9]
	global_load_dwordx2 v[8:9], v[8:9], off
	s_and_b64 vcc, exec, s[0:1]
	s_mov_b64 s[24:25], -1
                                        ; implicit-def: $sgpr22_sgpr23
	s_cbranch_vccnz .LBB1274_21
; %bb.11:                               ;   in Loop: Header=BB1274_10 Depth=1
	s_and_b64 vcc, exec, s[2:3]
	s_cbranch_vccnz .LBB1274_19
; %bb.12:                               ;   in Loop: Header=BB1274_10 Depth=1
	s_waitcnt vmcnt(0)
	v_mad_u64_u32 v[10:11], s[22:23], s20, v8, v[0:1]
	v_mul_lo_u32 v12, s20, v9
	v_mul_lo_u32 v13, s21, v8
	v_add3_u32 v11, v13, v11, v12
	s_mov_b64 s[24:25], 0
	s_mov_b64 s[28:29], s[12:13]
	v_mov_b64_e32 v[12:13], v[4:5]
                                        ; implicit-def: $sgpr22_sgpr23
                                        ; implicit-def: $sgpr26_sgpr27
                                        ; implicit-def: $sgpr30_sgpr31
	s_branch .LBB1274_14
.LBB1274_13:                            ;   in Loop: Header=BB1274_14 Depth=2
	s_or_b64 exec, exec, s[38:39]
	s_and_b64 s[34:35], exec, s[34:35]
	s_or_b64 s[24:25], s[34:35], s[24:25]
	s_andn2_b64 s[22:23], s[22:23], exec
	s_and_b64 s[34:35], s[26:27], exec
	s_or_b64 s[22:23], s[22:23], s[34:35]
	s_andn2_b64 exec, exec, s[24:25]
	s_cbranch_execz .LBB1274_18
.LBB1274_14:                            ;   Parent Loop BB1274_10 Depth=1
                                        ; =>  This Inner Loop Header: Depth=2
	global_load_ushort v17, v[12:13], off
	global_load_ushort v18, v[10:11], off
	s_mov_b64 s[34:35], -1
	s_mov_b64 s[40:41], 0
	s_mov_b64 s[36:37], -1
	s_waitcnt vmcnt(0)
	v_cmp_nlt_f16_e32 vcc, v17, v18
	s_and_saveexec_b64 s[38:39], vcc
; %bb.15:                               ;   in Loop: Header=BB1274_14 Depth=2
	v_cmp_ngt_f16_e32 vcc, v17, v18
	s_and_b64 s[30:31], vcc, s[30:31]
	s_orn2_b64 s[36:37], s[30:31], exec
	s_and_b64 s[40:41], vcc, exec
; %bb.16:                               ;   in Loop: Header=BB1274_14 Depth=2
	s_or_b64 exec, exec, s[38:39]
	s_andn2_b64 s[26:27], s[26:27], exec
	s_and_b64 s[30:31], s[36:37], exec
	s_or_b64 s[26:27], s[26:27], s[30:31]
                                        ; implicit-def: $sgpr30_sgpr31
	s_and_saveexec_b64 s[38:39], s[40:41]
	s_cbranch_execz .LBB1274_13
; %bb.17:                               ;   in Loop: Header=BB1274_14 Depth=2
	s_add_u32 s28, s28, -1
	s_addc_u32 s29, s29, -1
	s_cmp_eq_u64 s[28:29], 0
	s_cselect_b64 s[34:35], -1, 0
	v_lshl_add_u64 v[12:13], v[12:13], 0, 2
	v_lshl_add_u64 v[10:11], v[10:11], 0, 2
	s_andn2_b64 s[26:27], s[26:27], exec
	s_and_b64 s[30:31], s[36:37], exec
	s_orn2_b64 s[34:35], s[34:35], exec
	s_branch .LBB1274_13
.LBB1274_18:                            ;   in Loop: Header=BB1274_10 Depth=1
	s_or_b64 exec, exec, s[24:25]
	s_branch .LBB1274_20
.LBB1274_19:                            ;   in Loop: Header=BB1274_10 Depth=1
	s_mov_b64 s[22:23], 0
.LBB1274_20:                            ;   in Loop: Header=BB1274_10 Depth=1
	s_xor_b64 s[22:23], s[22:23], -1
	s_mov_b64 s[24:25], 0
.LBB1274_21:                            ;   in Loop: Header=BB1274_10 Depth=1
	s_and_b64 vcc, exec, s[24:25]
	s_cbranch_vccz .LBB1274_9
; %bb.22:                               ;   in Loop: Header=BB1274_10 Depth=1
	s_and_b64 vcc, exec, s[2:3]
	s_cbranch_vccnz .LBB1274_29
; %bb.23:                               ;   in Loop: Header=BB1274_10 Depth=1
	s_waitcnt vmcnt(0)
	v_mad_u64_u32 v[10:11], s[22:23], s20, v8, v[0:1]
	v_mul_lo_u32 v9, s20, v9
	v_mul_lo_u32 v8, s21, v8
	v_add3_u32 v11, v8, v11, v9
	s_mov_b64 s[24:25], 0
	s_mov_b64 s[28:29], s[12:13]
	v_mov_b64_e32 v[8:9], v[4:5]
                                        ; implicit-def: $sgpr22_sgpr23
                                        ; implicit-def: $sgpr26_sgpr27
                                        ; implicit-def: $sgpr30_sgpr31
	s_branch .LBB1274_25
.LBB1274_24:                            ;   in Loop: Header=BB1274_25 Depth=2
	s_or_b64 exec, exec, s[38:39]
	s_and_b64 s[34:35], exec, s[34:35]
	s_or_b64 s[24:25], s[34:35], s[24:25]
	s_andn2_b64 s[22:23], s[22:23], exec
	s_and_b64 s[34:35], s[26:27], exec
	s_or_b64 s[22:23], s[22:23], s[34:35]
	s_andn2_b64 exec, exec, s[24:25]
	s_cbranch_execz .LBB1274_8
.LBB1274_25:                            ;   Parent Loop BB1274_10 Depth=1
                                        ; =>  This Inner Loop Header: Depth=2
	global_load_ushort v12, v[10:11], off
	global_load_ushort v13, v[8:9], off
	s_mov_b64 s[34:35], -1
	s_mov_b64 s[40:41], 0
	s_mov_b64 s[36:37], -1
	s_waitcnt vmcnt(0)
	v_cmp_nlt_f16_e32 vcc, v12, v13
	s_and_saveexec_b64 s[38:39], vcc
; %bb.26:                               ;   in Loop: Header=BB1274_25 Depth=2
	v_cmp_ngt_f16_e32 vcc, v12, v13
	s_and_b64 s[30:31], vcc, s[30:31]
	s_orn2_b64 s[36:37], s[30:31], exec
	s_and_b64 s[40:41], vcc, exec
; %bb.27:                               ;   in Loop: Header=BB1274_25 Depth=2
	s_or_b64 exec, exec, s[38:39]
	s_andn2_b64 s[26:27], s[26:27], exec
	s_and_b64 s[30:31], s[36:37], exec
	s_or_b64 s[26:27], s[26:27], s[30:31]
                                        ; implicit-def: $sgpr30_sgpr31
	s_and_saveexec_b64 s[38:39], s[40:41]
	s_cbranch_execz .LBB1274_24
; %bb.28:                               ;   in Loop: Header=BB1274_25 Depth=2
	s_add_u32 s28, s28, -1
	s_addc_u32 s29, s29, -1
	s_cmp_eq_u64 s[28:29], 0
	s_cselect_b64 s[34:35], -1, 0
	v_lshl_add_u64 v[10:11], v[10:11], 0, 2
	v_lshl_add_u64 v[8:9], v[8:9], 0, 2
	s_andn2_b64 s[26:27], s[26:27], exec
	s_and_b64 s[30:31], s[36:37], exec
	s_orn2_b64 s[34:35], s[34:35], exec
	s_branch .LBB1274_24
.LBB1274_29:                            ;   in Loop: Header=BB1274_10 Depth=1
	s_mov_b64 s[22:23], 0
	s_branch .LBB1274_9
.LBB1274_30:
                                        ; implicit-def: $vgpr4
	s_cbranch_execnz .LBB1274_34
	s_branch .LBB1274_60
.LBB1274_31:
	s_or_b64 exec, exec, s[4:5]
.LBB1274_32:
	v_add_u32_e32 v4, v15, v14
	s_or_b64 s[16:17], s[16:17], exec
.LBB1274_33:
	s_or_b64 exec, exec, s[18:19]
	s_branch .LBB1274_60
.LBB1274_34:
	s_cmp_ge_u32 s33, s43
	v_mov_b32_e32 v15, s42
	s_cbranch_scc1 .LBB1274_59
; %bb.35:
	s_waitcnt vmcnt(0) lgkmcnt(0)
	v_mul_lo_u32 v0, v3, s12
	v_mul_lo_u32 v1, v2, s13
	v_mad_u64_u32 v[4:5], s[0:1], v2, s12, 0
	v_cndmask_b32_e64 v6, 0, 1, s[6:7]
	v_cmp_gt_i64_e64 s[2:3], s[12:13], 0
	v_add3_u32 v5, v5, v1, v0
	v_cmp_ne_u32_e64 s[0:1], 1, v6
	v_cndmask_b32_e64 v6, 0, 1, s[2:3]
	s_mov_b64 s[4:5], 0
	v_mov_b64_e32 v[0:1], s[14:15]
	v_lshl_add_u64 v[4:5], v[4:5], 1, s[14:15]
	s_lshl_b64 s[14:15], s[12:13], 1
	v_mov_b32_e32 v16, s43
	v_mov_b32_e32 v15, s42
	v_mov_b32_e32 v7, 0
	v_cmp_ne_u32_e64 s[2:3], 1, v6
	s_branch .LBB1274_38
.LBB1274_36:                            ;   in Loop: Header=BB1274_38 Depth=1
	s_or_b64 exec, exec, s[16:17]
.LBB1274_37:                            ;   in Loop: Header=BB1274_38 Depth=1
	s_waitcnt vmcnt(0)
	v_add_u32_e32 v8, 1, v6
	v_cndmask_b32_e64 v16, v6, v16, s[6:7]
	v_cndmask_b32_e64 v15, v15, v8, s[6:7]
	v_cmp_ge_u32_e32 vcc, v15, v16
	s_or_b64 s[4:5], vcc, s[4:5]
	s_andn2_b64 exec, exec, s[4:5]
	s_cbranch_execz .LBB1274_58
.LBB1274_38:                            ; =>This Loop Header: Depth=1
                                        ;     Child Loop BB1274_42 Depth 2
                                        ;     Child Loop BB1274_53 Depth 2
	v_add_u32_e32 v6, v15, v16
	v_lshrrev_b32_e32 v6, 1, v6
	v_lshl_add_u64 v[8:9], v[6:7], 3, s[8:9]
	global_load_dwordx2 v[8:9], v[8:9], off
	s_and_b64 vcc, exec, s[0:1]
	s_mov_b64 s[16:17], -1
                                        ; implicit-def: $sgpr6_sgpr7
	s_cbranch_vccnz .LBB1274_49
; %bb.39:                               ;   in Loop: Header=BB1274_38 Depth=1
	s_and_b64 vcc, exec, s[2:3]
	s_cbranch_vccnz .LBB1274_47
; %bb.40:                               ;   in Loop: Header=BB1274_38 Depth=1
	s_waitcnt vmcnt(0)
	v_mad_u64_u32 v[10:11], s[6:7], s14, v8, v[0:1]
	v_mul_lo_u32 v12, s14, v9
	v_mul_lo_u32 v13, s15, v8
	v_add3_u32 v11, v13, v11, v12
	s_mov_b64 s[16:17], 0
	s_mov_b64 s[20:21], s[12:13]
	v_mov_b64_e32 v[12:13], v[4:5]
                                        ; implicit-def: $sgpr6_sgpr7
                                        ; implicit-def: $sgpr18_sgpr19
                                        ; implicit-def: $sgpr22_sgpr23
	s_branch .LBB1274_42
.LBB1274_41:                            ;   in Loop: Header=BB1274_42 Depth=2
	s_or_b64 exec, exec, s[28:29]
	s_and_b64 s[24:25], exec, s[24:25]
	s_or_b64 s[16:17], s[24:25], s[16:17]
	s_andn2_b64 s[6:7], s[6:7], exec
	s_and_b64 s[24:25], s[18:19], exec
	s_or_b64 s[6:7], s[6:7], s[24:25]
	s_andn2_b64 exec, exec, s[16:17]
	s_cbranch_execz .LBB1274_46
.LBB1274_42:                            ;   Parent Loop BB1274_38 Depth=1
                                        ; =>  This Inner Loop Header: Depth=2
	global_load_ushort v17, v[12:13], off
	global_load_ushort v18, v[10:11], off
	s_mov_b64 s[24:25], -1
	s_mov_b64 s[30:31], 0
	s_mov_b64 s[26:27], -1
	s_waitcnt vmcnt(0)
	v_cmp_nlt_f16_e32 vcc, v17, v18
	s_and_saveexec_b64 s[28:29], vcc
; %bb.43:                               ;   in Loop: Header=BB1274_42 Depth=2
	v_cmp_ngt_f16_e32 vcc, v17, v18
	s_and_b64 s[22:23], vcc, s[22:23]
	s_orn2_b64 s[26:27], s[22:23], exec
	s_and_b64 s[30:31], vcc, exec
; %bb.44:                               ;   in Loop: Header=BB1274_42 Depth=2
	s_or_b64 exec, exec, s[28:29]
	s_andn2_b64 s[18:19], s[18:19], exec
	s_and_b64 s[22:23], s[26:27], exec
	s_or_b64 s[18:19], s[18:19], s[22:23]
                                        ; implicit-def: $sgpr22_sgpr23
	s_and_saveexec_b64 s[28:29], s[30:31]
	s_cbranch_execz .LBB1274_41
; %bb.45:                               ;   in Loop: Header=BB1274_42 Depth=2
	s_add_u32 s20, s20, -1
	s_addc_u32 s21, s21, -1
	s_cmp_eq_u64 s[20:21], 0
	s_cselect_b64 s[24:25], -1, 0
	v_lshl_add_u64 v[12:13], v[12:13], 0, 2
	v_lshl_add_u64 v[10:11], v[10:11], 0, 2
	s_andn2_b64 s[18:19], s[18:19], exec
	s_and_b64 s[22:23], s[26:27], exec
	s_orn2_b64 s[24:25], s[24:25], exec
	s_branch .LBB1274_41
.LBB1274_46:                            ;   in Loop: Header=BB1274_38 Depth=1
	s_or_b64 exec, exec, s[16:17]
	s_branch .LBB1274_48
.LBB1274_47:                            ;   in Loop: Header=BB1274_38 Depth=1
	s_mov_b64 s[6:7], 0
.LBB1274_48:                            ;   in Loop: Header=BB1274_38 Depth=1
	s_xor_b64 s[6:7], s[6:7], -1
	s_mov_b64 s[16:17], 0
.LBB1274_49:                            ;   in Loop: Header=BB1274_38 Depth=1
	s_and_b64 vcc, exec, s[16:17]
	s_cbranch_vccz .LBB1274_37
; %bb.50:                               ;   in Loop: Header=BB1274_38 Depth=1
	s_and_b64 vcc, exec, s[2:3]
	s_cbranch_vccnz .LBB1274_57
; %bb.51:                               ;   in Loop: Header=BB1274_38 Depth=1
	s_waitcnt vmcnt(0)
	v_mad_u64_u32 v[10:11], s[6:7], s14, v8, v[0:1]
	v_mul_lo_u32 v9, s14, v9
	v_mul_lo_u32 v8, s15, v8
	v_add3_u32 v11, v8, v11, v9
	s_mov_b64 s[16:17], 0
	s_mov_b64 s[20:21], s[12:13]
	v_mov_b64_e32 v[8:9], v[4:5]
                                        ; implicit-def: $sgpr6_sgpr7
                                        ; implicit-def: $sgpr18_sgpr19
                                        ; implicit-def: $sgpr22_sgpr23
	s_branch .LBB1274_53
.LBB1274_52:                            ;   in Loop: Header=BB1274_53 Depth=2
	s_or_b64 exec, exec, s[28:29]
	s_and_b64 s[24:25], exec, s[24:25]
	s_or_b64 s[16:17], s[24:25], s[16:17]
	s_andn2_b64 s[6:7], s[6:7], exec
	s_and_b64 s[24:25], s[18:19], exec
	s_or_b64 s[6:7], s[6:7], s[24:25]
	s_andn2_b64 exec, exec, s[16:17]
	s_cbranch_execz .LBB1274_36
.LBB1274_53:                            ;   Parent Loop BB1274_38 Depth=1
                                        ; =>  This Inner Loop Header: Depth=2
	global_load_ushort v12, v[10:11], off
	global_load_ushort v13, v[8:9], off
	s_mov_b64 s[24:25], -1
	s_mov_b64 s[30:31], 0
	s_mov_b64 s[26:27], -1
	s_waitcnt vmcnt(0)
	v_cmp_nlt_f16_e32 vcc, v12, v13
	s_and_saveexec_b64 s[28:29], vcc
; %bb.54:                               ;   in Loop: Header=BB1274_53 Depth=2
	v_cmp_ngt_f16_e32 vcc, v12, v13
	s_and_b64 s[22:23], vcc, s[22:23]
	s_orn2_b64 s[26:27], s[22:23], exec
	s_and_b64 s[30:31], vcc, exec
; %bb.55:                               ;   in Loop: Header=BB1274_53 Depth=2
	s_or_b64 exec, exec, s[28:29]
	s_andn2_b64 s[18:19], s[18:19], exec
	s_and_b64 s[22:23], s[26:27], exec
	s_or_b64 s[18:19], s[18:19], s[22:23]
                                        ; implicit-def: $sgpr22_sgpr23
	s_and_saveexec_b64 s[28:29], s[30:31]
	s_cbranch_execz .LBB1274_52
; %bb.56:                               ;   in Loop: Header=BB1274_53 Depth=2
	s_add_u32 s20, s20, -1
	s_addc_u32 s21, s21, -1
	s_cmp_eq_u64 s[20:21], 0
	s_cselect_b64 s[24:25], -1, 0
	v_lshl_add_u64 v[10:11], v[10:11], 0, 2
	v_lshl_add_u64 v[8:9], v[8:9], 0, 2
	s_andn2_b64 s[18:19], s[18:19], exec
	s_and_b64 s[22:23], s[26:27], exec
	s_orn2_b64 s[24:25], s[24:25], exec
	s_branch .LBB1274_52
.LBB1274_57:                            ;   in Loop: Header=BB1274_38 Depth=1
	s_mov_b64 s[6:7], 0
	s_branch .LBB1274_37
.LBB1274_58:
	s_or_b64 exec, exec, s[4:5]
.LBB1274_59:
	v_add_u32_e32 v4, v15, v14
	s_mov_b64 s[16:17], -1
.LBB1274_60:
	s_and_b64 exec, exec, s[16:17]
	s_cbranch_execz .LBB1274_62
; %bb.61:
	v_mov_b32_e32 v0, s10
	v_mov_b32_e32 v1, s11
	;; [unrolled: 1-line block ×3, first 2 shown]
	v_lshl_add_u64 v[0:1], v[4:5], 3, v[0:1]
	s_waitcnt vmcnt(0)
	global_store_dwordx2 v[0:1], v[2:3], off
.LBB1274_62:
	s_endpgm
	.section	.rodata,"a",@progbits
	.p2align	6, 0x0
	.amdhsa_kernel _ZN7rocprim17ROCPRIM_400000_NS6detail17trampoline_kernelINS0_14default_configENS1_38merge_sort_block_merge_config_selectorIlNS0_10empty_typeEEEZZNS1_27merge_sort_block_merge_implIS3_PlPS5_mZN2at6native12_GLOBAL__N_124unique_dim_cuda_templateIN3c104HalfEEESt5tupleIJNSA_6TensorESH_SH_EERKSH_lbbbEUlllE_EE10hipError_tT0_T1_T2_jT3_P12ihipStream_tbPNSt15iterator_traitsISN_E10value_typeEPNST_ISO_E10value_typeEPSP_NS1_7vsmem_tEENKUlT_SN_SO_SP_E_clIS8_S8_S9_S9_EESM_S12_SN_SO_SP_EUlS12_E1_NS1_11comp_targetILNS1_3genE5ELNS1_11target_archE942ELNS1_3gpuE9ELNS1_3repE0EEENS1_36merge_oddeven_config_static_selectorELNS0_4arch9wavefront6targetE1EEEvSO_
		.amdhsa_group_segment_fixed_size 0
		.amdhsa_private_segment_fixed_size 0
		.amdhsa_kernarg_size 64
		.amdhsa_user_sgpr_count 2
		.amdhsa_user_sgpr_dispatch_ptr 0
		.amdhsa_user_sgpr_queue_ptr 0
		.amdhsa_user_sgpr_kernarg_segment_ptr 1
		.amdhsa_user_sgpr_dispatch_id 0
		.amdhsa_user_sgpr_kernarg_preload_length 0
		.amdhsa_user_sgpr_kernarg_preload_offset 0
		.amdhsa_user_sgpr_private_segment_size 0
		.amdhsa_uses_dynamic_stack 0
		.amdhsa_enable_private_segment 0
		.amdhsa_system_sgpr_workgroup_id_x 1
		.amdhsa_system_sgpr_workgroup_id_y 0
		.amdhsa_system_sgpr_workgroup_id_z 0
		.amdhsa_system_sgpr_workgroup_info 0
		.amdhsa_system_vgpr_workitem_id 0
		.amdhsa_next_free_vgpr 19
		.amdhsa_next_free_sgpr 44
		.amdhsa_accum_offset 20
		.amdhsa_reserve_vcc 1
		.amdhsa_float_round_mode_32 0
		.amdhsa_float_round_mode_16_64 0
		.amdhsa_float_denorm_mode_32 3
		.amdhsa_float_denorm_mode_16_64 3
		.amdhsa_dx10_clamp 1
		.amdhsa_ieee_mode 1
		.amdhsa_fp16_overflow 0
		.amdhsa_tg_split 0
		.amdhsa_exception_fp_ieee_invalid_op 0
		.amdhsa_exception_fp_denorm_src 0
		.amdhsa_exception_fp_ieee_div_zero 0
		.amdhsa_exception_fp_ieee_overflow 0
		.amdhsa_exception_fp_ieee_underflow 0
		.amdhsa_exception_fp_ieee_inexact 0
		.amdhsa_exception_int_div_zero 0
	.end_amdhsa_kernel
	.section	.text._ZN7rocprim17ROCPRIM_400000_NS6detail17trampoline_kernelINS0_14default_configENS1_38merge_sort_block_merge_config_selectorIlNS0_10empty_typeEEEZZNS1_27merge_sort_block_merge_implIS3_PlPS5_mZN2at6native12_GLOBAL__N_124unique_dim_cuda_templateIN3c104HalfEEESt5tupleIJNSA_6TensorESH_SH_EERKSH_lbbbEUlllE_EE10hipError_tT0_T1_T2_jT3_P12ihipStream_tbPNSt15iterator_traitsISN_E10value_typeEPNST_ISO_E10value_typeEPSP_NS1_7vsmem_tEENKUlT_SN_SO_SP_E_clIS8_S8_S9_S9_EESM_S12_SN_SO_SP_EUlS12_E1_NS1_11comp_targetILNS1_3genE5ELNS1_11target_archE942ELNS1_3gpuE9ELNS1_3repE0EEENS1_36merge_oddeven_config_static_selectorELNS0_4arch9wavefront6targetE1EEEvSO_,"axG",@progbits,_ZN7rocprim17ROCPRIM_400000_NS6detail17trampoline_kernelINS0_14default_configENS1_38merge_sort_block_merge_config_selectorIlNS0_10empty_typeEEEZZNS1_27merge_sort_block_merge_implIS3_PlPS5_mZN2at6native12_GLOBAL__N_124unique_dim_cuda_templateIN3c104HalfEEESt5tupleIJNSA_6TensorESH_SH_EERKSH_lbbbEUlllE_EE10hipError_tT0_T1_T2_jT3_P12ihipStream_tbPNSt15iterator_traitsISN_E10value_typeEPNST_ISO_E10value_typeEPSP_NS1_7vsmem_tEENKUlT_SN_SO_SP_E_clIS8_S8_S9_S9_EESM_S12_SN_SO_SP_EUlS12_E1_NS1_11comp_targetILNS1_3genE5ELNS1_11target_archE942ELNS1_3gpuE9ELNS1_3repE0EEENS1_36merge_oddeven_config_static_selectorELNS0_4arch9wavefront6targetE1EEEvSO_,comdat
.Lfunc_end1274:
	.size	_ZN7rocprim17ROCPRIM_400000_NS6detail17trampoline_kernelINS0_14default_configENS1_38merge_sort_block_merge_config_selectorIlNS0_10empty_typeEEEZZNS1_27merge_sort_block_merge_implIS3_PlPS5_mZN2at6native12_GLOBAL__N_124unique_dim_cuda_templateIN3c104HalfEEESt5tupleIJNSA_6TensorESH_SH_EERKSH_lbbbEUlllE_EE10hipError_tT0_T1_T2_jT3_P12ihipStream_tbPNSt15iterator_traitsISN_E10value_typeEPNST_ISO_E10value_typeEPSP_NS1_7vsmem_tEENKUlT_SN_SO_SP_E_clIS8_S8_S9_S9_EESM_S12_SN_SO_SP_EUlS12_E1_NS1_11comp_targetILNS1_3genE5ELNS1_11target_archE942ELNS1_3gpuE9ELNS1_3repE0EEENS1_36merge_oddeven_config_static_selectorELNS0_4arch9wavefront6targetE1EEEvSO_, .Lfunc_end1274-_ZN7rocprim17ROCPRIM_400000_NS6detail17trampoline_kernelINS0_14default_configENS1_38merge_sort_block_merge_config_selectorIlNS0_10empty_typeEEEZZNS1_27merge_sort_block_merge_implIS3_PlPS5_mZN2at6native12_GLOBAL__N_124unique_dim_cuda_templateIN3c104HalfEEESt5tupleIJNSA_6TensorESH_SH_EERKSH_lbbbEUlllE_EE10hipError_tT0_T1_T2_jT3_P12ihipStream_tbPNSt15iterator_traitsISN_E10value_typeEPNST_ISO_E10value_typeEPSP_NS1_7vsmem_tEENKUlT_SN_SO_SP_E_clIS8_S8_S9_S9_EESM_S12_SN_SO_SP_EUlS12_E1_NS1_11comp_targetILNS1_3genE5ELNS1_11target_archE942ELNS1_3gpuE9ELNS1_3repE0EEENS1_36merge_oddeven_config_static_selectorELNS0_4arch9wavefront6targetE1EEEvSO_
                                        ; -- End function
	.section	.AMDGPU.csdata,"",@progbits
; Kernel info:
; codeLenInByte = 1688
; NumSgprs: 50
; NumVgprs: 19
; NumAgprs: 0
; TotalNumVgprs: 19
; ScratchSize: 0
; MemoryBound: 0
; FloatMode: 240
; IeeeMode: 1
; LDSByteSize: 0 bytes/workgroup (compile time only)
; SGPRBlocks: 6
; VGPRBlocks: 2
; NumSGPRsForWavesPerEU: 50
; NumVGPRsForWavesPerEU: 19
; AccumOffset: 20
; Occupancy: 8
; WaveLimiterHint : 0
; COMPUTE_PGM_RSRC2:SCRATCH_EN: 0
; COMPUTE_PGM_RSRC2:USER_SGPR: 2
; COMPUTE_PGM_RSRC2:TRAP_HANDLER: 0
; COMPUTE_PGM_RSRC2:TGID_X_EN: 1
; COMPUTE_PGM_RSRC2:TGID_Y_EN: 0
; COMPUTE_PGM_RSRC2:TGID_Z_EN: 0
; COMPUTE_PGM_RSRC2:TIDIG_COMP_CNT: 0
; COMPUTE_PGM_RSRC3_GFX90A:ACCUM_OFFSET: 4
; COMPUTE_PGM_RSRC3_GFX90A:TG_SPLIT: 0
	.section	.text._ZN7rocprim17ROCPRIM_400000_NS6detail17trampoline_kernelINS0_14default_configENS1_38merge_sort_block_merge_config_selectorIlNS0_10empty_typeEEEZZNS1_27merge_sort_block_merge_implIS3_PlPS5_mZN2at6native12_GLOBAL__N_124unique_dim_cuda_templateIN3c104HalfEEESt5tupleIJNSA_6TensorESH_SH_EERKSH_lbbbEUlllE_EE10hipError_tT0_T1_T2_jT3_P12ihipStream_tbPNSt15iterator_traitsISN_E10value_typeEPNST_ISO_E10value_typeEPSP_NS1_7vsmem_tEENKUlT_SN_SO_SP_E_clIS8_S8_S9_S9_EESM_S12_SN_SO_SP_EUlS12_E1_NS1_11comp_targetILNS1_3genE4ELNS1_11target_archE910ELNS1_3gpuE8ELNS1_3repE0EEENS1_36merge_oddeven_config_static_selectorELNS0_4arch9wavefront6targetE1EEEvSO_,"axG",@progbits,_ZN7rocprim17ROCPRIM_400000_NS6detail17trampoline_kernelINS0_14default_configENS1_38merge_sort_block_merge_config_selectorIlNS0_10empty_typeEEEZZNS1_27merge_sort_block_merge_implIS3_PlPS5_mZN2at6native12_GLOBAL__N_124unique_dim_cuda_templateIN3c104HalfEEESt5tupleIJNSA_6TensorESH_SH_EERKSH_lbbbEUlllE_EE10hipError_tT0_T1_T2_jT3_P12ihipStream_tbPNSt15iterator_traitsISN_E10value_typeEPNST_ISO_E10value_typeEPSP_NS1_7vsmem_tEENKUlT_SN_SO_SP_E_clIS8_S8_S9_S9_EESM_S12_SN_SO_SP_EUlS12_E1_NS1_11comp_targetILNS1_3genE4ELNS1_11target_archE910ELNS1_3gpuE8ELNS1_3repE0EEENS1_36merge_oddeven_config_static_selectorELNS0_4arch9wavefront6targetE1EEEvSO_,comdat
	.globl	_ZN7rocprim17ROCPRIM_400000_NS6detail17trampoline_kernelINS0_14default_configENS1_38merge_sort_block_merge_config_selectorIlNS0_10empty_typeEEEZZNS1_27merge_sort_block_merge_implIS3_PlPS5_mZN2at6native12_GLOBAL__N_124unique_dim_cuda_templateIN3c104HalfEEESt5tupleIJNSA_6TensorESH_SH_EERKSH_lbbbEUlllE_EE10hipError_tT0_T1_T2_jT3_P12ihipStream_tbPNSt15iterator_traitsISN_E10value_typeEPNST_ISO_E10value_typeEPSP_NS1_7vsmem_tEENKUlT_SN_SO_SP_E_clIS8_S8_S9_S9_EESM_S12_SN_SO_SP_EUlS12_E1_NS1_11comp_targetILNS1_3genE4ELNS1_11target_archE910ELNS1_3gpuE8ELNS1_3repE0EEENS1_36merge_oddeven_config_static_selectorELNS0_4arch9wavefront6targetE1EEEvSO_ ; -- Begin function _ZN7rocprim17ROCPRIM_400000_NS6detail17trampoline_kernelINS0_14default_configENS1_38merge_sort_block_merge_config_selectorIlNS0_10empty_typeEEEZZNS1_27merge_sort_block_merge_implIS3_PlPS5_mZN2at6native12_GLOBAL__N_124unique_dim_cuda_templateIN3c104HalfEEESt5tupleIJNSA_6TensorESH_SH_EERKSH_lbbbEUlllE_EE10hipError_tT0_T1_T2_jT3_P12ihipStream_tbPNSt15iterator_traitsISN_E10value_typeEPNST_ISO_E10value_typeEPSP_NS1_7vsmem_tEENKUlT_SN_SO_SP_E_clIS8_S8_S9_S9_EESM_S12_SN_SO_SP_EUlS12_E1_NS1_11comp_targetILNS1_3genE4ELNS1_11target_archE910ELNS1_3gpuE8ELNS1_3repE0EEENS1_36merge_oddeven_config_static_selectorELNS0_4arch9wavefront6targetE1EEEvSO_
	.p2align	8
	.type	_ZN7rocprim17ROCPRIM_400000_NS6detail17trampoline_kernelINS0_14default_configENS1_38merge_sort_block_merge_config_selectorIlNS0_10empty_typeEEEZZNS1_27merge_sort_block_merge_implIS3_PlPS5_mZN2at6native12_GLOBAL__N_124unique_dim_cuda_templateIN3c104HalfEEESt5tupleIJNSA_6TensorESH_SH_EERKSH_lbbbEUlllE_EE10hipError_tT0_T1_T2_jT3_P12ihipStream_tbPNSt15iterator_traitsISN_E10value_typeEPNST_ISO_E10value_typeEPSP_NS1_7vsmem_tEENKUlT_SN_SO_SP_E_clIS8_S8_S9_S9_EESM_S12_SN_SO_SP_EUlS12_E1_NS1_11comp_targetILNS1_3genE4ELNS1_11target_archE910ELNS1_3gpuE8ELNS1_3repE0EEENS1_36merge_oddeven_config_static_selectorELNS0_4arch9wavefront6targetE1EEEvSO_,@function
_ZN7rocprim17ROCPRIM_400000_NS6detail17trampoline_kernelINS0_14default_configENS1_38merge_sort_block_merge_config_selectorIlNS0_10empty_typeEEEZZNS1_27merge_sort_block_merge_implIS3_PlPS5_mZN2at6native12_GLOBAL__N_124unique_dim_cuda_templateIN3c104HalfEEESt5tupleIJNSA_6TensorESH_SH_EERKSH_lbbbEUlllE_EE10hipError_tT0_T1_T2_jT3_P12ihipStream_tbPNSt15iterator_traitsISN_E10value_typeEPNST_ISO_E10value_typeEPSP_NS1_7vsmem_tEENKUlT_SN_SO_SP_E_clIS8_S8_S9_S9_EESM_S12_SN_SO_SP_EUlS12_E1_NS1_11comp_targetILNS1_3genE4ELNS1_11target_archE910ELNS1_3gpuE8ELNS1_3repE0EEENS1_36merge_oddeven_config_static_selectorELNS0_4arch9wavefront6targetE1EEEvSO_: ; @_ZN7rocprim17ROCPRIM_400000_NS6detail17trampoline_kernelINS0_14default_configENS1_38merge_sort_block_merge_config_selectorIlNS0_10empty_typeEEEZZNS1_27merge_sort_block_merge_implIS3_PlPS5_mZN2at6native12_GLOBAL__N_124unique_dim_cuda_templateIN3c104HalfEEESt5tupleIJNSA_6TensorESH_SH_EERKSH_lbbbEUlllE_EE10hipError_tT0_T1_T2_jT3_P12ihipStream_tbPNSt15iterator_traitsISN_E10value_typeEPNST_ISO_E10value_typeEPSP_NS1_7vsmem_tEENKUlT_SN_SO_SP_E_clIS8_S8_S9_S9_EESM_S12_SN_SO_SP_EUlS12_E1_NS1_11comp_targetILNS1_3genE4ELNS1_11target_archE910ELNS1_3gpuE8ELNS1_3repE0EEENS1_36merge_oddeven_config_static_selectorELNS0_4arch9wavefront6targetE1EEEvSO_
; %bb.0:
	.section	.rodata,"a",@progbits
	.p2align	6, 0x0
	.amdhsa_kernel _ZN7rocprim17ROCPRIM_400000_NS6detail17trampoline_kernelINS0_14default_configENS1_38merge_sort_block_merge_config_selectorIlNS0_10empty_typeEEEZZNS1_27merge_sort_block_merge_implIS3_PlPS5_mZN2at6native12_GLOBAL__N_124unique_dim_cuda_templateIN3c104HalfEEESt5tupleIJNSA_6TensorESH_SH_EERKSH_lbbbEUlllE_EE10hipError_tT0_T1_T2_jT3_P12ihipStream_tbPNSt15iterator_traitsISN_E10value_typeEPNST_ISO_E10value_typeEPSP_NS1_7vsmem_tEENKUlT_SN_SO_SP_E_clIS8_S8_S9_S9_EESM_S12_SN_SO_SP_EUlS12_E1_NS1_11comp_targetILNS1_3genE4ELNS1_11target_archE910ELNS1_3gpuE8ELNS1_3repE0EEENS1_36merge_oddeven_config_static_selectorELNS0_4arch9wavefront6targetE1EEEvSO_
		.amdhsa_group_segment_fixed_size 0
		.amdhsa_private_segment_fixed_size 0
		.amdhsa_kernarg_size 64
		.amdhsa_user_sgpr_count 2
		.amdhsa_user_sgpr_dispatch_ptr 0
		.amdhsa_user_sgpr_queue_ptr 0
		.amdhsa_user_sgpr_kernarg_segment_ptr 1
		.amdhsa_user_sgpr_dispatch_id 0
		.amdhsa_user_sgpr_kernarg_preload_length 0
		.amdhsa_user_sgpr_kernarg_preload_offset 0
		.amdhsa_user_sgpr_private_segment_size 0
		.amdhsa_uses_dynamic_stack 0
		.amdhsa_enable_private_segment 0
		.amdhsa_system_sgpr_workgroup_id_x 1
		.amdhsa_system_sgpr_workgroup_id_y 0
		.amdhsa_system_sgpr_workgroup_id_z 0
		.amdhsa_system_sgpr_workgroup_info 0
		.amdhsa_system_vgpr_workitem_id 0
		.amdhsa_next_free_vgpr 1
		.amdhsa_next_free_sgpr 0
		.amdhsa_accum_offset 4
		.amdhsa_reserve_vcc 0
		.amdhsa_float_round_mode_32 0
		.amdhsa_float_round_mode_16_64 0
		.amdhsa_float_denorm_mode_32 3
		.amdhsa_float_denorm_mode_16_64 3
		.amdhsa_dx10_clamp 1
		.amdhsa_ieee_mode 1
		.amdhsa_fp16_overflow 0
		.amdhsa_tg_split 0
		.amdhsa_exception_fp_ieee_invalid_op 0
		.amdhsa_exception_fp_denorm_src 0
		.amdhsa_exception_fp_ieee_div_zero 0
		.amdhsa_exception_fp_ieee_overflow 0
		.amdhsa_exception_fp_ieee_underflow 0
		.amdhsa_exception_fp_ieee_inexact 0
		.amdhsa_exception_int_div_zero 0
	.end_amdhsa_kernel
	.section	.text._ZN7rocprim17ROCPRIM_400000_NS6detail17trampoline_kernelINS0_14default_configENS1_38merge_sort_block_merge_config_selectorIlNS0_10empty_typeEEEZZNS1_27merge_sort_block_merge_implIS3_PlPS5_mZN2at6native12_GLOBAL__N_124unique_dim_cuda_templateIN3c104HalfEEESt5tupleIJNSA_6TensorESH_SH_EERKSH_lbbbEUlllE_EE10hipError_tT0_T1_T2_jT3_P12ihipStream_tbPNSt15iterator_traitsISN_E10value_typeEPNST_ISO_E10value_typeEPSP_NS1_7vsmem_tEENKUlT_SN_SO_SP_E_clIS8_S8_S9_S9_EESM_S12_SN_SO_SP_EUlS12_E1_NS1_11comp_targetILNS1_3genE4ELNS1_11target_archE910ELNS1_3gpuE8ELNS1_3repE0EEENS1_36merge_oddeven_config_static_selectorELNS0_4arch9wavefront6targetE1EEEvSO_,"axG",@progbits,_ZN7rocprim17ROCPRIM_400000_NS6detail17trampoline_kernelINS0_14default_configENS1_38merge_sort_block_merge_config_selectorIlNS0_10empty_typeEEEZZNS1_27merge_sort_block_merge_implIS3_PlPS5_mZN2at6native12_GLOBAL__N_124unique_dim_cuda_templateIN3c104HalfEEESt5tupleIJNSA_6TensorESH_SH_EERKSH_lbbbEUlllE_EE10hipError_tT0_T1_T2_jT3_P12ihipStream_tbPNSt15iterator_traitsISN_E10value_typeEPNST_ISO_E10value_typeEPSP_NS1_7vsmem_tEENKUlT_SN_SO_SP_E_clIS8_S8_S9_S9_EESM_S12_SN_SO_SP_EUlS12_E1_NS1_11comp_targetILNS1_3genE4ELNS1_11target_archE910ELNS1_3gpuE8ELNS1_3repE0EEENS1_36merge_oddeven_config_static_selectorELNS0_4arch9wavefront6targetE1EEEvSO_,comdat
.Lfunc_end1275:
	.size	_ZN7rocprim17ROCPRIM_400000_NS6detail17trampoline_kernelINS0_14default_configENS1_38merge_sort_block_merge_config_selectorIlNS0_10empty_typeEEEZZNS1_27merge_sort_block_merge_implIS3_PlPS5_mZN2at6native12_GLOBAL__N_124unique_dim_cuda_templateIN3c104HalfEEESt5tupleIJNSA_6TensorESH_SH_EERKSH_lbbbEUlllE_EE10hipError_tT0_T1_T2_jT3_P12ihipStream_tbPNSt15iterator_traitsISN_E10value_typeEPNST_ISO_E10value_typeEPSP_NS1_7vsmem_tEENKUlT_SN_SO_SP_E_clIS8_S8_S9_S9_EESM_S12_SN_SO_SP_EUlS12_E1_NS1_11comp_targetILNS1_3genE4ELNS1_11target_archE910ELNS1_3gpuE8ELNS1_3repE0EEENS1_36merge_oddeven_config_static_selectorELNS0_4arch9wavefront6targetE1EEEvSO_, .Lfunc_end1275-_ZN7rocprim17ROCPRIM_400000_NS6detail17trampoline_kernelINS0_14default_configENS1_38merge_sort_block_merge_config_selectorIlNS0_10empty_typeEEEZZNS1_27merge_sort_block_merge_implIS3_PlPS5_mZN2at6native12_GLOBAL__N_124unique_dim_cuda_templateIN3c104HalfEEESt5tupleIJNSA_6TensorESH_SH_EERKSH_lbbbEUlllE_EE10hipError_tT0_T1_T2_jT3_P12ihipStream_tbPNSt15iterator_traitsISN_E10value_typeEPNST_ISO_E10value_typeEPSP_NS1_7vsmem_tEENKUlT_SN_SO_SP_E_clIS8_S8_S9_S9_EESM_S12_SN_SO_SP_EUlS12_E1_NS1_11comp_targetILNS1_3genE4ELNS1_11target_archE910ELNS1_3gpuE8ELNS1_3repE0EEENS1_36merge_oddeven_config_static_selectorELNS0_4arch9wavefront6targetE1EEEvSO_
                                        ; -- End function
	.section	.AMDGPU.csdata,"",@progbits
; Kernel info:
; codeLenInByte = 0
; NumSgprs: 6
; NumVgprs: 0
; NumAgprs: 0
; TotalNumVgprs: 0
; ScratchSize: 0
; MemoryBound: 0
; FloatMode: 240
; IeeeMode: 1
; LDSByteSize: 0 bytes/workgroup (compile time only)
; SGPRBlocks: 0
; VGPRBlocks: 0
; NumSGPRsForWavesPerEU: 6
; NumVGPRsForWavesPerEU: 1
; AccumOffset: 4
; Occupancy: 8
; WaveLimiterHint : 0
; COMPUTE_PGM_RSRC2:SCRATCH_EN: 0
; COMPUTE_PGM_RSRC2:USER_SGPR: 2
; COMPUTE_PGM_RSRC2:TRAP_HANDLER: 0
; COMPUTE_PGM_RSRC2:TGID_X_EN: 1
; COMPUTE_PGM_RSRC2:TGID_Y_EN: 0
; COMPUTE_PGM_RSRC2:TGID_Z_EN: 0
; COMPUTE_PGM_RSRC2:TIDIG_COMP_CNT: 0
; COMPUTE_PGM_RSRC3_GFX90A:ACCUM_OFFSET: 0
; COMPUTE_PGM_RSRC3_GFX90A:TG_SPLIT: 0
	.section	.text._ZN7rocprim17ROCPRIM_400000_NS6detail17trampoline_kernelINS0_14default_configENS1_38merge_sort_block_merge_config_selectorIlNS0_10empty_typeEEEZZNS1_27merge_sort_block_merge_implIS3_PlPS5_mZN2at6native12_GLOBAL__N_124unique_dim_cuda_templateIN3c104HalfEEESt5tupleIJNSA_6TensorESH_SH_EERKSH_lbbbEUlllE_EE10hipError_tT0_T1_T2_jT3_P12ihipStream_tbPNSt15iterator_traitsISN_E10value_typeEPNST_ISO_E10value_typeEPSP_NS1_7vsmem_tEENKUlT_SN_SO_SP_E_clIS8_S8_S9_S9_EESM_S12_SN_SO_SP_EUlS12_E1_NS1_11comp_targetILNS1_3genE3ELNS1_11target_archE908ELNS1_3gpuE7ELNS1_3repE0EEENS1_36merge_oddeven_config_static_selectorELNS0_4arch9wavefront6targetE1EEEvSO_,"axG",@progbits,_ZN7rocprim17ROCPRIM_400000_NS6detail17trampoline_kernelINS0_14default_configENS1_38merge_sort_block_merge_config_selectorIlNS0_10empty_typeEEEZZNS1_27merge_sort_block_merge_implIS3_PlPS5_mZN2at6native12_GLOBAL__N_124unique_dim_cuda_templateIN3c104HalfEEESt5tupleIJNSA_6TensorESH_SH_EERKSH_lbbbEUlllE_EE10hipError_tT0_T1_T2_jT3_P12ihipStream_tbPNSt15iterator_traitsISN_E10value_typeEPNST_ISO_E10value_typeEPSP_NS1_7vsmem_tEENKUlT_SN_SO_SP_E_clIS8_S8_S9_S9_EESM_S12_SN_SO_SP_EUlS12_E1_NS1_11comp_targetILNS1_3genE3ELNS1_11target_archE908ELNS1_3gpuE7ELNS1_3repE0EEENS1_36merge_oddeven_config_static_selectorELNS0_4arch9wavefront6targetE1EEEvSO_,comdat
	.globl	_ZN7rocprim17ROCPRIM_400000_NS6detail17trampoline_kernelINS0_14default_configENS1_38merge_sort_block_merge_config_selectorIlNS0_10empty_typeEEEZZNS1_27merge_sort_block_merge_implIS3_PlPS5_mZN2at6native12_GLOBAL__N_124unique_dim_cuda_templateIN3c104HalfEEESt5tupleIJNSA_6TensorESH_SH_EERKSH_lbbbEUlllE_EE10hipError_tT0_T1_T2_jT3_P12ihipStream_tbPNSt15iterator_traitsISN_E10value_typeEPNST_ISO_E10value_typeEPSP_NS1_7vsmem_tEENKUlT_SN_SO_SP_E_clIS8_S8_S9_S9_EESM_S12_SN_SO_SP_EUlS12_E1_NS1_11comp_targetILNS1_3genE3ELNS1_11target_archE908ELNS1_3gpuE7ELNS1_3repE0EEENS1_36merge_oddeven_config_static_selectorELNS0_4arch9wavefront6targetE1EEEvSO_ ; -- Begin function _ZN7rocprim17ROCPRIM_400000_NS6detail17trampoline_kernelINS0_14default_configENS1_38merge_sort_block_merge_config_selectorIlNS0_10empty_typeEEEZZNS1_27merge_sort_block_merge_implIS3_PlPS5_mZN2at6native12_GLOBAL__N_124unique_dim_cuda_templateIN3c104HalfEEESt5tupleIJNSA_6TensorESH_SH_EERKSH_lbbbEUlllE_EE10hipError_tT0_T1_T2_jT3_P12ihipStream_tbPNSt15iterator_traitsISN_E10value_typeEPNST_ISO_E10value_typeEPSP_NS1_7vsmem_tEENKUlT_SN_SO_SP_E_clIS8_S8_S9_S9_EESM_S12_SN_SO_SP_EUlS12_E1_NS1_11comp_targetILNS1_3genE3ELNS1_11target_archE908ELNS1_3gpuE7ELNS1_3repE0EEENS1_36merge_oddeven_config_static_selectorELNS0_4arch9wavefront6targetE1EEEvSO_
	.p2align	8
	.type	_ZN7rocprim17ROCPRIM_400000_NS6detail17trampoline_kernelINS0_14default_configENS1_38merge_sort_block_merge_config_selectorIlNS0_10empty_typeEEEZZNS1_27merge_sort_block_merge_implIS3_PlPS5_mZN2at6native12_GLOBAL__N_124unique_dim_cuda_templateIN3c104HalfEEESt5tupleIJNSA_6TensorESH_SH_EERKSH_lbbbEUlllE_EE10hipError_tT0_T1_T2_jT3_P12ihipStream_tbPNSt15iterator_traitsISN_E10value_typeEPNST_ISO_E10value_typeEPSP_NS1_7vsmem_tEENKUlT_SN_SO_SP_E_clIS8_S8_S9_S9_EESM_S12_SN_SO_SP_EUlS12_E1_NS1_11comp_targetILNS1_3genE3ELNS1_11target_archE908ELNS1_3gpuE7ELNS1_3repE0EEENS1_36merge_oddeven_config_static_selectorELNS0_4arch9wavefront6targetE1EEEvSO_,@function
_ZN7rocprim17ROCPRIM_400000_NS6detail17trampoline_kernelINS0_14default_configENS1_38merge_sort_block_merge_config_selectorIlNS0_10empty_typeEEEZZNS1_27merge_sort_block_merge_implIS3_PlPS5_mZN2at6native12_GLOBAL__N_124unique_dim_cuda_templateIN3c104HalfEEESt5tupleIJNSA_6TensorESH_SH_EERKSH_lbbbEUlllE_EE10hipError_tT0_T1_T2_jT3_P12ihipStream_tbPNSt15iterator_traitsISN_E10value_typeEPNST_ISO_E10value_typeEPSP_NS1_7vsmem_tEENKUlT_SN_SO_SP_E_clIS8_S8_S9_S9_EESM_S12_SN_SO_SP_EUlS12_E1_NS1_11comp_targetILNS1_3genE3ELNS1_11target_archE908ELNS1_3gpuE7ELNS1_3repE0EEENS1_36merge_oddeven_config_static_selectorELNS0_4arch9wavefront6targetE1EEEvSO_: ; @_ZN7rocprim17ROCPRIM_400000_NS6detail17trampoline_kernelINS0_14default_configENS1_38merge_sort_block_merge_config_selectorIlNS0_10empty_typeEEEZZNS1_27merge_sort_block_merge_implIS3_PlPS5_mZN2at6native12_GLOBAL__N_124unique_dim_cuda_templateIN3c104HalfEEESt5tupleIJNSA_6TensorESH_SH_EERKSH_lbbbEUlllE_EE10hipError_tT0_T1_T2_jT3_P12ihipStream_tbPNSt15iterator_traitsISN_E10value_typeEPNST_ISO_E10value_typeEPSP_NS1_7vsmem_tEENKUlT_SN_SO_SP_E_clIS8_S8_S9_S9_EESM_S12_SN_SO_SP_EUlS12_E1_NS1_11comp_targetILNS1_3genE3ELNS1_11target_archE908ELNS1_3gpuE7ELNS1_3repE0EEENS1_36merge_oddeven_config_static_selectorELNS0_4arch9wavefront6targetE1EEEvSO_
; %bb.0:
	.section	.rodata,"a",@progbits
	.p2align	6, 0x0
	.amdhsa_kernel _ZN7rocprim17ROCPRIM_400000_NS6detail17trampoline_kernelINS0_14default_configENS1_38merge_sort_block_merge_config_selectorIlNS0_10empty_typeEEEZZNS1_27merge_sort_block_merge_implIS3_PlPS5_mZN2at6native12_GLOBAL__N_124unique_dim_cuda_templateIN3c104HalfEEESt5tupleIJNSA_6TensorESH_SH_EERKSH_lbbbEUlllE_EE10hipError_tT0_T1_T2_jT3_P12ihipStream_tbPNSt15iterator_traitsISN_E10value_typeEPNST_ISO_E10value_typeEPSP_NS1_7vsmem_tEENKUlT_SN_SO_SP_E_clIS8_S8_S9_S9_EESM_S12_SN_SO_SP_EUlS12_E1_NS1_11comp_targetILNS1_3genE3ELNS1_11target_archE908ELNS1_3gpuE7ELNS1_3repE0EEENS1_36merge_oddeven_config_static_selectorELNS0_4arch9wavefront6targetE1EEEvSO_
		.amdhsa_group_segment_fixed_size 0
		.amdhsa_private_segment_fixed_size 0
		.amdhsa_kernarg_size 64
		.amdhsa_user_sgpr_count 2
		.amdhsa_user_sgpr_dispatch_ptr 0
		.amdhsa_user_sgpr_queue_ptr 0
		.amdhsa_user_sgpr_kernarg_segment_ptr 1
		.amdhsa_user_sgpr_dispatch_id 0
		.amdhsa_user_sgpr_kernarg_preload_length 0
		.amdhsa_user_sgpr_kernarg_preload_offset 0
		.amdhsa_user_sgpr_private_segment_size 0
		.amdhsa_uses_dynamic_stack 0
		.amdhsa_enable_private_segment 0
		.amdhsa_system_sgpr_workgroup_id_x 1
		.amdhsa_system_sgpr_workgroup_id_y 0
		.amdhsa_system_sgpr_workgroup_id_z 0
		.amdhsa_system_sgpr_workgroup_info 0
		.amdhsa_system_vgpr_workitem_id 0
		.amdhsa_next_free_vgpr 1
		.amdhsa_next_free_sgpr 0
		.amdhsa_accum_offset 4
		.amdhsa_reserve_vcc 0
		.amdhsa_float_round_mode_32 0
		.amdhsa_float_round_mode_16_64 0
		.amdhsa_float_denorm_mode_32 3
		.amdhsa_float_denorm_mode_16_64 3
		.amdhsa_dx10_clamp 1
		.amdhsa_ieee_mode 1
		.amdhsa_fp16_overflow 0
		.amdhsa_tg_split 0
		.amdhsa_exception_fp_ieee_invalid_op 0
		.amdhsa_exception_fp_denorm_src 0
		.amdhsa_exception_fp_ieee_div_zero 0
		.amdhsa_exception_fp_ieee_overflow 0
		.amdhsa_exception_fp_ieee_underflow 0
		.amdhsa_exception_fp_ieee_inexact 0
		.amdhsa_exception_int_div_zero 0
	.end_amdhsa_kernel
	.section	.text._ZN7rocprim17ROCPRIM_400000_NS6detail17trampoline_kernelINS0_14default_configENS1_38merge_sort_block_merge_config_selectorIlNS0_10empty_typeEEEZZNS1_27merge_sort_block_merge_implIS3_PlPS5_mZN2at6native12_GLOBAL__N_124unique_dim_cuda_templateIN3c104HalfEEESt5tupleIJNSA_6TensorESH_SH_EERKSH_lbbbEUlllE_EE10hipError_tT0_T1_T2_jT3_P12ihipStream_tbPNSt15iterator_traitsISN_E10value_typeEPNST_ISO_E10value_typeEPSP_NS1_7vsmem_tEENKUlT_SN_SO_SP_E_clIS8_S8_S9_S9_EESM_S12_SN_SO_SP_EUlS12_E1_NS1_11comp_targetILNS1_3genE3ELNS1_11target_archE908ELNS1_3gpuE7ELNS1_3repE0EEENS1_36merge_oddeven_config_static_selectorELNS0_4arch9wavefront6targetE1EEEvSO_,"axG",@progbits,_ZN7rocprim17ROCPRIM_400000_NS6detail17trampoline_kernelINS0_14default_configENS1_38merge_sort_block_merge_config_selectorIlNS0_10empty_typeEEEZZNS1_27merge_sort_block_merge_implIS3_PlPS5_mZN2at6native12_GLOBAL__N_124unique_dim_cuda_templateIN3c104HalfEEESt5tupleIJNSA_6TensorESH_SH_EERKSH_lbbbEUlllE_EE10hipError_tT0_T1_T2_jT3_P12ihipStream_tbPNSt15iterator_traitsISN_E10value_typeEPNST_ISO_E10value_typeEPSP_NS1_7vsmem_tEENKUlT_SN_SO_SP_E_clIS8_S8_S9_S9_EESM_S12_SN_SO_SP_EUlS12_E1_NS1_11comp_targetILNS1_3genE3ELNS1_11target_archE908ELNS1_3gpuE7ELNS1_3repE0EEENS1_36merge_oddeven_config_static_selectorELNS0_4arch9wavefront6targetE1EEEvSO_,comdat
.Lfunc_end1276:
	.size	_ZN7rocprim17ROCPRIM_400000_NS6detail17trampoline_kernelINS0_14default_configENS1_38merge_sort_block_merge_config_selectorIlNS0_10empty_typeEEEZZNS1_27merge_sort_block_merge_implIS3_PlPS5_mZN2at6native12_GLOBAL__N_124unique_dim_cuda_templateIN3c104HalfEEESt5tupleIJNSA_6TensorESH_SH_EERKSH_lbbbEUlllE_EE10hipError_tT0_T1_T2_jT3_P12ihipStream_tbPNSt15iterator_traitsISN_E10value_typeEPNST_ISO_E10value_typeEPSP_NS1_7vsmem_tEENKUlT_SN_SO_SP_E_clIS8_S8_S9_S9_EESM_S12_SN_SO_SP_EUlS12_E1_NS1_11comp_targetILNS1_3genE3ELNS1_11target_archE908ELNS1_3gpuE7ELNS1_3repE0EEENS1_36merge_oddeven_config_static_selectorELNS0_4arch9wavefront6targetE1EEEvSO_, .Lfunc_end1276-_ZN7rocprim17ROCPRIM_400000_NS6detail17trampoline_kernelINS0_14default_configENS1_38merge_sort_block_merge_config_selectorIlNS0_10empty_typeEEEZZNS1_27merge_sort_block_merge_implIS3_PlPS5_mZN2at6native12_GLOBAL__N_124unique_dim_cuda_templateIN3c104HalfEEESt5tupleIJNSA_6TensorESH_SH_EERKSH_lbbbEUlllE_EE10hipError_tT0_T1_T2_jT3_P12ihipStream_tbPNSt15iterator_traitsISN_E10value_typeEPNST_ISO_E10value_typeEPSP_NS1_7vsmem_tEENKUlT_SN_SO_SP_E_clIS8_S8_S9_S9_EESM_S12_SN_SO_SP_EUlS12_E1_NS1_11comp_targetILNS1_3genE3ELNS1_11target_archE908ELNS1_3gpuE7ELNS1_3repE0EEENS1_36merge_oddeven_config_static_selectorELNS0_4arch9wavefront6targetE1EEEvSO_
                                        ; -- End function
	.section	.AMDGPU.csdata,"",@progbits
; Kernel info:
; codeLenInByte = 0
; NumSgprs: 6
; NumVgprs: 0
; NumAgprs: 0
; TotalNumVgprs: 0
; ScratchSize: 0
; MemoryBound: 0
; FloatMode: 240
; IeeeMode: 1
; LDSByteSize: 0 bytes/workgroup (compile time only)
; SGPRBlocks: 0
; VGPRBlocks: 0
; NumSGPRsForWavesPerEU: 6
; NumVGPRsForWavesPerEU: 1
; AccumOffset: 4
; Occupancy: 8
; WaveLimiterHint : 0
; COMPUTE_PGM_RSRC2:SCRATCH_EN: 0
; COMPUTE_PGM_RSRC2:USER_SGPR: 2
; COMPUTE_PGM_RSRC2:TRAP_HANDLER: 0
; COMPUTE_PGM_RSRC2:TGID_X_EN: 1
; COMPUTE_PGM_RSRC2:TGID_Y_EN: 0
; COMPUTE_PGM_RSRC2:TGID_Z_EN: 0
; COMPUTE_PGM_RSRC2:TIDIG_COMP_CNT: 0
; COMPUTE_PGM_RSRC3_GFX90A:ACCUM_OFFSET: 0
; COMPUTE_PGM_RSRC3_GFX90A:TG_SPLIT: 0
	.section	.text._ZN7rocprim17ROCPRIM_400000_NS6detail17trampoline_kernelINS0_14default_configENS1_38merge_sort_block_merge_config_selectorIlNS0_10empty_typeEEEZZNS1_27merge_sort_block_merge_implIS3_PlPS5_mZN2at6native12_GLOBAL__N_124unique_dim_cuda_templateIN3c104HalfEEESt5tupleIJNSA_6TensorESH_SH_EERKSH_lbbbEUlllE_EE10hipError_tT0_T1_T2_jT3_P12ihipStream_tbPNSt15iterator_traitsISN_E10value_typeEPNST_ISO_E10value_typeEPSP_NS1_7vsmem_tEENKUlT_SN_SO_SP_E_clIS8_S8_S9_S9_EESM_S12_SN_SO_SP_EUlS12_E1_NS1_11comp_targetILNS1_3genE2ELNS1_11target_archE906ELNS1_3gpuE6ELNS1_3repE0EEENS1_36merge_oddeven_config_static_selectorELNS0_4arch9wavefront6targetE1EEEvSO_,"axG",@progbits,_ZN7rocprim17ROCPRIM_400000_NS6detail17trampoline_kernelINS0_14default_configENS1_38merge_sort_block_merge_config_selectorIlNS0_10empty_typeEEEZZNS1_27merge_sort_block_merge_implIS3_PlPS5_mZN2at6native12_GLOBAL__N_124unique_dim_cuda_templateIN3c104HalfEEESt5tupleIJNSA_6TensorESH_SH_EERKSH_lbbbEUlllE_EE10hipError_tT0_T1_T2_jT3_P12ihipStream_tbPNSt15iterator_traitsISN_E10value_typeEPNST_ISO_E10value_typeEPSP_NS1_7vsmem_tEENKUlT_SN_SO_SP_E_clIS8_S8_S9_S9_EESM_S12_SN_SO_SP_EUlS12_E1_NS1_11comp_targetILNS1_3genE2ELNS1_11target_archE906ELNS1_3gpuE6ELNS1_3repE0EEENS1_36merge_oddeven_config_static_selectorELNS0_4arch9wavefront6targetE1EEEvSO_,comdat
	.globl	_ZN7rocprim17ROCPRIM_400000_NS6detail17trampoline_kernelINS0_14default_configENS1_38merge_sort_block_merge_config_selectorIlNS0_10empty_typeEEEZZNS1_27merge_sort_block_merge_implIS3_PlPS5_mZN2at6native12_GLOBAL__N_124unique_dim_cuda_templateIN3c104HalfEEESt5tupleIJNSA_6TensorESH_SH_EERKSH_lbbbEUlllE_EE10hipError_tT0_T1_T2_jT3_P12ihipStream_tbPNSt15iterator_traitsISN_E10value_typeEPNST_ISO_E10value_typeEPSP_NS1_7vsmem_tEENKUlT_SN_SO_SP_E_clIS8_S8_S9_S9_EESM_S12_SN_SO_SP_EUlS12_E1_NS1_11comp_targetILNS1_3genE2ELNS1_11target_archE906ELNS1_3gpuE6ELNS1_3repE0EEENS1_36merge_oddeven_config_static_selectorELNS0_4arch9wavefront6targetE1EEEvSO_ ; -- Begin function _ZN7rocprim17ROCPRIM_400000_NS6detail17trampoline_kernelINS0_14default_configENS1_38merge_sort_block_merge_config_selectorIlNS0_10empty_typeEEEZZNS1_27merge_sort_block_merge_implIS3_PlPS5_mZN2at6native12_GLOBAL__N_124unique_dim_cuda_templateIN3c104HalfEEESt5tupleIJNSA_6TensorESH_SH_EERKSH_lbbbEUlllE_EE10hipError_tT0_T1_T2_jT3_P12ihipStream_tbPNSt15iterator_traitsISN_E10value_typeEPNST_ISO_E10value_typeEPSP_NS1_7vsmem_tEENKUlT_SN_SO_SP_E_clIS8_S8_S9_S9_EESM_S12_SN_SO_SP_EUlS12_E1_NS1_11comp_targetILNS1_3genE2ELNS1_11target_archE906ELNS1_3gpuE6ELNS1_3repE0EEENS1_36merge_oddeven_config_static_selectorELNS0_4arch9wavefront6targetE1EEEvSO_
	.p2align	8
	.type	_ZN7rocprim17ROCPRIM_400000_NS6detail17trampoline_kernelINS0_14default_configENS1_38merge_sort_block_merge_config_selectorIlNS0_10empty_typeEEEZZNS1_27merge_sort_block_merge_implIS3_PlPS5_mZN2at6native12_GLOBAL__N_124unique_dim_cuda_templateIN3c104HalfEEESt5tupleIJNSA_6TensorESH_SH_EERKSH_lbbbEUlllE_EE10hipError_tT0_T1_T2_jT3_P12ihipStream_tbPNSt15iterator_traitsISN_E10value_typeEPNST_ISO_E10value_typeEPSP_NS1_7vsmem_tEENKUlT_SN_SO_SP_E_clIS8_S8_S9_S9_EESM_S12_SN_SO_SP_EUlS12_E1_NS1_11comp_targetILNS1_3genE2ELNS1_11target_archE906ELNS1_3gpuE6ELNS1_3repE0EEENS1_36merge_oddeven_config_static_selectorELNS0_4arch9wavefront6targetE1EEEvSO_,@function
_ZN7rocprim17ROCPRIM_400000_NS6detail17trampoline_kernelINS0_14default_configENS1_38merge_sort_block_merge_config_selectorIlNS0_10empty_typeEEEZZNS1_27merge_sort_block_merge_implIS3_PlPS5_mZN2at6native12_GLOBAL__N_124unique_dim_cuda_templateIN3c104HalfEEESt5tupleIJNSA_6TensorESH_SH_EERKSH_lbbbEUlllE_EE10hipError_tT0_T1_T2_jT3_P12ihipStream_tbPNSt15iterator_traitsISN_E10value_typeEPNST_ISO_E10value_typeEPSP_NS1_7vsmem_tEENKUlT_SN_SO_SP_E_clIS8_S8_S9_S9_EESM_S12_SN_SO_SP_EUlS12_E1_NS1_11comp_targetILNS1_3genE2ELNS1_11target_archE906ELNS1_3gpuE6ELNS1_3repE0EEENS1_36merge_oddeven_config_static_selectorELNS0_4arch9wavefront6targetE1EEEvSO_: ; @_ZN7rocprim17ROCPRIM_400000_NS6detail17trampoline_kernelINS0_14default_configENS1_38merge_sort_block_merge_config_selectorIlNS0_10empty_typeEEEZZNS1_27merge_sort_block_merge_implIS3_PlPS5_mZN2at6native12_GLOBAL__N_124unique_dim_cuda_templateIN3c104HalfEEESt5tupleIJNSA_6TensorESH_SH_EERKSH_lbbbEUlllE_EE10hipError_tT0_T1_T2_jT3_P12ihipStream_tbPNSt15iterator_traitsISN_E10value_typeEPNST_ISO_E10value_typeEPSP_NS1_7vsmem_tEENKUlT_SN_SO_SP_E_clIS8_S8_S9_S9_EESM_S12_SN_SO_SP_EUlS12_E1_NS1_11comp_targetILNS1_3genE2ELNS1_11target_archE906ELNS1_3gpuE6ELNS1_3repE0EEENS1_36merge_oddeven_config_static_selectorELNS0_4arch9wavefront6targetE1EEEvSO_
; %bb.0:
	.section	.rodata,"a",@progbits
	.p2align	6, 0x0
	.amdhsa_kernel _ZN7rocprim17ROCPRIM_400000_NS6detail17trampoline_kernelINS0_14default_configENS1_38merge_sort_block_merge_config_selectorIlNS0_10empty_typeEEEZZNS1_27merge_sort_block_merge_implIS3_PlPS5_mZN2at6native12_GLOBAL__N_124unique_dim_cuda_templateIN3c104HalfEEESt5tupleIJNSA_6TensorESH_SH_EERKSH_lbbbEUlllE_EE10hipError_tT0_T1_T2_jT3_P12ihipStream_tbPNSt15iterator_traitsISN_E10value_typeEPNST_ISO_E10value_typeEPSP_NS1_7vsmem_tEENKUlT_SN_SO_SP_E_clIS8_S8_S9_S9_EESM_S12_SN_SO_SP_EUlS12_E1_NS1_11comp_targetILNS1_3genE2ELNS1_11target_archE906ELNS1_3gpuE6ELNS1_3repE0EEENS1_36merge_oddeven_config_static_selectorELNS0_4arch9wavefront6targetE1EEEvSO_
		.amdhsa_group_segment_fixed_size 0
		.amdhsa_private_segment_fixed_size 0
		.amdhsa_kernarg_size 64
		.amdhsa_user_sgpr_count 2
		.amdhsa_user_sgpr_dispatch_ptr 0
		.amdhsa_user_sgpr_queue_ptr 0
		.amdhsa_user_sgpr_kernarg_segment_ptr 1
		.amdhsa_user_sgpr_dispatch_id 0
		.amdhsa_user_sgpr_kernarg_preload_length 0
		.amdhsa_user_sgpr_kernarg_preload_offset 0
		.amdhsa_user_sgpr_private_segment_size 0
		.amdhsa_uses_dynamic_stack 0
		.amdhsa_enable_private_segment 0
		.amdhsa_system_sgpr_workgroup_id_x 1
		.amdhsa_system_sgpr_workgroup_id_y 0
		.amdhsa_system_sgpr_workgroup_id_z 0
		.amdhsa_system_sgpr_workgroup_info 0
		.amdhsa_system_vgpr_workitem_id 0
		.amdhsa_next_free_vgpr 1
		.amdhsa_next_free_sgpr 0
		.amdhsa_accum_offset 4
		.amdhsa_reserve_vcc 0
		.amdhsa_float_round_mode_32 0
		.amdhsa_float_round_mode_16_64 0
		.amdhsa_float_denorm_mode_32 3
		.amdhsa_float_denorm_mode_16_64 3
		.amdhsa_dx10_clamp 1
		.amdhsa_ieee_mode 1
		.amdhsa_fp16_overflow 0
		.amdhsa_tg_split 0
		.amdhsa_exception_fp_ieee_invalid_op 0
		.amdhsa_exception_fp_denorm_src 0
		.amdhsa_exception_fp_ieee_div_zero 0
		.amdhsa_exception_fp_ieee_overflow 0
		.amdhsa_exception_fp_ieee_underflow 0
		.amdhsa_exception_fp_ieee_inexact 0
		.amdhsa_exception_int_div_zero 0
	.end_amdhsa_kernel
	.section	.text._ZN7rocprim17ROCPRIM_400000_NS6detail17trampoline_kernelINS0_14default_configENS1_38merge_sort_block_merge_config_selectorIlNS0_10empty_typeEEEZZNS1_27merge_sort_block_merge_implIS3_PlPS5_mZN2at6native12_GLOBAL__N_124unique_dim_cuda_templateIN3c104HalfEEESt5tupleIJNSA_6TensorESH_SH_EERKSH_lbbbEUlllE_EE10hipError_tT0_T1_T2_jT3_P12ihipStream_tbPNSt15iterator_traitsISN_E10value_typeEPNST_ISO_E10value_typeEPSP_NS1_7vsmem_tEENKUlT_SN_SO_SP_E_clIS8_S8_S9_S9_EESM_S12_SN_SO_SP_EUlS12_E1_NS1_11comp_targetILNS1_3genE2ELNS1_11target_archE906ELNS1_3gpuE6ELNS1_3repE0EEENS1_36merge_oddeven_config_static_selectorELNS0_4arch9wavefront6targetE1EEEvSO_,"axG",@progbits,_ZN7rocprim17ROCPRIM_400000_NS6detail17trampoline_kernelINS0_14default_configENS1_38merge_sort_block_merge_config_selectorIlNS0_10empty_typeEEEZZNS1_27merge_sort_block_merge_implIS3_PlPS5_mZN2at6native12_GLOBAL__N_124unique_dim_cuda_templateIN3c104HalfEEESt5tupleIJNSA_6TensorESH_SH_EERKSH_lbbbEUlllE_EE10hipError_tT0_T1_T2_jT3_P12ihipStream_tbPNSt15iterator_traitsISN_E10value_typeEPNST_ISO_E10value_typeEPSP_NS1_7vsmem_tEENKUlT_SN_SO_SP_E_clIS8_S8_S9_S9_EESM_S12_SN_SO_SP_EUlS12_E1_NS1_11comp_targetILNS1_3genE2ELNS1_11target_archE906ELNS1_3gpuE6ELNS1_3repE0EEENS1_36merge_oddeven_config_static_selectorELNS0_4arch9wavefront6targetE1EEEvSO_,comdat
.Lfunc_end1277:
	.size	_ZN7rocprim17ROCPRIM_400000_NS6detail17trampoline_kernelINS0_14default_configENS1_38merge_sort_block_merge_config_selectorIlNS0_10empty_typeEEEZZNS1_27merge_sort_block_merge_implIS3_PlPS5_mZN2at6native12_GLOBAL__N_124unique_dim_cuda_templateIN3c104HalfEEESt5tupleIJNSA_6TensorESH_SH_EERKSH_lbbbEUlllE_EE10hipError_tT0_T1_T2_jT3_P12ihipStream_tbPNSt15iterator_traitsISN_E10value_typeEPNST_ISO_E10value_typeEPSP_NS1_7vsmem_tEENKUlT_SN_SO_SP_E_clIS8_S8_S9_S9_EESM_S12_SN_SO_SP_EUlS12_E1_NS1_11comp_targetILNS1_3genE2ELNS1_11target_archE906ELNS1_3gpuE6ELNS1_3repE0EEENS1_36merge_oddeven_config_static_selectorELNS0_4arch9wavefront6targetE1EEEvSO_, .Lfunc_end1277-_ZN7rocprim17ROCPRIM_400000_NS6detail17trampoline_kernelINS0_14default_configENS1_38merge_sort_block_merge_config_selectorIlNS0_10empty_typeEEEZZNS1_27merge_sort_block_merge_implIS3_PlPS5_mZN2at6native12_GLOBAL__N_124unique_dim_cuda_templateIN3c104HalfEEESt5tupleIJNSA_6TensorESH_SH_EERKSH_lbbbEUlllE_EE10hipError_tT0_T1_T2_jT3_P12ihipStream_tbPNSt15iterator_traitsISN_E10value_typeEPNST_ISO_E10value_typeEPSP_NS1_7vsmem_tEENKUlT_SN_SO_SP_E_clIS8_S8_S9_S9_EESM_S12_SN_SO_SP_EUlS12_E1_NS1_11comp_targetILNS1_3genE2ELNS1_11target_archE906ELNS1_3gpuE6ELNS1_3repE0EEENS1_36merge_oddeven_config_static_selectorELNS0_4arch9wavefront6targetE1EEEvSO_
                                        ; -- End function
	.section	.AMDGPU.csdata,"",@progbits
; Kernel info:
; codeLenInByte = 0
; NumSgprs: 6
; NumVgprs: 0
; NumAgprs: 0
; TotalNumVgprs: 0
; ScratchSize: 0
; MemoryBound: 0
; FloatMode: 240
; IeeeMode: 1
; LDSByteSize: 0 bytes/workgroup (compile time only)
; SGPRBlocks: 0
; VGPRBlocks: 0
; NumSGPRsForWavesPerEU: 6
; NumVGPRsForWavesPerEU: 1
; AccumOffset: 4
; Occupancy: 8
; WaveLimiterHint : 0
; COMPUTE_PGM_RSRC2:SCRATCH_EN: 0
; COMPUTE_PGM_RSRC2:USER_SGPR: 2
; COMPUTE_PGM_RSRC2:TRAP_HANDLER: 0
; COMPUTE_PGM_RSRC2:TGID_X_EN: 1
; COMPUTE_PGM_RSRC2:TGID_Y_EN: 0
; COMPUTE_PGM_RSRC2:TGID_Z_EN: 0
; COMPUTE_PGM_RSRC2:TIDIG_COMP_CNT: 0
; COMPUTE_PGM_RSRC3_GFX90A:ACCUM_OFFSET: 0
; COMPUTE_PGM_RSRC3_GFX90A:TG_SPLIT: 0
	.section	.text._ZN7rocprim17ROCPRIM_400000_NS6detail17trampoline_kernelINS0_14default_configENS1_38merge_sort_block_merge_config_selectorIlNS0_10empty_typeEEEZZNS1_27merge_sort_block_merge_implIS3_PlPS5_mZN2at6native12_GLOBAL__N_124unique_dim_cuda_templateIN3c104HalfEEESt5tupleIJNSA_6TensorESH_SH_EERKSH_lbbbEUlllE_EE10hipError_tT0_T1_T2_jT3_P12ihipStream_tbPNSt15iterator_traitsISN_E10value_typeEPNST_ISO_E10value_typeEPSP_NS1_7vsmem_tEENKUlT_SN_SO_SP_E_clIS8_S8_S9_S9_EESM_S12_SN_SO_SP_EUlS12_E1_NS1_11comp_targetILNS1_3genE9ELNS1_11target_archE1100ELNS1_3gpuE3ELNS1_3repE0EEENS1_36merge_oddeven_config_static_selectorELNS0_4arch9wavefront6targetE1EEEvSO_,"axG",@progbits,_ZN7rocprim17ROCPRIM_400000_NS6detail17trampoline_kernelINS0_14default_configENS1_38merge_sort_block_merge_config_selectorIlNS0_10empty_typeEEEZZNS1_27merge_sort_block_merge_implIS3_PlPS5_mZN2at6native12_GLOBAL__N_124unique_dim_cuda_templateIN3c104HalfEEESt5tupleIJNSA_6TensorESH_SH_EERKSH_lbbbEUlllE_EE10hipError_tT0_T1_T2_jT3_P12ihipStream_tbPNSt15iterator_traitsISN_E10value_typeEPNST_ISO_E10value_typeEPSP_NS1_7vsmem_tEENKUlT_SN_SO_SP_E_clIS8_S8_S9_S9_EESM_S12_SN_SO_SP_EUlS12_E1_NS1_11comp_targetILNS1_3genE9ELNS1_11target_archE1100ELNS1_3gpuE3ELNS1_3repE0EEENS1_36merge_oddeven_config_static_selectorELNS0_4arch9wavefront6targetE1EEEvSO_,comdat
	.globl	_ZN7rocprim17ROCPRIM_400000_NS6detail17trampoline_kernelINS0_14default_configENS1_38merge_sort_block_merge_config_selectorIlNS0_10empty_typeEEEZZNS1_27merge_sort_block_merge_implIS3_PlPS5_mZN2at6native12_GLOBAL__N_124unique_dim_cuda_templateIN3c104HalfEEESt5tupleIJNSA_6TensorESH_SH_EERKSH_lbbbEUlllE_EE10hipError_tT0_T1_T2_jT3_P12ihipStream_tbPNSt15iterator_traitsISN_E10value_typeEPNST_ISO_E10value_typeEPSP_NS1_7vsmem_tEENKUlT_SN_SO_SP_E_clIS8_S8_S9_S9_EESM_S12_SN_SO_SP_EUlS12_E1_NS1_11comp_targetILNS1_3genE9ELNS1_11target_archE1100ELNS1_3gpuE3ELNS1_3repE0EEENS1_36merge_oddeven_config_static_selectorELNS0_4arch9wavefront6targetE1EEEvSO_ ; -- Begin function _ZN7rocprim17ROCPRIM_400000_NS6detail17trampoline_kernelINS0_14default_configENS1_38merge_sort_block_merge_config_selectorIlNS0_10empty_typeEEEZZNS1_27merge_sort_block_merge_implIS3_PlPS5_mZN2at6native12_GLOBAL__N_124unique_dim_cuda_templateIN3c104HalfEEESt5tupleIJNSA_6TensorESH_SH_EERKSH_lbbbEUlllE_EE10hipError_tT0_T1_T2_jT3_P12ihipStream_tbPNSt15iterator_traitsISN_E10value_typeEPNST_ISO_E10value_typeEPSP_NS1_7vsmem_tEENKUlT_SN_SO_SP_E_clIS8_S8_S9_S9_EESM_S12_SN_SO_SP_EUlS12_E1_NS1_11comp_targetILNS1_3genE9ELNS1_11target_archE1100ELNS1_3gpuE3ELNS1_3repE0EEENS1_36merge_oddeven_config_static_selectorELNS0_4arch9wavefront6targetE1EEEvSO_
	.p2align	8
	.type	_ZN7rocprim17ROCPRIM_400000_NS6detail17trampoline_kernelINS0_14default_configENS1_38merge_sort_block_merge_config_selectorIlNS0_10empty_typeEEEZZNS1_27merge_sort_block_merge_implIS3_PlPS5_mZN2at6native12_GLOBAL__N_124unique_dim_cuda_templateIN3c104HalfEEESt5tupleIJNSA_6TensorESH_SH_EERKSH_lbbbEUlllE_EE10hipError_tT0_T1_T2_jT3_P12ihipStream_tbPNSt15iterator_traitsISN_E10value_typeEPNST_ISO_E10value_typeEPSP_NS1_7vsmem_tEENKUlT_SN_SO_SP_E_clIS8_S8_S9_S9_EESM_S12_SN_SO_SP_EUlS12_E1_NS1_11comp_targetILNS1_3genE9ELNS1_11target_archE1100ELNS1_3gpuE3ELNS1_3repE0EEENS1_36merge_oddeven_config_static_selectorELNS0_4arch9wavefront6targetE1EEEvSO_,@function
_ZN7rocprim17ROCPRIM_400000_NS6detail17trampoline_kernelINS0_14default_configENS1_38merge_sort_block_merge_config_selectorIlNS0_10empty_typeEEEZZNS1_27merge_sort_block_merge_implIS3_PlPS5_mZN2at6native12_GLOBAL__N_124unique_dim_cuda_templateIN3c104HalfEEESt5tupleIJNSA_6TensorESH_SH_EERKSH_lbbbEUlllE_EE10hipError_tT0_T1_T2_jT3_P12ihipStream_tbPNSt15iterator_traitsISN_E10value_typeEPNST_ISO_E10value_typeEPSP_NS1_7vsmem_tEENKUlT_SN_SO_SP_E_clIS8_S8_S9_S9_EESM_S12_SN_SO_SP_EUlS12_E1_NS1_11comp_targetILNS1_3genE9ELNS1_11target_archE1100ELNS1_3gpuE3ELNS1_3repE0EEENS1_36merge_oddeven_config_static_selectorELNS0_4arch9wavefront6targetE1EEEvSO_: ; @_ZN7rocprim17ROCPRIM_400000_NS6detail17trampoline_kernelINS0_14default_configENS1_38merge_sort_block_merge_config_selectorIlNS0_10empty_typeEEEZZNS1_27merge_sort_block_merge_implIS3_PlPS5_mZN2at6native12_GLOBAL__N_124unique_dim_cuda_templateIN3c104HalfEEESt5tupleIJNSA_6TensorESH_SH_EERKSH_lbbbEUlllE_EE10hipError_tT0_T1_T2_jT3_P12ihipStream_tbPNSt15iterator_traitsISN_E10value_typeEPNST_ISO_E10value_typeEPSP_NS1_7vsmem_tEENKUlT_SN_SO_SP_E_clIS8_S8_S9_S9_EESM_S12_SN_SO_SP_EUlS12_E1_NS1_11comp_targetILNS1_3genE9ELNS1_11target_archE1100ELNS1_3gpuE3ELNS1_3repE0EEENS1_36merge_oddeven_config_static_selectorELNS0_4arch9wavefront6targetE1EEEvSO_
; %bb.0:
	.section	.rodata,"a",@progbits
	.p2align	6, 0x0
	.amdhsa_kernel _ZN7rocprim17ROCPRIM_400000_NS6detail17trampoline_kernelINS0_14default_configENS1_38merge_sort_block_merge_config_selectorIlNS0_10empty_typeEEEZZNS1_27merge_sort_block_merge_implIS3_PlPS5_mZN2at6native12_GLOBAL__N_124unique_dim_cuda_templateIN3c104HalfEEESt5tupleIJNSA_6TensorESH_SH_EERKSH_lbbbEUlllE_EE10hipError_tT0_T1_T2_jT3_P12ihipStream_tbPNSt15iterator_traitsISN_E10value_typeEPNST_ISO_E10value_typeEPSP_NS1_7vsmem_tEENKUlT_SN_SO_SP_E_clIS8_S8_S9_S9_EESM_S12_SN_SO_SP_EUlS12_E1_NS1_11comp_targetILNS1_3genE9ELNS1_11target_archE1100ELNS1_3gpuE3ELNS1_3repE0EEENS1_36merge_oddeven_config_static_selectorELNS0_4arch9wavefront6targetE1EEEvSO_
		.amdhsa_group_segment_fixed_size 0
		.amdhsa_private_segment_fixed_size 0
		.amdhsa_kernarg_size 64
		.amdhsa_user_sgpr_count 2
		.amdhsa_user_sgpr_dispatch_ptr 0
		.amdhsa_user_sgpr_queue_ptr 0
		.amdhsa_user_sgpr_kernarg_segment_ptr 1
		.amdhsa_user_sgpr_dispatch_id 0
		.amdhsa_user_sgpr_kernarg_preload_length 0
		.amdhsa_user_sgpr_kernarg_preload_offset 0
		.amdhsa_user_sgpr_private_segment_size 0
		.amdhsa_uses_dynamic_stack 0
		.amdhsa_enable_private_segment 0
		.amdhsa_system_sgpr_workgroup_id_x 1
		.amdhsa_system_sgpr_workgroup_id_y 0
		.amdhsa_system_sgpr_workgroup_id_z 0
		.amdhsa_system_sgpr_workgroup_info 0
		.amdhsa_system_vgpr_workitem_id 0
		.amdhsa_next_free_vgpr 1
		.amdhsa_next_free_sgpr 0
		.amdhsa_accum_offset 4
		.amdhsa_reserve_vcc 0
		.amdhsa_float_round_mode_32 0
		.amdhsa_float_round_mode_16_64 0
		.amdhsa_float_denorm_mode_32 3
		.amdhsa_float_denorm_mode_16_64 3
		.amdhsa_dx10_clamp 1
		.amdhsa_ieee_mode 1
		.amdhsa_fp16_overflow 0
		.amdhsa_tg_split 0
		.amdhsa_exception_fp_ieee_invalid_op 0
		.amdhsa_exception_fp_denorm_src 0
		.amdhsa_exception_fp_ieee_div_zero 0
		.amdhsa_exception_fp_ieee_overflow 0
		.amdhsa_exception_fp_ieee_underflow 0
		.amdhsa_exception_fp_ieee_inexact 0
		.amdhsa_exception_int_div_zero 0
	.end_amdhsa_kernel
	.section	.text._ZN7rocprim17ROCPRIM_400000_NS6detail17trampoline_kernelINS0_14default_configENS1_38merge_sort_block_merge_config_selectorIlNS0_10empty_typeEEEZZNS1_27merge_sort_block_merge_implIS3_PlPS5_mZN2at6native12_GLOBAL__N_124unique_dim_cuda_templateIN3c104HalfEEESt5tupleIJNSA_6TensorESH_SH_EERKSH_lbbbEUlllE_EE10hipError_tT0_T1_T2_jT3_P12ihipStream_tbPNSt15iterator_traitsISN_E10value_typeEPNST_ISO_E10value_typeEPSP_NS1_7vsmem_tEENKUlT_SN_SO_SP_E_clIS8_S8_S9_S9_EESM_S12_SN_SO_SP_EUlS12_E1_NS1_11comp_targetILNS1_3genE9ELNS1_11target_archE1100ELNS1_3gpuE3ELNS1_3repE0EEENS1_36merge_oddeven_config_static_selectorELNS0_4arch9wavefront6targetE1EEEvSO_,"axG",@progbits,_ZN7rocprim17ROCPRIM_400000_NS6detail17trampoline_kernelINS0_14default_configENS1_38merge_sort_block_merge_config_selectorIlNS0_10empty_typeEEEZZNS1_27merge_sort_block_merge_implIS3_PlPS5_mZN2at6native12_GLOBAL__N_124unique_dim_cuda_templateIN3c104HalfEEESt5tupleIJNSA_6TensorESH_SH_EERKSH_lbbbEUlllE_EE10hipError_tT0_T1_T2_jT3_P12ihipStream_tbPNSt15iterator_traitsISN_E10value_typeEPNST_ISO_E10value_typeEPSP_NS1_7vsmem_tEENKUlT_SN_SO_SP_E_clIS8_S8_S9_S9_EESM_S12_SN_SO_SP_EUlS12_E1_NS1_11comp_targetILNS1_3genE9ELNS1_11target_archE1100ELNS1_3gpuE3ELNS1_3repE0EEENS1_36merge_oddeven_config_static_selectorELNS0_4arch9wavefront6targetE1EEEvSO_,comdat
.Lfunc_end1278:
	.size	_ZN7rocprim17ROCPRIM_400000_NS6detail17trampoline_kernelINS0_14default_configENS1_38merge_sort_block_merge_config_selectorIlNS0_10empty_typeEEEZZNS1_27merge_sort_block_merge_implIS3_PlPS5_mZN2at6native12_GLOBAL__N_124unique_dim_cuda_templateIN3c104HalfEEESt5tupleIJNSA_6TensorESH_SH_EERKSH_lbbbEUlllE_EE10hipError_tT0_T1_T2_jT3_P12ihipStream_tbPNSt15iterator_traitsISN_E10value_typeEPNST_ISO_E10value_typeEPSP_NS1_7vsmem_tEENKUlT_SN_SO_SP_E_clIS8_S8_S9_S9_EESM_S12_SN_SO_SP_EUlS12_E1_NS1_11comp_targetILNS1_3genE9ELNS1_11target_archE1100ELNS1_3gpuE3ELNS1_3repE0EEENS1_36merge_oddeven_config_static_selectorELNS0_4arch9wavefront6targetE1EEEvSO_, .Lfunc_end1278-_ZN7rocprim17ROCPRIM_400000_NS6detail17trampoline_kernelINS0_14default_configENS1_38merge_sort_block_merge_config_selectorIlNS0_10empty_typeEEEZZNS1_27merge_sort_block_merge_implIS3_PlPS5_mZN2at6native12_GLOBAL__N_124unique_dim_cuda_templateIN3c104HalfEEESt5tupleIJNSA_6TensorESH_SH_EERKSH_lbbbEUlllE_EE10hipError_tT0_T1_T2_jT3_P12ihipStream_tbPNSt15iterator_traitsISN_E10value_typeEPNST_ISO_E10value_typeEPSP_NS1_7vsmem_tEENKUlT_SN_SO_SP_E_clIS8_S8_S9_S9_EESM_S12_SN_SO_SP_EUlS12_E1_NS1_11comp_targetILNS1_3genE9ELNS1_11target_archE1100ELNS1_3gpuE3ELNS1_3repE0EEENS1_36merge_oddeven_config_static_selectorELNS0_4arch9wavefront6targetE1EEEvSO_
                                        ; -- End function
	.section	.AMDGPU.csdata,"",@progbits
; Kernel info:
; codeLenInByte = 0
; NumSgprs: 6
; NumVgprs: 0
; NumAgprs: 0
; TotalNumVgprs: 0
; ScratchSize: 0
; MemoryBound: 0
; FloatMode: 240
; IeeeMode: 1
; LDSByteSize: 0 bytes/workgroup (compile time only)
; SGPRBlocks: 0
; VGPRBlocks: 0
; NumSGPRsForWavesPerEU: 6
; NumVGPRsForWavesPerEU: 1
; AccumOffset: 4
; Occupancy: 8
; WaveLimiterHint : 0
; COMPUTE_PGM_RSRC2:SCRATCH_EN: 0
; COMPUTE_PGM_RSRC2:USER_SGPR: 2
; COMPUTE_PGM_RSRC2:TRAP_HANDLER: 0
; COMPUTE_PGM_RSRC2:TGID_X_EN: 1
; COMPUTE_PGM_RSRC2:TGID_Y_EN: 0
; COMPUTE_PGM_RSRC2:TGID_Z_EN: 0
; COMPUTE_PGM_RSRC2:TIDIG_COMP_CNT: 0
; COMPUTE_PGM_RSRC3_GFX90A:ACCUM_OFFSET: 0
; COMPUTE_PGM_RSRC3_GFX90A:TG_SPLIT: 0
	.section	.text._ZN7rocprim17ROCPRIM_400000_NS6detail17trampoline_kernelINS0_14default_configENS1_38merge_sort_block_merge_config_selectorIlNS0_10empty_typeEEEZZNS1_27merge_sort_block_merge_implIS3_PlPS5_mZN2at6native12_GLOBAL__N_124unique_dim_cuda_templateIN3c104HalfEEESt5tupleIJNSA_6TensorESH_SH_EERKSH_lbbbEUlllE_EE10hipError_tT0_T1_T2_jT3_P12ihipStream_tbPNSt15iterator_traitsISN_E10value_typeEPNST_ISO_E10value_typeEPSP_NS1_7vsmem_tEENKUlT_SN_SO_SP_E_clIS8_S8_S9_S9_EESM_S12_SN_SO_SP_EUlS12_E1_NS1_11comp_targetILNS1_3genE8ELNS1_11target_archE1030ELNS1_3gpuE2ELNS1_3repE0EEENS1_36merge_oddeven_config_static_selectorELNS0_4arch9wavefront6targetE1EEEvSO_,"axG",@progbits,_ZN7rocprim17ROCPRIM_400000_NS6detail17trampoline_kernelINS0_14default_configENS1_38merge_sort_block_merge_config_selectorIlNS0_10empty_typeEEEZZNS1_27merge_sort_block_merge_implIS3_PlPS5_mZN2at6native12_GLOBAL__N_124unique_dim_cuda_templateIN3c104HalfEEESt5tupleIJNSA_6TensorESH_SH_EERKSH_lbbbEUlllE_EE10hipError_tT0_T1_T2_jT3_P12ihipStream_tbPNSt15iterator_traitsISN_E10value_typeEPNST_ISO_E10value_typeEPSP_NS1_7vsmem_tEENKUlT_SN_SO_SP_E_clIS8_S8_S9_S9_EESM_S12_SN_SO_SP_EUlS12_E1_NS1_11comp_targetILNS1_3genE8ELNS1_11target_archE1030ELNS1_3gpuE2ELNS1_3repE0EEENS1_36merge_oddeven_config_static_selectorELNS0_4arch9wavefront6targetE1EEEvSO_,comdat
	.globl	_ZN7rocprim17ROCPRIM_400000_NS6detail17trampoline_kernelINS0_14default_configENS1_38merge_sort_block_merge_config_selectorIlNS0_10empty_typeEEEZZNS1_27merge_sort_block_merge_implIS3_PlPS5_mZN2at6native12_GLOBAL__N_124unique_dim_cuda_templateIN3c104HalfEEESt5tupleIJNSA_6TensorESH_SH_EERKSH_lbbbEUlllE_EE10hipError_tT0_T1_T2_jT3_P12ihipStream_tbPNSt15iterator_traitsISN_E10value_typeEPNST_ISO_E10value_typeEPSP_NS1_7vsmem_tEENKUlT_SN_SO_SP_E_clIS8_S8_S9_S9_EESM_S12_SN_SO_SP_EUlS12_E1_NS1_11comp_targetILNS1_3genE8ELNS1_11target_archE1030ELNS1_3gpuE2ELNS1_3repE0EEENS1_36merge_oddeven_config_static_selectorELNS0_4arch9wavefront6targetE1EEEvSO_ ; -- Begin function _ZN7rocprim17ROCPRIM_400000_NS6detail17trampoline_kernelINS0_14default_configENS1_38merge_sort_block_merge_config_selectorIlNS0_10empty_typeEEEZZNS1_27merge_sort_block_merge_implIS3_PlPS5_mZN2at6native12_GLOBAL__N_124unique_dim_cuda_templateIN3c104HalfEEESt5tupleIJNSA_6TensorESH_SH_EERKSH_lbbbEUlllE_EE10hipError_tT0_T1_T2_jT3_P12ihipStream_tbPNSt15iterator_traitsISN_E10value_typeEPNST_ISO_E10value_typeEPSP_NS1_7vsmem_tEENKUlT_SN_SO_SP_E_clIS8_S8_S9_S9_EESM_S12_SN_SO_SP_EUlS12_E1_NS1_11comp_targetILNS1_3genE8ELNS1_11target_archE1030ELNS1_3gpuE2ELNS1_3repE0EEENS1_36merge_oddeven_config_static_selectorELNS0_4arch9wavefront6targetE1EEEvSO_
	.p2align	8
	.type	_ZN7rocprim17ROCPRIM_400000_NS6detail17trampoline_kernelINS0_14default_configENS1_38merge_sort_block_merge_config_selectorIlNS0_10empty_typeEEEZZNS1_27merge_sort_block_merge_implIS3_PlPS5_mZN2at6native12_GLOBAL__N_124unique_dim_cuda_templateIN3c104HalfEEESt5tupleIJNSA_6TensorESH_SH_EERKSH_lbbbEUlllE_EE10hipError_tT0_T1_T2_jT3_P12ihipStream_tbPNSt15iterator_traitsISN_E10value_typeEPNST_ISO_E10value_typeEPSP_NS1_7vsmem_tEENKUlT_SN_SO_SP_E_clIS8_S8_S9_S9_EESM_S12_SN_SO_SP_EUlS12_E1_NS1_11comp_targetILNS1_3genE8ELNS1_11target_archE1030ELNS1_3gpuE2ELNS1_3repE0EEENS1_36merge_oddeven_config_static_selectorELNS0_4arch9wavefront6targetE1EEEvSO_,@function
_ZN7rocprim17ROCPRIM_400000_NS6detail17trampoline_kernelINS0_14default_configENS1_38merge_sort_block_merge_config_selectorIlNS0_10empty_typeEEEZZNS1_27merge_sort_block_merge_implIS3_PlPS5_mZN2at6native12_GLOBAL__N_124unique_dim_cuda_templateIN3c104HalfEEESt5tupleIJNSA_6TensorESH_SH_EERKSH_lbbbEUlllE_EE10hipError_tT0_T1_T2_jT3_P12ihipStream_tbPNSt15iterator_traitsISN_E10value_typeEPNST_ISO_E10value_typeEPSP_NS1_7vsmem_tEENKUlT_SN_SO_SP_E_clIS8_S8_S9_S9_EESM_S12_SN_SO_SP_EUlS12_E1_NS1_11comp_targetILNS1_3genE8ELNS1_11target_archE1030ELNS1_3gpuE2ELNS1_3repE0EEENS1_36merge_oddeven_config_static_selectorELNS0_4arch9wavefront6targetE1EEEvSO_: ; @_ZN7rocprim17ROCPRIM_400000_NS6detail17trampoline_kernelINS0_14default_configENS1_38merge_sort_block_merge_config_selectorIlNS0_10empty_typeEEEZZNS1_27merge_sort_block_merge_implIS3_PlPS5_mZN2at6native12_GLOBAL__N_124unique_dim_cuda_templateIN3c104HalfEEESt5tupleIJNSA_6TensorESH_SH_EERKSH_lbbbEUlllE_EE10hipError_tT0_T1_T2_jT3_P12ihipStream_tbPNSt15iterator_traitsISN_E10value_typeEPNST_ISO_E10value_typeEPSP_NS1_7vsmem_tEENKUlT_SN_SO_SP_E_clIS8_S8_S9_S9_EESM_S12_SN_SO_SP_EUlS12_E1_NS1_11comp_targetILNS1_3genE8ELNS1_11target_archE1030ELNS1_3gpuE2ELNS1_3repE0EEENS1_36merge_oddeven_config_static_selectorELNS0_4arch9wavefront6targetE1EEEvSO_
; %bb.0:
	.section	.rodata,"a",@progbits
	.p2align	6, 0x0
	.amdhsa_kernel _ZN7rocprim17ROCPRIM_400000_NS6detail17trampoline_kernelINS0_14default_configENS1_38merge_sort_block_merge_config_selectorIlNS0_10empty_typeEEEZZNS1_27merge_sort_block_merge_implIS3_PlPS5_mZN2at6native12_GLOBAL__N_124unique_dim_cuda_templateIN3c104HalfEEESt5tupleIJNSA_6TensorESH_SH_EERKSH_lbbbEUlllE_EE10hipError_tT0_T1_T2_jT3_P12ihipStream_tbPNSt15iterator_traitsISN_E10value_typeEPNST_ISO_E10value_typeEPSP_NS1_7vsmem_tEENKUlT_SN_SO_SP_E_clIS8_S8_S9_S9_EESM_S12_SN_SO_SP_EUlS12_E1_NS1_11comp_targetILNS1_3genE8ELNS1_11target_archE1030ELNS1_3gpuE2ELNS1_3repE0EEENS1_36merge_oddeven_config_static_selectorELNS0_4arch9wavefront6targetE1EEEvSO_
		.amdhsa_group_segment_fixed_size 0
		.amdhsa_private_segment_fixed_size 0
		.amdhsa_kernarg_size 64
		.amdhsa_user_sgpr_count 2
		.amdhsa_user_sgpr_dispatch_ptr 0
		.amdhsa_user_sgpr_queue_ptr 0
		.amdhsa_user_sgpr_kernarg_segment_ptr 1
		.amdhsa_user_sgpr_dispatch_id 0
		.amdhsa_user_sgpr_kernarg_preload_length 0
		.amdhsa_user_sgpr_kernarg_preload_offset 0
		.amdhsa_user_sgpr_private_segment_size 0
		.amdhsa_uses_dynamic_stack 0
		.amdhsa_enable_private_segment 0
		.amdhsa_system_sgpr_workgroup_id_x 1
		.amdhsa_system_sgpr_workgroup_id_y 0
		.amdhsa_system_sgpr_workgroup_id_z 0
		.amdhsa_system_sgpr_workgroup_info 0
		.amdhsa_system_vgpr_workitem_id 0
		.amdhsa_next_free_vgpr 1
		.amdhsa_next_free_sgpr 0
		.amdhsa_accum_offset 4
		.amdhsa_reserve_vcc 0
		.amdhsa_float_round_mode_32 0
		.amdhsa_float_round_mode_16_64 0
		.amdhsa_float_denorm_mode_32 3
		.amdhsa_float_denorm_mode_16_64 3
		.amdhsa_dx10_clamp 1
		.amdhsa_ieee_mode 1
		.amdhsa_fp16_overflow 0
		.amdhsa_tg_split 0
		.amdhsa_exception_fp_ieee_invalid_op 0
		.amdhsa_exception_fp_denorm_src 0
		.amdhsa_exception_fp_ieee_div_zero 0
		.amdhsa_exception_fp_ieee_overflow 0
		.amdhsa_exception_fp_ieee_underflow 0
		.amdhsa_exception_fp_ieee_inexact 0
		.amdhsa_exception_int_div_zero 0
	.end_amdhsa_kernel
	.section	.text._ZN7rocprim17ROCPRIM_400000_NS6detail17trampoline_kernelINS0_14default_configENS1_38merge_sort_block_merge_config_selectorIlNS0_10empty_typeEEEZZNS1_27merge_sort_block_merge_implIS3_PlPS5_mZN2at6native12_GLOBAL__N_124unique_dim_cuda_templateIN3c104HalfEEESt5tupleIJNSA_6TensorESH_SH_EERKSH_lbbbEUlllE_EE10hipError_tT0_T1_T2_jT3_P12ihipStream_tbPNSt15iterator_traitsISN_E10value_typeEPNST_ISO_E10value_typeEPSP_NS1_7vsmem_tEENKUlT_SN_SO_SP_E_clIS8_S8_S9_S9_EESM_S12_SN_SO_SP_EUlS12_E1_NS1_11comp_targetILNS1_3genE8ELNS1_11target_archE1030ELNS1_3gpuE2ELNS1_3repE0EEENS1_36merge_oddeven_config_static_selectorELNS0_4arch9wavefront6targetE1EEEvSO_,"axG",@progbits,_ZN7rocprim17ROCPRIM_400000_NS6detail17trampoline_kernelINS0_14default_configENS1_38merge_sort_block_merge_config_selectorIlNS0_10empty_typeEEEZZNS1_27merge_sort_block_merge_implIS3_PlPS5_mZN2at6native12_GLOBAL__N_124unique_dim_cuda_templateIN3c104HalfEEESt5tupleIJNSA_6TensorESH_SH_EERKSH_lbbbEUlllE_EE10hipError_tT0_T1_T2_jT3_P12ihipStream_tbPNSt15iterator_traitsISN_E10value_typeEPNST_ISO_E10value_typeEPSP_NS1_7vsmem_tEENKUlT_SN_SO_SP_E_clIS8_S8_S9_S9_EESM_S12_SN_SO_SP_EUlS12_E1_NS1_11comp_targetILNS1_3genE8ELNS1_11target_archE1030ELNS1_3gpuE2ELNS1_3repE0EEENS1_36merge_oddeven_config_static_selectorELNS0_4arch9wavefront6targetE1EEEvSO_,comdat
.Lfunc_end1279:
	.size	_ZN7rocprim17ROCPRIM_400000_NS6detail17trampoline_kernelINS0_14default_configENS1_38merge_sort_block_merge_config_selectorIlNS0_10empty_typeEEEZZNS1_27merge_sort_block_merge_implIS3_PlPS5_mZN2at6native12_GLOBAL__N_124unique_dim_cuda_templateIN3c104HalfEEESt5tupleIJNSA_6TensorESH_SH_EERKSH_lbbbEUlllE_EE10hipError_tT0_T1_T2_jT3_P12ihipStream_tbPNSt15iterator_traitsISN_E10value_typeEPNST_ISO_E10value_typeEPSP_NS1_7vsmem_tEENKUlT_SN_SO_SP_E_clIS8_S8_S9_S9_EESM_S12_SN_SO_SP_EUlS12_E1_NS1_11comp_targetILNS1_3genE8ELNS1_11target_archE1030ELNS1_3gpuE2ELNS1_3repE0EEENS1_36merge_oddeven_config_static_selectorELNS0_4arch9wavefront6targetE1EEEvSO_, .Lfunc_end1279-_ZN7rocprim17ROCPRIM_400000_NS6detail17trampoline_kernelINS0_14default_configENS1_38merge_sort_block_merge_config_selectorIlNS0_10empty_typeEEEZZNS1_27merge_sort_block_merge_implIS3_PlPS5_mZN2at6native12_GLOBAL__N_124unique_dim_cuda_templateIN3c104HalfEEESt5tupleIJNSA_6TensorESH_SH_EERKSH_lbbbEUlllE_EE10hipError_tT0_T1_T2_jT3_P12ihipStream_tbPNSt15iterator_traitsISN_E10value_typeEPNST_ISO_E10value_typeEPSP_NS1_7vsmem_tEENKUlT_SN_SO_SP_E_clIS8_S8_S9_S9_EESM_S12_SN_SO_SP_EUlS12_E1_NS1_11comp_targetILNS1_3genE8ELNS1_11target_archE1030ELNS1_3gpuE2ELNS1_3repE0EEENS1_36merge_oddeven_config_static_selectorELNS0_4arch9wavefront6targetE1EEEvSO_
                                        ; -- End function
	.section	.AMDGPU.csdata,"",@progbits
; Kernel info:
; codeLenInByte = 0
; NumSgprs: 6
; NumVgprs: 0
; NumAgprs: 0
; TotalNumVgprs: 0
; ScratchSize: 0
; MemoryBound: 0
; FloatMode: 240
; IeeeMode: 1
; LDSByteSize: 0 bytes/workgroup (compile time only)
; SGPRBlocks: 0
; VGPRBlocks: 0
; NumSGPRsForWavesPerEU: 6
; NumVGPRsForWavesPerEU: 1
; AccumOffset: 4
; Occupancy: 8
; WaveLimiterHint : 0
; COMPUTE_PGM_RSRC2:SCRATCH_EN: 0
; COMPUTE_PGM_RSRC2:USER_SGPR: 2
; COMPUTE_PGM_RSRC2:TRAP_HANDLER: 0
; COMPUTE_PGM_RSRC2:TGID_X_EN: 1
; COMPUTE_PGM_RSRC2:TGID_Y_EN: 0
; COMPUTE_PGM_RSRC2:TGID_Z_EN: 0
; COMPUTE_PGM_RSRC2:TIDIG_COMP_CNT: 0
; COMPUTE_PGM_RSRC3_GFX90A:ACCUM_OFFSET: 0
; COMPUTE_PGM_RSRC3_GFX90A:TG_SPLIT: 0
	.section	.text._ZN7rocprim17ROCPRIM_400000_NS6detail17trampoline_kernelINS0_14default_configENS1_35adjacent_difference_config_selectorILb0ElEEZNS1_24adjacent_difference_implIS3_Lb0ELb0EPlS7_ZN2at6native12_GLOBAL__N_124unique_dim_cuda_templateIN3c104HalfEEESt5tupleIJNS8_6TensorESF_SF_EERKSF_lbbbEUlllE1_EE10hipError_tPvRmT2_T3_mT4_P12ihipStream_tbEUlT_E_NS1_11comp_targetILNS1_3genE0ELNS1_11target_archE4294967295ELNS1_3gpuE0ELNS1_3repE0EEENS1_30default_config_static_selectorELNS0_4arch9wavefront6targetE1EEEvT1_,"axG",@progbits,_ZN7rocprim17ROCPRIM_400000_NS6detail17trampoline_kernelINS0_14default_configENS1_35adjacent_difference_config_selectorILb0ElEEZNS1_24adjacent_difference_implIS3_Lb0ELb0EPlS7_ZN2at6native12_GLOBAL__N_124unique_dim_cuda_templateIN3c104HalfEEESt5tupleIJNS8_6TensorESF_SF_EERKSF_lbbbEUlllE1_EE10hipError_tPvRmT2_T3_mT4_P12ihipStream_tbEUlT_E_NS1_11comp_targetILNS1_3genE0ELNS1_11target_archE4294967295ELNS1_3gpuE0ELNS1_3repE0EEENS1_30default_config_static_selectorELNS0_4arch9wavefront6targetE1EEEvT1_,comdat
	.globl	_ZN7rocprim17ROCPRIM_400000_NS6detail17trampoline_kernelINS0_14default_configENS1_35adjacent_difference_config_selectorILb0ElEEZNS1_24adjacent_difference_implIS3_Lb0ELb0EPlS7_ZN2at6native12_GLOBAL__N_124unique_dim_cuda_templateIN3c104HalfEEESt5tupleIJNS8_6TensorESF_SF_EERKSF_lbbbEUlllE1_EE10hipError_tPvRmT2_T3_mT4_P12ihipStream_tbEUlT_E_NS1_11comp_targetILNS1_3genE0ELNS1_11target_archE4294967295ELNS1_3gpuE0ELNS1_3repE0EEENS1_30default_config_static_selectorELNS0_4arch9wavefront6targetE1EEEvT1_ ; -- Begin function _ZN7rocprim17ROCPRIM_400000_NS6detail17trampoline_kernelINS0_14default_configENS1_35adjacent_difference_config_selectorILb0ElEEZNS1_24adjacent_difference_implIS3_Lb0ELb0EPlS7_ZN2at6native12_GLOBAL__N_124unique_dim_cuda_templateIN3c104HalfEEESt5tupleIJNS8_6TensorESF_SF_EERKSF_lbbbEUlllE1_EE10hipError_tPvRmT2_T3_mT4_P12ihipStream_tbEUlT_E_NS1_11comp_targetILNS1_3genE0ELNS1_11target_archE4294967295ELNS1_3gpuE0ELNS1_3repE0EEENS1_30default_config_static_selectorELNS0_4arch9wavefront6targetE1EEEvT1_
	.p2align	8
	.type	_ZN7rocprim17ROCPRIM_400000_NS6detail17trampoline_kernelINS0_14default_configENS1_35adjacent_difference_config_selectorILb0ElEEZNS1_24adjacent_difference_implIS3_Lb0ELb0EPlS7_ZN2at6native12_GLOBAL__N_124unique_dim_cuda_templateIN3c104HalfEEESt5tupleIJNS8_6TensorESF_SF_EERKSF_lbbbEUlllE1_EE10hipError_tPvRmT2_T3_mT4_P12ihipStream_tbEUlT_E_NS1_11comp_targetILNS1_3genE0ELNS1_11target_archE4294967295ELNS1_3gpuE0ELNS1_3repE0EEENS1_30default_config_static_selectorELNS0_4arch9wavefront6targetE1EEEvT1_,@function
_ZN7rocprim17ROCPRIM_400000_NS6detail17trampoline_kernelINS0_14default_configENS1_35adjacent_difference_config_selectorILb0ElEEZNS1_24adjacent_difference_implIS3_Lb0ELb0EPlS7_ZN2at6native12_GLOBAL__N_124unique_dim_cuda_templateIN3c104HalfEEESt5tupleIJNS8_6TensorESF_SF_EERKSF_lbbbEUlllE1_EE10hipError_tPvRmT2_T3_mT4_P12ihipStream_tbEUlT_E_NS1_11comp_targetILNS1_3genE0ELNS1_11target_archE4294967295ELNS1_3gpuE0ELNS1_3repE0EEENS1_30default_config_static_selectorELNS0_4arch9wavefront6targetE1EEEvT1_: ; @_ZN7rocprim17ROCPRIM_400000_NS6detail17trampoline_kernelINS0_14default_configENS1_35adjacent_difference_config_selectorILb0ElEEZNS1_24adjacent_difference_implIS3_Lb0ELb0EPlS7_ZN2at6native12_GLOBAL__N_124unique_dim_cuda_templateIN3c104HalfEEESt5tupleIJNS8_6TensorESF_SF_EERKSF_lbbbEUlllE1_EE10hipError_tPvRmT2_T3_mT4_P12ihipStream_tbEUlT_E_NS1_11comp_targetILNS1_3genE0ELNS1_11target_archE4294967295ELNS1_3gpuE0ELNS1_3repE0EEENS1_30default_config_static_selectorELNS0_4arch9wavefront6targetE1EEEvT1_
; %bb.0:
	.section	.rodata,"a",@progbits
	.p2align	6, 0x0
	.amdhsa_kernel _ZN7rocprim17ROCPRIM_400000_NS6detail17trampoline_kernelINS0_14default_configENS1_35adjacent_difference_config_selectorILb0ElEEZNS1_24adjacent_difference_implIS3_Lb0ELb0EPlS7_ZN2at6native12_GLOBAL__N_124unique_dim_cuda_templateIN3c104HalfEEESt5tupleIJNS8_6TensorESF_SF_EERKSF_lbbbEUlllE1_EE10hipError_tPvRmT2_T3_mT4_P12ihipStream_tbEUlT_E_NS1_11comp_targetILNS1_3genE0ELNS1_11target_archE4294967295ELNS1_3gpuE0ELNS1_3repE0EEENS1_30default_config_static_selectorELNS0_4arch9wavefront6targetE1EEEvT1_
		.amdhsa_group_segment_fixed_size 0
		.amdhsa_private_segment_fixed_size 0
		.amdhsa_kernarg_size 64
		.amdhsa_user_sgpr_count 2
		.amdhsa_user_sgpr_dispatch_ptr 0
		.amdhsa_user_sgpr_queue_ptr 0
		.amdhsa_user_sgpr_kernarg_segment_ptr 1
		.amdhsa_user_sgpr_dispatch_id 0
		.amdhsa_user_sgpr_kernarg_preload_length 0
		.amdhsa_user_sgpr_kernarg_preload_offset 0
		.amdhsa_user_sgpr_private_segment_size 0
		.amdhsa_uses_dynamic_stack 0
		.amdhsa_enable_private_segment 0
		.amdhsa_system_sgpr_workgroup_id_x 1
		.amdhsa_system_sgpr_workgroup_id_y 0
		.amdhsa_system_sgpr_workgroup_id_z 0
		.amdhsa_system_sgpr_workgroup_info 0
		.amdhsa_system_vgpr_workitem_id 0
		.amdhsa_next_free_vgpr 1
		.amdhsa_next_free_sgpr 0
		.amdhsa_accum_offset 4
		.amdhsa_reserve_vcc 0
		.amdhsa_float_round_mode_32 0
		.amdhsa_float_round_mode_16_64 0
		.amdhsa_float_denorm_mode_32 3
		.amdhsa_float_denorm_mode_16_64 3
		.amdhsa_dx10_clamp 1
		.amdhsa_ieee_mode 1
		.amdhsa_fp16_overflow 0
		.amdhsa_tg_split 0
		.amdhsa_exception_fp_ieee_invalid_op 0
		.amdhsa_exception_fp_denorm_src 0
		.amdhsa_exception_fp_ieee_div_zero 0
		.amdhsa_exception_fp_ieee_overflow 0
		.amdhsa_exception_fp_ieee_underflow 0
		.amdhsa_exception_fp_ieee_inexact 0
		.amdhsa_exception_int_div_zero 0
	.end_amdhsa_kernel
	.section	.text._ZN7rocprim17ROCPRIM_400000_NS6detail17trampoline_kernelINS0_14default_configENS1_35adjacent_difference_config_selectorILb0ElEEZNS1_24adjacent_difference_implIS3_Lb0ELb0EPlS7_ZN2at6native12_GLOBAL__N_124unique_dim_cuda_templateIN3c104HalfEEESt5tupleIJNS8_6TensorESF_SF_EERKSF_lbbbEUlllE1_EE10hipError_tPvRmT2_T3_mT4_P12ihipStream_tbEUlT_E_NS1_11comp_targetILNS1_3genE0ELNS1_11target_archE4294967295ELNS1_3gpuE0ELNS1_3repE0EEENS1_30default_config_static_selectorELNS0_4arch9wavefront6targetE1EEEvT1_,"axG",@progbits,_ZN7rocprim17ROCPRIM_400000_NS6detail17trampoline_kernelINS0_14default_configENS1_35adjacent_difference_config_selectorILb0ElEEZNS1_24adjacent_difference_implIS3_Lb0ELb0EPlS7_ZN2at6native12_GLOBAL__N_124unique_dim_cuda_templateIN3c104HalfEEESt5tupleIJNS8_6TensorESF_SF_EERKSF_lbbbEUlllE1_EE10hipError_tPvRmT2_T3_mT4_P12ihipStream_tbEUlT_E_NS1_11comp_targetILNS1_3genE0ELNS1_11target_archE4294967295ELNS1_3gpuE0ELNS1_3repE0EEENS1_30default_config_static_selectorELNS0_4arch9wavefront6targetE1EEEvT1_,comdat
.Lfunc_end1280:
	.size	_ZN7rocprim17ROCPRIM_400000_NS6detail17trampoline_kernelINS0_14default_configENS1_35adjacent_difference_config_selectorILb0ElEEZNS1_24adjacent_difference_implIS3_Lb0ELb0EPlS7_ZN2at6native12_GLOBAL__N_124unique_dim_cuda_templateIN3c104HalfEEESt5tupleIJNS8_6TensorESF_SF_EERKSF_lbbbEUlllE1_EE10hipError_tPvRmT2_T3_mT4_P12ihipStream_tbEUlT_E_NS1_11comp_targetILNS1_3genE0ELNS1_11target_archE4294967295ELNS1_3gpuE0ELNS1_3repE0EEENS1_30default_config_static_selectorELNS0_4arch9wavefront6targetE1EEEvT1_, .Lfunc_end1280-_ZN7rocprim17ROCPRIM_400000_NS6detail17trampoline_kernelINS0_14default_configENS1_35adjacent_difference_config_selectorILb0ElEEZNS1_24adjacent_difference_implIS3_Lb0ELb0EPlS7_ZN2at6native12_GLOBAL__N_124unique_dim_cuda_templateIN3c104HalfEEESt5tupleIJNS8_6TensorESF_SF_EERKSF_lbbbEUlllE1_EE10hipError_tPvRmT2_T3_mT4_P12ihipStream_tbEUlT_E_NS1_11comp_targetILNS1_3genE0ELNS1_11target_archE4294967295ELNS1_3gpuE0ELNS1_3repE0EEENS1_30default_config_static_selectorELNS0_4arch9wavefront6targetE1EEEvT1_
                                        ; -- End function
	.section	.AMDGPU.csdata,"",@progbits
; Kernel info:
; codeLenInByte = 0
; NumSgprs: 6
; NumVgprs: 0
; NumAgprs: 0
; TotalNumVgprs: 0
; ScratchSize: 0
; MemoryBound: 0
; FloatMode: 240
; IeeeMode: 1
; LDSByteSize: 0 bytes/workgroup (compile time only)
; SGPRBlocks: 0
; VGPRBlocks: 0
; NumSGPRsForWavesPerEU: 6
; NumVGPRsForWavesPerEU: 1
; AccumOffset: 4
; Occupancy: 8
; WaveLimiterHint : 0
; COMPUTE_PGM_RSRC2:SCRATCH_EN: 0
; COMPUTE_PGM_RSRC2:USER_SGPR: 2
; COMPUTE_PGM_RSRC2:TRAP_HANDLER: 0
; COMPUTE_PGM_RSRC2:TGID_X_EN: 1
; COMPUTE_PGM_RSRC2:TGID_Y_EN: 0
; COMPUTE_PGM_RSRC2:TGID_Z_EN: 0
; COMPUTE_PGM_RSRC2:TIDIG_COMP_CNT: 0
; COMPUTE_PGM_RSRC3_GFX90A:ACCUM_OFFSET: 0
; COMPUTE_PGM_RSRC3_GFX90A:TG_SPLIT: 0
	.section	.text._ZN7rocprim17ROCPRIM_400000_NS6detail17trampoline_kernelINS0_14default_configENS1_35adjacent_difference_config_selectorILb0ElEEZNS1_24adjacent_difference_implIS3_Lb0ELb0EPlS7_ZN2at6native12_GLOBAL__N_124unique_dim_cuda_templateIN3c104HalfEEESt5tupleIJNS8_6TensorESF_SF_EERKSF_lbbbEUlllE1_EE10hipError_tPvRmT2_T3_mT4_P12ihipStream_tbEUlT_E_NS1_11comp_targetILNS1_3genE10ELNS1_11target_archE1201ELNS1_3gpuE5ELNS1_3repE0EEENS1_30default_config_static_selectorELNS0_4arch9wavefront6targetE1EEEvT1_,"axG",@progbits,_ZN7rocprim17ROCPRIM_400000_NS6detail17trampoline_kernelINS0_14default_configENS1_35adjacent_difference_config_selectorILb0ElEEZNS1_24adjacent_difference_implIS3_Lb0ELb0EPlS7_ZN2at6native12_GLOBAL__N_124unique_dim_cuda_templateIN3c104HalfEEESt5tupleIJNS8_6TensorESF_SF_EERKSF_lbbbEUlllE1_EE10hipError_tPvRmT2_T3_mT4_P12ihipStream_tbEUlT_E_NS1_11comp_targetILNS1_3genE10ELNS1_11target_archE1201ELNS1_3gpuE5ELNS1_3repE0EEENS1_30default_config_static_selectorELNS0_4arch9wavefront6targetE1EEEvT1_,comdat
	.globl	_ZN7rocprim17ROCPRIM_400000_NS6detail17trampoline_kernelINS0_14default_configENS1_35adjacent_difference_config_selectorILb0ElEEZNS1_24adjacent_difference_implIS3_Lb0ELb0EPlS7_ZN2at6native12_GLOBAL__N_124unique_dim_cuda_templateIN3c104HalfEEESt5tupleIJNS8_6TensorESF_SF_EERKSF_lbbbEUlllE1_EE10hipError_tPvRmT2_T3_mT4_P12ihipStream_tbEUlT_E_NS1_11comp_targetILNS1_3genE10ELNS1_11target_archE1201ELNS1_3gpuE5ELNS1_3repE0EEENS1_30default_config_static_selectorELNS0_4arch9wavefront6targetE1EEEvT1_ ; -- Begin function _ZN7rocprim17ROCPRIM_400000_NS6detail17trampoline_kernelINS0_14default_configENS1_35adjacent_difference_config_selectorILb0ElEEZNS1_24adjacent_difference_implIS3_Lb0ELb0EPlS7_ZN2at6native12_GLOBAL__N_124unique_dim_cuda_templateIN3c104HalfEEESt5tupleIJNS8_6TensorESF_SF_EERKSF_lbbbEUlllE1_EE10hipError_tPvRmT2_T3_mT4_P12ihipStream_tbEUlT_E_NS1_11comp_targetILNS1_3genE10ELNS1_11target_archE1201ELNS1_3gpuE5ELNS1_3repE0EEENS1_30default_config_static_selectorELNS0_4arch9wavefront6targetE1EEEvT1_
	.p2align	8
	.type	_ZN7rocprim17ROCPRIM_400000_NS6detail17trampoline_kernelINS0_14default_configENS1_35adjacent_difference_config_selectorILb0ElEEZNS1_24adjacent_difference_implIS3_Lb0ELb0EPlS7_ZN2at6native12_GLOBAL__N_124unique_dim_cuda_templateIN3c104HalfEEESt5tupleIJNS8_6TensorESF_SF_EERKSF_lbbbEUlllE1_EE10hipError_tPvRmT2_T3_mT4_P12ihipStream_tbEUlT_E_NS1_11comp_targetILNS1_3genE10ELNS1_11target_archE1201ELNS1_3gpuE5ELNS1_3repE0EEENS1_30default_config_static_selectorELNS0_4arch9wavefront6targetE1EEEvT1_,@function
_ZN7rocprim17ROCPRIM_400000_NS6detail17trampoline_kernelINS0_14default_configENS1_35adjacent_difference_config_selectorILb0ElEEZNS1_24adjacent_difference_implIS3_Lb0ELb0EPlS7_ZN2at6native12_GLOBAL__N_124unique_dim_cuda_templateIN3c104HalfEEESt5tupleIJNS8_6TensorESF_SF_EERKSF_lbbbEUlllE1_EE10hipError_tPvRmT2_T3_mT4_P12ihipStream_tbEUlT_E_NS1_11comp_targetILNS1_3genE10ELNS1_11target_archE1201ELNS1_3gpuE5ELNS1_3repE0EEENS1_30default_config_static_selectorELNS0_4arch9wavefront6targetE1EEEvT1_: ; @_ZN7rocprim17ROCPRIM_400000_NS6detail17trampoline_kernelINS0_14default_configENS1_35adjacent_difference_config_selectorILb0ElEEZNS1_24adjacent_difference_implIS3_Lb0ELb0EPlS7_ZN2at6native12_GLOBAL__N_124unique_dim_cuda_templateIN3c104HalfEEESt5tupleIJNS8_6TensorESF_SF_EERKSF_lbbbEUlllE1_EE10hipError_tPvRmT2_T3_mT4_P12ihipStream_tbEUlT_E_NS1_11comp_targetILNS1_3genE10ELNS1_11target_archE1201ELNS1_3gpuE5ELNS1_3repE0EEENS1_30default_config_static_selectorELNS0_4arch9wavefront6targetE1EEEvT1_
; %bb.0:
	.section	.rodata,"a",@progbits
	.p2align	6, 0x0
	.amdhsa_kernel _ZN7rocprim17ROCPRIM_400000_NS6detail17trampoline_kernelINS0_14default_configENS1_35adjacent_difference_config_selectorILb0ElEEZNS1_24adjacent_difference_implIS3_Lb0ELb0EPlS7_ZN2at6native12_GLOBAL__N_124unique_dim_cuda_templateIN3c104HalfEEESt5tupleIJNS8_6TensorESF_SF_EERKSF_lbbbEUlllE1_EE10hipError_tPvRmT2_T3_mT4_P12ihipStream_tbEUlT_E_NS1_11comp_targetILNS1_3genE10ELNS1_11target_archE1201ELNS1_3gpuE5ELNS1_3repE0EEENS1_30default_config_static_selectorELNS0_4arch9wavefront6targetE1EEEvT1_
		.amdhsa_group_segment_fixed_size 0
		.amdhsa_private_segment_fixed_size 0
		.amdhsa_kernarg_size 64
		.amdhsa_user_sgpr_count 2
		.amdhsa_user_sgpr_dispatch_ptr 0
		.amdhsa_user_sgpr_queue_ptr 0
		.amdhsa_user_sgpr_kernarg_segment_ptr 1
		.amdhsa_user_sgpr_dispatch_id 0
		.amdhsa_user_sgpr_kernarg_preload_length 0
		.amdhsa_user_sgpr_kernarg_preload_offset 0
		.amdhsa_user_sgpr_private_segment_size 0
		.amdhsa_uses_dynamic_stack 0
		.amdhsa_enable_private_segment 0
		.amdhsa_system_sgpr_workgroup_id_x 1
		.amdhsa_system_sgpr_workgroup_id_y 0
		.amdhsa_system_sgpr_workgroup_id_z 0
		.amdhsa_system_sgpr_workgroup_info 0
		.amdhsa_system_vgpr_workitem_id 0
		.amdhsa_next_free_vgpr 1
		.amdhsa_next_free_sgpr 0
		.amdhsa_accum_offset 4
		.amdhsa_reserve_vcc 0
		.amdhsa_float_round_mode_32 0
		.amdhsa_float_round_mode_16_64 0
		.amdhsa_float_denorm_mode_32 3
		.amdhsa_float_denorm_mode_16_64 3
		.amdhsa_dx10_clamp 1
		.amdhsa_ieee_mode 1
		.amdhsa_fp16_overflow 0
		.amdhsa_tg_split 0
		.amdhsa_exception_fp_ieee_invalid_op 0
		.amdhsa_exception_fp_denorm_src 0
		.amdhsa_exception_fp_ieee_div_zero 0
		.amdhsa_exception_fp_ieee_overflow 0
		.amdhsa_exception_fp_ieee_underflow 0
		.amdhsa_exception_fp_ieee_inexact 0
		.amdhsa_exception_int_div_zero 0
	.end_amdhsa_kernel
	.section	.text._ZN7rocprim17ROCPRIM_400000_NS6detail17trampoline_kernelINS0_14default_configENS1_35adjacent_difference_config_selectorILb0ElEEZNS1_24adjacent_difference_implIS3_Lb0ELb0EPlS7_ZN2at6native12_GLOBAL__N_124unique_dim_cuda_templateIN3c104HalfEEESt5tupleIJNS8_6TensorESF_SF_EERKSF_lbbbEUlllE1_EE10hipError_tPvRmT2_T3_mT4_P12ihipStream_tbEUlT_E_NS1_11comp_targetILNS1_3genE10ELNS1_11target_archE1201ELNS1_3gpuE5ELNS1_3repE0EEENS1_30default_config_static_selectorELNS0_4arch9wavefront6targetE1EEEvT1_,"axG",@progbits,_ZN7rocprim17ROCPRIM_400000_NS6detail17trampoline_kernelINS0_14default_configENS1_35adjacent_difference_config_selectorILb0ElEEZNS1_24adjacent_difference_implIS3_Lb0ELb0EPlS7_ZN2at6native12_GLOBAL__N_124unique_dim_cuda_templateIN3c104HalfEEESt5tupleIJNS8_6TensorESF_SF_EERKSF_lbbbEUlllE1_EE10hipError_tPvRmT2_T3_mT4_P12ihipStream_tbEUlT_E_NS1_11comp_targetILNS1_3genE10ELNS1_11target_archE1201ELNS1_3gpuE5ELNS1_3repE0EEENS1_30default_config_static_selectorELNS0_4arch9wavefront6targetE1EEEvT1_,comdat
.Lfunc_end1281:
	.size	_ZN7rocprim17ROCPRIM_400000_NS6detail17trampoline_kernelINS0_14default_configENS1_35adjacent_difference_config_selectorILb0ElEEZNS1_24adjacent_difference_implIS3_Lb0ELb0EPlS7_ZN2at6native12_GLOBAL__N_124unique_dim_cuda_templateIN3c104HalfEEESt5tupleIJNS8_6TensorESF_SF_EERKSF_lbbbEUlllE1_EE10hipError_tPvRmT2_T3_mT4_P12ihipStream_tbEUlT_E_NS1_11comp_targetILNS1_3genE10ELNS1_11target_archE1201ELNS1_3gpuE5ELNS1_3repE0EEENS1_30default_config_static_selectorELNS0_4arch9wavefront6targetE1EEEvT1_, .Lfunc_end1281-_ZN7rocprim17ROCPRIM_400000_NS6detail17trampoline_kernelINS0_14default_configENS1_35adjacent_difference_config_selectorILb0ElEEZNS1_24adjacent_difference_implIS3_Lb0ELb0EPlS7_ZN2at6native12_GLOBAL__N_124unique_dim_cuda_templateIN3c104HalfEEESt5tupleIJNS8_6TensorESF_SF_EERKSF_lbbbEUlllE1_EE10hipError_tPvRmT2_T3_mT4_P12ihipStream_tbEUlT_E_NS1_11comp_targetILNS1_3genE10ELNS1_11target_archE1201ELNS1_3gpuE5ELNS1_3repE0EEENS1_30default_config_static_selectorELNS0_4arch9wavefront6targetE1EEEvT1_
                                        ; -- End function
	.section	.AMDGPU.csdata,"",@progbits
; Kernel info:
; codeLenInByte = 0
; NumSgprs: 6
; NumVgprs: 0
; NumAgprs: 0
; TotalNumVgprs: 0
; ScratchSize: 0
; MemoryBound: 0
; FloatMode: 240
; IeeeMode: 1
; LDSByteSize: 0 bytes/workgroup (compile time only)
; SGPRBlocks: 0
; VGPRBlocks: 0
; NumSGPRsForWavesPerEU: 6
; NumVGPRsForWavesPerEU: 1
; AccumOffset: 4
; Occupancy: 8
; WaveLimiterHint : 0
; COMPUTE_PGM_RSRC2:SCRATCH_EN: 0
; COMPUTE_PGM_RSRC2:USER_SGPR: 2
; COMPUTE_PGM_RSRC2:TRAP_HANDLER: 0
; COMPUTE_PGM_RSRC2:TGID_X_EN: 1
; COMPUTE_PGM_RSRC2:TGID_Y_EN: 0
; COMPUTE_PGM_RSRC2:TGID_Z_EN: 0
; COMPUTE_PGM_RSRC2:TIDIG_COMP_CNT: 0
; COMPUTE_PGM_RSRC3_GFX90A:ACCUM_OFFSET: 0
; COMPUTE_PGM_RSRC3_GFX90A:TG_SPLIT: 0
	.section	.text._ZN7rocprim17ROCPRIM_400000_NS6detail17trampoline_kernelINS0_14default_configENS1_35adjacent_difference_config_selectorILb0ElEEZNS1_24adjacent_difference_implIS3_Lb0ELb0EPlS7_ZN2at6native12_GLOBAL__N_124unique_dim_cuda_templateIN3c104HalfEEESt5tupleIJNS8_6TensorESF_SF_EERKSF_lbbbEUlllE1_EE10hipError_tPvRmT2_T3_mT4_P12ihipStream_tbEUlT_E_NS1_11comp_targetILNS1_3genE5ELNS1_11target_archE942ELNS1_3gpuE9ELNS1_3repE0EEENS1_30default_config_static_selectorELNS0_4arch9wavefront6targetE1EEEvT1_,"axG",@progbits,_ZN7rocprim17ROCPRIM_400000_NS6detail17trampoline_kernelINS0_14default_configENS1_35adjacent_difference_config_selectorILb0ElEEZNS1_24adjacent_difference_implIS3_Lb0ELb0EPlS7_ZN2at6native12_GLOBAL__N_124unique_dim_cuda_templateIN3c104HalfEEESt5tupleIJNS8_6TensorESF_SF_EERKSF_lbbbEUlllE1_EE10hipError_tPvRmT2_T3_mT4_P12ihipStream_tbEUlT_E_NS1_11comp_targetILNS1_3genE5ELNS1_11target_archE942ELNS1_3gpuE9ELNS1_3repE0EEENS1_30default_config_static_selectorELNS0_4arch9wavefront6targetE1EEEvT1_,comdat
	.globl	_ZN7rocprim17ROCPRIM_400000_NS6detail17trampoline_kernelINS0_14default_configENS1_35adjacent_difference_config_selectorILb0ElEEZNS1_24adjacent_difference_implIS3_Lb0ELb0EPlS7_ZN2at6native12_GLOBAL__N_124unique_dim_cuda_templateIN3c104HalfEEESt5tupleIJNS8_6TensorESF_SF_EERKSF_lbbbEUlllE1_EE10hipError_tPvRmT2_T3_mT4_P12ihipStream_tbEUlT_E_NS1_11comp_targetILNS1_3genE5ELNS1_11target_archE942ELNS1_3gpuE9ELNS1_3repE0EEENS1_30default_config_static_selectorELNS0_4arch9wavefront6targetE1EEEvT1_ ; -- Begin function _ZN7rocprim17ROCPRIM_400000_NS6detail17trampoline_kernelINS0_14default_configENS1_35adjacent_difference_config_selectorILb0ElEEZNS1_24adjacent_difference_implIS3_Lb0ELb0EPlS7_ZN2at6native12_GLOBAL__N_124unique_dim_cuda_templateIN3c104HalfEEESt5tupleIJNS8_6TensorESF_SF_EERKSF_lbbbEUlllE1_EE10hipError_tPvRmT2_T3_mT4_P12ihipStream_tbEUlT_E_NS1_11comp_targetILNS1_3genE5ELNS1_11target_archE942ELNS1_3gpuE9ELNS1_3repE0EEENS1_30default_config_static_selectorELNS0_4arch9wavefront6targetE1EEEvT1_
	.p2align	8
	.type	_ZN7rocprim17ROCPRIM_400000_NS6detail17trampoline_kernelINS0_14default_configENS1_35adjacent_difference_config_selectorILb0ElEEZNS1_24adjacent_difference_implIS3_Lb0ELb0EPlS7_ZN2at6native12_GLOBAL__N_124unique_dim_cuda_templateIN3c104HalfEEESt5tupleIJNS8_6TensorESF_SF_EERKSF_lbbbEUlllE1_EE10hipError_tPvRmT2_T3_mT4_P12ihipStream_tbEUlT_E_NS1_11comp_targetILNS1_3genE5ELNS1_11target_archE942ELNS1_3gpuE9ELNS1_3repE0EEENS1_30default_config_static_selectorELNS0_4arch9wavefront6targetE1EEEvT1_,@function
_ZN7rocprim17ROCPRIM_400000_NS6detail17trampoline_kernelINS0_14default_configENS1_35adjacent_difference_config_selectorILb0ElEEZNS1_24adjacent_difference_implIS3_Lb0ELb0EPlS7_ZN2at6native12_GLOBAL__N_124unique_dim_cuda_templateIN3c104HalfEEESt5tupleIJNS8_6TensorESF_SF_EERKSF_lbbbEUlllE1_EE10hipError_tPvRmT2_T3_mT4_P12ihipStream_tbEUlT_E_NS1_11comp_targetILNS1_3genE5ELNS1_11target_archE942ELNS1_3gpuE9ELNS1_3repE0EEENS1_30default_config_static_selectorELNS0_4arch9wavefront6targetE1EEEvT1_: ; @_ZN7rocprim17ROCPRIM_400000_NS6detail17trampoline_kernelINS0_14default_configENS1_35adjacent_difference_config_selectorILb0ElEEZNS1_24adjacent_difference_implIS3_Lb0ELb0EPlS7_ZN2at6native12_GLOBAL__N_124unique_dim_cuda_templateIN3c104HalfEEESt5tupleIJNS8_6TensorESF_SF_EERKSF_lbbbEUlllE1_EE10hipError_tPvRmT2_T3_mT4_P12ihipStream_tbEUlT_E_NS1_11comp_targetILNS1_3genE5ELNS1_11target_archE942ELNS1_3gpuE9ELNS1_3repE0EEENS1_30default_config_static_selectorELNS0_4arch9wavefront6targetE1EEEvT1_
; %bb.0:
	s_load_dwordx8 s[4:11], s[0:1], 0x0
	s_load_dwordx4 s[12:15], s[0:1], 0x20
	s_load_dwordx2 s[18:19], s[0:1], 0x38
	s_mov_b32 s1, 0xcec4e8e0
	v_bfrev_b32_e32 v1, 1
	s_waitcnt lgkmcnt(0)
	s_lshl_b64 s[16:17], s[6:7], 3
	s_add_u32 s24, s4, s16
	s_addc_u32 s25, s5, s17
	s_add_u32 s1, 0x150, s1
	s_addc_u32 s3, 0, 0
	v_add_co_u32_e32 v1, vcc, s1, v1
	s_cmp_lg_u64 vcc, 0
	v_readfirstlane_b32 s4, v1
	s_addc_u32 s1, s3, 0x4ec4eb
	s_mul_hi_u32 s5, s4, 0xfffffcc0
	s_mul_i32 s3, s1, 0xfffffcc0
	s_sub_i32 s5, s5, s4
	s_add_i32 s5, s5, s3
	s_mul_i32 s21, s4, 0xfffffcc0
	s_mul_hi_u32 s3, s4, s5
	s_mul_i32 s20, s4, s5
	s_mul_hi_u32 s4, s4, s21
	s_add_u32 s4, s4, s20
	s_addc_u32 s3, 0, s3
	s_mul_hi_u32 s22, s1, s21
	s_mul_i32 s21, s1, s21
	s_add_u32 s4, s4, s21
	s_mul_hi_u32 s20, s1, s5
	s_addc_u32 s3, s3, s22
	s_addc_u32 s4, s20, 0
	s_mul_i32 s5, s1, s5
	s_add_u32 s3, s3, s5
	s_addc_u32 s4, 0, s4
	v_add_co_u32_e32 v1, vcc, s3, v1
	s_cmp_lg_u64 vcc, 0
	s_addc_u32 s1, s1, s4
	v_readfirstlane_b32 s5, v1
	s_mul_i32 s4, s10, s1
	s_mul_hi_u32 s20, s10, s5
	s_mul_hi_u32 s3, s10, s1
	s_add_u32 s4, s20, s4
	s_addc_u32 s3, 0, s3
	s_mul_hi_u32 s21, s11, s5
	s_mul_i32 s5, s11, s5
	s_add_u32 s4, s4, s5
	s_mul_hi_u32 s20, s11, s1
	s_addc_u32 s3, s3, s21
	s_addc_u32 s4, s20, 0
	s_mul_i32 s1, s11, s1
	s_add_u32 s1, s3, s1
	s_addc_u32 s3, 0, s4
	s_add_u32 s4, s1, 1
	s_addc_u32 s5, s3, 0
	s_add_u32 s20, s1, 2
	s_mul_i32 s22, s3, 0x340
	s_mul_hi_u32 s23, s1, 0x340
	s_addc_u32 s21, s3, 0
	s_add_i32 s23, s23, s22
	s_mul_i32 s22, s1, 0x340
	v_mov_b32_e32 v1, s22
	v_sub_co_u32_e32 v1, vcc, s10, v1
	s_movk_i32 s0, 0x340
	s_cmp_lg_u64 vcc, 0
	s_subb_u32 s22, s11, s23
	v_subrev_co_u32_e32 v2, vcc, s0, v1
	s_cmp_lg_u64 vcc, 0
	s_subb_u32 s0, s22, 0
	v_readfirstlane_b32 s23, v2
	s_cmpk_gt_u32 s23, 0x33f
	s_cselect_b32 s23, -1, 0
	s_cmp_eq_u32 s0, 0
	s_cselect_b32 s0, s23, -1
	s_cmp_lg_u32 s0, 0
	s_cselect_b32 s0, s20, s4
	s_cselect_b32 s4, s21, s5
	v_readfirstlane_b32 s5, v1
	s_cmpk_gt_u32 s5, 0x33f
	s_cselect_b32 s5, -1, 0
	s_cmp_eq_u32 s22, 0
	s_cselect_b32 s5, s5, -1
	s_cmp_lg_u32 s5, 0
	s_cselect_b32 s3, s4, s3
	s_cselect_b32 s4, s0, s1
	s_mul_i32 s0, s3, 0x340
	s_mul_hi_u32 s1, s4, 0x340
	s_add_i32 s1, s1, s0
	s_mul_i32 s0, s4, 0x340
	s_sub_u32 s0, s10, s0
	s_subb_u32 s1, s11, s1
	s_cmp_lg_u64 s[0:1], 0
	s_cselect_b64 s[0:1], -1, 0
	v_cndmask_b32_e64 v1, 0, 1, s[0:1]
	s_mul_i32 s6, s2, 0x340
	v_readfirstlane_b32 s0, v1
	s_add_u32 s4, s4, s0
	s_addc_u32 s5, s3, 0
	s_add_u32 s22, s18, s2
	s_addc_u32 s23, s19, 0
	s_add_u32 s2, s4, -1
	s_addc_u32 s3, s5, -1
	v_mov_b64_e32 v[2:3], s[2:3]
	v_cmp_ge_u64_e64 s[0:1], s[22:23], v[2:3]
	s_mov_b32 s7, 0
	s_mov_b64 s[18:19], -1
	s_and_b64 vcc, exec, s[0:1]
	s_mul_i32 s11, s2, 0xfffffcc0
	s_cbranch_vccz .LBB1282_28
; %bb.1:
	s_add_i32 s26, s11, s10
	s_lshl_b64 s[18:19], s[6:7], 3
	s_add_u32 s18, s24, s18
	s_addc_u32 s19, s25, s19
	v_cmp_gt_u32_e32 vcc, s26, v0
                                        ; implicit-def: $vgpr2_vgpr3_vgpr4_vgpr5_vgpr6_vgpr7_vgpr8_vgpr9_vgpr10_vgpr11_vgpr12_vgpr13_vgpr14_vgpr15_vgpr16_vgpr17_vgpr18_vgpr19_vgpr20_vgpr21_vgpr22_vgpr23_vgpr24_vgpr25_vgpr26_vgpr27_vgpr28_vgpr29_vgpr30_vgpr31_vgpr32_vgpr33
	s_and_saveexec_b64 s[20:21], vcc
	s_cbranch_execz .LBB1282_3
; %bb.2:
	v_lshlrev_b32_e32 v1, 3, v0
	global_load_dwordx2 v[2:3], v1, s[18:19]
.LBB1282_3:
	s_or_b64 exec, exec, s[20:21]
	v_or_b32_e32 v1, 64, v0
	v_cmp_gt_u32_e32 vcc, s26, v1
	s_and_saveexec_b64 s[20:21], vcc
	s_cbranch_execz .LBB1282_5
; %bb.4:
	v_lshlrev_b32_e32 v1, 3, v0
	global_load_dwordx2 v[4:5], v1, s[18:19] offset:512
.LBB1282_5:
	s_or_b64 exec, exec, s[20:21]
	v_or_b32_e32 v1, 0x80, v0
	v_cmp_gt_u32_e32 vcc, s26, v1
	s_and_saveexec_b64 s[20:21], vcc
	s_cbranch_execz .LBB1282_7
; %bb.6:
	v_lshlrev_b32_e32 v1, 3, v0
	global_load_dwordx2 v[6:7], v1, s[18:19] offset:1024
.LBB1282_7:
	;; [unrolled: 9-line block ×7, first 2 shown]
	s_or_b64 exec, exec, s[20:21]
	v_or_b32_e32 v1, 0x200, v0
	v_cmp_gt_u32_e32 vcc, s26, v1
	s_and_saveexec_b64 s[20:21], vcc
	s_cbranch_execz .LBB1282_19
; %bb.18:
	v_lshlrev_b32_e32 v1, 3, v1
	global_load_dwordx2 v[18:19], v1, s[18:19]
.LBB1282_19:
	s_or_b64 exec, exec, s[20:21]
	v_or_b32_e32 v1, 0x240, v0
	v_cmp_gt_u32_e32 vcc, s26, v1
	s_and_saveexec_b64 s[20:21], vcc
	s_cbranch_execz .LBB1282_21
; %bb.20:
	v_lshlrev_b32_e32 v1, 3, v1
	global_load_dwordx2 v[20:21], v1, s[18:19]
.LBB1282_21:
	;; [unrolled: 9-line block ×5, first 2 shown]
	s_or_b64 exec, exec, s[20:21]
	v_lshlrev_b32_e32 v1, 3, v0
	s_mov_b64 s[18:19], 0
	s_waitcnt vmcnt(0)
	ds_write2st64_b64 v1, v[2:3], v[4:5] offset1:1
	ds_write2st64_b64 v1, v[6:7], v[8:9] offset0:2 offset1:3
	ds_write2st64_b64 v1, v[10:11], v[12:13] offset0:4 offset1:5
	;; [unrolled: 1-line block ×5, first 2 shown]
	ds_write_b64 v1, v[26:27] offset:6144
	s_waitcnt lgkmcnt(0)
	; wave barrier
.LBB1282_28:
	s_and_b64 vcc, exec, s[18:19]
	v_lshlrev_b32_e32 v48, 3, v0
	s_cbranch_vccz .LBB1282_30
; %bb.29:
	s_lshl_b64 s[18:19], s[6:7], 3
	s_add_u32 s18, s24, s18
	s_addc_u32 s19, s25, s19
	v_mov_b32_e32 v49, 0
	v_lshl_add_u64 v[2:3], s[18:19], 0, v[48:49]
	s_movk_i32 s7, 0x1000
	v_add_co_u32_e32 v2, vcc, s7, v2
	global_load_dwordx2 v[4:5], v48, s[18:19]
	global_load_dwordx2 v[6:7], v48, s[18:19] offset:512
	global_load_dwordx2 v[8:9], v48, s[18:19] offset:1024
	;; [unrolled: 1-line block ×7, first 2 shown]
	v_addc_co_u32_e32 v3, vcc, 0, v3, vcc
	global_load_dwordx2 v[20:21], v[2:3], off
	global_load_dwordx2 v[22:23], v[2:3], off offset:512
	global_load_dwordx2 v[24:25], v[2:3], off offset:1024
	;; [unrolled: 1-line block ×4, first 2 shown]
	s_waitcnt vmcnt(11)
	ds_write2st64_b64 v48, v[4:5], v[6:7] offset1:1
	s_waitcnt vmcnt(9)
	ds_write2st64_b64 v48, v[8:9], v[10:11] offset0:2 offset1:3
	s_waitcnt vmcnt(7)
	ds_write2st64_b64 v48, v[12:13], v[14:15] offset0:4 offset1:5
	s_waitcnt vmcnt(5)
	ds_write2st64_b64 v48, v[16:17], v[18:19] offset0:6 offset1:7
	s_waitcnt vmcnt(3)
	ds_write2st64_b64 v48, v[20:21], v[22:23] offset0:8 offset1:9
	s_waitcnt vmcnt(1)
	ds_write2st64_b64 v48, v[24:25], v[26:27] offset0:10 offset1:11
	s_waitcnt vmcnt(0)
	ds_write_b64 v48, v[28:29] offset:6144
	s_waitcnt lgkmcnt(0)
	; wave barrier
.LBB1282_30:
	v_mul_u32_u24_e32 v1, 13, v0
	v_lshlrev_b32_e32 v1, 3, v1
	s_waitcnt lgkmcnt(0)
	ds_read2_b64 v[2:5], v1 offset1:1
	ds_read2_b64 v[6:9], v1 offset0:2 offset1:3
	ds_read2_b64 v[10:13], v1 offset0:4 offset1:5
	;; [unrolled: 1-line block ×5, first 2 shown]
	ds_read_b64 v[44:45], v1 offset:96
	s_cmp_eq_u64 s[22:23], 0
	s_mov_b64 s[18:19], 0
	s_waitcnt lgkmcnt(0)
	; wave barrier
	s_waitcnt lgkmcnt(0)
	s_cbranch_scc1 .LBB1282_39
; %bb.31:
	s_mov_b32 s7, 0
	s_lshl_b64 s[20:21], s[6:7], 3
	s_add_u32 s7, s24, s20
	s_addc_u32 s21, s25, s21
	s_add_u32 s20, s7, -8
	s_addc_u32 s21, s21, -1
	s_load_dwordx2 s[20:21], s[20:21], 0x0
	s_cmp_lg_u64 s[22:23], s[2:3]
	s_cbranch_scc0 .LBB1282_40
; %bb.32:
	v_mul_lo_u32 v1, v25, s12
	v_mul_lo_u32 v28, v24, s13
	v_mad_u64_u32 v[26:27], s[24:25], v24, s12, 0
	v_mov_b64_e32 v[46:47], 0
	v_cmp_lt_i64_e64 s[2:3], s[12:13], 1
	v_add3_u32 v27, v27, v28, v1
	v_cmp_gt_i64_e64 s[18:19], s[12:13], 0
	s_and_b64 vcc, exec, s[2:3]
	v_lshl_add_u64 v[26:27], v[26:27], 1, s[14:15]
	v_mov_b64_e32 v[50:51], v[46:47]
	ds_write_b64 v48, v[44:45]
	s_cbranch_vccnz .LBB1282_44
; %bb.33:
	v_mul_lo_u32 v1, v45, s12
	v_mul_lo_u32 v30, v44, s13
	v_mad_u64_u32 v[28:29], s[2:3], v44, s12, 0
	v_add3_u32 v29, v29, v30, v1
	v_lshl_add_u64 v[30:31], v[28:29], 1, s[14:15]
	global_load_ushort v1, v[30:31], off
	global_load_ushort v28, v[26:27], off
	v_mov_b64_e32 v[50:51], 1
	s_waitcnt vmcnt(0)
	v_cmp_eq_f16_e32 vcc, v1, v28
	s_and_saveexec_b64 s[2:3], vcc
	s_cbranch_execz .LBB1282_43
; %bb.34:
	s_add_u32 s24, s12, -1
	v_lshl_add_u64 v[28:29], v[26:27], 0, 2
	v_lshl_add_u64 v[30:31], v[30:31], 0, 2
	s_addc_u32 s25, s13, -1
	s_mov_b64 s[26:27], 0
	s_mov_b64 s[30:31], 0
                                        ; implicit-def: $sgpr28_sgpr29
	s_branch .LBB1282_37
.LBB1282_35:                            ;   in Loop: Header=BB1282_37 Depth=1
	global_load_ushort v1, v[30:31], off
	global_load_ushort v32, v[28:29], off
	s_add_u32 s30, s30, 1
	s_addc_u32 s31, s31, 0
	s_andn2_b64 s[28:29], s[28:29], exec
	v_lshl_add_u64 v[28:29], v[28:29], 0, 2
	v_lshl_add_u64 v[30:31], v[30:31], 0, 2
	s_waitcnt vmcnt(0)
	v_cmp_neq_f16_e32 vcc, v1, v32
	s_and_b64 s[34:35], vcc, exec
	s_or_b64 s[28:29], s[28:29], s[34:35]
.LBB1282_36:                            ;   in Loop: Header=BB1282_37 Depth=1
	s_and_b64 s[34:35], exec, s[28:29]
	s_or_b64 s[26:27], s[34:35], s[26:27]
	v_mov_b64_e32 v[32:33], s[30:31]
	s_andn2_b64 exec, exec, s[26:27]
	s_cbranch_execz .LBB1282_42
.LBB1282_37:                            ; =>This Inner Loop Header: Depth=1
	s_or_b64 s[28:29], s[28:29], exec
	s_cmp_eq_u64 s[24:25], s[30:31]
	s_cbranch_scc0 .LBB1282_35
; %bb.38:                               ;   in Loop: Header=BB1282_37 Depth=1
                                        ; implicit-def: $vgpr28_vgpr29
                                        ; implicit-def: $vgpr30_vgpr31
	s_mov_b64 s[30:31], s[12:13]
	s_branch .LBB1282_36
.LBB1282_39:
                                        ; implicit-def: $vgpr26_vgpr27_vgpr28_vgpr29
                                        ; implicit-def: $sgpr24_sgpr25
                                        ; implicit-def: $vgpr50_vgpr51
                                        ; implicit-def: $vgpr52_vgpr53
                                        ; implicit-def: $vgpr46_vgpr47
                                        ; implicit-def: $vgpr70_vgpr71
                                        ; implicit-def: $vgpr68_vgpr69
                                        ; implicit-def: $vgpr66_vgpr67
                                        ; implicit-def: $vgpr64_vgpr65
                                        ; implicit-def: $vgpr62_vgpr63
                                        ; implicit-def: $vgpr60_vgpr61
                                        ; implicit-def: $vgpr58_vgpr59
                                        ; implicit-def: $vgpr56_vgpr57
                                        ; implicit-def: $vgpr54_vgpr55
                                        ; implicit-def: $vgpr72_vgpr73
                                        ; implicit-def: $vgpr82_vgpr83
                                        ; implicit-def: $vgpr74_vgpr75
                                        ; implicit-def: $vgpr76_vgpr77
                                        ; implicit-def: $vgpr78_vgpr79
                                        ; implicit-def: $vgpr80_vgpr81
                                        ; implicit-def: $vgpr28_vgpr29_vgpr30_vgpr31
                                        ; implicit-def: $vgpr32_vgpr33_vgpr34_vgpr35
                                        ; implicit-def: $vgpr36_vgpr37_vgpr38_vgpr39
                                        ; implicit-def: $vgpr40_vgpr41_vgpr42_vgpr43
	s_cbranch_execnz .LBB1282_303
	s_branch .LBB1282_572
.LBB1282_40:
                                        ; implicit-def: $sgpr24_sgpr25
                                        ; implicit-def: $vgpr50_vgpr51
                                        ; implicit-def: $vgpr52_vgpr53
                                        ; implicit-def: $vgpr46_vgpr47
                                        ; implicit-def: $vgpr70_vgpr71
                                        ; implicit-def: $vgpr68_vgpr69
                                        ; implicit-def: $vgpr66_vgpr67
                                        ; implicit-def: $vgpr64_vgpr65
                                        ; implicit-def: $vgpr62_vgpr63
                                        ; implicit-def: $vgpr60_vgpr61
                                        ; implicit-def: $vgpr58_vgpr59
                                        ; implicit-def: $vgpr56_vgpr57
                                        ; implicit-def: $vgpr54_vgpr55
	s_cbranch_execnz .LBB1282_156
.LBB1282_41:
                                        ; implicit-def: $vgpr26_vgpr27_vgpr28_vgpr29
                                        ; implicit-def: $vgpr72_vgpr73
                                        ; implicit-def: $vgpr82_vgpr83
                                        ; implicit-def: $vgpr74_vgpr75
                                        ; implicit-def: $vgpr76_vgpr77
                                        ; implicit-def: $vgpr78_vgpr79
                                        ; implicit-def: $vgpr80_vgpr81
                                        ; implicit-def: $vgpr32_vgpr33_vgpr34_vgpr35
                                        ; implicit-def: $vgpr36_vgpr37_vgpr38_vgpr39
                                        ; implicit-def: $vgpr40_vgpr41_vgpr42_vgpr43
                                        ; implicit-def: $vgpr28_vgpr29_vgpr30_vgpr31
	s_branch .LBB1282_572
.LBB1282_42:
	s_or_b64 exec, exec, s[26:27]
	v_cmp_gt_i64_e32 vcc, s[12:13], v[32:33]
	s_mov_b32 s7, 0
	v_mov_b32_e32 v51, s7
	v_cndmask_b32_e64 v50, 0, 1, vcc
.LBB1282_43:
	s_or_b64 exec, exec, s[2:3]
.LBB1282_44:
	v_mul_lo_u32 v1, v23, s12
	v_mul_lo_u32 v30, v22, s13
	v_mad_u64_u32 v[28:29], s[2:3], v22, s12, 0
	v_add3_u32 v29, v29, v30, v1
	v_cndmask_b32_e64 v1, 0, 1, s[18:19]
	v_cmp_ne_u32_e64 s[2:3], 1, v1
	s_andn2_b64 vcc, exec, s[18:19]
	v_lshl_add_u64 v[28:29], v[28:29], 1, s[14:15]
	v_mov_b64_e32 v[52:53], v[46:47]
	s_cbranch_vccnz .LBB1282_53
; %bb.45:
	global_load_ushort v1, v[26:27], off
	global_load_ushort v30, v[28:29], off
	v_mov_b64_e32 v[52:53], 1
	s_waitcnt vmcnt(0)
	v_cmp_eq_f16_e32 vcc, v1, v30
	s_and_saveexec_b64 s[18:19], vcc
	s_cbranch_execz .LBB1282_52
; %bb.46:
	s_add_u32 s24, s12, -1
	v_lshl_add_u64 v[30:31], v[28:29], 0, 2
	v_lshl_add_u64 v[26:27], v[26:27], 0, 2
	s_addc_u32 s25, s13, -1
	s_mov_b64 s[26:27], 0
	s_mov_b64 s[30:31], 0
                                        ; implicit-def: $sgpr28_sgpr29
	s_branch .LBB1282_49
.LBB1282_47:                            ;   in Loop: Header=BB1282_49 Depth=1
	global_load_ushort v1, v[26:27], off
	global_load_ushort v32, v[30:31], off
	s_add_u32 s30, s30, 1
	s_addc_u32 s31, s31, 0
	s_andn2_b64 s[28:29], s[28:29], exec
	v_lshl_add_u64 v[30:31], v[30:31], 0, 2
	v_lshl_add_u64 v[26:27], v[26:27], 0, 2
	s_waitcnt vmcnt(0)
	v_cmp_neq_f16_e32 vcc, v1, v32
	s_and_b64 s[34:35], vcc, exec
	s_or_b64 s[28:29], s[28:29], s[34:35]
.LBB1282_48:                            ;   in Loop: Header=BB1282_49 Depth=1
	s_and_b64 s[34:35], exec, s[28:29]
	s_or_b64 s[26:27], s[34:35], s[26:27]
	v_mov_b64_e32 v[32:33], s[30:31]
	s_andn2_b64 exec, exec, s[26:27]
	s_cbranch_execz .LBB1282_51
.LBB1282_49:                            ; =>This Inner Loop Header: Depth=1
	s_or_b64 s[28:29], s[28:29], exec
	s_cmp_eq_u64 s[24:25], s[30:31]
	s_cbranch_scc0 .LBB1282_47
; %bb.50:                               ;   in Loop: Header=BB1282_49 Depth=1
                                        ; implicit-def: $vgpr30_vgpr31
                                        ; implicit-def: $vgpr26_vgpr27
	s_mov_b64 s[30:31], s[12:13]
	s_branch .LBB1282_48
.LBB1282_51:
	s_or_b64 exec, exec, s[26:27]
	v_cmp_gt_i64_e32 vcc, s[12:13], v[32:33]
	s_mov_b32 s7, 0
	v_mov_b32_e32 v53, s7
	v_cndmask_b32_e64 v52, 0, 1, vcc
.LBB1282_52:
	s_or_b64 exec, exec, s[18:19]
.LBB1282_53:
	v_mul_lo_u32 v1, v21, s12
	v_mul_lo_u32 v30, v20, s13
	v_mad_u64_u32 v[26:27], s[18:19], v20, s12, 0
	v_add3_u32 v27, v27, v30, v1
	s_and_b64 vcc, exec, s[2:3]
	v_lshl_add_u64 v[26:27], v[26:27], 1, s[14:15]
	s_cbranch_vccnz .LBB1282_62
; %bb.54:
	global_load_ushort v1, v[28:29], off
	global_load_ushort v30, v[26:27], off
	v_mov_b64_e32 v[46:47], 1
	s_waitcnt vmcnt(0)
	v_cmp_eq_f16_e32 vcc, v1, v30
	s_and_saveexec_b64 s[18:19], vcc
	s_cbranch_execz .LBB1282_61
; %bb.55:
	s_add_u32 s24, s12, -1
	v_lshl_add_u64 v[30:31], v[26:27], 0, 2
	v_lshl_add_u64 v[28:29], v[28:29], 0, 2
	s_addc_u32 s25, s13, -1
	s_mov_b64 s[26:27], 0
	s_mov_b64 s[30:31], 0
                                        ; implicit-def: $sgpr28_sgpr29
	s_branch .LBB1282_58
.LBB1282_56:                            ;   in Loop: Header=BB1282_58 Depth=1
	global_load_ushort v1, v[28:29], off
	global_load_ushort v32, v[30:31], off
	s_add_u32 s30, s30, 1
	s_addc_u32 s31, s31, 0
	s_andn2_b64 s[28:29], s[28:29], exec
	v_lshl_add_u64 v[30:31], v[30:31], 0, 2
	v_lshl_add_u64 v[28:29], v[28:29], 0, 2
	s_waitcnt vmcnt(0)
	v_cmp_neq_f16_e32 vcc, v1, v32
	s_and_b64 s[34:35], vcc, exec
	s_or_b64 s[28:29], s[28:29], s[34:35]
.LBB1282_57:                            ;   in Loop: Header=BB1282_58 Depth=1
	s_and_b64 s[34:35], exec, s[28:29]
	s_or_b64 s[26:27], s[34:35], s[26:27]
	v_mov_b64_e32 v[32:33], s[30:31]
	s_andn2_b64 exec, exec, s[26:27]
	s_cbranch_execz .LBB1282_60
.LBB1282_58:                            ; =>This Inner Loop Header: Depth=1
	s_or_b64 s[28:29], s[28:29], exec
	s_cmp_eq_u64 s[24:25], s[30:31]
	s_cbranch_scc0 .LBB1282_56
; %bb.59:                               ;   in Loop: Header=BB1282_58 Depth=1
                                        ; implicit-def: $vgpr30_vgpr31
                                        ; implicit-def: $vgpr28_vgpr29
	s_mov_b64 s[30:31], s[12:13]
	s_branch .LBB1282_57
.LBB1282_60:
	s_or_b64 exec, exec, s[26:27]
	v_cmp_gt_i64_e32 vcc, s[12:13], v[32:33]
	s_mov_b32 s7, 0
	v_mov_b32_e32 v47, s7
	v_cndmask_b32_e64 v46, 0, 1, vcc
.LBB1282_61:
	s_or_b64 exec, exec, s[18:19]
.LBB1282_62:
	v_mul_lo_u32 v1, v19, s12
	v_mul_lo_u32 v30, v18, s13
	v_mad_u64_u32 v[28:29], s[18:19], v18, s12, 0
	v_add3_u32 v29, v29, v30, v1
	v_mov_b64_e32 v[56:57], 0
	s_and_b64 vcc, exec, s[2:3]
	v_lshl_add_u64 v[28:29], v[28:29], 1, s[14:15]
	v_mov_b64_e32 v[54:55], v[56:57]
	s_cbranch_vccnz .LBB1282_71
; %bb.63:
	global_load_ushort v1, v[26:27], off
	global_load_ushort v30, v[28:29], off
	v_mov_b64_e32 v[54:55], 1
	s_waitcnt vmcnt(0)
	v_cmp_eq_f16_e32 vcc, v1, v30
	s_and_saveexec_b64 s[18:19], vcc
	s_cbranch_execz .LBB1282_70
; %bb.64:
	s_add_u32 s24, s12, -1
	v_lshl_add_u64 v[30:31], v[28:29], 0, 2
	v_lshl_add_u64 v[26:27], v[26:27], 0, 2
	s_addc_u32 s25, s13, -1
	s_mov_b64 s[26:27], 0
	s_mov_b64 s[30:31], 0
                                        ; implicit-def: $sgpr28_sgpr29
	s_branch .LBB1282_67
.LBB1282_65:                            ;   in Loop: Header=BB1282_67 Depth=1
	global_load_ushort v1, v[26:27], off
	global_load_ushort v32, v[30:31], off
	s_add_u32 s30, s30, 1
	s_addc_u32 s31, s31, 0
	s_andn2_b64 s[28:29], s[28:29], exec
	v_lshl_add_u64 v[30:31], v[30:31], 0, 2
	v_lshl_add_u64 v[26:27], v[26:27], 0, 2
	s_waitcnt vmcnt(0)
	v_cmp_neq_f16_e32 vcc, v1, v32
	s_and_b64 s[34:35], vcc, exec
	s_or_b64 s[28:29], s[28:29], s[34:35]
.LBB1282_66:                            ;   in Loop: Header=BB1282_67 Depth=1
	s_and_b64 s[34:35], exec, s[28:29]
	s_or_b64 s[26:27], s[34:35], s[26:27]
	v_mov_b64_e32 v[32:33], s[30:31]
	s_andn2_b64 exec, exec, s[26:27]
	s_cbranch_execz .LBB1282_69
.LBB1282_67:                            ; =>This Inner Loop Header: Depth=1
	s_or_b64 s[28:29], s[28:29], exec
	s_cmp_eq_u64 s[24:25], s[30:31]
	s_cbranch_scc0 .LBB1282_65
; %bb.68:                               ;   in Loop: Header=BB1282_67 Depth=1
                                        ; implicit-def: $vgpr30_vgpr31
                                        ; implicit-def: $vgpr26_vgpr27
	s_mov_b64 s[30:31], s[12:13]
	s_branch .LBB1282_66
.LBB1282_69:
	s_or_b64 exec, exec, s[26:27]
	v_cmp_gt_i64_e32 vcc, s[12:13], v[32:33]
	s_mov_b32 s7, 0
	v_mov_b32_e32 v55, s7
	v_cndmask_b32_e64 v54, 0, 1, vcc
.LBB1282_70:
	s_or_b64 exec, exec, s[18:19]
.LBB1282_71:
	v_mul_lo_u32 v1, v17, s12
	v_mul_lo_u32 v30, v16, s13
	v_mad_u64_u32 v[26:27], s[18:19], v16, s12, 0
	v_add3_u32 v27, v27, v30, v1
	s_and_b64 vcc, exec, s[2:3]
	v_lshl_add_u64 v[26:27], v[26:27], 1, s[14:15]
	s_cbranch_vccnz .LBB1282_80
; %bb.72:
	global_load_ushort v1, v[28:29], off
	global_load_ushort v30, v[26:27], off
	v_mov_b64_e32 v[56:57], 1
	s_waitcnt vmcnt(0)
	v_cmp_eq_f16_e32 vcc, v1, v30
	s_and_saveexec_b64 s[18:19], vcc
	s_cbranch_execz .LBB1282_79
; %bb.73:
	s_add_u32 s24, s12, -1
	v_lshl_add_u64 v[30:31], v[26:27], 0, 2
	v_lshl_add_u64 v[28:29], v[28:29], 0, 2
	s_addc_u32 s25, s13, -1
	s_mov_b64 s[26:27], 0
	s_mov_b64 s[30:31], 0
                                        ; implicit-def: $sgpr28_sgpr29
	s_branch .LBB1282_76
.LBB1282_74:                            ;   in Loop: Header=BB1282_76 Depth=1
	global_load_ushort v1, v[28:29], off
	global_load_ushort v32, v[30:31], off
	s_add_u32 s30, s30, 1
	s_addc_u32 s31, s31, 0
	s_andn2_b64 s[28:29], s[28:29], exec
	v_lshl_add_u64 v[30:31], v[30:31], 0, 2
	v_lshl_add_u64 v[28:29], v[28:29], 0, 2
	s_waitcnt vmcnt(0)
	v_cmp_neq_f16_e32 vcc, v1, v32
	s_and_b64 s[34:35], vcc, exec
	s_or_b64 s[28:29], s[28:29], s[34:35]
.LBB1282_75:                            ;   in Loop: Header=BB1282_76 Depth=1
	s_and_b64 s[34:35], exec, s[28:29]
	s_or_b64 s[26:27], s[34:35], s[26:27]
	v_mov_b64_e32 v[32:33], s[30:31]
	s_andn2_b64 exec, exec, s[26:27]
	s_cbranch_execz .LBB1282_78
.LBB1282_76:                            ; =>This Inner Loop Header: Depth=1
	s_or_b64 s[28:29], s[28:29], exec
	s_cmp_eq_u64 s[24:25], s[30:31]
	s_cbranch_scc0 .LBB1282_74
; %bb.77:                               ;   in Loop: Header=BB1282_76 Depth=1
                                        ; implicit-def: $vgpr30_vgpr31
                                        ; implicit-def: $vgpr28_vgpr29
	s_mov_b64 s[30:31], s[12:13]
	s_branch .LBB1282_75
.LBB1282_78:
	s_or_b64 exec, exec, s[26:27]
	v_cmp_gt_i64_e32 vcc, s[12:13], v[32:33]
	s_mov_b32 s7, 0
	v_mov_b32_e32 v57, s7
	v_cndmask_b32_e64 v56, 0, 1, vcc
.LBB1282_79:
	s_or_b64 exec, exec, s[18:19]
.LBB1282_80:
	v_mul_lo_u32 v1, v15, s12
	v_mul_lo_u32 v30, v14, s13
	v_mad_u64_u32 v[28:29], s[18:19], v14, s12, 0
	v_add3_u32 v29, v29, v30, v1
	v_mov_b64_e32 v[60:61], 0
	s_and_b64 vcc, exec, s[2:3]
	v_lshl_add_u64 v[28:29], v[28:29], 1, s[14:15]
	v_mov_b64_e32 v[58:59], v[60:61]
	s_cbranch_vccnz .LBB1282_89
; %bb.81:
	global_load_ushort v1, v[26:27], off
	global_load_ushort v30, v[28:29], off
	v_mov_b64_e32 v[58:59], 1
	s_waitcnt vmcnt(0)
	v_cmp_eq_f16_e32 vcc, v1, v30
	s_and_saveexec_b64 s[18:19], vcc
	s_cbranch_execz .LBB1282_88
; %bb.82:
	s_add_u32 s24, s12, -1
	v_lshl_add_u64 v[30:31], v[28:29], 0, 2
	v_lshl_add_u64 v[26:27], v[26:27], 0, 2
	s_addc_u32 s25, s13, -1
	s_mov_b64 s[26:27], 0
	s_mov_b64 s[30:31], 0
                                        ; implicit-def: $sgpr28_sgpr29
	s_branch .LBB1282_85
.LBB1282_83:                            ;   in Loop: Header=BB1282_85 Depth=1
	global_load_ushort v1, v[26:27], off
	global_load_ushort v32, v[30:31], off
	s_add_u32 s30, s30, 1
	s_addc_u32 s31, s31, 0
	s_andn2_b64 s[28:29], s[28:29], exec
	v_lshl_add_u64 v[30:31], v[30:31], 0, 2
	v_lshl_add_u64 v[26:27], v[26:27], 0, 2
	s_waitcnt vmcnt(0)
	v_cmp_neq_f16_e32 vcc, v1, v32
	s_and_b64 s[34:35], vcc, exec
	s_or_b64 s[28:29], s[28:29], s[34:35]
.LBB1282_84:                            ;   in Loop: Header=BB1282_85 Depth=1
	s_and_b64 s[34:35], exec, s[28:29]
	s_or_b64 s[26:27], s[34:35], s[26:27]
	v_mov_b64_e32 v[32:33], s[30:31]
	s_andn2_b64 exec, exec, s[26:27]
	s_cbranch_execz .LBB1282_87
.LBB1282_85:                            ; =>This Inner Loop Header: Depth=1
	s_or_b64 s[28:29], s[28:29], exec
	s_cmp_eq_u64 s[24:25], s[30:31]
	s_cbranch_scc0 .LBB1282_83
; %bb.86:                               ;   in Loop: Header=BB1282_85 Depth=1
                                        ; implicit-def: $vgpr30_vgpr31
                                        ; implicit-def: $vgpr26_vgpr27
	s_mov_b64 s[30:31], s[12:13]
	s_branch .LBB1282_84
.LBB1282_87:
	s_or_b64 exec, exec, s[26:27]
	v_cmp_gt_i64_e32 vcc, s[12:13], v[32:33]
	s_mov_b32 s7, 0
	v_mov_b32_e32 v59, s7
	v_cndmask_b32_e64 v58, 0, 1, vcc
.LBB1282_88:
	s_or_b64 exec, exec, s[18:19]
.LBB1282_89:
	v_mul_lo_u32 v1, v13, s12
	v_mul_lo_u32 v30, v12, s13
	v_mad_u64_u32 v[26:27], s[18:19], v12, s12, 0
	v_add3_u32 v27, v27, v30, v1
	s_and_b64 vcc, exec, s[2:3]
	v_lshl_add_u64 v[26:27], v[26:27], 1, s[14:15]
	s_cbranch_vccnz .LBB1282_98
; %bb.90:
	global_load_ushort v1, v[28:29], off
	global_load_ushort v30, v[26:27], off
	v_mov_b64_e32 v[60:61], 1
	s_waitcnt vmcnt(0)
	v_cmp_eq_f16_e32 vcc, v1, v30
	s_and_saveexec_b64 s[18:19], vcc
	s_cbranch_execz .LBB1282_97
; %bb.91:
	s_add_u32 s24, s12, -1
	v_lshl_add_u64 v[30:31], v[26:27], 0, 2
	v_lshl_add_u64 v[28:29], v[28:29], 0, 2
	s_addc_u32 s25, s13, -1
	s_mov_b64 s[26:27], 0
	s_mov_b64 s[30:31], 0
                                        ; implicit-def: $sgpr28_sgpr29
	s_branch .LBB1282_94
.LBB1282_92:                            ;   in Loop: Header=BB1282_94 Depth=1
	global_load_ushort v1, v[28:29], off
	global_load_ushort v32, v[30:31], off
	s_add_u32 s30, s30, 1
	s_addc_u32 s31, s31, 0
	s_andn2_b64 s[28:29], s[28:29], exec
	v_lshl_add_u64 v[30:31], v[30:31], 0, 2
	v_lshl_add_u64 v[28:29], v[28:29], 0, 2
	s_waitcnt vmcnt(0)
	v_cmp_neq_f16_e32 vcc, v1, v32
	s_and_b64 s[34:35], vcc, exec
	s_or_b64 s[28:29], s[28:29], s[34:35]
.LBB1282_93:                            ;   in Loop: Header=BB1282_94 Depth=1
	s_and_b64 s[34:35], exec, s[28:29]
	s_or_b64 s[26:27], s[34:35], s[26:27]
	v_mov_b64_e32 v[32:33], s[30:31]
	s_andn2_b64 exec, exec, s[26:27]
	s_cbranch_execz .LBB1282_96
.LBB1282_94:                            ; =>This Inner Loop Header: Depth=1
	s_or_b64 s[28:29], s[28:29], exec
	s_cmp_eq_u64 s[24:25], s[30:31]
	s_cbranch_scc0 .LBB1282_92
; %bb.95:                               ;   in Loop: Header=BB1282_94 Depth=1
                                        ; implicit-def: $vgpr30_vgpr31
                                        ; implicit-def: $vgpr28_vgpr29
	s_mov_b64 s[30:31], s[12:13]
	s_branch .LBB1282_93
.LBB1282_96:
	s_or_b64 exec, exec, s[26:27]
	v_cmp_gt_i64_e32 vcc, s[12:13], v[32:33]
	s_mov_b32 s7, 0
	v_mov_b32_e32 v61, s7
	v_cndmask_b32_e64 v60, 0, 1, vcc
.LBB1282_97:
	s_or_b64 exec, exec, s[18:19]
.LBB1282_98:
	v_mul_lo_u32 v1, v11, s12
	v_mul_lo_u32 v30, v10, s13
	v_mad_u64_u32 v[28:29], s[18:19], v10, s12, 0
	v_add3_u32 v29, v29, v30, v1
	v_mov_b64_e32 v[64:65], 0
	s_and_b64 vcc, exec, s[2:3]
	v_lshl_add_u64 v[28:29], v[28:29], 1, s[14:15]
	v_mov_b64_e32 v[62:63], v[64:65]
	s_cbranch_vccnz .LBB1282_107
; %bb.99:
	global_load_ushort v1, v[26:27], off
	global_load_ushort v30, v[28:29], off
	v_mov_b64_e32 v[62:63], 1
	s_waitcnt vmcnt(0)
	v_cmp_eq_f16_e32 vcc, v1, v30
	s_and_saveexec_b64 s[18:19], vcc
	s_cbranch_execz .LBB1282_106
; %bb.100:
	s_add_u32 s24, s12, -1
	v_lshl_add_u64 v[30:31], v[28:29], 0, 2
	v_lshl_add_u64 v[26:27], v[26:27], 0, 2
	s_addc_u32 s25, s13, -1
	s_mov_b64 s[26:27], 0
	s_mov_b64 s[30:31], 0
                                        ; implicit-def: $sgpr28_sgpr29
	s_branch .LBB1282_103
.LBB1282_101:                           ;   in Loop: Header=BB1282_103 Depth=1
	global_load_ushort v1, v[26:27], off
	global_load_ushort v32, v[30:31], off
	s_add_u32 s30, s30, 1
	s_addc_u32 s31, s31, 0
	s_andn2_b64 s[28:29], s[28:29], exec
	v_lshl_add_u64 v[30:31], v[30:31], 0, 2
	v_lshl_add_u64 v[26:27], v[26:27], 0, 2
	s_waitcnt vmcnt(0)
	v_cmp_neq_f16_e32 vcc, v1, v32
	s_and_b64 s[34:35], vcc, exec
	s_or_b64 s[28:29], s[28:29], s[34:35]
.LBB1282_102:                           ;   in Loop: Header=BB1282_103 Depth=1
	s_and_b64 s[34:35], exec, s[28:29]
	s_or_b64 s[26:27], s[34:35], s[26:27]
	v_mov_b64_e32 v[32:33], s[30:31]
	s_andn2_b64 exec, exec, s[26:27]
	s_cbranch_execz .LBB1282_105
.LBB1282_103:                           ; =>This Inner Loop Header: Depth=1
	s_or_b64 s[28:29], s[28:29], exec
	s_cmp_eq_u64 s[24:25], s[30:31]
	s_cbranch_scc0 .LBB1282_101
; %bb.104:                              ;   in Loop: Header=BB1282_103 Depth=1
                                        ; implicit-def: $vgpr30_vgpr31
                                        ; implicit-def: $vgpr26_vgpr27
	s_mov_b64 s[30:31], s[12:13]
	s_branch .LBB1282_102
.LBB1282_105:
	s_or_b64 exec, exec, s[26:27]
	v_cmp_gt_i64_e32 vcc, s[12:13], v[32:33]
	s_mov_b32 s7, 0
	v_mov_b32_e32 v63, s7
	v_cndmask_b32_e64 v62, 0, 1, vcc
.LBB1282_106:
	s_or_b64 exec, exec, s[18:19]
.LBB1282_107:
	v_mul_lo_u32 v1, v9, s12
	v_mul_lo_u32 v30, v8, s13
	v_mad_u64_u32 v[26:27], s[18:19], v8, s12, 0
	v_add3_u32 v27, v27, v30, v1
	s_and_b64 vcc, exec, s[2:3]
	v_lshl_add_u64 v[26:27], v[26:27], 1, s[14:15]
	s_cbranch_vccnz .LBB1282_116
; %bb.108:
	global_load_ushort v1, v[28:29], off
	global_load_ushort v30, v[26:27], off
	v_mov_b64_e32 v[64:65], 1
	s_waitcnt vmcnt(0)
	v_cmp_eq_f16_e32 vcc, v1, v30
	s_and_saveexec_b64 s[18:19], vcc
	s_cbranch_execz .LBB1282_115
; %bb.109:
	s_add_u32 s24, s12, -1
	v_lshl_add_u64 v[30:31], v[26:27], 0, 2
	v_lshl_add_u64 v[28:29], v[28:29], 0, 2
	s_addc_u32 s25, s13, -1
	s_mov_b64 s[26:27], 0
	s_mov_b64 s[30:31], 0
                                        ; implicit-def: $sgpr28_sgpr29
	s_branch .LBB1282_112
.LBB1282_110:                           ;   in Loop: Header=BB1282_112 Depth=1
	global_load_ushort v1, v[28:29], off
	global_load_ushort v32, v[30:31], off
	s_add_u32 s30, s30, 1
	s_addc_u32 s31, s31, 0
	s_andn2_b64 s[28:29], s[28:29], exec
	v_lshl_add_u64 v[30:31], v[30:31], 0, 2
	v_lshl_add_u64 v[28:29], v[28:29], 0, 2
	s_waitcnt vmcnt(0)
	v_cmp_neq_f16_e32 vcc, v1, v32
	s_and_b64 s[34:35], vcc, exec
	s_or_b64 s[28:29], s[28:29], s[34:35]
.LBB1282_111:                           ;   in Loop: Header=BB1282_112 Depth=1
	s_and_b64 s[34:35], exec, s[28:29]
	s_or_b64 s[26:27], s[34:35], s[26:27]
	v_mov_b64_e32 v[32:33], s[30:31]
	s_andn2_b64 exec, exec, s[26:27]
	s_cbranch_execz .LBB1282_114
.LBB1282_112:                           ; =>This Inner Loop Header: Depth=1
	s_or_b64 s[28:29], s[28:29], exec
	s_cmp_eq_u64 s[24:25], s[30:31]
	s_cbranch_scc0 .LBB1282_110
; %bb.113:                              ;   in Loop: Header=BB1282_112 Depth=1
                                        ; implicit-def: $vgpr30_vgpr31
                                        ; implicit-def: $vgpr28_vgpr29
	s_mov_b64 s[30:31], s[12:13]
	s_branch .LBB1282_111
.LBB1282_114:
	s_or_b64 exec, exec, s[26:27]
	v_cmp_gt_i64_e32 vcc, s[12:13], v[32:33]
	s_mov_b32 s7, 0
	v_mov_b32_e32 v65, s7
	v_cndmask_b32_e64 v64, 0, 1, vcc
.LBB1282_115:
	s_or_b64 exec, exec, s[18:19]
.LBB1282_116:
	v_mul_lo_u32 v1, v7, s12
	v_mul_lo_u32 v30, v6, s13
	v_mad_u64_u32 v[28:29], s[18:19], v6, s12, 0
	v_add3_u32 v29, v29, v30, v1
	v_mov_b64_e32 v[68:69], 0
	s_and_b64 vcc, exec, s[2:3]
	v_lshl_add_u64 v[28:29], v[28:29], 1, s[14:15]
	v_mov_b64_e32 v[66:67], v[68:69]
	s_cbranch_vccnz .LBB1282_125
; %bb.117:
	global_load_ushort v1, v[26:27], off
	global_load_ushort v30, v[28:29], off
	v_mov_b64_e32 v[66:67], 1
	s_waitcnt vmcnt(0)
	v_cmp_eq_f16_e32 vcc, v1, v30
	s_and_saveexec_b64 s[18:19], vcc
	s_cbranch_execz .LBB1282_124
; %bb.118:
	s_add_u32 s24, s12, -1
	v_lshl_add_u64 v[30:31], v[28:29], 0, 2
	v_lshl_add_u64 v[26:27], v[26:27], 0, 2
	s_addc_u32 s25, s13, -1
	s_mov_b64 s[26:27], 0
	s_mov_b64 s[30:31], 0
                                        ; implicit-def: $sgpr28_sgpr29
	s_branch .LBB1282_121
.LBB1282_119:                           ;   in Loop: Header=BB1282_121 Depth=1
	global_load_ushort v1, v[26:27], off
	global_load_ushort v32, v[30:31], off
	s_add_u32 s30, s30, 1
	s_addc_u32 s31, s31, 0
	s_andn2_b64 s[28:29], s[28:29], exec
	v_lshl_add_u64 v[30:31], v[30:31], 0, 2
	v_lshl_add_u64 v[26:27], v[26:27], 0, 2
	s_waitcnt vmcnt(0)
	v_cmp_neq_f16_e32 vcc, v1, v32
	s_and_b64 s[34:35], vcc, exec
	s_or_b64 s[28:29], s[28:29], s[34:35]
.LBB1282_120:                           ;   in Loop: Header=BB1282_121 Depth=1
	s_and_b64 s[34:35], exec, s[28:29]
	s_or_b64 s[26:27], s[34:35], s[26:27]
	v_mov_b64_e32 v[32:33], s[30:31]
	s_andn2_b64 exec, exec, s[26:27]
	s_cbranch_execz .LBB1282_123
.LBB1282_121:                           ; =>This Inner Loop Header: Depth=1
	s_or_b64 s[28:29], s[28:29], exec
	s_cmp_eq_u64 s[24:25], s[30:31]
	s_cbranch_scc0 .LBB1282_119
; %bb.122:                              ;   in Loop: Header=BB1282_121 Depth=1
                                        ; implicit-def: $vgpr30_vgpr31
                                        ; implicit-def: $vgpr26_vgpr27
	s_mov_b64 s[30:31], s[12:13]
	s_branch .LBB1282_120
.LBB1282_123:
	s_or_b64 exec, exec, s[26:27]
	v_cmp_gt_i64_e32 vcc, s[12:13], v[32:33]
	s_mov_b32 s7, 0
	v_mov_b32_e32 v67, s7
	v_cndmask_b32_e64 v66, 0, 1, vcc
.LBB1282_124:
	s_or_b64 exec, exec, s[18:19]
.LBB1282_125:
	v_mul_lo_u32 v1, v5, s12
	v_mul_lo_u32 v30, v4, s13
	v_mad_u64_u32 v[26:27], s[18:19], v4, s12, 0
	v_add3_u32 v27, v27, v30, v1
	s_and_b64 vcc, exec, s[2:3]
	v_lshl_add_u64 v[26:27], v[26:27], 1, s[14:15]
	s_cbranch_vccnz .LBB1282_134
; %bb.126:
	global_load_ushort v1, v[28:29], off
	global_load_ushort v30, v[26:27], off
	v_mov_b64_e32 v[68:69], 1
	s_waitcnt vmcnt(0)
	v_cmp_eq_f16_e32 vcc, v1, v30
	s_and_saveexec_b64 s[18:19], vcc
	s_cbranch_execz .LBB1282_133
; %bb.127:
	s_add_u32 s24, s12, -1
	v_lshl_add_u64 v[30:31], v[26:27], 0, 2
	v_lshl_add_u64 v[28:29], v[28:29], 0, 2
	s_addc_u32 s25, s13, -1
	s_mov_b64 s[26:27], 0
	s_mov_b64 s[30:31], 0
                                        ; implicit-def: $sgpr28_sgpr29
	s_branch .LBB1282_130
.LBB1282_128:                           ;   in Loop: Header=BB1282_130 Depth=1
	global_load_ushort v1, v[28:29], off
	global_load_ushort v32, v[30:31], off
	s_add_u32 s30, s30, 1
	s_addc_u32 s31, s31, 0
	s_andn2_b64 s[28:29], s[28:29], exec
	v_lshl_add_u64 v[30:31], v[30:31], 0, 2
	v_lshl_add_u64 v[28:29], v[28:29], 0, 2
	s_waitcnt vmcnt(0)
	v_cmp_neq_f16_e32 vcc, v1, v32
	s_and_b64 s[34:35], vcc, exec
	s_or_b64 s[28:29], s[28:29], s[34:35]
.LBB1282_129:                           ;   in Loop: Header=BB1282_130 Depth=1
	s_and_b64 s[34:35], exec, s[28:29]
	s_or_b64 s[26:27], s[34:35], s[26:27]
	v_mov_b64_e32 v[32:33], s[30:31]
	s_andn2_b64 exec, exec, s[26:27]
	s_cbranch_execz .LBB1282_132
.LBB1282_130:                           ; =>This Inner Loop Header: Depth=1
	s_or_b64 s[28:29], s[28:29], exec
	s_cmp_eq_u64 s[24:25], s[30:31]
	s_cbranch_scc0 .LBB1282_128
; %bb.131:                              ;   in Loop: Header=BB1282_130 Depth=1
                                        ; implicit-def: $vgpr30_vgpr31
                                        ; implicit-def: $vgpr28_vgpr29
	s_mov_b64 s[30:31], s[12:13]
	s_branch .LBB1282_129
.LBB1282_132:
	s_or_b64 exec, exec, s[26:27]
	v_cmp_gt_i64_e32 vcc, s[12:13], v[32:33]
	s_mov_b32 s7, 0
	v_mov_b32_e32 v69, s7
	v_cndmask_b32_e64 v68, 0, 1, vcc
.LBB1282_133:
	s_or_b64 exec, exec, s[18:19]
.LBB1282_134:
	s_and_b64 vcc, exec, s[2:3]
	s_cbranch_vccnz .LBB1282_141
; %bb.135:
	v_mul_lo_u32 v1, v3, s12
	v_mul_lo_u32 v30, v2, s13
	v_mad_u64_u32 v[28:29], s[18:19], v2, s12, 0
	v_add3_u32 v29, v29, v30, v1
	v_lshl_add_u64 v[28:29], v[28:29], 1, s[14:15]
	global_load_ushort v1, v[26:27], off
	global_load_ushort v30, v[28:29], off
	v_mov_b64_e32 v[70:71], 1
	s_waitcnt vmcnt(0)
	v_cmp_eq_f16_e32 vcc, v1, v30
	s_and_saveexec_b64 s[18:19], vcc
	s_cbranch_execz .LBB1282_143
; %bb.136:
	s_add_u32 s24, s12, -1
	v_lshl_add_u64 v[28:29], v[28:29], 0, 2
	v_lshl_add_u64 v[26:27], v[26:27], 0, 2
	s_addc_u32 s25, s13, -1
	s_mov_b64 s[26:27], 0
	s_mov_b64 s[30:31], 0
                                        ; implicit-def: $sgpr28_sgpr29
	s_branch .LBB1282_139
.LBB1282_137:                           ;   in Loop: Header=BB1282_139 Depth=1
	global_load_ushort v1, v[26:27], off
	global_load_ushort v30, v[28:29], off
	s_add_u32 s30, s30, 1
	s_addc_u32 s31, s31, 0
	s_andn2_b64 s[28:29], s[28:29], exec
	v_lshl_add_u64 v[28:29], v[28:29], 0, 2
	v_lshl_add_u64 v[26:27], v[26:27], 0, 2
	s_waitcnt vmcnt(0)
	v_cmp_neq_f16_e32 vcc, v1, v30
	s_and_b64 s[34:35], vcc, exec
	s_or_b64 s[28:29], s[28:29], s[34:35]
.LBB1282_138:                           ;   in Loop: Header=BB1282_139 Depth=1
	s_and_b64 s[34:35], exec, s[28:29]
	s_or_b64 s[26:27], s[34:35], s[26:27]
	v_mov_b64_e32 v[30:31], s[30:31]
	s_andn2_b64 exec, exec, s[26:27]
	s_cbranch_execz .LBB1282_142
.LBB1282_139:                           ; =>This Inner Loop Header: Depth=1
	s_or_b64 s[28:29], s[28:29], exec
	s_cmp_eq_u64 s[24:25], s[30:31]
	s_cbranch_scc0 .LBB1282_137
; %bb.140:                              ;   in Loop: Header=BB1282_139 Depth=1
                                        ; implicit-def: $vgpr28_vgpr29
                                        ; implicit-def: $vgpr26_vgpr27
	s_mov_b64 s[30:31], s[12:13]
	s_branch .LBB1282_138
.LBB1282_141:
	v_mov_b64_e32 v[70:71], 0
	s_branch .LBB1282_144
.LBB1282_142:
	s_or_b64 exec, exec, s[26:27]
	v_cmp_gt_i64_e32 vcc, s[12:13], v[30:31]
	s_mov_b32 s7, 0
	v_mov_b32_e32 v71, s7
	v_cndmask_b32_e64 v70, 0, 1, vcc
.LBB1282_143:
	s_or_b64 exec, exec, s[18:19]
.LBB1282_144:
	v_cmp_ne_u32_e32 vcc, 0, v0
	s_waitcnt lgkmcnt(0)
	v_mov_b64_e32 v[26:27], s[20:21]
	s_waitcnt lgkmcnt(0)
	; wave barrier
	s_and_saveexec_b64 s[18:19], vcc
	s_cbranch_execz .LBB1282_146
; %bb.145:
	v_add_u32_e32 v1, -8, v48
	ds_read_b64 v[26:27], v1
.LBB1282_146:
	s_or_b64 exec, exec, s[18:19]
	s_mov_b64 s[26:27], 0
	s_and_b64 vcc, exec, s[2:3]
	s_mov_b64 s[24:25], 0
	s_cbranch_vccnz .LBB1282_155
; %bb.147:
	v_mul_lo_u32 v1, v3, s12
	v_mul_lo_u32 v30, v2, s13
	v_mad_u64_u32 v[28:29], s[2:3], v2, s12, 0
	v_add3_u32 v29, v29, v30, v1
	s_waitcnt lgkmcnt(0)
	v_mul_lo_u32 v1, v27, s12
	v_mul_lo_u32 v30, v26, s13
	v_mad_u64_u32 v[26:27], s[2:3], v26, s12, 0
	v_add3_u32 v27, v27, v30, v1
	v_lshl_add_u64 v[28:29], v[28:29], 1, s[14:15]
	v_lshl_add_u64 v[26:27], v[26:27], 1, s[14:15]
	global_load_ushort v1, v[28:29], off
	global_load_ushort v30, v[26:27], off
	s_mov_b64 s[24:25], -1
	s_waitcnt vmcnt(0)
	v_cmp_eq_f16_e32 vcc, v1, v30
	s_and_saveexec_b64 s[2:3], vcc
	s_cbranch_execz .LBB1282_154
; %bb.148:
	s_add_u32 s18, s12, -1
	v_lshl_add_u64 v[26:27], v[26:27], 0, 2
	v_lshl_add_u64 v[28:29], v[28:29], 0, 2
	s_addc_u32 s19, s13, -1
	s_mov_b64 s[24:25], 0
	s_mov_b64 s[30:31], 0
                                        ; implicit-def: $sgpr28_sgpr29
	s_branch .LBB1282_151
.LBB1282_149:                           ;   in Loop: Header=BB1282_151 Depth=1
	global_load_ushort v1, v[28:29], off
	global_load_ushort v30, v[26:27], off
	s_add_u32 s30, s30, 1
	s_addc_u32 s31, s31, 0
	s_andn2_b64 s[28:29], s[28:29], exec
	v_lshl_add_u64 v[26:27], v[26:27], 0, 2
	v_lshl_add_u64 v[28:29], v[28:29], 0, 2
	s_waitcnt vmcnt(0)
	v_cmp_neq_f16_e32 vcc, v1, v30
	s_and_b64 s[34:35], vcc, exec
	s_or_b64 s[28:29], s[28:29], s[34:35]
.LBB1282_150:                           ;   in Loop: Header=BB1282_151 Depth=1
	s_and_b64 s[34:35], exec, s[28:29]
	s_or_b64 s[24:25], s[34:35], s[24:25]
	v_mov_b64_e32 v[30:31], s[30:31]
	s_andn2_b64 exec, exec, s[24:25]
	s_cbranch_execz .LBB1282_153
.LBB1282_151:                           ; =>This Inner Loop Header: Depth=1
	s_or_b64 s[28:29], s[28:29], exec
	s_cmp_eq_u64 s[18:19], s[30:31]
	s_cbranch_scc0 .LBB1282_149
; %bb.152:                              ;   in Loop: Header=BB1282_151 Depth=1
                                        ; implicit-def: $vgpr26_vgpr27
                                        ; implicit-def: $vgpr28_vgpr29
	s_mov_b64 s[30:31], s[12:13]
	s_branch .LBB1282_150
.LBB1282_153:
	s_or_b64 exec, exec, s[24:25]
	v_cmp_gt_i64_e32 vcc, s[12:13], v[30:31]
	s_orn2_b64 s[24:25], vcc, exec
.LBB1282_154:
	s_or_b64 exec, exec, s[2:3]
.LBB1282_155:
	s_mov_b64 s[18:19], -1
	s_and_b64 vcc, exec, s[26:27]
	s_cbranch_vccz .LBB1282_41
.LBB1282_156:
	s_mul_i32 s7, s22, 0xfffffcc0
	s_add_i32 s7, s7, s10
	s_waitcnt lgkmcnt(0)
	v_mad_u32_u24 v26, v0, 13, 12
	v_cmp_gt_i64_e64 s[2:3], s[12:13], 0
	v_cmp_gt_u32_e32 vcc, s7, v26
	v_mul_u32_u24_e32 v1, 13, v0
	v_cndmask_b32_e64 v26, 0, 1, s[2:3]
	v_cmp_ne_u32_e64 s[2:3], 1, v26
	v_mov_b64_e32 v[50:51], v[44:45]
	ds_write_b64 v48, v[44:45]
	s_and_saveexec_b64 s[22:23], vcc
	s_cbranch_execz .LBB1282_167
; %bb.157:
	s_and_b64 vcc, exec, s[2:3]
	s_cbranch_vccnz .LBB1282_164
; %bb.158:
	v_mul_lo_u32 v28, v45, s12
	v_mul_lo_u32 v29, v44, s13
	v_mad_u64_u32 v[26:27], s[24:25], v44, s12, 0
	v_add3_u32 v27, v27, v29, v28
	v_mul_lo_u32 v28, v25, s12
	v_mul_lo_u32 v29, v24, s13
	v_mad_u64_u32 v[30:31], s[24:25], v24, s12, 0
	v_add3_u32 v31, v31, v29, v28
	v_lshl_add_u64 v[28:29], v[26:27], 1, s[14:15]
	v_lshl_add_u64 v[26:27], v[30:31], 1, s[14:15]
	global_load_ushort v30, v[28:29], off
	global_load_ushort v31, v[26:27], off
	v_mov_b64_e32 v[50:51], 1
	s_waitcnt vmcnt(0)
	v_cmp_eq_f16_e32 vcc, v30, v31
	s_and_saveexec_b64 s[24:25], vcc
	s_cbranch_execz .LBB1282_166
; %bb.159:
	s_add_u32 s26, s12, -1
	v_lshl_add_u64 v[26:27], v[26:27], 0, 2
	v_lshl_add_u64 v[28:29], v[28:29], 0, 2
	s_addc_u32 s27, s13, -1
	s_mov_b64 s[28:29], 0
	s_mov_b64 s[34:35], 0
                                        ; implicit-def: $sgpr30_sgpr31
	s_branch .LBB1282_162
.LBB1282_160:                           ;   in Loop: Header=BB1282_162 Depth=1
	global_load_ushort v30, v[28:29], off
	global_load_ushort v31, v[26:27], off
	s_add_u32 s34, s34, 1
	s_addc_u32 s35, s35, 0
	s_andn2_b64 s[30:31], s[30:31], exec
	v_lshl_add_u64 v[26:27], v[26:27], 0, 2
	v_lshl_add_u64 v[28:29], v[28:29], 0, 2
	s_waitcnt vmcnt(0)
	v_cmp_neq_f16_e32 vcc, v30, v31
	s_and_b64 s[36:37], vcc, exec
	s_or_b64 s[30:31], s[30:31], s[36:37]
.LBB1282_161:                           ;   in Loop: Header=BB1282_162 Depth=1
	s_and_b64 s[36:37], exec, s[30:31]
	s_or_b64 s[28:29], s[36:37], s[28:29]
	v_mov_b64_e32 v[30:31], s[34:35]
	s_andn2_b64 exec, exec, s[28:29]
	s_cbranch_execz .LBB1282_165
.LBB1282_162:                           ; =>This Inner Loop Header: Depth=1
	s_or_b64 s[30:31], s[30:31], exec
	s_cmp_eq_u64 s[26:27], s[34:35]
	s_cbranch_scc0 .LBB1282_160
; %bb.163:                              ;   in Loop: Header=BB1282_162 Depth=1
                                        ; implicit-def: $vgpr26_vgpr27
                                        ; implicit-def: $vgpr28_vgpr29
	s_mov_b64 s[34:35], s[12:13]
	s_branch .LBB1282_161
.LBB1282_164:
	v_mov_b64_e32 v[50:51], 0
	s_branch .LBB1282_167
.LBB1282_165:
	s_or_b64 exec, exec, s[28:29]
	v_cmp_gt_i64_e32 vcc, s[12:13], v[30:31]
	s_mov_b32 s26, 0
	v_mov_b32_e32 v51, s26
	v_cndmask_b32_e64 v50, 0, 1, vcc
.LBB1282_166:
	s_or_b64 exec, exec, s[24:25]
.LBB1282_167:
	s_or_b64 exec, exec, s[22:23]
	v_add_u32_e32 v26, 11, v1
	v_cmp_gt_u32_e32 vcc, s7, v26
	v_mov_b64_e32 v[52:53], v[24:25]
	s_and_saveexec_b64 s[22:23], vcc
	s_cbranch_execz .LBB1282_178
; %bb.168:
	s_and_b64 vcc, exec, s[2:3]
	s_cbranch_vccnz .LBB1282_175
; %bb.169:
	v_mul_lo_u32 v28, v25, s12
	v_mul_lo_u32 v29, v24, s13
	v_mad_u64_u32 v[26:27], s[24:25], v24, s12, 0
	v_add3_u32 v27, v27, v29, v28
	v_mul_lo_u32 v28, v23, s12
	v_mul_lo_u32 v29, v22, s13
	v_mad_u64_u32 v[30:31], s[24:25], v22, s12, 0
	v_add3_u32 v31, v31, v29, v28
	v_lshl_add_u64 v[28:29], v[26:27], 1, s[14:15]
	v_lshl_add_u64 v[26:27], v[30:31], 1, s[14:15]
	global_load_ushort v30, v[28:29], off
	global_load_ushort v31, v[26:27], off
	v_mov_b64_e32 v[52:53], 1
	s_waitcnt vmcnt(0)
	v_cmp_eq_f16_e32 vcc, v30, v31
	s_and_saveexec_b64 s[24:25], vcc
	s_cbranch_execz .LBB1282_177
; %bb.170:
	s_add_u32 s26, s12, -1
	v_lshl_add_u64 v[26:27], v[26:27], 0, 2
	v_lshl_add_u64 v[28:29], v[28:29], 0, 2
	s_addc_u32 s27, s13, -1
	s_mov_b64 s[28:29], 0
	s_mov_b64 s[34:35], 0
                                        ; implicit-def: $sgpr30_sgpr31
	s_branch .LBB1282_173
.LBB1282_171:                           ;   in Loop: Header=BB1282_173 Depth=1
	global_load_ushort v30, v[28:29], off
	global_load_ushort v31, v[26:27], off
	s_add_u32 s34, s34, 1
	s_addc_u32 s35, s35, 0
	s_andn2_b64 s[30:31], s[30:31], exec
	v_lshl_add_u64 v[26:27], v[26:27], 0, 2
	v_lshl_add_u64 v[28:29], v[28:29], 0, 2
	s_waitcnt vmcnt(0)
	v_cmp_neq_f16_e32 vcc, v30, v31
	s_and_b64 s[36:37], vcc, exec
	s_or_b64 s[30:31], s[30:31], s[36:37]
.LBB1282_172:                           ;   in Loop: Header=BB1282_173 Depth=1
	s_and_b64 s[36:37], exec, s[30:31]
	s_or_b64 s[28:29], s[36:37], s[28:29]
	v_mov_b64_e32 v[30:31], s[34:35]
	s_andn2_b64 exec, exec, s[28:29]
	s_cbranch_execz .LBB1282_176
.LBB1282_173:                           ; =>This Inner Loop Header: Depth=1
	s_or_b64 s[30:31], s[30:31], exec
	s_cmp_eq_u64 s[26:27], s[34:35]
	s_cbranch_scc0 .LBB1282_171
; %bb.174:                              ;   in Loop: Header=BB1282_173 Depth=1
                                        ; implicit-def: $vgpr26_vgpr27
                                        ; implicit-def: $vgpr28_vgpr29
	s_mov_b64 s[34:35], s[12:13]
	s_branch .LBB1282_172
.LBB1282_175:
	v_mov_b64_e32 v[52:53], 0
	s_branch .LBB1282_178
.LBB1282_176:
	s_or_b64 exec, exec, s[28:29]
	v_cmp_gt_i64_e32 vcc, s[12:13], v[30:31]
	s_mov_b32 s26, 0
	v_mov_b32_e32 v53, s26
	v_cndmask_b32_e64 v52, 0, 1, vcc
.LBB1282_177:
	s_or_b64 exec, exec, s[24:25]
.LBB1282_178:
	s_or_b64 exec, exec, s[22:23]
	v_add_u32_e32 v26, 10, v1
	v_cmp_gt_u32_e32 vcc, s7, v26
	v_mov_b64_e32 v[46:47], v[22:23]
	s_and_saveexec_b64 s[22:23], vcc
	s_cbranch_execz .LBB1282_189
; %bb.179:
	s_and_b64 vcc, exec, s[2:3]
	s_cbranch_vccnz .LBB1282_186
; %bb.180:
	v_mul_lo_u32 v28, v23, s12
	v_mul_lo_u32 v29, v22, s13
	v_mad_u64_u32 v[26:27], s[24:25], v22, s12, 0
	v_add3_u32 v27, v27, v29, v28
	v_mul_lo_u32 v28, v21, s12
	v_mul_lo_u32 v29, v20, s13
	v_mad_u64_u32 v[30:31], s[24:25], v20, s12, 0
	v_add3_u32 v31, v31, v29, v28
	v_lshl_add_u64 v[28:29], v[26:27], 1, s[14:15]
	v_lshl_add_u64 v[26:27], v[30:31], 1, s[14:15]
	global_load_ushort v30, v[28:29], off
	global_load_ushort v31, v[26:27], off
	v_mov_b64_e32 v[46:47], 1
	s_waitcnt vmcnt(0)
	v_cmp_eq_f16_e32 vcc, v30, v31
	s_and_saveexec_b64 s[24:25], vcc
	s_cbranch_execz .LBB1282_188
; %bb.181:
	s_add_u32 s26, s12, -1
	v_lshl_add_u64 v[26:27], v[26:27], 0, 2
	v_lshl_add_u64 v[28:29], v[28:29], 0, 2
	s_addc_u32 s27, s13, -1
	s_mov_b64 s[28:29], 0
	s_mov_b64 s[34:35], 0
                                        ; implicit-def: $sgpr30_sgpr31
	s_branch .LBB1282_184
.LBB1282_182:                           ;   in Loop: Header=BB1282_184 Depth=1
	global_load_ushort v30, v[28:29], off
	global_load_ushort v31, v[26:27], off
	s_add_u32 s34, s34, 1
	s_addc_u32 s35, s35, 0
	s_andn2_b64 s[30:31], s[30:31], exec
	v_lshl_add_u64 v[26:27], v[26:27], 0, 2
	v_lshl_add_u64 v[28:29], v[28:29], 0, 2
	s_waitcnt vmcnt(0)
	v_cmp_neq_f16_e32 vcc, v30, v31
	s_and_b64 s[36:37], vcc, exec
	s_or_b64 s[30:31], s[30:31], s[36:37]
.LBB1282_183:                           ;   in Loop: Header=BB1282_184 Depth=1
	s_and_b64 s[36:37], exec, s[30:31]
	s_or_b64 s[28:29], s[36:37], s[28:29]
	v_mov_b64_e32 v[30:31], s[34:35]
	s_andn2_b64 exec, exec, s[28:29]
	s_cbranch_execz .LBB1282_187
.LBB1282_184:                           ; =>This Inner Loop Header: Depth=1
	s_or_b64 s[30:31], s[30:31], exec
	s_cmp_eq_u64 s[26:27], s[34:35]
	s_cbranch_scc0 .LBB1282_182
; %bb.185:                              ;   in Loop: Header=BB1282_184 Depth=1
                                        ; implicit-def: $vgpr26_vgpr27
                                        ; implicit-def: $vgpr28_vgpr29
	s_mov_b64 s[34:35], s[12:13]
	s_branch .LBB1282_183
.LBB1282_186:
	v_mov_b64_e32 v[46:47], 0
	s_branch .LBB1282_189
.LBB1282_187:
	s_or_b64 exec, exec, s[28:29]
	v_cmp_gt_i64_e32 vcc, s[12:13], v[30:31]
	s_mov_b32 s26, 0
	v_mov_b32_e32 v47, s26
	v_cndmask_b32_e64 v46, 0, 1, vcc
.LBB1282_188:
	s_or_b64 exec, exec, s[24:25]
.LBB1282_189:
	s_or_b64 exec, exec, s[22:23]
	v_add_u32_e32 v26, 9, v1
	v_cmp_gt_u32_e32 vcc, s7, v26
	v_mov_b64_e32 v[54:55], v[20:21]
	s_and_saveexec_b64 s[22:23], vcc
	s_cbranch_execz .LBB1282_200
; %bb.190:
	s_and_b64 vcc, exec, s[2:3]
	s_cbranch_vccnz .LBB1282_197
; %bb.191:
	v_mul_lo_u32 v28, v21, s12
	v_mul_lo_u32 v29, v20, s13
	v_mad_u64_u32 v[26:27], s[24:25], v20, s12, 0
	v_add3_u32 v27, v27, v29, v28
	v_mul_lo_u32 v28, v19, s12
	v_mul_lo_u32 v29, v18, s13
	v_mad_u64_u32 v[30:31], s[24:25], v18, s12, 0
	v_add3_u32 v31, v31, v29, v28
	v_lshl_add_u64 v[28:29], v[26:27], 1, s[14:15]
	v_lshl_add_u64 v[26:27], v[30:31], 1, s[14:15]
	global_load_ushort v30, v[28:29], off
	global_load_ushort v31, v[26:27], off
	v_mov_b64_e32 v[54:55], 1
	s_waitcnt vmcnt(0)
	v_cmp_eq_f16_e32 vcc, v30, v31
	s_and_saveexec_b64 s[24:25], vcc
	s_cbranch_execz .LBB1282_199
; %bb.192:
	s_add_u32 s26, s12, -1
	v_lshl_add_u64 v[26:27], v[26:27], 0, 2
	v_lshl_add_u64 v[28:29], v[28:29], 0, 2
	s_addc_u32 s27, s13, -1
	s_mov_b64 s[28:29], 0
	s_mov_b64 s[34:35], 0
                                        ; implicit-def: $sgpr30_sgpr31
	s_branch .LBB1282_195
.LBB1282_193:                           ;   in Loop: Header=BB1282_195 Depth=1
	global_load_ushort v30, v[28:29], off
	global_load_ushort v31, v[26:27], off
	s_add_u32 s34, s34, 1
	s_addc_u32 s35, s35, 0
	s_andn2_b64 s[30:31], s[30:31], exec
	v_lshl_add_u64 v[26:27], v[26:27], 0, 2
	v_lshl_add_u64 v[28:29], v[28:29], 0, 2
	s_waitcnt vmcnt(0)
	v_cmp_neq_f16_e32 vcc, v30, v31
	s_and_b64 s[36:37], vcc, exec
	s_or_b64 s[30:31], s[30:31], s[36:37]
.LBB1282_194:                           ;   in Loop: Header=BB1282_195 Depth=1
	s_and_b64 s[36:37], exec, s[30:31]
	s_or_b64 s[28:29], s[36:37], s[28:29]
	v_mov_b64_e32 v[30:31], s[34:35]
	s_andn2_b64 exec, exec, s[28:29]
	s_cbranch_execz .LBB1282_198
.LBB1282_195:                           ; =>This Inner Loop Header: Depth=1
	s_or_b64 s[30:31], s[30:31], exec
	s_cmp_eq_u64 s[26:27], s[34:35]
	s_cbranch_scc0 .LBB1282_193
; %bb.196:                              ;   in Loop: Header=BB1282_195 Depth=1
                                        ; implicit-def: $vgpr26_vgpr27
                                        ; implicit-def: $vgpr28_vgpr29
	s_mov_b64 s[34:35], s[12:13]
	s_branch .LBB1282_194
.LBB1282_197:
	v_mov_b64_e32 v[54:55], 0
	s_branch .LBB1282_200
.LBB1282_198:
	s_or_b64 exec, exec, s[28:29]
	v_cmp_gt_i64_e32 vcc, s[12:13], v[30:31]
	s_mov_b32 s26, 0
	v_mov_b32_e32 v55, s26
	v_cndmask_b32_e64 v54, 0, 1, vcc
.LBB1282_199:
	s_or_b64 exec, exec, s[24:25]
.LBB1282_200:
	s_or_b64 exec, exec, s[22:23]
	v_add_u32_e32 v26, 8, v1
	v_cmp_gt_u32_e32 vcc, s7, v26
	v_mov_b64_e32 v[56:57], v[18:19]
	s_and_saveexec_b64 s[22:23], vcc
	s_cbranch_execz .LBB1282_211
; %bb.201:
	s_and_b64 vcc, exec, s[2:3]
	s_cbranch_vccnz .LBB1282_208
; %bb.202:
	v_mul_lo_u32 v28, v19, s12
	v_mul_lo_u32 v29, v18, s13
	v_mad_u64_u32 v[26:27], s[24:25], v18, s12, 0
	v_add3_u32 v27, v27, v29, v28
	v_mul_lo_u32 v28, v17, s12
	v_mul_lo_u32 v29, v16, s13
	v_mad_u64_u32 v[30:31], s[24:25], v16, s12, 0
	v_add3_u32 v31, v31, v29, v28
	v_lshl_add_u64 v[28:29], v[26:27], 1, s[14:15]
	v_lshl_add_u64 v[26:27], v[30:31], 1, s[14:15]
	global_load_ushort v30, v[28:29], off
	global_load_ushort v31, v[26:27], off
	v_mov_b64_e32 v[56:57], 1
	s_waitcnt vmcnt(0)
	v_cmp_eq_f16_e32 vcc, v30, v31
	s_and_saveexec_b64 s[24:25], vcc
	s_cbranch_execz .LBB1282_210
; %bb.203:
	s_add_u32 s26, s12, -1
	v_lshl_add_u64 v[26:27], v[26:27], 0, 2
	v_lshl_add_u64 v[28:29], v[28:29], 0, 2
	s_addc_u32 s27, s13, -1
	s_mov_b64 s[28:29], 0
	s_mov_b64 s[34:35], 0
                                        ; implicit-def: $sgpr30_sgpr31
	s_branch .LBB1282_206
.LBB1282_204:                           ;   in Loop: Header=BB1282_206 Depth=1
	global_load_ushort v30, v[28:29], off
	global_load_ushort v31, v[26:27], off
	s_add_u32 s34, s34, 1
	s_addc_u32 s35, s35, 0
	s_andn2_b64 s[30:31], s[30:31], exec
	v_lshl_add_u64 v[26:27], v[26:27], 0, 2
	v_lshl_add_u64 v[28:29], v[28:29], 0, 2
	s_waitcnt vmcnt(0)
	v_cmp_neq_f16_e32 vcc, v30, v31
	s_and_b64 s[36:37], vcc, exec
	s_or_b64 s[30:31], s[30:31], s[36:37]
.LBB1282_205:                           ;   in Loop: Header=BB1282_206 Depth=1
	s_and_b64 s[36:37], exec, s[30:31]
	s_or_b64 s[28:29], s[36:37], s[28:29]
	v_mov_b64_e32 v[30:31], s[34:35]
	s_andn2_b64 exec, exec, s[28:29]
	s_cbranch_execz .LBB1282_209
.LBB1282_206:                           ; =>This Inner Loop Header: Depth=1
	s_or_b64 s[30:31], s[30:31], exec
	s_cmp_eq_u64 s[26:27], s[34:35]
	s_cbranch_scc0 .LBB1282_204
; %bb.207:                              ;   in Loop: Header=BB1282_206 Depth=1
                                        ; implicit-def: $vgpr26_vgpr27
                                        ; implicit-def: $vgpr28_vgpr29
	s_mov_b64 s[34:35], s[12:13]
	s_branch .LBB1282_205
.LBB1282_208:
	v_mov_b64_e32 v[56:57], 0
	s_branch .LBB1282_211
.LBB1282_209:
	s_or_b64 exec, exec, s[28:29]
	v_cmp_gt_i64_e32 vcc, s[12:13], v[30:31]
	s_mov_b32 s26, 0
	v_mov_b32_e32 v57, s26
	v_cndmask_b32_e64 v56, 0, 1, vcc
.LBB1282_210:
	s_or_b64 exec, exec, s[24:25]
.LBB1282_211:
	s_or_b64 exec, exec, s[22:23]
	v_add_u32_e32 v26, 7, v1
	v_cmp_gt_u32_e32 vcc, s7, v26
	v_mov_b64_e32 v[58:59], v[16:17]
	s_and_saveexec_b64 s[22:23], vcc
	s_cbranch_execz .LBB1282_222
; %bb.212:
	s_and_b64 vcc, exec, s[2:3]
	s_cbranch_vccnz .LBB1282_219
; %bb.213:
	v_mul_lo_u32 v28, v17, s12
	v_mul_lo_u32 v29, v16, s13
	v_mad_u64_u32 v[26:27], s[24:25], v16, s12, 0
	v_add3_u32 v27, v27, v29, v28
	v_mul_lo_u32 v28, v15, s12
	v_mul_lo_u32 v29, v14, s13
	v_mad_u64_u32 v[30:31], s[24:25], v14, s12, 0
	v_add3_u32 v31, v31, v29, v28
	v_lshl_add_u64 v[28:29], v[26:27], 1, s[14:15]
	v_lshl_add_u64 v[26:27], v[30:31], 1, s[14:15]
	global_load_ushort v30, v[28:29], off
	global_load_ushort v31, v[26:27], off
	v_mov_b64_e32 v[58:59], 1
	s_waitcnt vmcnt(0)
	v_cmp_eq_f16_e32 vcc, v30, v31
	s_and_saveexec_b64 s[24:25], vcc
	s_cbranch_execz .LBB1282_221
; %bb.214:
	s_add_u32 s26, s12, -1
	v_lshl_add_u64 v[26:27], v[26:27], 0, 2
	v_lshl_add_u64 v[28:29], v[28:29], 0, 2
	s_addc_u32 s27, s13, -1
	s_mov_b64 s[28:29], 0
	s_mov_b64 s[34:35], 0
                                        ; implicit-def: $sgpr30_sgpr31
	s_branch .LBB1282_217
.LBB1282_215:                           ;   in Loop: Header=BB1282_217 Depth=1
	global_load_ushort v30, v[28:29], off
	global_load_ushort v31, v[26:27], off
	s_add_u32 s34, s34, 1
	s_addc_u32 s35, s35, 0
	s_andn2_b64 s[30:31], s[30:31], exec
	v_lshl_add_u64 v[26:27], v[26:27], 0, 2
	v_lshl_add_u64 v[28:29], v[28:29], 0, 2
	s_waitcnt vmcnt(0)
	v_cmp_neq_f16_e32 vcc, v30, v31
	s_and_b64 s[36:37], vcc, exec
	s_or_b64 s[30:31], s[30:31], s[36:37]
.LBB1282_216:                           ;   in Loop: Header=BB1282_217 Depth=1
	s_and_b64 s[36:37], exec, s[30:31]
	s_or_b64 s[28:29], s[36:37], s[28:29]
	v_mov_b64_e32 v[30:31], s[34:35]
	s_andn2_b64 exec, exec, s[28:29]
	s_cbranch_execz .LBB1282_220
.LBB1282_217:                           ; =>This Inner Loop Header: Depth=1
	s_or_b64 s[30:31], s[30:31], exec
	s_cmp_eq_u64 s[26:27], s[34:35]
	s_cbranch_scc0 .LBB1282_215
; %bb.218:                              ;   in Loop: Header=BB1282_217 Depth=1
                                        ; implicit-def: $vgpr26_vgpr27
                                        ; implicit-def: $vgpr28_vgpr29
	s_mov_b64 s[34:35], s[12:13]
	s_branch .LBB1282_216
.LBB1282_219:
	v_mov_b64_e32 v[58:59], 0
	s_branch .LBB1282_222
.LBB1282_220:
	s_or_b64 exec, exec, s[28:29]
	v_cmp_gt_i64_e32 vcc, s[12:13], v[30:31]
	s_mov_b32 s26, 0
	v_mov_b32_e32 v59, s26
	v_cndmask_b32_e64 v58, 0, 1, vcc
.LBB1282_221:
	s_or_b64 exec, exec, s[24:25]
.LBB1282_222:
	s_or_b64 exec, exec, s[22:23]
	v_add_u32_e32 v26, 6, v1
	v_cmp_gt_u32_e32 vcc, s7, v26
	v_mov_b64_e32 v[60:61], v[14:15]
	s_and_saveexec_b64 s[22:23], vcc
	s_cbranch_execz .LBB1282_233
; %bb.223:
	s_and_b64 vcc, exec, s[2:3]
	s_cbranch_vccnz .LBB1282_230
; %bb.224:
	v_mul_lo_u32 v28, v15, s12
	v_mul_lo_u32 v29, v14, s13
	v_mad_u64_u32 v[26:27], s[24:25], v14, s12, 0
	v_add3_u32 v27, v27, v29, v28
	v_mul_lo_u32 v28, v13, s12
	v_mul_lo_u32 v29, v12, s13
	v_mad_u64_u32 v[30:31], s[24:25], v12, s12, 0
	v_add3_u32 v31, v31, v29, v28
	v_lshl_add_u64 v[28:29], v[26:27], 1, s[14:15]
	v_lshl_add_u64 v[26:27], v[30:31], 1, s[14:15]
	global_load_ushort v30, v[28:29], off
	global_load_ushort v31, v[26:27], off
	v_mov_b64_e32 v[60:61], 1
	s_waitcnt vmcnt(0)
	v_cmp_eq_f16_e32 vcc, v30, v31
	s_and_saveexec_b64 s[24:25], vcc
	s_cbranch_execz .LBB1282_232
; %bb.225:
	s_add_u32 s26, s12, -1
	v_lshl_add_u64 v[26:27], v[26:27], 0, 2
	v_lshl_add_u64 v[28:29], v[28:29], 0, 2
	s_addc_u32 s27, s13, -1
	s_mov_b64 s[28:29], 0
	s_mov_b64 s[34:35], 0
                                        ; implicit-def: $sgpr30_sgpr31
	s_branch .LBB1282_228
.LBB1282_226:                           ;   in Loop: Header=BB1282_228 Depth=1
	global_load_ushort v30, v[28:29], off
	global_load_ushort v31, v[26:27], off
	s_add_u32 s34, s34, 1
	s_addc_u32 s35, s35, 0
	s_andn2_b64 s[30:31], s[30:31], exec
	v_lshl_add_u64 v[26:27], v[26:27], 0, 2
	v_lshl_add_u64 v[28:29], v[28:29], 0, 2
	s_waitcnt vmcnt(0)
	v_cmp_neq_f16_e32 vcc, v30, v31
	s_and_b64 s[36:37], vcc, exec
	s_or_b64 s[30:31], s[30:31], s[36:37]
.LBB1282_227:                           ;   in Loop: Header=BB1282_228 Depth=1
	s_and_b64 s[36:37], exec, s[30:31]
	s_or_b64 s[28:29], s[36:37], s[28:29]
	v_mov_b64_e32 v[30:31], s[34:35]
	s_andn2_b64 exec, exec, s[28:29]
	s_cbranch_execz .LBB1282_231
.LBB1282_228:                           ; =>This Inner Loop Header: Depth=1
	s_or_b64 s[30:31], s[30:31], exec
	s_cmp_eq_u64 s[26:27], s[34:35]
	s_cbranch_scc0 .LBB1282_226
; %bb.229:                              ;   in Loop: Header=BB1282_228 Depth=1
                                        ; implicit-def: $vgpr26_vgpr27
                                        ; implicit-def: $vgpr28_vgpr29
	s_mov_b64 s[34:35], s[12:13]
	s_branch .LBB1282_227
.LBB1282_230:
	v_mov_b64_e32 v[60:61], 0
	s_branch .LBB1282_233
.LBB1282_231:
	s_or_b64 exec, exec, s[28:29]
	v_cmp_gt_i64_e32 vcc, s[12:13], v[30:31]
	s_mov_b32 s26, 0
	v_mov_b32_e32 v61, s26
	v_cndmask_b32_e64 v60, 0, 1, vcc
.LBB1282_232:
	s_or_b64 exec, exec, s[24:25]
.LBB1282_233:
	s_or_b64 exec, exec, s[22:23]
	v_add_u32_e32 v26, 5, v1
	v_cmp_gt_u32_e32 vcc, s7, v26
	v_mov_b64_e32 v[62:63], v[12:13]
	s_and_saveexec_b64 s[22:23], vcc
	s_cbranch_execz .LBB1282_244
; %bb.234:
	s_and_b64 vcc, exec, s[2:3]
	s_cbranch_vccnz .LBB1282_241
; %bb.235:
	v_mul_lo_u32 v28, v13, s12
	v_mul_lo_u32 v29, v12, s13
	v_mad_u64_u32 v[26:27], s[24:25], v12, s12, 0
	v_add3_u32 v27, v27, v29, v28
	v_mul_lo_u32 v28, v11, s12
	v_mul_lo_u32 v29, v10, s13
	v_mad_u64_u32 v[30:31], s[24:25], v10, s12, 0
	v_add3_u32 v31, v31, v29, v28
	v_lshl_add_u64 v[28:29], v[26:27], 1, s[14:15]
	v_lshl_add_u64 v[26:27], v[30:31], 1, s[14:15]
	global_load_ushort v30, v[28:29], off
	global_load_ushort v31, v[26:27], off
	v_mov_b64_e32 v[62:63], 1
	s_waitcnt vmcnt(0)
	v_cmp_eq_f16_e32 vcc, v30, v31
	s_and_saveexec_b64 s[24:25], vcc
	s_cbranch_execz .LBB1282_243
; %bb.236:
	s_add_u32 s26, s12, -1
	v_lshl_add_u64 v[26:27], v[26:27], 0, 2
	v_lshl_add_u64 v[28:29], v[28:29], 0, 2
	s_addc_u32 s27, s13, -1
	s_mov_b64 s[28:29], 0
	s_mov_b64 s[34:35], 0
                                        ; implicit-def: $sgpr30_sgpr31
	s_branch .LBB1282_239
.LBB1282_237:                           ;   in Loop: Header=BB1282_239 Depth=1
	global_load_ushort v30, v[28:29], off
	global_load_ushort v31, v[26:27], off
	s_add_u32 s34, s34, 1
	s_addc_u32 s35, s35, 0
	s_andn2_b64 s[30:31], s[30:31], exec
	v_lshl_add_u64 v[26:27], v[26:27], 0, 2
	v_lshl_add_u64 v[28:29], v[28:29], 0, 2
	s_waitcnt vmcnt(0)
	v_cmp_neq_f16_e32 vcc, v30, v31
	s_and_b64 s[36:37], vcc, exec
	s_or_b64 s[30:31], s[30:31], s[36:37]
.LBB1282_238:                           ;   in Loop: Header=BB1282_239 Depth=1
	s_and_b64 s[36:37], exec, s[30:31]
	s_or_b64 s[28:29], s[36:37], s[28:29]
	v_mov_b64_e32 v[30:31], s[34:35]
	s_andn2_b64 exec, exec, s[28:29]
	s_cbranch_execz .LBB1282_242
.LBB1282_239:                           ; =>This Inner Loop Header: Depth=1
	s_or_b64 s[30:31], s[30:31], exec
	s_cmp_eq_u64 s[26:27], s[34:35]
	s_cbranch_scc0 .LBB1282_237
; %bb.240:                              ;   in Loop: Header=BB1282_239 Depth=1
                                        ; implicit-def: $vgpr26_vgpr27
                                        ; implicit-def: $vgpr28_vgpr29
	s_mov_b64 s[34:35], s[12:13]
	s_branch .LBB1282_238
.LBB1282_241:
	v_mov_b64_e32 v[62:63], 0
	s_branch .LBB1282_244
.LBB1282_242:
	s_or_b64 exec, exec, s[28:29]
	v_cmp_gt_i64_e32 vcc, s[12:13], v[30:31]
	s_mov_b32 s26, 0
	v_mov_b32_e32 v63, s26
	v_cndmask_b32_e64 v62, 0, 1, vcc
.LBB1282_243:
	s_or_b64 exec, exec, s[24:25]
.LBB1282_244:
	s_or_b64 exec, exec, s[22:23]
	v_add_u32_e32 v26, 4, v1
	v_cmp_gt_u32_e32 vcc, s7, v26
	v_mov_b64_e32 v[64:65], v[10:11]
	s_and_saveexec_b64 s[22:23], vcc
	s_cbranch_execz .LBB1282_255
; %bb.245:
	s_and_b64 vcc, exec, s[2:3]
	s_cbranch_vccnz .LBB1282_252
; %bb.246:
	v_mul_lo_u32 v28, v11, s12
	v_mul_lo_u32 v29, v10, s13
	v_mad_u64_u32 v[26:27], s[24:25], v10, s12, 0
	v_add3_u32 v27, v27, v29, v28
	v_mul_lo_u32 v28, v9, s12
	v_mul_lo_u32 v29, v8, s13
	v_mad_u64_u32 v[30:31], s[24:25], v8, s12, 0
	v_add3_u32 v31, v31, v29, v28
	v_lshl_add_u64 v[28:29], v[26:27], 1, s[14:15]
	v_lshl_add_u64 v[26:27], v[30:31], 1, s[14:15]
	global_load_ushort v30, v[28:29], off
	global_load_ushort v31, v[26:27], off
	v_mov_b64_e32 v[64:65], 1
	s_waitcnt vmcnt(0)
	v_cmp_eq_f16_e32 vcc, v30, v31
	s_and_saveexec_b64 s[24:25], vcc
	s_cbranch_execz .LBB1282_254
; %bb.247:
	s_add_u32 s26, s12, -1
	v_lshl_add_u64 v[26:27], v[26:27], 0, 2
	v_lshl_add_u64 v[28:29], v[28:29], 0, 2
	s_addc_u32 s27, s13, -1
	s_mov_b64 s[28:29], 0
	s_mov_b64 s[34:35], 0
                                        ; implicit-def: $sgpr30_sgpr31
	s_branch .LBB1282_250
.LBB1282_248:                           ;   in Loop: Header=BB1282_250 Depth=1
	global_load_ushort v30, v[28:29], off
	global_load_ushort v31, v[26:27], off
	s_add_u32 s34, s34, 1
	s_addc_u32 s35, s35, 0
	s_andn2_b64 s[30:31], s[30:31], exec
	v_lshl_add_u64 v[26:27], v[26:27], 0, 2
	v_lshl_add_u64 v[28:29], v[28:29], 0, 2
	s_waitcnt vmcnt(0)
	v_cmp_neq_f16_e32 vcc, v30, v31
	s_and_b64 s[36:37], vcc, exec
	s_or_b64 s[30:31], s[30:31], s[36:37]
.LBB1282_249:                           ;   in Loop: Header=BB1282_250 Depth=1
	s_and_b64 s[36:37], exec, s[30:31]
	s_or_b64 s[28:29], s[36:37], s[28:29]
	v_mov_b64_e32 v[30:31], s[34:35]
	s_andn2_b64 exec, exec, s[28:29]
	s_cbranch_execz .LBB1282_253
.LBB1282_250:                           ; =>This Inner Loop Header: Depth=1
	s_or_b64 s[30:31], s[30:31], exec
	s_cmp_eq_u64 s[26:27], s[34:35]
	s_cbranch_scc0 .LBB1282_248
; %bb.251:                              ;   in Loop: Header=BB1282_250 Depth=1
                                        ; implicit-def: $vgpr26_vgpr27
                                        ; implicit-def: $vgpr28_vgpr29
	s_mov_b64 s[34:35], s[12:13]
	s_branch .LBB1282_249
.LBB1282_252:
	v_mov_b64_e32 v[64:65], 0
	s_branch .LBB1282_255
.LBB1282_253:
	s_or_b64 exec, exec, s[28:29]
	v_cmp_gt_i64_e32 vcc, s[12:13], v[30:31]
	s_mov_b32 s26, 0
	v_mov_b32_e32 v65, s26
	v_cndmask_b32_e64 v64, 0, 1, vcc
.LBB1282_254:
	s_or_b64 exec, exec, s[24:25]
.LBB1282_255:
	s_or_b64 exec, exec, s[22:23]
	v_add_u32_e32 v26, 3, v1
	v_cmp_gt_u32_e32 vcc, s7, v26
	v_mov_b64_e32 v[66:67], v[8:9]
	s_and_saveexec_b64 s[22:23], vcc
	s_cbranch_execz .LBB1282_266
; %bb.256:
	s_and_b64 vcc, exec, s[2:3]
	s_cbranch_vccnz .LBB1282_263
; %bb.257:
	v_mul_lo_u32 v28, v9, s12
	v_mul_lo_u32 v29, v8, s13
	v_mad_u64_u32 v[26:27], s[24:25], v8, s12, 0
	v_add3_u32 v27, v27, v29, v28
	v_mul_lo_u32 v28, v7, s12
	v_mul_lo_u32 v29, v6, s13
	v_mad_u64_u32 v[30:31], s[24:25], v6, s12, 0
	v_add3_u32 v31, v31, v29, v28
	v_lshl_add_u64 v[28:29], v[26:27], 1, s[14:15]
	v_lshl_add_u64 v[26:27], v[30:31], 1, s[14:15]
	global_load_ushort v30, v[28:29], off
	global_load_ushort v31, v[26:27], off
	v_mov_b64_e32 v[66:67], 1
	s_waitcnt vmcnt(0)
	v_cmp_eq_f16_e32 vcc, v30, v31
	s_and_saveexec_b64 s[24:25], vcc
	s_cbranch_execz .LBB1282_265
; %bb.258:
	s_add_u32 s26, s12, -1
	v_lshl_add_u64 v[26:27], v[26:27], 0, 2
	v_lshl_add_u64 v[28:29], v[28:29], 0, 2
	s_addc_u32 s27, s13, -1
	s_mov_b64 s[28:29], 0
	s_mov_b64 s[34:35], 0
                                        ; implicit-def: $sgpr30_sgpr31
	s_branch .LBB1282_261
.LBB1282_259:                           ;   in Loop: Header=BB1282_261 Depth=1
	global_load_ushort v30, v[28:29], off
	global_load_ushort v31, v[26:27], off
	s_add_u32 s34, s34, 1
	s_addc_u32 s35, s35, 0
	s_andn2_b64 s[30:31], s[30:31], exec
	v_lshl_add_u64 v[26:27], v[26:27], 0, 2
	v_lshl_add_u64 v[28:29], v[28:29], 0, 2
	s_waitcnt vmcnt(0)
	v_cmp_neq_f16_e32 vcc, v30, v31
	s_and_b64 s[36:37], vcc, exec
	s_or_b64 s[30:31], s[30:31], s[36:37]
.LBB1282_260:                           ;   in Loop: Header=BB1282_261 Depth=1
	s_and_b64 s[36:37], exec, s[30:31]
	s_or_b64 s[28:29], s[36:37], s[28:29]
	v_mov_b64_e32 v[30:31], s[34:35]
	s_andn2_b64 exec, exec, s[28:29]
	s_cbranch_execz .LBB1282_264
.LBB1282_261:                           ; =>This Inner Loop Header: Depth=1
	s_or_b64 s[30:31], s[30:31], exec
	s_cmp_eq_u64 s[26:27], s[34:35]
	s_cbranch_scc0 .LBB1282_259
; %bb.262:                              ;   in Loop: Header=BB1282_261 Depth=1
                                        ; implicit-def: $vgpr26_vgpr27
                                        ; implicit-def: $vgpr28_vgpr29
	s_mov_b64 s[34:35], s[12:13]
	s_branch .LBB1282_260
.LBB1282_263:
	v_mov_b64_e32 v[66:67], 0
	s_branch .LBB1282_266
.LBB1282_264:
	s_or_b64 exec, exec, s[28:29]
	v_cmp_gt_i64_e32 vcc, s[12:13], v[30:31]
	s_mov_b32 s26, 0
	v_mov_b32_e32 v67, s26
	v_cndmask_b32_e64 v66, 0, 1, vcc
.LBB1282_265:
	s_or_b64 exec, exec, s[24:25]
.LBB1282_266:
	s_or_b64 exec, exec, s[22:23]
	v_add_u32_e32 v26, 2, v1
	v_cmp_gt_u32_e32 vcc, s7, v26
	v_mov_b64_e32 v[68:69], v[6:7]
	s_and_saveexec_b64 s[22:23], vcc
	s_cbranch_execz .LBB1282_277
; %bb.267:
	s_and_b64 vcc, exec, s[2:3]
	s_cbranch_vccnz .LBB1282_274
; %bb.268:
	v_mul_lo_u32 v28, v7, s12
	v_mul_lo_u32 v29, v6, s13
	v_mad_u64_u32 v[26:27], s[24:25], v6, s12, 0
	v_add3_u32 v27, v27, v29, v28
	v_mul_lo_u32 v28, v5, s12
	v_mul_lo_u32 v29, v4, s13
	v_mad_u64_u32 v[30:31], s[24:25], v4, s12, 0
	v_add3_u32 v31, v31, v29, v28
	v_lshl_add_u64 v[28:29], v[26:27], 1, s[14:15]
	v_lshl_add_u64 v[26:27], v[30:31], 1, s[14:15]
	global_load_ushort v30, v[28:29], off
	global_load_ushort v31, v[26:27], off
	v_mov_b64_e32 v[68:69], 1
	s_waitcnt vmcnt(0)
	v_cmp_eq_f16_e32 vcc, v30, v31
	s_and_saveexec_b64 s[24:25], vcc
	s_cbranch_execz .LBB1282_276
; %bb.269:
	s_add_u32 s26, s12, -1
	v_lshl_add_u64 v[26:27], v[26:27], 0, 2
	v_lshl_add_u64 v[28:29], v[28:29], 0, 2
	s_addc_u32 s27, s13, -1
	s_mov_b64 s[28:29], 0
	s_mov_b64 s[34:35], 0
                                        ; implicit-def: $sgpr30_sgpr31
	s_branch .LBB1282_272
.LBB1282_270:                           ;   in Loop: Header=BB1282_272 Depth=1
	global_load_ushort v30, v[28:29], off
	global_load_ushort v31, v[26:27], off
	s_add_u32 s34, s34, 1
	s_addc_u32 s35, s35, 0
	s_andn2_b64 s[30:31], s[30:31], exec
	v_lshl_add_u64 v[26:27], v[26:27], 0, 2
	v_lshl_add_u64 v[28:29], v[28:29], 0, 2
	s_waitcnt vmcnt(0)
	v_cmp_neq_f16_e32 vcc, v30, v31
	s_and_b64 s[36:37], vcc, exec
	s_or_b64 s[30:31], s[30:31], s[36:37]
.LBB1282_271:                           ;   in Loop: Header=BB1282_272 Depth=1
	s_and_b64 s[36:37], exec, s[30:31]
	s_or_b64 s[28:29], s[36:37], s[28:29]
	v_mov_b64_e32 v[30:31], s[34:35]
	s_andn2_b64 exec, exec, s[28:29]
	s_cbranch_execz .LBB1282_275
.LBB1282_272:                           ; =>This Inner Loop Header: Depth=1
	s_or_b64 s[30:31], s[30:31], exec
	s_cmp_eq_u64 s[26:27], s[34:35]
	s_cbranch_scc0 .LBB1282_270
; %bb.273:                              ;   in Loop: Header=BB1282_272 Depth=1
                                        ; implicit-def: $vgpr26_vgpr27
                                        ; implicit-def: $vgpr28_vgpr29
	s_mov_b64 s[34:35], s[12:13]
	s_branch .LBB1282_271
.LBB1282_274:
	v_mov_b64_e32 v[68:69], 0
	s_branch .LBB1282_277
.LBB1282_275:
	s_or_b64 exec, exec, s[28:29]
	v_cmp_gt_i64_e32 vcc, s[12:13], v[30:31]
	s_mov_b32 s26, 0
	v_mov_b32_e32 v69, s26
	v_cndmask_b32_e64 v68, 0, 1, vcc
.LBB1282_276:
	s_or_b64 exec, exec, s[24:25]
.LBB1282_277:
	s_or_b64 exec, exec, s[22:23]
	v_add_u32_e32 v26, 1, v1
	v_cmp_gt_u32_e32 vcc, s7, v26
	v_mov_b64_e32 v[70:71], v[4:5]
	s_and_saveexec_b64 s[22:23], vcc
	s_cbranch_execz .LBB1282_288
; %bb.278:
	s_and_b64 vcc, exec, s[2:3]
	s_cbranch_vccnz .LBB1282_285
; %bb.279:
	v_mul_lo_u32 v28, v5, s12
	v_mul_lo_u32 v29, v4, s13
	v_mad_u64_u32 v[26:27], s[24:25], v4, s12, 0
	v_add3_u32 v27, v27, v29, v28
	v_mul_lo_u32 v28, v3, s12
	v_mul_lo_u32 v29, v2, s13
	v_mad_u64_u32 v[30:31], s[24:25], v2, s12, 0
	v_add3_u32 v31, v31, v29, v28
	v_lshl_add_u64 v[28:29], v[26:27], 1, s[14:15]
	v_lshl_add_u64 v[26:27], v[30:31], 1, s[14:15]
	global_load_ushort v30, v[28:29], off
	global_load_ushort v31, v[26:27], off
	v_mov_b64_e32 v[70:71], 1
	s_waitcnt vmcnt(0)
	v_cmp_eq_f16_e32 vcc, v30, v31
	s_and_saveexec_b64 s[24:25], vcc
	s_cbranch_execz .LBB1282_287
; %bb.280:
	s_add_u32 s26, s12, -1
	v_lshl_add_u64 v[26:27], v[26:27], 0, 2
	v_lshl_add_u64 v[28:29], v[28:29], 0, 2
	s_addc_u32 s27, s13, -1
	s_mov_b64 s[28:29], 0
	s_mov_b64 s[34:35], 0
                                        ; implicit-def: $sgpr30_sgpr31
	s_branch .LBB1282_283
.LBB1282_281:                           ;   in Loop: Header=BB1282_283 Depth=1
	global_load_ushort v30, v[28:29], off
	global_load_ushort v31, v[26:27], off
	s_add_u32 s34, s34, 1
	s_addc_u32 s35, s35, 0
	s_andn2_b64 s[30:31], s[30:31], exec
	v_lshl_add_u64 v[26:27], v[26:27], 0, 2
	v_lshl_add_u64 v[28:29], v[28:29], 0, 2
	s_waitcnt vmcnt(0)
	v_cmp_neq_f16_e32 vcc, v30, v31
	s_and_b64 s[36:37], vcc, exec
	s_or_b64 s[30:31], s[30:31], s[36:37]
.LBB1282_282:                           ;   in Loop: Header=BB1282_283 Depth=1
	s_and_b64 s[36:37], exec, s[30:31]
	s_or_b64 s[28:29], s[36:37], s[28:29]
	v_mov_b64_e32 v[30:31], s[34:35]
	s_andn2_b64 exec, exec, s[28:29]
	s_cbranch_execz .LBB1282_286
.LBB1282_283:                           ; =>This Inner Loop Header: Depth=1
	s_or_b64 s[30:31], s[30:31], exec
	s_cmp_eq_u64 s[26:27], s[34:35]
	s_cbranch_scc0 .LBB1282_281
; %bb.284:                              ;   in Loop: Header=BB1282_283 Depth=1
                                        ; implicit-def: $vgpr26_vgpr27
                                        ; implicit-def: $vgpr28_vgpr29
	s_mov_b64 s[34:35], s[12:13]
	s_branch .LBB1282_282
.LBB1282_285:
	v_mov_b64_e32 v[70:71], 0
	s_branch .LBB1282_288
.LBB1282_286:
	s_or_b64 exec, exec, s[28:29]
	v_cmp_gt_i64_e32 vcc, s[12:13], v[30:31]
	s_mov_b32 s26, 0
	v_mov_b32_e32 v71, s26
	v_cndmask_b32_e64 v70, 0, 1, vcc
.LBB1282_287:
	s_or_b64 exec, exec, s[24:25]
.LBB1282_288:
	s_or_b64 exec, exec, s[22:23]
	v_cmp_ne_u32_e32 vcc, 0, v0
	v_mov_b64_e32 v[26:27], s[20:21]
	s_waitcnt lgkmcnt(0)
	; wave barrier
	s_waitcnt lgkmcnt(0)
	s_and_saveexec_b64 s[20:21], vcc
	s_cbranch_execz .LBB1282_290
; %bb.289:
	v_add_u32_e32 v26, -8, v48
	ds_read_b64 v[26:27], v26
.LBB1282_290:
	s_or_b64 exec, exec, s[20:21]
	v_cmp_gt_u32_e32 vcc, s7, v1
                                        ; implicit-def: $sgpr24_sgpr25
	s_and_saveexec_b64 s[20:21], vcc
	s_cbranch_execz .LBB1282_302
; %bb.291:
	s_and_b64 vcc, exec, s[2:3]
	s_cbranch_vccnz .LBB1282_298
; %bb.292:
	v_mul_lo_u32 v1, v3, s12
	v_mul_lo_u32 v30, v2, s13
	v_mad_u64_u32 v[28:29], s[2:3], v2, s12, 0
	v_add3_u32 v29, v29, v30, v1
	s_waitcnt lgkmcnt(0)
	v_mul_lo_u32 v1, v27, s12
	v_mul_lo_u32 v30, v26, s13
	v_mad_u64_u32 v[26:27], s[2:3], v26, s12, 0
	v_add3_u32 v27, v27, v30, v1
	v_lshl_add_u64 v[28:29], v[28:29], 1, s[14:15]
	v_lshl_add_u64 v[26:27], v[26:27], 1, s[14:15]
	global_load_ushort v1, v[28:29], off
	global_load_ushort v30, v[26:27], off
	s_mov_b64 s[22:23], -1
	s_waitcnt vmcnt(0)
	v_cmp_eq_f16_e32 vcc, v1, v30
	s_and_saveexec_b64 s[2:3], vcc
	s_cbranch_execz .LBB1282_300
; %bb.293:
	s_add_u32 s22, s12, -1
	v_lshl_add_u64 v[26:27], v[26:27], 0, 2
	v_lshl_add_u64 v[28:29], v[28:29], 0, 2
	s_addc_u32 s23, s13, -1
	s_mov_b64 s[24:25], 0
	s_mov_b64 s[28:29], 0
                                        ; implicit-def: $sgpr26_sgpr27
	s_branch .LBB1282_296
.LBB1282_294:                           ;   in Loop: Header=BB1282_296 Depth=1
	global_load_ushort v1, v[28:29], off
	global_load_ushort v30, v[26:27], off
	s_add_u32 s28, s28, 1
	s_addc_u32 s29, s29, 0
	s_andn2_b64 s[26:27], s[26:27], exec
	v_lshl_add_u64 v[26:27], v[26:27], 0, 2
	v_lshl_add_u64 v[28:29], v[28:29], 0, 2
	s_waitcnt vmcnt(0)
	v_cmp_neq_f16_e32 vcc, v1, v30
	s_and_b64 s[30:31], vcc, exec
	s_or_b64 s[26:27], s[26:27], s[30:31]
.LBB1282_295:                           ;   in Loop: Header=BB1282_296 Depth=1
	s_and_b64 s[30:31], exec, s[26:27]
	s_or_b64 s[24:25], s[30:31], s[24:25]
	v_mov_b64_e32 v[30:31], s[28:29]
	s_andn2_b64 exec, exec, s[24:25]
	s_cbranch_execz .LBB1282_299
.LBB1282_296:                           ; =>This Inner Loop Header: Depth=1
	s_or_b64 s[26:27], s[26:27], exec
	s_cmp_eq_u64 s[22:23], s[28:29]
	s_cbranch_scc0 .LBB1282_294
; %bb.297:                              ;   in Loop: Header=BB1282_296 Depth=1
                                        ; implicit-def: $vgpr26_vgpr27
                                        ; implicit-def: $vgpr28_vgpr29
	s_mov_b64 s[28:29], s[12:13]
	s_branch .LBB1282_295
.LBB1282_298:
	s_mov_b64 s[22:23], 0
	s_branch .LBB1282_301
.LBB1282_299:
	s_or_b64 exec, exec, s[24:25]
	v_cmp_gt_i64_e32 vcc, s[12:13], v[30:31]
	s_orn2_b64 s[22:23], vcc, exec
.LBB1282_300:
	s_or_b64 exec, exec, s[2:3]
.LBB1282_301:
	s_and_b64 s[24:25], s[22:23], exec
	s_or_b64 s[18:19], s[18:19], exec
.LBB1282_302:
	s_or_b64 exec, exec, s[20:21]
	v_mov_b64_e32 v[72:73], v[52:53]
	s_waitcnt lgkmcnt(0)
	v_mov_b64_e32 v[26:27], v[46:47]
	v_mov_b64_e32 v[82:83], v[70:71]
	;; [unrolled: 1-line block ×10, first 2 shown]
	s_branch .LBB1282_572
.LBB1282_303:
	s_cmp_lg_u64 s[4:5], 1
	s_cbranch_scc0 .LBB1282_311
; %bb.304:
	v_mul_lo_u32 v1, v25, s12
	v_mul_lo_u32 v28, v24, s13
	s_waitcnt lgkmcnt(0)
	v_mad_u64_u32 v[26:27], s[20:21], v24, s12, 0
	v_mov_b64_e32 v[46:47], 0
	v_cmp_lt_i64_e64 s[2:3], s[12:13], 1
	v_add3_u32 v27, v27, v28, v1
	v_cmp_gt_i64_e64 s[4:5], s[12:13], 0
	s_and_b64 vcc, exec, s[2:3]
	v_lshl_add_u64 v[26:27], v[26:27], 1, s[14:15]
	v_mov_b64_e32 v[50:51], v[46:47]
	ds_write_b64 v48, v[44:45]
	s_cbranch_vccnz .LBB1282_314
; %bb.305:
	v_mul_lo_u32 v1, v45, s12
	v_mul_lo_u32 v30, v44, s13
	v_mad_u64_u32 v[28:29], s[2:3], v44, s12, 0
	v_add3_u32 v29, v29, v30, v1
	v_lshl_add_u64 v[30:31], v[28:29], 1, s[14:15]
	global_load_ushort v1, v[30:31], off
	global_load_ushort v28, v[26:27], off
	v_mov_b64_e32 v[50:51], 1
	s_waitcnt vmcnt(0)
	v_cmp_eq_f16_e32 vcc, v1, v28
	s_and_saveexec_b64 s[2:3], vcc
	s_cbranch_execz .LBB1282_313
; %bb.306:
	s_add_u32 s20, s12, -1
	v_lshl_add_u64 v[28:29], v[26:27], 0, 2
	v_lshl_add_u64 v[30:31], v[30:31], 0, 2
	s_addc_u32 s21, s13, -1
	s_mov_b64 s[22:23], 0
	s_mov_b64 s[26:27], 0
                                        ; implicit-def: $sgpr24_sgpr25
	s_branch .LBB1282_309
.LBB1282_307:                           ;   in Loop: Header=BB1282_309 Depth=1
	global_load_ushort v1, v[30:31], off
	global_load_ushort v32, v[28:29], off
	s_add_u32 s26, s26, 1
	s_addc_u32 s27, s27, 0
	s_andn2_b64 s[24:25], s[24:25], exec
	v_lshl_add_u64 v[28:29], v[28:29], 0, 2
	v_lshl_add_u64 v[30:31], v[30:31], 0, 2
	s_waitcnt vmcnt(0)
	v_cmp_neq_f16_e32 vcc, v1, v32
	s_and_b64 s[28:29], vcc, exec
	s_or_b64 s[24:25], s[24:25], s[28:29]
.LBB1282_308:                           ;   in Loop: Header=BB1282_309 Depth=1
	s_and_b64 s[28:29], exec, s[24:25]
	s_or_b64 s[22:23], s[28:29], s[22:23]
	v_mov_b64_e32 v[32:33], s[26:27]
	s_andn2_b64 exec, exec, s[22:23]
	s_cbranch_execz .LBB1282_312
.LBB1282_309:                           ; =>This Inner Loop Header: Depth=1
	s_or_b64 s[24:25], s[24:25], exec
	s_cmp_eq_u64 s[20:21], s[26:27]
	s_cbranch_scc0 .LBB1282_307
; %bb.310:                              ;   in Loop: Header=BB1282_309 Depth=1
                                        ; implicit-def: $vgpr28_vgpr29
                                        ; implicit-def: $vgpr30_vgpr31
	s_mov_b64 s[26:27], s[12:13]
	s_branch .LBB1282_308
.LBB1282_311:
                                        ; implicit-def: $vgpr26_vgpr27_vgpr28_vgpr29
                                        ; implicit-def: $sgpr24_sgpr25
                                        ; implicit-def: $vgpr50_vgpr51
                                        ; implicit-def: $vgpr52_vgpr53
                                        ; implicit-def: $vgpr46_vgpr47
                                        ; implicit-def: $vgpr70_vgpr71
                                        ; implicit-def: $vgpr68_vgpr69
                                        ; implicit-def: $vgpr66_vgpr67
                                        ; implicit-def: $vgpr64_vgpr65
                                        ; implicit-def: $vgpr62_vgpr63
                                        ; implicit-def: $vgpr60_vgpr61
                                        ; implicit-def: $vgpr58_vgpr59
                                        ; implicit-def: $vgpr56_vgpr57
                                        ; implicit-def: $vgpr54_vgpr55
                                        ; implicit-def: $vgpr72_vgpr73
                                        ; implicit-def: $vgpr82_vgpr83
                                        ; implicit-def: $vgpr74_vgpr75
                                        ; implicit-def: $vgpr76_vgpr77
                                        ; implicit-def: $vgpr78_vgpr79
                                        ; implicit-def: $vgpr80_vgpr81
                                        ; implicit-def: $vgpr28_vgpr29_vgpr30_vgpr31
                                        ; implicit-def: $vgpr32_vgpr33_vgpr34_vgpr35
                                        ; implicit-def: $vgpr36_vgpr37_vgpr38_vgpr39
                                        ; implicit-def: $vgpr40_vgpr41_vgpr42_vgpr43
	s_cbranch_execnz .LBB1282_427
	s_branch .LBB1282_572
.LBB1282_312:
	s_or_b64 exec, exec, s[22:23]
	v_cmp_gt_i64_e32 vcc, s[12:13], v[32:33]
	s_mov_b32 s7, 0
	v_mov_b32_e32 v51, s7
	v_cndmask_b32_e64 v50, 0, 1, vcc
.LBB1282_313:
	s_or_b64 exec, exec, s[2:3]
.LBB1282_314:
	v_mul_lo_u32 v1, v23, s12
	v_mul_lo_u32 v30, v22, s13
	v_mad_u64_u32 v[28:29], s[2:3], v22, s12, 0
	v_add3_u32 v29, v29, v30, v1
	v_cndmask_b32_e64 v1, 0, 1, s[4:5]
	v_cmp_ne_u32_e64 s[2:3], 1, v1
	s_andn2_b64 vcc, exec, s[4:5]
	v_lshl_add_u64 v[28:29], v[28:29], 1, s[14:15]
	v_mov_b64_e32 v[52:53], v[46:47]
	s_cbranch_vccnz .LBB1282_323
; %bb.315:
	global_load_ushort v1, v[26:27], off
	global_load_ushort v30, v[28:29], off
	v_mov_b64_e32 v[52:53], 1
	s_waitcnt vmcnt(0)
	v_cmp_eq_f16_e32 vcc, v1, v30
	s_and_saveexec_b64 s[4:5], vcc
	s_cbranch_execz .LBB1282_322
; %bb.316:
	s_add_u32 s20, s12, -1
	v_lshl_add_u64 v[30:31], v[28:29], 0, 2
	v_lshl_add_u64 v[26:27], v[26:27], 0, 2
	s_addc_u32 s21, s13, -1
	s_mov_b64 s[22:23], 0
	s_mov_b64 s[26:27], 0
                                        ; implicit-def: $sgpr24_sgpr25
	s_branch .LBB1282_319
.LBB1282_317:                           ;   in Loop: Header=BB1282_319 Depth=1
	global_load_ushort v1, v[26:27], off
	global_load_ushort v32, v[30:31], off
	s_add_u32 s26, s26, 1
	s_addc_u32 s27, s27, 0
	s_andn2_b64 s[24:25], s[24:25], exec
	v_lshl_add_u64 v[30:31], v[30:31], 0, 2
	v_lshl_add_u64 v[26:27], v[26:27], 0, 2
	s_waitcnt vmcnt(0)
	v_cmp_neq_f16_e32 vcc, v1, v32
	s_and_b64 s[28:29], vcc, exec
	s_or_b64 s[24:25], s[24:25], s[28:29]
.LBB1282_318:                           ;   in Loop: Header=BB1282_319 Depth=1
	s_and_b64 s[28:29], exec, s[24:25]
	s_or_b64 s[22:23], s[28:29], s[22:23]
	v_mov_b64_e32 v[32:33], s[26:27]
	s_andn2_b64 exec, exec, s[22:23]
	s_cbranch_execz .LBB1282_321
.LBB1282_319:                           ; =>This Inner Loop Header: Depth=1
	s_or_b64 s[24:25], s[24:25], exec
	s_cmp_eq_u64 s[20:21], s[26:27]
	s_cbranch_scc0 .LBB1282_317
; %bb.320:                              ;   in Loop: Header=BB1282_319 Depth=1
                                        ; implicit-def: $vgpr30_vgpr31
                                        ; implicit-def: $vgpr26_vgpr27
	s_mov_b64 s[26:27], s[12:13]
	s_branch .LBB1282_318
.LBB1282_321:
	s_or_b64 exec, exec, s[22:23]
	v_cmp_gt_i64_e32 vcc, s[12:13], v[32:33]
	s_mov_b32 s7, 0
	v_mov_b32_e32 v53, s7
	v_cndmask_b32_e64 v52, 0, 1, vcc
.LBB1282_322:
	s_or_b64 exec, exec, s[4:5]
.LBB1282_323:
	v_mul_lo_u32 v1, v21, s12
	v_mul_lo_u32 v30, v20, s13
	v_mad_u64_u32 v[26:27], s[4:5], v20, s12, 0
	v_add3_u32 v27, v27, v30, v1
	s_and_b64 vcc, exec, s[2:3]
	v_lshl_add_u64 v[26:27], v[26:27], 1, s[14:15]
	s_cbranch_vccnz .LBB1282_332
; %bb.324:
	global_load_ushort v1, v[28:29], off
	global_load_ushort v30, v[26:27], off
	v_mov_b64_e32 v[46:47], 1
	s_waitcnt vmcnt(0)
	v_cmp_eq_f16_e32 vcc, v1, v30
	s_and_saveexec_b64 s[4:5], vcc
	s_cbranch_execz .LBB1282_331
; %bb.325:
	s_add_u32 s20, s12, -1
	v_lshl_add_u64 v[30:31], v[26:27], 0, 2
	v_lshl_add_u64 v[28:29], v[28:29], 0, 2
	s_addc_u32 s21, s13, -1
	s_mov_b64 s[22:23], 0
	s_mov_b64 s[26:27], 0
                                        ; implicit-def: $sgpr24_sgpr25
	s_branch .LBB1282_328
.LBB1282_326:                           ;   in Loop: Header=BB1282_328 Depth=1
	global_load_ushort v1, v[28:29], off
	global_load_ushort v32, v[30:31], off
	s_add_u32 s26, s26, 1
	s_addc_u32 s27, s27, 0
	s_andn2_b64 s[24:25], s[24:25], exec
	v_lshl_add_u64 v[30:31], v[30:31], 0, 2
	v_lshl_add_u64 v[28:29], v[28:29], 0, 2
	s_waitcnt vmcnt(0)
	v_cmp_neq_f16_e32 vcc, v1, v32
	s_and_b64 s[28:29], vcc, exec
	s_or_b64 s[24:25], s[24:25], s[28:29]
.LBB1282_327:                           ;   in Loop: Header=BB1282_328 Depth=1
	s_and_b64 s[28:29], exec, s[24:25]
	s_or_b64 s[22:23], s[28:29], s[22:23]
	v_mov_b64_e32 v[32:33], s[26:27]
	s_andn2_b64 exec, exec, s[22:23]
	s_cbranch_execz .LBB1282_330
.LBB1282_328:                           ; =>This Inner Loop Header: Depth=1
	s_or_b64 s[24:25], s[24:25], exec
	s_cmp_eq_u64 s[20:21], s[26:27]
	s_cbranch_scc0 .LBB1282_326
; %bb.329:                              ;   in Loop: Header=BB1282_328 Depth=1
                                        ; implicit-def: $vgpr30_vgpr31
                                        ; implicit-def: $vgpr28_vgpr29
	s_mov_b64 s[26:27], s[12:13]
	s_branch .LBB1282_327
.LBB1282_330:
	s_or_b64 exec, exec, s[22:23]
	v_cmp_gt_i64_e32 vcc, s[12:13], v[32:33]
	s_mov_b32 s7, 0
	v_mov_b32_e32 v47, s7
	v_cndmask_b32_e64 v46, 0, 1, vcc
.LBB1282_331:
	s_or_b64 exec, exec, s[4:5]
.LBB1282_332:
	v_mul_lo_u32 v1, v19, s12
	v_mul_lo_u32 v30, v18, s13
	v_mad_u64_u32 v[28:29], s[4:5], v18, s12, 0
	v_add3_u32 v29, v29, v30, v1
	v_mov_b64_e32 v[56:57], 0
	s_and_b64 vcc, exec, s[2:3]
	v_lshl_add_u64 v[28:29], v[28:29], 1, s[14:15]
	v_mov_b64_e32 v[54:55], v[56:57]
	s_cbranch_vccnz .LBB1282_341
; %bb.333:
	global_load_ushort v1, v[26:27], off
	global_load_ushort v30, v[28:29], off
	v_mov_b64_e32 v[54:55], 1
	s_waitcnt vmcnt(0)
	v_cmp_eq_f16_e32 vcc, v1, v30
	s_and_saveexec_b64 s[4:5], vcc
	s_cbranch_execz .LBB1282_340
; %bb.334:
	s_add_u32 s20, s12, -1
	v_lshl_add_u64 v[30:31], v[28:29], 0, 2
	v_lshl_add_u64 v[26:27], v[26:27], 0, 2
	s_addc_u32 s21, s13, -1
	s_mov_b64 s[22:23], 0
	s_mov_b64 s[26:27], 0
                                        ; implicit-def: $sgpr24_sgpr25
	s_branch .LBB1282_337
.LBB1282_335:                           ;   in Loop: Header=BB1282_337 Depth=1
	global_load_ushort v1, v[26:27], off
	global_load_ushort v32, v[30:31], off
	s_add_u32 s26, s26, 1
	s_addc_u32 s27, s27, 0
	s_andn2_b64 s[24:25], s[24:25], exec
	v_lshl_add_u64 v[30:31], v[30:31], 0, 2
	v_lshl_add_u64 v[26:27], v[26:27], 0, 2
	s_waitcnt vmcnt(0)
	v_cmp_neq_f16_e32 vcc, v1, v32
	s_and_b64 s[28:29], vcc, exec
	s_or_b64 s[24:25], s[24:25], s[28:29]
.LBB1282_336:                           ;   in Loop: Header=BB1282_337 Depth=1
	s_and_b64 s[28:29], exec, s[24:25]
	s_or_b64 s[22:23], s[28:29], s[22:23]
	v_mov_b64_e32 v[32:33], s[26:27]
	s_andn2_b64 exec, exec, s[22:23]
	s_cbranch_execz .LBB1282_339
.LBB1282_337:                           ; =>This Inner Loop Header: Depth=1
	s_or_b64 s[24:25], s[24:25], exec
	s_cmp_eq_u64 s[20:21], s[26:27]
	s_cbranch_scc0 .LBB1282_335
; %bb.338:                              ;   in Loop: Header=BB1282_337 Depth=1
                                        ; implicit-def: $vgpr30_vgpr31
                                        ; implicit-def: $vgpr26_vgpr27
	s_mov_b64 s[26:27], s[12:13]
	s_branch .LBB1282_336
.LBB1282_339:
	s_or_b64 exec, exec, s[22:23]
	v_cmp_gt_i64_e32 vcc, s[12:13], v[32:33]
	s_mov_b32 s7, 0
	v_mov_b32_e32 v55, s7
	v_cndmask_b32_e64 v54, 0, 1, vcc
.LBB1282_340:
	s_or_b64 exec, exec, s[4:5]
.LBB1282_341:
	v_mul_lo_u32 v1, v17, s12
	v_mul_lo_u32 v30, v16, s13
	v_mad_u64_u32 v[26:27], s[4:5], v16, s12, 0
	v_add3_u32 v27, v27, v30, v1
	s_and_b64 vcc, exec, s[2:3]
	v_lshl_add_u64 v[26:27], v[26:27], 1, s[14:15]
	s_cbranch_vccnz .LBB1282_350
; %bb.342:
	global_load_ushort v1, v[28:29], off
	global_load_ushort v30, v[26:27], off
	v_mov_b64_e32 v[56:57], 1
	s_waitcnt vmcnt(0)
	v_cmp_eq_f16_e32 vcc, v1, v30
	s_and_saveexec_b64 s[4:5], vcc
	s_cbranch_execz .LBB1282_349
; %bb.343:
	s_add_u32 s20, s12, -1
	v_lshl_add_u64 v[30:31], v[26:27], 0, 2
	v_lshl_add_u64 v[28:29], v[28:29], 0, 2
	s_addc_u32 s21, s13, -1
	s_mov_b64 s[22:23], 0
	s_mov_b64 s[26:27], 0
                                        ; implicit-def: $sgpr24_sgpr25
	s_branch .LBB1282_346
.LBB1282_344:                           ;   in Loop: Header=BB1282_346 Depth=1
	global_load_ushort v1, v[28:29], off
	global_load_ushort v32, v[30:31], off
	s_add_u32 s26, s26, 1
	s_addc_u32 s27, s27, 0
	s_andn2_b64 s[24:25], s[24:25], exec
	v_lshl_add_u64 v[30:31], v[30:31], 0, 2
	v_lshl_add_u64 v[28:29], v[28:29], 0, 2
	s_waitcnt vmcnt(0)
	v_cmp_neq_f16_e32 vcc, v1, v32
	s_and_b64 s[28:29], vcc, exec
	s_or_b64 s[24:25], s[24:25], s[28:29]
.LBB1282_345:                           ;   in Loop: Header=BB1282_346 Depth=1
	s_and_b64 s[28:29], exec, s[24:25]
	s_or_b64 s[22:23], s[28:29], s[22:23]
	v_mov_b64_e32 v[32:33], s[26:27]
	s_andn2_b64 exec, exec, s[22:23]
	s_cbranch_execz .LBB1282_348
.LBB1282_346:                           ; =>This Inner Loop Header: Depth=1
	s_or_b64 s[24:25], s[24:25], exec
	s_cmp_eq_u64 s[20:21], s[26:27]
	s_cbranch_scc0 .LBB1282_344
; %bb.347:                              ;   in Loop: Header=BB1282_346 Depth=1
                                        ; implicit-def: $vgpr30_vgpr31
                                        ; implicit-def: $vgpr28_vgpr29
	s_mov_b64 s[26:27], s[12:13]
	s_branch .LBB1282_345
.LBB1282_348:
	s_or_b64 exec, exec, s[22:23]
	v_cmp_gt_i64_e32 vcc, s[12:13], v[32:33]
	s_mov_b32 s7, 0
	v_mov_b32_e32 v57, s7
	v_cndmask_b32_e64 v56, 0, 1, vcc
.LBB1282_349:
	s_or_b64 exec, exec, s[4:5]
.LBB1282_350:
	v_mul_lo_u32 v1, v15, s12
	v_mul_lo_u32 v30, v14, s13
	v_mad_u64_u32 v[28:29], s[4:5], v14, s12, 0
	v_add3_u32 v29, v29, v30, v1
	v_mov_b64_e32 v[60:61], 0
	s_and_b64 vcc, exec, s[2:3]
	v_lshl_add_u64 v[28:29], v[28:29], 1, s[14:15]
	v_mov_b64_e32 v[58:59], v[60:61]
	s_cbranch_vccnz .LBB1282_359
; %bb.351:
	global_load_ushort v1, v[26:27], off
	global_load_ushort v30, v[28:29], off
	v_mov_b64_e32 v[58:59], 1
	s_waitcnt vmcnt(0)
	v_cmp_eq_f16_e32 vcc, v1, v30
	s_and_saveexec_b64 s[4:5], vcc
	s_cbranch_execz .LBB1282_358
; %bb.352:
	s_add_u32 s20, s12, -1
	v_lshl_add_u64 v[30:31], v[28:29], 0, 2
	v_lshl_add_u64 v[26:27], v[26:27], 0, 2
	s_addc_u32 s21, s13, -1
	s_mov_b64 s[22:23], 0
	s_mov_b64 s[26:27], 0
                                        ; implicit-def: $sgpr24_sgpr25
	s_branch .LBB1282_355
.LBB1282_353:                           ;   in Loop: Header=BB1282_355 Depth=1
	global_load_ushort v1, v[26:27], off
	global_load_ushort v32, v[30:31], off
	s_add_u32 s26, s26, 1
	s_addc_u32 s27, s27, 0
	s_andn2_b64 s[24:25], s[24:25], exec
	v_lshl_add_u64 v[30:31], v[30:31], 0, 2
	v_lshl_add_u64 v[26:27], v[26:27], 0, 2
	s_waitcnt vmcnt(0)
	v_cmp_neq_f16_e32 vcc, v1, v32
	s_and_b64 s[28:29], vcc, exec
	s_or_b64 s[24:25], s[24:25], s[28:29]
.LBB1282_354:                           ;   in Loop: Header=BB1282_355 Depth=1
	s_and_b64 s[28:29], exec, s[24:25]
	s_or_b64 s[22:23], s[28:29], s[22:23]
	v_mov_b64_e32 v[32:33], s[26:27]
	s_andn2_b64 exec, exec, s[22:23]
	s_cbranch_execz .LBB1282_357
.LBB1282_355:                           ; =>This Inner Loop Header: Depth=1
	s_or_b64 s[24:25], s[24:25], exec
	s_cmp_eq_u64 s[20:21], s[26:27]
	s_cbranch_scc0 .LBB1282_353
; %bb.356:                              ;   in Loop: Header=BB1282_355 Depth=1
                                        ; implicit-def: $vgpr30_vgpr31
                                        ; implicit-def: $vgpr26_vgpr27
	s_mov_b64 s[26:27], s[12:13]
	s_branch .LBB1282_354
.LBB1282_357:
	s_or_b64 exec, exec, s[22:23]
	v_cmp_gt_i64_e32 vcc, s[12:13], v[32:33]
	s_mov_b32 s7, 0
	v_mov_b32_e32 v59, s7
	v_cndmask_b32_e64 v58, 0, 1, vcc
.LBB1282_358:
	s_or_b64 exec, exec, s[4:5]
.LBB1282_359:
	v_mul_lo_u32 v1, v13, s12
	v_mul_lo_u32 v30, v12, s13
	v_mad_u64_u32 v[26:27], s[4:5], v12, s12, 0
	v_add3_u32 v27, v27, v30, v1
	s_and_b64 vcc, exec, s[2:3]
	v_lshl_add_u64 v[26:27], v[26:27], 1, s[14:15]
	s_cbranch_vccnz .LBB1282_368
; %bb.360:
	global_load_ushort v1, v[28:29], off
	global_load_ushort v30, v[26:27], off
	v_mov_b64_e32 v[60:61], 1
	s_waitcnt vmcnt(0)
	v_cmp_eq_f16_e32 vcc, v1, v30
	s_and_saveexec_b64 s[4:5], vcc
	s_cbranch_execz .LBB1282_367
; %bb.361:
	s_add_u32 s20, s12, -1
	v_lshl_add_u64 v[30:31], v[26:27], 0, 2
	v_lshl_add_u64 v[28:29], v[28:29], 0, 2
	s_addc_u32 s21, s13, -1
	s_mov_b64 s[22:23], 0
	s_mov_b64 s[26:27], 0
                                        ; implicit-def: $sgpr24_sgpr25
	s_branch .LBB1282_364
.LBB1282_362:                           ;   in Loop: Header=BB1282_364 Depth=1
	global_load_ushort v1, v[28:29], off
	global_load_ushort v32, v[30:31], off
	s_add_u32 s26, s26, 1
	s_addc_u32 s27, s27, 0
	s_andn2_b64 s[24:25], s[24:25], exec
	v_lshl_add_u64 v[30:31], v[30:31], 0, 2
	v_lshl_add_u64 v[28:29], v[28:29], 0, 2
	s_waitcnt vmcnt(0)
	v_cmp_neq_f16_e32 vcc, v1, v32
	s_and_b64 s[28:29], vcc, exec
	s_or_b64 s[24:25], s[24:25], s[28:29]
.LBB1282_363:                           ;   in Loop: Header=BB1282_364 Depth=1
	s_and_b64 s[28:29], exec, s[24:25]
	s_or_b64 s[22:23], s[28:29], s[22:23]
	v_mov_b64_e32 v[32:33], s[26:27]
	s_andn2_b64 exec, exec, s[22:23]
	s_cbranch_execz .LBB1282_366
.LBB1282_364:                           ; =>This Inner Loop Header: Depth=1
	s_or_b64 s[24:25], s[24:25], exec
	s_cmp_eq_u64 s[20:21], s[26:27]
	s_cbranch_scc0 .LBB1282_362
; %bb.365:                              ;   in Loop: Header=BB1282_364 Depth=1
                                        ; implicit-def: $vgpr30_vgpr31
                                        ; implicit-def: $vgpr28_vgpr29
	s_mov_b64 s[26:27], s[12:13]
	s_branch .LBB1282_363
.LBB1282_366:
	s_or_b64 exec, exec, s[22:23]
	v_cmp_gt_i64_e32 vcc, s[12:13], v[32:33]
	s_mov_b32 s7, 0
	v_mov_b32_e32 v61, s7
	v_cndmask_b32_e64 v60, 0, 1, vcc
.LBB1282_367:
	s_or_b64 exec, exec, s[4:5]
.LBB1282_368:
	v_mul_lo_u32 v1, v11, s12
	v_mul_lo_u32 v30, v10, s13
	v_mad_u64_u32 v[28:29], s[4:5], v10, s12, 0
	v_add3_u32 v29, v29, v30, v1
	v_mov_b64_e32 v[64:65], 0
	s_and_b64 vcc, exec, s[2:3]
	v_lshl_add_u64 v[28:29], v[28:29], 1, s[14:15]
	v_mov_b64_e32 v[62:63], v[64:65]
	s_cbranch_vccnz .LBB1282_377
; %bb.369:
	global_load_ushort v1, v[26:27], off
	global_load_ushort v30, v[28:29], off
	v_mov_b64_e32 v[62:63], 1
	s_waitcnt vmcnt(0)
	v_cmp_eq_f16_e32 vcc, v1, v30
	s_and_saveexec_b64 s[4:5], vcc
	s_cbranch_execz .LBB1282_376
; %bb.370:
	s_add_u32 s20, s12, -1
	v_lshl_add_u64 v[30:31], v[28:29], 0, 2
	v_lshl_add_u64 v[26:27], v[26:27], 0, 2
	s_addc_u32 s21, s13, -1
	s_mov_b64 s[22:23], 0
	s_mov_b64 s[26:27], 0
                                        ; implicit-def: $sgpr24_sgpr25
	s_branch .LBB1282_373
.LBB1282_371:                           ;   in Loop: Header=BB1282_373 Depth=1
	global_load_ushort v1, v[26:27], off
	global_load_ushort v32, v[30:31], off
	s_add_u32 s26, s26, 1
	s_addc_u32 s27, s27, 0
	s_andn2_b64 s[24:25], s[24:25], exec
	v_lshl_add_u64 v[30:31], v[30:31], 0, 2
	v_lshl_add_u64 v[26:27], v[26:27], 0, 2
	s_waitcnt vmcnt(0)
	v_cmp_neq_f16_e32 vcc, v1, v32
	s_and_b64 s[28:29], vcc, exec
	s_or_b64 s[24:25], s[24:25], s[28:29]
.LBB1282_372:                           ;   in Loop: Header=BB1282_373 Depth=1
	s_and_b64 s[28:29], exec, s[24:25]
	s_or_b64 s[22:23], s[28:29], s[22:23]
	v_mov_b64_e32 v[32:33], s[26:27]
	s_andn2_b64 exec, exec, s[22:23]
	s_cbranch_execz .LBB1282_375
.LBB1282_373:                           ; =>This Inner Loop Header: Depth=1
	s_or_b64 s[24:25], s[24:25], exec
	s_cmp_eq_u64 s[20:21], s[26:27]
	s_cbranch_scc0 .LBB1282_371
; %bb.374:                              ;   in Loop: Header=BB1282_373 Depth=1
                                        ; implicit-def: $vgpr30_vgpr31
                                        ; implicit-def: $vgpr26_vgpr27
	s_mov_b64 s[26:27], s[12:13]
	s_branch .LBB1282_372
.LBB1282_375:
	s_or_b64 exec, exec, s[22:23]
	v_cmp_gt_i64_e32 vcc, s[12:13], v[32:33]
	s_mov_b32 s7, 0
	v_mov_b32_e32 v63, s7
	v_cndmask_b32_e64 v62, 0, 1, vcc
.LBB1282_376:
	s_or_b64 exec, exec, s[4:5]
.LBB1282_377:
	v_mul_lo_u32 v1, v9, s12
	v_mul_lo_u32 v30, v8, s13
	v_mad_u64_u32 v[26:27], s[4:5], v8, s12, 0
	v_add3_u32 v27, v27, v30, v1
	s_and_b64 vcc, exec, s[2:3]
	v_lshl_add_u64 v[26:27], v[26:27], 1, s[14:15]
	s_cbranch_vccnz .LBB1282_386
; %bb.378:
	global_load_ushort v1, v[28:29], off
	global_load_ushort v30, v[26:27], off
	v_mov_b64_e32 v[64:65], 1
	s_waitcnt vmcnt(0)
	v_cmp_eq_f16_e32 vcc, v1, v30
	s_and_saveexec_b64 s[4:5], vcc
	s_cbranch_execz .LBB1282_385
; %bb.379:
	s_add_u32 s20, s12, -1
	v_lshl_add_u64 v[30:31], v[26:27], 0, 2
	v_lshl_add_u64 v[28:29], v[28:29], 0, 2
	s_addc_u32 s21, s13, -1
	s_mov_b64 s[22:23], 0
	s_mov_b64 s[26:27], 0
                                        ; implicit-def: $sgpr24_sgpr25
	s_branch .LBB1282_382
.LBB1282_380:                           ;   in Loop: Header=BB1282_382 Depth=1
	global_load_ushort v1, v[28:29], off
	global_load_ushort v32, v[30:31], off
	s_add_u32 s26, s26, 1
	s_addc_u32 s27, s27, 0
	s_andn2_b64 s[24:25], s[24:25], exec
	v_lshl_add_u64 v[30:31], v[30:31], 0, 2
	v_lshl_add_u64 v[28:29], v[28:29], 0, 2
	s_waitcnt vmcnt(0)
	v_cmp_neq_f16_e32 vcc, v1, v32
	s_and_b64 s[28:29], vcc, exec
	s_or_b64 s[24:25], s[24:25], s[28:29]
.LBB1282_381:                           ;   in Loop: Header=BB1282_382 Depth=1
	s_and_b64 s[28:29], exec, s[24:25]
	s_or_b64 s[22:23], s[28:29], s[22:23]
	v_mov_b64_e32 v[32:33], s[26:27]
	s_andn2_b64 exec, exec, s[22:23]
	s_cbranch_execz .LBB1282_384
.LBB1282_382:                           ; =>This Inner Loop Header: Depth=1
	s_or_b64 s[24:25], s[24:25], exec
	s_cmp_eq_u64 s[20:21], s[26:27]
	s_cbranch_scc0 .LBB1282_380
; %bb.383:                              ;   in Loop: Header=BB1282_382 Depth=1
                                        ; implicit-def: $vgpr30_vgpr31
                                        ; implicit-def: $vgpr28_vgpr29
	s_mov_b64 s[26:27], s[12:13]
	s_branch .LBB1282_381
.LBB1282_384:
	s_or_b64 exec, exec, s[22:23]
	v_cmp_gt_i64_e32 vcc, s[12:13], v[32:33]
	s_mov_b32 s7, 0
	v_mov_b32_e32 v65, s7
	v_cndmask_b32_e64 v64, 0, 1, vcc
.LBB1282_385:
	s_or_b64 exec, exec, s[4:5]
.LBB1282_386:
	v_mul_lo_u32 v1, v7, s12
	v_mul_lo_u32 v30, v6, s13
	v_mad_u64_u32 v[28:29], s[4:5], v6, s12, 0
	v_add3_u32 v29, v29, v30, v1
	v_mov_b64_e32 v[68:69], 0
	s_and_b64 vcc, exec, s[2:3]
	v_lshl_add_u64 v[28:29], v[28:29], 1, s[14:15]
	v_mov_b64_e32 v[66:67], v[68:69]
	s_cbranch_vccnz .LBB1282_395
; %bb.387:
	global_load_ushort v1, v[26:27], off
	global_load_ushort v30, v[28:29], off
	v_mov_b64_e32 v[66:67], 1
	s_waitcnt vmcnt(0)
	v_cmp_eq_f16_e32 vcc, v1, v30
	s_and_saveexec_b64 s[4:5], vcc
	s_cbranch_execz .LBB1282_394
; %bb.388:
	s_add_u32 s20, s12, -1
	v_lshl_add_u64 v[30:31], v[28:29], 0, 2
	v_lshl_add_u64 v[26:27], v[26:27], 0, 2
	s_addc_u32 s21, s13, -1
	s_mov_b64 s[22:23], 0
	s_mov_b64 s[26:27], 0
                                        ; implicit-def: $sgpr24_sgpr25
	s_branch .LBB1282_391
.LBB1282_389:                           ;   in Loop: Header=BB1282_391 Depth=1
	global_load_ushort v1, v[26:27], off
	global_load_ushort v32, v[30:31], off
	s_add_u32 s26, s26, 1
	s_addc_u32 s27, s27, 0
	s_andn2_b64 s[24:25], s[24:25], exec
	v_lshl_add_u64 v[30:31], v[30:31], 0, 2
	v_lshl_add_u64 v[26:27], v[26:27], 0, 2
	s_waitcnt vmcnt(0)
	v_cmp_neq_f16_e32 vcc, v1, v32
	s_and_b64 s[28:29], vcc, exec
	s_or_b64 s[24:25], s[24:25], s[28:29]
.LBB1282_390:                           ;   in Loop: Header=BB1282_391 Depth=1
	s_and_b64 s[28:29], exec, s[24:25]
	s_or_b64 s[22:23], s[28:29], s[22:23]
	v_mov_b64_e32 v[32:33], s[26:27]
	s_andn2_b64 exec, exec, s[22:23]
	s_cbranch_execz .LBB1282_393
.LBB1282_391:                           ; =>This Inner Loop Header: Depth=1
	s_or_b64 s[24:25], s[24:25], exec
	s_cmp_eq_u64 s[20:21], s[26:27]
	s_cbranch_scc0 .LBB1282_389
; %bb.392:                              ;   in Loop: Header=BB1282_391 Depth=1
                                        ; implicit-def: $vgpr30_vgpr31
                                        ; implicit-def: $vgpr26_vgpr27
	s_mov_b64 s[26:27], s[12:13]
	s_branch .LBB1282_390
.LBB1282_393:
	s_or_b64 exec, exec, s[22:23]
	v_cmp_gt_i64_e32 vcc, s[12:13], v[32:33]
	s_mov_b32 s7, 0
	v_mov_b32_e32 v67, s7
	v_cndmask_b32_e64 v66, 0, 1, vcc
.LBB1282_394:
	s_or_b64 exec, exec, s[4:5]
.LBB1282_395:
	v_mul_lo_u32 v1, v5, s12
	v_mul_lo_u32 v30, v4, s13
	v_mad_u64_u32 v[26:27], s[4:5], v4, s12, 0
	v_add3_u32 v27, v27, v30, v1
	s_and_b64 vcc, exec, s[2:3]
	v_lshl_add_u64 v[26:27], v[26:27], 1, s[14:15]
	s_cbranch_vccnz .LBB1282_404
; %bb.396:
	global_load_ushort v1, v[28:29], off
	global_load_ushort v30, v[26:27], off
	v_mov_b64_e32 v[68:69], 1
	s_waitcnt vmcnt(0)
	v_cmp_eq_f16_e32 vcc, v1, v30
	s_and_saveexec_b64 s[4:5], vcc
	s_cbranch_execz .LBB1282_403
; %bb.397:
	s_add_u32 s20, s12, -1
	v_lshl_add_u64 v[30:31], v[26:27], 0, 2
	v_lshl_add_u64 v[28:29], v[28:29], 0, 2
	s_addc_u32 s21, s13, -1
	s_mov_b64 s[22:23], 0
	s_mov_b64 s[26:27], 0
                                        ; implicit-def: $sgpr24_sgpr25
	s_branch .LBB1282_400
.LBB1282_398:                           ;   in Loop: Header=BB1282_400 Depth=1
	global_load_ushort v1, v[28:29], off
	global_load_ushort v32, v[30:31], off
	s_add_u32 s26, s26, 1
	s_addc_u32 s27, s27, 0
	s_andn2_b64 s[24:25], s[24:25], exec
	v_lshl_add_u64 v[30:31], v[30:31], 0, 2
	v_lshl_add_u64 v[28:29], v[28:29], 0, 2
	s_waitcnt vmcnt(0)
	v_cmp_neq_f16_e32 vcc, v1, v32
	s_and_b64 s[28:29], vcc, exec
	s_or_b64 s[24:25], s[24:25], s[28:29]
.LBB1282_399:                           ;   in Loop: Header=BB1282_400 Depth=1
	s_and_b64 s[28:29], exec, s[24:25]
	s_or_b64 s[22:23], s[28:29], s[22:23]
	v_mov_b64_e32 v[32:33], s[26:27]
	s_andn2_b64 exec, exec, s[22:23]
	s_cbranch_execz .LBB1282_402
.LBB1282_400:                           ; =>This Inner Loop Header: Depth=1
	s_or_b64 s[24:25], s[24:25], exec
	s_cmp_eq_u64 s[20:21], s[26:27]
	s_cbranch_scc0 .LBB1282_398
; %bb.401:                              ;   in Loop: Header=BB1282_400 Depth=1
                                        ; implicit-def: $vgpr30_vgpr31
                                        ; implicit-def: $vgpr28_vgpr29
	s_mov_b64 s[26:27], s[12:13]
	s_branch .LBB1282_399
.LBB1282_402:
	s_or_b64 exec, exec, s[22:23]
	v_cmp_gt_i64_e32 vcc, s[12:13], v[32:33]
	s_mov_b32 s7, 0
	v_mov_b32_e32 v69, s7
	v_cndmask_b32_e64 v68, 0, 1, vcc
.LBB1282_403:
	s_or_b64 exec, exec, s[4:5]
.LBB1282_404:
	s_and_b64 vcc, exec, s[2:3]
	s_cbranch_vccnz .LBB1282_411
; %bb.405:
	v_mul_lo_u32 v1, v3, s12
	v_mul_lo_u32 v30, v2, s13
	v_mad_u64_u32 v[28:29], s[4:5], v2, s12, 0
	v_add3_u32 v29, v29, v30, v1
	v_lshl_add_u64 v[28:29], v[28:29], 1, s[14:15]
	global_load_ushort v1, v[26:27], off
	global_load_ushort v30, v[28:29], off
	v_mov_b64_e32 v[70:71], 1
	s_waitcnt vmcnt(0)
	v_cmp_eq_f16_e32 vcc, v1, v30
	s_and_saveexec_b64 s[4:5], vcc
	s_cbranch_execz .LBB1282_413
; %bb.406:
	s_add_u32 s20, s12, -1
	v_lshl_add_u64 v[28:29], v[28:29], 0, 2
	v_lshl_add_u64 v[26:27], v[26:27], 0, 2
	s_addc_u32 s21, s13, -1
	s_mov_b64 s[22:23], 0
	s_mov_b64 s[26:27], 0
                                        ; implicit-def: $sgpr24_sgpr25
	s_branch .LBB1282_409
.LBB1282_407:                           ;   in Loop: Header=BB1282_409 Depth=1
	global_load_ushort v1, v[26:27], off
	global_load_ushort v30, v[28:29], off
	s_add_u32 s26, s26, 1
	s_addc_u32 s27, s27, 0
	s_andn2_b64 s[24:25], s[24:25], exec
	v_lshl_add_u64 v[28:29], v[28:29], 0, 2
	v_lshl_add_u64 v[26:27], v[26:27], 0, 2
	s_waitcnt vmcnt(0)
	v_cmp_neq_f16_e32 vcc, v1, v30
	s_and_b64 s[28:29], vcc, exec
	s_or_b64 s[24:25], s[24:25], s[28:29]
.LBB1282_408:                           ;   in Loop: Header=BB1282_409 Depth=1
	s_and_b64 s[28:29], exec, s[24:25]
	s_or_b64 s[22:23], s[28:29], s[22:23]
	v_mov_b64_e32 v[30:31], s[26:27]
	s_andn2_b64 exec, exec, s[22:23]
	s_cbranch_execz .LBB1282_412
.LBB1282_409:                           ; =>This Inner Loop Header: Depth=1
	s_or_b64 s[24:25], s[24:25], exec
	s_cmp_eq_u64 s[20:21], s[26:27]
	s_cbranch_scc0 .LBB1282_407
; %bb.410:                              ;   in Loop: Header=BB1282_409 Depth=1
                                        ; implicit-def: $vgpr28_vgpr29
                                        ; implicit-def: $vgpr26_vgpr27
	s_mov_b64 s[26:27], s[12:13]
	s_branch .LBB1282_408
.LBB1282_411:
	v_mov_b64_e32 v[70:71], 0
	s_branch .LBB1282_414
.LBB1282_412:
	s_or_b64 exec, exec, s[22:23]
	v_cmp_gt_i64_e32 vcc, s[12:13], v[30:31]
	s_mov_b32 s7, 0
	v_mov_b32_e32 v71, s7
	v_cndmask_b32_e64 v70, 0, 1, vcc
.LBB1282_413:
	s_or_b64 exec, exec, s[4:5]
.LBB1282_414:
	v_cmp_ne_u32_e32 vcc, 0, v0
	s_waitcnt lgkmcnt(0)
	; wave barrier
	s_waitcnt lgkmcnt(0)
                                        ; implicit-def: $sgpr24_sgpr25
	s_and_saveexec_b64 s[4:5], vcc
	s_cbranch_execz .LBB1282_426
; %bb.415:
	s_and_b64 vcc, exec, s[2:3]
	s_cbranch_vccnz .LBB1282_422
; %bb.416:
	v_add_u32_e32 v26, -8, v48
	ds_read_b64 v[26:27], v26
	v_mul_lo_u32 v1, v3, s12
	v_mul_lo_u32 v30, v2, s13
	v_mad_u64_u32 v[28:29], s[2:3], v2, s12, 0
	v_add3_u32 v29, v29, v30, v1
	s_waitcnt lgkmcnt(0)
	v_mul_lo_u32 v1, v27, s12
	v_mul_lo_u32 v30, v26, s13
	v_mad_u64_u32 v[26:27], s[2:3], v26, s12, 0
	v_add3_u32 v27, v27, v30, v1
	v_lshl_add_u64 v[28:29], v[28:29], 1, s[14:15]
	v_lshl_add_u64 v[26:27], v[26:27], 1, s[14:15]
	global_load_ushort v1, v[28:29], off
	global_load_ushort v30, v[26:27], off
	s_mov_b64 s[20:21], -1
	s_waitcnt vmcnt(0)
	v_cmp_eq_f16_e32 vcc, v1, v30
	s_and_saveexec_b64 s[2:3], vcc
	s_cbranch_execz .LBB1282_424
; %bb.417:
	s_add_u32 s20, s12, -1
	v_lshl_add_u64 v[26:27], v[26:27], 0, 2
	v_lshl_add_u64 v[28:29], v[28:29], 0, 2
	s_addc_u32 s21, s13, -1
	s_mov_b64 s[22:23], 0
	s_mov_b64 s[26:27], 0
                                        ; implicit-def: $sgpr24_sgpr25
	s_branch .LBB1282_420
.LBB1282_418:                           ;   in Loop: Header=BB1282_420 Depth=1
	global_load_ushort v1, v[28:29], off
	global_load_ushort v30, v[26:27], off
	s_add_u32 s26, s26, 1
	s_addc_u32 s27, s27, 0
	s_andn2_b64 s[24:25], s[24:25], exec
	v_lshl_add_u64 v[26:27], v[26:27], 0, 2
	v_lshl_add_u64 v[28:29], v[28:29], 0, 2
	s_waitcnt vmcnt(0)
	v_cmp_neq_f16_e32 vcc, v1, v30
	s_and_b64 s[28:29], vcc, exec
	s_or_b64 s[24:25], s[24:25], s[28:29]
.LBB1282_419:                           ;   in Loop: Header=BB1282_420 Depth=1
	s_and_b64 s[28:29], exec, s[24:25]
	s_or_b64 s[22:23], s[28:29], s[22:23]
	v_mov_b64_e32 v[30:31], s[26:27]
	s_andn2_b64 exec, exec, s[22:23]
	s_cbranch_execz .LBB1282_423
.LBB1282_420:                           ; =>This Inner Loop Header: Depth=1
	s_or_b64 s[24:25], s[24:25], exec
	s_cmp_eq_u64 s[20:21], s[26:27]
	s_cbranch_scc0 .LBB1282_418
; %bb.421:                              ;   in Loop: Header=BB1282_420 Depth=1
                                        ; implicit-def: $vgpr26_vgpr27
                                        ; implicit-def: $vgpr28_vgpr29
	s_mov_b64 s[26:27], s[12:13]
	s_branch .LBB1282_419
.LBB1282_422:
	s_mov_b64 s[20:21], 0
	s_branch .LBB1282_425
.LBB1282_423:
	s_or_b64 exec, exec, s[22:23]
	v_cmp_gt_i64_e32 vcc, s[12:13], v[30:31]
	s_orn2_b64 s[20:21], vcc, exec
.LBB1282_424:
	s_or_b64 exec, exec, s[2:3]
.LBB1282_425:
	s_and_b64 s[24:25], s[20:21], exec
	s_or_b64 s[18:19], s[18:19], exec
.LBB1282_426:
	s_or_b64 exec, exec, s[4:5]
	v_mov_b64_e32 v[72:73], v[52:53]
	v_mov_b64_e32 v[26:27], v[46:47]
	;; [unrolled: 1-line block ×11, first 2 shown]
	s_branch .LBB1282_572
.LBB1282_427:
	s_waitcnt lgkmcnt(0)
	v_mad_u32_u24 v26, v0, 13, 12
	v_cmp_gt_i64_e64 s[2:3], s[12:13], 0
	v_cmp_gt_u32_e32 vcc, s10, v26
	v_mul_u32_u24_e32 v1, 13, v0
	v_cndmask_b32_e64 v26, 0, 1, s[2:3]
	v_cmp_ne_u32_e64 s[2:3], 1, v26
	ds_write_b64 v48, v[44:45]
	s_and_saveexec_b64 s[4:5], vcc
	s_cbranch_execz .LBB1282_438
; %bb.428:
	s_and_b64 vcc, exec, s[2:3]
	s_cbranch_vccnz .LBB1282_435
; %bb.429:
	v_mul_lo_u32 v28, v45, s12
	v_mul_lo_u32 v29, v44, s13
	v_mad_u64_u32 v[26:27], s[20:21], v44, s12, 0
	v_add3_u32 v27, v27, v29, v28
	v_mul_lo_u32 v28, v25, s12
	v_mul_lo_u32 v29, v24, s13
	v_mad_u64_u32 v[30:31], s[20:21], v24, s12, 0
	v_add3_u32 v31, v31, v29, v28
	v_lshl_add_u64 v[28:29], v[26:27], 1, s[14:15]
	v_lshl_add_u64 v[26:27], v[30:31], 1, s[14:15]
	global_load_ushort v30, v[28:29], off
	global_load_ushort v31, v[26:27], off
	v_mov_b64_e32 v[44:45], 1
	s_waitcnt vmcnt(0)
	v_cmp_eq_f16_e32 vcc, v30, v31
	s_and_saveexec_b64 s[20:21], vcc
	s_cbranch_execz .LBB1282_437
; %bb.430:
	s_add_u32 s22, s12, -1
	v_lshl_add_u64 v[26:27], v[26:27], 0, 2
	v_lshl_add_u64 v[28:29], v[28:29], 0, 2
	s_addc_u32 s23, s13, -1
	s_mov_b64 s[24:25], 0
	s_mov_b64 s[28:29], 0
                                        ; implicit-def: $sgpr26_sgpr27
	s_branch .LBB1282_433
.LBB1282_431:                           ;   in Loop: Header=BB1282_433 Depth=1
	global_load_ushort v30, v[28:29], off
	global_load_ushort v31, v[26:27], off
	s_add_u32 s28, s28, 1
	s_addc_u32 s29, s29, 0
	s_andn2_b64 s[26:27], s[26:27], exec
	v_lshl_add_u64 v[26:27], v[26:27], 0, 2
	v_lshl_add_u64 v[28:29], v[28:29], 0, 2
	s_waitcnt vmcnt(0)
	v_cmp_neq_f16_e32 vcc, v30, v31
	s_and_b64 s[30:31], vcc, exec
	s_or_b64 s[26:27], s[26:27], s[30:31]
.LBB1282_432:                           ;   in Loop: Header=BB1282_433 Depth=1
	s_and_b64 s[30:31], exec, s[26:27]
	s_or_b64 s[24:25], s[30:31], s[24:25]
	v_mov_b64_e32 v[30:31], s[28:29]
	s_andn2_b64 exec, exec, s[24:25]
	s_cbranch_execz .LBB1282_436
.LBB1282_433:                           ; =>This Inner Loop Header: Depth=1
	s_or_b64 s[26:27], s[26:27], exec
	s_cmp_eq_u64 s[22:23], s[28:29]
	s_cbranch_scc0 .LBB1282_431
; %bb.434:                              ;   in Loop: Header=BB1282_433 Depth=1
                                        ; implicit-def: $vgpr26_vgpr27
                                        ; implicit-def: $vgpr28_vgpr29
	s_mov_b64 s[28:29], s[12:13]
	s_branch .LBB1282_432
.LBB1282_435:
	v_mov_b64_e32 v[44:45], 0
	s_branch .LBB1282_438
.LBB1282_436:
	s_or_b64 exec, exec, s[24:25]
	v_cmp_gt_i64_e32 vcc, s[12:13], v[30:31]
	s_mov_b32 s7, 0
	v_mov_b32_e32 v45, s7
	v_cndmask_b32_e64 v44, 0, 1, vcc
.LBB1282_437:
	s_or_b64 exec, exec, s[20:21]
.LBB1282_438:
	s_or_b64 exec, exec, s[4:5]
	v_add_u32_e32 v26, 11, v1
	v_cmp_gt_u32_e32 vcc, s10, v26
	s_and_saveexec_b64 s[4:5], vcc
	s_cbranch_execz .LBB1282_449
; %bb.439:
	s_and_b64 vcc, exec, s[2:3]
	s_cbranch_vccnz .LBB1282_446
; %bb.440:
	v_mul_lo_u32 v26, v25, s12
	v_mul_lo_u32 v27, v24, s13
	v_mad_u64_u32 v[24:25], s[20:21], v24, s12, 0
	v_add3_u32 v25, v25, v27, v26
	v_mul_lo_u32 v26, v23, s12
	v_mul_lo_u32 v27, v22, s13
	v_mad_u64_u32 v[28:29], s[20:21], v22, s12, 0
	v_add3_u32 v29, v29, v27, v26
	v_lshl_add_u64 v[26:27], v[24:25], 1, s[14:15]
	v_lshl_add_u64 v[28:29], v[28:29], 1, s[14:15]
	global_load_ushort v24, v[26:27], off
	global_load_ushort v25, v[28:29], off
	s_waitcnt vmcnt(0)
	v_cmp_eq_f16_e32 vcc, v24, v25
	v_mov_b64_e32 v[24:25], 1
	s_and_saveexec_b64 s[20:21], vcc
	s_cbranch_execz .LBB1282_448
; %bb.441:
	s_add_u32 s22, s12, -1
	v_lshl_add_u64 v[24:25], v[28:29], 0, 2
	v_lshl_add_u64 v[26:27], v[26:27], 0, 2
	s_addc_u32 s23, s13, -1
	s_mov_b64 s[24:25], 0
	s_mov_b64 s[28:29], 0
                                        ; implicit-def: $sgpr26_sgpr27
	s_branch .LBB1282_444
.LBB1282_442:                           ;   in Loop: Header=BB1282_444 Depth=1
	global_load_ushort v28, v[26:27], off
	global_load_ushort v29, v[24:25], off
	s_add_u32 s28, s28, 1
	s_addc_u32 s29, s29, 0
	s_andn2_b64 s[26:27], s[26:27], exec
	v_lshl_add_u64 v[24:25], v[24:25], 0, 2
	v_lshl_add_u64 v[26:27], v[26:27], 0, 2
	s_waitcnt vmcnt(0)
	v_cmp_neq_f16_e32 vcc, v28, v29
	s_and_b64 s[30:31], vcc, exec
	s_or_b64 s[26:27], s[26:27], s[30:31]
.LBB1282_443:                           ;   in Loop: Header=BB1282_444 Depth=1
	s_and_b64 s[30:31], exec, s[26:27]
	s_or_b64 s[24:25], s[30:31], s[24:25]
	v_mov_b64_e32 v[28:29], s[28:29]
	s_andn2_b64 exec, exec, s[24:25]
	s_cbranch_execz .LBB1282_447
.LBB1282_444:                           ; =>This Inner Loop Header: Depth=1
	s_or_b64 s[26:27], s[26:27], exec
	s_cmp_eq_u64 s[22:23], s[28:29]
	s_cbranch_scc0 .LBB1282_442
; %bb.445:                              ;   in Loop: Header=BB1282_444 Depth=1
                                        ; implicit-def: $vgpr24_vgpr25
                                        ; implicit-def: $vgpr26_vgpr27
	s_mov_b64 s[28:29], s[12:13]
	s_branch .LBB1282_443
.LBB1282_446:
	v_mov_b64_e32 v[24:25], 0
	s_branch .LBB1282_449
.LBB1282_447:
	s_or_b64 exec, exec, s[24:25]
	v_cmp_gt_i64_e32 vcc, s[12:13], v[28:29]
	s_mov_b32 s7, 0
	v_mov_b32_e32 v25, s7
	v_cndmask_b32_e64 v24, 0, 1, vcc
.LBB1282_448:
	s_or_b64 exec, exec, s[20:21]
.LBB1282_449:
	s_or_b64 exec, exec, s[4:5]
	v_add_u32_e32 v26, 10, v1
	v_cmp_gt_u32_e32 vcc, s10, v26
	s_and_saveexec_b64 s[4:5], vcc
	s_cbranch_execz .LBB1282_460
; %bb.450:
	s_and_b64 vcc, exec, s[2:3]
	s_cbranch_vccnz .LBB1282_457
; %bb.451:
	v_mul_lo_u32 v26, v23, s12
	v_mul_lo_u32 v27, v22, s13
	v_mad_u64_u32 v[22:23], s[20:21], v22, s12, 0
	v_add3_u32 v23, v23, v27, v26
	v_mul_lo_u32 v26, v21, s12
	v_mul_lo_u32 v27, v20, s13
	v_mad_u64_u32 v[28:29], s[20:21], v20, s12, 0
	v_add3_u32 v29, v29, v27, v26
	v_lshl_add_u64 v[26:27], v[22:23], 1, s[14:15]
	v_lshl_add_u64 v[28:29], v[28:29], 1, s[14:15]
	global_load_ushort v22, v[26:27], off
	global_load_ushort v23, v[28:29], off
	s_waitcnt vmcnt(0)
	v_cmp_eq_f16_e32 vcc, v22, v23
	v_mov_b64_e32 v[22:23], 1
	s_and_saveexec_b64 s[20:21], vcc
	s_cbranch_execz .LBB1282_459
; %bb.452:
	s_add_u32 s22, s12, -1
	v_lshl_add_u64 v[22:23], v[28:29], 0, 2
	v_lshl_add_u64 v[26:27], v[26:27], 0, 2
	s_addc_u32 s23, s13, -1
	s_mov_b64 s[24:25], 0
	s_mov_b64 s[28:29], 0
                                        ; implicit-def: $sgpr26_sgpr27
	s_branch .LBB1282_455
.LBB1282_453:                           ;   in Loop: Header=BB1282_455 Depth=1
	global_load_ushort v28, v[26:27], off
	global_load_ushort v29, v[22:23], off
	s_add_u32 s28, s28, 1
	s_addc_u32 s29, s29, 0
	s_andn2_b64 s[26:27], s[26:27], exec
	v_lshl_add_u64 v[22:23], v[22:23], 0, 2
	v_lshl_add_u64 v[26:27], v[26:27], 0, 2
	s_waitcnt vmcnt(0)
	v_cmp_neq_f16_e32 vcc, v28, v29
	s_and_b64 s[30:31], vcc, exec
	s_or_b64 s[26:27], s[26:27], s[30:31]
.LBB1282_454:                           ;   in Loop: Header=BB1282_455 Depth=1
	s_and_b64 s[30:31], exec, s[26:27]
	s_or_b64 s[24:25], s[30:31], s[24:25]
	v_mov_b64_e32 v[28:29], s[28:29]
	s_andn2_b64 exec, exec, s[24:25]
	s_cbranch_execz .LBB1282_458
.LBB1282_455:                           ; =>This Inner Loop Header: Depth=1
	s_or_b64 s[26:27], s[26:27], exec
	s_cmp_eq_u64 s[22:23], s[28:29]
	s_cbranch_scc0 .LBB1282_453
; %bb.456:                              ;   in Loop: Header=BB1282_455 Depth=1
                                        ; implicit-def: $vgpr22_vgpr23
                                        ; implicit-def: $vgpr26_vgpr27
	s_mov_b64 s[28:29], s[12:13]
	s_branch .LBB1282_454
.LBB1282_457:
	v_mov_b64_e32 v[22:23], 0
	s_branch .LBB1282_460
.LBB1282_458:
	s_or_b64 exec, exec, s[24:25]
	v_cmp_gt_i64_e32 vcc, s[12:13], v[28:29]
	s_mov_b32 s7, 0
	v_mov_b32_e32 v23, s7
	v_cndmask_b32_e64 v22, 0, 1, vcc
.LBB1282_459:
	s_or_b64 exec, exec, s[20:21]
.LBB1282_460:
	s_or_b64 exec, exec, s[4:5]
	v_add_u32_e32 v26, 9, v1
	v_cmp_gt_u32_e32 vcc, s10, v26
	s_and_saveexec_b64 s[4:5], vcc
	s_cbranch_execz .LBB1282_471
; %bb.461:
	s_and_b64 vcc, exec, s[2:3]
	s_cbranch_vccnz .LBB1282_468
; %bb.462:
	v_mul_lo_u32 v26, v21, s12
	v_mul_lo_u32 v27, v20, s13
	v_mad_u64_u32 v[20:21], s[20:21], v20, s12, 0
	v_add3_u32 v21, v21, v27, v26
	v_mul_lo_u32 v26, v19, s12
	v_mul_lo_u32 v27, v18, s13
	v_mad_u64_u32 v[28:29], s[20:21], v18, s12, 0
	v_add3_u32 v29, v29, v27, v26
	v_lshl_add_u64 v[26:27], v[20:21], 1, s[14:15]
	v_lshl_add_u64 v[28:29], v[28:29], 1, s[14:15]
	global_load_ushort v20, v[26:27], off
	global_load_ushort v21, v[28:29], off
	s_waitcnt vmcnt(0)
	v_cmp_eq_f16_e32 vcc, v20, v21
	v_mov_b64_e32 v[20:21], 1
	s_and_saveexec_b64 s[20:21], vcc
	s_cbranch_execz .LBB1282_470
; %bb.463:
	s_add_u32 s22, s12, -1
	v_lshl_add_u64 v[20:21], v[28:29], 0, 2
	v_lshl_add_u64 v[26:27], v[26:27], 0, 2
	s_addc_u32 s23, s13, -1
	s_mov_b64 s[24:25], 0
	s_mov_b64 s[28:29], 0
                                        ; implicit-def: $sgpr26_sgpr27
	s_branch .LBB1282_466
.LBB1282_464:                           ;   in Loop: Header=BB1282_466 Depth=1
	global_load_ushort v28, v[26:27], off
	global_load_ushort v29, v[20:21], off
	s_add_u32 s28, s28, 1
	s_addc_u32 s29, s29, 0
	s_andn2_b64 s[26:27], s[26:27], exec
	v_lshl_add_u64 v[20:21], v[20:21], 0, 2
	v_lshl_add_u64 v[26:27], v[26:27], 0, 2
	s_waitcnt vmcnt(0)
	v_cmp_neq_f16_e32 vcc, v28, v29
	s_and_b64 s[30:31], vcc, exec
	s_or_b64 s[26:27], s[26:27], s[30:31]
.LBB1282_465:                           ;   in Loop: Header=BB1282_466 Depth=1
	s_and_b64 s[30:31], exec, s[26:27]
	s_or_b64 s[24:25], s[30:31], s[24:25]
	v_mov_b64_e32 v[28:29], s[28:29]
	s_andn2_b64 exec, exec, s[24:25]
	s_cbranch_execz .LBB1282_469
.LBB1282_466:                           ; =>This Inner Loop Header: Depth=1
	s_or_b64 s[26:27], s[26:27], exec
	s_cmp_eq_u64 s[22:23], s[28:29]
	s_cbranch_scc0 .LBB1282_464
; %bb.467:                              ;   in Loop: Header=BB1282_466 Depth=1
                                        ; implicit-def: $vgpr20_vgpr21
                                        ; implicit-def: $vgpr26_vgpr27
	s_mov_b64 s[28:29], s[12:13]
	s_branch .LBB1282_465
.LBB1282_468:
	v_mov_b64_e32 v[20:21], 0
	s_branch .LBB1282_471
.LBB1282_469:
	s_or_b64 exec, exec, s[24:25]
	v_cmp_gt_i64_e32 vcc, s[12:13], v[28:29]
	s_mov_b32 s7, 0
	v_mov_b32_e32 v21, s7
	v_cndmask_b32_e64 v20, 0, 1, vcc
.LBB1282_470:
	s_or_b64 exec, exec, s[20:21]
.LBB1282_471:
	s_or_b64 exec, exec, s[4:5]
	v_add_u32_e32 v26, 8, v1
	v_cmp_gt_u32_e32 vcc, s10, v26
	s_and_saveexec_b64 s[4:5], vcc
	s_cbranch_execz .LBB1282_482
; %bb.472:
	s_and_b64 vcc, exec, s[2:3]
	s_cbranch_vccnz .LBB1282_479
; %bb.473:
	v_mul_lo_u32 v26, v19, s12
	v_mul_lo_u32 v27, v18, s13
	v_mad_u64_u32 v[18:19], s[20:21], v18, s12, 0
	v_add3_u32 v19, v19, v27, v26
	v_mul_lo_u32 v26, v17, s12
	v_mul_lo_u32 v27, v16, s13
	v_mad_u64_u32 v[28:29], s[20:21], v16, s12, 0
	v_add3_u32 v29, v29, v27, v26
	v_lshl_add_u64 v[26:27], v[18:19], 1, s[14:15]
	v_lshl_add_u64 v[28:29], v[28:29], 1, s[14:15]
	global_load_ushort v18, v[26:27], off
	global_load_ushort v19, v[28:29], off
	s_waitcnt vmcnt(0)
	v_cmp_eq_f16_e32 vcc, v18, v19
	v_mov_b64_e32 v[18:19], 1
	s_and_saveexec_b64 s[20:21], vcc
	s_cbranch_execz .LBB1282_481
; %bb.474:
	s_add_u32 s22, s12, -1
	v_lshl_add_u64 v[18:19], v[28:29], 0, 2
	v_lshl_add_u64 v[26:27], v[26:27], 0, 2
	s_addc_u32 s23, s13, -1
	s_mov_b64 s[24:25], 0
	s_mov_b64 s[28:29], 0
                                        ; implicit-def: $sgpr26_sgpr27
	s_branch .LBB1282_477
.LBB1282_475:                           ;   in Loop: Header=BB1282_477 Depth=1
	global_load_ushort v28, v[26:27], off
	global_load_ushort v29, v[18:19], off
	s_add_u32 s28, s28, 1
	s_addc_u32 s29, s29, 0
	s_andn2_b64 s[26:27], s[26:27], exec
	v_lshl_add_u64 v[18:19], v[18:19], 0, 2
	v_lshl_add_u64 v[26:27], v[26:27], 0, 2
	s_waitcnt vmcnt(0)
	v_cmp_neq_f16_e32 vcc, v28, v29
	s_and_b64 s[30:31], vcc, exec
	s_or_b64 s[26:27], s[26:27], s[30:31]
.LBB1282_476:                           ;   in Loop: Header=BB1282_477 Depth=1
	s_and_b64 s[30:31], exec, s[26:27]
	s_or_b64 s[24:25], s[30:31], s[24:25]
	v_mov_b64_e32 v[28:29], s[28:29]
	s_andn2_b64 exec, exec, s[24:25]
	s_cbranch_execz .LBB1282_480
.LBB1282_477:                           ; =>This Inner Loop Header: Depth=1
	s_or_b64 s[26:27], s[26:27], exec
	s_cmp_eq_u64 s[22:23], s[28:29]
	s_cbranch_scc0 .LBB1282_475
; %bb.478:                              ;   in Loop: Header=BB1282_477 Depth=1
                                        ; implicit-def: $vgpr18_vgpr19
                                        ; implicit-def: $vgpr26_vgpr27
	s_mov_b64 s[28:29], s[12:13]
	s_branch .LBB1282_476
.LBB1282_479:
	v_mov_b64_e32 v[18:19], 0
	s_branch .LBB1282_482
.LBB1282_480:
	s_or_b64 exec, exec, s[24:25]
	v_cmp_gt_i64_e32 vcc, s[12:13], v[28:29]
	s_mov_b32 s7, 0
	v_mov_b32_e32 v19, s7
	v_cndmask_b32_e64 v18, 0, 1, vcc
.LBB1282_481:
	s_or_b64 exec, exec, s[20:21]
.LBB1282_482:
	s_or_b64 exec, exec, s[4:5]
	v_add_u32_e32 v26, 7, v1
	v_cmp_gt_u32_e32 vcc, s10, v26
	s_and_saveexec_b64 s[4:5], vcc
	s_cbranch_execz .LBB1282_493
; %bb.483:
	s_and_b64 vcc, exec, s[2:3]
	s_cbranch_vccnz .LBB1282_490
; %bb.484:
	v_mul_lo_u32 v26, v17, s12
	v_mul_lo_u32 v27, v16, s13
	v_mad_u64_u32 v[16:17], s[20:21], v16, s12, 0
	v_add3_u32 v17, v17, v27, v26
	v_mul_lo_u32 v26, v15, s12
	v_mul_lo_u32 v27, v14, s13
	v_mad_u64_u32 v[28:29], s[20:21], v14, s12, 0
	v_add3_u32 v29, v29, v27, v26
	v_lshl_add_u64 v[26:27], v[16:17], 1, s[14:15]
	v_lshl_add_u64 v[28:29], v[28:29], 1, s[14:15]
	global_load_ushort v16, v[26:27], off
	global_load_ushort v17, v[28:29], off
	s_waitcnt vmcnt(0)
	v_cmp_eq_f16_e32 vcc, v16, v17
	v_mov_b64_e32 v[16:17], 1
	s_and_saveexec_b64 s[20:21], vcc
	s_cbranch_execz .LBB1282_492
; %bb.485:
	s_add_u32 s22, s12, -1
	v_lshl_add_u64 v[16:17], v[28:29], 0, 2
	v_lshl_add_u64 v[26:27], v[26:27], 0, 2
	s_addc_u32 s23, s13, -1
	s_mov_b64 s[24:25], 0
	s_mov_b64 s[28:29], 0
                                        ; implicit-def: $sgpr26_sgpr27
	s_branch .LBB1282_488
.LBB1282_486:                           ;   in Loop: Header=BB1282_488 Depth=1
	global_load_ushort v28, v[26:27], off
	global_load_ushort v29, v[16:17], off
	s_add_u32 s28, s28, 1
	s_addc_u32 s29, s29, 0
	s_andn2_b64 s[26:27], s[26:27], exec
	v_lshl_add_u64 v[16:17], v[16:17], 0, 2
	v_lshl_add_u64 v[26:27], v[26:27], 0, 2
	s_waitcnt vmcnt(0)
	v_cmp_neq_f16_e32 vcc, v28, v29
	s_and_b64 s[30:31], vcc, exec
	s_or_b64 s[26:27], s[26:27], s[30:31]
.LBB1282_487:                           ;   in Loop: Header=BB1282_488 Depth=1
	s_and_b64 s[30:31], exec, s[26:27]
	s_or_b64 s[24:25], s[30:31], s[24:25]
	v_mov_b64_e32 v[28:29], s[28:29]
	s_andn2_b64 exec, exec, s[24:25]
	s_cbranch_execz .LBB1282_491
.LBB1282_488:                           ; =>This Inner Loop Header: Depth=1
	s_or_b64 s[26:27], s[26:27], exec
	s_cmp_eq_u64 s[22:23], s[28:29]
	s_cbranch_scc0 .LBB1282_486
; %bb.489:                              ;   in Loop: Header=BB1282_488 Depth=1
                                        ; implicit-def: $vgpr16_vgpr17
                                        ; implicit-def: $vgpr26_vgpr27
	s_mov_b64 s[28:29], s[12:13]
	s_branch .LBB1282_487
.LBB1282_490:
	v_mov_b64_e32 v[16:17], 0
	s_branch .LBB1282_493
.LBB1282_491:
	s_or_b64 exec, exec, s[24:25]
	v_cmp_gt_i64_e32 vcc, s[12:13], v[28:29]
	s_mov_b32 s7, 0
	v_mov_b32_e32 v17, s7
	v_cndmask_b32_e64 v16, 0, 1, vcc
.LBB1282_492:
	s_or_b64 exec, exec, s[20:21]
.LBB1282_493:
	s_or_b64 exec, exec, s[4:5]
	v_add_u32_e32 v26, 6, v1
	v_cmp_gt_u32_e32 vcc, s10, v26
	s_and_saveexec_b64 s[4:5], vcc
	s_cbranch_execz .LBB1282_504
; %bb.494:
	s_and_b64 vcc, exec, s[2:3]
	s_cbranch_vccnz .LBB1282_501
; %bb.495:
	v_mul_lo_u32 v26, v15, s12
	v_mul_lo_u32 v27, v14, s13
	v_mad_u64_u32 v[14:15], s[20:21], v14, s12, 0
	v_add3_u32 v15, v15, v27, v26
	v_mul_lo_u32 v26, v13, s12
	v_mul_lo_u32 v27, v12, s13
	v_mad_u64_u32 v[28:29], s[20:21], v12, s12, 0
	v_add3_u32 v29, v29, v27, v26
	v_lshl_add_u64 v[26:27], v[14:15], 1, s[14:15]
	v_lshl_add_u64 v[28:29], v[28:29], 1, s[14:15]
	global_load_ushort v14, v[26:27], off
	global_load_ushort v15, v[28:29], off
	s_waitcnt vmcnt(0)
	v_cmp_eq_f16_e32 vcc, v14, v15
	v_mov_b64_e32 v[14:15], 1
	s_and_saveexec_b64 s[20:21], vcc
	s_cbranch_execz .LBB1282_503
; %bb.496:
	s_add_u32 s22, s12, -1
	v_lshl_add_u64 v[14:15], v[28:29], 0, 2
	v_lshl_add_u64 v[26:27], v[26:27], 0, 2
	s_addc_u32 s23, s13, -1
	s_mov_b64 s[24:25], 0
	s_mov_b64 s[28:29], 0
                                        ; implicit-def: $sgpr26_sgpr27
	s_branch .LBB1282_499
.LBB1282_497:                           ;   in Loop: Header=BB1282_499 Depth=1
	global_load_ushort v28, v[26:27], off
	global_load_ushort v29, v[14:15], off
	s_add_u32 s28, s28, 1
	s_addc_u32 s29, s29, 0
	s_andn2_b64 s[26:27], s[26:27], exec
	v_lshl_add_u64 v[14:15], v[14:15], 0, 2
	v_lshl_add_u64 v[26:27], v[26:27], 0, 2
	s_waitcnt vmcnt(0)
	v_cmp_neq_f16_e32 vcc, v28, v29
	s_and_b64 s[30:31], vcc, exec
	s_or_b64 s[26:27], s[26:27], s[30:31]
.LBB1282_498:                           ;   in Loop: Header=BB1282_499 Depth=1
	s_and_b64 s[30:31], exec, s[26:27]
	s_or_b64 s[24:25], s[30:31], s[24:25]
	v_mov_b64_e32 v[28:29], s[28:29]
	s_andn2_b64 exec, exec, s[24:25]
	s_cbranch_execz .LBB1282_502
.LBB1282_499:                           ; =>This Inner Loop Header: Depth=1
	s_or_b64 s[26:27], s[26:27], exec
	s_cmp_eq_u64 s[22:23], s[28:29]
	s_cbranch_scc0 .LBB1282_497
; %bb.500:                              ;   in Loop: Header=BB1282_499 Depth=1
                                        ; implicit-def: $vgpr14_vgpr15
                                        ; implicit-def: $vgpr26_vgpr27
	s_mov_b64 s[28:29], s[12:13]
	s_branch .LBB1282_498
.LBB1282_501:
	v_mov_b64_e32 v[14:15], 0
	s_branch .LBB1282_504
.LBB1282_502:
	s_or_b64 exec, exec, s[24:25]
	v_cmp_gt_i64_e32 vcc, s[12:13], v[28:29]
	s_mov_b32 s7, 0
	v_mov_b32_e32 v15, s7
	v_cndmask_b32_e64 v14, 0, 1, vcc
.LBB1282_503:
	s_or_b64 exec, exec, s[20:21]
.LBB1282_504:
	s_or_b64 exec, exec, s[4:5]
	v_add_u32_e32 v26, 5, v1
	v_cmp_gt_u32_e32 vcc, s10, v26
	s_and_saveexec_b64 s[4:5], vcc
	s_cbranch_execz .LBB1282_515
; %bb.505:
	s_and_b64 vcc, exec, s[2:3]
	s_cbranch_vccnz .LBB1282_512
; %bb.506:
	v_mul_lo_u32 v26, v13, s12
	v_mul_lo_u32 v27, v12, s13
	v_mad_u64_u32 v[12:13], s[20:21], v12, s12, 0
	v_add3_u32 v13, v13, v27, v26
	v_mul_lo_u32 v26, v11, s12
	v_mul_lo_u32 v27, v10, s13
	v_mad_u64_u32 v[28:29], s[20:21], v10, s12, 0
	v_add3_u32 v29, v29, v27, v26
	v_lshl_add_u64 v[26:27], v[12:13], 1, s[14:15]
	v_lshl_add_u64 v[28:29], v[28:29], 1, s[14:15]
	global_load_ushort v12, v[26:27], off
	global_load_ushort v13, v[28:29], off
	s_waitcnt vmcnt(0)
	v_cmp_eq_f16_e32 vcc, v12, v13
	v_mov_b64_e32 v[12:13], 1
	s_and_saveexec_b64 s[20:21], vcc
	s_cbranch_execz .LBB1282_514
; %bb.507:
	s_add_u32 s22, s12, -1
	v_lshl_add_u64 v[12:13], v[28:29], 0, 2
	v_lshl_add_u64 v[26:27], v[26:27], 0, 2
	s_addc_u32 s23, s13, -1
	s_mov_b64 s[24:25], 0
	s_mov_b64 s[28:29], 0
                                        ; implicit-def: $sgpr26_sgpr27
	s_branch .LBB1282_510
.LBB1282_508:                           ;   in Loop: Header=BB1282_510 Depth=1
	global_load_ushort v28, v[26:27], off
	global_load_ushort v29, v[12:13], off
	s_add_u32 s28, s28, 1
	s_addc_u32 s29, s29, 0
	s_andn2_b64 s[26:27], s[26:27], exec
	v_lshl_add_u64 v[12:13], v[12:13], 0, 2
	v_lshl_add_u64 v[26:27], v[26:27], 0, 2
	s_waitcnt vmcnt(0)
	v_cmp_neq_f16_e32 vcc, v28, v29
	s_and_b64 s[30:31], vcc, exec
	s_or_b64 s[26:27], s[26:27], s[30:31]
.LBB1282_509:                           ;   in Loop: Header=BB1282_510 Depth=1
	s_and_b64 s[30:31], exec, s[26:27]
	s_or_b64 s[24:25], s[30:31], s[24:25]
	v_mov_b64_e32 v[28:29], s[28:29]
	s_andn2_b64 exec, exec, s[24:25]
	s_cbranch_execz .LBB1282_513
.LBB1282_510:                           ; =>This Inner Loop Header: Depth=1
	s_or_b64 s[26:27], s[26:27], exec
	s_cmp_eq_u64 s[22:23], s[28:29]
	s_cbranch_scc0 .LBB1282_508
; %bb.511:                              ;   in Loop: Header=BB1282_510 Depth=1
                                        ; implicit-def: $vgpr12_vgpr13
                                        ; implicit-def: $vgpr26_vgpr27
	s_mov_b64 s[28:29], s[12:13]
	s_branch .LBB1282_509
.LBB1282_512:
	v_mov_b64_e32 v[12:13], 0
	s_branch .LBB1282_515
.LBB1282_513:
	s_or_b64 exec, exec, s[24:25]
	v_cmp_gt_i64_e32 vcc, s[12:13], v[28:29]
	s_mov_b32 s7, 0
	v_mov_b32_e32 v13, s7
	v_cndmask_b32_e64 v12, 0, 1, vcc
.LBB1282_514:
	s_or_b64 exec, exec, s[20:21]
.LBB1282_515:
	s_or_b64 exec, exec, s[4:5]
	v_add_u32_e32 v26, 4, v1
	v_cmp_gt_u32_e32 vcc, s10, v26
	s_and_saveexec_b64 s[4:5], vcc
	s_cbranch_execz .LBB1282_526
; %bb.516:
	s_and_b64 vcc, exec, s[2:3]
	s_cbranch_vccnz .LBB1282_523
; %bb.517:
	v_mul_lo_u32 v26, v11, s12
	v_mul_lo_u32 v27, v10, s13
	v_mad_u64_u32 v[10:11], s[20:21], v10, s12, 0
	v_add3_u32 v11, v11, v27, v26
	v_mul_lo_u32 v26, v9, s12
	v_mul_lo_u32 v27, v8, s13
	v_mad_u64_u32 v[28:29], s[20:21], v8, s12, 0
	v_add3_u32 v29, v29, v27, v26
	v_lshl_add_u64 v[26:27], v[10:11], 1, s[14:15]
	v_lshl_add_u64 v[28:29], v[28:29], 1, s[14:15]
	global_load_ushort v10, v[26:27], off
	global_load_ushort v11, v[28:29], off
	s_waitcnt vmcnt(0)
	v_cmp_eq_f16_e32 vcc, v10, v11
	v_mov_b64_e32 v[10:11], 1
	s_and_saveexec_b64 s[20:21], vcc
	s_cbranch_execz .LBB1282_525
; %bb.518:
	s_add_u32 s22, s12, -1
	v_lshl_add_u64 v[10:11], v[28:29], 0, 2
	v_lshl_add_u64 v[26:27], v[26:27], 0, 2
	s_addc_u32 s23, s13, -1
	s_mov_b64 s[24:25], 0
	s_mov_b64 s[28:29], 0
                                        ; implicit-def: $sgpr26_sgpr27
	s_branch .LBB1282_521
.LBB1282_519:                           ;   in Loop: Header=BB1282_521 Depth=1
	global_load_ushort v28, v[26:27], off
	global_load_ushort v29, v[10:11], off
	s_add_u32 s28, s28, 1
	s_addc_u32 s29, s29, 0
	s_andn2_b64 s[26:27], s[26:27], exec
	v_lshl_add_u64 v[10:11], v[10:11], 0, 2
	v_lshl_add_u64 v[26:27], v[26:27], 0, 2
	s_waitcnt vmcnt(0)
	v_cmp_neq_f16_e32 vcc, v28, v29
	s_and_b64 s[30:31], vcc, exec
	s_or_b64 s[26:27], s[26:27], s[30:31]
.LBB1282_520:                           ;   in Loop: Header=BB1282_521 Depth=1
	s_and_b64 s[30:31], exec, s[26:27]
	s_or_b64 s[24:25], s[30:31], s[24:25]
	v_mov_b64_e32 v[28:29], s[28:29]
	s_andn2_b64 exec, exec, s[24:25]
	s_cbranch_execz .LBB1282_524
.LBB1282_521:                           ; =>This Inner Loop Header: Depth=1
	s_or_b64 s[26:27], s[26:27], exec
	s_cmp_eq_u64 s[22:23], s[28:29]
	s_cbranch_scc0 .LBB1282_519
; %bb.522:                              ;   in Loop: Header=BB1282_521 Depth=1
                                        ; implicit-def: $vgpr10_vgpr11
                                        ; implicit-def: $vgpr26_vgpr27
	s_mov_b64 s[28:29], s[12:13]
	s_branch .LBB1282_520
.LBB1282_523:
	v_mov_b64_e32 v[10:11], 0
	s_branch .LBB1282_526
.LBB1282_524:
	s_or_b64 exec, exec, s[24:25]
	v_cmp_gt_i64_e32 vcc, s[12:13], v[28:29]
	s_mov_b32 s7, 0
	v_mov_b32_e32 v11, s7
	v_cndmask_b32_e64 v10, 0, 1, vcc
.LBB1282_525:
	s_or_b64 exec, exec, s[20:21]
.LBB1282_526:
	s_or_b64 exec, exec, s[4:5]
	v_add_u32_e32 v26, 3, v1
	v_cmp_gt_u32_e32 vcc, s10, v26
	s_and_saveexec_b64 s[4:5], vcc
	s_cbranch_execz .LBB1282_537
; %bb.527:
	s_and_b64 vcc, exec, s[2:3]
	s_cbranch_vccnz .LBB1282_534
; %bb.528:
	v_mul_lo_u32 v26, v9, s12
	v_mul_lo_u32 v27, v8, s13
	v_mad_u64_u32 v[8:9], s[20:21], v8, s12, 0
	v_add3_u32 v9, v9, v27, v26
	v_mul_lo_u32 v26, v7, s12
	v_mul_lo_u32 v27, v6, s13
	v_mad_u64_u32 v[28:29], s[20:21], v6, s12, 0
	v_add3_u32 v29, v29, v27, v26
	v_lshl_add_u64 v[26:27], v[8:9], 1, s[14:15]
	v_lshl_add_u64 v[28:29], v[28:29], 1, s[14:15]
	global_load_ushort v8, v[26:27], off
	global_load_ushort v9, v[28:29], off
	s_waitcnt vmcnt(0)
	v_cmp_eq_f16_e32 vcc, v8, v9
	v_mov_b64_e32 v[8:9], 1
	s_and_saveexec_b64 s[20:21], vcc
	s_cbranch_execz .LBB1282_536
; %bb.529:
	s_add_u32 s22, s12, -1
	v_lshl_add_u64 v[8:9], v[28:29], 0, 2
	v_lshl_add_u64 v[26:27], v[26:27], 0, 2
	s_addc_u32 s23, s13, -1
	s_mov_b64 s[24:25], 0
	s_mov_b64 s[28:29], 0
                                        ; implicit-def: $sgpr26_sgpr27
	s_branch .LBB1282_532
.LBB1282_530:                           ;   in Loop: Header=BB1282_532 Depth=1
	global_load_ushort v28, v[26:27], off
	global_load_ushort v29, v[8:9], off
	s_add_u32 s28, s28, 1
	s_addc_u32 s29, s29, 0
	s_andn2_b64 s[26:27], s[26:27], exec
	v_lshl_add_u64 v[8:9], v[8:9], 0, 2
	v_lshl_add_u64 v[26:27], v[26:27], 0, 2
	s_waitcnt vmcnt(0)
	v_cmp_neq_f16_e32 vcc, v28, v29
	s_and_b64 s[30:31], vcc, exec
	s_or_b64 s[26:27], s[26:27], s[30:31]
.LBB1282_531:                           ;   in Loop: Header=BB1282_532 Depth=1
	s_and_b64 s[30:31], exec, s[26:27]
	s_or_b64 s[24:25], s[30:31], s[24:25]
	v_mov_b64_e32 v[28:29], s[28:29]
	s_andn2_b64 exec, exec, s[24:25]
	s_cbranch_execz .LBB1282_535
.LBB1282_532:                           ; =>This Inner Loop Header: Depth=1
	s_or_b64 s[26:27], s[26:27], exec
	s_cmp_eq_u64 s[22:23], s[28:29]
	s_cbranch_scc0 .LBB1282_530
; %bb.533:                              ;   in Loop: Header=BB1282_532 Depth=1
                                        ; implicit-def: $vgpr8_vgpr9
                                        ; implicit-def: $vgpr26_vgpr27
	s_mov_b64 s[28:29], s[12:13]
	s_branch .LBB1282_531
.LBB1282_534:
	v_mov_b64_e32 v[8:9], 0
	s_branch .LBB1282_537
.LBB1282_535:
	s_or_b64 exec, exec, s[24:25]
	v_cmp_gt_i64_e32 vcc, s[12:13], v[28:29]
	s_mov_b32 s7, 0
	v_mov_b32_e32 v9, s7
	v_cndmask_b32_e64 v8, 0, 1, vcc
.LBB1282_536:
	s_or_b64 exec, exec, s[20:21]
.LBB1282_537:
	s_or_b64 exec, exec, s[4:5]
	v_add_u32_e32 v26, 2, v1
	v_cmp_gt_u32_e32 vcc, s10, v26
	s_and_saveexec_b64 s[4:5], vcc
	s_cbranch_execz .LBB1282_548
; %bb.538:
	s_and_b64 vcc, exec, s[2:3]
	s_cbranch_vccnz .LBB1282_545
; %bb.539:
	v_mul_lo_u32 v26, v7, s12
	v_mul_lo_u32 v27, v6, s13
	v_mad_u64_u32 v[6:7], s[20:21], v6, s12, 0
	v_add3_u32 v7, v7, v27, v26
	v_mul_lo_u32 v26, v5, s12
	v_mul_lo_u32 v27, v4, s13
	v_mad_u64_u32 v[28:29], s[20:21], v4, s12, 0
	v_add3_u32 v29, v29, v27, v26
	v_lshl_add_u64 v[26:27], v[6:7], 1, s[14:15]
	v_lshl_add_u64 v[28:29], v[28:29], 1, s[14:15]
	global_load_ushort v6, v[26:27], off
	global_load_ushort v7, v[28:29], off
	s_waitcnt vmcnt(0)
	v_cmp_eq_f16_e32 vcc, v6, v7
	v_mov_b64_e32 v[6:7], 1
	s_and_saveexec_b64 s[20:21], vcc
	s_cbranch_execz .LBB1282_547
; %bb.540:
	s_add_u32 s22, s12, -1
	v_lshl_add_u64 v[6:7], v[28:29], 0, 2
	v_lshl_add_u64 v[26:27], v[26:27], 0, 2
	s_addc_u32 s23, s13, -1
	s_mov_b64 s[24:25], 0
	s_mov_b64 s[28:29], 0
                                        ; implicit-def: $sgpr26_sgpr27
	s_branch .LBB1282_543
.LBB1282_541:                           ;   in Loop: Header=BB1282_543 Depth=1
	global_load_ushort v28, v[26:27], off
	global_load_ushort v29, v[6:7], off
	s_add_u32 s28, s28, 1
	s_addc_u32 s29, s29, 0
	s_andn2_b64 s[26:27], s[26:27], exec
	v_lshl_add_u64 v[6:7], v[6:7], 0, 2
	v_lshl_add_u64 v[26:27], v[26:27], 0, 2
	s_waitcnt vmcnt(0)
	v_cmp_neq_f16_e32 vcc, v28, v29
	s_and_b64 s[30:31], vcc, exec
	s_or_b64 s[26:27], s[26:27], s[30:31]
.LBB1282_542:                           ;   in Loop: Header=BB1282_543 Depth=1
	s_and_b64 s[30:31], exec, s[26:27]
	s_or_b64 s[24:25], s[30:31], s[24:25]
	v_mov_b64_e32 v[28:29], s[28:29]
	s_andn2_b64 exec, exec, s[24:25]
	s_cbranch_execz .LBB1282_546
.LBB1282_543:                           ; =>This Inner Loop Header: Depth=1
	s_or_b64 s[26:27], s[26:27], exec
	s_cmp_eq_u64 s[22:23], s[28:29]
	s_cbranch_scc0 .LBB1282_541
; %bb.544:                              ;   in Loop: Header=BB1282_543 Depth=1
                                        ; implicit-def: $vgpr6_vgpr7
                                        ; implicit-def: $vgpr26_vgpr27
	s_mov_b64 s[28:29], s[12:13]
	s_branch .LBB1282_542
.LBB1282_545:
	v_mov_b64_e32 v[6:7], 0
	s_branch .LBB1282_548
.LBB1282_546:
	s_or_b64 exec, exec, s[24:25]
	v_cmp_gt_i64_e32 vcc, s[12:13], v[28:29]
	s_mov_b32 s7, 0
	v_mov_b32_e32 v7, s7
	v_cndmask_b32_e64 v6, 0, 1, vcc
.LBB1282_547:
	s_or_b64 exec, exec, s[20:21]
.LBB1282_548:
	s_or_b64 exec, exec, s[4:5]
	v_add_u32_e32 v26, 1, v1
	v_cmp_gt_u32_e32 vcc, s10, v26
	s_and_saveexec_b64 s[4:5], vcc
	s_cbranch_execz .LBB1282_559
; %bb.549:
	s_and_b64 vcc, exec, s[2:3]
	s_cbranch_vccnz .LBB1282_556
; %bb.550:
	v_mul_lo_u32 v26, v5, s12
	v_mul_lo_u32 v27, v4, s13
	v_mad_u64_u32 v[4:5], s[20:21], v4, s12, 0
	v_add3_u32 v5, v5, v27, v26
	v_mul_lo_u32 v26, v3, s12
	v_mul_lo_u32 v27, v2, s13
	v_mad_u64_u32 v[28:29], s[20:21], v2, s12, 0
	v_add3_u32 v29, v29, v27, v26
	v_lshl_add_u64 v[26:27], v[4:5], 1, s[14:15]
	v_lshl_add_u64 v[28:29], v[28:29], 1, s[14:15]
	global_load_ushort v4, v[26:27], off
	global_load_ushort v5, v[28:29], off
	s_waitcnt vmcnt(0)
	v_cmp_eq_f16_e32 vcc, v4, v5
	v_mov_b64_e32 v[4:5], 1
	s_and_saveexec_b64 s[20:21], vcc
	s_cbranch_execz .LBB1282_558
; %bb.551:
	s_add_u32 s22, s12, -1
	v_lshl_add_u64 v[4:5], v[28:29], 0, 2
	v_lshl_add_u64 v[26:27], v[26:27], 0, 2
	s_addc_u32 s23, s13, -1
	s_mov_b64 s[24:25], 0
	s_mov_b64 s[28:29], 0
                                        ; implicit-def: $sgpr26_sgpr27
	s_branch .LBB1282_554
.LBB1282_552:                           ;   in Loop: Header=BB1282_554 Depth=1
	global_load_ushort v28, v[26:27], off
	global_load_ushort v29, v[4:5], off
	s_add_u32 s28, s28, 1
	s_addc_u32 s29, s29, 0
	s_andn2_b64 s[26:27], s[26:27], exec
	v_lshl_add_u64 v[4:5], v[4:5], 0, 2
	v_lshl_add_u64 v[26:27], v[26:27], 0, 2
	s_waitcnt vmcnt(0)
	v_cmp_neq_f16_e32 vcc, v28, v29
	s_and_b64 s[30:31], vcc, exec
	s_or_b64 s[26:27], s[26:27], s[30:31]
.LBB1282_553:                           ;   in Loop: Header=BB1282_554 Depth=1
	s_and_b64 s[30:31], exec, s[26:27]
	s_or_b64 s[24:25], s[30:31], s[24:25]
	v_mov_b64_e32 v[28:29], s[28:29]
	s_andn2_b64 exec, exec, s[24:25]
	s_cbranch_execz .LBB1282_557
.LBB1282_554:                           ; =>This Inner Loop Header: Depth=1
	s_or_b64 s[26:27], s[26:27], exec
	s_cmp_eq_u64 s[22:23], s[28:29]
	s_cbranch_scc0 .LBB1282_552
; %bb.555:                              ;   in Loop: Header=BB1282_554 Depth=1
                                        ; implicit-def: $vgpr4_vgpr5
                                        ; implicit-def: $vgpr26_vgpr27
	s_mov_b64 s[28:29], s[12:13]
	s_branch .LBB1282_553
.LBB1282_556:
	v_mov_b64_e32 v[4:5], 0
	s_branch .LBB1282_559
.LBB1282_557:
	s_or_b64 exec, exec, s[24:25]
	v_cmp_gt_i64_e32 vcc, s[12:13], v[28:29]
	s_mov_b32 s7, 0
	v_mov_b32_e32 v5, s7
	v_cndmask_b32_e64 v4, 0, 1, vcc
.LBB1282_558:
	s_or_b64 exec, exec, s[20:21]
.LBB1282_559:
	s_or_b64 exec, exec, s[4:5]
	v_cmp_ne_u32_e32 vcc, 0, v0
	v_cmp_gt_u32_e64 s[4:5], s10, v1
	s_and_b64 s[20:21], vcc, s[4:5]
	s_waitcnt lgkmcnt(0)
	; wave barrier
	s_waitcnt lgkmcnt(0)
                                        ; implicit-def: $sgpr24_sgpr25
	s_and_saveexec_b64 s[4:5], s[20:21]
	s_cbranch_execz .LBB1282_571
; %bb.560:
	s_and_b64 vcc, exec, s[2:3]
	s_cbranch_vccnz .LBB1282_567
; %bb.561:
	v_mul_lo_u32 v1, v3, s12
	v_add_u32_e32 v3, -8, v48
	ds_read_b64 v[26:27], v3
	v_mul_lo_u32 v28, v2, s13
	v_mad_u64_u32 v[2:3], s[2:3], v2, s12, 0
	v_add3_u32 v3, v3, v28, v1
	s_waitcnt lgkmcnt(0)
	v_mul_lo_u32 v1, v27, s12
	v_mul_lo_u32 v27, v26, s13
	v_mad_u64_u32 v[28:29], s[2:3], v26, s12, 0
	v_add3_u32 v29, v29, v27, v1
	v_lshl_add_u64 v[26:27], v[2:3], 1, s[14:15]
	v_lshl_add_u64 v[2:3], v[28:29], 1, s[14:15]
	global_load_ushort v1, v[26:27], off
	global_load_ushort v28, v[2:3], off
	s_mov_b64 s[14:15], -1
	s_waitcnt vmcnt(0)
	v_cmp_eq_f16_e32 vcc, v1, v28
	s_and_saveexec_b64 s[2:3], vcc
	s_cbranch_execz .LBB1282_569
; %bb.562:
	s_add_u32 s14, s12, -1
	v_lshl_add_u64 v[2:3], v[2:3], 0, 2
	v_lshl_add_u64 v[26:27], v[26:27], 0, 2
	s_addc_u32 s15, s13, -1
	s_mov_b64 s[20:21], 0
	s_mov_b64 s[24:25], 0
                                        ; implicit-def: $sgpr22_sgpr23
	s_branch .LBB1282_565
.LBB1282_563:                           ;   in Loop: Header=BB1282_565 Depth=1
	global_load_ushort v1, v[26:27], off
	global_load_ushort v28, v[2:3], off
	s_add_u32 s24, s24, 1
	s_addc_u32 s25, s25, 0
	s_andn2_b64 s[22:23], s[22:23], exec
	v_lshl_add_u64 v[2:3], v[2:3], 0, 2
	v_lshl_add_u64 v[26:27], v[26:27], 0, 2
	s_waitcnt vmcnt(0)
	v_cmp_neq_f16_e32 vcc, v1, v28
	s_and_b64 s[26:27], vcc, exec
	s_or_b64 s[22:23], s[22:23], s[26:27]
.LBB1282_564:                           ;   in Loop: Header=BB1282_565 Depth=1
	s_and_b64 s[26:27], exec, s[22:23]
	s_or_b64 s[20:21], s[26:27], s[20:21]
	v_mov_b64_e32 v[28:29], s[24:25]
	s_andn2_b64 exec, exec, s[20:21]
	s_cbranch_execz .LBB1282_568
.LBB1282_565:                           ; =>This Inner Loop Header: Depth=1
	s_or_b64 s[22:23], s[22:23], exec
	s_cmp_eq_u64 s[14:15], s[24:25]
	s_cbranch_scc0 .LBB1282_563
; %bb.566:                              ;   in Loop: Header=BB1282_565 Depth=1
                                        ; implicit-def: $vgpr2_vgpr3
                                        ; implicit-def: $vgpr26_vgpr27
	s_mov_b64 s[24:25], s[12:13]
	s_branch .LBB1282_564
.LBB1282_567:
	s_mov_b64 s[14:15], 0
	s_branch .LBB1282_570
.LBB1282_568:
	s_or_b64 exec, exec, s[20:21]
	v_cmp_gt_i64_e32 vcc, s[12:13], v[28:29]
	s_orn2_b64 s[14:15], vcc, exec
.LBB1282_569:
	s_or_b64 exec, exec, s[2:3]
.LBB1282_570:
	s_and_b64 s[24:25], s[14:15], exec
	s_or_b64 s[18:19], s[18:19], exec
.LBB1282_571:
	s_or_b64 exec, exec, s[4:5]
	v_mov_b64_e32 v[50:51], v[44:45]
	v_mov_b64_e32 v[52:53], v[24:25]
	;; [unrolled: 1-line block ×23, first 2 shown]
.LBB1282_572:
	s_and_saveexec_b64 s[2:3], s[18:19]
	s_cbranch_execz .LBB1282_574
; %bb.573:
	s_mov_b32 s4, 0
	v_cndmask_b32_e64 v2, 0, 1, s[24:25]
	v_mov_b32_e32 v3, s4
	v_mov_b64_e32 v[30:31], v[54:55]
	v_mov_b64_e32 v[80:81], v[56:57]
	;; [unrolled: 1-line block ×9, first 2 shown]
	s_waitcnt lgkmcnt(0)
	v_mov_b64_e32 v[26:27], v[46:47]
	v_mov_b64_e32 v[72:73], v[52:53]
.LBB1282_574:
	s_or_b64 exec, exec, s[2:3]
	s_add_u32 s4, s8, s16
	s_addc_u32 s5, s9, s17
	s_and_b64 vcc, exec, s[0:1]
	s_waitcnt lgkmcnt(0)
	; wave barrier
	s_waitcnt lgkmcnt(0)
	s_cbranch_vccz .LBB1282_600
; %bb.575:
	s_movk_i32 s2, 0x68
	v_mul_u32_u24_e32 v1, 0x68, v0
	v_mov_b32_e32 v4, v82
	v_mov_b32_e32 v5, v83
	v_mul_i32_i24_e32 v28, 0xffffffa0, v0
	ds_write2_b64 v1, v[2:3], v[4:5] offset1:1
	ds_write2_b64 v1, v[74:75], v[42:43] offset0:2 offset1:3
	ds_write2_b64 v1, v[76:77], v[38:39] offset0:4 offset1:5
	;; [unrolled: 1-line block ×5, first 2 shown]
	ds_write_b64 v1, v[50:51] offset:96
	v_mad_u32_u24 v4, v0, s2, v28
	s_waitcnt lgkmcnt(0)
	; wave barrier
	s_waitcnt lgkmcnt(0)
	ds_read2st64_b64 v[44:47], v4 offset0:1 offset1:2
	ds_read2st64_b64 v[20:23], v4 offset0:3 offset1:4
	;; [unrolled: 1-line block ×6, first 2 shown]
	s_mov_b32 s7, 0
	s_add_i32 s11, s11, s10
	s_lshl_b64 s[0:1], s[6:7], 3
	s_add_u32 s0, s4, s0
	s_addc_u32 s1, s5, s1
	v_mov_b32_e32 v49, 0
	v_lshl_add_u64 v[24:25], s[0:1], 0, v[48:49]
	v_cmp_gt_u32_e32 vcc, s11, v0
	s_and_saveexec_b64 s[0:1], vcc
	s_cbranch_execz .LBB1282_577
; %bb.576:
	v_add_u32_e32 v1, v1, v28
	ds_read_b64 v[28:29], v1
	s_waitcnt lgkmcnt(0)
	global_store_dwordx2 v[24:25], v[28:29], off
.LBB1282_577:
	s_or_b64 exec, exec, s[0:1]
	v_or_b32_e32 v1, 64, v0
	v_cmp_gt_u32_e32 vcc, s11, v1
	s_and_saveexec_b64 s[0:1], vcc
	s_cbranch_execz .LBB1282_579
; %bb.578:
	s_waitcnt lgkmcnt(5)
	global_store_dwordx2 v[24:25], v[44:45], off offset:512
.LBB1282_579:
	s_or_b64 exec, exec, s[0:1]
	v_or_b32_e32 v1, 0x80, v0
	v_cmp_gt_u32_e32 vcc, s11, v1
	s_and_saveexec_b64 s[0:1], vcc
	s_cbranch_execz .LBB1282_581
; %bb.580:
	s_waitcnt lgkmcnt(5)
	global_store_dwordx2 v[24:25], v[46:47], off offset:1024
.LBB1282_581:
	;; [unrolled: 9-line block ×7, first 2 shown]
	s_or_b64 exec, exec, s[0:1]
	v_or_b32_e32 v1, 0x200, v0
	v_cmp_gt_u32_e32 vcc, s11, v1
	s_and_saveexec_b64 s[0:1], vcc
	s_cbranch_execz .LBB1282_593
; %bb.592:
	s_waitcnt lgkmcnt(2)
	v_add_co_u32_e32 v12, vcc, 0x1000, v24
	s_nop 1
	v_addc_co_u32_e32 v13, vcc, 0, v25, vcc
	global_store_dwordx2 v[12:13], v[14:15], off
.LBB1282_593:
	s_or_b64 exec, exec, s[0:1]
	v_or_b32_e32 v1, 0x240, v0
	v_cmp_gt_u32_e32 vcc, s11, v1
	s_and_saveexec_b64 s[0:1], vcc
	s_cbranch_execz .LBB1282_595
; %bb.594:
	s_waitcnt lgkmcnt(2)
	v_add_co_u32_e32 v12, vcc, 0x1000, v24
	s_nop 1
	v_addc_co_u32_e32 v13, vcc, 0, v25, vcc
	s_waitcnt lgkmcnt(1)
	global_store_dwordx2 v[12:13], v[8:9], off offset:512
.LBB1282_595:
	s_or_b64 exec, exec, s[0:1]
	v_or_b32_e32 v1, 0x280, v0
	v_cmp_gt_u32_e32 vcc, s11, v1
	s_and_saveexec_b64 s[0:1], vcc
	s_cbranch_execz .LBB1282_597
; %bb.596:
	s_waitcnt lgkmcnt(1)
	v_add_co_u32_e32 v8, vcc, 0x1000, v24
	s_nop 1
	v_addc_co_u32_e32 v9, vcc, 0, v25, vcc
	global_store_dwordx2 v[8:9], v[10:11], off offset:1024
.LBB1282_597:
	s_or_b64 exec, exec, s[0:1]
	v_or_b32_e32 v1, 0x2c0, v0
	v_cmp_gt_u32_e32 vcc, s11, v1
	s_and_saveexec_b64 s[0:1], vcc
	s_cbranch_execz .LBB1282_599
; %bb.598:
	s_waitcnt lgkmcnt(1)
	v_add_co_u32_e32 v8, vcc, 0x1000, v24
	s_nop 1
	v_addc_co_u32_e32 v9, vcc, 0, v25, vcc
	s_waitcnt lgkmcnt(0)
	global_store_dwordx2 v[8:9], v[4:5], off offset:1536
.LBB1282_599:
	s_or_b64 exec, exec, s[0:1]
	v_or_b32_e32 v1, 0x300, v0
	v_cmp_gt_u32_e64 s[0:1], s11, v1
	s_branch .LBB1282_602
.LBB1282_600:
	s_mov_b64 s[0:1], 0
                                        ; implicit-def: $vgpr6_vgpr7
                                        ; implicit-def: $vgpr24_vgpr25
	s_cbranch_execz .LBB1282_602
; %bb.601:
	s_mov_b32 s7, 0
	s_lshl_b64 s[2:3], s[6:7], 3
	v_mul_u32_u24_e32 v1, 0x68, v0
	s_add_u32 s2, s4, s2
	s_movk_i32 s4, 0x68
	ds_write2_b64 v1, v[2:3], v[82:83] offset1:1
	ds_write2_b64 v1, v[74:75], v[42:43] offset0:2 offset1:3
	ds_write2_b64 v1, v[76:77], v[38:39] offset0:4 offset1:5
	ds_write2_b64 v1, v[78:79], v[34:35] offset0:6 offset1:7
	ds_write2_b64 v1, v[80:81], v[30:31] offset0:8 offset1:9
	ds_write2_b64 v1, v[26:27], v[72:73] offset0:10 offset1:11
	ds_write_b64 v1, v[50:51] offset:96
	v_mul_i32_i24_e32 v1, 0xffffffa0, v0
	s_waitcnt lgkmcnt(7)
	v_mad_u32_u24 v4, v0, s4, v1
	s_addc_u32 s3, s5, s3
	s_waitcnt lgkmcnt(0)
	; wave barrier
	s_waitcnt lgkmcnt(0)
	ds_read2st64_b64 v[0:3], v4 offset1:1
	ds_read2st64_b64 v[8:11], v4 offset0:2 offset1:3
	ds_read2st64_b64 v[12:15], v4 offset0:4 offset1:5
	ds_read2st64_b64 v[16:19], v4 offset0:6 offset1:7
	ds_read2st64_b64 v[20:23], v4 offset0:8 offset1:9
	ds_read2st64_b64 v[26:29], v4 offset0:10 offset1:11
	ds_read_b64 v[6:7], v4 offset:6144
	v_mov_b32_e32 v49, 0
	v_lshl_add_u64 v[24:25], s[2:3], 0, v[48:49]
	s_waitcnt lgkmcnt(6)
	global_store_dwordx2 v48, v[0:1], s[2:3]
	global_store_dwordx2 v48, v[2:3], s[2:3] offset:512
	s_waitcnt lgkmcnt(5)
	global_store_dwordx2 v48, v[8:9], s[2:3] offset:1024
	global_store_dwordx2 v48, v[10:11], s[2:3] offset:1536
	s_waitcnt lgkmcnt(4)
	global_store_dwordx2 v48, v[12:13], s[2:3] offset:2048
	;; [unrolled: 3-line block ×3, first 2 shown]
	global_store_dwordx2 v48, v[18:19], s[2:3] offset:3584
	v_add_co_u32_e32 v0, vcc, 0x1000, v24
	s_or_b64 s[0:1], s[0:1], exec
	s_nop 0
	v_addc_co_u32_e32 v1, vcc, 0, v25, vcc
	s_waitcnt lgkmcnt(2)
	global_store_dwordx2 v[0:1], v[20:21], off
	global_store_dwordx2 v[0:1], v[22:23], off offset:512
	s_waitcnt lgkmcnt(1)
	global_store_dwordx2 v[0:1], v[26:27], off offset:1024
	global_store_dwordx2 v[0:1], v[28:29], off offset:1536
.LBB1282_602:
	s_and_saveexec_b64 s[2:3], s[0:1]
	s_cbranch_execnz .LBB1282_604
; %bb.603:
	s_endpgm
.LBB1282_604:
	v_add_co_u32_e32 v0, vcc, 0x1000, v24
	s_nop 1
	v_addc_co_u32_e32 v1, vcc, 0, v25, vcc
	s_waitcnt lgkmcnt(0)
	global_store_dwordx2 v[0:1], v[6:7], off offset:2048
	s_endpgm
	.section	.rodata,"a",@progbits
	.p2align	6, 0x0
	.amdhsa_kernel _ZN7rocprim17ROCPRIM_400000_NS6detail17trampoline_kernelINS0_14default_configENS1_35adjacent_difference_config_selectorILb0ElEEZNS1_24adjacent_difference_implIS3_Lb0ELb0EPlS7_ZN2at6native12_GLOBAL__N_124unique_dim_cuda_templateIN3c104HalfEEESt5tupleIJNS8_6TensorESF_SF_EERKSF_lbbbEUlllE1_EE10hipError_tPvRmT2_T3_mT4_P12ihipStream_tbEUlT_E_NS1_11comp_targetILNS1_3genE5ELNS1_11target_archE942ELNS1_3gpuE9ELNS1_3repE0EEENS1_30default_config_static_selectorELNS0_4arch9wavefront6targetE1EEEvT1_
		.amdhsa_group_segment_fixed_size 6656
		.amdhsa_private_segment_fixed_size 0
		.amdhsa_kernarg_size 64
		.amdhsa_user_sgpr_count 2
		.amdhsa_user_sgpr_dispatch_ptr 0
		.amdhsa_user_sgpr_queue_ptr 0
		.amdhsa_user_sgpr_kernarg_segment_ptr 1
		.amdhsa_user_sgpr_dispatch_id 0
		.amdhsa_user_sgpr_kernarg_preload_length 0
		.amdhsa_user_sgpr_kernarg_preload_offset 0
		.amdhsa_user_sgpr_private_segment_size 0
		.amdhsa_uses_dynamic_stack 0
		.amdhsa_enable_private_segment 0
		.amdhsa_system_sgpr_workgroup_id_x 1
		.amdhsa_system_sgpr_workgroup_id_y 0
		.amdhsa_system_sgpr_workgroup_id_z 0
		.amdhsa_system_sgpr_workgroup_info 0
		.amdhsa_system_vgpr_workitem_id 0
		.amdhsa_next_free_vgpr 84
		.amdhsa_next_free_sgpr 38
		.amdhsa_accum_offset 84
		.amdhsa_reserve_vcc 1
		.amdhsa_float_round_mode_32 0
		.amdhsa_float_round_mode_16_64 0
		.amdhsa_float_denorm_mode_32 3
		.amdhsa_float_denorm_mode_16_64 3
		.amdhsa_dx10_clamp 1
		.amdhsa_ieee_mode 1
		.amdhsa_fp16_overflow 0
		.amdhsa_tg_split 0
		.amdhsa_exception_fp_ieee_invalid_op 0
		.amdhsa_exception_fp_denorm_src 0
		.amdhsa_exception_fp_ieee_div_zero 0
		.amdhsa_exception_fp_ieee_overflow 0
		.amdhsa_exception_fp_ieee_underflow 0
		.amdhsa_exception_fp_ieee_inexact 0
		.amdhsa_exception_int_div_zero 0
	.end_amdhsa_kernel
	.section	.text._ZN7rocprim17ROCPRIM_400000_NS6detail17trampoline_kernelINS0_14default_configENS1_35adjacent_difference_config_selectorILb0ElEEZNS1_24adjacent_difference_implIS3_Lb0ELb0EPlS7_ZN2at6native12_GLOBAL__N_124unique_dim_cuda_templateIN3c104HalfEEESt5tupleIJNS8_6TensorESF_SF_EERKSF_lbbbEUlllE1_EE10hipError_tPvRmT2_T3_mT4_P12ihipStream_tbEUlT_E_NS1_11comp_targetILNS1_3genE5ELNS1_11target_archE942ELNS1_3gpuE9ELNS1_3repE0EEENS1_30default_config_static_selectorELNS0_4arch9wavefront6targetE1EEEvT1_,"axG",@progbits,_ZN7rocprim17ROCPRIM_400000_NS6detail17trampoline_kernelINS0_14default_configENS1_35adjacent_difference_config_selectorILb0ElEEZNS1_24adjacent_difference_implIS3_Lb0ELb0EPlS7_ZN2at6native12_GLOBAL__N_124unique_dim_cuda_templateIN3c104HalfEEESt5tupleIJNS8_6TensorESF_SF_EERKSF_lbbbEUlllE1_EE10hipError_tPvRmT2_T3_mT4_P12ihipStream_tbEUlT_E_NS1_11comp_targetILNS1_3genE5ELNS1_11target_archE942ELNS1_3gpuE9ELNS1_3repE0EEENS1_30default_config_static_selectorELNS0_4arch9wavefront6targetE1EEEvT1_,comdat
.Lfunc_end1282:
	.size	_ZN7rocprim17ROCPRIM_400000_NS6detail17trampoline_kernelINS0_14default_configENS1_35adjacent_difference_config_selectorILb0ElEEZNS1_24adjacent_difference_implIS3_Lb0ELb0EPlS7_ZN2at6native12_GLOBAL__N_124unique_dim_cuda_templateIN3c104HalfEEESt5tupleIJNS8_6TensorESF_SF_EERKSF_lbbbEUlllE1_EE10hipError_tPvRmT2_T3_mT4_P12ihipStream_tbEUlT_E_NS1_11comp_targetILNS1_3genE5ELNS1_11target_archE942ELNS1_3gpuE9ELNS1_3repE0EEENS1_30default_config_static_selectorELNS0_4arch9wavefront6targetE1EEEvT1_, .Lfunc_end1282-_ZN7rocprim17ROCPRIM_400000_NS6detail17trampoline_kernelINS0_14default_configENS1_35adjacent_difference_config_selectorILb0ElEEZNS1_24adjacent_difference_implIS3_Lb0ELb0EPlS7_ZN2at6native12_GLOBAL__N_124unique_dim_cuda_templateIN3c104HalfEEESt5tupleIJNS8_6TensorESF_SF_EERKSF_lbbbEUlllE1_EE10hipError_tPvRmT2_T3_mT4_P12ihipStream_tbEUlT_E_NS1_11comp_targetILNS1_3genE5ELNS1_11target_archE942ELNS1_3gpuE9ELNS1_3repE0EEENS1_30default_config_static_selectorELNS0_4arch9wavefront6targetE1EEEvT1_
                                        ; -- End function
	.section	.AMDGPU.csdata,"",@progbits
; Kernel info:
; codeLenInByte = 18140
; NumSgprs: 44
; NumVgprs: 84
; NumAgprs: 0
; TotalNumVgprs: 84
; ScratchSize: 0
; MemoryBound: 0
; FloatMode: 240
; IeeeMode: 1
; LDSByteSize: 6656 bytes/workgroup (compile time only)
; SGPRBlocks: 5
; VGPRBlocks: 10
; NumSGPRsForWavesPerEU: 44
; NumVGPRsForWavesPerEU: 84
; AccumOffset: 84
; Occupancy: 3
; WaveLimiterHint : 1
; COMPUTE_PGM_RSRC2:SCRATCH_EN: 0
; COMPUTE_PGM_RSRC2:USER_SGPR: 2
; COMPUTE_PGM_RSRC2:TRAP_HANDLER: 0
; COMPUTE_PGM_RSRC2:TGID_X_EN: 1
; COMPUTE_PGM_RSRC2:TGID_Y_EN: 0
; COMPUTE_PGM_RSRC2:TGID_Z_EN: 0
; COMPUTE_PGM_RSRC2:TIDIG_COMP_CNT: 0
; COMPUTE_PGM_RSRC3_GFX90A:ACCUM_OFFSET: 20
; COMPUTE_PGM_RSRC3_GFX90A:TG_SPLIT: 0
	.section	.text._ZN7rocprim17ROCPRIM_400000_NS6detail17trampoline_kernelINS0_14default_configENS1_35adjacent_difference_config_selectorILb0ElEEZNS1_24adjacent_difference_implIS3_Lb0ELb0EPlS7_ZN2at6native12_GLOBAL__N_124unique_dim_cuda_templateIN3c104HalfEEESt5tupleIJNS8_6TensorESF_SF_EERKSF_lbbbEUlllE1_EE10hipError_tPvRmT2_T3_mT4_P12ihipStream_tbEUlT_E_NS1_11comp_targetILNS1_3genE4ELNS1_11target_archE910ELNS1_3gpuE8ELNS1_3repE0EEENS1_30default_config_static_selectorELNS0_4arch9wavefront6targetE1EEEvT1_,"axG",@progbits,_ZN7rocprim17ROCPRIM_400000_NS6detail17trampoline_kernelINS0_14default_configENS1_35adjacent_difference_config_selectorILb0ElEEZNS1_24adjacent_difference_implIS3_Lb0ELb0EPlS7_ZN2at6native12_GLOBAL__N_124unique_dim_cuda_templateIN3c104HalfEEESt5tupleIJNS8_6TensorESF_SF_EERKSF_lbbbEUlllE1_EE10hipError_tPvRmT2_T3_mT4_P12ihipStream_tbEUlT_E_NS1_11comp_targetILNS1_3genE4ELNS1_11target_archE910ELNS1_3gpuE8ELNS1_3repE0EEENS1_30default_config_static_selectorELNS0_4arch9wavefront6targetE1EEEvT1_,comdat
	.globl	_ZN7rocprim17ROCPRIM_400000_NS6detail17trampoline_kernelINS0_14default_configENS1_35adjacent_difference_config_selectorILb0ElEEZNS1_24adjacent_difference_implIS3_Lb0ELb0EPlS7_ZN2at6native12_GLOBAL__N_124unique_dim_cuda_templateIN3c104HalfEEESt5tupleIJNS8_6TensorESF_SF_EERKSF_lbbbEUlllE1_EE10hipError_tPvRmT2_T3_mT4_P12ihipStream_tbEUlT_E_NS1_11comp_targetILNS1_3genE4ELNS1_11target_archE910ELNS1_3gpuE8ELNS1_3repE0EEENS1_30default_config_static_selectorELNS0_4arch9wavefront6targetE1EEEvT1_ ; -- Begin function _ZN7rocprim17ROCPRIM_400000_NS6detail17trampoline_kernelINS0_14default_configENS1_35adjacent_difference_config_selectorILb0ElEEZNS1_24adjacent_difference_implIS3_Lb0ELb0EPlS7_ZN2at6native12_GLOBAL__N_124unique_dim_cuda_templateIN3c104HalfEEESt5tupleIJNS8_6TensorESF_SF_EERKSF_lbbbEUlllE1_EE10hipError_tPvRmT2_T3_mT4_P12ihipStream_tbEUlT_E_NS1_11comp_targetILNS1_3genE4ELNS1_11target_archE910ELNS1_3gpuE8ELNS1_3repE0EEENS1_30default_config_static_selectorELNS0_4arch9wavefront6targetE1EEEvT1_
	.p2align	8
	.type	_ZN7rocprim17ROCPRIM_400000_NS6detail17trampoline_kernelINS0_14default_configENS1_35adjacent_difference_config_selectorILb0ElEEZNS1_24adjacent_difference_implIS3_Lb0ELb0EPlS7_ZN2at6native12_GLOBAL__N_124unique_dim_cuda_templateIN3c104HalfEEESt5tupleIJNS8_6TensorESF_SF_EERKSF_lbbbEUlllE1_EE10hipError_tPvRmT2_T3_mT4_P12ihipStream_tbEUlT_E_NS1_11comp_targetILNS1_3genE4ELNS1_11target_archE910ELNS1_3gpuE8ELNS1_3repE0EEENS1_30default_config_static_selectorELNS0_4arch9wavefront6targetE1EEEvT1_,@function
_ZN7rocprim17ROCPRIM_400000_NS6detail17trampoline_kernelINS0_14default_configENS1_35adjacent_difference_config_selectorILb0ElEEZNS1_24adjacent_difference_implIS3_Lb0ELb0EPlS7_ZN2at6native12_GLOBAL__N_124unique_dim_cuda_templateIN3c104HalfEEESt5tupleIJNS8_6TensorESF_SF_EERKSF_lbbbEUlllE1_EE10hipError_tPvRmT2_T3_mT4_P12ihipStream_tbEUlT_E_NS1_11comp_targetILNS1_3genE4ELNS1_11target_archE910ELNS1_3gpuE8ELNS1_3repE0EEENS1_30default_config_static_selectorELNS0_4arch9wavefront6targetE1EEEvT1_: ; @_ZN7rocprim17ROCPRIM_400000_NS6detail17trampoline_kernelINS0_14default_configENS1_35adjacent_difference_config_selectorILb0ElEEZNS1_24adjacent_difference_implIS3_Lb0ELb0EPlS7_ZN2at6native12_GLOBAL__N_124unique_dim_cuda_templateIN3c104HalfEEESt5tupleIJNS8_6TensorESF_SF_EERKSF_lbbbEUlllE1_EE10hipError_tPvRmT2_T3_mT4_P12ihipStream_tbEUlT_E_NS1_11comp_targetILNS1_3genE4ELNS1_11target_archE910ELNS1_3gpuE8ELNS1_3repE0EEENS1_30default_config_static_selectorELNS0_4arch9wavefront6targetE1EEEvT1_
; %bb.0:
	.section	.rodata,"a",@progbits
	.p2align	6, 0x0
	.amdhsa_kernel _ZN7rocprim17ROCPRIM_400000_NS6detail17trampoline_kernelINS0_14default_configENS1_35adjacent_difference_config_selectorILb0ElEEZNS1_24adjacent_difference_implIS3_Lb0ELb0EPlS7_ZN2at6native12_GLOBAL__N_124unique_dim_cuda_templateIN3c104HalfEEESt5tupleIJNS8_6TensorESF_SF_EERKSF_lbbbEUlllE1_EE10hipError_tPvRmT2_T3_mT4_P12ihipStream_tbEUlT_E_NS1_11comp_targetILNS1_3genE4ELNS1_11target_archE910ELNS1_3gpuE8ELNS1_3repE0EEENS1_30default_config_static_selectorELNS0_4arch9wavefront6targetE1EEEvT1_
		.amdhsa_group_segment_fixed_size 0
		.amdhsa_private_segment_fixed_size 0
		.amdhsa_kernarg_size 64
		.amdhsa_user_sgpr_count 2
		.amdhsa_user_sgpr_dispatch_ptr 0
		.amdhsa_user_sgpr_queue_ptr 0
		.amdhsa_user_sgpr_kernarg_segment_ptr 1
		.amdhsa_user_sgpr_dispatch_id 0
		.amdhsa_user_sgpr_kernarg_preload_length 0
		.amdhsa_user_sgpr_kernarg_preload_offset 0
		.amdhsa_user_sgpr_private_segment_size 0
		.amdhsa_uses_dynamic_stack 0
		.amdhsa_enable_private_segment 0
		.amdhsa_system_sgpr_workgroup_id_x 1
		.amdhsa_system_sgpr_workgroup_id_y 0
		.amdhsa_system_sgpr_workgroup_id_z 0
		.amdhsa_system_sgpr_workgroup_info 0
		.amdhsa_system_vgpr_workitem_id 0
		.amdhsa_next_free_vgpr 1
		.amdhsa_next_free_sgpr 0
		.amdhsa_accum_offset 4
		.amdhsa_reserve_vcc 0
		.amdhsa_float_round_mode_32 0
		.amdhsa_float_round_mode_16_64 0
		.amdhsa_float_denorm_mode_32 3
		.amdhsa_float_denorm_mode_16_64 3
		.amdhsa_dx10_clamp 1
		.amdhsa_ieee_mode 1
		.amdhsa_fp16_overflow 0
		.amdhsa_tg_split 0
		.amdhsa_exception_fp_ieee_invalid_op 0
		.amdhsa_exception_fp_denorm_src 0
		.amdhsa_exception_fp_ieee_div_zero 0
		.amdhsa_exception_fp_ieee_overflow 0
		.amdhsa_exception_fp_ieee_underflow 0
		.amdhsa_exception_fp_ieee_inexact 0
		.amdhsa_exception_int_div_zero 0
	.end_amdhsa_kernel
	.section	.text._ZN7rocprim17ROCPRIM_400000_NS6detail17trampoline_kernelINS0_14default_configENS1_35adjacent_difference_config_selectorILb0ElEEZNS1_24adjacent_difference_implIS3_Lb0ELb0EPlS7_ZN2at6native12_GLOBAL__N_124unique_dim_cuda_templateIN3c104HalfEEESt5tupleIJNS8_6TensorESF_SF_EERKSF_lbbbEUlllE1_EE10hipError_tPvRmT2_T3_mT4_P12ihipStream_tbEUlT_E_NS1_11comp_targetILNS1_3genE4ELNS1_11target_archE910ELNS1_3gpuE8ELNS1_3repE0EEENS1_30default_config_static_selectorELNS0_4arch9wavefront6targetE1EEEvT1_,"axG",@progbits,_ZN7rocprim17ROCPRIM_400000_NS6detail17trampoline_kernelINS0_14default_configENS1_35adjacent_difference_config_selectorILb0ElEEZNS1_24adjacent_difference_implIS3_Lb0ELb0EPlS7_ZN2at6native12_GLOBAL__N_124unique_dim_cuda_templateIN3c104HalfEEESt5tupleIJNS8_6TensorESF_SF_EERKSF_lbbbEUlllE1_EE10hipError_tPvRmT2_T3_mT4_P12ihipStream_tbEUlT_E_NS1_11comp_targetILNS1_3genE4ELNS1_11target_archE910ELNS1_3gpuE8ELNS1_3repE0EEENS1_30default_config_static_selectorELNS0_4arch9wavefront6targetE1EEEvT1_,comdat
.Lfunc_end1283:
	.size	_ZN7rocprim17ROCPRIM_400000_NS6detail17trampoline_kernelINS0_14default_configENS1_35adjacent_difference_config_selectorILb0ElEEZNS1_24adjacent_difference_implIS3_Lb0ELb0EPlS7_ZN2at6native12_GLOBAL__N_124unique_dim_cuda_templateIN3c104HalfEEESt5tupleIJNS8_6TensorESF_SF_EERKSF_lbbbEUlllE1_EE10hipError_tPvRmT2_T3_mT4_P12ihipStream_tbEUlT_E_NS1_11comp_targetILNS1_3genE4ELNS1_11target_archE910ELNS1_3gpuE8ELNS1_3repE0EEENS1_30default_config_static_selectorELNS0_4arch9wavefront6targetE1EEEvT1_, .Lfunc_end1283-_ZN7rocprim17ROCPRIM_400000_NS6detail17trampoline_kernelINS0_14default_configENS1_35adjacent_difference_config_selectorILb0ElEEZNS1_24adjacent_difference_implIS3_Lb0ELb0EPlS7_ZN2at6native12_GLOBAL__N_124unique_dim_cuda_templateIN3c104HalfEEESt5tupleIJNS8_6TensorESF_SF_EERKSF_lbbbEUlllE1_EE10hipError_tPvRmT2_T3_mT4_P12ihipStream_tbEUlT_E_NS1_11comp_targetILNS1_3genE4ELNS1_11target_archE910ELNS1_3gpuE8ELNS1_3repE0EEENS1_30default_config_static_selectorELNS0_4arch9wavefront6targetE1EEEvT1_
                                        ; -- End function
	.section	.AMDGPU.csdata,"",@progbits
; Kernel info:
; codeLenInByte = 0
; NumSgprs: 6
; NumVgprs: 0
; NumAgprs: 0
; TotalNumVgprs: 0
; ScratchSize: 0
; MemoryBound: 0
; FloatMode: 240
; IeeeMode: 1
; LDSByteSize: 0 bytes/workgroup (compile time only)
; SGPRBlocks: 0
; VGPRBlocks: 0
; NumSGPRsForWavesPerEU: 6
; NumVGPRsForWavesPerEU: 1
; AccumOffset: 4
; Occupancy: 8
; WaveLimiterHint : 0
; COMPUTE_PGM_RSRC2:SCRATCH_EN: 0
; COMPUTE_PGM_RSRC2:USER_SGPR: 2
; COMPUTE_PGM_RSRC2:TRAP_HANDLER: 0
; COMPUTE_PGM_RSRC2:TGID_X_EN: 1
; COMPUTE_PGM_RSRC2:TGID_Y_EN: 0
; COMPUTE_PGM_RSRC2:TGID_Z_EN: 0
; COMPUTE_PGM_RSRC2:TIDIG_COMP_CNT: 0
; COMPUTE_PGM_RSRC3_GFX90A:ACCUM_OFFSET: 0
; COMPUTE_PGM_RSRC3_GFX90A:TG_SPLIT: 0
	.section	.text._ZN7rocprim17ROCPRIM_400000_NS6detail17trampoline_kernelINS0_14default_configENS1_35adjacent_difference_config_selectorILb0ElEEZNS1_24adjacent_difference_implIS3_Lb0ELb0EPlS7_ZN2at6native12_GLOBAL__N_124unique_dim_cuda_templateIN3c104HalfEEESt5tupleIJNS8_6TensorESF_SF_EERKSF_lbbbEUlllE1_EE10hipError_tPvRmT2_T3_mT4_P12ihipStream_tbEUlT_E_NS1_11comp_targetILNS1_3genE3ELNS1_11target_archE908ELNS1_3gpuE7ELNS1_3repE0EEENS1_30default_config_static_selectorELNS0_4arch9wavefront6targetE1EEEvT1_,"axG",@progbits,_ZN7rocprim17ROCPRIM_400000_NS6detail17trampoline_kernelINS0_14default_configENS1_35adjacent_difference_config_selectorILb0ElEEZNS1_24adjacent_difference_implIS3_Lb0ELb0EPlS7_ZN2at6native12_GLOBAL__N_124unique_dim_cuda_templateIN3c104HalfEEESt5tupleIJNS8_6TensorESF_SF_EERKSF_lbbbEUlllE1_EE10hipError_tPvRmT2_T3_mT4_P12ihipStream_tbEUlT_E_NS1_11comp_targetILNS1_3genE3ELNS1_11target_archE908ELNS1_3gpuE7ELNS1_3repE0EEENS1_30default_config_static_selectorELNS0_4arch9wavefront6targetE1EEEvT1_,comdat
	.globl	_ZN7rocprim17ROCPRIM_400000_NS6detail17trampoline_kernelINS0_14default_configENS1_35adjacent_difference_config_selectorILb0ElEEZNS1_24adjacent_difference_implIS3_Lb0ELb0EPlS7_ZN2at6native12_GLOBAL__N_124unique_dim_cuda_templateIN3c104HalfEEESt5tupleIJNS8_6TensorESF_SF_EERKSF_lbbbEUlllE1_EE10hipError_tPvRmT2_T3_mT4_P12ihipStream_tbEUlT_E_NS1_11comp_targetILNS1_3genE3ELNS1_11target_archE908ELNS1_3gpuE7ELNS1_3repE0EEENS1_30default_config_static_selectorELNS0_4arch9wavefront6targetE1EEEvT1_ ; -- Begin function _ZN7rocprim17ROCPRIM_400000_NS6detail17trampoline_kernelINS0_14default_configENS1_35adjacent_difference_config_selectorILb0ElEEZNS1_24adjacent_difference_implIS3_Lb0ELb0EPlS7_ZN2at6native12_GLOBAL__N_124unique_dim_cuda_templateIN3c104HalfEEESt5tupleIJNS8_6TensorESF_SF_EERKSF_lbbbEUlllE1_EE10hipError_tPvRmT2_T3_mT4_P12ihipStream_tbEUlT_E_NS1_11comp_targetILNS1_3genE3ELNS1_11target_archE908ELNS1_3gpuE7ELNS1_3repE0EEENS1_30default_config_static_selectorELNS0_4arch9wavefront6targetE1EEEvT1_
	.p2align	8
	.type	_ZN7rocprim17ROCPRIM_400000_NS6detail17trampoline_kernelINS0_14default_configENS1_35adjacent_difference_config_selectorILb0ElEEZNS1_24adjacent_difference_implIS3_Lb0ELb0EPlS7_ZN2at6native12_GLOBAL__N_124unique_dim_cuda_templateIN3c104HalfEEESt5tupleIJNS8_6TensorESF_SF_EERKSF_lbbbEUlllE1_EE10hipError_tPvRmT2_T3_mT4_P12ihipStream_tbEUlT_E_NS1_11comp_targetILNS1_3genE3ELNS1_11target_archE908ELNS1_3gpuE7ELNS1_3repE0EEENS1_30default_config_static_selectorELNS0_4arch9wavefront6targetE1EEEvT1_,@function
_ZN7rocprim17ROCPRIM_400000_NS6detail17trampoline_kernelINS0_14default_configENS1_35adjacent_difference_config_selectorILb0ElEEZNS1_24adjacent_difference_implIS3_Lb0ELb0EPlS7_ZN2at6native12_GLOBAL__N_124unique_dim_cuda_templateIN3c104HalfEEESt5tupleIJNS8_6TensorESF_SF_EERKSF_lbbbEUlllE1_EE10hipError_tPvRmT2_T3_mT4_P12ihipStream_tbEUlT_E_NS1_11comp_targetILNS1_3genE3ELNS1_11target_archE908ELNS1_3gpuE7ELNS1_3repE0EEENS1_30default_config_static_selectorELNS0_4arch9wavefront6targetE1EEEvT1_: ; @_ZN7rocprim17ROCPRIM_400000_NS6detail17trampoline_kernelINS0_14default_configENS1_35adjacent_difference_config_selectorILb0ElEEZNS1_24adjacent_difference_implIS3_Lb0ELb0EPlS7_ZN2at6native12_GLOBAL__N_124unique_dim_cuda_templateIN3c104HalfEEESt5tupleIJNS8_6TensorESF_SF_EERKSF_lbbbEUlllE1_EE10hipError_tPvRmT2_T3_mT4_P12ihipStream_tbEUlT_E_NS1_11comp_targetILNS1_3genE3ELNS1_11target_archE908ELNS1_3gpuE7ELNS1_3repE0EEENS1_30default_config_static_selectorELNS0_4arch9wavefront6targetE1EEEvT1_
; %bb.0:
	.section	.rodata,"a",@progbits
	.p2align	6, 0x0
	.amdhsa_kernel _ZN7rocprim17ROCPRIM_400000_NS6detail17trampoline_kernelINS0_14default_configENS1_35adjacent_difference_config_selectorILb0ElEEZNS1_24adjacent_difference_implIS3_Lb0ELb0EPlS7_ZN2at6native12_GLOBAL__N_124unique_dim_cuda_templateIN3c104HalfEEESt5tupleIJNS8_6TensorESF_SF_EERKSF_lbbbEUlllE1_EE10hipError_tPvRmT2_T3_mT4_P12ihipStream_tbEUlT_E_NS1_11comp_targetILNS1_3genE3ELNS1_11target_archE908ELNS1_3gpuE7ELNS1_3repE0EEENS1_30default_config_static_selectorELNS0_4arch9wavefront6targetE1EEEvT1_
		.amdhsa_group_segment_fixed_size 0
		.amdhsa_private_segment_fixed_size 0
		.amdhsa_kernarg_size 64
		.amdhsa_user_sgpr_count 2
		.amdhsa_user_sgpr_dispatch_ptr 0
		.amdhsa_user_sgpr_queue_ptr 0
		.amdhsa_user_sgpr_kernarg_segment_ptr 1
		.amdhsa_user_sgpr_dispatch_id 0
		.amdhsa_user_sgpr_kernarg_preload_length 0
		.amdhsa_user_sgpr_kernarg_preload_offset 0
		.amdhsa_user_sgpr_private_segment_size 0
		.amdhsa_uses_dynamic_stack 0
		.amdhsa_enable_private_segment 0
		.amdhsa_system_sgpr_workgroup_id_x 1
		.amdhsa_system_sgpr_workgroup_id_y 0
		.amdhsa_system_sgpr_workgroup_id_z 0
		.amdhsa_system_sgpr_workgroup_info 0
		.amdhsa_system_vgpr_workitem_id 0
		.amdhsa_next_free_vgpr 1
		.amdhsa_next_free_sgpr 0
		.amdhsa_accum_offset 4
		.amdhsa_reserve_vcc 0
		.amdhsa_float_round_mode_32 0
		.amdhsa_float_round_mode_16_64 0
		.amdhsa_float_denorm_mode_32 3
		.amdhsa_float_denorm_mode_16_64 3
		.amdhsa_dx10_clamp 1
		.amdhsa_ieee_mode 1
		.amdhsa_fp16_overflow 0
		.amdhsa_tg_split 0
		.amdhsa_exception_fp_ieee_invalid_op 0
		.amdhsa_exception_fp_denorm_src 0
		.amdhsa_exception_fp_ieee_div_zero 0
		.amdhsa_exception_fp_ieee_overflow 0
		.amdhsa_exception_fp_ieee_underflow 0
		.amdhsa_exception_fp_ieee_inexact 0
		.amdhsa_exception_int_div_zero 0
	.end_amdhsa_kernel
	.section	.text._ZN7rocprim17ROCPRIM_400000_NS6detail17trampoline_kernelINS0_14default_configENS1_35adjacent_difference_config_selectorILb0ElEEZNS1_24adjacent_difference_implIS3_Lb0ELb0EPlS7_ZN2at6native12_GLOBAL__N_124unique_dim_cuda_templateIN3c104HalfEEESt5tupleIJNS8_6TensorESF_SF_EERKSF_lbbbEUlllE1_EE10hipError_tPvRmT2_T3_mT4_P12ihipStream_tbEUlT_E_NS1_11comp_targetILNS1_3genE3ELNS1_11target_archE908ELNS1_3gpuE7ELNS1_3repE0EEENS1_30default_config_static_selectorELNS0_4arch9wavefront6targetE1EEEvT1_,"axG",@progbits,_ZN7rocprim17ROCPRIM_400000_NS6detail17trampoline_kernelINS0_14default_configENS1_35adjacent_difference_config_selectorILb0ElEEZNS1_24adjacent_difference_implIS3_Lb0ELb0EPlS7_ZN2at6native12_GLOBAL__N_124unique_dim_cuda_templateIN3c104HalfEEESt5tupleIJNS8_6TensorESF_SF_EERKSF_lbbbEUlllE1_EE10hipError_tPvRmT2_T3_mT4_P12ihipStream_tbEUlT_E_NS1_11comp_targetILNS1_3genE3ELNS1_11target_archE908ELNS1_3gpuE7ELNS1_3repE0EEENS1_30default_config_static_selectorELNS0_4arch9wavefront6targetE1EEEvT1_,comdat
.Lfunc_end1284:
	.size	_ZN7rocprim17ROCPRIM_400000_NS6detail17trampoline_kernelINS0_14default_configENS1_35adjacent_difference_config_selectorILb0ElEEZNS1_24adjacent_difference_implIS3_Lb0ELb0EPlS7_ZN2at6native12_GLOBAL__N_124unique_dim_cuda_templateIN3c104HalfEEESt5tupleIJNS8_6TensorESF_SF_EERKSF_lbbbEUlllE1_EE10hipError_tPvRmT2_T3_mT4_P12ihipStream_tbEUlT_E_NS1_11comp_targetILNS1_3genE3ELNS1_11target_archE908ELNS1_3gpuE7ELNS1_3repE0EEENS1_30default_config_static_selectorELNS0_4arch9wavefront6targetE1EEEvT1_, .Lfunc_end1284-_ZN7rocprim17ROCPRIM_400000_NS6detail17trampoline_kernelINS0_14default_configENS1_35adjacent_difference_config_selectorILb0ElEEZNS1_24adjacent_difference_implIS3_Lb0ELb0EPlS7_ZN2at6native12_GLOBAL__N_124unique_dim_cuda_templateIN3c104HalfEEESt5tupleIJNS8_6TensorESF_SF_EERKSF_lbbbEUlllE1_EE10hipError_tPvRmT2_T3_mT4_P12ihipStream_tbEUlT_E_NS1_11comp_targetILNS1_3genE3ELNS1_11target_archE908ELNS1_3gpuE7ELNS1_3repE0EEENS1_30default_config_static_selectorELNS0_4arch9wavefront6targetE1EEEvT1_
                                        ; -- End function
	.section	.AMDGPU.csdata,"",@progbits
; Kernel info:
; codeLenInByte = 0
; NumSgprs: 6
; NumVgprs: 0
; NumAgprs: 0
; TotalNumVgprs: 0
; ScratchSize: 0
; MemoryBound: 0
; FloatMode: 240
; IeeeMode: 1
; LDSByteSize: 0 bytes/workgroup (compile time only)
; SGPRBlocks: 0
; VGPRBlocks: 0
; NumSGPRsForWavesPerEU: 6
; NumVGPRsForWavesPerEU: 1
; AccumOffset: 4
; Occupancy: 8
; WaveLimiterHint : 0
; COMPUTE_PGM_RSRC2:SCRATCH_EN: 0
; COMPUTE_PGM_RSRC2:USER_SGPR: 2
; COMPUTE_PGM_RSRC2:TRAP_HANDLER: 0
; COMPUTE_PGM_RSRC2:TGID_X_EN: 1
; COMPUTE_PGM_RSRC2:TGID_Y_EN: 0
; COMPUTE_PGM_RSRC2:TGID_Z_EN: 0
; COMPUTE_PGM_RSRC2:TIDIG_COMP_CNT: 0
; COMPUTE_PGM_RSRC3_GFX90A:ACCUM_OFFSET: 0
; COMPUTE_PGM_RSRC3_GFX90A:TG_SPLIT: 0
	.section	.text._ZN7rocprim17ROCPRIM_400000_NS6detail17trampoline_kernelINS0_14default_configENS1_35adjacent_difference_config_selectorILb0ElEEZNS1_24adjacent_difference_implIS3_Lb0ELb0EPlS7_ZN2at6native12_GLOBAL__N_124unique_dim_cuda_templateIN3c104HalfEEESt5tupleIJNS8_6TensorESF_SF_EERKSF_lbbbEUlllE1_EE10hipError_tPvRmT2_T3_mT4_P12ihipStream_tbEUlT_E_NS1_11comp_targetILNS1_3genE2ELNS1_11target_archE906ELNS1_3gpuE6ELNS1_3repE0EEENS1_30default_config_static_selectorELNS0_4arch9wavefront6targetE1EEEvT1_,"axG",@progbits,_ZN7rocprim17ROCPRIM_400000_NS6detail17trampoline_kernelINS0_14default_configENS1_35adjacent_difference_config_selectorILb0ElEEZNS1_24adjacent_difference_implIS3_Lb0ELb0EPlS7_ZN2at6native12_GLOBAL__N_124unique_dim_cuda_templateIN3c104HalfEEESt5tupleIJNS8_6TensorESF_SF_EERKSF_lbbbEUlllE1_EE10hipError_tPvRmT2_T3_mT4_P12ihipStream_tbEUlT_E_NS1_11comp_targetILNS1_3genE2ELNS1_11target_archE906ELNS1_3gpuE6ELNS1_3repE0EEENS1_30default_config_static_selectorELNS0_4arch9wavefront6targetE1EEEvT1_,comdat
	.globl	_ZN7rocprim17ROCPRIM_400000_NS6detail17trampoline_kernelINS0_14default_configENS1_35adjacent_difference_config_selectorILb0ElEEZNS1_24adjacent_difference_implIS3_Lb0ELb0EPlS7_ZN2at6native12_GLOBAL__N_124unique_dim_cuda_templateIN3c104HalfEEESt5tupleIJNS8_6TensorESF_SF_EERKSF_lbbbEUlllE1_EE10hipError_tPvRmT2_T3_mT4_P12ihipStream_tbEUlT_E_NS1_11comp_targetILNS1_3genE2ELNS1_11target_archE906ELNS1_3gpuE6ELNS1_3repE0EEENS1_30default_config_static_selectorELNS0_4arch9wavefront6targetE1EEEvT1_ ; -- Begin function _ZN7rocprim17ROCPRIM_400000_NS6detail17trampoline_kernelINS0_14default_configENS1_35adjacent_difference_config_selectorILb0ElEEZNS1_24adjacent_difference_implIS3_Lb0ELb0EPlS7_ZN2at6native12_GLOBAL__N_124unique_dim_cuda_templateIN3c104HalfEEESt5tupleIJNS8_6TensorESF_SF_EERKSF_lbbbEUlllE1_EE10hipError_tPvRmT2_T3_mT4_P12ihipStream_tbEUlT_E_NS1_11comp_targetILNS1_3genE2ELNS1_11target_archE906ELNS1_3gpuE6ELNS1_3repE0EEENS1_30default_config_static_selectorELNS0_4arch9wavefront6targetE1EEEvT1_
	.p2align	8
	.type	_ZN7rocprim17ROCPRIM_400000_NS6detail17trampoline_kernelINS0_14default_configENS1_35adjacent_difference_config_selectorILb0ElEEZNS1_24adjacent_difference_implIS3_Lb0ELb0EPlS7_ZN2at6native12_GLOBAL__N_124unique_dim_cuda_templateIN3c104HalfEEESt5tupleIJNS8_6TensorESF_SF_EERKSF_lbbbEUlllE1_EE10hipError_tPvRmT2_T3_mT4_P12ihipStream_tbEUlT_E_NS1_11comp_targetILNS1_3genE2ELNS1_11target_archE906ELNS1_3gpuE6ELNS1_3repE0EEENS1_30default_config_static_selectorELNS0_4arch9wavefront6targetE1EEEvT1_,@function
_ZN7rocprim17ROCPRIM_400000_NS6detail17trampoline_kernelINS0_14default_configENS1_35adjacent_difference_config_selectorILb0ElEEZNS1_24adjacent_difference_implIS3_Lb0ELb0EPlS7_ZN2at6native12_GLOBAL__N_124unique_dim_cuda_templateIN3c104HalfEEESt5tupleIJNS8_6TensorESF_SF_EERKSF_lbbbEUlllE1_EE10hipError_tPvRmT2_T3_mT4_P12ihipStream_tbEUlT_E_NS1_11comp_targetILNS1_3genE2ELNS1_11target_archE906ELNS1_3gpuE6ELNS1_3repE0EEENS1_30default_config_static_selectorELNS0_4arch9wavefront6targetE1EEEvT1_: ; @_ZN7rocprim17ROCPRIM_400000_NS6detail17trampoline_kernelINS0_14default_configENS1_35adjacent_difference_config_selectorILb0ElEEZNS1_24adjacent_difference_implIS3_Lb0ELb0EPlS7_ZN2at6native12_GLOBAL__N_124unique_dim_cuda_templateIN3c104HalfEEESt5tupleIJNS8_6TensorESF_SF_EERKSF_lbbbEUlllE1_EE10hipError_tPvRmT2_T3_mT4_P12ihipStream_tbEUlT_E_NS1_11comp_targetILNS1_3genE2ELNS1_11target_archE906ELNS1_3gpuE6ELNS1_3repE0EEENS1_30default_config_static_selectorELNS0_4arch9wavefront6targetE1EEEvT1_
; %bb.0:
	.section	.rodata,"a",@progbits
	.p2align	6, 0x0
	.amdhsa_kernel _ZN7rocprim17ROCPRIM_400000_NS6detail17trampoline_kernelINS0_14default_configENS1_35adjacent_difference_config_selectorILb0ElEEZNS1_24adjacent_difference_implIS3_Lb0ELb0EPlS7_ZN2at6native12_GLOBAL__N_124unique_dim_cuda_templateIN3c104HalfEEESt5tupleIJNS8_6TensorESF_SF_EERKSF_lbbbEUlllE1_EE10hipError_tPvRmT2_T3_mT4_P12ihipStream_tbEUlT_E_NS1_11comp_targetILNS1_3genE2ELNS1_11target_archE906ELNS1_3gpuE6ELNS1_3repE0EEENS1_30default_config_static_selectorELNS0_4arch9wavefront6targetE1EEEvT1_
		.amdhsa_group_segment_fixed_size 0
		.amdhsa_private_segment_fixed_size 0
		.amdhsa_kernarg_size 64
		.amdhsa_user_sgpr_count 2
		.amdhsa_user_sgpr_dispatch_ptr 0
		.amdhsa_user_sgpr_queue_ptr 0
		.amdhsa_user_sgpr_kernarg_segment_ptr 1
		.amdhsa_user_sgpr_dispatch_id 0
		.amdhsa_user_sgpr_kernarg_preload_length 0
		.amdhsa_user_sgpr_kernarg_preload_offset 0
		.amdhsa_user_sgpr_private_segment_size 0
		.amdhsa_uses_dynamic_stack 0
		.amdhsa_enable_private_segment 0
		.amdhsa_system_sgpr_workgroup_id_x 1
		.amdhsa_system_sgpr_workgroup_id_y 0
		.amdhsa_system_sgpr_workgroup_id_z 0
		.amdhsa_system_sgpr_workgroup_info 0
		.amdhsa_system_vgpr_workitem_id 0
		.amdhsa_next_free_vgpr 1
		.amdhsa_next_free_sgpr 0
		.amdhsa_accum_offset 4
		.amdhsa_reserve_vcc 0
		.amdhsa_float_round_mode_32 0
		.amdhsa_float_round_mode_16_64 0
		.amdhsa_float_denorm_mode_32 3
		.amdhsa_float_denorm_mode_16_64 3
		.amdhsa_dx10_clamp 1
		.amdhsa_ieee_mode 1
		.amdhsa_fp16_overflow 0
		.amdhsa_tg_split 0
		.amdhsa_exception_fp_ieee_invalid_op 0
		.amdhsa_exception_fp_denorm_src 0
		.amdhsa_exception_fp_ieee_div_zero 0
		.amdhsa_exception_fp_ieee_overflow 0
		.amdhsa_exception_fp_ieee_underflow 0
		.amdhsa_exception_fp_ieee_inexact 0
		.amdhsa_exception_int_div_zero 0
	.end_amdhsa_kernel
	.section	.text._ZN7rocprim17ROCPRIM_400000_NS6detail17trampoline_kernelINS0_14default_configENS1_35adjacent_difference_config_selectorILb0ElEEZNS1_24adjacent_difference_implIS3_Lb0ELb0EPlS7_ZN2at6native12_GLOBAL__N_124unique_dim_cuda_templateIN3c104HalfEEESt5tupleIJNS8_6TensorESF_SF_EERKSF_lbbbEUlllE1_EE10hipError_tPvRmT2_T3_mT4_P12ihipStream_tbEUlT_E_NS1_11comp_targetILNS1_3genE2ELNS1_11target_archE906ELNS1_3gpuE6ELNS1_3repE0EEENS1_30default_config_static_selectorELNS0_4arch9wavefront6targetE1EEEvT1_,"axG",@progbits,_ZN7rocprim17ROCPRIM_400000_NS6detail17trampoline_kernelINS0_14default_configENS1_35adjacent_difference_config_selectorILb0ElEEZNS1_24adjacent_difference_implIS3_Lb0ELb0EPlS7_ZN2at6native12_GLOBAL__N_124unique_dim_cuda_templateIN3c104HalfEEESt5tupleIJNS8_6TensorESF_SF_EERKSF_lbbbEUlllE1_EE10hipError_tPvRmT2_T3_mT4_P12ihipStream_tbEUlT_E_NS1_11comp_targetILNS1_3genE2ELNS1_11target_archE906ELNS1_3gpuE6ELNS1_3repE0EEENS1_30default_config_static_selectorELNS0_4arch9wavefront6targetE1EEEvT1_,comdat
.Lfunc_end1285:
	.size	_ZN7rocprim17ROCPRIM_400000_NS6detail17trampoline_kernelINS0_14default_configENS1_35adjacent_difference_config_selectorILb0ElEEZNS1_24adjacent_difference_implIS3_Lb0ELb0EPlS7_ZN2at6native12_GLOBAL__N_124unique_dim_cuda_templateIN3c104HalfEEESt5tupleIJNS8_6TensorESF_SF_EERKSF_lbbbEUlllE1_EE10hipError_tPvRmT2_T3_mT4_P12ihipStream_tbEUlT_E_NS1_11comp_targetILNS1_3genE2ELNS1_11target_archE906ELNS1_3gpuE6ELNS1_3repE0EEENS1_30default_config_static_selectorELNS0_4arch9wavefront6targetE1EEEvT1_, .Lfunc_end1285-_ZN7rocprim17ROCPRIM_400000_NS6detail17trampoline_kernelINS0_14default_configENS1_35adjacent_difference_config_selectorILb0ElEEZNS1_24adjacent_difference_implIS3_Lb0ELb0EPlS7_ZN2at6native12_GLOBAL__N_124unique_dim_cuda_templateIN3c104HalfEEESt5tupleIJNS8_6TensorESF_SF_EERKSF_lbbbEUlllE1_EE10hipError_tPvRmT2_T3_mT4_P12ihipStream_tbEUlT_E_NS1_11comp_targetILNS1_3genE2ELNS1_11target_archE906ELNS1_3gpuE6ELNS1_3repE0EEENS1_30default_config_static_selectorELNS0_4arch9wavefront6targetE1EEEvT1_
                                        ; -- End function
	.section	.AMDGPU.csdata,"",@progbits
; Kernel info:
; codeLenInByte = 0
; NumSgprs: 6
; NumVgprs: 0
; NumAgprs: 0
; TotalNumVgprs: 0
; ScratchSize: 0
; MemoryBound: 0
; FloatMode: 240
; IeeeMode: 1
; LDSByteSize: 0 bytes/workgroup (compile time only)
; SGPRBlocks: 0
; VGPRBlocks: 0
; NumSGPRsForWavesPerEU: 6
; NumVGPRsForWavesPerEU: 1
; AccumOffset: 4
; Occupancy: 8
; WaveLimiterHint : 0
; COMPUTE_PGM_RSRC2:SCRATCH_EN: 0
; COMPUTE_PGM_RSRC2:USER_SGPR: 2
; COMPUTE_PGM_RSRC2:TRAP_HANDLER: 0
; COMPUTE_PGM_RSRC2:TGID_X_EN: 1
; COMPUTE_PGM_RSRC2:TGID_Y_EN: 0
; COMPUTE_PGM_RSRC2:TGID_Z_EN: 0
; COMPUTE_PGM_RSRC2:TIDIG_COMP_CNT: 0
; COMPUTE_PGM_RSRC3_GFX90A:ACCUM_OFFSET: 0
; COMPUTE_PGM_RSRC3_GFX90A:TG_SPLIT: 0
	.section	.text._ZN7rocprim17ROCPRIM_400000_NS6detail17trampoline_kernelINS0_14default_configENS1_35adjacent_difference_config_selectorILb0ElEEZNS1_24adjacent_difference_implIS3_Lb0ELb0EPlS7_ZN2at6native12_GLOBAL__N_124unique_dim_cuda_templateIN3c104HalfEEESt5tupleIJNS8_6TensorESF_SF_EERKSF_lbbbEUlllE1_EE10hipError_tPvRmT2_T3_mT4_P12ihipStream_tbEUlT_E_NS1_11comp_targetILNS1_3genE9ELNS1_11target_archE1100ELNS1_3gpuE3ELNS1_3repE0EEENS1_30default_config_static_selectorELNS0_4arch9wavefront6targetE1EEEvT1_,"axG",@progbits,_ZN7rocprim17ROCPRIM_400000_NS6detail17trampoline_kernelINS0_14default_configENS1_35adjacent_difference_config_selectorILb0ElEEZNS1_24adjacent_difference_implIS3_Lb0ELb0EPlS7_ZN2at6native12_GLOBAL__N_124unique_dim_cuda_templateIN3c104HalfEEESt5tupleIJNS8_6TensorESF_SF_EERKSF_lbbbEUlllE1_EE10hipError_tPvRmT2_T3_mT4_P12ihipStream_tbEUlT_E_NS1_11comp_targetILNS1_3genE9ELNS1_11target_archE1100ELNS1_3gpuE3ELNS1_3repE0EEENS1_30default_config_static_selectorELNS0_4arch9wavefront6targetE1EEEvT1_,comdat
	.globl	_ZN7rocprim17ROCPRIM_400000_NS6detail17trampoline_kernelINS0_14default_configENS1_35adjacent_difference_config_selectorILb0ElEEZNS1_24adjacent_difference_implIS3_Lb0ELb0EPlS7_ZN2at6native12_GLOBAL__N_124unique_dim_cuda_templateIN3c104HalfEEESt5tupleIJNS8_6TensorESF_SF_EERKSF_lbbbEUlllE1_EE10hipError_tPvRmT2_T3_mT4_P12ihipStream_tbEUlT_E_NS1_11comp_targetILNS1_3genE9ELNS1_11target_archE1100ELNS1_3gpuE3ELNS1_3repE0EEENS1_30default_config_static_selectorELNS0_4arch9wavefront6targetE1EEEvT1_ ; -- Begin function _ZN7rocprim17ROCPRIM_400000_NS6detail17trampoline_kernelINS0_14default_configENS1_35adjacent_difference_config_selectorILb0ElEEZNS1_24adjacent_difference_implIS3_Lb0ELb0EPlS7_ZN2at6native12_GLOBAL__N_124unique_dim_cuda_templateIN3c104HalfEEESt5tupleIJNS8_6TensorESF_SF_EERKSF_lbbbEUlllE1_EE10hipError_tPvRmT2_T3_mT4_P12ihipStream_tbEUlT_E_NS1_11comp_targetILNS1_3genE9ELNS1_11target_archE1100ELNS1_3gpuE3ELNS1_3repE0EEENS1_30default_config_static_selectorELNS0_4arch9wavefront6targetE1EEEvT1_
	.p2align	8
	.type	_ZN7rocprim17ROCPRIM_400000_NS6detail17trampoline_kernelINS0_14default_configENS1_35adjacent_difference_config_selectorILb0ElEEZNS1_24adjacent_difference_implIS3_Lb0ELb0EPlS7_ZN2at6native12_GLOBAL__N_124unique_dim_cuda_templateIN3c104HalfEEESt5tupleIJNS8_6TensorESF_SF_EERKSF_lbbbEUlllE1_EE10hipError_tPvRmT2_T3_mT4_P12ihipStream_tbEUlT_E_NS1_11comp_targetILNS1_3genE9ELNS1_11target_archE1100ELNS1_3gpuE3ELNS1_3repE0EEENS1_30default_config_static_selectorELNS0_4arch9wavefront6targetE1EEEvT1_,@function
_ZN7rocprim17ROCPRIM_400000_NS6detail17trampoline_kernelINS0_14default_configENS1_35adjacent_difference_config_selectorILb0ElEEZNS1_24adjacent_difference_implIS3_Lb0ELb0EPlS7_ZN2at6native12_GLOBAL__N_124unique_dim_cuda_templateIN3c104HalfEEESt5tupleIJNS8_6TensorESF_SF_EERKSF_lbbbEUlllE1_EE10hipError_tPvRmT2_T3_mT4_P12ihipStream_tbEUlT_E_NS1_11comp_targetILNS1_3genE9ELNS1_11target_archE1100ELNS1_3gpuE3ELNS1_3repE0EEENS1_30default_config_static_selectorELNS0_4arch9wavefront6targetE1EEEvT1_: ; @_ZN7rocprim17ROCPRIM_400000_NS6detail17trampoline_kernelINS0_14default_configENS1_35adjacent_difference_config_selectorILb0ElEEZNS1_24adjacent_difference_implIS3_Lb0ELb0EPlS7_ZN2at6native12_GLOBAL__N_124unique_dim_cuda_templateIN3c104HalfEEESt5tupleIJNS8_6TensorESF_SF_EERKSF_lbbbEUlllE1_EE10hipError_tPvRmT2_T3_mT4_P12ihipStream_tbEUlT_E_NS1_11comp_targetILNS1_3genE9ELNS1_11target_archE1100ELNS1_3gpuE3ELNS1_3repE0EEENS1_30default_config_static_selectorELNS0_4arch9wavefront6targetE1EEEvT1_
; %bb.0:
	.section	.rodata,"a",@progbits
	.p2align	6, 0x0
	.amdhsa_kernel _ZN7rocprim17ROCPRIM_400000_NS6detail17trampoline_kernelINS0_14default_configENS1_35adjacent_difference_config_selectorILb0ElEEZNS1_24adjacent_difference_implIS3_Lb0ELb0EPlS7_ZN2at6native12_GLOBAL__N_124unique_dim_cuda_templateIN3c104HalfEEESt5tupleIJNS8_6TensorESF_SF_EERKSF_lbbbEUlllE1_EE10hipError_tPvRmT2_T3_mT4_P12ihipStream_tbEUlT_E_NS1_11comp_targetILNS1_3genE9ELNS1_11target_archE1100ELNS1_3gpuE3ELNS1_3repE0EEENS1_30default_config_static_selectorELNS0_4arch9wavefront6targetE1EEEvT1_
		.amdhsa_group_segment_fixed_size 0
		.amdhsa_private_segment_fixed_size 0
		.amdhsa_kernarg_size 64
		.amdhsa_user_sgpr_count 2
		.amdhsa_user_sgpr_dispatch_ptr 0
		.amdhsa_user_sgpr_queue_ptr 0
		.amdhsa_user_sgpr_kernarg_segment_ptr 1
		.amdhsa_user_sgpr_dispatch_id 0
		.amdhsa_user_sgpr_kernarg_preload_length 0
		.amdhsa_user_sgpr_kernarg_preload_offset 0
		.amdhsa_user_sgpr_private_segment_size 0
		.amdhsa_uses_dynamic_stack 0
		.amdhsa_enable_private_segment 0
		.amdhsa_system_sgpr_workgroup_id_x 1
		.amdhsa_system_sgpr_workgroup_id_y 0
		.amdhsa_system_sgpr_workgroup_id_z 0
		.amdhsa_system_sgpr_workgroup_info 0
		.amdhsa_system_vgpr_workitem_id 0
		.amdhsa_next_free_vgpr 1
		.amdhsa_next_free_sgpr 0
		.amdhsa_accum_offset 4
		.amdhsa_reserve_vcc 0
		.amdhsa_float_round_mode_32 0
		.amdhsa_float_round_mode_16_64 0
		.amdhsa_float_denorm_mode_32 3
		.amdhsa_float_denorm_mode_16_64 3
		.amdhsa_dx10_clamp 1
		.amdhsa_ieee_mode 1
		.amdhsa_fp16_overflow 0
		.amdhsa_tg_split 0
		.amdhsa_exception_fp_ieee_invalid_op 0
		.amdhsa_exception_fp_denorm_src 0
		.amdhsa_exception_fp_ieee_div_zero 0
		.amdhsa_exception_fp_ieee_overflow 0
		.amdhsa_exception_fp_ieee_underflow 0
		.amdhsa_exception_fp_ieee_inexact 0
		.amdhsa_exception_int_div_zero 0
	.end_amdhsa_kernel
	.section	.text._ZN7rocprim17ROCPRIM_400000_NS6detail17trampoline_kernelINS0_14default_configENS1_35adjacent_difference_config_selectorILb0ElEEZNS1_24adjacent_difference_implIS3_Lb0ELb0EPlS7_ZN2at6native12_GLOBAL__N_124unique_dim_cuda_templateIN3c104HalfEEESt5tupleIJNS8_6TensorESF_SF_EERKSF_lbbbEUlllE1_EE10hipError_tPvRmT2_T3_mT4_P12ihipStream_tbEUlT_E_NS1_11comp_targetILNS1_3genE9ELNS1_11target_archE1100ELNS1_3gpuE3ELNS1_3repE0EEENS1_30default_config_static_selectorELNS0_4arch9wavefront6targetE1EEEvT1_,"axG",@progbits,_ZN7rocprim17ROCPRIM_400000_NS6detail17trampoline_kernelINS0_14default_configENS1_35adjacent_difference_config_selectorILb0ElEEZNS1_24adjacent_difference_implIS3_Lb0ELb0EPlS7_ZN2at6native12_GLOBAL__N_124unique_dim_cuda_templateIN3c104HalfEEESt5tupleIJNS8_6TensorESF_SF_EERKSF_lbbbEUlllE1_EE10hipError_tPvRmT2_T3_mT4_P12ihipStream_tbEUlT_E_NS1_11comp_targetILNS1_3genE9ELNS1_11target_archE1100ELNS1_3gpuE3ELNS1_3repE0EEENS1_30default_config_static_selectorELNS0_4arch9wavefront6targetE1EEEvT1_,comdat
.Lfunc_end1286:
	.size	_ZN7rocprim17ROCPRIM_400000_NS6detail17trampoline_kernelINS0_14default_configENS1_35adjacent_difference_config_selectorILb0ElEEZNS1_24adjacent_difference_implIS3_Lb0ELb0EPlS7_ZN2at6native12_GLOBAL__N_124unique_dim_cuda_templateIN3c104HalfEEESt5tupleIJNS8_6TensorESF_SF_EERKSF_lbbbEUlllE1_EE10hipError_tPvRmT2_T3_mT4_P12ihipStream_tbEUlT_E_NS1_11comp_targetILNS1_3genE9ELNS1_11target_archE1100ELNS1_3gpuE3ELNS1_3repE0EEENS1_30default_config_static_selectorELNS0_4arch9wavefront6targetE1EEEvT1_, .Lfunc_end1286-_ZN7rocprim17ROCPRIM_400000_NS6detail17trampoline_kernelINS0_14default_configENS1_35adjacent_difference_config_selectorILb0ElEEZNS1_24adjacent_difference_implIS3_Lb0ELb0EPlS7_ZN2at6native12_GLOBAL__N_124unique_dim_cuda_templateIN3c104HalfEEESt5tupleIJNS8_6TensorESF_SF_EERKSF_lbbbEUlllE1_EE10hipError_tPvRmT2_T3_mT4_P12ihipStream_tbEUlT_E_NS1_11comp_targetILNS1_3genE9ELNS1_11target_archE1100ELNS1_3gpuE3ELNS1_3repE0EEENS1_30default_config_static_selectorELNS0_4arch9wavefront6targetE1EEEvT1_
                                        ; -- End function
	.section	.AMDGPU.csdata,"",@progbits
; Kernel info:
; codeLenInByte = 0
; NumSgprs: 6
; NumVgprs: 0
; NumAgprs: 0
; TotalNumVgprs: 0
; ScratchSize: 0
; MemoryBound: 0
; FloatMode: 240
; IeeeMode: 1
; LDSByteSize: 0 bytes/workgroup (compile time only)
; SGPRBlocks: 0
; VGPRBlocks: 0
; NumSGPRsForWavesPerEU: 6
; NumVGPRsForWavesPerEU: 1
; AccumOffset: 4
; Occupancy: 8
; WaveLimiterHint : 0
; COMPUTE_PGM_RSRC2:SCRATCH_EN: 0
; COMPUTE_PGM_RSRC2:USER_SGPR: 2
; COMPUTE_PGM_RSRC2:TRAP_HANDLER: 0
; COMPUTE_PGM_RSRC2:TGID_X_EN: 1
; COMPUTE_PGM_RSRC2:TGID_Y_EN: 0
; COMPUTE_PGM_RSRC2:TGID_Z_EN: 0
; COMPUTE_PGM_RSRC2:TIDIG_COMP_CNT: 0
; COMPUTE_PGM_RSRC3_GFX90A:ACCUM_OFFSET: 0
; COMPUTE_PGM_RSRC3_GFX90A:TG_SPLIT: 0
	.section	.text._ZN7rocprim17ROCPRIM_400000_NS6detail17trampoline_kernelINS0_14default_configENS1_35adjacent_difference_config_selectorILb0ElEEZNS1_24adjacent_difference_implIS3_Lb0ELb0EPlS7_ZN2at6native12_GLOBAL__N_124unique_dim_cuda_templateIN3c104HalfEEESt5tupleIJNS8_6TensorESF_SF_EERKSF_lbbbEUlllE1_EE10hipError_tPvRmT2_T3_mT4_P12ihipStream_tbEUlT_E_NS1_11comp_targetILNS1_3genE8ELNS1_11target_archE1030ELNS1_3gpuE2ELNS1_3repE0EEENS1_30default_config_static_selectorELNS0_4arch9wavefront6targetE1EEEvT1_,"axG",@progbits,_ZN7rocprim17ROCPRIM_400000_NS6detail17trampoline_kernelINS0_14default_configENS1_35adjacent_difference_config_selectorILb0ElEEZNS1_24adjacent_difference_implIS3_Lb0ELb0EPlS7_ZN2at6native12_GLOBAL__N_124unique_dim_cuda_templateIN3c104HalfEEESt5tupleIJNS8_6TensorESF_SF_EERKSF_lbbbEUlllE1_EE10hipError_tPvRmT2_T3_mT4_P12ihipStream_tbEUlT_E_NS1_11comp_targetILNS1_3genE8ELNS1_11target_archE1030ELNS1_3gpuE2ELNS1_3repE0EEENS1_30default_config_static_selectorELNS0_4arch9wavefront6targetE1EEEvT1_,comdat
	.globl	_ZN7rocprim17ROCPRIM_400000_NS6detail17trampoline_kernelINS0_14default_configENS1_35adjacent_difference_config_selectorILb0ElEEZNS1_24adjacent_difference_implIS3_Lb0ELb0EPlS7_ZN2at6native12_GLOBAL__N_124unique_dim_cuda_templateIN3c104HalfEEESt5tupleIJNS8_6TensorESF_SF_EERKSF_lbbbEUlllE1_EE10hipError_tPvRmT2_T3_mT4_P12ihipStream_tbEUlT_E_NS1_11comp_targetILNS1_3genE8ELNS1_11target_archE1030ELNS1_3gpuE2ELNS1_3repE0EEENS1_30default_config_static_selectorELNS0_4arch9wavefront6targetE1EEEvT1_ ; -- Begin function _ZN7rocprim17ROCPRIM_400000_NS6detail17trampoline_kernelINS0_14default_configENS1_35adjacent_difference_config_selectorILb0ElEEZNS1_24adjacent_difference_implIS3_Lb0ELb0EPlS7_ZN2at6native12_GLOBAL__N_124unique_dim_cuda_templateIN3c104HalfEEESt5tupleIJNS8_6TensorESF_SF_EERKSF_lbbbEUlllE1_EE10hipError_tPvRmT2_T3_mT4_P12ihipStream_tbEUlT_E_NS1_11comp_targetILNS1_3genE8ELNS1_11target_archE1030ELNS1_3gpuE2ELNS1_3repE0EEENS1_30default_config_static_selectorELNS0_4arch9wavefront6targetE1EEEvT1_
	.p2align	8
	.type	_ZN7rocprim17ROCPRIM_400000_NS6detail17trampoline_kernelINS0_14default_configENS1_35adjacent_difference_config_selectorILb0ElEEZNS1_24adjacent_difference_implIS3_Lb0ELb0EPlS7_ZN2at6native12_GLOBAL__N_124unique_dim_cuda_templateIN3c104HalfEEESt5tupleIJNS8_6TensorESF_SF_EERKSF_lbbbEUlllE1_EE10hipError_tPvRmT2_T3_mT4_P12ihipStream_tbEUlT_E_NS1_11comp_targetILNS1_3genE8ELNS1_11target_archE1030ELNS1_3gpuE2ELNS1_3repE0EEENS1_30default_config_static_selectorELNS0_4arch9wavefront6targetE1EEEvT1_,@function
_ZN7rocprim17ROCPRIM_400000_NS6detail17trampoline_kernelINS0_14default_configENS1_35adjacent_difference_config_selectorILb0ElEEZNS1_24adjacent_difference_implIS3_Lb0ELb0EPlS7_ZN2at6native12_GLOBAL__N_124unique_dim_cuda_templateIN3c104HalfEEESt5tupleIJNS8_6TensorESF_SF_EERKSF_lbbbEUlllE1_EE10hipError_tPvRmT2_T3_mT4_P12ihipStream_tbEUlT_E_NS1_11comp_targetILNS1_3genE8ELNS1_11target_archE1030ELNS1_3gpuE2ELNS1_3repE0EEENS1_30default_config_static_selectorELNS0_4arch9wavefront6targetE1EEEvT1_: ; @_ZN7rocprim17ROCPRIM_400000_NS6detail17trampoline_kernelINS0_14default_configENS1_35adjacent_difference_config_selectorILb0ElEEZNS1_24adjacent_difference_implIS3_Lb0ELb0EPlS7_ZN2at6native12_GLOBAL__N_124unique_dim_cuda_templateIN3c104HalfEEESt5tupleIJNS8_6TensorESF_SF_EERKSF_lbbbEUlllE1_EE10hipError_tPvRmT2_T3_mT4_P12ihipStream_tbEUlT_E_NS1_11comp_targetILNS1_3genE8ELNS1_11target_archE1030ELNS1_3gpuE2ELNS1_3repE0EEENS1_30default_config_static_selectorELNS0_4arch9wavefront6targetE1EEEvT1_
; %bb.0:
	.section	.rodata,"a",@progbits
	.p2align	6, 0x0
	.amdhsa_kernel _ZN7rocprim17ROCPRIM_400000_NS6detail17trampoline_kernelINS0_14default_configENS1_35adjacent_difference_config_selectorILb0ElEEZNS1_24adjacent_difference_implIS3_Lb0ELb0EPlS7_ZN2at6native12_GLOBAL__N_124unique_dim_cuda_templateIN3c104HalfEEESt5tupleIJNS8_6TensorESF_SF_EERKSF_lbbbEUlllE1_EE10hipError_tPvRmT2_T3_mT4_P12ihipStream_tbEUlT_E_NS1_11comp_targetILNS1_3genE8ELNS1_11target_archE1030ELNS1_3gpuE2ELNS1_3repE0EEENS1_30default_config_static_selectorELNS0_4arch9wavefront6targetE1EEEvT1_
		.amdhsa_group_segment_fixed_size 0
		.amdhsa_private_segment_fixed_size 0
		.amdhsa_kernarg_size 64
		.amdhsa_user_sgpr_count 2
		.amdhsa_user_sgpr_dispatch_ptr 0
		.amdhsa_user_sgpr_queue_ptr 0
		.amdhsa_user_sgpr_kernarg_segment_ptr 1
		.amdhsa_user_sgpr_dispatch_id 0
		.amdhsa_user_sgpr_kernarg_preload_length 0
		.amdhsa_user_sgpr_kernarg_preload_offset 0
		.amdhsa_user_sgpr_private_segment_size 0
		.amdhsa_uses_dynamic_stack 0
		.amdhsa_enable_private_segment 0
		.amdhsa_system_sgpr_workgroup_id_x 1
		.amdhsa_system_sgpr_workgroup_id_y 0
		.amdhsa_system_sgpr_workgroup_id_z 0
		.amdhsa_system_sgpr_workgroup_info 0
		.amdhsa_system_vgpr_workitem_id 0
		.amdhsa_next_free_vgpr 1
		.amdhsa_next_free_sgpr 0
		.amdhsa_accum_offset 4
		.amdhsa_reserve_vcc 0
		.amdhsa_float_round_mode_32 0
		.amdhsa_float_round_mode_16_64 0
		.amdhsa_float_denorm_mode_32 3
		.amdhsa_float_denorm_mode_16_64 3
		.amdhsa_dx10_clamp 1
		.amdhsa_ieee_mode 1
		.amdhsa_fp16_overflow 0
		.amdhsa_tg_split 0
		.amdhsa_exception_fp_ieee_invalid_op 0
		.amdhsa_exception_fp_denorm_src 0
		.amdhsa_exception_fp_ieee_div_zero 0
		.amdhsa_exception_fp_ieee_overflow 0
		.amdhsa_exception_fp_ieee_underflow 0
		.amdhsa_exception_fp_ieee_inexact 0
		.amdhsa_exception_int_div_zero 0
	.end_amdhsa_kernel
	.section	.text._ZN7rocprim17ROCPRIM_400000_NS6detail17trampoline_kernelINS0_14default_configENS1_35adjacent_difference_config_selectorILb0ElEEZNS1_24adjacent_difference_implIS3_Lb0ELb0EPlS7_ZN2at6native12_GLOBAL__N_124unique_dim_cuda_templateIN3c104HalfEEESt5tupleIJNS8_6TensorESF_SF_EERKSF_lbbbEUlllE1_EE10hipError_tPvRmT2_T3_mT4_P12ihipStream_tbEUlT_E_NS1_11comp_targetILNS1_3genE8ELNS1_11target_archE1030ELNS1_3gpuE2ELNS1_3repE0EEENS1_30default_config_static_selectorELNS0_4arch9wavefront6targetE1EEEvT1_,"axG",@progbits,_ZN7rocprim17ROCPRIM_400000_NS6detail17trampoline_kernelINS0_14default_configENS1_35adjacent_difference_config_selectorILb0ElEEZNS1_24adjacent_difference_implIS3_Lb0ELb0EPlS7_ZN2at6native12_GLOBAL__N_124unique_dim_cuda_templateIN3c104HalfEEESt5tupleIJNS8_6TensorESF_SF_EERKSF_lbbbEUlllE1_EE10hipError_tPvRmT2_T3_mT4_P12ihipStream_tbEUlT_E_NS1_11comp_targetILNS1_3genE8ELNS1_11target_archE1030ELNS1_3gpuE2ELNS1_3repE0EEENS1_30default_config_static_selectorELNS0_4arch9wavefront6targetE1EEEvT1_,comdat
.Lfunc_end1287:
	.size	_ZN7rocprim17ROCPRIM_400000_NS6detail17trampoline_kernelINS0_14default_configENS1_35adjacent_difference_config_selectorILb0ElEEZNS1_24adjacent_difference_implIS3_Lb0ELb0EPlS7_ZN2at6native12_GLOBAL__N_124unique_dim_cuda_templateIN3c104HalfEEESt5tupleIJNS8_6TensorESF_SF_EERKSF_lbbbEUlllE1_EE10hipError_tPvRmT2_T3_mT4_P12ihipStream_tbEUlT_E_NS1_11comp_targetILNS1_3genE8ELNS1_11target_archE1030ELNS1_3gpuE2ELNS1_3repE0EEENS1_30default_config_static_selectorELNS0_4arch9wavefront6targetE1EEEvT1_, .Lfunc_end1287-_ZN7rocprim17ROCPRIM_400000_NS6detail17trampoline_kernelINS0_14default_configENS1_35adjacent_difference_config_selectorILb0ElEEZNS1_24adjacent_difference_implIS3_Lb0ELb0EPlS7_ZN2at6native12_GLOBAL__N_124unique_dim_cuda_templateIN3c104HalfEEESt5tupleIJNS8_6TensorESF_SF_EERKSF_lbbbEUlllE1_EE10hipError_tPvRmT2_T3_mT4_P12ihipStream_tbEUlT_E_NS1_11comp_targetILNS1_3genE8ELNS1_11target_archE1030ELNS1_3gpuE2ELNS1_3repE0EEENS1_30default_config_static_selectorELNS0_4arch9wavefront6targetE1EEEvT1_
                                        ; -- End function
	.section	.AMDGPU.csdata,"",@progbits
; Kernel info:
; codeLenInByte = 0
; NumSgprs: 6
; NumVgprs: 0
; NumAgprs: 0
; TotalNumVgprs: 0
; ScratchSize: 0
; MemoryBound: 0
; FloatMode: 240
; IeeeMode: 1
; LDSByteSize: 0 bytes/workgroup (compile time only)
; SGPRBlocks: 0
; VGPRBlocks: 0
; NumSGPRsForWavesPerEU: 6
; NumVGPRsForWavesPerEU: 1
; AccumOffset: 4
; Occupancy: 8
; WaveLimiterHint : 0
; COMPUTE_PGM_RSRC2:SCRATCH_EN: 0
; COMPUTE_PGM_RSRC2:USER_SGPR: 2
; COMPUTE_PGM_RSRC2:TRAP_HANDLER: 0
; COMPUTE_PGM_RSRC2:TGID_X_EN: 1
; COMPUTE_PGM_RSRC2:TGID_Y_EN: 0
; COMPUTE_PGM_RSRC2:TGID_Z_EN: 0
; COMPUTE_PGM_RSRC2:TIDIG_COMP_CNT: 0
; COMPUTE_PGM_RSRC3_GFX90A:ACCUM_OFFSET: 0
; COMPUTE_PGM_RSRC3_GFX90A:TG_SPLIT: 0
	.section	.text._ZN7rocprim17ROCPRIM_400000_NS6detail17trampoline_kernelINS0_14default_configENS1_25transform_config_selectorIlLb0EEEZNS1_14transform_implILb0ES3_S5_NS0_18transform_iteratorINS0_17counting_iteratorImlEEZNS1_24adjacent_difference_implIS3_Lb1ELb0EPlSB_ZN2at6native12_GLOBAL__N_124unique_dim_cuda_templateIN3c104HalfEEESt5tupleIJNSC_6TensorESJ_SJ_EERKSJ_lbbbEUlllE1_EE10hipError_tPvRmT2_T3_mT4_P12ihipStream_tbEUlmE_lEESB_NS0_8identityIvEEEESO_SR_SS_mST_SV_bEUlT_E_NS1_11comp_targetILNS1_3genE0ELNS1_11target_archE4294967295ELNS1_3gpuE0ELNS1_3repE0EEENS1_30default_config_static_selectorELNS0_4arch9wavefront6targetE1EEEvT1_,"axG",@progbits,_ZN7rocprim17ROCPRIM_400000_NS6detail17trampoline_kernelINS0_14default_configENS1_25transform_config_selectorIlLb0EEEZNS1_14transform_implILb0ES3_S5_NS0_18transform_iteratorINS0_17counting_iteratorImlEEZNS1_24adjacent_difference_implIS3_Lb1ELb0EPlSB_ZN2at6native12_GLOBAL__N_124unique_dim_cuda_templateIN3c104HalfEEESt5tupleIJNSC_6TensorESJ_SJ_EERKSJ_lbbbEUlllE1_EE10hipError_tPvRmT2_T3_mT4_P12ihipStream_tbEUlmE_lEESB_NS0_8identityIvEEEESO_SR_SS_mST_SV_bEUlT_E_NS1_11comp_targetILNS1_3genE0ELNS1_11target_archE4294967295ELNS1_3gpuE0ELNS1_3repE0EEENS1_30default_config_static_selectorELNS0_4arch9wavefront6targetE1EEEvT1_,comdat
	.globl	_ZN7rocprim17ROCPRIM_400000_NS6detail17trampoline_kernelINS0_14default_configENS1_25transform_config_selectorIlLb0EEEZNS1_14transform_implILb0ES3_S5_NS0_18transform_iteratorINS0_17counting_iteratorImlEEZNS1_24adjacent_difference_implIS3_Lb1ELb0EPlSB_ZN2at6native12_GLOBAL__N_124unique_dim_cuda_templateIN3c104HalfEEESt5tupleIJNSC_6TensorESJ_SJ_EERKSJ_lbbbEUlllE1_EE10hipError_tPvRmT2_T3_mT4_P12ihipStream_tbEUlmE_lEESB_NS0_8identityIvEEEESO_SR_SS_mST_SV_bEUlT_E_NS1_11comp_targetILNS1_3genE0ELNS1_11target_archE4294967295ELNS1_3gpuE0ELNS1_3repE0EEENS1_30default_config_static_selectorELNS0_4arch9wavefront6targetE1EEEvT1_ ; -- Begin function _ZN7rocprim17ROCPRIM_400000_NS6detail17trampoline_kernelINS0_14default_configENS1_25transform_config_selectorIlLb0EEEZNS1_14transform_implILb0ES3_S5_NS0_18transform_iteratorINS0_17counting_iteratorImlEEZNS1_24adjacent_difference_implIS3_Lb1ELb0EPlSB_ZN2at6native12_GLOBAL__N_124unique_dim_cuda_templateIN3c104HalfEEESt5tupleIJNSC_6TensorESJ_SJ_EERKSJ_lbbbEUlllE1_EE10hipError_tPvRmT2_T3_mT4_P12ihipStream_tbEUlmE_lEESB_NS0_8identityIvEEEESO_SR_SS_mST_SV_bEUlT_E_NS1_11comp_targetILNS1_3genE0ELNS1_11target_archE4294967295ELNS1_3gpuE0ELNS1_3repE0EEENS1_30default_config_static_selectorELNS0_4arch9wavefront6targetE1EEEvT1_
	.p2align	8
	.type	_ZN7rocprim17ROCPRIM_400000_NS6detail17trampoline_kernelINS0_14default_configENS1_25transform_config_selectorIlLb0EEEZNS1_14transform_implILb0ES3_S5_NS0_18transform_iteratorINS0_17counting_iteratorImlEEZNS1_24adjacent_difference_implIS3_Lb1ELb0EPlSB_ZN2at6native12_GLOBAL__N_124unique_dim_cuda_templateIN3c104HalfEEESt5tupleIJNSC_6TensorESJ_SJ_EERKSJ_lbbbEUlllE1_EE10hipError_tPvRmT2_T3_mT4_P12ihipStream_tbEUlmE_lEESB_NS0_8identityIvEEEESO_SR_SS_mST_SV_bEUlT_E_NS1_11comp_targetILNS1_3genE0ELNS1_11target_archE4294967295ELNS1_3gpuE0ELNS1_3repE0EEENS1_30default_config_static_selectorELNS0_4arch9wavefront6targetE1EEEvT1_,@function
_ZN7rocprim17ROCPRIM_400000_NS6detail17trampoline_kernelINS0_14default_configENS1_25transform_config_selectorIlLb0EEEZNS1_14transform_implILb0ES3_S5_NS0_18transform_iteratorINS0_17counting_iteratorImlEEZNS1_24adjacent_difference_implIS3_Lb1ELb0EPlSB_ZN2at6native12_GLOBAL__N_124unique_dim_cuda_templateIN3c104HalfEEESt5tupleIJNSC_6TensorESJ_SJ_EERKSJ_lbbbEUlllE1_EE10hipError_tPvRmT2_T3_mT4_P12ihipStream_tbEUlmE_lEESB_NS0_8identityIvEEEESO_SR_SS_mST_SV_bEUlT_E_NS1_11comp_targetILNS1_3genE0ELNS1_11target_archE4294967295ELNS1_3gpuE0ELNS1_3repE0EEENS1_30default_config_static_selectorELNS0_4arch9wavefront6targetE1EEEvT1_: ; @_ZN7rocprim17ROCPRIM_400000_NS6detail17trampoline_kernelINS0_14default_configENS1_25transform_config_selectorIlLb0EEEZNS1_14transform_implILb0ES3_S5_NS0_18transform_iteratorINS0_17counting_iteratorImlEEZNS1_24adjacent_difference_implIS3_Lb1ELb0EPlSB_ZN2at6native12_GLOBAL__N_124unique_dim_cuda_templateIN3c104HalfEEESt5tupleIJNSC_6TensorESJ_SJ_EERKSJ_lbbbEUlllE1_EE10hipError_tPvRmT2_T3_mT4_P12ihipStream_tbEUlmE_lEESB_NS0_8identityIvEEEESO_SR_SS_mST_SV_bEUlT_E_NS1_11comp_targetILNS1_3genE0ELNS1_11target_archE4294967295ELNS1_3gpuE0ELNS1_3repE0EEENS1_30default_config_static_selectorELNS0_4arch9wavefront6targetE1EEEvT1_
; %bb.0:
	.section	.rodata,"a",@progbits
	.p2align	6, 0x0
	.amdhsa_kernel _ZN7rocprim17ROCPRIM_400000_NS6detail17trampoline_kernelINS0_14default_configENS1_25transform_config_selectorIlLb0EEEZNS1_14transform_implILb0ES3_S5_NS0_18transform_iteratorINS0_17counting_iteratorImlEEZNS1_24adjacent_difference_implIS3_Lb1ELb0EPlSB_ZN2at6native12_GLOBAL__N_124unique_dim_cuda_templateIN3c104HalfEEESt5tupleIJNSC_6TensorESJ_SJ_EERKSJ_lbbbEUlllE1_EE10hipError_tPvRmT2_T3_mT4_P12ihipStream_tbEUlmE_lEESB_NS0_8identityIvEEEESO_SR_SS_mST_SV_bEUlT_E_NS1_11comp_targetILNS1_3genE0ELNS1_11target_archE4294967295ELNS1_3gpuE0ELNS1_3repE0EEENS1_30default_config_static_selectorELNS0_4arch9wavefront6targetE1EEEvT1_
		.amdhsa_group_segment_fixed_size 0
		.amdhsa_private_segment_fixed_size 0
		.amdhsa_kernarg_size 56
		.amdhsa_user_sgpr_count 2
		.amdhsa_user_sgpr_dispatch_ptr 0
		.amdhsa_user_sgpr_queue_ptr 0
		.amdhsa_user_sgpr_kernarg_segment_ptr 1
		.amdhsa_user_sgpr_dispatch_id 0
		.amdhsa_user_sgpr_kernarg_preload_length 0
		.amdhsa_user_sgpr_kernarg_preload_offset 0
		.amdhsa_user_sgpr_private_segment_size 0
		.amdhsa_uses_dynamic_stack 0
		.amdhsa_enable_private_segment 0
		.amdhsa_system_sgpr_workgroup_id_x 1
		.amdhsa_system_sgpr_workgroup_id_y 0
		.amdhsa_system_sgpr_workgroup_id_z 0
		.amdhsa_system_sgpr_workgroup_info 0
		.amdhsa_system_vgpr_workitem_id 0
		.amdhsa_next_free_vgpr 1
		.amdhsa_next_free_sgpr 0
		.amdhsa_accum_offset 4
		.amdhsa_reserve_vcc 0
		.amdhsa_float_round_mode_32 0
		.amdhsa_float_round_mode_16_64 0
		.amdhsa_float_denorm_mode_32 3
		.amdhsa_float_denorm_mode_16_64 3
		.amdhsa_dx10_clamp 1
		.amdhsa_ieee_mode 1
		.amdhsa_fp16_overflow 0
		.amdhsa_tg_split 0
		.amdhsa_exception_fp_ieee_invalid_op 0
		.amdhsa_exception_fp_denorm_src 0
		.amdhsa_exception_fp_ieee_div_zero 0
		.amdhsa_exception_fp_ieee_overflow 0
		.amdhsa_exception_fp_ieee_underflow 0
		.amdhsa_exception_fp_ieee_inexact 0
		.amdhsa_exception_int_div_zero 0
	.end_amdhsa_kernel
	.section	.text._ZN7rocprim17ROCPRIM_400000_NS6detail17trampoline_kernelINS0_14default_configENS1_25transform_config_selectorIlLb0EEEZNS1_14transform_implILb0ES3_S5_NS0_18transform_iteratorINS0_17counting_iteratorImlEEZNS1_24adjacent_difference_implIS3_Lb1ELb0EPlSB_ZN2at6native12_GLOBAL__N_124unique_dim_cuda_templateIN3c104HalfEEESt5tupleIJNSC_6TensorESJ_SJ_EERKSJ_lbbbEUlllE1_EE10hipError_tPvRmT2_T3_mT4_P12ihipStream_tbEUlmE_lEESB_NS0_8identityIvEEEESO_SR_SS_mST_SV_bEUlT_E_NS1_11comp_targetILNS1_3genE0ELNS1_11target_archE4294967295ELNS1_3gpuE0ELNS1_3repE0EEENS1_30default_config_static_selectorELNS0_4arch9wavefront6targetE1EEEvT1_,"axG",@progbits,_ZN7rocprim17ROCPRIM_400000_NS6detail17trampoline_kernelINS0_14default_configENS1_25transform_config_selectorIlLb0EEEZNS1_14transform_implILb0ES3_S5_NS0_18transform_iteratorINS0_17counting_iteratorImlEEZNS1_24adjacent_difference_implIS3_Lb1ELb0EPlSB_ZN2at6native12_GLOBAL__N_124unique_dim_cuda_templateIN3c104HalfEEESt5tupleIJNSC_6TensorESJ_SJ_EERKSJ_lbbbEUlllE1_EE10hipError_tPvRmT2_T3_mT4_P12ihipStream_tbEUlmE_lEESB_NS0_8identityIvEEEESO_SR_SS_mST_SV_bEUlT_E_NS1_11comp_targetILNS1_3genE0ELNS1_11target_archE4294967295ELNS1_3gpuE0ELNS1_3repE0EEENS1_30default_config_static_selectorELNS0_4arch9wavefront6targetE1EEEvT1_,comdat
.Lfunc_end1288:
	.size	_ZN7rocprim17ROCPRIM_400000_NS6detail17trampoline_kernelINS0_14default_configENS1_25transform_config_selectorIlLb0EEEZNS1_14transform_implILb0ES3_S5_NS0_18transform_iteratorINS0_17counting_iteratorImlEEZNS1_24adjacent_difference_implIS3_Lb1ELb0EPlSB_ZN2at6native12_GLOBAL__N_124unique_dim_cuda_templateIN3c104HalfEEESt5tupleIJNSC_6TensorESJ_SJ_EERKSJ_lbbbEUlllE1_EE10hipError_tPvRmT2_T3_mT4_P12ihipStream_tbEUlmE_lEESB_NS0_8identityIvEEEESO_SR_SS_mST_SV_bEUlT_E_NS1_11comp_targetILNS1_3genE0ELNS1_11target_archE4294967295ELNS1_3gpuE0ELNS1_3repE0EEENS1_30default_config_static_selectorELNS0_4arch9wavefront6targetE1EEEvT1_, .Lfunc_end1288-_ZN7rocprim17ROCPRIM_400000_NS6detail17trampoline_kernelINS0_14default_configENS1_25transform_config_selectorIlLb0EEEZNS1_14transform_implILb0ES3_S5_NS0_18transform_iteratorINS0_17counting_iteratorImlEEZNS1_24adjacent_difference_implIS3_Lb1ELb0EPlSB_ZN2at6native12_GLOBAL__N_124unique_dim_cuda_templateIN3c104HalfEEESt5tupleIJNSC_6TensorESJ_SJ_EERKSJ_lbbbEUlllE1_EE10hipError_tPvRmT2_T3_mT4_P12ihipStream_tbEUlmE_lEESB_NS0_8identityIvEEEESO_SR_SS_mST_SV_bEUlT_E_NS1_11comp_targetILNS1_3genE0ELNS1_11target_archE4294967295ELNS1_3gpuE0ELNS1_3repE0EEENS1_30default_config_static_selectorELNS0_4arch9wavefront6targetE1EEEvT1_
                                        ; -- End function
	.section	.AMDGPU.csdata,"",@progbits
; Kernel info:
; codeLenInByte = 0
; NumSgprs: 6
; NumVgprs: 0
; NumAgprs: 0
; TotalNumVgprs: 0
; ScratchSize: 0
; MemoryBound: 0
; FloatMode: 240
; IeeeMode: 1
; LDSByteSize: 0 bytes/workgroup (compile time only)
; SGPRBlocks: 0
; VGPRBlocks: 0
; NumSGPRsForWavesPerEU: 6
; NumVGPRsForWavesPerEU: 1
; AccumOffset: 4
; Occupancy: 8
; WaveLimiterHint : 0
; COMPUTE_PGM_RSRC2:SCRATCH_EN: 0
; COMPUTE_PGM_RSRC2:USER_SGPR: 2
; COMPUTE_PGM_RSRC2:TRAP_HANDLER: 0
; COMPUTE_PGM_RSRC2:TGID_X_EN: 1
; COMPUTE_PGM_RSRC2:TGID_Y_EN: 0
; COMPUTE_PGM_RSRC2:TGID_Z_EN: 0
; COMPUTE_PGM_RSRC2:TIDIG_COMP_CNT: 0
; COMPUTE_PGM_RSRC3_GFX90A:ACCUM_OFFSET: 0
; COMPUTE_PGM_RSRC3_GFX90A:TG_SPLIT: 0
	.section	.text._ZN7rocprim17ROCPRIM_400000_NS6detail17trampoline_kernelINS0_14default_configENS1_25transform_config_selectorIlLb0EEEZNS1_14transform_implILb0ES3_S5_NS0_18transform_iteratorINS0_17counting_iteratorImlEEZNS1_24adjacent_difference_implIS3_Lb1ELb0EPlSB_ZN2at6native12_GLOBAL__N_124unique_dim_cuda_templateIN3c104HalfEEESt5tupleIJNSC_6TensorESJ_SJ_EERKSJ_lbbbEUlllE1_EE10hipError_tPvRmT2_T3_mT4_P12ihipStream_tbEUlmE_lEESB_NS0_8identityIvEEEESO_SR_SS_mST_SV_bEUlT_E_NS1_11comp_targetILNS1_3genE5ELNS1_11target_archE942ELNS1_3gpuE9ELNS1_3repE0EEENS1_30default_config_static_selectorELNS0_4arch9wavefront6targetE1EEEvT1_,"axG",@progbits,_ZN7rocprim17ROCPRIM_400000_NS6detail17trampoline_kernelINS0_14default_configENS1_25transform_config_selectorIlLb0EEEZNS1_14transform_implILb0ES3_S5_NS0_18transform_iteratorINS0_17counting_iteratorImlEEZNS1_24adjacent_difference_implIS3_Lb1ELb0EPlSB_ZN2at6native12_GLOBAL__N_124unique_dim_cuda_templateIN3c104HalfEEESt5tupleIJNSC_6TensorESJ_SJ_EERKSJ_lbbbEUlllE1_EE10hipError_tPvRmT2_T3_mT4_P12ihipStream_tbEUlmE_lEESB_NS0_8identityIvEEEESO_SR_SS_mST_SV_bEUlT_E_NS1_11comp_targetILNS1_3genE5ELNS1_11target_archE942ELNS1_3gpuE9ELNS1_3repE0EEENS1_30default_config_static_selectorELNS0_4arch9wavefront6targetE1EEEvT1_,comdat
	.globl	_ZN7rocprim17ROCPRIM_400000_NS6detail17trampoline_kernelINS0_14default_configENS1_25transform_config_selectorIlLb0EEEZNS1_14transform_implILb0ES3_S5_NS0_18transform_iteratorINS0_17counting_iteratorImlEEZNS1_24adjacent_difference_implIS3_Lb1ELb0EPlSB_ZN2at6native12_GLOBAL__N_124unique_dim_cuda_templateIN3c104HalfEEESt5tupleIJNSC_6TensorESJ_SJ_EERKSJ_lbbbEUlllE1_EE10hipError_tPvRmT2_T3_mT4_P12ihipStream_tbEUlmE_lEESB_NS0_8identityIvEEEESO_SR_SS_mST_SV_bEUlT_E_NS1_11comp_targetILNS1_3genE5ELNS1_11target_archE942ELNS1_3gpuE9ELNS1_3repE0EEENS1_30default_config_static_selectorELNS0_4arch9wavefront6targetE1EEEvT1_ ; -- Begin function _ZN7rocprim17ROCPRIM_400000_NS6detail17trampoline_kernelINS0_14default_configENS1_25transform_config_selectorIlLb0EEEZNS1_14transform_implILb0ES3_S5_NS0_18transform_iteratorINS0_17counting_iteratorImlEEZNS1_24adjacent_difference_implIS3_Lb1ELb0EPlSB_ZN2at6native12_GLOBAL__N_124unique_dim_cuda_templateIN3c104HalfEEESt5tupleIJNSC_6TensorESJ_SJ_EERKSJ_lbbbEUlllE1_EE10hipError_tPvRmT2_T3_mT4_P12ihipStream_tbEUlmE_lEESB_NS0_8identityIvEEEESO_SR_SS_mST_SV_bEUlT_E_NS1_11comp_targetILNS1_3genE5ELNS1_11target_archE942ELNS1_3gpuE9ELNS1_3repE0EEENS1_30default_config_static_selectorELNS0_4arch9wavefront6targetE1EEEvT1_
	.p2align	8
	.type	_ZN7rocprim17ROCPRIM_400000_NS6detail17trampoline_kernelINS0_14default_configENS1_25transform_config_selectorIlLb0EEEZNS1_14transform_implILb0ES3_S5_NS0_18transform_iteratorINS0_17counting_iteratorImlEEZNS1_24adjacent_difference_implIS3_Lb1ELb0EPlSB_ZN2at6native12_GLOBAL__N_124unique_dim_cuda_templateIN3c104HalfEEESt5tupleIJNSC_6TensorESJ_SJ_EERKSJ_lbbbEUlllE1_EE10hipError_tPvRmT2_T3_mT4_P12ihipStream_tbEUlmE_lEESB_NS0_8identityIvEEEESO_SR_SS_mST_SV_bEUlT_E_NS1_11comp_targetILNS1_3genE5ELNS1_11target_archE942ELNS1_3gpuE9ELNS1_3repE0EEENS1_30default_config_static_selectorELNS0_4arch9wavefront6targetE1EEEvT1_,@function
_ZN7rocprim17ROCPRIM_400000_NS6detail17trampoline_kernelINS0_14default_configENS1_25transform_config_selectorIlLb0EEEZNS1_14transform_implILb0ES3_S5_NS0_18transform_iteratorINS0_17counting_iteratorImlEEZNS1_24adjacent_difference_implIS3_Lb1ELb0EPlSB_ZN2at6native12_GLOBAL__N_124unique_dim_cuda_templateIN3c104HalfEEESt5tupleIJNSC_6TensorESJ_SJ_EERKSJ_lbbbEUlllE1_EE10hipError_tPvRmT2_T3_mT4_P12ihipStream_tbEUlmE_lEESB_NS0_8identityIvEEEESO_SR_SS_mST_SV_bEUlT_E_NS1_11comp_targetILNS1_3genE5ELNS1_11target_archE942ELNS1_3gpuE9ELNS1_3repE0EEENS1_30default_config_static_selectorELNS0_4arch9wavefront6targetE1EEEvT1_: ; @_ZN7rocprim17ROCPRIM_400000_NS6detail17trampoline_kernelINS0_14default_configENS1_25transform_config_selectorIlLb0EEEZNS1_14transform_implILb0ES3_S5_NS0_18transform_iteratorINS0_17counting_iteratorImlEEZNS1_24adjacent_difference_implIS3_Lb1ELb0EPlSB_ZN2at6native12_GLOBAL__N_124unique_dim_cuda_templateIN3c104HalfEEESt5tupleIJNSC_6TensorESJ_SJ_EERKSJ_lbbbEUlllE1_EE10hipError_tPvRmT2_T3_mT4_P12ihipStream_tbEUlmE_lEESB_NS0_8identityIvEEEESO_SR_SS_mST_SV_bEUlT_E_NS1_11comp_targetILNS1_3genE5ELNS1_11target_archE942ELNS1_3gpuE9ELNS1_3repE0EEENS1_30default_config_static_selectorELNS0_4arch9wavefront6targetE1EEEvT1_
; %bb.0:
	s_load_dwordx4 s[8:11], s[0:1], 0x18
	s_load_dwordx2 s[12:13], s[0:1], 0x28
	s_load_dwordx4 s[4:7], s[0:1], 0x0
	s_load_dword s14, s[0:1], 0x10
	s_load_dword s3, s[0:1], 0x38
	s_waitcnt lgkmcnt(0)
	s_lshl_b64 s[0:1], s[8:9], 3
	s_add_u32 s11, s12, s0
	s_addc_u32 s16, s13, s1
	s_lshl_b32 s12, s2, 10
	s_add_i32 s3, s3, -1
	s_add_u32 s0, s4, s12
	s_addc_u32 s1, s5, 0
	s_add_u32 s4, s0, s8
	s_addc_u32 s5, s1, s9
	s_mov_b32 s13, 0
	s_cmp_lg_u32 s2, s3
	v_lshlrev_b32_e32 v6, 3, v0
	s_cbranch_scc0 .LBB1289_2
; %bb.1:
	v_mov_b32_e32 v1, 0
	v_lshl_add_u64 v[2:3], s[4:5], 0, v[0:1]
	v_mad_u64_u32 v[4:5], s[0:1], v2, s14, 0
	v_mov_b32_e32 v2, v5
	v_mad_u64_u32 v[2:3], s[0:1], v3, s14, v[2:3]
	s_mov_b32 s15, s13
	v_mov_b32_e32 v5, v2
	v_lshl_add_u64 v[2:3], v[4:5], 3, s[6:7]
	s_lshl_b64 s[0:1], s[14:15], 12
	global_load_dwordx2 v[10:11], v[2:3], off
	v_lshl_add_u64 v[2:3], v[2:3], 0, s[0:1]
	global_load_dwordx2 v[4:5], v[2:3], off
	s_lshl_b64 s[2:3], s[12:13], 3
	s_add_u32 s2, s11, s2
	v_mov_b32_e32 v7, v1
	s_addc_u32 s3, s16, s3
	v_lshl_add_u64 v[8:9], s[2:3], 0, v[6:7]
	s_waitcnt vmcnt(1)
	global_store_dwordx2 v6, v[10:11], s[2:3]
	s_mov_b64 s[2:3], -1
	s_cbranch_execz .LBB1289_3
	s_branch .LBB1289_12
.LBB1289_2:
	s_mov_b64 s[2:3], 0
                                        ; implicit-def: $vgpr4_vgpr5
                                        ; implicit-def: $vgpr8_vgpr9
.LBB1289_3:
	s_sub_i32 s8, s10, s12
	v_cmp_gt_u32_e32 vcc, s8, v0
                                        ; implicit-def: $vgpr2_vgpr3_vgpr4_vgpr5
	s_and_saveexec_b64 s[0:1], vcc
	s_cbranch_execz .LBB1289_5
; %bb.4:
	v_mov_b32_e32 v1, 0
	v_lshl_add_u64 v[2:3], s[4:5], 0, v[0:1]
	s_waitcnt vmcnt(1)
	v_mad_u64_u32 v[4:5], s[18:19], v2, s14, 0
	v_mov_b32_e32 v2, v5
	v_mad_u64_u32 v[2:3], s[18:19], v3, s14, v[2:3]
	v_mov_b32_e32 v5, v2
	v_lshl_add_u64 v[2:3], v[4:5], 3, s[6:7]
	global_load_dwordx2 v[2:3], v[2:3], off
.LBB1289_5:
	s_or_b64 exec, exec, s[0:1]
	v_or_b32_e32 v0, 0x200, v0
	v_cmp_gt_u32_e64 s[0:1], s8, v0
	s_and_saveexec_b64 s[8:9], s[0:1]
	s_cbranch_execz .LBB1289_7
; %bb.6:
	v_mov_b32_e32 v1, 0
	v_lshl_add_u64 v[0:1], s[4:5], 0, v[0:1]
	s_waitcnt vmcnt(1)
	v_mad_u64_u32 v[4:5], s[4:5], v0, s14, 0
	v_mov_b32_e32 v0, v5
	v_mad_u64_u32 v[0:1], s[4:5], v1, s14, v[0:1]
	v_mov_b32_e32 v5, v0
	v_lshl_add_u64 v[0:1], v[4:5], 3, s[6:7]
	global_load_dwordx2 v[4:5], v[0:1], off
.LBB1289_7:
	s_or_b64 exec, exec, s[8:9]
	s_lshl_b64 s[4:5], s[12:13], 3
	s_add_u32 s4, s11, s4
	s_addc_u32 s5, s16, s5
	v_mov_b32_e32 v7, 0
	v_lshl_add_u64 v[8:9], s[4:5], 0, v[6:7]
	s_and_saveexec_b64 s[4:5], vcc
	s_cbranch_execz .LBB1289_9
; %bb.8:
	s_waitcnt vmcnt(0)
	global_store_dwordx2 v[8:9], v[2:3], off
.LBB1289_9:
	s_or_b64 exec, exec, s[4:5]
	s_and_saveexec_b64 s[4:5], s[0:1]
; %bb.10:
	s_or_b64 s[2:3], s[2:3], exec
; %bb.11:
	s_or_b64 exec, exec, s[4:5]
.LBB1289_12:
	s_and_saveexec_b64 s[0:1], s[2:3]
	s_cbranch_execnz .LBB1289_14
; %bb.13:
	s_endpgm
.LBB1289_14:
	v_add_co_u32_e32 v0, vcc, 0x1000, v8
	s_nop 1
	v_addc_co_u32_e32 v1, vcc, 0, v9, vcc
	s_waitcnt vmcnt(0)
	global_store_dwordx2 v[0:1], v[4:5], off
	s_endpgm
	.section	.rodata,"a",@progbits
	.p2align	6, 0x0
	.amdhsa_kernel _ZN7rocprim17ROCPRIM_400000_NS6detail17trampoline_kernelINS0_14default_configENS1_25transform_config_selectorIlLb0EEEZNS1_14transform_implILb0ES3_S5_NS0_18transform_iteratorINS0_17counting_iteratorImlEEZNS1_24adjacent_difference_implIS3_Lb1ELb0EPlSB_ZN2at6native12_GLOBAL__N_124unique_dim_cuda_templateIN3c104HalfEEESt5tupleIJNSC_6TensorESJ_SJ_EERKSJ_lbbbEUlllE1_EE10hipError_tPvRmT2_T3_mT4_P12ihipStream_tbEUlmE_lEESB_NS0_8identityIvEEEESO_SR_SS_mST_SV_bEUlT_E_NS1_11comp_targetILNS1_3genE5ELNS1_11target_archE942ELNS1_3gpuE9ELNS1_3repE0EEENS1_30default_config_static_selectorELNS0_4arch9wavefront6targetE1EEEvT1_
		.amdhsa_group_segment_fixed_size 0
		.amdhsa_private_segment_fixed_size 0
		.amdhsa_kernarg_size 312
		.amdhsa_user_sgpr_count 2
		.amdhsa_user_sgpr_dispatch_ptr 0
		.amdhsa_user_sgpr_queue_ptr 0
		.amdhsa_user_sgpr_kernarg_segment_ptr 1
		.amdhsa_user_sgpr_dispatch_id 0
		.amdhsa_user_sgpr_kernarg_preload_length 0
		.amdhsa_user_sgpr_kernarg_preload_offset 0
		.amdhsa_user_sgpr_private_segment_size 0
		.amdhsa_uses_dynamic_stack 0
		.amdhsa_enable_private_segment 0
		.amdhsa_system_sgpr_workgroup_id_x 1
		.amdhsa_system_sgpr_workgroup_id_y 0
		.amdhsa_system_sgpr_workgroup_id_z 0
		.amdhsa_system_sgpr_workgroup_info 0
		.amdhsa_system_vgpr_workitem_id 0
		.amdhsa_next_free_vgpr 12
		.amdhsa_next_free_sgpr 20
		.amdhsa_accum_offset 12
		.amdhsa_reserve_vcc 1
		.amdhsa_float_round_mode_32 0
		.amdhsa_float_round_mode_16_64 0
		.amdhsa_float_denorm_mode_32 3
		.amdhsa_float_denorm_mode_16_64 3
		.amdhsa_dx10_clamp 1
		.amdhsa_ieee_mode 1
		.amdhsa_fp16_overflow 0
		.amdhsa_tg_split 0
		.amdhsa_exception_fp_ieee_invalid_op 0
		.amdhsa_exception_fp_denorm_src 0
		.amdhsa_exception_fp_ieee_div_zero 0
		.amdhsa_exception_fp_ieee_overflow 0
		.amdhsa_exception_fp_ieee_underflow 0
		.amdhsa_exception_fp_ieee_inexact 0
		.amdhsa_exception_int_div_zero 0
	.end_amdhsa_kernel
	.section	.text._ZN7rocprim17ROCPRIM_400000_NS6detail17trampoline_kernelINS0_14default_configENS1_25transform_config_selectorIlLb0EEEZNS1_14transform_implILb0ES3_S5_NS0_18transform_iteratorINS0_17counting_iteratorImlEEZNS1_24adjacent_difference_implIS3_Lb1ELb0EPlSB_ZN2at6native12_GLOBAL__N_124unique_dim_cuda_templateIN3c104HalfEEESt5tupleIJNSC_6TensorESJ_SJ_EERKSJ_lbbbEUlllE1_EE10hipError_tPvRmT2_T3_mT4_P12ihipStream_tbEUlmE_lEESB_NS0_8identityIvEEEESO_SR_SS_mST_SV_bEUlT_E_NS1_11comp_targetILNS1_3genE5ELNS1_11target_archE942ELNS1_3gpuE9ELNS1_3repE0EEENS1_30default_config_static_selectorELNS0_4arch9wavefront6targetE1EEEvT1_,"axG",@progbits,_ZN7rocprim17ROCPRIM_400000_NS6detail17trampoline_kernelINS0_14default_configENS1_25transform_config_selectorIlLb0EEEZNS1_14transform_implILb0ES3_S5_NS0_18transform_iteratorINS0_17counting_iteratorImlEEZNS1_24adjacent_difference_implIS3_Lb1ELb0EPlSB_ZN2at6native12_GLOBAL__N_124unique_dim_cuda_templateIN3c104HalfEEESt5tupleIJNSC_6TensorESJ_SJ_EERKSJ_lbbbEUlllE1_EE10hipError_tPvRmT2_T3_mT4_P12ihipStream_tbEUlmE_lEESB_NS0_8identityIvEEEESO_SR_SS_mST_SV_bEUlT_E_NS1_11comp_targetILNS1_3genE5ELNS1_11target_archE942ELNS1_3gpuE9ELNS1_3repE0EEENS1_30default_config_static_selectorELNS0_4arch9wavefront6targetE1EEEvT1_,comdat
.Lfunc_end1289:
	.size	_ZN7rocprim17ROCPRIM_400000_NS6detail17trampoline_kernelINS0_14default_configENS1_25transform_config_selectorIlLb0EEEZNS1_14transform_implILb0ES3_S5_NS0_18transform_iteratorINS0_17counting_iteratorImlEEZNS1_24adjacent_difference_implIS3_Lb1ELb0EPlSB_ZN2at6native12_GLOBAL__N_124unique_dim_cuda_templateIN3c104HalfEEESt5tupleIJNSC_6TensorESJ_SJ_EERKSJ_lbbbEUlllE1_EE10hipError_tPvRmT2_T3_mT4_P12ihipStream_tbEUlmE_lEESB_NS0_8identityIvEEEESO_SR_SS_mST_SV_bEUlT_E_NS1_11comp_targetILNS1_3genE5ELNS1_11target_archE942ELNS1_3gpuE9ELNS1_3repE0EEENS1_30default_config_static_selectorELNS0_4arch9wavefront6targetE1EEEvT1_, .Lfunc_end1289-_ZN7rocprim17ROCPRIM_400000_NS6detail17trampoline_kernelINS0_14default_configENS1_25transform_config_selectorIlLb0EEEZNS1_14transform_implILb0ES3_S5_NS0_18transform_iteratorINS0_17counting_iteratorImlEEZNS1_24adjacent_difference_implIS3_Lb1ELb0EPlSB_ZN2at6native12_GLOBAL__N_124unique_dim_cuda_templateIN3c104HalfEEESt5tupleIJNSC_6TensorESJ_SJ_EERKSJ_lbbbEUlllE1_EE10hipError_tPvRmT2_T3_mT4_P12ihipStream_tbEUlmE_lEESB_NS0_8identityIvEEEESO_SR_SS_mST_SV_bEUlT_E_NS1_11comp_targetILNS1_3genE5ELNS1_11target_archE942ELNS1_3gpuE9ELNS1_3repE0EEENS1_30default_config_static_selectorELNS0_4arch9wavefront6targetE1EEEvT1_
                                        ; -- End function
	.section	.AMDGPU.csdata,"",@progbits
; Kernel info:
; codeLenInByte = 488
; NumSgprs: 26
; NumVgprs: 12
; NumAgprs: 0
; TotalNumVgprs: 12
; ScratchSize: 0
; MemoryBound: 0
; FloatMode: 240
; IeeeMode: 1
; LDSByteSize: 0 bytes/workgroup (compile time only)
; SGPRBlocks: 3
; VGPRBlocks: 1
; NumSGPRsForWavesPerEU: 26
; NumVGPRsForWavesPerEU: 12
; AccumOffset: 12
; Occupancy: 8
; WaveLimiterHint : 0
; COMPUTE_PGM_RSRC2:SCRATCH_EN: 0
; COMPUTE_PGM_RSRC2:USER_SGPR: 2
; COMPUTE_PGM_RSRC2:TRAP_HANDLER: 0
; COMPUTE_PGM_RSRC2:TGID_X_EN: 1
; COMPUTE_PGM_RSRC2:TGID_Y_EN: 0
; COMPUTE_PGM_RSRC2:TGID_Z_EN: 0
; COMPUTE_PGM_RSRC2:TIDIG_COMP_CNT: 0
; COMPUTE_PGM_RSRC3_GFX90A:ACCUM_OFFSET: 2
; COMPUTE_PGM_RSRC3_GFX90A:TG_SPLIT: 0
	.section	.text._ZN7rocprim17ROCPRIM_400000_NS6detail17trampoline_kernelINS0_14default_configENS1_25transform_config_selectorIlLb0EEEZNS1_14transform_implILb0ES3_S5_NS0_18transform_iteratorINS0_17counting_iteratorImlEEZNS1_24adjacent_difference_implIS3_Lb1ELb0EPlSB_ZN2at6native12_GLOBAL__N_124unique_dim_cuda_templateIN3c104HalfEEESt5tupleIJNSC_6TensorESJ_SJ_EERKSJ_lbbbEUlllE1_EE10hipError_tPvRmT2_T3_mT4_P12ihipStream_tbEUlmE_lEESB_NS0_8identityIvEEEESO_SR_SS_mST_SV_bEUlT_E_NS1_11comp_targetILNS1_3genE4ELNS1_11target_archE910ELNS1_3gpuE8ELNS1_3repE0EEENS1_30default_config_static_selectorELNS0_4arch9wavefront6targetE1EEEvT1_,"axG",@progbits,_ZN7rocprim17ROCPRIM_400000_NS6detail17trampoline_kernelINS0_14default_configENS1_25transform_config_selectorIlLb0EEEZNS1_14transform_implILb0ES3_S5_NS0_18transform_iteratorINS0_17counting_iteratorImlEEZNS1_24adjacent_difference_implIS3_Lb1ELb0EPlSB_ZN2at6native12_GLOBAL__N_124unique_dim_cuda_templateIN3c104HalfEEESt5tupleIJNSC_6TensorESJ_SJ_EERKSJ_lbbbEUlllE1_EE10hipError_tPvRmT2_T3_mT4_P12ihipStream_tbEUlmE_lEESB_NS0_8identityIvEEEESO_SR_SS_mST_SV_bEUlT_E_NS1_11comp_targetILNS1_3genE4ELNS1_11target_archE910ELNS1_3gpuE8ELNS1_3repE0EEENS1_30default_config_static_selectorELNS0_4arch9wavefront6targetE1EEEvT1_,comdat
	.globl	_ZN7rocprim17ROCPRIM_400000_NS6detail17trampoline_kernelINS0_14default_configENS1_25transform_config_selectorIlLb0EEEZNS1_14transform_implILb0ES3_S5_NS0_18transform_iteratorINS0_17counting_iteratorImlEEZNS1_24adjacent_difference_implIS3_Lb1ELb0EPlSB_ZN2at6native12_GLOBAL__N_124unique_dim_cuda_templateIN3c104HalfEEESt5tupleIJNSC_6TensorESJ_SJ_EERKSJ_lbbbEUlllE1_EE10hipError_tPvRmT2_T3_mT4_P12ihipStream_tbEUlmE_lEESB_NS0_8identityIvEEEESO_SR_SS_mST_SV_bEUlT_E_NS1_11comp_targetILNS1_3genE4ELNS1_11target_archE910ELNS1_3gpuE8ELNS1_3repE0EEENS1_30default_config_static_selectorELNS0_4arch9wavefront6targetE1EEEvT1_ ; -- Begin function _ZN7rocprim17ROCPRIM_400000_NS6detail17trampoline_kernelINS0_14default_configENS1_25transform_config_selectorIlLb0EEEZNS1_14transform_implILb0ES3_S5_NS0_18transform_iteratorINS0_17counting_iteratorImlEEZNS1_24adjacent_difference_implIS3_Lb1ELb0EPlSB_ZN2at6native12_GLOBAL__N_124unique_dim_cuda_templateIN3c104HalfEEESt5tupleIJNSC_6TensorESJ_SJ_EERKSJ_lbbbEUlllE1_EE10hipError_tPvRmT2_T3_mT4_P12ihipStream_tbEUlmE_lEESB_NS0_8identityIvEEEESO_SR_SS_mST_SV_bEUlT_E_NS1_11comp_targetILNS1_3genE4ELNS1_11target_archE910ELNS1_3gpuE8ELNS1_3repE0EEENS1_30default_config_static_selectorELNS0_4arch9wavefront6targetE1EEEvT1_
	.p2align	8
	.type	_ZN7rocprim17ROCPRIM_400000_NS6detail17trampoline_kernelINS0_14default_configENS1_25transform_config_selectorIlLb0EEEZNS1_14transform_implILb0ES3_S5_NS0_18transform_iteratorINS0_17counting_iteratorImlEEZNS1_24adjacent_difference_implIS3_Lb1ELb0EPlSB_ZN2at6native12_GLOBAL__N_124unique_dim_cuda_templateIN3c104HalfEEESt5tupleIJNSC_6TensorESJ_SJ_EERKSJ_lbbbEUlllE1_EE10hipError_tPvRmT2_T3_mT4_P12ihipStream_tbEUlmE_lEESB_NS0_8identityIvEEEESO_SR_SS_mST_SV_bEUlT_E_NS1_11comp_targetILNS1_3genE4ELNS1_11target_archE910ELNS1_3gpuE8ELNS1_3repE0EEENS1_30default_config_static_selectorELNS0_4arch9wavefront6targetE1EEEvT1_,@function
_ZN7rocprim17ROCPRIM_400000_NS6detail17trampoline_kernelINS0_14default_configENS1_25transform_config_selectorIlLb0EEEZNS1_14transform_implILb0ES3_S5_NS0_18transform_iteratorINS0_17counting_iteratorImlEEZNS1_24adjacent_difference_implIS3_Lb1ELb0EPlSB_ZN2at6native12_GLOBAL__N_124unique_dim_cuda_templateIN3c104HalfEEESt5tupleIJNSC_6TensorESJ_SJ_EERKSJ_lbbbEUlllE1_EE10hipError_tPvRmT2_T3_mT4_P12ihipStream_tbEUlmE_lEESB_NS0_8identityIvEEEESO_SR_SS_mST_SV_bEUlT_E_NS1_11comp_targetILNS1_3genE4ELNS1_11target_archE910ELNS1_3gpuE8ELNS1_3repE0EEENS1_30default_config_static_selectorELNS0_4arch9wavefront6targetE1EEEvT1_: ; @_ZN7rocprim17ROCPRIM_400000_NS6detail17trampoline_kernelINS0_14default_configENS1_25transform_config_selectorIlLb0EEEZNS1_14transform_implILb0ES3_S5_NS0_18transform_iteratorINS0_17counting_iteratorImlEEZNS1_24adjacent_difference_implIS3_Lb1ELb0EPlSB_ZN2at6native12_GLOBAL__N_124unique_dim_cuda_templateIN3c104HalfEEESt5tupleIJNSC_6TensorESJ_SJ_EERKSJ_lbbbEUlllE1_EE10hipError_tPvRmT2_T3_mT4_P12ihipStream_tbEUlmE_lEESB_NS0_8identityIvEEEESO_SR_SS_mST_SV_bEUlT_E_NS1_11comp_targetILNS1_3genE4ELNS1_11target_archE910ELNS1_3gpuE8ELNS1_3repE0EEENS1_30default_config_static_selectorELNS0_4arch9wavefront6targetE1EEEvT1_
; %bb.0:
	.section	.rodata,"a",@progbits
	.p2align	6, 0x0
	.amdhsa_kernel _ZN7rocprim17ROCPRIM_400000_NS6detail17trampoline_kernelINS0_14default_configENS1_25transform_config_selectorIlLb0EEEZNS1_14transform_implILb0ES3_S5_NS0_18transform_iteratorINS0_17counting_iteratorImlEEZNS1_24adjacent_difference_implIS3_Lb1ELb0EPlSB_ZN2at6native12_GLOBAL__N_124unique_dim_cuda_templateIN3c104HalfEEESt5tupleIJNSC_6TensorESJ_SJ_EERKSJ_lbbbEUlllE1_EE10hipError_tPvRmT2_T3_mT4_P12ihipStream_tbEUlmE_lEESB_NS0_8identityIvEEEESO_SR_SS_mST_SV_bEUlT_E_NS1_11comp_targetILNS1_3genE4ELNS1_11target_archE910ELNS1_3gpuE8ELNS1_3repE0EEENS1_30default_config_static_selectorELNS0_4arch9wavefront6targetE1EEEvT1_
		.amdhsa_group_segment_fixed_size 0
		.amdhsa_private_segment_fixed_size 0
		.amdhsa_kernarg_size 56
		.amdhsa_user_sgpr_count 2
		.amdhsa_user_sgpr_dispatch_ptr 0
		.amdhsa_user_sgpr_queue_ptr 0
		.amdhsa_user_sgpr_kernarg_segment_ptr 1
		.amdhsa_user_sgpr_dispatch_id 0
		.amdhsa_user_sgpr_kernarg_preload_length 0
		.amdhsa_user_sgpr_kernarg_preload_offset 0
		.amdhsa_user_sgpr_private_segment_size 0
		.amdhsa_uses_dynamic_stack 0
		.amdhsa_enable_private_segment 0
		.amdhsa_system_sgpr_workgroup_id_x 1
		.amdhsa_system_sgpr_workgroup_id_y 0
		.amdhsa_system_sgpr_workgroup_id_z 0
		.amdhsa_system_sgpr_workgroup_info 0
		.amdhsa_system_vgpr_workitem_id 0
		.amdhsa_next_free_vgpr 1
		.amdhsa_next_free_sgpr 0
		.amdhsa_accum_offset 4
		.amdhsa_reserve_vcc 0
		.amdhsa_float_round_mode_32 0
		.amdhsa_float_round_mode_16_64 0
		.amdhsa_float_denorm_mode_32 3
		.amdhsa_float_denorm_mode_16_64 3
		.amdhsa_dx10_clamp 1
		.amdhsa_ieee_mode 1
		.amdhsa_fp16_overflow 0
		.amdhsa_tg_split 0
		.amdhsa_exception_fp_ieee_invalid_op 0
		.amdhsa_exception_fp_denorm_src 0
		.amdhsa_exception_fp_ieee_div_zero 0
		.amdhsa_exception_fp_ieee_overflow 0
		.amdhsa_exception_fp_ieee_underflow 0
		.amdhsa_exception_fp_ieee_inexact 0
		.amdhsa_exception_int_div_zero 0
	.end_amdhsa_kernel
	.section	.text._ZN7rocprim17ROCPRIM_400000_NS6detail17trampoline_kernelINS0_14default_configENS1_25transform_config_selectorIlLb0EEEZNS1_14transform_implILb0ES3_S5_NS0_18transform_iteratorINS0_17counting_iteratorImlEEZNS1_24adjacent_difference_implIS3_Lb1ELb0EPlSB_ZN2at6native12_GLOBAL__N_124unique_dim_cuda_templateIN3c104HalfEEESt5tupleIJNSC_6TensorESJ_SJ_EERKSJ_lbbbEUlllE1_EE10hipError_tPvRmT2_T3_mT4_P12ihipStream_tbEUlmE_lEESB_NS0_8identityIvEEEESO_SR_SS_mST_SV_bEUlT_E_NS1_11comp_targetILNS1_3genE4ELNS1_11target_archE910ELNS1_3gpuE8ELNS1_3repE0EEENS1_30default_config_static_selectorELNS0_4arch9wavefront6targetE1EEEvT1_,"axG",@progbits,_ZN7rocprim17ROCPRIM_400000_NS6detail17trampoline_kernelINS0_14default_configENS1_25transform_config_selectorIlLb0EEEZNS1_14transform_implILb0ES3_S5_NS0_18transform_iteratorINS0_17counting_iteratorImlEEZNS1_24adjacent_difference_implIS3_Lb1ELb0EPlSB_ZN2at6native12_GLOBAL__N_124unique_dim_cuda_templateIN3c104HalfEEESt5tupleIJNSC_6TensorESJ_SJ_EERKSJ_lbbbEUlllE1_EE10hipError_tPvRmT2_T3_mT4_P12ihipStream_tbEUlmE_lEESB_NS0_8identityIvEEEESO_SR_SS_mST_SV_bEUlT_E_NS1_11comp_targetILNS1_3genE4ELNS1_11target_archE910ELNS1_3gpuE8ELNS1_3repE0EEENS1_30default_config_static_selectorELNS0_4arch9wavefront6targetE1EEEvT1_,comdat
.Lfunc_end1290:
	.size	_ZN7rocprim17ROCPRIM_400000_NS6detail17trampoline_kernelINS0_14default_configENS1_25transform_config_selectorIlLb0EEEZNS1_14transform_implILb0ES3_S5_NS0_18transform_iteratorINS0_17counting_iteratorImlEEZNS1_24adjacent_difference_implIS3_Lb1ELb0EPlSB_ZN2at6native12_GLOBAL__N_124unique_dim_cuda_templateIN3c104HalfEEESt5tupleIJNSC_6TensorESJ_SJ_EERKSJ_lbbbEUlllE1_EE10hipError_tPvRmT2_T3_mT4_P12ihipStream_tbEUlmE_lEESB_NS0_8identityIvEEEESO_SR_SS_mST_SV_bEUlT_E_NS1_11comp_targetILNS1_3genE4ELNS1_11target_archE910ELNS1_3gpuE8ELNS1_3repE0EEENS1_30default_config_static_selectorELNS0_4arch9wavefront6targetE1EEEvT1_, .Lfunc_end1290-_ZN7rocprim17ROCPRIM_400000_NS6detail17trampoline_kernelINS0_14default_configENS1_25transform_config_selectorIlLb0EEEZNS1_14transform_implILb0ES3_S5_NS0_18transform_iteratorINS0_17counting_iteratorImlEEZNS1_24adjacent_difference_implIS3_Lb1ELb0EPlSB_ZN2at6native12_GLOBAL__N_124unique_dim_cuda_templateIN3c104HalfEEESt5tupleIJNSC_6TensorESJ_SJ_EERKSJ_lbbbEUlllE1_EE10hipError_tPvRmT2_T3_mT4_P12ihipStream_tbEUlmE_lEESB_NS0_8identityIvEEEESO_SR_SS_mST_SV_bEUlT_E_NS1_11comp_targetILNS1_3genE4ELNS1_11target_archE910ELNS1_3gpuE8ELNS1_3repE0EEENS1_30default_config_static_selectorELNS0_4arch9wavefront6targetE1EEEvT1_
                                        ; -- End function
	.section	.AMDGPU.csdata,"",@progbits
; Kernel info:
; codeLenInByte = 0
; NumSgprs: 6
; NumVgprs: 0
; NumAgprs: 0
; TotalNumVgprs: 0
; ScratchSize: 0
; MemoryBound: 0
; FloatMode: 240
; IeeeMode: 1
; LDSByteSize: 0 bytes/workgroup (compile time only)
; SGPRBlocks: 0
; VGPRBlocks: 0
; NumSGPRsForWavesPerEU: 6
; NumVGPRsForWavesPerEU: 1
; AccumOffset: 4
; Occupancy: 8
; WaveLimiterHint : 0
; COMPUTE_PGM_RSRC2:SCRATCH_EN: 0
; COMPUTE_PGM_RSRC2:USER_SGPR: 2
; COMPUTE_PGM_RSRC2:TRAP_HANDLER: 0
; COMPUTE_PGM_RSRC2:TGID_X_EN: 1
; COMPUTE_PGM_RSRC2:TGID_Y_EN: 0
; COMPUTE_PGM_RSRC2:TGID_Z_EN: 0
; COMPUTE_PGM_RSRC2:TIDIG_COMP_CNT: 0
; COMPUTE_PGM_RSRC3_GFX90A:ACCUM_OFFSET: 0
; COMPUTE_PGM_RSRC3_GFX90A:TG_SPLIT: 0
	.section	.text._ZN7rocprim17ROCPRIM_400000_NS6detail17trampoline_kernelINS0_14default_configENS1_25transform_config_selectorIlLb0EEEZNS1_14transform_implILb0ES3_S5_NS0_18transform_iteratorINS0_17counting_iteratorImlEEZNS1_24adjacent_difference_implIS3_Lb1ELb0EPlSB_ZN2at6native12_GLOBAL__N_124unique_dim_cuda_templateIN3c104HalfEEESt5tupleIJNSC_6TensorESJ_SJ_EERKSJ_lbbbEUlllE1_EE10hipError_tPvRmT2_T3_mT4_P12ihipStream_tbEUlmE_lEESB_NS0_8identityIvEEEESO_SR_SS_mST_SV_bEUlT_E_NS1_11comp_targetILNS1_3genE3ELNS1_11target_archE908ELNS1_3gpuE7ELNS1_3repE0EEENS1_30default_config_static_selectorELNS0_4arch9wavefront6targetE1EEEvT1_,"axG",@progbits,_ZN7rocprim17ROCPRIM_400000_NS6detail17trampoline_kernelINS0_14default_configENS1_25transform_config_selectorIlLb0EEEZNS1_14transform_implILb0ES3_S5_NS0_18transform_iteratorINS0_17counting_iteratorImlEEZNS1_24adjacent_difference_implIS3_Lb1ELb0EPlSB_ZN2at6native12_GLOBAL__N_124unique_dim_cuda_templateIN3c104HalfEEESt5tupleIJNSC_6TensorESJ_SJ_EERKSJ_lbbbEUlllE1_EE10hipError_tPvRmT2_T3_mT4_P12ihipStream_tbEUlmE_lEESB_NS0_8identityIvEEEESO_SR_SS_mST_SV_bEUlT_E_NS1_11comp_targetILNS1_3genE3ELNS1_11target_archE908ELNS1_3gpuE7ELNS1_3repE0EEENS1_30default_config_static_selectorELNS0_4arch9wavefront6targetE1EEEvT1_,comdat
	.globl	_ZN7rocprim17ROCPRIM_400000_NS6detail17trampoline_kernelINS0_14default_configENS1_25transform_config_selectorIlLb0EEEZNS1_14transform_implILb0ES3_S5_NS0_18transform_iteratorINS0_17counting_iteratorImlEEZNS1_24adjacent_difference_implIS3_Lb1ELb0EPlSB_ZN2at6native12_GLOBAL__N_124unique_dim_cuda_templateIN3c104HalfEEESt5tupleIJNSC_6TensorESJ_SJ_EERKSJ_lbbbEUlllE1_EE10hipError_tPvRmT2_T3_mT4_P12ihipStream_tbEUlmE_lEESB_NS0_8identityIvEEEESO_SR_SS_mST_SV_bEUlT_E_NS1_11comp_targetILNS1_3genE3ELNS1_11target_archE908ELNS1_3gpuE7ELNS1_3repE0EEENS1_30default_config_static_selectorELNS0_4arch9wavefront6targetE1EEEvT1_ ; -- Begin function _ZN7rocprim17ROCPRIM_400000_NS6detail17trampoline_kernelINS0_14default_configENS1_25transform_config_selectorIlLb0EEEZNS1_14transform_implILb0ES3_S5_NS0_18transform_iteratorINS0_17counting_iteratorImlEEZNS1_24adjacent_difference_implIS3_Lb1ELb0EPlSB_ZN2at6native12_GLOBAL__N_124unique_dim_cuda_templateIN3c104HalfEEESt5tupleIJNSC_6TensorESJ_SJ_EERKSJ_lbbbEUlllE1_EE10hipError_tPvRmT2_T3_mT4_P12ihipStream_tbEUlmE_lEESB_NS0_8identityIvEEEESO_SR_SS_mST_SV_bEUlT_E_NS1_11comp_targetILNS1_3genE3ELNS1_11target_archE908ELNS1_3gpuE7ELNS1_3repE0EEENS1_30default_config_static_selectorELNS0_4arch9wavefront6targetE1EEEvT1_
	.p2align	8
	.type	_ZN7rocprim17ROCPRIM_400000_NS6detail17trampoline_kernelINS0_14default_configENS1_25transform_config_selectorIlLb0EEEZNS1_14transform_implILb0ES3_S5_NS0_18transform_iteratorINS0_17counting_iteratorImlEEZNS1_24adjacent_difference_implIS3_Lb1ELb0EPlSB_ZN2at6native12_GLOBAL__N_124unique_dim_cuda_templateIN3c104HalfEEESt5tupleIJNSC_6TensorESJ_SJ_EERKSJ_lbbbEUlllE1_EE10hipError_tPvRmT2_T3_mT4_P12ihipStream_tbEUlmE_lEESB_NS0_8identityIvEEEESO_SR_SS_mST_SV_bEUlT_E_NS1_11comp_targetILNS1_3genE3ELNS1_11target_archE908ELNS1_3gpuE7ELNS1_3repE0EEENS1_30default_config_static_selectorELNS0_4arch9wavefront6targetE1EEEvT1_,@function
_ZN7rocprim17ROCPRIM_400000_NS6detail17trampoline_kernelINS0_14default_configENS1_25transform_config_selectorIlLb0EEEZNS1_14transform_implILb0ES3_S5_NS0_18transform_iteratorINS0_17counting_iteratorImlEEZNS1_24adjacent_difference_implIS3_Lb1ELb0EPlSB_ZN2at6native12_GLOBAL__N_124unique_dim_cuda_templateIN3c104HalfEEESt5tupleIJNSC_6TensorESJ_SJ_EERKSJ_lbbbEUlllE1_EE10hipError_tPvRmT2_T3_mT4_P12ihipStream_tbEUlmE_lEESB_NS0_8identityIvEEEESO_SR_SS_mST_SV_bEUlT_E_NS1_11comp_targetILNS1_3genE3ELNS1_11target_archE908ELNS1_3gpuE7ELNS1_3repE0EEENS1_30default_config_static_selectorELNS0_4arch9wavefront6targetE1EEEvT1_: ; @_ZN7rocprim17ROCPRIM_400000_NS6detail17trampoline_kernelINS0_14default_configENS1_25transform_config_selectorIlLb0EEEZNS1_14transform_implILb0ES3_S5_NS0_18transform_iteratorINS0_17counting_iteratorImlEEZNS1_24adjacent_difference_implIS3_Lb1ELb0EPlSB_ZN2at6native12_GLOBAL__N_124unique_dim_cuda_templateIN3c104HalfEEESt5tupleIJNSC_6TensorESJ_SJ_EERKSJ_lbbbEUlllE1_EE10hipError_tPvRmT2_T3_mT4_P12ihipStream_tbEUlmE_lEESB_NS0_8identityIvEEEESO_SR_SS_mST_SV_bEUlT_E_NS1_11comp_targetILNS1_3genE3ELNS1_11target_archE908ELNS1_3gpuE7ELNS1_3repE0EEENS1_30default_config_static_selectorELNS0_4arch9wavefront6targetE1EEEvT1_
; %bb.0:
	.section	.rodata,"a",@progbits
	.p2align	6, 0x0
	.amdhsa_kernel _ZN7rocprim17ROCPRIM_400000_NS6detail17trampoline_kernelINS0_14default_configENS1_25transform_config_selectorIlLb0EEEZNS1_14transform_implILb0ES3_S5_NS0_18transform_iteratorINS0_17counting_iteratorImlEEZNS1_24adjacent_difference_implIS3_Lb1ELb0EPlSB_ZN2at6native12_GLOBAL__N_124unique_dim_cuda_templateIN3c104HalfEEESt5tupleIJNSC_6TensorESJ_SJ_EERKSJ_lbbbEUlllE1_EE10hipError_tPvRmT2_T3_mT4_P12ihipStream_tbEUlmE_lEESB_NS0_8identityIvEEEESO_SR_SS_mST_SV_bEUlT_E_NS1_11comp_targetILNS1_3genE3ELNS1_11target_archE908ELNS1_3gpuE7ELNS1_3repE0EEENS1_30default_config_static_selectorELNS0_4arch9wavefront6targetE1EEEvT1_
		.amdhsa_group_segment_fixed_size 0
		.amdhsa_private_segment_fixed_size 0
		.amdhsa_kernarg_size 56
		.amdhsa_user_sgpr_count 2
		.amdhsa_user_sgpr_dispatch_ptr 0
		.amdhsa_user_sgpr_queue_ptr 0
		.amdhsa_user_sgpr_kernarg_segment_ptr 1
		.amdhsa_user_sgpr_dispatch_id 0
		.amdhsa_user_sgpr_kernarg_preload_length 0
		.amdhsa_user_sgpr_kernarg_preload_offset 0
		.amdhsa_user_sgpr_private_segment_size 0
		.amdhsa_uses_dynamic_stack 0
		.amdhsa_enable_private_segment 0
		.amdhsa_system_sgpr_workgroup_id_x 1
		.amdhsa_system_sgpr_workgroup_id_y 0
		.amdhsa_system_sgpr_workgroup_id_z 0
		.amdhsa_system_sgpr_workgroup_info 0
		.amdhsa_system_vgpr_workitem_id 0
		.amdhsa_next_free_vgpr 1
		.amdhsa_next_free_sgpr 0
		.amdhsa_accum_offset 4
		.amdhsa_reserve_vcc 0
		.amdhsa_float_round_mode_32 0
		.amdhsa_float_round_mode_16_64 0
		.amdhsa_float_denorm_mode_32 3
		.amdhsa_float_denorm_mode_16_64 3
		.amdhsa_dx10_clamp 1
		.amdhsa_ieee_mode 1
		.amdhsa_fp16_overflow 0
		.amdhsa_tg_split 0
		.amdhsa_exception_fp_ieee_invalid_op 0
		.amdhsa_exception_fp_denorm_src 0
		.amdhsa_exception_fp_ieee_div_zero 0
		.amdhsa_exception_fp_ieee_overflow 0
		.amdhsa_exception_fp_ieee_underflow 0
		.amdhsa_exception_fp_ieee_inexact 0
		.amdhsa_exception_int_div_zero 0
	.end_amdhsa_kernel
	.section	.text._ZN7rocprim17ROCPRIM_400000_NS6detail17trampoline_kernelINS0_14default_configENS1_25transform_config_selectorIlLb0EEEZNS1_14transform_implILb0ES3_S5_NS0_18transform_iteratorINS0_17counting_iteratorImlEEZNS1_24adjacent_difference_implIS3_Lb1ELb0EPlSB_ZN2at6native12_GLOBAL__N_124unique_dim_cuda_templateIN3c104HalfEEESt5tupleIJNSC_6TensorESJ_SJ_EERKSJ_lbbbEUlllE1_EE10hipError_tPvRmT2_T3_mT4_P12ihipStream_tbEUlmE_lEESB_NS0_8identityIvEEEESO_SR_SS_mST_SV_bEUlT_E_NS1_11comp_targetILNS1_3genE3ELNS1_11target_archE908ELNS1_3gpuE7ELNS1_3repE0EEENS1_30default_config_static_selectorELNS0_4arch9wavefront6targetE1EEEvT1_,"axG",@progbits,_ZN7rocprim17ROCPRIM_400000_NS6detail17trampoline_kernelINS0_14default_configENS1_25transform_config_selectorIlLb0EEEZNS1_14transform_implILb0ES3_S5_NS0_18transform_iteratorINS0_17counting_iteratorImlEEZNS1_24adjacent_difference_implIS3_Lb1ELb0EPlSB_ZN2at6native12_GLOBAL__N_124unique_dim_cuda_templateIN3c104HalfEEESt5tupleIJNSC_6TensorESJ_SJ_EERKSJ_lbbbEUlllE1_EE10hipError_tPvRmT2_T3_mT4_P12ihipStream_tbEUlmE_lEESB_NS0_8identityIvEEEESO_SR_SS_mST_SV_bEUlT_E_NS1_11comp_targetILNS1_3genE3ELNS1_11target_archE908ELNS1_3gpuE7ELNS1_3repE0EEENS1_30default_config_static_selectorELNS0_4arch9wavefront6targetE1EEEvT1_,comdat
.Lfunc_end1291:
	.size	_ZN7rocprim17ROCPRIM_400000_NS6detail17trampoline_kernelINS0_14default_configENS1_25transform_config_selectorIlLb0EEEZNS1_14transform_implILb0ES3_S5_NS0_18transform_iteratorINS0_17counting_iteratorImlEEZNS1_24adjacent_difference_implIS3_Lb1ELb0EPlSB_ZN2at6native12_GLOBAL__N_124unique_dim_cuda_templateIN3c104HalfEEESt5tupleIJNSC_6TensorESJ_SJ_EERKSJ_lbbbEUlllE1_EE10hipError_tPvRmT2_T3_mT4_P12ihipStream_tbEUlmE_lEESB_NS0_8identityIvEEEESO_SR_SS_mST_SV_bEUlT_E_NS1_11comp_targetILNS1_3genE3ELNS1_11target_archE908ELNS1_3gpuE7ELNS1_3repE0EEENS1_30default_config_static_selectorELNS0_4arch9wavefront6targetE1EEEvT1_, .Lfunc_end1291-_ZN7rocprim17ROCPRIM_400000_NS6detail17trampoline_kernelINS0_14default_configENS1_25transform_config_selectorIlLb0EEEZNS1_14transform_implILb0ES3_S5_NS0_18transform_iteratorINS0_17counting_iteratorImlEEZNS1_24adjacent_difference_implIS3_Lb1ELb0EPlSB_ZN2at6native12_GLOBAL__N_124unique_dim_cuda_templateIN3c104HalfEEESt5tupleIJNSC_6TensorESJ_SJ_EERKSJ_lbbbEUlllE1_EE10hipError_tPvRmT2_T3_mT4_P12ihipStream_tbEUlmE_lEESB_NS0_8identityIvEEEESO_SR_SS_mST_SV_bEUlT_E_NS1_11comp_targetILNS1_3genE3ELNS1_11target_archE908ELNS1_3gpuE7ELNS1_3repE0EEENS1_30default_config_static_selectorELNS0_4arch9wavefront6targetE1EEEvT1_
                                        ; -- End function
	.section	.AMDGPU.csdata,"",@progbits
; Kernel info:
; codeLenInByte = 0
; NumSgprs: 6
; NumVgprs: 0
; NumAgprs: 0
; TotalNumVgprs: 0
; ScratchSize: 0
; MemoryBound: 0
; FloatMode: 240
; IeeeMode: 1
; LDSByteSize: 0 bytes/workgroup (compile time only)
; SGPRBlocks: 0
; VGPRBlocks: 0
; NumSGPRsForWavesPerEU: 6
; NumVGPRsForWavesPerEU: 1
; AccumOffset: 4
; Occupancy: 8
; WaveLimiterHint : 0
; COMPUTE_PGM_RSRC2:SCRATCH_EN: 0
; COMPUTE_PGM_RSRC2:USER_SGPR: 2
; COMPUTE_PGM_RSRC2:TRAP_HANDLER: 0
; COMPUTE_PGM_RSRC2:TGID_X_EN: 1
; COMPUTE_PGM_RSRC2:TGID_Y_EN: 0
; COMPUTE_PGM_RSRC2:TGID_Z_EN: 0
; COMPUTE_PGM_RSRC2:TIDIG_COMP_CNT: 0
; COMPUTE_PGM_RSRC3_GFX90A:ACCUM_OFFSET: 0
; COMPUTE_PGM_RSRC3_GFX90A:TG_SPLIT: 0
	.section	.text._ZN7rocprim17ROCPRIM_400000_NS6detail17trampoline_kernelINS0_14default_configENS1_25transform_config_selectorIlLb0EEEZNS1_14transform_implILb0ES3_S5_NS0_18transform_iteratorINS0_17counting_iteratorImlEEZNS1_24adjacent_difference_implIS3_Lb1ELb0EPlSB_ZN2at6native12_GLOBAL__N_124unique_dim_cuda_templateIN3c104HalfEEESt5tupleIJNSC_6TensorESJ_SJ_EERKSJ_lbbbEUlllE1_EE10hipError_tPvRmT2_T3_mT4_P12ihipStream_tbEUlmE_lEESB_NS0_8identityIvEEEESO_SR_SS_mST_SV_bEUlT_E_NS1_11comp_targetILNS1_3genE2ELNS1_11target_archE906ELNS1_3gpuE6ELNS1_3repE0EEENS1_30default_config_static_selectorELNS0_4arch9wavefront6targetE1EEEvT1_,"axG",@progbits,_ZN7rocprim17ROCPRIM_400000_NS6detail17trampoline_kernelINS0_14default_configENS1_25transform_config_selectorIlLb0EEEZNS1_14transform_implILb0ES3_S5_NS0_18transform_iteratorINS0_17counting_iteratorImlEEZNS1_24adjacent_difference_implIS3_Lb1ELb0EPlSB_ZN2at6native12_GLOBAL__N_124unique_dim_cuda_templateIN3c104HalfEEESt5tupleIJNSC_6TensorESJ_SJ_EERKSJ_lbbbEUlllE1_EE10hipError_tPvRmT2_T3_mT4_P12ihipStream_tbEUlmE_lEESB_NS0_8identityIvEEEESO_SR_SS_mST_SV_bEUlT_E_NS1_11comp_targetILNS1_3genE2ELNS1_11target_archE906ELNS1_3gpuE6ELNS1_3repE0EEENS1_30default_config_static_selectorELNS0_4arch9wavefront6targetE1EEEvT1_,comdat
	.globl	_ZN7rocprim17ROCPRIM_400000_NS6detail17trampoline_kernelINS0_14default_configENS1_25transform_config_selectorIlLb0EEEZNS1_14transform_implILb0ES3_S5_NS0_18transform_iteratorINS0_17counting_iteratorImlEEZNS1_24adjacent_difference_implIS3_Lb1ELb0EPlSB_ZN2at6native12_GLOBAL__N_124unique_dim_cuda_templateIN3c104HalfEEESt5tupleIJNSC_6TensorESJ_SJ_EERKSJ_lbbbEUlllE1_EE10hipError_tPvRmT2_T3_mT4_P12ihipStream_tbEUlmE_lEESB_NS0_8identityIvEEEESO_SR_SS_mST_SV_bEUlT_E_NS1_11comp_targetILNS1_3genE2ELNS1_11target_archE906ELNS1_3gpuE6ELNS1_3repE0EEENS1_30default_config_static_selectorELNS0_4arch9wavefront6targetE1EEEvT1_ ; -- Begin function _ZN7rocprim17ROCPRIM_400000_NS6detail17trampoline_kernelINS0_14default_configENS1_25transform_config_selectorIlLb0EEEZNS1_14transform_implILb0ES3_S5_NS0_18transform_iteratorINS0_17counting_iteratorImlEEZNS1_24adjacent_difference_implIS3_Lb1ELb0EPlSB_ZN2at6native12_GLOBAL__N_124unique_dim_cuda_templateIN3c104HalfEEESt5tupleIJNSC_6TensorESJ_SJ_EERKSJ_lbbbEUlllE1_EE10hipError_tPvRmT2_T3_mT4_P12ihipStream_tbEUlmE_lEESB_NS0_8identityIvEEEESO_SR_SS_mST_SV_bEUlT_E_NS1_11comp_targetILNS1_3genE2ELNS1_11target_archE906ELNS1_3gpuE6ELNS1_3repE0EEENS1_30default_config_static_selectorELNS0_4arch9wavefront6targetE1EEEvT1_
	.p2align	8
	.type	_ZN7rocprim17ROCPRIM_400000_NS6detail17trampoline_kernelINS0_14default_configENS1_25transform_config_selectorIlLb0EEEZNS1_14transform_implILb0ES3_S5_NS0_18transform_iteratorINS0_17counting_iteratorImlEEZNS1_24adjacent_difference_implIS3_Lb1ELb0EPlSB_ZN2at6native12_GLOBAL__N_124unique_dim_cuda_templateIN3c104HalfEEESt5tupleIJNSC_6TensorESJ_SJ_EERKSJ_lbbbEUlllE1_EE10hipError_tPvRmT2_T3_mT4_P12ihipStream_tbEUlmE_lEESB_NS0_8identityIvEEEESO_SR_SS_mST_SV_bEUlT_E_NS1_11comp_targetILNS1_3genE2ELNS1_11target_archE906ELNS1_3gpuE6ELNS1_3repE0EEENS1_30default_config_static_selectorELNS0_4arch9wavefront6targetE1EEEvT1_,@function
_ZN7rocprim17ROCPRIM_400000_NS6detail17trampoline_kernelINS0_14default_configENS1_25transform_config_selectorIlLb0EEEZNS1_14transform_implILb0ES3_S5_NS0_18transform_iteratorINS0_17counting_iteratorImlEEZNS1_24adjacent_difference_implIS3_Lb1ELb0EPlSB_ZN2at6native12_GLOBAL__N_124unique_dim_cuda_templateIN3c104HalfEEESt5tupleIJNSC_6TensorESJ_SJ_EERKSJ_lbbbEUlllE1_EE10hipError_tPvRmT2_T3_mT4_P12ihipStream_tbEUlmE_lEESB_NS0_8identityIvEEEESO_SR_SS_mST_SV_bEUlT_E_NS1_11comp_targetILNS1_3genE2ELNS1_11target_archE906ELNS1_3gpuE6ELNS1_3repE0EEENS1_30default_config_static_selectorELNS0_4arch9wavefront6targetE1EEEvT1_: ; @_ZN7rocprim17ROCPRIM_400000_NS6detail17trampoline_kernelINS0_14default_configENS1_25transform_config_selectorIlLb0EEEZNS1_14transform_implILb0ES3_S5_NS0_18transform_iteratorINS0_17counting_iteratorImlEEZNS1_24adjacent_difference_implIS3_Lb1ELb0EPlSB_ZN2at6native12_GLOBAL__N_124unique_dim_cuda_templateIN3c104HalfEEESt5tupleIJNSC_6TensorESJ_SJ_EERKSJ_lbbbEUlllE1_EE10hipError_tPvRmT2_T3_mT4_P12ihipStream_tbEUlmE_lEESB_NS0_8identityIvEEEESO_SR_SS_mST_SV_bEUlT_E_NS1_11comp_targetILNS1_3genE2ELNS1_11target_archE906ELNS1_3gpuE6ELNS1_3repE0EEENS1_30default_config_static_selectorELNS0_4arch9wavefront6targetE1EEEvT1_
; %bb.0:
	.section	.rodata,"a",@progbits
	.p2align	6, 0x0
	.amdhsa_kernel _ZN7rocprim17ROCPRIM_400000_NS6detail17trampoline_kernelINS0_14default_configENS1_25transform_config_selectorIlLb0EEEZNS1_14transform_implILb0ES3_S5_NS0_18transform_iteratorINS0_17counting_iteratorImlEEZNS1_24adjacent_difference_implIS3_Lb1ELb0EPlSB_ZN2at6native12_GLOBAL__N_124unique_dim_cuda_templateIN3c104HalfEEESt5tupleIJNSC_6TensorESJ_SJ_EERKSJ_lbbbEUlllE1_EE10hipError_tPvRmT2_T3_mT4_P12ihipStream_tbEUlmE_lEESB_NS0_8identityIvEEEESO_SR_SS_mST_SV_bEUlT_E_NS1_11comp_targetILNS1_3genE2ELNS1_11target_archE906ELNS1_3gpuE6ELNS1_3repE0EEENS1_30default_config_static_selectorELNS0_4arch9wavefront6targetE1EEEvT1_
		.amdhsa_group_segment_fixed_size 0
		.amdhsa_private_segment_fixed_size 0
		.amdhsa_kernarg_size 56
		.amdhsa_user_sgpr_count 2
		.amdhsa_user_sgpr_dispatch_ptr 0
		.amdhsa_user_sgpr_queue_ptr 0
		.amdhsa_user_sgpr_kernarg_segment_ptr 1
		.amdhsa_user_sgpr_dispatch_id 0
		.amdhsa_user_sgpr_kernarg_preload_length 0
		.amdhsa_user_sgpr_kernarg_preload_offset 0
		.amdhsa_user_sgpr_private_segment_size 0
		.amdhsa_uses_dynamic_stack 0
		.amdhsa_enable_private_segment 0
		.amdhsa_system_sgpr_workgroup_id_x 1
		.amdhsa_system_sgpr_workgroup_id_y 0
		.amdhsa_system_sgpr_workgroup_id_z 0
		.amdhsa_system_sgpr_workgroup_info 0
		.amdhsa_system_vgpr_workitem_id 0
		.amdhsa_next_free_vgpr 1
		.amdhsa_next_free_sgpr 0
		.amdhsa_accum_offset 4
		.amdhsa_reserve_vcc 0
		.amdhsa_float_round_mode_32 0
		.amdhsa_float_round_mode_16_64 0
		.amdhsa_float_denorm_mode_32 3
		.amdhsa_float_denorm_mode_16_64 3
		.amdhsa_dx10_clamp 1
		.amdhsa_ieee_mode 1
		.amdhsa_fp16_overflow 0
		.amdhsa_tg_split 0
		.amdhsa_exception_fp_ieee_invalid_op 0
		.amdhsa_exception_fp_denorm_src 0
		.amdhsa_exception_fp_ieee_div_zero 0
		.amdhsa_exception_fp_ieee_overflow 0
		.amdhsa_exception_fp_ieee_underflow 0
		.amdhsa_exception_fp_ieee_inexact 0
		.amdhsa_exception_int_div_zero 0
	.end_amdhsa_kernel
	.section	.text._ZN7rocprim17ROCPRIM_400000_NS6detail17trampoline_kernelINS0_14default_configENS1_25transform_config_selectorIlLb0EEEZNS1_14transform_implILb0ES3_S5_NS0_18transform_iteratorINS0_17counting_iteratorImlEEZNS1_24adjacent_difference_implIS3_Lb1ELb0EPlSB_ZN2at6native12_GLOBAL__N_124unique_dim_cuda_templateIN3c104HalfEEESt5tupleIJNSC_6TensorESJ_SJ_EERKSJ_lbbbEUlllE1_EE10hipError_tPvRmT2_T3_mT4_P12ihipStream_tbEUlmE_lEESB_NS0_8identityIvEEEESO_SR_SS_mST_SV_bEUlT_E_NS1_11comp_targetILNS1_3genE2ELNS1_11target_archE906ELNS1_3gpuE6ELNS1_3repE0EEENS1_30default_config_static_selectorELNS0_4arch9wavefront6targetE1EEEvT1_,"axG",@progbits,_ZN7rocprim17ROCPRIM_400000_NS6detail17trampoline_kernelINS0_14default_configENS1_25transform_config_selectorIlLb0EEEZNS1_14transform_implILb0ES3_S5_NS0_18transform_iteratorINS0_17counting_iteratorImlEEZNS1_24adjacent_difference_implIS3_Lb1ELb0EPlSB_ZN2at6native12_GLOBAL__N_124unique_dim_cuda_templateIN3c104HalfEEESt5tupleIJNSC_6TensorESJ_SJ_EERKSJ_lbbbEUlllE1_EE10hipError_tPvRmT2_T3_mT4_P12ihipStream_tbEUlmE_lEESB_NS0_8identityIvEEEESO_SR_SS_mST_SV_bEUlT_E_NS1_11comp_targetILNS1_3genE2ELNS1_11target_archE906ELNS1_3gpuE6ELNS1_3repE0EEENS1_30default_config_static_selectorELNS0_4arch9wavefront6targetE1EEEvT1_,comdat
.Lfunc_end1292:
	.size	_ZN7rocprim17ROCPRIM_400000_NS6detail17trampoline_kernelINS0_14default_configENS1_25transform_config_selectorIlLb0EEEZNS1_14transform_implILb0ES3_S5_NS0_18transform_iteratorINS0_17counting_iteratorImlEEZNS1_24adjacent_difference_implIS3_Lb1ELb0EPlSB_ZN2at6native12_GLOBAL__N_124unique_dim_cuda_templateIN3c104HalfEEESt5tupleIJNSC_6TensorESJ_SJ_EERKSJ_lbbbEUlllE1_EE10hipError_tPvRmT2_T3_mT4_P12ihipStream_tbEUlmE_lEESB_NS0_8identityIvEEEESO_SR_SS_mST_SV_bEUlT_E_NS1_11comp_targetILNS1_3genE2ELNS1_11target_archE906ELNS1_3gpuE6ELNS1_3repE0EEENS1_30default_config_static_selectorELNS0_4arch9wavefront6targetE1EEEvT1_, .Lfunc_end1292-_ZN7rocprim17ROCPRIM_400000_NS6detail17trampoline_kernelINS0_14default_configENS1_25transform_config_selectorIlLb0EEEZNS1_14transform_implILb0ES3_S5_NS0_18transform_iteratorINS0_17counting_iteratorImlEEZNS1_24adjacent_difference_implIS3_Lb1ELb0EPlSB_ZN2at6native12_GLOBAL__N_124unique_dim_cuda_templateIN3c104HalfEEESt5tupleIJNSC_6TensorESJ_SJ_EERKSJ_lbbbEUlllE1_EE10hipError_tPvRmT2_T3_mT4_P12ihipStream_tbEUlmE_lEESB_NS0_8identityIvEEEESO_SR_SS_mST_SV_bEUlT_E_NS1_11comp_targetILNS1_3genE2ELNS1_11target_archE906ELNS1_3gpuE6ELNS1_3repE0EEENS1_30default_config_static_selectorELNS0_4arch9wavefront6targetE1EEEvT1_
                                        ; -- End function
	.section	.AMDGPU.csdata,"",@progbits
; Kernel info:
; codeLenInByte = 0
; NumSgprs: 6
; NumVgprs: 0
; NumAgprs: 0
; TotalNumVgprs: 0
; ScratchSize: 0
; MemoryBound: 0
; FloatMode: 240
; IeeeMode: 1
; LDSByteSize: 0 bytes/workgroup (compile time only)
; SGPRBlocks: 0
; VGPRBlocks: 0
; NumSGPRsForWavesPerEU: 6
; NumVGPRsForWavesPerEU: 1
; AccumOffset: 4
; Occupancy: 8
; WaveLimiterHint : 0
; COMPUTE_PGM_RSRC2:SCRATCH_EN: 0
; COMPUTE_PGM_RSRC2:USER_SGPR: 2
; COMPUTE_PGM_RSRC2:TRAP_HANDLER: 0
; COMPUTE_PGM_RSRC2:TGID_X_EN: 1
; COMPUTE_PGM_RSRC2:TGID_Y_EN: 0
; COMPUTE_PGM_RSRC2:TGID_Z_EN: 0
; COMPUTE_PGM_RSRC2:TIDIG_COMP_CNT: 0
; COMPUTE_PGM_RSRC3_GFX90A:ACCUM_OFFSET: 0
; COMPUTE_PGM_RSRC3_GFX90A:TG_SPLIT: 0
	.section	.text._ZN7rocprim17ROCPRIM_400000_NS6detail17trampoline_kernelINS0_14default_configENS1_25transform_config_selectorIlLb0EEEZNS1_14transform_implILb0ES3_S5_NS0_18transform_iteratorINS0_17counting_iteratorImlEEZNS1_24adjacent_difference_implIS3_Lb1ELb0EPlSB_ZN2at6native12_GLOBAL__N_124unique_dim_cuda_templateIN3c104HalfEEESt5tupleIJNSC_6TensorESJ_SJ_EERKSJ_lbbbEUlllE1_EE10hipError_tPvRmT2_T3_mT4_P12ihipStream_tbEUlmE_lEESB_NS0_8identityIvEEEESO_SR_SS_mST_SV_bEUlT_E_NS1_11comp_targetILNS1_3genE10ELNS1_11target_archE1201ELNS1_3gpuE5ELNS1_3repE0EEENS1_30default_config_static_selectorELNS0_4arch9wavefront6targetE1EEEvT1_,"axG",@progbits,_ZN7rocprim17ROCPRIM_400000_NS6detail17trampoline_kernelINS0_14default_configENS1_25transform_config_selectorIlLb0EEEZNS1_14transform_implILb0ES3_S5_NS0_18transform_iteratorINS0_17counting_iteratorImlEEZNS1_24adjacent_difference_implIS3_Lb1ELb0EPlSB_ZN2at6native12_GLOBAL__N_124unique_dim_cuda_templateIN3c104HalfEEESt5tupleIJNSC_6TensorESJ_SJ_EERKSJ_lbbbEUlllE1_EE10hipError_tPvRmT2_T3_mT4_P12ihipStream_tbEUlmE_lEESB_NS0_8identityIvEEEESO_SR_SS_mST_SV_bEUlT_E_NS1_11comp_targetILNS1_3genE10ELNS1_11target_archE1201ELNS1_3gpuE5ELNS1_3repE0EEENS1_30default_config_static_selectorELNS0_4arch9wavefront6targetE1EEEvT1_,comdat
	.globl	_ZN7rocprim17ROCPRIM_400000_NS6detail17trampoline_kernelINS0_14default_configENS1_25transform_config_selectorIlLb0EEEZNS1_14transform_implILb0ES3_S5_NS0_18transform_iteratorINS0_17counting_iteratorImlEEZNS1_24adjacent_difference_implIS3_Lb1ELb0EPlSB_ZN2at6native12_GLOBAL__N_124unique_dim_cuda_templateIN3c104HalfEEESt5tupleIJNSC_6TensorESJ_SJ_EERKSJ_lbbbEUlllE1_EE10hipError_tPvRmT2_T3_mT4_P12ihipStream_tbEUlmE_lEESB_NS0_8identityIvEEEESO_SR_SS_mST_SV_bEUlT_E_NS1_11comp_targetILNS1_3genE10ELNS1_11target_archE1201ELNS1_3gpuE5ELNS1_3repE0EEENS1_30default_config_static_selectorELNS0_4arch9wavefront6targetE1EEEvT1_ ; -- Begin function _ZN7rocprim17ROCPRIM_400000_NS6detail17trampoline_kernelINS0_14default_configENS1_25transform_config_selectorIlLb0EEEZNS1_14transform_implILb0ES3_S5_NS0_18transform_iteratorINS0_17counting_iteratorImlEEZNS1_24adjacent_difference_implIS3_Lb1ELb0EPlSB_ZN2at6native12_GLOBAL__N_124unique_dim_cuda_templateIN3c104HalfEEESt5tupleIJNSC_6TensorESJ_SJ_EERKSJ_lbbbEUlllE1_EE10hipError_tPvRmT2_T3_mT4_P12ihipStream_tbEUlmE_lEESB_NS0_8identityIvEEEESO_SR_SS_mST_SV_bEUlT_E_NS1_11comp_targetILNS1_3genE10ELNS1_11target_archE1201ELNS1_3gpuE5ELNS1_3repE0EEENS1_30default_config_static_selectorELNS0_4arch9wavefront6targetE1EEEvT1_
	.p2align	8
	.type	_ZN7rocprim17ROCPRIM_400000_NS6detail17trampoline_kernelINS0_14default_configENS1_25transform_config_selectorIlLb0EEEZNS1_14transform_implILb0ES3_S5_NS0_18transform_iteratorINS0_17counting_iteratorImlEEZNS1_24adjacent_difference_implIS3_Lb1ELb0EPlSB_ZN2at6native12_GLOBAL__N_124unique_dim_cuda_templateIN3c104HalfEEESt5tupleIJNSC_6TensorESJ_SJ_EERKSJ_lbbbEUlllE1_EE10hipError_tPvRmT2_T3_mT4_P12ihipStream_tbEUlmE_lEESB_NS0_8identityIvEEEESO_SR_SS_mST_SV_bEUlT_E_NS1_11comp_targetILNS1_3genE10ELNS1_11target_archE1201ELNS1_3gpuE5ELNS1_3repE0EEENS1_30default_config_static_selectorELNS0_4arch9wavefront6targetE1EEEvT1_,@function
_ZN7rocprim17ROCPRIM_400000_NS6detail17trampoline_kernelINS0_14default_configENS1_25transform_config_selectorIlLb0EEEZNS1_14transform_implILb0ES3_S5_NS0_18transform_iteratorINS0_17counting_iteratorImlEEZNS1_24adjacent_difference_implIS3_Lb1ELb0EPlSB_ZN2at6native12_GLOBAL__N_124unique_dim_cuda_templateIN3c104HalfEEESt5tupleIJNSC_6TensorESJ_SJ_EERKSJ_lbbbEUlllE1_EE10hipError_tPvRmT2_T3_mT4_P12ihipStream_tbEUlmE_lEESB_NS0_8identityIvEEEESO_SR_SS_mST_SV_bEUlT_E_NS1_11comp_targetILNS1_3genE10ELNS1_11target_archE1201ELNS1_3gpuE5ELNS1_3repE0EEENS1_30default_config_static_selectorELNS0_4arch9wavefront6targetE1EEEvT1_: ; @_ZN7rocprim17ROCPRIM_400000_NS6detail17trampoline_kernelINS0_14default_configENS1_25transform_config_selectorIlLb0EEEZNS1_14transform_implILb0ES3_S5_NS0_18transform_iteratorINS0_17counting_iteratorImlEEZNS1_24adjacent_difference_implIS3_Lb1ELb0EPlSB_ZN2at6native12_GLOBAL__N_124unique_dim_cuda_templateIN3c104HalfEEESt5tupleIJNSC_6TensorESJ_SJ_EERKSJ_lbbbEUlllE1_EE10hipError_tPvRmT2_T3_mT4_P12ihipStream_tbEUlmE_lEESB_NS0_8identityIvEEEESO_SR_SS_mST_SV_bEUlT_E_NS1_11comp_targetILNS1_3genE10ELNS1_11target_archE1201ELNS1_3gpuE5ELNS1_3repE0EEENS1_30default_config_static_selectorELNS0_4arch9wavefront6targetE1EEEvT1_
; %bb.0:
	.section	.rodata,"a",@progbits
	.p2align	6, 0x0
	.amdhsa_kernel _ZN7rocprim17ROCPRIM_400000_NS6detail17trampoline_kernelINS0_14default_configENS1_25transform_config_selectorIlLb0EEEZNS1_14transform_implILb0ES3_S5_NS0_18transform_iteratorINS0_17counting_iteratorImlEEZNS1_24adjacent_difference_implIS3_Lb1ELb0EPlSB_ZN2at6native12_GLOBAL__N_124unique_dim_cuda_templateIN3c104HalfEEESt5tupleIJNSC_6TensorESJ_SJ_EERKSJ_lbbbEUlllE1_EE10hipError_tPvRmT2_T3_mT4_P12ihipStream_tbEUlmE_lEESB_NS0_8identityIvEEEESO_SR_SS_mST_SV_bEUlT_E_NS1_11comp_targetILNS1_3genE10ELNS1_11target_archE1201ELNS1_3gpuE5ELNS1_3repE0EEENS1_30default_config_static_selectorELNS0_4arch9wavefront6targetE1EEEvT1_
		.amdhsa_group_segment_fixed_size 0
		.amdhsa_private_segment_fixed_size 0
		.amdhsa_kernarg_size 56
		.amdhsa_user_sgpr_count 2
		.amdhsa_user_sgpr_dispatch_ptr 0
		.amdhsa_user_sgpr_queue_ptr 0
		.amdhsa_user_sgpr_kernarg_segment_ptr 1
		.amdhsa_user_sgpr_dispatch_id 0
		.amdhsa_user_sgpr_kernarg_preload_length 0
		.amdhsa_user_sgpr_kernarg_preload_offset 0
		.amdhsa_user_sgpr_private_segment_size 0
		.amdhsa_uses_dynamic_stack 0
		.amdhsa_enable_private_segment 0
		.amdhsa_system_sgpr_workgroup_id_x 1
		.amdhsa_system_sgpr_workgroup_id_y 0
		.amdhsa_system_sgpr_workgroup_id_z 0
		.amdhsa_system_sgpr_workgroup_info 0
		.amdhsa_system_vgpr_workitem_id 0
		.amdhsa_next_free_vgpr 1
		.amdhsa_next_free_sgpr 0
		.amdhsa_accum_offset 4
		.amdhsa_reserve_vcc 0
		.amdhsa_float_round_mode_32 0
		.amdhsa_float_round_mode_16_64 0
		.amdhsa_float_denorm_mode_32 3
		.amdhsa_float_denorm_mode_16_64 3
		.amdhsa_dx10_clamp 1
		.amdhsa_ieee_mode 1
		.amdhsa_fp16_overflow 0
		.amdhsa_tg_split 0
		.amdhsa_exception_fp_ieee_invalid_op 0
		.amdhsa_exception_fp_denorm_src 0
		.amdhsa_exception_fp_ieee_div_zero 0
		.amdhsa_exception_fp_ieee_overflow 0
		.amdhsa_exception_fp_ieee_underflow 0
		.amdhsa_exception_fp_ieee_inexact 0
		.amdhsa_exception_int_div_zero 0
	.end_amdhsa_kernel
	.section	.text._ZN7rocprim17ROCPRIM_400000_NS6detail17trampoline_kernelINS0_14default_configENS1_25transform_config_selectorIlLb0EEEZNS1_14transform_implILb0ES3_S5_NS0_18transform_iteratorINS0_17counting_iteratorImlEEZNS1_24adjacent_difference_implIS3_Lb1ELb0EPlSB_ZN2at6native12_GLOBAL__N_124unique_dim_cuda_templateIN3c104HalfEEESt5tupleIJNSC_6TensorESJ_SJ_EERKSJ_lbbbEUlllE1_EE10hipError_tPvRmT2_T3_mT4_P12ihipStream_tbEUlmE_lEESB_NS0_8identityIvEEEESO_SR_SS_mST_SV_bEUlT_E_NS1_11comp_targetILNS1_3genE10ELNS1_11target_archE1201ELNS1_3gpuE5ELNS1_3repE0EEENS1_30default_config_static_selectorELNS0_4arch9wavefront6targetE1EEEvT1_,"axG",@progbits,_ZN7rocprim17ROCPRIM_400000_NS6detail17trampoline_kernelINS0_14default_configENS1_25transform_config_selectorIlLb0EEEZNS1_14transform_implILb0ES3_S5_NS0_18transform_iteratorINS0_17counting_iteratorImlEEZNS1_24adjacent_difference_implIS3_Lb1ELb0EPlSB_ZN2at6native12_GLOBAL__N_124unique_dim_cuda_templateIN3c104HalfEEESt5tupleIJNSC_6TensorESJ_SJ_EERKSJ_lbbbEUlllE1_EE10hipError_tPvRmT2_T3_mT4_P12ihipStream_tbEUlmE_lEESB_NS0_8identityIvEEEESO_SR_SS_mST_SV_bEUlT_E_NS1_11comp_targetILNS1_3genE10ELNS1_11target_archE1201ELNS1_3gpuE5ELNS1_3repE0EEENS1_30default_config_static_selectorELNS0_4arch9wavefront6targetE1EEEvT1_,comdat
.Lfunc_end1293:
	.size	_ZN7rocprim17ROCPRIM_400000_NS6detail17trampoline_kernelINS0_14default_configENS1_25transform_config_selectorIlLb0EEEZNS1_14transform_implILb0ES3_S5_NS0_18transform_iteratorINS0_17counting_iteratorImlEEZNS1_24adjacent_difference_implIS3_Lb1ELb0EPlSB_ZN2at6native12_GLOBAL__N_124unique_dim_cuda_templateIN3c104HalfEEESt5tupleIJNSC_6TensorESJ_SJ_EERKSJ_lbbbEUlllE1_EE10hipError_tPvRmT2_T3_mT4_P12ihipStream_tbEUlmE_lEESB_NS0_8identityIvEEEESO_SR_SS_mST_SV_bEUlT_E_NS1_11comp_targetILNS1_3genE10ELNS1_11target_archE1201ELNS1_3gpuE5ELNS1_3repE0EEENS1_30default_config_static_selectorELNS0_4arch9wavefront6targetE1EEEvT1_, .Lfunc_end1293-_ZN7rocprim17ROCPRIM_400000_NS6detail17trampoline_kernelINS0_14default_configENS1_25transform_config_selectorIlLb0EEEZNS1_14transform_implILb0ES3_S5_NS0_18transform_iteratorINS0_17counting_iteratorImlEEZNS1_24adjacent_difference_implIS3_Lb1ELb0EPlSB_ZN2at6native12_GLOBAL__N_124unique_dim_cuda_templateIN3c104HalfEEESt5tupleIJNSC_6TensorESJ_SJ_EERKSJ_lbbbEUlllE1_EE10hipError_tPvRmT2_T3_mT4_P12ihipStream_tbEUlmE_lEESB_NS0_8identityIvEEEESO_SR_SS_mST_SV_bEUlT_E_NS1_11comp_targetILNS1_3genE10ELNS1_11target_archE1201ELNS1_3gpuE5ELNS1_3repE0EEENS1_30default_config_static_selectorELNS0_4arch9wavefront6targetE1EEEvT1_
                                        ; -- End function
	.section	.AMDGPU.csdata,"",@progbits
; Kernel info:
; codeLenInByte = 0
; NumSgprs: 6
; NumVgprs: 0
; NumAgprs: 0
; TotalNumVgprs: 0
; ScratchSize: 0
; MemoryBound: 0
; FloatMode: 240
; IeeeMode: 1
; LDSByteSize: 0 bytes/workgroup (compile time only)
; SGPRBlocks: 0
; VGPRBlocks: 0
; NumSGPRsForWavesPerEU: 6
; NumVGPRsForWavesPerEU: 1
; AccumOffset: 4
; Occupancy: 8
; WaveLimiterHint : 0
; COMPUTE_PGM_RSRC2:SCRATCH_EN: 0
; COMPUTE_PGM_RSRC2:USER_SGPR: 2
; COMPUTE_PGM_RSRC2:TRAP_HANDLER: 0
; COMPUTE_PGM_RSRC2:TGID_X_EN: 1
; COMPUTE_PGM_RSRC2:TGID_Y_EN: 0
; COMPUTE_PGM_RSRC2:TGID_Z_EN: 0
; COMPUTE_PGM_RSRC2:TIDIG_COMP_CNT: 0
; COMPUTE_PGM_RSRC3_GFX90A:ACCUM_OFFSET: 0
; COMPUTE_PGM_RSRC3_GFX90A:TG_SPLIT: 0
	.section	.text._ZN7rocprim17ROCPRIM_400000_NS6detail17trampoline_kernelINS0_14default_configENS1_25transform_config_selectorIlLb0EEEZNS1_14transform_implILb0ES3_S5_NS0_18transform_iteratorINS0_17counting_iteratorImlEEZNS1_24adjacent_difference_implIS3_Lb1ELb0EPlSB_ZN2at6native12_GLOBAL__N_124unique_dim_cuda_templateIN3c104HalfEEESt5tupleIJNSC_6TensorESJ_SJ_EERKSJ_lbbbEUlllE1_EE10hipError_tPvRmT2_T3_mT4_P12ihipStream_tbEUlmE_lEESB_NS0_8identityIvEEEESO_SR_SS_mST_SV_bEUlT_E_NS1_11comp_targetILNS1_3genE10ELNS1_11target_archE1200ELNS1_3gpuE4ELNS1_3repE0EEENS1_30default_config_static_selectorELNS0_4arch9wavefront6targetE1EEEvT1_,"axG",@progbits,_ZN7rocprim17ROCPRIM_400000_NS6detail17trampoline_kernelINS0_14default_configENS1_25transform_config_selectorIlLb0EEEZNS1_14transform_implILb0ES3_S5_NS0_18transform_iteratorINS0_17counting_iteratorImlEEZNS1_24adjacent_difference_implIS3_Lb1ELb0EPlSB_ZN2at6native12_GLOBAL__N_124unique_dim_cuda_templateIN3c104HalfEEESt5tupleIJNSC_6TensorESJ_SJ_EERKSJ_lbbbEUlllE1_EE10hipError_tPvRmT2_T3_mT4_P12ihipStream_tbEUlmE_lEESB_NS0_8identityIvEEEESO_SR_SS_mST_SV_bEUlT_E_NS1_11comp_targetILNS1_3genE10ELNS1_11target_archE1200ELNS1_3gpuE4ELNS1_3repE0EEENS1_30default_config_static_selectorELNS0_4arch9wavefront6targetE1EEEvT1_,comdat
	.globl	_ZN7rocprim17ROCPRIM_400000_NS6detail17trampoline_kernelINS0_14default_configENS1_25transform_config_selectorIlLb0EEEZNS1_14transform_implILb0ES3_S5_NS0_18transform_iteratorINS0_17counting_iteratorImlEEZNS1_24adjacent_difference_implIS3_Lb1ELb0EPlSB_ZN2at6native12_GLOBAL__N_124unique_dim_cuda_templateIN3c104HalfEEESt5tupleIJNSC_6TensorESJ_SJ_EERKSJ_lbbbEUlllE1_EE10hipError_tPvRmT2_T3_mT4_P12ihipStream_tbEUlmE_lEESB_NS0_8identityIvEEEESO_SR_SS_mST_SV_bEUlT_E_NS1_11comp_targetILNS1_3genE10ELNS1_11target_archE1200ELNS1_3gpuE4ELNS1_3repE0EEENS1_30default_config_static_selectorELNS0_4arch9wavefront6targetE1EEEvT1_ ; -- Begin function _ZN7rocprim17ROCPRIM_400000_NS6detail17trampoline_kernelINS0_14default_configENS1_25transform_config_selectorIlLb0EEEZNS1_14transform_implILb0ES3_S5_NS0_18transform_iteratorINS0_17counting_iteratorImlEEZNS1_24adjacent_difference_implIS3_Lb1ELb0EPlSB_ZN2at6native12_GLOBAL__N_124unique_dim_cuda_templateIN3c104HalfEEESt5tupleIJNSC_6TensorESJ_SJ_EERKSJ_lbbbEUlllE1_EE10hipError_tPvRmT2_T3_mT4_P12ihipStream_tbEUlmE_lEESB_NS0_8identityIvEEEESO_SR_SS_mST_SV_bEUlT_E_NS1_11comp_targetILNS1_3genE10ELNS1_11target_archE1200ELNS1_3gpuE4ELNS1_3repE0EEENS1_30default_config_static_selectorELNS0_4arch9wavefront6targetE1EEEvT1_
	.p2align	8
	.type	_ZN7rocprim17ROCPRIM_400000_NS6detail17trampoline_kernelINS0_14default_configENS1_25transform_config_selectorIlLb0EEEZNS1_14transform_implILb0ES3_S5_NS0_18transform_iteratorINS0_17counting_iteratorImlEEZNS1_24adjacent_difference_implIS3_Lb1ELb0EPlSB_ZN2at6native12_GLOBAL__N_124unique_dim_cuda_templateIN3c104HalfEEESt5tupleIJNSC_6TensorESJ_SJ_EERKSJ_lbbbEUlllE1_EE10hipError_tPvRmT2_T3_mT4_P12ihipStream_tbEUlmE_lEESB_NS0_8identityIvEEEESO_SR_SS_mST_SV_bEUlT_E_NS1_11comp_targetILNS1_3genE10ELNS1_11target_archE1200ELNS1_3gpuE4ELNS1_3repE0EEENS1_30default_config_static_selectorELNS0_4arch9wavefront6targetE1EEEvT1_,@function
_ZN7rocprim17ROCPRIM_400000_NS6detail17trampoline_kernelINS0_14default_configENS1_25transform_config_selectorIlLb0EEEZNS1_14transform_implILb0ES3_S5_NS0_18transform_iteratorINS0_17counting_iteratorImlEEZNS1_24adjacent_difference_implIS3_Lb1ELb0EPlSB_ZN2at6native12_GLOBAL__N_124unique_dim_cuda_templateIN3c104HalfEEESt5tupleIJNSC_6TensorESJ_SJ_EERKSJ_lbbbEUlllE1_EE10hipError_tPvRmT2_T3_mT4_P12ihipStream_tbEUlmE_lEESB_NS0_8identityIvEEEESO_SR_SS_mST_SV_bEUlT_E_NS1_11comp_targetILNS1_3genE10ELNS1_11target_archE1200ELNS1_3gpuE4ELNS1_3repE0EEENS1_30default_config_static_selectorELNS0_4arch9wavefront6targetE1EEEvT1_: ; @_ZN7rocprim17ROCPRIM_400000_NS6detail17trampoline_kernelINS0_14default_configENS1_25transform_config_selectorIlLb0EEEZNS1_14transform_implILb0ES3_S5_NS0_18transform_iteratorINS0_17counting_iteratorImlEEZNS1_24adjacent_difference_implIS3_Lb1ELb0EPlSB_ZN2at6native12_GLOBAL__N_124unique_dim_cuda_templateIN3c104HalfEEESt5tupleIJNSC_6TensorESJ_SJ_EERKSJ_lbbbEUlllE1_EE10hipError_tPvRmT2_T3_mT4_P12ihipStream_tbEUlmE_lEESB_NS0_8identityIvEEEESO_SR_SS_mST_SV_bEUlT_E_NS1_11comp_targetILNS1_3genE10ELNS1_11target_archE1200ELNS1_3gpuE4ELNS1_3repE0EEENS1_30default_config_static_selectorELNS0_4arch9wavefront6targetE1EEEvT1_
; %bb.0:
	.section	.rodata,"a",@progbits
	.p2align	6, 0x0
	.amdhsa_kernel _ZN7rocprim17ROCPRIM_400000_NS6detail17trampoline_kernelINS0_14default_configENS1_25transform_config_selectorIlLb0EEEZNS1_14transform_implILb0ES3_S5_NS0_18transform_iteratorINS0_17counting_iteratorImlEEZNS1_24adjacent_difference_implIS3_Lb1ELb0EPlSB_ZN2at6native12_GLOBAL__N_124unique_dim_cuda_templateIN3c104HalfEEESt5tupleIJNSC_6TensorESJ_SJ_EERKSJ_lbbbEUlllE1_EE10hipError_tPvRmT2_T3_mT4_P12ihipStream_tbEUlmE_lEESB_NS0_8identityIvEEEESO_SR_SS_mST_SV_bEUlT_E_NS1_11comp_targetILNS1_3genE10ELNS1_11target_archE1200ELNS1_3gpuE4ELNS1_3repE0EEENS1_30default_config_static_selectorELNS0_4arch9wavefront6targetE1EEEvT1_
		.amdhsa_group_segment_fixed_size 0
		.amdhsa_private_segment_fixed_size 0
		.amdhsa_kernarg_size 56
		.amdhsa_user_sgpr_count 2
		.amdhsa_user_sgpr_dispatch_ptr 0
		.amdhsa_user_sgpr_queue_ptr 0
		.amdhsa_user_sgpr_kernarg_segment_ptr 1
		.amdhsa_user_sgpr_dispatch_id 0
		.amdhsa_user_sgpr_kernarg_preload_length 0
		.amdhsa_user_sgpr_kernarg_preload_offset 0
		.amdhsa_user_sgpr_private_segment_size 0
		.amdhsa_uses_dynamic_stack 0
		.amdhsa_enable_private_segment 0
		.amdhsa_system_sgpr_workgroup_id_x 1
		.amdhsa_system_sgpr_workgroup_id_y 0
		.amdhsa_system_sgpr_workgroup_id_z 0
		.amdhsa_system_sgpr_workgroup_info 0
		.amdhsa_system_vgpr_workitem_id 0
		.amdhsa_next_free_vgpr 1
		.amdhsa_next_free_sgpr 0
		.amdhsa_accum_offset 4
		.amdhsa_reserve_vcc 0
		.amdhsa_float_round_mode_32 0
		.amdhsa_float_round_mode_16_64 0
		.amdhsa_float_denorm_mode_32 3
		.amdhsa_float_denorm_mode_16_64 3
		.amdhsa_dx10_clamp 1
		.amdhsa_ieee_mode 1
		.amdhsa_fp16_overflow 0
		.amdhsa_tg_split 0
		.amdhsa_exception_fp_ieee_invalid_op 0
		.amdhsa_exception_fp_denorm_src 0
		.amdhsa_exception_fp_ieee_div_zero 0
		.amdhsa_exception_fp_ieee_overflow 0
		.amdhsa_exception_fp_ieee_underflow 0
		.amdhsa_exception_fp_ieee_inexact 0
		.amdhsa_exception_int_div_zero 0
	.end_amdhsa_kernel
	.section	.text._ZN7rocprim17ROCPRIM_400000_NS6detail17trampoline_kernelINS0_14default_configENS1_25transform_config_selectorIlLb0EEEZNS1_14transform_implILb0ES3_S5_NS0_18transform_iteratorINS0_17counting_iteratorImlEEZNS1_24adjacent_difference_implIS3_Lb1ELb0EPlSB_ZN2at6native12_GLOBAL__N_124unique_dim_cuda_templateIN3c104HalfEEESt5tupleIJNSC_6TensorESJ_SJ_EERKSJ_lbbbEUlllE1_EE10hipError_tPvRmT2_T3_mT4_P12ihipStream_tbEUlmE_lEESB_NS0_8identityIvEEEESO_SR_SS_mST_SV_bEUlT_E_NS1_11comp_targetILNS1_3genE10ELNS1_11target_archE1200ELNS1_3gpuE4ELNS1_3repE0EEENS1_30default_config_static_selectorELNS0_4arch9wavefront6targetE1EEEvT1_,"axG",@progbits,_ZN7rocprim17ROCPRIM_400000_NS6detail17trampoline_kernelINS0_14default_configENS1_25transform_config_selectorIlLb0EEEZNS1_14transform_implILb0ES3_S5_NS0_18transform_iteratorINS0_17counting_iteratorImlEEZNS1_24adjacent_difference_implIS3_Lb1ELb0EPlSB_ZN2at6native12_GLOBAL__N_124unique_dim_cuda_templateIN3c104HalfEEESt5tupleIJNSC_6TensorESJ_SJ_EERKSJ_lbbbEUlllE1_EE10hipError_tPvRmT2_T3_mT4_P12ihipStream_tbEUlmE_lEESB_NS0_8identityIvEEEESO_SR_SS_mST_SV_bEUlT_E_NS1_11comp_targetILNS1_3genE10ELNS1_11target_archE1200ELNS1_3gpuE4ELNS1_3repE0EEENS1_30default_config_static_selectorELNS0_4arch9wavefront6targetE1EEEvT1_,comdat
.Lfunc_end1294:
	.size	_ZN7rocprim17ROCPRIM_400000_NS6detail17trampoline_kernelINS0_14default_configENS1_25transform_config_selectorIlLb0EEEZNS1_14transform_implILb0ES3_S5_NS0_18transform_iteratorINS0_17counting_iteratorImlEEZNS1_24adjacent_difference_implIS3_Lb1ELb0EPlSB_ZN2at6native12_GLOBAL__N_124unique_dim_cuda_templateIN3c104HalfEEESt5tupleIJNSC_6TensorESJ_SJ_EERKSJ_lbbbEUlllE1_EE10hipError_tPvRmT2_T3_mT4_P12ihipStream_tbEUlmE_lEESB_NS0_8identityIvEEEESO_SR_SS_mST_SV_bEUlT_E_NS1_11comp_targetILNS1_3genE10ELNS1_11target_archE1200ELNS1_3gpuE4ELNS1_3repE0EEENS1_30default_config_static_selectorELNS0_4arch9wavefront6targetE1EEEvT1_, .Lfunc_end1294-_ZN7rocprim17ROCPRIM_400000_NS6detail17trampoline_kernelINS0_14default_configENS1_25transform_config_selectorIlLb0EEEZNS1_14transform_implILb0ES3_S5_NS0_18transform_iteratorINS0_17counting_iteratorImlEEZNS1_24adjacent_difference_implIS3_Lb1ELb0EPlSB_ZN2at6native12_GLOBAL__N_124unique_dim_cuda_templateIN3c104HalfEEESt5tupleIJNSC_6TensorESJ_SJ_EERKSJ_lbbbEUlllE1_EE10hipError_tPvRmT2_T3_mT4_P12ihipStream_tbEUlmE_lEESB_NS0_8identityIvEEEESO_SR_SS_mST_SV_bEUlT_E_NS1_11comp_targetILNS1_3genE10ELNS1_11target_archE1200ELNS1_3gpuE4ELNS1_3repE0EEENS1_30default_config_static_selectorELNS0_4arch9wavefront6targetE1EEEvT1_
                                        ; -- End function
	.section	.AMDGPU.csdata,"",@progbits
; Kernel info:
; codeLenInByte = 0
; NumSgprs: 6
; NumVgprs: 0
; NumAgprs: 0
; TotalNumVgprs: 0
; ScratchSize: 0
; MemoryBound: 0
; FloatMode: 240
; IeeeMode: 1
; LDSByteSize: 0 bytes/workgroup (compile time only)
; SGPRBlocks: 0
; VGPRBlocks: 0
; NumSGPRsForWavesPerEU: 6
; NumVGPRsForWavesPerEU: 1
; AccumOffset: 4
; Occupancy: 8
; WaveLimiterHint : 0
; COMPUTE_PGM_RSRC2:SCRATCH_EN: 0
; COMPUTE_PGM_RSRC2:USER_SGPR: 2
; COMPUTE_PGM_RSRC2:TRAP_HANDLER: 0
; COMPUTE_PGM_RSRC2:TGID_X_EN: 1
; COMPUTE_PGM_RSRC2:TGID_Y_EN: 0
; COMPUTE_PGM_RSRC2:TGID_Z_EN: 0
; COMPUTE_PGM_RSRC2:TIDIG_COMP_CNT: 0
; COMPUTE_PGM_RSRC3_GFX90A:ACCUM_OFFSET: 0
; COMPUTE_PGM_RSRC3_GFX90A:TG_SPLIT: 0
	.section	.text._ZN7rocprim17ROCPRIM_400000_NS6detail17trampoline_kernelINS0_14default_configENS1_25transform_config_selectorIlLb0EEEZNS1_14transform_implILb0ES3_S5_NS0_18transform_iteratorINS0_17counting_iteratorImlEEZNS1_24adjacent_difference_implIS3_Lb1ELb0EPlSB_ZN2at6native12_GLOBAL__N_124unique_dim_cuda_templateIN3c104HalfEEESt5tupleIJNSC_6TensorESJ_SJ_EERKSJ_lbbbEUlllE1_EE10hipError_tPvRmT2_T3_mT4_P12ihipStream_tbEUlmE_lEESB_NS0_8identityIvEEEESO_SR_SS_mST_SV_bEUlT_E_NS1_11comp_targetILNS1_3genE9ELNS1_11target_archE1100ELNS1_3gpuE3ELNS1_3repE0EEENS1_30default_config_static_selectorELNS0_4arch9wavefront6targetE1EEEvT1_,"axG",@progbits,_ZN7rocprim17ROCPRIM_400000_NS6detail17trampoline_kernelINS0_14default_configENS1_25transform_config_selectorIlLb0EEEZNS1_14transform_implILb0ES3_S5_NS0_18transform_iteratorINS0_17counting_iteratorImlEEZNS1_24adjacent_difference_implIS3_Lb1ELb0EPlSB_ZN2at6native12_GLOBAL__N_124unique_dim_cuda_templateIN3c104HalfEEESt5tupleIJNSC_6TensorESJ_SJ_EERKSJ_lbbbEUlllE1_EE10hipError_tPvRmT2_T3_mT4_P12ihipStream_tbEUlmE_lEESB_NS0_8identityIvEEEESO_SR_SS_mST_SV_bEUlT_E_NS1_11comp_targetILNS1_3genE9ELNS1_11target_archE1100ELNS1_3gpuE3ELNS1_3repE0EEENS1_30default_config_static_selectorELNS0_4arch9wavefront6targetE1EEEvT1_,comdat
	.globl	_ZN7rocprim17ROCPRIM_400000_NS6detail17trampoline_kernelINS0_14default_configENS1_25transform_config_selectorIlLb0EEEZNS1_14transform_implILb0ES3_S5_NS0_18transform_iteratorINS0_17counting_iteratorImlEEZNS1_24adjacent_difference_implIS3_Lb1ELb0EPlSB_ZN2at6native12_GLOBAL__N_124unique_dim_cuda_templateIN3c104HalfEEESt5tupleIJNSC_6TensorESJ_SJ_EERKSJ_lbbbEUlllE1_EE10hipError_tPvRmT2_T3_mT4_P12ihipStream_tbEUlmE_lEESB_NS0_8identityIvEEEESO_SR_SS_mST_SV_bEUlT_E_NS1_11comp_targetILNS1_3genE9ELNS1_11target_archE1100ELNS1_3gpuE3ELNS1_3repE0EEENS1_30default_config_static_selectorELNS0_4arch9wavefront6targetE1EEEvT1_ ; -- Begin function _ZN7rocprim17ROCPRIM_400000_NS6detail17trampoline_kernelINS0_14default_configENS1_25transform_config_selectorIlLb0EEEZNS1_14transform_implILb0ES3_S5_NS0_18transform_iteratorINS0_17counting_iteratorImlEEZNS1_24adjacent_difference_implIS3_Lb1ELb0EPlSB_ZN2at6native12_GLOBAL__N_124unique_dim_cuda_templateIN3c104HalfEEESt5tupleIJNSC_6TensorESJ_SJ_EERKSJ_lbbbEUlllE1_EE10hipError_tPvRmT2_T3_mT4_P12ihipStream_tbEUlmE_lEESB_NS0_8identityIvEEEESO_SR_SS_mST_SV_bEUlT_E_NS1_11comp_targetILNS1_3genE9ELNS1_11target_archE1100ELNS1_3gpuE3ELNS1_3repE0EEENS1_30default_config_static_selectorELNS0_4arch9wavefront6targetE1EEEvT1_
	.p2align	8
	.type	_ZN7rocprim17ROCPRIM_400000_NS6detail17trampoline_kernelINS0_14default_configENS1_25transform_config_selectorIlLb0EEEZNS1_14transform_implILb0ES3_S5_NS0_18transform_iteratorINS0_17counting_iteratorImlEEZNS1_24adjacent_difference_implIS3_Lb1ELb0EPlSB_ZN2at6native12_GLOBAL__N_124unique_dim_cuda_templateIN3c104HalfEEESt5tupleIJNSC_6TensorESJ_SJ_EERKSJ_lbbbEUlllE1_EE10hipError_tPvRmT2_T3_mT4_P12ihipStream_tbEUlmE_lEESB_NS0_8identityIvEEEESO_SR_SS_mST_SV_bEUlT_E_NS1_11comp_targetILNS1_3genE9ELNS1_11target_archE1100ELNS1_3gpuE3ELNS1_3repE0EEENS1_30default_config_static_selectorELNS0_4arch9wavefront6targetE1EEEvT1_,@function
_ZN7rocprim17ROCPRIM_400000_NS6detail17trampoline_kernelINS0_14default_configENS1_25transform_config_selectorIlLb0EEEZNS1_14transform_implILb0ES3_S5_NS0_18transform_iteratorINS0_17counting_iteratorImlEEZNS1_24adjacent_difference_implIS3_Lb1ELb0EPlSB_ZN2at6native12_GLOBAL__N_124unique_dim_cuda_templateIN3c104HalfEEESt5tupleIJNSC_6TensorESJ_SJ_EERKSJ_lbbbEUlllE1_EE10hipError_tPvRmT2_T3_mT4_P12ihipStream_tbEUlmE_lEESB_NS0_8identityIvEEEESO_SR_SS_mST_SV_bEUlT_E_NS1_11comp_targetILNS1_3genE9ELNS1_11target_archE1100ELNS1_3gpuE3ELNS1_3repE0EEENS1_30default_config_static_selectorELNS0_4arch9wavefront6targetE1EEEvT1_: ; @_ZN7rocprim17ROCPRIM_400000_NS6detail17trampoline_kernelINS0_14default_configENS1_25transform_config_selectorIlLb0EEEZNS1_14transform_implILb0ES3_S5_NS0_18transform_iteratorINS0_17counting_iteratorImlEEZNS1_24adjacent_difference_implIS3_Lb1ELb0EPlSB_ZN2at6native12_GLOBAL__N_124unique_dim_cuda_templateIN3c104HalfEEESt5tupleIJNSC_6TensorESJ_SJ_EERKSJ_lbbbEUlllE1_EE10hipError_tPvRmT2_T3_mT4_P12ihipStream_tbEUlmE_lEESB_NS0_8identityIvEEEESO_SR_SS_mST_SV_bEUlT_E_NS1_11comp_targetILNS1_3genE9ELNS1_11target_archE1100ELNS1_3gpuE3ELNS1_3repE0EEENS1_30default_config_static_selectorELNS0_4arch9wavefront6targetE1EEEvT1_
; %bb.0:
	.section	.rodata,"a",@progbits
	.p2align	6, 0x0
	.amdhsa_kernel _ZN7rocprim17ROCPRIM_400000_NS6detail17trampoline_kernelINS0_14default_configENS1_25transform_config_selectorIlLb0EEEZNS1_14transform_implILb0ES3_S5_NS0_18transform_iteratorINS0_17counting_iteratorImlEEZNS1_24adjacent_difference_implIS3_Lb1ELb0EPlSB_ZN2at6native12_GLOBAL__N_124unique_dim_cuda_templateIN3c104HalfEEESt5tupleIJNSC_6TensorESJ_SJ_EERKSJ_lbbbEUlllE1_EE10hipError_tPvRmT2_T3_mT4_P12ihipStream_tbEUlmE_lEESB_NS0_8identityIvEEEESO_SR_SS_mST_SV_bEUlT_E_NS1_11comp_targetILNS1_3genE9ELNS1_11target_archE1100ELNS1_3gpuE3ELNS1_3repE0EEENS1_30default_config_static_selectorELNS0_4arch9wavefront6targetE1EEEvT1_
		.amdhsa_group_segment_fixed_size 0
		.amdhsa_private_segment_fixed_size 0
		.amdhsa_kernarg_size 56
		.amdhsa_user_sgpr_count 2
		.amdhsa_user_sgpr_dispatch_ptr 0
		.amdhsa_user_sgpr_queue_ptr 0
		.amdhsa_user_sgpr_kernarg_segment_ptr 1
		.amdhsa_user_sgpr_dispatch_id 0
		.amdhsa_user_sgpr_kernarg_preload_length 0
		.amdhsa_user_sgpr_kernarg_preload_offset 0
		.amdhsa_user_sgpr_private_segment_size 0
		.amdhsa_uses_dynamic_stack 0
		.amdhsa_enable_private_segment 0
		.amdhsa_system_sgpr_workgroup_id_x 1
		.amdhsa_system_sgpr_workgroup_id_y 0
		.amdhsa_system_sgpr_workgroup_id_z 0
		.amdhsa_system_sgpr_workgroup_info 0
		.amdhsa_system_vgpr_workitem_id 0
		.amdhsa_next_free_vgpr 1
		.amdhsa_next_free_sgpr 0
		.amdhsa_accum_offset 4
		.amdhsa_reserve_vcc 0
		.amdhsa_float_round_mode_32 0
		.amdhsa_float_round_mode_16_64 0
		.amdhsa_float_denorm_mode_32 3
		.amdhsa_float_denorm_mode_16_64 3
		.amdhsa_dx10_clamp 1
		.amdhsa_ieee_mode 1
		.amdhsa_fp16_overflow 0
		.amdhsa_tg_split 0
		.amdhsa_exception_fp_ieee_invalid_op 0
		.amdhsa_exception_fp_denorm_src 0
		.amdhsa_exception_fp_ieee_div_zero 0
		.amdhsa_exception_fp_ieee_overflow 0
		.amdhsa_exception_fp_ieee_underflow 0
		.amdhsa_exception_fp_ieee_inexact 0
		.amdhsa_exception_int_div_zero 0
	.end_amdhsa_kernel
	.section	.text._ZN7rocprim17ROCPRIM_400000_NS6detail17trampoline_kernelINS0_14default_configENS1_25transform_config_selectorIlLb0EEEZNS1_14transform_implILb0ES3_S5_NS0_18transform_iteratorINS0_17counting_iteratorImlEEZNS1_24adjacent_difference_implIS3_Lb1ELb0EPlSB_ZN2at6native12_GLOBAL__N_124unique_dim_cuda_templateIN3c104HalfEEESt5tupleIJNSC_6TensorESJ_SJ_EERKSJ_lbbbEUlllE1_EE10hipError_tPvRmT2_T3_mT4_P12ihipStream_tbEUlmE_lEESB_NS0_8identityIvEEEESO_SR_SS_mST_SV_bEUlT_E_NS1_11comp_targetILNS1_3genE9ELNS1_11target_archE1100ELNS1_3gpuE3ELNS1_3repE0EEENS1_30default_config_static_selectorELNS0_4arch9wavefront6targetE1EEEvT1_,"axG",@progbits,_ZN7rocprim17ROCPRIM_400000_NS6detail17trampoline_kernelINS0_14default_configENS1_25transform_config_selectorIlLb0EEEZNS1_14transform_implILb0ES3_S5_NS0_18transform_iteratorINS0_17counting_iteratorImlEEZNS1_24adjacent_difference_implIS3_Lb1ELb0EPlSB_ZN2at6native12_GLOBAL__N_124unique_dim_cuda_templateIN3c104HalfEEESt5tupleIJNSC_6TensorESJ_SJ_EERKSJ_lbbbEUlllE1_EE10hipError_tPvRmT2_T3_mT4_P12ihipStream_tbEUlmE_lEESB_NS0_8identityIvEEEESO_SR_SS_mST_SV_bEUlT_E_NS1_11comp_targetILNS1_3genE9ELNS1_11target_archE1100ELNS1_3gpuE3ELNS1_3repE0EEENS1_30default_config_static_selectorELNS0_4arch9wavefront6targetE1EEEvT1_,comdat
.Lfunc_end1295:
	.size	_ZN7rocprim17ROCPRIM_400000_NS6detail17trampoline_kernelINS0_14default_configENS1_25transform_config_selectorIlLb0EEEZNS1_14transform_implILb0ES3_S5_NS0_18transform_iteratorINS0_17counting_iteratorImlEEZNS1_24adjacent_difference_implIS3_Lb1ELb0EPlSB_ZN2at6native12_GLOBAL__N_124unique_dim_cuda_templateIN3c104HalfEEESt5tupleIJNSC_6TensorESJ_SJ_EERKSJ_lbbbEUlllE1_EE10hipError_tPvRmT2_T3_mT4_P12ihipStream_tbEUlmE_lEESB_NS0_8identityIvEEEESO_SR_SS_mST_SV_bEUlT_E_NS1_11comp_targetILNS1_3genE9ELNS1_11target_archE1100ELNS1_3gpuE3ELNS1_3repE0EEENS1_30default_config_static_selectorELNS0_4arch9wavefront6targetE1EEEvT1_, .Lfunc_end1295-_ZN7rocprim17ROCPRIM_400000_NS6detail17trampoline_kernelINS0_14default_configENS1_25transform_config_selectorIlLb0EEEZNS1_14transform_implILb0ES3_S5_NS0_18transform_iteratorINS0_17counting_iteratorImlEEZNS1_24adjacent_difference_implIS3_Lb1ELb0EPlSB_ZN2at6native12_GLOBAL__N_124unique_dim_cuda_templateIN3c104HalfEEESt5tupleIJNSC_6TensorESJ_SJ_EERKSJ_lbbbEUlllE1_EE10hipError_tPvRmT2_T3_mT4_P12ihipStream_tbEUlmE_lEESB_NS0_8identityIvEEEESO_SR_SS_mST_SV_bEUlT_E_NS1_11comp_targetILNS1_3genE9ELNS1_11target_archE1100ELNS1_3gpuE3ELNS1_3repE0EEENS1_30default_config_static_selectorELNS0_4arch9wavefront6targetE1EEEvT1_
                                        ; -- End function
	.section	.AMDGPU.csdata,"",@progbits
; Kernel info:
; codeLenInByte = 0
; NumSgprs: 6
; NumVgprs: 0
; NumAgprs: 0
; TotalNumVgprs: 0
; ScratchSize: 0
; MemoryBound: 0
; FloatMode: 240
; IeeeMode: 1
; LDSByteSize: 0 bytes/workgroup (compile time only)
; SGPRBlocks: 0
; VGPRBlocks: 0
; NumSGPRsForWavesPerEU: 6
; NumVGPRsForWavesPerEU: 1
; AccumOffset: 4
; Occupancy: 8
; WaveLimiterHint : 0
; COMPUTE_PGM_RSRC2:SCRATCH_EN: 0
; COMPUTE_PGM_RSRC2:USER_SGPR: 2
; COMPUTE_PGM_RSRC2:TRAP_HANDLER: 0
; COMPUTE_PGM_RSRC2:TGID_X_EN: 1
; COMPUTE_PGM_RSRC2:TGID_Y_EN: 0
; COMPUTE_PGM_RSRC2:TGID_Z_EN: 0
; COMPUTE_PGM_RSRC2:TIDIG_COMP_CNT: 0
; COMPUTE_PGM_RSRC3_GFX90A:ACCUM_OFFSET: 0
; COMPUTE_PGM_RSRC3_GFX90A:TG_SPLIT: 0
	.section	.text._ZN7rocprim17ROCPRIM_400000_NS6detail17trampoline_kernelINS0_14default_configENS1_25transform_config_selectorIlLb0EEEZNS1_14transform_implILb0ES3_S5_NS0_18transform_iteratorINS0_17counting_iteratorImlEEZNS1_24adjacent_difference_implIS3_Lb1ELb0EPlSB_ZN2at6native12_GLOBAL__N_124unique_dim_cuda_templateIN3c104HalfEEESt5tupleIJNSC_6TensorESJ_SJ_EERKSJ_lbbbEUlllE1_EE10hipError_tPvRmT2_T3_mT4_P12ihipStream_tbEUlmE_lEESB_NS0_8identityIvEEEESO_SR_SS_mST_SV_bEUlT_E_NS1_11comp_targetILNS1_3genE8ELNS1_11target_archE1030ELNS1_3gpuE2ELNS1_3repE0EEENS1_30default_config_static_selectorELNS0_4arch9wavefront6targetE1EEEvT1_,"axG",@progbits,_ZN7rocprim17ROCPRIM_400000_NS6detail17trampoline_kernelINS0_14default_configENS1_25transform_config_selectorIlLb0EEEZNS1_14transform_implILb0ES3_S5_NS0_18transform_iteratorINS0_17counting_iteratorImlEEZNS1_24adjacent_difference_implIS3_Lb1ELb0EPlSB_ZN2at6native12_GLOBAL__N_124unique_dim_cuda_templateIN3c104HalfEEESt5tupleIJNSC_6TensorESJ_SJ_EERKSJ_lbbbEUlllE1_EE10hipError_tPvRmT2_T3_mT4_P12ihipStream_tbEUlmE_lEESB_NS0_8identityIvEEEESO_SR_SS_mST_SV_bEUlT_E_NS1_11comp_targetILNS1_3genE8ELNS1_11target_archE1030ELNS1_3gpuE2ELNS1_3repE0EEENS1_30default_config_static_selectorELNS0_4arch9wavefront6targetE1EEEvT1_,comdat
	.globl	_ZN7rocprim17ROCPRIM_400000_NS6detail17trampoline_kernelINS0_14default_configENS1_25transform_config_selectorIlLb0EEEZNS1_14transform_implILb0ES3_S5_NS0_18transform_iteratorINS0_17counting_iteratorImlEEZNS1_24adjacent_difference_implIS3_Lb1ELb0EPlSB_ZN2at6native12_GLOBAL__N_124unique_dim_cuda_templateIN3c104HalfEEESt5tupleIJNSC_6TensorESJ_SJ_EERKSJ_lbbbEUlllE1_EE10hipError_tPvRmT2_T3_mT4_P12ihipStream_tbEUlmE_lEESB_NS0_8identityIvEEEESO_SR_SS_mST_SV_bEUlT_E_NS1_11comp_targetILNS1_3genE8ELNS1_11target_archE1030ELNS1_3gpuE2ELNS1_3repE0EEENS1_30default_config_static_selectorELNS0_4arch9wavefront6targetE1EEEvT1_ ; -- Begin function _ZN7rocprim17ROCPRIM_400000_NS6detail17trampoline_kernelINS0_14default_configENS1_25transform_config_selectorIlLb0EEEZNS1_14transform_implILb0ES3_S5_NS0_18transform_iteratorINS0_17counting_iteratorImlEEZNS1_24adjacent_difference_implIS3_Lb1ELb0EPlSB_ZN2at6native12_GLOBAL__N_124unique_dim_cuda_templateIN3c104HalfEEESt5tupleIJNSC_6TensorESJ_SJ_EERKSJ_lbbbEUlllE1_EE10hipError_tPvRmT2_T3_mT4_P12ihipStream_tbEUlmE_lEESB_NS0_8identityIvEEEESO_SR_SS_mST_SV_bEUlT_E_NS1_11comp_targetILNS1_3genE8ELNS1_11target_archE1030ELNS1_3gpuE2ELNS1_3repE0EEENS1_30default_config_static_selectorELNS0_4arch9wavefront6targetE1EEEvT1_
	.p2align	8
	.type	_ZN7rocprim17ROCPRIM_400000_NS6detail17trampoline_kernelINS0_14default_configENS1_25transform_config_selectorIlLb0EEEZNS1_14transform_implILb0ES3_S5_NS0_18transform_iteratorINS0_17counting_iteratorImlEEZNS1_24adjacent_difference_implIS3_Lb1ELb0EPlSB_ZN2at6native12_GLOBAL__N_124unique_dim_cuda_templateIN3c104HalfEEESt5tupleIJNSC_6TensorESJ_SJ_EERKSJ_lbbbEUlllE1_EE10hipError_tPvRmT2_T3_mT4_P12ihipStream_tbEUlmE_lEESB_NS0_8identityIvEEEESO_SR_SS_mST_SV_bEUlT_E_NS1_11comp_targetILNS1_3genE8ELNS1_11target_archE1030ELNS1_3gpuE2ELNS1_3repE0EEENS1_30default_config_static_selectorELNS0_4arch9wavefront6targetE1EEEvT1_,@function
_ZN7rocprim17ROCPRIM_400000_NS6detail17trampoline_kernelINS0_14default_configENS1_25transform_config_selectorIlLb0EEEZNS1_14transform_implILb0ES3_S5_NS0_18transform_iteratorINS0_17counting_iteratorImlEEZNS1_24adjacent_difference_implIS3_Lb1ELb0EPlSB_ZN2at6native12_GLOBAL__N_124unique_dim_cuda_templateIN3c104HalfEEESt5tupleIJNSC_6TensorESJ_SJ_EERKSJ_lbbbEUlllE1_EE10hipError_tPvRmT2_T3_mT4_P12ihipStream_tbEUlmE_lEESB_NS0_8identityIvEEEESO_SR_SS_mST_SV_bEUlT_E_NS1_11comp_targetILNS1_3genE8ELNS1_11target_archE1030ELNS1_3gpuE2ELNS1_3repE0EEENS1_30default_config_static_selectorELNS0_4arch9wavefront6targetE1EEEvT1_: ; @_ZN7rocprim17ROCPRIM_400000_NS6detail17trampoline_kernelINS0_14default_configENS1_25transform_config_selectorIlLb0EEEZNS1_14transform_implILb0ES3_S5_NS0_18transform_iteratorINS0_17counting_iteratorImlEEZNS1_24adjacent_difference_implIS3_Lb1ELb0EPlSB_ZN2at6native12_GLOBAL__N_124unique_dim_cuda_templateIN3c104HalfEEESt5tupleIJNSC_6TensorESJ_SJ_EERKSJ_lbbbEUlllE1_EE10hipError_tPvRmT2_T3_mT4_P12ihipStream_tbEUlmE_lEESB_NS0_8identityIvEEEESO_SR_SS_mST_SV_bEUlT_E_NS1_11comp_targetILNS1_3genE8ELNS1_11target_archE1030ELNS1_3gpuE2ELNS1_3repE0EEENS1_30default_config_static_selectorELNS0_4arch9wavefront6targetE1EEEvT1_
; %bb.0:
	.section	.rodata,"a",@progbits
	.p2align	6, 0x0
	.amdhsa_kernel _ZN7rocprim17ROCPRIM_400000_NS6detail17trampoline_kernelINS0_14default_configENS1_25transform_config_selectorIlLb0EEEZNS1_14transform_implILb0ES3_S5_NS0_18transform_iteratorINS0_17counting_iteratorImlEEZNS1_24adjacent_difference_implIS3_Lb1ELb0EPlSB_ZN2at6native12_GLOBAL__N_124unique_dim_cuda_templateIN3c104HalfEEESt5tupleIJNSC_6TensorESJ_SJ_EERKSJ_lbbbEUlllE1_EE10hipError_tPvRmT2_T3_mT4_P12ihipStream_tbEUlmE_lEESB_NS0_8identityIvEEEESO_SR_SS_mST_SV_bEUlT_E_NS1_11comp_targetILNS1_3genE8ELNS1_11target_archE1030ELNS1_3gpuE2ELNS1_3repE0EEENS1_30default_config_static_selectorELNS0_4arch9wavefront6targetE1EEEvT1_
		.amdhsa_group_segment_fixed_size 0
		.amdhsa_private_segment_fixed_size 0
		.amdhsa_kernarg_size 56
		.amdhsa_user_sgpr_count 2
		.amdhsa_user_sgpr_dispatch_ptr 0
		.amdhsa_user_sgpr_queue_ptr 0
		.amdhsa_user_sgpr_kernarg_segment_ptr 1
		.amdhsa_user_sgpr_dispatch_id 0
		.amdhsa_user_sgpr_kernarg_preload_length 0
		.amdhsa_user_sgpr_kernarg_preload_offset 0
		.amdhsa_user_sgpr_private_segment_size 0
		.amdhsa_uses_dynamic_stack 0
		.amdhsa_enable_private_segment 0
		.amdhsa_system_sgpr_workgroup_id_x 1
		.amdhsa_system_sgpr_workgroup_id_y 0
		.amdhsa_system_sgpr_workgroup_id_z 0
		.amdhsa_system_sgpr_workgroup_info 0
		.amdhsa_system_vgpr_workitem_id 0
		.amdhsa_next_free_vgpr 1
		.amdhsa_next_free_sgpr 0
		.amdhsa_accum_offset 4
		.amdhsa_reserve_vcc 0
		.amdhsa_float_round_mode_32 0
		.amdhsa_float_round_mode_16_64 0
		.amdhsa_float_denorm_mode_32 3
		.amdhsa_float_denorm_mode_16_64 3
		.amdhsa_dx10_clamp 1
		.amdhsa_ieee_mode 1
		.amdhsa_fp16_overflow 0
		.amdhsa_tg_split 0
		.amdhsa_exception_fp_ieee_invalid_op 0
		.amdhsa_exception_fp_denorm_src 0
		.amdhsa_exception_fp_ieee_div_zero 0
		.amdhsa_exception_fp_ieee_overflow 0
		.amdhsa_exception_fp_ieee_underflow 0
		.amdhsa_exception_fp_ieee_inexact 0
		.amdhsa_exception_int_div_zero 0
	.end_amdhsa_kernel
	.section	.text._ZN7rocprim17ROCPRIM_400000_NS6detail17trampoline_kernelINS0_14default_configENS1_25transform_config_selectorIlLb0EEEZNS1_14transform_implILb0ES3_S5_NS0_18transform_iteratorINS0_17counting_iteratorImlEEZNS1_24adjacent_difference_implIS3_Lb1ELb0EPlSB_ZN2at6native12_GLOBAL__N_124unique_dim_cuda_templateIN3c104HalfEEESt5tupleIJNSC_6TensorESJ_SJ_EERKSJ_lbbbEUlllE1_EE10hipError_tPvRmT2_T3_mT4_P12ihipStream_tbEUlmE_lEESB_NS0_8identityIvEEEESO_SR_SS_mST_SV_bEUlT_E_NS1_11comp_targetILNS1_3genE8ELNS1_11target_archE1030ELNS1_3gpuE2ELNS1_3repE0EEENS1_30default_config_static_selectorELNS0_4arch9wavefront6targetE1EEEvT1_,"axG",@progbits,_ZN7rocprim17ROCPRIM_400000_NS6detail17trampoline_kernelINS0_14default_configENS1_25transform_config_selectorIlLb0EEEZNS1_14transform_implILb0ES3_S5_NS0_18transform_iteratorINS0_17counting_iteratorImlEEZNS1_24adjacent_difference_implIS3_Lb1ELb0EPlSB_ZN2at6native12_GLOBAL__N_124unique_dim_cuda_templateIN3c104HalfEEESt5tupleIJNSC_6TensorESJ_SJ_EERKSJ_lbbbEUlllE1_EE10hipError_tPvRmT2_T3_mT4_P12ihipStream_tbEUlmE_lEESB_NS0_8identityIvEEEESO_SR_SS_mST_SV_bEUlT_E_NS1_11comp_targetILNS1_3genE8ELNS1_11target_archE1030ELNS1_3gpuE2ELNS1_3repE0EEENS1_30default_config_static_selectorELNS0_4arch9wavefront6targetE1EEEvT1_,comdat
.Lfunc_end1296:
	.size	_ZN7rocprim17ROCPRIM_400000_NS6detail17trampoline_kernelINS0_14default_configENS1_25transform_config_selectorIlLb0EEEZNS1_14transform_implILb0ES3_S5_NS0_18transform_iteratorINS0_17counting_iteratorImlEEZNS1_24adjacent_difference_implIS3_Lb1ELb0EPlSB_ZN2at6native12_GLOBAL__N_124unique_dim_cuda_templateIN3c104HalfEEESt5tupleIJNSC_6TensorESJ_SJ_EERKSJ_lbbbEUlllE1_EE10hipError_tPvRmT2_T3_mT4_P12ihipStream_tbEUlmE_lEESB_NS0_8identityIvEEEESO_SR_SS_mST_SV_bEUlT_E_NS1_11comp_targetILNS1_3genE8ELNS1_11target_archE1030ELNS1_3gpuE2ELNS1_3repE0EEENS1_30default_config_static_selectorELNS0_4arch9wavefront6targetE1EEEvT1_, .Lfunc_end1296-_ZN7rocprim17ROCPRIM_400000_NS6detail17trampoline_kernelINS0_14default_configENS1_25transform_config_selectorIlLb0EEEZNS1_14transform_implILb0ES3_S5_NS0_18transform_iteratorINS0_17counting_iteratorImlEEZNS1_24adjacent_difference_implIS3_Lb1ELb0EPlSB_ZN2at6native12_GLOBAL__N_124unique_dim_cuda_templateIN3c104HalfEEESt5tupleIJNSC_6TensorESJ_SJ_EERKSJ_lbbbEUlllE1_EE10hipError_tPvRmT2_T3_mT4_P12ihipStream_tbEUlmE_lEESB_NS0_8identityIvEEEESO_SR_SS_mST_SV_bEUlT_E_NS1_11comp_targetILNS1_3genE8ELNS1_11target_archE1030ELNS1_3gpuE2ELNS1_3repE0EEENS1_30default_config_static_selectorELNS0_4arch9wavefront6targetE1EEEvT1_
                                        ; -- End function
	.section	.AMDGPU.csdata,"",@progbits
; Kernel info:
; codeLenInByte = 0
; NumSgprs: 6
; NumVgprs: 0
; NumAgprs: 0
; TotalNumVgprs: 0
; ScratchSize: 0
; MemoryBound: 0
; FloatMode: 240
; IeeeMode: 1
; LDSByteSize: 0 bytes/workgroup (compile time only)
; SGPRBlocks: 0
; VGPRBlocks: 0
; NumSGPRsForWavesPerEU: 6
; NumVGPRsForWavesPerEU: 1
; AccumOffset: 4
; Occupancy: 8
; WaveLimiterHint : 0
; COMPUTE_PGM_RSRC2:SCRATCH_EN: 0
; COMPUTE_PGM_RSRC2:USER_SGPR: 2
; COMPUTE_PGM_RSRC2:TRAP_HANDLER: 0
; COMPUTE_PGM_RSRC2:TGID_X_EN: 1
; COMPUTE_PGM_RSRC2:TGID_Y_EN: 0
; COMPUTE_PGM_RSRC2:TGID_Z_EN: 0
; COMPUTE_PGM_RSRC2:TIDIG_COMP_CNT: 0
; COMPUTE_PGM_RSRC3_GFX90A:ACCUM_OFFSET: 0
; COMPUTE_PGM_RSRC3_GFX90A:TG_SPLIT: 0
	.section	.text._ZN7rocprim17ROCPRIM_400000_NS6detail17trampoline_kernelINS0_14default_configENS1_35adjacent_difference_config_selectorILb1ElEEZNS1_24adjacent_difference_implIS3_Lb1ELb0EPlS7_ZN2at6native12_GLOBAL__N_124unique_dim_cuda_templateIN3c104HalfEEESt5tupleIJNS8_6TensorESF_SF_EERKSF_lbbbEUlllE1_EE10hipError_tPvRmT2_T3_mT4_P12ihipStream_tbEUlT_E_NS1_11comp_targetILNS1_3genE0ELNS1_11target_archE4294967295ELNS1_3gpuE0ELNS1_3repE0EEENS1_30default_config_static_selectorELNS0_4arch9wavefront6targetE1EEEvT1_,"axG",@progbits,_ZN7rocprim17ROCPRIM_400000_NS6detail17trampoline_kernelINS0_14default_configENS1_35adjacent_difference_config_selectorILb1ElEEZNS1_24adjacent_difference_implIS3_Lb1ELb0EPlS7_ZN2at6native12_GLOBAL__N_124unique_dim_cuda_templateIN3c104HalfEEESt5tupleIJNS8_6TensorESF_SF_EERKSF_lbbbEUlllE1_EE10hipError_tPvRmT2_T3_mT4_P12ihipStream_tbEUlT_E_NS1_11comp_targetILNS1_3genE0ELNS1_11target_archE4294967295ELNS1_3gpuE0ELNS1_3repE0EEENS1_30default_config_static_selectorELNS0_4arch9wavefront6targetE1EEEvT1_,comdat
	.globl	_ZN7rocprim17ROCPRIM_400000_NS6detail17trampoline_kernelINS0_14default_configENS1_35adjacent_difference_config_selectorILb1ElEEZNS1_24adjacent_difference_implIS3_Lb1ELb0EPlS7_ZN2at6native12_GLOBAL__N_124unique_dim_cuda_templateIN3c104HalfEEESt5tupleIJNS8_6TensorESF_SF_EERKSF_lbbbEUlllE1_EE10hipError_tPvRmT2_T3_mT4_P12ihipStream_tbEUlT_E_NS1_11comp_targetILNS1_3genE0ELNS1_11target_archE4294967295ELNS1_3gpuE0ELNS1_3repE0EEENS1_30default_config_static_selectorELNS0_4arch9wavefront6targetE1EEEvT1_ ; -- Begin function _ZN7rocprim17ROCPRIM_400000_NS6detail17trampoline_kernelINS0_14default_configENS1_35adjacent_difference_config_selectorILb1ElEEZNS1_24adjacent_difference_implIS3_Lb1ELb0EPlS7_ZN2at6native12_GLOBAL__N_124unique_dim_cuda_templateIN3c104HalfEEESt5tupleIJNS8_6TensorESF_SF_EERKSF_lbbbEUlllE1_EE10hipError_tPvRmT2_T3_mT4_P12ihipStream_tbEUlT_E_NS1_11comp_targetILNS1_3genE0ELNS1_11target_archE4294967295ELNS1_3gpuE0ELNS1_3repE0EEENS1_30default_config_static_selectorELNS0_4arch9wavefront6targetE1EEEvT1_
	.p2align	8
	.type	_ZN7rocprim17ROCPRIM_400000_NS6detail17trampoline_kernelINS0_14default_configENS1_35adjacent_difference_config_selectorILb1ElEEZNS1_24adjacent_difference_implIS3_Lb1ELb0EPlS7_ZN2at6native12_GLOBAL__N_124unique_dim_cuda_templateIN3c104HalfEEESt5tupleIJNS8_6TensorESF_SF_EERKSF_lbbbEUlllE1_EE10hipError_tPvRmT2_T3_mT4_P12ihipStream_tbEUlT_E_NS1_11comp_targetILNS1_3genE0ELNS1_11target_archE4294967295ELNS1_3gpuE0ELNS1_3repE0EEENS1_30default_config_static_selectorELNS0_4arch9wavefront6targetE1EEEvT1_,@function
_ZN7rocprim17ROCPRIM_400000_NS6detail17trampoline_kernelINS0_14default_configENS1_35adjacent_difference_config_selectorILb1ElEEZNS1_24adjacent_difference_implIS3_Lb1ELb0EPlS7_ZN2at6native12_GLOBAL__N_124unique_dim_cuda_templateIN3c104HalfEEESt5tupleIJNS8_6TensorESF_SF_EERKSF_lbbbEUlllE1_EE10hipError_tPvRmT2_T3_mT4_P12ihipStream_tbEUlT_E_NS1_11comp_targetILNS1_3genE0ELNS1_11target_archE4294967295ELNS1_3gpuE0ELNS1_3repE0EEENS1_30default_config_static_selectorELNS0_4arch9wavefront6targetE1EEEvT1_: ; @_ZN7rocprim17ROCPRIM_400000_NS6detail17trampoline_kernelINS0_14default_configENS1_35adjacent_difference_config_selectorILb1ElEEZNS1_24adjacent_difference_implIS3_Lb1ELb0EPlS7_ZN2at6native12_GLOBAL__N_124unique_dim_cuda_templateIN3c104HalfEEESt5tupleIJNS8_6TensorESF_SF_EERKSF_lbbbEUlllE1_EE10hipError_tPvRmT2_T3_mT4_P12ihipStream_tbEUlT_E_NS1_11comp_targetILNS1_3genE0ELNS1_11target_archE4294967295ELNS1_3gpuE0ELNS1_3repE0EEENS1_30default_config_static_selectorELNS0_4arch9wavefront6targetE1EEEvT1_
; %bb.0:
	.section	.rodata,"a",@progbits
	.p2align	6, 0x0
	.amdhsa_kernel _ZN7rocprim17ROCPRIM_400000_NS6detail17trampoline_kernelINS0_14default_configENS1_35adjacent_difference_config_selectorILb1ElEEZNS1_24adjacent_difference_implIS3_Lb1ELb0EPlS7_ZN2at6native12_GLOBAL__N_124unique_dim_cuda_templateIN3c104HalfEEESt5tupleIJNS8_6TensorESF_SF_EERKSF_lbbbEUlllE1_EE10hipError_tPvRmT2_T3_mT4_P12ihipStream_tbEUlT_E_NS1_11comp_targetILNS1_3genE0ELNS1_11target_archE4294967295ELNS1_3gpuE0ELNS1_3repE0EEENS1_30default_config_static_selectorELNS0_4arch9wavefront6targetE1EEEvT1_
		.amdhsa_group_segment_fixed_size 0
		.amdhsa_private_segment_fixed_size 0
		.amdhsa_kernarg_size 64
		.amdhsa_user_sgpr_count 2
		.amdhsa_user_sgpr_dispatch_ptr 0
		.amdhsa_user_sgpr_queue_ptr 0
		.amdhsa_user_sgpr_kernarg_segment_ptr 1
		.amdhsa_user_sgpr_dispatch_id 0
		.amdhsa_user_sgpr_kernarg_preload_length 0
		.amdhsa_user_sgpr_kernarg_preload_offset 0
		.amdhsa_user_sgpr_private_segment_size 0
		.amdhsa_uses_dynamic_stack 0
		.amdhsa_enable_private_segment 0
		.amdhsa_system_sgpr_workgroup_id_x 1
		.amdhsa_system_sgpr_workgroup_id_y 0
		.amdhsa_system_sgpr_workgroup_id_z 0
		.amdhsa_system_sgpr_workgroup_info 0
		.amdhsa_system_vgpr_workitem_id 0
		.amdhsa_next_free_vgpr 1
		.amdhsa_next_free_sgpr 0
		.amdhsa_accum_offset 4
		.amdhsa_reserve_vcc 0
		.amdhsa_float_round_mode_32 0
		.amdhsa_float_round_mode_16_64 0
		.amdhsa_float_denorm_mode_32 3
		.amdhsa_float_denorm_mode_16_64 3
		.amdhsa_dx10_clamp 1
		.amdhsa_ieee_mode 1
		.amdhsa_fp16_overflow 0
		.amdhsa_tg_split 0
		.amdhsa_exception_fp_ieee_invalid_op 0
		.amdhsa_exception_fp_denorm_src 0
		.amdhsa_exception_fp_ieee_div_zero 0
		.amdhsa_exception_fp_ieee_overflow 0
		.amdhsa_exception_fp_ieee_underflow 0
		.amdhsa_exception_fp_ieee_inexact 0
		.amdhsa_exception_int_div_zero 0
	.end_amdhsa_kernel
	.section	.text._ZN7rocprim17ROCPRIM_400000_NS6detail17trampoline_kernelINS0_14default_configENS1_35adjacent_difference_config_selectorILb1ElEEZNS1_24adjacent_difference_implIS3_Lb1ELb0EPlS7_ZN2at6native12_GLOBAL__N_124unique_dim_cuda_templateIN3c104HalfEEESt5tupleIJNS8_6TensorESF_SF_EERKSF_lbbbEUlllE1_EE10hipError_tPvRmT2_T3_mT4_P12ihipStream_tbEUlT_E_NS1_11comp_targetILNS1_3genE0ELNS1_11target_archE4294967295ELNS1_3gpuE0ELNS1_3repE0EEENS1_30default_config_static_selectorELNS0_4arch9wavefront6targetE1EEEvT1_,"axG",@progbits,_ZN7rocprim17ROCPRIM_400000_NS6detail17trampoline_kernelINS0_14default_configENS1_35adjacent_difference_config_selectorILb1ElEEZNS1_24adjacent_difference_implIS3_Lb1ELb0EPlS7_ZN2at6native12_GLOBAL__N_124unique_dim_cuda_templateIN3c104HalfEEESt5tupleIJNS8_6TensorESF_SF_EERKSF_lbbbEUlllE1_EE10hipError_tPvRmT2_T3_mT4_P12ihipStream_tbEUlT_E_NS1_11comp_targetILNS1_3genE0ELNS1_11target_archE4294967295ELNS1_3gpuE0ELNS1_3repE0EEENS1_30default_config_static_selectorELNS0_4arch9wavefront6targetE1EEEvT1_,comdat
.Lfunc_end1297:
	.size	_ZN7rocprim17ROCPRIM_400000_NS6detail17trampoline_kernelINS0_14default_configENS1_35adjacent_difference_config_selectorILb1ElEEZNS1_24adjacent_difference_implIS3_Lb1ELb0EPlS7_ZN2at6native12_GLOBAL__N_124unique_dim_cuda_templateIN3c104HalfEEESt5tupleIJNS8_6TensorESF_SF_EERKSF_lbbbEUlllE1_EE10hipError_tPvRmT2_T3_mT4_P12ihipStream_tbEUlT_E_NS1_11comp_targetILNS1_3genE0ELNS1_11target_archE4294967295ELNS1_3gpuE0ELNS1_3repE0EEENS1_30default_config_static_selectorELNS0_4arch9wavefront6targetE1EEEvT1_, .Lfunc_end1297-_ZN7rocprim17ROCPRIM_400000_NS6detail17trampoline_kernelINS0_14default_configENS1_35adjacent_difference_config_selectorILb1ElEEZNS1_24adjacent_difference_implIS3_Lb1ELb0EPlS7_ZN2at6native12_GLOBAL__N_124unique_dim_cuda_templateIN3c104HalfEEESt5tupleIJNS8_6TensorESF_SF_EERKSF_lbbbEUlllE1_EE10hipError_tPvRmT2_T3_mT4_P12ihipStream_tbEUlT_E_NS1_11comp_targetILNS1_3genE0ELNS1_11target_archE4294967295ELNS1_3gpuE0ELNS1_3repE0EEENS1_30default_config_static_selectorELNS0_4arch9wavefront6targetE1EEEvT1_
                                        ; -- End function
	.section	.AMDGPU.csdata,"",@progbits
; Kernel info:
; codeLenInByte = 0
; NumSgprs: 6
; NumVgprs: 0
; NumAgprs: 0
; TotalNumVgprs: 0
; ScratchSize: 0
; MemoryBound: 0
; FloatMode: 240
; IeeeMode: 1
; LDSByteSize: 0 bytes/workgroup (compile time only)
; SGPRBlocks: 0
; VGPRBlocks: 0
; NumSGPRsForWavesPerEU: 6
; NumVGPRsForWavesPerEU: 1
; AccumOffset: 4
; Occupancy: 8
; WaveLimiterHint : 0
; COMPUTE_PGM_RSRC2:SCRATCH_EN: 0
; COMPUTE_PGM_RSRC2:USER_SGPR: 2
; COMPUTE_PGM_RSRC2:TRAP_HANDLER: 0
; COMPUTE_PGM_RSRC2:TGID_X_EN: 1
; COMPUTE_PGM_RSRC2:TGID_Y_EN: 0
; COMPUTE_PGM_RSRC2:TGID_Z_EN: 0
; COMPUTE_PGM_RSRC2:TIDIG_COMP_CNT: 0
; COMPUTE_PGM_RSRC3_GFX90A:ACCUM_OFFSET: 0
; COMPUTE_PGM_RSRC3_GFX90A:TG_SPLIT: 0
	.section	.text._ZN7rocprim17ROCPRIM_400000_NS6detail17trampoline_kernelINS0_14default_configENS1_35adjacent_difference_config_selectorILb1ElEEZNS1_24adjacent_difference_implIS3_Lb1ELb0EPlS7_ZN2at6native12_GLOBAL__N_124unique_dim_cuda_templateIN3c104HalfEEESt5tupleIJNS8_6TensorESF_SF_EERKSF_lbbbEUlllE1_EE10hipError_tPvRmT2_T3_mT4_P12ihipStream_tbEUlT_E_NS1_11comp_targetILNS1_3genE10ELNS1_11target_archE1201ELNS1_3gpuE5ELNS1_3repE0EEENS1_30default_config_static_selectorELNS0_4arch9wavefront6targetE1EEEvT1_,"axG",@progbits,_ZN7rocprim17ROCPRIM_400000_NS6detail17trampoline_kernelINS0_14default_configENS1_35adjacent_difference_config_selectorILb1ElEEZNS1_24adjacent_difference_implIS3_Lb1ELb0EPlS7_ZN2at6native12_GLOBAL__N_124unique_dim_cuda_templateIN3c104HalfEEESt5tupleIJNS8_6TensorESF_SF_EERKSF_lbbbEUlllE1_EE10hipError_tPvRmT2_T3_mT4_P12ihipStream_tbEUlT_E_NS1_11comp_targetILNS1_3genE10ELNS1_11target_archE1201ELNS1_3gpuE5ELNS1_3repE0EEENS1_30default_config_static_selectorELNS0_4arch9wavefront6targetE1EEEvT1_,comdat
	.globl	_ZN7rocprim17ROCPRIM_400000_NS6detail17trampoline_kernelINS0_14default_configENS1_35adjacent_difference_config_selectorILb1ElEEZNS1_24adjacent_difference_implIS3_Lb1ELb0EPlS7_ZN2at6native12_GLOBAL__N_124unique_dim_cuda_templateIN3c104HalfEEESt5tupleIJNS8_6TensorESF_SF_EERKSF_lbbbEUlllE1_EE10hipError_tPvRmT2_T3_mT4_P12ihipStream_tbEUlT_E_NS1_11comp_targetILNS1_3genE10ELNS1_11target_archE1201ELNS1_3gpuE5ELNS1_3repE0EEENS1_30default_config_static_selectorELNS0_4arch9wavefront6targetE1EEEvT1_ ; -- Begin function _ZN7rocprim17ROCPRIM_400000_NS6detail17trampoline_kernelINS0_14default_configENS1_35adjacent_difference_config_selectorILb1ElEEZNS1_24adjacent_difference_implIS3_Lb1ELb0EPlS7_ZN2at6native12_GLOBAL__N_124unique_dim_cuda_templateIN3c104HalfEEESt5tupleIJNS8_6TensorESF_SF_EERKSF_lbbbEUlllE1_EE10hipError_tPvRmT2_T3_mT4_P12ihipStream_tbEUlT_E_NS1_11comp_targetILNS1_3genE10ELNS1_11target_archE1201ELNS1_3gpuE5ELNS1_3repE0EEENS1_30default_config_static_selectorELNS0_4arch9wavefront6targetE1EEEvT1_
	.p2align	8
	.type	_ZN7rocprim17ROCPRIM_400000_NS6detail17trampoline_kernelINS0_14default_configENS1_35adjacent_difference_config_selectorILb1ElEEZNS1_24adjacent_difference_implIS3_Lb1ELb0EPlS7_ZN2at6native12_GLOBAL__N_124unique_dim_cuda_templateIN3c104HalfEEESt5tupleIJNS8_6TensorESF_SF_EERKSF_lbbbEUlllE1_EE10hipError_tPvRmT2_T3_mT4_P12ihipStream_tbEUlT_E_NS1_11comp_targetILNS1_3genE10ELNS1_11target_archE1201ELNS1_3gpuE5ELNS1_3repE0EEENS1_30default_config_static_selectorELNS0_4arch9wavefront6targetE1EEEvT1_,@function
_ZN7rocprim17ROCPRIM_400000_NS6detail17trampoline_kernelINS0_14default_configENS1_35adjacent_difference_config_selectorILb1ElEEZNS1_24adjacent_difference_implIS3_Lb1ELb0EPlS7_ZN2at6native12_GLOBAL__N_124unique_dim_cuda_templateIN3c104HalfEEESt5tupleIJNS8_6TensorESF_SF_EERKSF_lbbbEUlllE1_EE10hipError_tPvRmT2_T3_mT4_P12ihipStream_tbEUlT_E_NS1_11comp_targetILNS1_3genE10ELNS1_11target_archE1201ELNS1_3gpuE5ELNS1_3repE0EEENS1_30default_config_static_selectorELNS0_4arch9wavefront6targetE1EEEvT1_: ; @_ZN7rocprim17ROCPRIM_400000_NS6detail17trampoline_kernelINS0_14default_configENS1_35adjacent_difference_config_selectorILb1ElEEZNS1_24adjacent_difference_implIS3_Lb1ELb0EPlS7_ZN2at6native12_GLOBAL__N_124unique_dim_cuda_templateIN3c104HalfEEESt5tupleIJNS8_6TensorESF_SF_EERKSF_lbbbEUlllE1_EE10hipError_tPvRmT2_T3_mT4_P12ihipStream_tbEUlT_E_NS1_11comp_targetILNS1_3genE10ELNS1_11target_archE1201ELNS1_3gpuE5ELNS1_3repE0EEENS1_30default_config_static_selectorELNS0_4arch9wavefront6targetE1EEEvT1_
; %bb.0:
	.section	.rodata,"a",@progbits
	.p2align	6, 0x0
	.amdhsa_kernel _ZN7rocprim17ROCPRIM_400000_NS6detail17trampoline_kernelINS0_14default_configENS1_35adjacent_difference_config_selectorILb1ElEEZNS1_24adjacent_difference_implIS3_Lb1ELb0EPlS7_ZN2at6native12_GLOBAL__N_124unique_dim_cuda_templateIN3c104HalfEEESt5tupleIJNS8_6TensorESF_SF_EERKSF_lbbbEUlllE1_EE10hipError_tPvRmT2_T3_mT4_P12ihipStream_tbEUlT_E_NS1_11comp_targetILNS1_3genE10ELNS1_11target_archE1201ELNS1_3gpuE5ELNS1_3repE0EEENS1_30default_config_static_selectorELNS0_4arch9wavefront6targetE1EEEvT1_
		.amdhsa_group_segment_fixed_size 0
		.amdhsa_private_segment_fixed_size 0
		.amdhsa_kernarg_size 64
		.amdhsa_user_sgpr_count 2
		.amdhsa_user_sgpr_dispatch_ptr 0
		.amdhsa_user_sgpr_queue_ptr 0
		.amdhsa_user_sgpr_kernarg_segment_ptr 1
		.amdhsa_user_sgpr_dispatch_id 0
		.amdhsa_user_sgpr_kernarg_preload_length 0
		.amdhsa_user_sgpr_kernarg_preload_offset 0
		.amdhsa_user_sgpr_private_segment_size 0
		.amdhsa_uses_dynamic_stack 0
		.amdhsa_enable_private_segment 0
		.amdhsa_system_sgpr_workgroup_id_x 1
		.amdhsa_system_sgpr_workgroup_id_y 0
		.amdhsa_system_sgpr_workgroup_id_z 0
		.amdhsa_system_sgpr_workgroup_info 0
		.amdhsa_system_vgpr_workitem_id 0
		.amdhsa_next_free_vgpr 1
		.amdhsa_next_free_sgpr 0
		.amdhsa_accum_offset 4
		.amdhsa_reserve_vcc 0
		.amdhsa_float_round_mode_32 0
		.amdhsa_float_round_mode_16_64 0
		.amdhsa_float_denorm_mode_32 3
		.amdhsa_float_denorm_mode_16_64 3
		.amdhsa_dx10_clamp 1
		.amdhsa_ieee_mode 1
		.amdhsa_fp16_overflow 0
		.amdhsa_tg_split 0
		.amdhsa_exception_fp_ieee_invalid_op 0
		.amdhsa_exception_fp_denorm_src 0
		.amdhsa_exception_fp_ieee_div_zero 0
		.amdhsa_exception_fp_ieee_overflow 0
		.amdhsa_exception_fp_ieee_underflow 0
		.amdhsa_exception_fp_ieee_inexact 0
		.amdhsa_exception_int_div_zero 0
	.end_amdhsa_kernel
	.section	.text._ZN7rocprim17ROCPRIM_400000_NS6detail17trampoline_kernelINS0_14default_configENS1_35adjacent_difference_config_selectorILb1ElEEZNS1_24adjacent_difference_implIS3_Lb1ELb0EPlS7_ZN2at6native12_GLOBAL__N_124unique_dim_cuda_templateIN3c104HalfEEESt5tupleIJNS8_6TensorESF_SF_EERKSF_lbbbEUlllE1_EE10hipError_tPvRmT2_T3_mT4_P12ihipStream_tbEUlT_E_NS1_11comp_targetILNS1_3genE10ELNS1_11target_archE1201ELNS1_3gpuE5ELNS1_3repE0EEENS1_30default_config_static_selectorELNS0_4arch9wavefront6targetE1EEEvT1_,"axG",@progbits,_ZN7rocprim17ROCPRIM_400000_NS6detail17trampoline_kernelINS0_14default_configENS1_35adjacent_difference_config_selectorILb1ElEEZNS1_24adjacent_difference_implIS3_Lb1ELb0EPlS7_ZN2at6native12_GLOBAL__N_124unique_dim_cuda_templateIN3c104HalfEEESt5tupleIJNS8_6TensorESF_SF_EERKSF_lbbbEUlllE1_EE10hipError_tPvRmT2_T3_mT4_P12ihipStream_tbEUlT_E_NS1_11comp_targetILNS1_3genE10ELNS1_11target_archE1201ELNS1_3gpuE5ELNS1_3repE0EEENS1_30default_config_static_selectorELNS0_4arch9wavefront6targetE1EEEvT1_,comdat
.Lfunc_end1298:
	.size	_ZN7rocprim17ROCPRIM_400000_NS6detail17trampoline_kernelINS0_14default_configENS1_35adjacent_difference_config_selectorILb1ElEEZNS1_24adjacent_difference_implIS3_Lb1ELb0EPlS7_ZN2at6native12_GLOBAL__N_124unique_dim_cuda_templateIN3c104HalfEEESt5tupleIJNS8_6TensorESF_SF_EERKSF_lbbbEUlllE1_EE10hipError_tPvRmT2_T3_mT4_P12ihipStream_tbEUlT_E_NS1_11comp_targetILNS1_3genE10ELNS1_11target_archE1201ELNS1_3gpuE5ELNS1_3repE0EEENS1_30default_config_static_selectorELNS0_4arch9wavefront6targetE1EEEvT1_, .Lfunc_end1298-_ZN7rocprim17ROCPRIM_400000_NS6detail17trampoline_kernelINS0_14default_configENS1_35adjacent_difference_config_selectorILb1ElEEZNS1_24adjacent_difference_implIS3_Lb1ELb0EPlS7_ZN2at6native12_GLOBAL__N_124unique_dim_cuda_templateIN3c104HalfEEESt5tupleIJNS8_6TensorESF_SF_EERKSF_lbbbEUlllE1_EE10hipError_tPvRmT2_T3_mT4_P12ihipStream_tbEUlT_E_NS1_11comp_targetILNS1_3genE10ELNS1_11target_archE1201ELNS1_3gpuE5ELNS1_3repE0EEENS1_30default_config_static_selectorELNS0_4arch9wavefront6targetE1EEEvT1_
                                        ; -- End function
	.section	.AMDGPU.csdata,"",@progbits
; Kernel info:
; codeLenInByte = 0
; NumSgprs: 6
; NumVgprs: 0
; NumAgprs: 0
; TotalNumVgprs: 0
; ScratchSize: 0
; MemoryBound: 0
; FloatMode: 240
; IeeeMode: 1
; LDSByteSize: 0 bytes/workgroup (compile time only)
; SGPRBlocks: 0
; VGPRBlocks: 0
; NumSGPRsForWavesPerEU: 6
; NumVGPRsForWavesPerEU: 1
; AccumOffset: 4
; Occupancy: 8
; WaveLimiterHint : 0
; COMPUTE_PGM_RSRC2:SCRATCH_EN: 0
; COMPUTE_PGM_RSRC2:USER_SGPR: 2
; COMPUTE_PGM_RSRC2:TRAP_HANDLER: 0
; COMPUTE_PGM_RSRC2:TGID_X_EN: 1
; COMPUTE_PGM_RSRC2:TGID_Y_EN: 0
; COMPUTE_PGM_RSRC2:TGID_Z_EN: 0
; COMPUTE_PGM_RSRC2:TIDIG_COMP_CNT: 0
; COMPUTE_PGM_RSRC3_GFX90A:ACCUM_OFFSET: 0
; COMPUTE_PGM_RSRC3_GFX90A:TG_SPLIT: 0
	.section	.text._ZN7rocprim17ROCPRIM_400000_NS6detail17trampoline_kernelINS0_14default_configENS1_35adjacent_difference_config_selectorILb1ElEEZNS1_24adjacent_difference_implIS3_Lb1ELb0EPlS7_ZN2at6native12_GLOBAL__N_124unique_dim_cuda_templateIN3c104HalfEEESt5tupleIJNS8_6TensorESF_SF_EERKSF_lbbbEUlllE1_EE10hipError_tPvRmT2_T3_mT4_P12ihipStream_tbEUlT_E_NS1_11comp_targetILNS1_3genE5ELNS1_11target_archE942ELNS1_3gpuE9ELNS1_3repE0EEENS1_30default_config_static_selectorELNS0_4arch9wavefront6targetE1EEEvT1_,"axG",@progbits,_ZN7rocprim17ROCPRIM_400000_NS6detail17trampoline_kernelINS0_14default_configENS1_35adjacent_difference_config_selectorILb1ElEEZNS1_24adjacent_difference_implIS3_Lb1ELb0EPlS7_ZN2at6native12_GLOBAL__N_124unique_dim_cuda_templateIN3c104HalfEEESt5tupleIJNS8_6TensorESF_SF_EERKSF_lbbbEUlllE1_EE10hipError_tPvRmT2_T3_mT4_P12ihipStream_tbEUlT_E_NS1_11comp_targetILNS1_3genE5ELNS1_11target_archE942ELNS1_3gpuE9ELNS1_3repE0EEENS1_30default_config_static_selectorELNS0_4arch9wavefront6targetE1EEEvT1_,comdat
	.globl	_ZN7rocprim17ROCPRIM_400000_NS6detail17trampoline_kernelINS0_14default_configENS1_35adjacent_difference_config_selectorILb1ElEEZNS1_24adjacent_difference_implIS3_Lb1ELb0EPlS7_ZN2at6native12_GLOBAL__N_124unique_dim_cuda_templateIN3c104HalfEEESt5tupleIJNS8_6TensorESF_SF_EERKSF_lbbbEUlllE1_EE10hipError_tPvRmT2_T3_mT4_P12ihipStream_tbEUlT_E_NS1_11comp_targetILNS1_3genE5ELNS1_11target_archE942ELNS1_3gpuE9ELNS1_3repE0EEENS1_30default_config_static_selectorELNS0_4arch9wavefront6targetE1EEEvT1_ ; -- Begin function _ZN7rocprim17ROCPRIM_400000_NS6detail17trampoline_kernelINS0_14default_configENS1_35adjacent_difference_config_selectorILb1ElEEZNS1_24adjacent_difference_implIS3_Lb1ELb0EPlS7_ZN2at6native12_GLOBAL__N_124unique_dim_cuda_templateIN3c104HalfEEESt5tupleIJNS8_6TensorESF_SF_EERKSF_lbbbEUlllE1_EE10hipError_tPvRmT2_T3_mT4_P12ihipStream_tbEUlT_E_NS1_11comp_targetILNS1_3genE5ELNS1_11target_archE942ELNS1_3gpuE9ELNS1_3repE0EEENS1_30default_config_static_selectorELNS0_4arch9wavefront6targetE1EEEvT1_
	.p2align	8
	.type	_ZN7rocprim17ROCPRIM_400000_NS6detail17trampoline_kernelINS0_14default_configENS1_35adjacent_difference_config_selectorILb1ElEEZNS1_24adjacent_difference_implIS3_Lb1ELb0EPlS7_ZN2at6native12_GLOBAL__N_124unique_dim_cuda_templateIN3c104HalfEEESt5tupleIJNS8_6TensorESF_SF_EERKSF_lbbbEUlllE1_EE10hipError_tPvRmT2_T3_mT4_P12ihipStream_tbEUlT_E_NS1_11comp_targetILNS1_3genE5ELNS1_11target_archE942ELNS1_3gpuE9ELNS1_3repE0EEENS1_30default_config_static_selectorELNS0_4arch9wavefront6targetE1EEEvT1_,@function
_ZN7rocprim17ROCPRIM_400000_NS6detail17trampoline_kernelINS0_14default_configENS1_35adjacent_difference_config_selectorILb1ElEEZNS1_24adjacent_difference_implIS3_Lb1ELb0EPlS7_ZN2at6native12_GLOBAL__N_124unique_dim_cuda_templateIN3c104HalfEEESt5tupleIJNS8_6TensorESF_SF_EERKSF_lbbbEUlllE1_EE10hipError_tPvRmT2_T3_mT4_P12ihipStream_tbEUlT_E_NS1_11comp_targetILNS1_3genE5ELNS1_11target_archE942ELNS1_3gpuE9ELNS1_3repE0EEENS1_30default_config_static_selectorELNS0_4arch9wavefront6targetE1EEEvT1_: ; @_ZN7rocprim17ROCPRIM_400000_NS6detail17trampoline_kernelINS0_14default_configENS1_35adjacent_difference_config_selectorILb1ElEEZNS1_24adjacent_difference_implIS3_Lb1ELb0EPlS7_ZN2at6native12_GLOBAL__N_124unique_dim_cuda_templateIN3c104HalfEEESt5tupleIJNS8_6TensorESF_SF_EERKSF_lbbbEUlllE1_EE10hipError_tPvRmT2_T3_mT4_P12ihipStream_tbEUlT_E_NS1_11comp_targetILNS1_3genE5ELNS1_11target_archE942ELNS1_3gpuE9ELNS1_3repE0EEENS1_30default_config_static_selectorELNS0_4arch9wavefront6targetE1EEEvT1_
; %bb.0:
	s_load_dwordx16 s[4:19], s[0:1], 0x0
	s_mov_b32 s1, 0x545d15a0
	v_bfrev_b32_e32 v1, 4
	s_movk_i32 s0, 0xb00
	s_mul_i32 s20, s2, 0xb00
	s_waitcnt lgkmcnt(0)
	s_lshl_b64 s[6:7], s[6:7], 3
	s_add_u32 s30, s4, s6
	s_addc_u32 s31, s5, s7
	s_add_u32 s1, 0x74, s1
	s_addc_u32 s4, 0, 0
	v_add_co_u32_e32 v1, vcc, s1, v1
	s_cmp_lg_u64 vcc, 0
	v_readfirstlane_b32 s5, v1
	s_addc_u32 s1, s4, 0x1745d1
	s_mul_hi_u32 s21, s5, 0xfffff500
	s_mul_i32 s4, s1, 0xfffff500
	s_sub_i32 s21, s21, s5
	s_add_i32 s21, s21, s4
	s_mul_i32 s23, s5, 0xfffff500
	s_mul_hi_u32 s4, s5, s21
	s_mul_i32 s22, s5, s21
	s_mul_hi_u32 s5, s5, s23
	s_add_u32 s5, s5, s22
	s_addc_u32 s4, 0, s4
	s_mul_hi_u32 s24, s1, s23
	s_mul_i32 s23, s1, s23
	s_add_u32 s5, s5, s23
	s_mul_hi_u32 s22, s1, s21
	s_addc_u32 s4, s4, s24
	s_addc_u32 s5, s22, 0
	s_mul_i32 s21, s1, s21
	s_add_u32 s4, s4, s21
	s_addc_u32 s5, 0, s5
	v_add_co_u32_e32 v1, vcc, s4, v1
	s_cmp_lg_u64 vcc, 0
	s_addc_u32 s1, s1, s5
	v_readfirstlane_b32 s21, v1
	s_mul_i32 s5, s10, s1
	s_mul_hi_u32 s22, s10, s21
	s_mul_hi_u32 s4, s10, s1
	s_add_u32 s5, s22, s5
	s_addc_u32 s4, 0, s4
	s_mul_hi_u32 s23, s11, s21
	s_mul_i32 s21, s11, s21
	s_add_u32 s5, s5, s21
	s_mul_hi_u32 s22, s11, s1
	s_addc_u32 s4, s4, s23
	s_addc_u32 s5, s22, 0
	s_mul_i32 s1, s11, s1
	s_add_u32 s1, s4, s1
	s_addc_u32 s4, 0, s5
	s_add_u32 s5, s1, 1
	s_addc_u32 s21, s4, 0
	s_add_u32 s22, s1, 2
	s_mul_i32 s24, s4, 0xb00
	s_mul_hi_u32 s25, s1, 0xb00
	s_addc_u32 s23, s4, 0
	s_add_i32 s25, s25, s24
	s_mul_i32 s24, s1, 0xb00
	v_mov_b32_e32 v1, s24
	v_sub_co_u32_e32 v1, vcc, s10, v1
	s_cmp_lg_u64 vcc, 0
	s_subb_u32 s24, s11, s25
	v_subrev_co_u32_e32 v2, vcc, s0, v1
	s_cmp_lg_u64 vcc, 0
	s_subb_u32 s0, s24, 0
	v_readfirstlane_b32 s25, v2
	s_cmpk_gt_u32 s25, 0xaff
	s_cselect_b32 s25, -1, 0
	s_cmp_eq_u32 s0, 0
	s_cselect_b32 s0, s25, -1
	s_cmp_lg_u32 s0, 0
	s_cselect_b32 s0, s22, s5
	s_cselect_b32 s5, s23, s21
	v_readfirstlane_b32 s21, v1
	s_cmpk_gt_u32 s21, 0xaff
	s_cselect_b32 s21, -1, 0
	s_cmp_eq_u32 s24, 0
	s_cselect_b32 s21, s21, -1
	s_cmp_lg_u32 s21, 0
	s_cselect_b32 s5, s5, s4
	s_cselect_b32 s4, s0, s1
	s_mul_i32 s0, s5, 0xb00
	s_mul_hi_u32 s1, s4, 0xb00
	s_add_i32 s1, s1, s0
	s_mul_i32 s0, s4, 0xb00
	s_sub_u32 s0, s10, s0
	s_subb_u32 s1, s11, s1
	s_cmp_lg_u64 s[0:1], 0
	s_cselect_b64 s[0:1], -1, 0
	v_cndmask_b32_e64 v1, 0, 1, s[0:1]
	s_mov_b32 s3, 0
	v_readfirstlane_b32 s0, v1
	s_add_u32 s4, s4, s0
	s_addc_u32 s5, s5, 0
	s_add_u32 s24, s18, s2
	s_addc_u32 s25, s19, 0
	s_add_u32 s26, s4, -1
	s_addc_u32 s27, s5, -1
	v_mov_b64_e32 v[2:3], s[26:27]
	v_cmp_ge_u64_e64 s[0:1], s[24:25], v[2:3]
	s_mov_b64 s[22:23], -1
	s_and_b64 vcc, exec, s[0:1]
	s_mul_i32 s11, s26, 0xfffff500
	s_cbranch_vccz .LBB1299_24
; %bb.1:
	s_mov_b32 s21, s3
	s_add_i32 s33, s11, s10
	s_lshl_b64 s[22:23], s[20:21], 3
	s_add_u32 s22, s30, s22
	s_addc_u32 s23, s31, s23
	v_cmp_gt_u32_e32 vcc, s33, v0
                                        ; implicit-def: $vgpr2_vgpr3_vgpr4_vgpr5_vgpr6_vgpr7_vgpr8_vgpr9_vgpr10_vgpr11_vgpr12_vgpr13_vgpr14_vgpr15_vgpr16_vgpr17_vgpr18_vgpr19_vgpr20_vgpr21_vgpr22_vgpr23_vgpr24_vgpr25_vgpr26_vgpr27_vgpr28_vgpr29_vgpr30_vgpr31_vgpr32_vgpr33
	s_and_saveexec_b64 s[28:29], vcc
	s_cbranch_execz .LBB1299_3
; %bb.2:
	v_lshlrev_b32_e32 v1, 3, v0
	global_load_dwordx2 v[2:3], v1, s[22:23]
.LBB1299_3:
	s_or_b64 exec, exec, s[28:29]
	v_or_b32_e32 v1, 0x100, v0
	v_cmp_gt_u32_e32 vcc, s33, v1
	s_and_saveexec_b64 s[28:29], vcc
	s_cbranch_execz .LBB1299_5
; %bb.4:
	v_lshlrev_b32_e32 v1, 3, v0
	global_load_dwordx2 v[4:5], v1, s[22:23] offset:2048
.LBB1299_5:
	s_or_b64 exec, exec, s[28:29]
	v_or_b32_e32 v1, 0x200, v0
	v_cmp_gt_u32_e32 vcc, s33, v1
	s_and_saveexec_b64 s[28:29], vcc
	s_cbranch_execz .LBB1299_7
; %bb.6:
	v_lshlrev_b32_e32 v1, 3, v1
	global_load_dwordx2 v[6:7], v1, s[22:23]
.LBB1299_7:
	s_or_b64 exec, exec, s[28:29]
	v_or_b32_e32 v1, 0x300, v0
	v_cmp_gt_u32_e32 vcc, s33, v1
	s_and_saveexec_b64 s[28:29], vcc
	s_cbranch_execz .LBB1299_9
; %bb.8:
	v_lshlrev_b32_e32 v1, 3, v1
	global_load_dwordx2 v[8:9], v1, s[22:23]
.LBB1299_9:
	;; [unrolled: 9-line block ×9, first 2 shown]
	s_or_b64 exec, exec, s[28:29]
	v_lshlrev_b32_e32 v1, 3, v0
	s_mov_b64 s[22:23], 0
	s_waitcnt vmcnt(0)
	ds_write2st64_b64 v1, v[2:3], v[4:5] offset1:4
	ds_write2st64_b64 v1, v[6:7], v[8:9] offset0:8 offset1:12
	ds_write2st64_b64 v1, v[10:11], v[12:13] offset0:16 offset1:20
	;; [unrolled: 1-line block ×4, first 2 shown]
	ds_write_b64 v1, v[22:23] offset:20480
	s_waitcnt lgkmcnt(0)
	s_barrier
.LBB1299_24:
	s_and_b64 vcc, exec, s[22:23]
	v_lshlrev_b32_e32 v40, 3, v0
	s_cbranch_vccz .LBB1299_26
; %bb.25:
	s_mov_b32 s21, 0
	s_lshl_b64 s[22:23], s[20:21], 3
	s_add_u32 s22, s30, s22
	s_addc_u32 s23, s31, s23
	v_mov_b32_e32 v41, 0
	v_lshl_add_u64 v[2:3], s[22:23], 0, v[40:41]
	v_add_co_u32_e32 v8, vcc, 0x1000, v2
	global_load_dwordx2 v[4:5], v40, s[22:23]
	global_load_dwordx2 v[6:7], v40, s[22:23] offset:2048
	v_addc_co_u32_e32 v9, vcc, 0, v3, vcc
	v_add_co_u32_e32 v10, vcc, 0x2000, v2
	s_nop 1
	v_addc_co_u32_e32 v11, vcc, 0, v3, vcc
	global_load_dwordx2 v[12:13], v[8:9], off
	global_load_dwordx2 v[14:15], v[8:9], off offset:2048
	global_load_dwordx2 v[16:17], v[10:11], off
	global_load_dwordx2 v[18:19], v[10:11], off offset:2048
	v_add_co_u32_e32 v8, vcc, 0x3000, v2
	s_nop 1
	v_addc_co_u32_e32 v9, vcc, 0, v3, vcc
	v_add_co_u32_e32 v10, vcc, 0x4000, v2
	s_nop 1
	v_addc_co_u32_e32 v11, vcc, 0, v3, vcc
	global_load_dwordx2 v[20:21], v[8:9], off
	global_load_dwordx2 v[22:23], v[8:9], off offset:2048
	global_load_dwordx2 v[24:25], v[10:11], off
	global_load_dwordx2 v[26:27], v[10:11], off offset:2048
	v_add_co_u32_e32 v2, vcc, 0x5000, v2
	s_nop 1
	v_addc_co_u32_e32 v3, vcc, 0, v3, vcc
	global_load_dwordx2 v[2:3], v[2:3], off
	s_waitcnt vmcnt(9)
	ds_write2st64_b64 v40, v[4:5], v[6:7] offset1:4
	s_waitcnt vmcnt(7)
	ds_write2st64_b64 v40, v[12:13], v[14:15] offset0:8 offset1:12
	s_waitcnt vmcnt(5)
	ds_write2st64_b64 v40, v[16:17], v[18:19] offset0:16 offset1:20
	;; [unrolled: 2-line block ×4, first 2 shown]
	s_waitcnt vmcnt(0)
	ds_write_b64 v40, v[2:3] offset:20480
	s_waitcnt lgkmcnt(0)
	s_barrier
.LBB1299_26:
	v_mul_u32_u24_e32 v1, 11, v0
	v_lshlrev_b32_e32 v1, 3, v1
	ds_read2_b64 v[2:5], v1 offset1:1
	ds_read2_b64 v[6:9], v1 offset0:2 offset1:3
	ds_read2_b64 v[10:13], v1 offset0:4 offset1:5
	ds_read2_b64 v[14:17], v1 offset0:6 offset1:7
	ds_read2_b64 v[18:21], v1 offset0:8 offset1:9
	ds_read_b64 v[36:37], v1 offset:80
	s_cmp_eq_u64 s[24:25], 0
	s_mov_b64 s[22:23], 0
	s_waitcnt lgkmcnt(0)
	s_barrier
	s_cbranch_scc1 .LBB1299_35
; %bb.27:
	s_lshl_b64 s[18:19], s[18:19], 3
	s_add_u32 s16, s16, s18
	s_addc_u32 s17, s17, s19
	s_lshl_b64 s[2:3], s[2:3], 3
	s_add_u32 s2, s16, s2
	s_addc_u32 s3, s17, s3
	s_add_u32 s2, s2, -8
	s_addc_u32 s3, s3, -1
	s_load_dwordx2 s[16:17], s[2:3], 0x0
	s_cmp_lg_u64 s[24:25], s[26:27]
	s_cbranch_scc0 .LBB1299_36
; %bb.28:
	v_mul_lo_u32 v1, v21, s12
	v_mul_lo_u32 v24, v20, s13
	v_mad_u64_u32 v[22:23], s[22:23], v20, s12, 0
	v_mov_b64_e32 v[38:39], 0
	v_cmp_lt_i64_e64 s[2:3], s[12:13], 1
	v_add3_u32 v23, v23, v24, v1
	v_cmp_gt_i64_e64 s[18:19], s[12:13], 0
	s_and_b64 vcc, exec, s[2:3]
	v_lshl_add_u64 v[22:23], v[22:23], 1, s[14:15]
	v_mov_b64_e32 v[42:43], v[38:39]
	ds_write_b64 v40, v[36:37]
	s_cbranch_vccnz .LBB1299_40
; %bb.29:
	v_mul_lo_u32 v1, v37, s12
	v_mul_lo_u32 v26, v36, s13
	v_mad_u64_u32 v[24:25], s[2:3], v36, s12, 0
	v_add3_u32 v25, v25, v26, v1
	v_lshl_add_u64 v[26:27], v[24:25], 1, s[14:15]
	global_load_ushort v1, v[26:27], off
	global_load_ushort v24, v[22:23], off
	v_mov_b64_e32 v[42:43], 1
	s_waitcnt vmcnt(0)
	v_cmp_eq_f16_e32 vcc, v1, v24
	s_and_saveexec_b64 s[2:3], vcc
	s_cbranch_execz .LBB1299_39
; %bb.30:
	s_add_u32 s22, s12, -1
	v_lshl_add_u64 v[24:25], v[22:23], 0, 2
	v_lshl_add_u64 v[26:27], v[26:27], 0, 2
	s_addc_u32 s23, s13, -1
	s_mov_b64 s[26:27], 0
	s_mov_b64 s[30:31], 0
                                        ; implicit-def: $sgpr28_sgpr29
	s_branch .LBB1299_33
.LBB1299_31:                            ;   in Loop: Header=BB1299_33 Depth=1
	global_load_ushort v1, v[26:27], off
	global_load_ushort v28, v[24:25], off
	s_add_u32 s30, s30, 1
	s_addc_u32 s31, s31, 0
	s_andn2_b64 s[28:29], s[28:29], exec
	v_lshl_add_u64 v[24:25], v[24:25], 0, 2
	v_lshl_add_u64 v[26:27], v[26:27], 0, 2
	s_waitcnt vmcnt(0)
	v_cmp_neq_f16_e32 vcc, v1, v28
	s_and_b64 s[34:35], vcc, exec
	s_or_b64 s[28:29], s[28:29], s[34:35]
.LBB1299_32:                            ;   in Loop: Header=BB1299_33 Depth=1
	s_and_b64 s[34:35], exec, s[28:29]
	s_or_b64 s[26:27], s[34:35], s[26:27]
	v_mov_b64_e32 v[28:29], s[30:31]
	s_andn2_b64 exec, exec, s[26:27]
	s_cbranch_execz .LBB1299_38
.LBB1299_33:                            ; =>This Inner Loop Header: Depth=1
	s_or_b64 s[28:29], s[28:29], exec
	s_cmp_eq_u64 s[22:23], s[30:31]
	s_cbranch_scc0 .LBB1299_31
; %bb.34:                               ;   in Loop: Header=BB1299_33 Depth=1
                                        ; implicit-def: $vgpr24_vgpr25
                                        ; implicit-def: $vgpr26_vgpr27
	s_mov_b64 s[30:31], s[12:13]
	s_branch .LBB1299_32
.LBB1299_35:
                                        ; implicit-def: $vgpr22_vgpr23_vgpr24_vgpr25
                                        ; implicit-def: $sgpr18_sgpr19
                                        ; implicit-def: $vgpr42_vgpr43
                                        ; implicit-def: $vgpr44_vgpr45
                                        ; implicit-def: $vgpr38_vgpr39
                                        ; implicit-def: $vgpr58_vgpr59
                                        ; implicit-def: $vgpr56_vgpr57
                                        ; implicit-def: $vgpr54_vgpr55
                                        ; implicit-def: $vgpr52_vgpr53
                                        ; implicit-def: $vgpr50_vgpr51
                                        ; implicit-def: $vgpr48_vgpr49
                                        ; implicit-def: $vgpr46_vgpr47
                                        ; implicit-def: $vgpr60_vgpr61
                                        ; implicit-def: $vgpr68_vgpr69
                                        ; implicit-def: $vgpr62_vgpr63
                                        ; implicit-def: $vgpr64_vgpr65
                                        ; implicit-def: $vgpr66_vgpr67
                                        ; implicit-def: $vgpr24_vgpr25_vgpr26_vgpr27
                                        ; implicit-def: $vgpr28_vgpr29_vgpr30_vgpr31
                                        ; implicit-def: $vgpr32_vgpr33_vgpr34_vgpr35
	s_cbranch_execnz .LBB1299_259
	s_branch .LBB1299_488
.LBB1299_36:
                                        ; implicit-def: $sgpr18_sgpr19
                                        ; implicit-def: $vgpr42_vgpr43
                                        ; implicit-def: $vgpr44_vgpr45
                                        ; implicit-def: $vgpr38_vgpr39
                                        ; implicit-def: $vgpr58_vgpr59
                                        ; implicit-def: $vgpr56_vgpr57
                                        ; implicit-def: $vgpr54_vgpr55
                                        ; implicit-def: $vgpr52_vgpr53
                                        ; implicit-def: $vgpr50_vgpr51
                                        ; implicit-def: $vgpr48_vgpr49
                                        ; implicit-def: $vgpr46_vgpr47
	s_cbranch_execnz .LBB1299_134
.LBB1299_37:
                                        ; implicit-def: $vgpr22_vgpr23_vgpr24_vgpr25
                                        ; implicit-def: $vgpr60_vgpr61
                                        ; implicit-def: $vgpr68_vgpr69
                                        ; implicit-def: $vgpr62_vgpr63
                                        ; implicit-def: $vgpr64_vgpr65
                                        ; implicit-def: $vgpr66_vgpr67
                                        ; implicit-def: $vgpr28_vgpr29_vgpr30_vgpr31
                                        ; implicit-def: $vgpr32_vgpr33_vgpr34_vgpr35
                                        ; implicit-def: $vgpr24_vgpr25_vgpr26_vgpr27
	s_branch .LBB1299_488
.LBB1299_38:
	s_or_b64 exec, exec, s[26:27]
	v_cmp_gt_i64_e32 vcc, s[12:13], v[28:29]
	s_mov_b32 s21, 0
	v_mov_b32_e32 v43, s21
	v_cndmask_b32_e64 v42, 0, 1, vcc
.LBB1299_39:
	s_or_b64 exec, exec, s[2:3]
.LBB1299_40:
	v_mul_lo_u32 v1, v19, s12
	v_mul_lo_u32 v26, v18, s13
	v_mad_u64_u32 v[24:25], s[2:3], v18, s12, 0
	v_add3_u32 v25, v25, v26, v1
	v_cndmask_b32_e64 v1, 0, 1, s[18:19]
	v_cmp_ne_u32_e64 s[2:3], 1, v1
	s_andn2_b64 vcc, exec, s[18:19]
	v_lshl_add_u64 v[24:25], v[24:25], 1, s[14:15]
	v_mov_b64_e32 v[44:45], v[38:39]
	s_cbranch_vccnz .LBB1299_49
; %bb.41:
	global_load_ushort v1, v[22:23], off
	global_load_ushort v26, v[24:25], off
	v_mov_b64_e32 v[44:45], 1
	s_waitcnt vmcnt(0)
	v_cmp_eq_f16_e32 vcc, v1, v26
	s_and_saveexec_b64 s[18:19], vcc
	s_cbranch_execz .LBB1299_48
; %bb.42:
	s_add_u32 s22, s12, -1
	v_lshl_add_u64 v[26:27], v[24:25], 0, 2
	v_lshl_add_u64 v[22:23], v[22:23], 0, 2
	s_addc_u32 s23, s13, -1
	s_mov_b64 s[26:27], 0
	s_mov_b64 s[30:31], 0
                                        ; implicit-def: $sgpr28_sgpr29
	s_branch .LBB1299_45
.LBB1299_43:                            ;   in Loop: Header=BB1299_45 Depth=1
	global_load_ushort v1, v[22:23], off
	global_load_ushort v28, v[26:27], off
	s_add_u32 s30, s30, 1
	s_addc_u32 s31, s31, 0
	s_andn2_b64 s[28:29], s[28:29], exec
	v_lshl_add_u64 v[26:27], v[26:27], 0, 2
	v_lshl_add_u64 v[22:23], v[22:23], 0, 2
	s_waitcnt vmcnt(0)
	v_cmp_neq_f16_e32 vcc, v1, v28
	s_and_b64 s[34:35], vcc, exec
	s_or_b64 s[28:29], s[28:29], s[34:35]
.LBB1299_44:                            ;   in Loop: Header=BB1299_45 Depth=1
	s_and_b64 s[34:35], exec, s[28:29]
	s_or_b64 s[26:27], s[34:35], s[26:27]
	v_mov_b64_e32 v[28:29], s[30:31]
	s_andn2_b64 exec, exec, s[26:27]
	s_cbranch_execz .LBB1299_47
.LBB1299_45:                            ; =>This Inner Loop Header: Depth=1
	s_or_b64 s[28:29], s[28:29], exec
	s_cmp_eq_u64 s[22:23], s[30:31]
	s_cbranch_scc0 .LBB1299_43
; %bb.46:                               ;   in Loop: Header=BB1299_45 Depth=1
                                        ; implicit-def: $vgpr26_vgpr27
                                        ; implicit-def: $vgpr22_vgpr23
	s_mov_b64 s[30:31], s[12:13]
	s_branch .LBB1299_44
.LBB1299_47:
	s_or_b64 exec, exec, s[26:27]
	v_cmp_gt_i64_e32 vcc, s[12:13], v[28:29]
	s_mov_b32 s21, 0
	v_mov_b32_e32 v45, s21
	v_cndmask_b32_e64 v44, 0, 1, vcc
.LBB1299_48:
	s_or_b64 exec, exec, s[18:19]
.LBB1299_49:
	v_mul_lo_u32 v1, v17, s12
	v_mul_lo_u32 v26, v16, s13
	v_mad_u64_u32 v[22:23], s[18:19], v16, s12, 0
	v_add3_u32 v23, v23, v26, v1
	s_and_b64 vcc, exec, s[2:3]
	v_lshl_add_u64 v[22:23], v[22:23], 1, s[14:15]
	s_cbranch_vccnz .LBB1299_58
; %bb.50:
	global_load_ushort v1, v[24:25], off
	global_load_ushort v26, v[22:23], off
	v_mov_b64_e32 v[38:39], 1
	s_waitcnt vmcnt(0)
	v_cmp_eq_f16_e32 vcc, v1, v26
	s_and_saveexec_b64 s[18:19], vcc
	s_cbranch_execz .LBB1299_57
; %bb.51:
	s_add_u32 s22, s12, -1
	v_lshl_add_u64 v[26:27], v[22:23], 0, 2
	v_lshl_add_u64 v[24:25], v[24:25], 0, 2
	s_addc_u32 s23, s13, -1
	s_mov_b64 s[26:27], 0
	s_mov_b64 s[30:31], 0
                                        ; implicit-def: $sgpr28_sgpr29
	s_branch .LBB1299_54
.LBB1299_52:                            ;   in Loop: Header=BB1299_54 Depth=1
	global_load_ushort v1, v[24:25], off
	global_load_ushort v28, v[26:27], off
	s_add_u32 s30, s30, 1
	s_addc_u32 s31, s31, 0
	s_andn2_b64 s[28:29], s[28:29], exec
	v_lshl_add_u64 v[26:27], v[26:27], 0, 2
	v_lshl_add_u64 v[24:25], v[24:25], 0, 2
	s_waitcnt vmcnt(0)
	v_cmp_neq_f16_e32 vcc, v1, v28
	s_and_b64 s[34:35], vcc, exec
	s_or_b64 s[28:29], s[28:29], s[34:35]
.LBB1299_53:                            ;   in Loop: Header=BB1299_54 Depth=1
	s_and_b64 s[34:35], exec, s[28:29]
	s_or_b64 s[26:27], s[34:35], s[26:27]
	v_mov_b64_e32 v[28:29], s[30:31]
	s_andn2_b64 exec, exec, s[26:27]
	s_cbranch_execz .LBB1299_56
.LBB1299_54:                            ; =>This Inner Loop Header: Depth=1
	s_or_b64 s[28:29], s[28:29], exec
	s_cmp_eq_u64 s[22:23], s[30:31]
	s_cbranch_scc0 .LBB1299_52
; %bb.55:                               ;   in Loop: Header=BB1299_54 Depth=1
                                        ; implicit-def: $vgpr26_vgpr27
                                        ; implicit-def: $vgpr24_vgpr25
	s_mov_b64 s[30:31], s[12:13]
	s_branch .LBB1299_53
.LBB1299_56:
	s_or_b64 exec, exec, s[26:27]
	v_cmp_gt_i64_e32 vcc, s[12:13], v[28:29]
	s_mov_b32 s21, 0
	v_mov_b32_e32 v39, s21
	v_cndmask_b32_e64 v38, 0, 1, vcc
.LBB1299_57:
	s_or_b64 exec, exec, s[18:19]
.LBB1299_58:
	v_mul_lo_u32 v1, v15, s12
	v_mul_lo_u32 v26, v14, s13
	v_mad_u64_u32 v[24:25], s[18:19], v14, s12, 0
	v_add3_u32 v25, v25, v26, v1
	v_mov_b64_e32 v[48:49], 0
	s_and_b64 vcc, exec, s[2:3]
	v_lshl_add_u64 v[24:25], v[24:25], 1, s[14:15]
	v_mov_b64_e32 v[46:47], v[48:49]
	s_cbranch_vccnz .LBB1299_67
; %bb.59:
	global_load_ushort v1, v[22:23], off
	global_load_ushort v26, v[24:25], off
	v_mov_b64_e32 v[46:47], 1
	s_waitcnt vmcnt(0)
	v_cmp_eq_f16_e32 vcc, v1, v26
	s_and_saveexec_b64 s[18:19], vcc
	s_cbranch_execz .LBB1299_66
; %bb.60:
	s_add_u32 s22, s12, -1
	v_lshl_add_u64 v[26:27], v[24:25], 0, 2
	v_lshl_add_u64 v[22:23], v[22:23], 0, 2
	s_addc_u32 s23, s13, -1
	s_mov_b64 s[26:27], 0
	s_mov_b64 s[30:31], 0
                                        ; implicit-def: $sgpr28_sgpr29
	s_branch .LBB1299_63
.LBB1299_61:                            ;   in Loop: Header=BB1299_63 Depth=1
	global_load_ushort v1, v[22:23], off
	global_load_ushort v28, v[26:27], off
	s_add_u32 s30, s30, 1
	s_addc_u32 s31, s31, 0
	s_andn2_b64 s[28:29], s[28:29], exec
	v_lshl_add_u64 v[26:27], v[26:27], 0, 2
	v_lshl_add_u64 v[22:23], v[22:23], 0, 2
	s_waitcnt vmcnt(0)
	v_cmp_neq_f16_e32 vcc, v1, v28
	s_and_b64 s[34:35], vcc, exec
	s_or_b64 s[28:29], s[28:29], s[34:35]
.LBB1299_62:                            ;   in Loop: Header=BB1299_63 Depth=1
	s_and_b64 s[34:35], exec, s[28:29]
	s_or_b64 s[26:27], s[34:35], s[26:27]
	v_mov_b64_e32 v[28:29], s[30:31]
	s_andn2_b64 exec, exec, s[26:27]
	s_cbranch_execz .LBB1299_65
.LBB1299_63:                            ; =>This Inner Loop Header: Depth=1
	s_or_b64 s[28:29], s[28:29], exec
	s_cmp_eq_u64 s[22:23], s[30:31]
	s_cbranch_scc0 .LBB1299_61
; %bb.64:                               ;   in Loop: Header=BB1299_63 Depth=1
                                        ; implicit-def: $vgpr26_vgpr27
                                        ; implicit-def: $vgpr22_vgpr23
	s_mov_b64 s[30:31], s[12:13]
	s_branch .LBB1299_62
.LBB1299_65:
	s_or_b64 exec, exec, s[26:27]
	v_cmp_gt_i64_e32 vcc, s[12:13], v[28:29]
	s_mov_b32 s21, 0
	v_mov_b32_e32 v47, s21
	v_cndmask_b32_e64 v46, 0, 1, vcc
.LBB1299_66:
	s_or_b64 exec, exec, s[18:19]
.LBB1299_67:
	v_mul_lo_u32 v1, v13, s12
	v_mul_lo_u32 v26, v12, s13
	v_mad_u64_u32 v[22:23], s[18:19], v12, s12, 0
	v_add3_u32 v23, v23, v26, v1
	s_and_b64 vcc, exec, s[2:3]
	v_lshl_add_u64 v[22:23], v[22:23], 1, s[14:15]
	s_cbranch_vccnz .LBB1299_76
; %bb.68:
	global_load_ushort v1, v[24:25], off
	global_load_ushort v26, v[22:23], off
	v_mov_b64_e32 v[48:49], 1
	s_waitcnt vmcnt(0)
	v_cmp_eq_f16_e32 vcc, v1, v26
	s_and_saveexec_b64 s[18:19], vcc
	s_cbranch_execz .LBB1299_75
; %bb.69:
	s_add_u32 s22, s12, -1
	v_lshl_add_u64 v[26:27], v[22:23], 0, 2
	v_lshl_add_u64 v[24:25], v[24:25], 0, 2
	s_addc_u32 s23, s13, -1
	s_mov_b64 s[26:27], 0
	s_mov_b64 s[30:31], 0
                                        ; implicit-def: $sgpr28_sgpr29
	s_branch .LBB1299_72
.LBB1299_70:                            ;   in Loop: Header=BB1299_72 Depth=1
	global_load_ushort v1, v[24:25], off
	global_load_ushort v28, v[26:27], off
	s_add_u32 s30, s30, 1
	s_addc_u32 s31, s31, 0
	s_andn2_b64 s[28:29], s[28:29], exec
	v_lshl_add_u64 v[26:27], v[26:27], 0, 2
	v_lshl_add_u64 v[24:25], v[24:25], 0, 2
	s_waitcnt vmcnt(0)
	v_cmp_neq_f16_e32 vcc, v1, v28
	s_and_b64 s[34:35], vcc, exec
	s_or_b64 s[28:29], s[28:29], s[34:35]
.LBB1299_71:                            ;   in Loop: Header=BB1299_72 Depth=1
	s_and_b64 s[34:35], exec, s[28:29]
	s_or_b64 s[26:27], s[34:35], s[26:27]
	v_mov_b64_e32 v[28:29], s[30:31]
	s_andn2_b64 exec, exec, s[26:27]
	s_cbranch_execz .LBB1299_74
.LBB1299_72:                            ; =>This Inner Loop Header: Depth=1
	s_or_b64 s[28:29], s[28:29], exec
	s_cmp_eq_u64 s[22:23], s[30:31]
	s_cbranch_scc0 .LBB1299_70
; %bb.73:                               ;   in Loop: Header=BB1299_72 Depth=1
                                        ; implicit-def: $vgpr26_vgpr27
                                        ; implicit-def: $vgpr24_vgpr25
	s_mov_b64 s[30:31], s[12:13]
	s_branch .LBB1299_71
.LBB1299_74:
	s_or_b64 exec, exec, s[26:27]
	v_cmp_gt_i64_e32 vcc, s[12:13], v[28:29]
	s_mov_b32 s21, 0
	v_mov_b32_e32 v49, s21
	v_cndmask_b32_e64 v48, 0, 1, vcc
.LBB1299_75:
	s_or_b64 exec, exec, s[18:19]
.LBB1299_76:
	v_mul_lo_u32 v1, v11, s12
	v_mul_lo_u32 v26, v10, s13
	v_mad_u64_u32 v[24:25], s[18:19], v10, s12, 0
	v_add3_u32 v25, v25, v26, v1
	v_mov_b64_e32 v[52:53], 0
	s_and_b64 vcc, exec, s[2:3]
	v_lshl_add_u64 v[24:25], v[24:25], 1, s[14:15]
	v_mov_b64_e32 v[50:51], v[52:53]
	s_cbranch_vccnz .LBB1299_85
; %bb.77:
	global_load_ushort v1, v[22:23], off
	global_load_ushort v26, v[24:25], off
	v_mov_b64_e32 v[50:51], 1
	s_waitcnt vmcnt(0)
	v_cmp_eq_f16_e32 vcc, v1, v26
	s_and_saveexec_b64 s[18:19], vcc
	s_cbranch_execz .LBB1299_84
; %bb.78:
	s_add_u32 s22, s12, -1
	v_lshl_add_u64 v[26:27], v[24:25], 0, 2
	v_lshl_add_u64 v[22:23], v[22:23], 0, 2
	s_addc_u32 s23, s13, -1
	s_mov_b64 s[26:27], 0
	s_mov_b64 s[30:31], 0
                                        ; implicit-def: $sgpr28_sgpr29
	s_branch .LBB1299_81
.LBB1299_79:                            ;   in Loop: Header=BB1299_81 Depth=1
	global_load_ushort v1, v[22:23], off
	global_load_ushort v28, v[26:27], off
	s_add_u32 s30, s30, 1
	s_addc_u32 s31, s31, 0
	s_andn2_b64 s[28:29], s[28:29], exec
	v_lshl_add_u64 v[26:27], v[26:27], 0, 2
	v_lshl_add_u64 v[22:23], v[22:23], 0, 2
	s_waitcnt vmcnt(0)
	v_cmp_neq_f16_e32 vcc, v1, v28
	s_and_b64 s[34:35], vcc, exec
	s_or_b64 s[28:29], s[28:29], s[34:35]
.LBB1299_80:                            ;   in Loop: Header=BB1299_81 Depth=1
	s_and_b64 s[34:35], exec, s[28:29]
	s_or_b64 s[26:27], s[34:35], s[26:27]
	v_mov_b64_e32 v[28:29], s[30:31]
	s_andn2_b64 exec, exec, s[26:27]
	s_cbranch_execz .LBB1299_83
.LBB1299_81:                            ; =>This Inner Loop Header: Depth=1
	s_or_b64 s[28:29], s[28:29], exec
	s_cmp_eq_u64 s[22:23], s[30:31]
	s_cbranch_scc0 .LBB1299_79
; %bb.82:                               ;   in Loop: Header=BB1299_81 Depth=1
                                        ; implicit-def: $vgpr26_vgpr27
                                        ; implicit-def: $vgpr22_vgpr23
	s_mov_b64 s[30:31], s[12:13]
	s_branch .LBB1299_80
.LBB1299_83:
	s_or_b64 exec, exec, s[26:27]
	v_cmp_gt_i64_e32 vcc, s[12:13], v[28:29]
	s_mov_b32 s21, 0
	v_mov_b32_e32 v51, s21
	v_cndmask_b32_e64 v50, 0, 1, vcc
.LBB1299_84:
	s_or_b64 exec, exec, s[18:19]
.LBB1299_85:
	v_mul_lo_u32 v1, v9, s12
	v_mul_lo_u32 v26, v8, s13
	v_mad_u64_u32 v[22:23], s[18:19], v8, s12, 0
	v_add3_u32 v23, v23, v26, v1
	s_and_b64 vcc, exec, s[2:3]
	v_lshl_add_u64 v[22:23], v[22:23], 1, s[14:15]
	s_cbranch_vccnz .LBB1299_94
; %bb.86:
	global_load_ushort v1, v[24:25], off
	global_load_ushort v26, v[22:23], off
	v_mov_b64_e32 v[52:53], 1
	s_waitcnt vmcnt(0)
	v_cmp_eq_f16_e32 vcc, v1, v26
	s_and_saveexec_b64 s[18:19], vcc
	s_cbranch_execz .LBB1299_93
; %bb.87:
	s_add_u32 s22, s12, -1
	v_lshl_add_u64 v[26:27], v[22:23], 0, 2
	v_lshl_add_u64 v[24:25], v[24:25], 0, 2
	s_addc_u32 s23, s13, -1
	s_mov_b64 s[26:27], 0
	s_mov_b64 s[30:31], 0
                                        ; implicit-def: $sgpr28_sgpr29
	s_branch .LBB1299_90
.LBB1299_88:                            ;   in Loop: Header=BB1299_90 Depth=1
	global_load_ushort v1, v[24:25], off
	global_load_ushort v28, v[26:27], off
	s_add_u32 s30, s30, 1
	s_addc_u32 s31, s31, 0
	s_andn2_b64 s[28:29], s[28:29], exec
	v_lshl_add_u64 v[26:27], v[26:27], 0, 2
	v_lshl_add_u64 v[24:25], v[24:25], 0, 2
	s_waitcnt vmcnt(0)
	v_cmp_neq_f16_e32 vcc, v1, v28
	s_and_b64 s[34:35], vcc, exec
	s_or_b64 s[28:29], s[28:29], s[34:35]
.LBB1299_89:                            ;   in Loop: Header=BB1299_90 Depth=1
	s_and_b64 s[34:35], exec, s[28:29]
	s_or_b64 s[26:27], s[34:35], s[26:27]
	v_mov_b64_e32 v[28:29], s[30:31]
	s_andn2_b64 exec, exec, s[26:27]
	s_cbranch_execz .LBB1299_92
.LBB1299_90:                            ; =>This Inner Loop Header: Depth=1
	s_or_b64 s[28:29], s[28:29], exec
	s_cmp_eq_u64 s[22:23], s[30:31]
	s_cbranch_scc0 .LBB1299_88
; %bb.91:                               ;   in Loop: Header=BB1299_90 Depth=1
                                        ; implicit-def: $vgpr26_vgpr27
                                        ; implicit-def: $vgpr24_vgpr25
	s_mov_b64 s[30:31], s[12:13]
	s_branch .LBB1299_89
.LBB1299_92:
	s_or_b64 exec, exec, s[26:27]
	v_cmp_gt_i64_e32 vcc, s[12:13], v[28:29]
	s_mov_b32 s21, 0
	v_mov_b32_e32 v53, s21
	v_cndmask_b32_e64 v52, 0, 1, vcc
.LBB1299_93:
	s_or_b64 exec, exec, s[18:19]
.LBB1299_94:
	v_mul_lo_u32 v1, v7, s12
	v_mul_lo_u32 v26, v6, s13
	v_mad_u64_u32 v[24:25], s[18:19], v6, s12, 0
	v_add3_u32 v25, v25, v26, v1
	v_mov_b64_e32 v[56:57], 0
	s_and_b64 vcc, exec, s[2:3]
	v_lshl_add_u64 v[24:25], v[24:25], 1, s[14:15]
	v_mov_b64_e32 v[54:55], v[56:57]
	s_cbranch_vccnz .LBB1299_103
; %bb.95:
	global_load_ushort v1, v[22:23], off
	global_load_ushort v26, v[24:25], off
	v_mov_b64_e32 v[54:55], 1
	s_waitcnt vmcnt(0)
	v_cmp_eq_f16_e32 vcc, v1, v26
	s_and_saveexec_b64 s[18:19], vcc
	s_cbranch_execz .LBB1299_102
; %bb.96:
	s_add_u32 s22, s12, -1
	v_lshl_add_u64 v[26:27], v[24:25], 0, 2
	v_lshl_add_u64 v[22:23], v[22:23], 0, 2
	s_addc_u32 s23, s13, -1
	s_mov_b64 s[26:27], 0
	s_mov_b64 s[30:31], 0
                                        ; implicit-def: $sgpr28_sgpr29
	s_branch .LBB1299_99
.LBB1299_97:                            ;   in Loop: Header=BB1299_99 Depth=1
	global_load_ushort v1, v[22:23], off
	global_load_ushort v28, v[26:27], off
	s_add_u32 s30, s30, 1
	s_addc_u32 s31, s31, 0
	s_andn2_b64 s[28:29], s[28:29], exec
	v_lshl_add_u64 v[26:27], v[26:27], 0, 2
	v_lshl_add_u64 v[22:23], v[22:23], 0, 2
	s_waitcnt vmcnt(0)
	v_cmp_neq_f16_e32 vcc, v1, v28
	s_and_b64 s[34:35], vcc, exec
	s_or_b64 s[28:29], s[28:29], s[34:35]
.LBB1299_98:                            ;   in Loop: Header=BB1299_99 Depth=1
	s_and_b64 s[34:35], exec, s[28:29]
	s_or_b64 s[26:27], s[34:35], s[26:27]
	v_mov_b64_e32 v[28:29], s[30:31]
	s_andn2_b64 exec, exec, s[26:27]
	s_cbranch_execz .LBB1299_101
.LBB1299_99:                            ; =>This Inner Loop Header: Depth=1
	s_or_b64 s[28:29], s[28:29], exec
	s_cmp_eq_u64 s[22:23], s[30:31]
	s_cbranch_scc0 .LBB1299_97
; %bb.100:                              ;   in Loop: Header=BB1299_99 Depth=1
                                        ; implicit-def: $vgpr26_vgpr27
                                        ; implicit-def: $vgpr22_vgpr23
	s_mov_b64 s[30:31], s[12:13]
	s_branch .LBB1299_98
.LBB1299_101:
	s_or_b64 exec, exec, s[26:27]
	v_cmp_gt_i64_e32 vcc, s[12:13], v[28:29]
	s_mov_b32 s21, 0
	v_mov_b32_e32 v55, s21
	v_cndmask_b32_e64 v54, 0, 1, vcc
.LBB1299_102:
	s_or_b64 exec, exec, s[18:19]
.LBB1299_103:
	v_mul_lo_u32 v1, v5, s12
	v_mul_lo_u32 v26, v4, s13
	v_mad_u64_u32 v[22:23], s[18:19], v4, s12, 0
	v_add3_u32 v23, v23, v26, v1
	s_and_b64 vcc, exec, s[2:3]
	v_lshl_add_u64 v[22:23], v[22:23], 1, s[14:15]
	s_cbranch_vccnz .LBB1299_112
; %bb.104:
	global_load_ushort v1, v[24:25], off
	global_load_ushort v26, v[22:23], off
	v_mov_b64_e32 v[56:57], 1
	s_waitcnt vmcnt(0)
	v_cmp_eq_f16_e32 vcc, v1, v26
	s_and_saveexec_b64 s[18:19], vcc
	s_cbranch_execz .LBB1299_111
; %bb.105:
	s_add_u32 s22, s12, -1
	v_lshl_add_u64 v[26:27], v[22:23], 0, 2
	v_lshl_add_u64 v[24:25], v[24:25], 0, 2
	s_addc_u32 s23, s13, -1
	s_mov_b64 s[26:27], 0
	s_mov_b64 s[30:31], 0
                                        ; implicit-def: $sgpr28_sgpr29
	s_branch .LBB1299_108
.LBB1299_106:                           ;   in Loop: Header=BB1299_108 Depth=1
	global_load_ushort v1, v[24:25], off
	global_load_ushort v28, v[26:27], off
	s_add_u32 s30, s30, 1
	s_addc_u32 s31, s31, 0
	s_andn2_b64 s[28:29], s[28:29], exec
	v_lshl_add_u64 v[26:27], v[26:27], 0, 2
	v_lshl_add_u64 v[24:25], v[24:25], 0, 2
	s_waitcnt vmcnt(0)
	v_cmp_neq_f16_e32 vcc, v1, v28
	s_and_b64 s[34:35], vcc, exec
	s_or_b64 s[28:29], s[28:29], s[34:35]
.LBB1299_107:                           ;   in Loop: Header=BB1299_108 Depth=1
	s_and_b64 s[34:35], exec, s[28:29]
	s_or_b64 s[26:27], s[34:35], s[26:27]
	v_mov_b64_e32 v[28:29], s[30:31]
	s_andn2_b64 exec, exec, s[26:27]
	s_cbranch_execz .LBB1299_110
.LBB1299_108:                           ; =>This Inner Loop Header: Depth=1
	s_or_b64 s[28:29], s[28:29], exec
	s_cmp_eq_u64 s[22:23], s[30:31]
	s_cbranch_scc0 .LBB1299_106
; %bb.109:                              ;   in Loop: Header=BB1299_108 Depth=1
                                        ; implicit-def: $vgpr26_vgpr27
                                        ; implicit-def: $vgpr24_vgpr25
	s_mov_b64 s[30:31], s[12:13]
	s_branch .LBB1299_107
.LBB1299_110:
	s_or_b64 exec, exec, s[26:27]
	v_cmp_gt_i64_e32 vcc, s[12:13], v[28:29]
	s_mov_b32 s21, 0
	v_mov_b32_e32 v57, s21
	v_cndmask_b32_e64 v56, 0, 1, vcc
.LBB1299_111:
	s_or_b64 exec, exec, s[18:19]
.LBB1299_112:
	s_and_b64 vcc, exec, s[2:3]
	s_cbranch_vccnz .LBB1299_119
; %bb.113:
	v_mul_lo_u32 v1, v3, s12
	v_mul_lo_u32 v26, v2, s13
	v_mad_u64_u32 v[24:25], s[18:19], v2, s12, 0
	v_add3_u32 v25, v25, v26, v1
	v_lshl_add_u64 v[24:25], v[24:25], 1, s[14:15]
	global_load_ushort v1, v[22:23], off
	global_load_ushort v26, v[24:25], off
	v_mov_b64_e32 v[58:59], 1
	s_waitcnt vmcnt(0)
	v_cmp_eq_f16_e32 vcc, v1, v26
	s_and_saveexec_b64 s[18:19], vcc
	s_cbranch_execz .LBB1299_121
; %bb.114:
	s_add_u32 s22, s12, -1
	v_lshl_add_u64 v[24:25], v[24:25], 0, 2
	v_lshl_add_u64 v[22:23], v[22:23], 0, 2
	s_addc_u32 s23, s13, -1
	s_mov_b64 s[26:27], 0
	s_mov_b64 s[30:31], 0
                                        ; implicit-def: $sgpr28_sgpr29
	s_branch .LBB1299_117
.LBB1299_115:                           ;   in Loop: Header=BB1299_117 Depth=1
	global_load_ushort v1, v[22:23], off
	global_load_ushort v26, v[24:25], off
	s_add_u32 s30, s30, 1
	s_addc_u32 s31, s31, 0
	s_andn2_b64 s[28:29], s[28:29], exec
	v_lshl_add_u64 v[24:25], v[24:25], 0, 2
	v_lshl_add_u64 v[22:23], v[22:23], 0, 2
	s_waitcnt vmcnt(0)
	v_cmp_neq_f16_e32 vcc, v1, v26
	s_and_b64 s[34:35], vcc, exec
	s_or_b64 s[28:29], s[28:29], s[34:35]
.LBB1299_116:                           ;   in Loop: Header=BB1299_117 Depth=1
	s_and_b64 s[34:35], exec, s[28:29]
	s_or_b64 s[26:27], s[34:35], s[26:27]
	v_mov_b64_e32 v[26:27], s[30:31]
	s_andn2_b64 exec, exec, s[26:27]
	s_cbranch_execz .LBB1299_120
.LBB1299_117:                           ; =>This Inner Loop Header: Depth=1
	s_or_b64 s[28:29], s[28:29], exec
	s_cmp_eq_u64 s[22:23], s[30:31]
	s_cbranch_scc0 .LBB1299_115
; %bb.118:                              ;   in Loop: Header=BB1299_117 Depth=1
                                        ; implicit-def: $vgpr24_vgpr25
                                        ; implicit-def: $vgpr22_vgpr23
	s_mov_b64 s[30:31], s[12:13]
	s_branch .LBB1299_116
.LBB1299_119:
	v_mov_b64_e32 v[58:59], 0
	s_branch .LBB1299_122
.LBB1299_120:
	s_or_b64 exec, exec, s[26:27]
	v_cmp_gt_i64_e32 vcc, s[12:13], v[26:27]
	s_mov_b32 s21, 0
	v_mov_b32_e32 v59, s21
	v_cndmask_b32_e64 v58, 0, 1, vcc
.LBB1299_121:
	s_or_b64 exec, exec, s[18:19]
.LBB1299_122:
	v_cmp_ne_u32_e32 vcc, 0, v0
	s_waitcnt lgkmcnt(0)
	v_mov_b64_e32 v[22:23], s[16:17]
	s_barrier
	s_and_saveexec_b64 s[18:19], vcc
	s_cbranch_execz .LBB1299_124
; %bb.123:
	v_add_u32_e32 v1, -8, v40
	ds_read_b64 v[22:23], v1
.LBB1299_124:
	s_or_b64 exec, exec, s[18:19]
	s_mov_b64 s[26:27], 0
	s_and_b64 vcc, exec, s[2:3]
	s_mov_b64 s[18:19], 0
	s_cbranch_vccnz .LBB1299_133
; %bb.125:
	v_mul_lo_u32 v1, v3, s12
	v_mul_lo_u32 v26, v2, s13
	v_mad_u64_u32 v[24:25], s[2:3], v2, s12, 0
	v_add3_u32 v25, v25, v26, v1
	s_waitcnt lgkmcnt(0)
	v_mul_lo_u32 v1, v23, s12
	v_mul_lo_u32 v26, v22, s13
	v_mad_u64_u32 v[22:23], s[2:3], v22, s12, 0
	v_add3_u32 v23, v23, v26, v1
	v_lshl_add_u64 v[24:25], v[24:25], 1, s[14:15]
	v_lshl_add_u64 v[22:23], v[22:23], 1, s[14:15]
	global_load_ushort v1, v[24:25], off
	global_load_ushort v26, v[22:23], off
	s_mov_b64 s[18:19], -1
	s_waitcnt vmcnt(0)
	v_cmp_eq_f16_e32 vcc, v1, v26
	s_and_saveexec_b64 s[2:3], vcc
	s_cbranch_execz .LBB1299_132
; %bb.126:
	s_add_u32 s18, s12, -1
	v_lshl_add_u64 v[22:23], v[22:23], 0, 2
	v_lshl_add_u64 v[24:25], v[24:25], 0, 2
	s_addc_u32 s19, s13, -1
	s_mov_b64 s[22:23], 0
	s_mov_b64 s[30:31], 0
                                        ; implicit-def: $sgpr28_sgpr29
	s_branch .LBB1299_129
.LBB1299_127:                           ;   in Loop: Header=BB1299_129 Depth=1
	global_load_ushort v1, v[24:25], off
	global_load_ushort v26, v[22:23], off
	s_add_u32 s30, s30, 1
	s_addc_u32 s31, s31, 0
	s_andn2_b64 s[28:29], s[28:29], exec
	v_lshl_add_u64 v[22:23], v[22:23], 0, 2
	v_lshl_add_u64 v[24:25], v[24:25], 0, 2
	s_waitcnt vmcnt(0)
	v_cmp_neq_f16_e32 vcc, v1, v26
	s_and_b64 s[34:35], vcc, exec
	s_or_b64 s[28:29], s[28:29], s[34:35]
.LBB1299_128:                           ;   in Loop: Header=BB1299_129 Depth=1
	s_and_b64 s[34:35], exec, s[28:29]
	s_or_b64 s[22:23], s[34:35], s[22:23]
	v_mov_b64_e32 v[26:27], s[30:31]
	s_andn2_b64 exec, exec, s[22:23]
	s_cbranch_execz .LBB1299_131
.LBB1299_129:                           ; =>This Inner Loop Header: Depth=1
	s_or_b64 s[28:29], s[28:29], exec
	s_cmp_eq_u64 s[18:19], s[30:31]
	s_cbranch_scc0 .LBB1299_127
; %bb.130:                              ;   in Loop: Header=BB1299_129 Depth=1
                                        ; implicit-def: $vgpr22_vgpr23
                                        ; implicit-def: $vgpr24_vgpr25
	s_mov_b64 s[30:31], s[12:13]
	s_branch .LBB1299_128
.LBB1299_131:
	s_or_b64 exec, exec, s[22:23]
	v_cmp_gt_i64_e32 vcc, s[12:13], v[26:27]
	s_orn2_b64 s[18:19], vcc, exec
.LBB1299_132:
	s_or_b64 exec, exec, s[2:3]
.LBB1299_133:
	s_mov_b64 s[22:23], -1
	s_and_b64 vcc, exec, s[26:27]
	s_cbranch_vccz .LBB1299_37
.LBB1299_134:
	s_mul_i32 s21, s24, 0xfffff500
	s_add_i32 s21, s21, s10
	s_waitcnt lgkmcnt(0)
	v_mad_u32_u24 v22, v0, 11, 10
	v_cmp_gt_i64_e64 s[2:3], s[12:13], 0
	v_cmp_gt_u32_e32 vcc, s21, v22
	v_mul_u32_u24_e32 v1, 11, v0
	v_cndmask_b32_e64 v22, 0, 1, s[2:3]
	v_cmp_ne_u32_e64 s[2:3], 1, v22
	v_mov_b64_e32 v[42:43], v[36:37]
	ds_write_b64 v40, v[36:37]
	s_and_saveexec_b64 s[18:19], vcc
	s_cbranch_execz .LBB1299_145
; %bb.135:
	s_and_b64 vcc, exec, s[2:3]
	s_cbranch_vccnz .LBB1299_142
; %bb.136:
	v_mul_lo_u32 v24, v37, s12
	v_mul_lo_u32 v25, v36, s13
	v_mad_u64_u32 v[22:23], s[24:25], v36, s12, 0
	v_add3_u32 v23, v23, v25, v24
	v_mul_lo_u32 v24, v21, s12
	v_mul_lo_u32 v25, v20, s13
	v_mad_u64_u32 v[26:27], s[24:25], v20, s12, 0
	v_add3_u32 v27, v27, v25, v24
	v_lshl_add_u64 v[24:25], v[22:23], 1, s[14:15]
	v_lshl_add_u64 v[22:23], v[26:27], 1, s[14:15]
	global_load_ushort v26, v[24:25], off
	global_load_ushort v27, v[22:23], off
	v_mov_b64_e32 v[42:43], 1
	s_waitcnt vmcnt(0)
	v_cmp_eq_f16_e32 vcc, v26, v27
	s_and_saveexec_b64 s[24:25], vcc
	s_cbranch_execz .LBB1299_144
; %bb.137:
	s_add_u32 s26, s12, -1
	v_lshl_add_u64 v[22:23], v[22:23], 0, 2
	v_lshl_add_u64 v[24:25], v[24:25], 0, 2
	s_addc_u32 s27, s13, -1
	s_mov_b64 s[28:29], 0
	s_mov_b64 s[34:35], 0
                                        ; implicit-def: $sgpr30_sgpr31
	s_branch .LBB1299_140
.LBB1299_138:                           ;   in Loop: Header=BB1299_140 Depth=1
	global_load_ushort v26, v[24:25], off
	global_load_ushort v27, v[22:23], off
	s_add_u32 s34, s34, 1
	s_addc_u32 s35, s35, 0
	s_andn2_b64 s[30:31], s[30:31], exec
	v_lshl_add_u64 v[22:23], v[22:23], 0, 2
	v_lshl_add_u64 v[24:25], v[24:25], 0, 2
	s_waitcnt vmcnt(0)
	v_cmp_neq_f16_e32 vcc, v26, v27
	s_and_b64 s[36:37], vcc, exec
	s_or_b64 s[30:31], s[30:31], s[36:37]
.LBB1299_139:                           ;   in Loop: Header=BB1299_140 Depth=1
	s_and_b64 s[36:37], exec, s[30:31]
	s_or_b64 s[28:29], s[36:37], s[28:29]
	v_mov_b64_e32 v[26:27], s[34:35]
	s_andn2_b64 exec, exec, s[28:29]
	s_cbranch_execz .LBB1299_143
.LBB1299_140:                           ; =>This Inner Loop Header: Depth=1
	s_or_b64 s[30:31], s[30:31], exec
	s_cmp_eq_u64 s[26:27], s[34:35]
	s_cbranch_scc0 .LBB1299_138
; %bb.141:                              ;   in Loop: Header=BB1299_140 Depth=1
                                        ; implicit-def: $vgpr22_vgpr23
                                        ; implicit-def: $vgpr24_vgpr25
	s_mov_b64 s[34:35], s[12:13]
	s_branch .LBB1299_139
.LBB1299_142:
	v_mov_b64_e32 v[42:43], 0
	s_branch .LBB1299_145
.LBB1299_143:
	s_or_b64 exec, exec, s[28:29]
	v_cmp_gt_i64_e32 vcc, s[12:13], v[26:27]
	s_mov_b32 s26, 0
	v_mov_b32_e32 v43, s26
	v_cndmask_b32_e64 v42, 0, 1, vcc
.LBB1299_144:
	s_or_b64 exec, exec, s[24:25]
.LBB1299_145:
	s_or_b64 exec, exec, s[18:19]
	v_add_u32_e32 v22, 9, v1
	v_cmp_gt_u32_e32 vcc, s21, v22
	v_mov_b64_e32 v[44:45], v[20:21]
	s_and_saveexec_b64 s[18:19], vcc
	s_cbranch_execz .LBB1299_156
; %bb.146:
	s_and_b64 vcc, exec, s[2:3]
	s_cbranch_vccnz .LBB1299_153
; %bb.147:
	v_mul_lo_u32 v24, v21, s12
	v_mul_lo_u32 v25, v20, s13
	v_mad_u64_u32 v[22:23], s[24:25], v20, s12, 0
	v_add3_u32 v23, v23, v25, v24
	v_mul_lo_u32 v24, v19, s12
	v_mul_lo_u32 v25, v18, s13
	v_mad_u64_u32 v[26:27], s[24:25], v18, s12, 0
	v_add3_u32 v27, v27, v25, v24
	v_lshl_add_u64 v[24:25], v[22:23], 1, s[14:15]
	v_lshl_add_u64 v[22:23], v[26:27], 1, s[14:15]
	global_load_ushort v26, v[24:25], off
	global_load_ushort v27, v[22:23], off
	v_mov_b64_e32 v[44:45], 1
	s_waitcnt vmcnt(0)
	v_cmp_eq_f16_e32 vcc, v26, v27
	s_and_saveexec_b64 s[24:25], vcc
	s_cbranch_execz .LBB1299_155
; %bb.148:
	s_add_u32 s26, s12, -1
	v_lshl_add_u64 v[22:23], v[22:23], 0, 2
	v_lshl_add_u64 v[24:25], v[24:25], 0, 2
	s_addc_u32 s27, s13, -1
	s_mov_b64 s[28:29], 0
	s_mov_b64 s[34:35], 0
                                        ; implicit-def: $sgpr30_sgpr31
	s_branch .LBB1299_151
.LBB1299_149:                           ;   in Loop: Header=BB1299_151 Depth=1
	global_load_ushort v26, v[24:25], off
	global_load_ushort v27, v[22:23], off
	s_add_u32 s34, s34, 1
	s_addc_u32 s35, s35, 0
	s_andn2_b64 s[30:31], s[30:31], exec
	v_lshl_add_u64 v[22:23], v[22:23], 0, 2
	v_lshl_add_u64 v[24:25], v[24:25], 0, 2
	s_waitcnt vmcnt(0)
	v_cmp_neq_f16_e32 vcc, v26, v27
	s_and_b64 s[36:37], vcc, exec
	s_or_b64 s[30:31], s[30:31], s[36:37]
.LBB1299_150:                           ;   in Loop: Header=BB1299_151 Depth=1
	s_and_b64 s[36:37], exec, s[30:31]
	s_or_b64 s[28:29], s[36:37], s[28:29]
	v_mov_b64_e32 v[26:27], s[34:35]
	s_andn2_b64 exec, exec, s[28:29]
	s_cbranch_execz .LBB1299_154
.LBB1299_151:                           ; =>This Inner Loop Header: Depth=1
	s_or_b64 s[30:31], s[30:31], exec
	s_cmp_eq_u64 s[26:27], s[34:35]
	s_cbranch_scc0 .LBB1299_149
; %bb.152:                              ;   in Loop: Header=BB1299_151 Depth=1
                                        ; implicit-def: $vgpr22_vgpr23
                                        ; implicit-def: $vgpr24_vgpr25
	s_mov_b64 s[34:35], s[12:13]
	s_branch .LBB1299_150
.LBB1299_153:
	v_mov_b64_e32 v[44:45], 0
	s_branch .LBB1299_156
.LBB1299_154:
	s_or_b64 exec, exec, s[28:29]
	v_cmp_gt_i64_e32 vcc, s[12:13], v[26:27]
	s_mov_b32 s26, 0
	v_mov_b32_e32 v45, s26
	v_cndmask_b32_e64 v44, 0, 1, vcc
.LBB1299_155:
	s_or_b64 exec, exec, s[24:25]
.LBB1299_156:
	s_or_b64 exec, exec, s[18:19]
	v_add_u32_e32 v22, 8, v1
	v_cmp_gt_u32_e32 vcc, s21, v22
	v_mov_b64_e32 v[38:39], v[18:19]
	s_and_saveexec_b64 s[18:19], vcc
	s_cbranch_execz .LBB1299_167
; %bb.157:
	s_and_b64 vcc, exec, s[2:3]
	s_cbranch_vccnz .LBB1299_164
; %bb.158:
	v_mul_lo_u32 v24, v19, s12
	v_mul_lo_u32 v25, v18, s13
	v_mad_u64_u32 v[22:23], s[24:25], v18, s12, 0
	v_add3_u32 v23, v23, v25, v24
	v_mul_lo_u32 v24, v17, s12
	v_mul_lo_u32 v25, v16, s13
	v_mad_u64_u32 v[26:27], s[24:25], v16, s12, 0
	v_add3_u32 v27, v27, v25, v24
	v_lshl_add_u64 v[24:25], v[22:23], 1, s[14:15]
	v_lshl_add_u64 v[22:23], v[26:27], 1, s[14:15]
	global_load_ushort v26, v[24:25], off
	global_load_ushort v27, v[22:23], off
	v_mov_b64_e32 v[38:39], 1
	s_waitcnt vmcnt(0)
	v_cmp_eq_f16_e32 vcc, v26, v27
	s_and_saveexec_b64 s[24:25], vcc
	s_cbranch_execz .LBB1299_166
; %bb.159:
	s_add_u32 s26, s12, -1
	v_lshl_add_u64 v[22:23], v[22:23], 0, 2
	v_lshl_add_u64 v[24:25], v[24:25], 0, 2
	s_addc_u32 s27, s13, -1
	s_mov_b64 s[28:29], 0
	s_mov_b64 s[34:35], 0
                                        ; implicit-def: $sgpr30_sgpr31
	s_branch .LBB1299_162
.LBB1299_160:                           ;   in Loop: Header=BB1299_162 Depth=1
	global_load_ushort v26, v[24:25], off
	global_load_ushort v27, v[22:23], off
	s_add_u32 s34, s34, 1
	s_addc_u32 s35, s35, 0
	s_andn2_b64 s[30:31], s[30:31], exec
	v_lshl_add_u64 v[22:23], v[22:23], 0, 2
	v_lshl_add_u64 v[24:25], v[24:25], 0, 2
	s_waitcnt vmcnt(0)
	v_cmp_neq_f16_e32 vcc, v26, v27
	s_and_b64 s[36:37], vcc, exec
	s_or_b64 s[30:31], s[30:31], s[36:37]
.LBB1299_161:                           ;   in Loop: Header=BB1299_162 Depth=1
	s_and_b64 s[36:37], exec, s[30:31]
	s_or_b64 s[28:29], s[36:37], s[28:29]
	v_mov_b64_e32 v[26:27], s[34:35]
	s_andn2_b64 exec, exec, s[28:29]
	s_cbranch_execz .LBB1299_165
.LBB1299_162:                           ; =>This Inner Loop Header: Depth=1
	s_or_b64 s[30:31], s[30:31], exec
	s_cmp_eq_u64 s[26:27], s[34:35]
	s_cbranch_scc0 .LBB1299_160
; %bb.163:                              ;   in Loop: Header=BB1299_162 Depth=1
                                        ; implicit-def: $vgpr22_vgpr23
                                        ; implicit-def: $vgpr24_vgpr25
	s_mov_b64 s[34:35], s[12:13]
	s_branch .LBB1299_161
.LBB1299_164:
	v_mov_b64_e32 v[38:39], 0
	s_branch .LBB1299_167
.LBB1299_165:
	s_or_b64 exec, exec, s[28:29]
	v_cmp_gt_i64_e32 vcc, s[12:13], v[26:27]
	s_mov_b32 s26, 0
	v_mov_b32_e32 v39, s26
	v_cndmask_b32_e64 v38, 0, 1, vcc
.LBB1299_166:
	s_or_b64 exec, exec, s[24:25]
.LBB1299_167:
	s_or_b64 exec, exec, s[18:19]
	v_add_u32_e32 v22, 7, v1
	v_cmp_gt_u32_e32 vcc, s21, v22
	v_mov_b64_e32 v[46:47], v[16:17]
	s_and_saveexec_b64 s[18:19], vcc
	s_cbranch_execz .LBB1299_178
; %bb.168:
	s_and_b64 vcc, exec, s[2:3]
	s_cbranch_vccnz .LBB1299_175
; %bb.169:
	v_mul_lo_u32 v24, v17, s12
	v_mul_lo_u32 v25, v16, s13
	v_mad_u64_u32 v[22:23], s[24:25], v16, s12, 0
	v_add3_u32 v23, v23, v25, v24
	v_mul_lo_u32 v24, v15, s12
	v_mul_lo_u32 v25, v14, s13
	v_mad_u64_u32 v[26:27], s[24:25], v14, s12, 0
	v_add3_u32 v27, v27, v25, v24
	v_lshl_add_u64 v[24:25], v[22:23], 1, s[14:15]
	v_lshl_add_u64 v[22:23], v[26:27], 1, s[14:15]
	global_load_ushort v26, v[24:25], off
	global_load_ushort v27, v[22:23], off
	v_mov_b64_e32 v[46:47], 1
	s_waitcnt vmcnt(0)
	v_cmp_eq_f16_e32 vcc, v26, v27
	s_and_saveexec_b64 s[24:25], vcc
	s_cbranch_execz .LBB1299_177
; %bb.170:
	s_add_u32 s26, s12, -1
	v_lshl_add_u64 v[22:23], v[22:23], 0, 2
	v_lshl_add_u64 v[24:25], v[24:25], 0, 2
	s_addc_u32 s27, s13, -1
	s_mov_b64 s[28:29], 0
	s_mov_b64 s[34:35], 0
                                        ; implicit-def: $sgpr30_sgpr31
	s_branch .LBB1299_173
.LBB1299_171:                           ;   in Loop: Header=BB1299_173 Depth=1
	global_load_ushort v26, v[24:25], off
	global_load_ushort v27, v[22:23], off
	s_add_u32 s34, s34, 1
	s_addc_u32 s35, s35, 0
	s_andn2_b64 s[30:31], s[30:31], exec
	v_lshl_add_u64 v[22:23], v[22:23], 0, 2
	v_lshl_add_u64 v[24:25], v[24:25], 0, 2
	s_waitcnt vmcnt(0)
	v_cmp_neq_f16_e32 vcc, v26, v27
	s_and_b64 s[36:37], vcc, exec
	s_or_b64 s[30:31], s[30:31], s[36:37]
.LBB1299_172:                           ;   in Loop: Header=BB1299_173 Depth=1
	s_and_b64 s[36:37], exec, s[30:31]
	s_or_b64 s[28:29], s[36:37], s[28:29]
	v_mov_b64_e32 v[26:27], s[34:35]
	s_andn2_b64 exec, exec, s[28:29]
	s_cbranch_execz .LBB1299_176
.LBB1299_173:                           ; =>This Inner Loop Header: Depth=1
	s_or_b64 s[30:31], s[30:31], exec
	s_cmp_eq_u64 s[26:27], s[34:35]
	s_cbranch_scc0 .LBB1299_171
; %bb.174:                              ;   in Loop: Header=BB1299_173 Depth=1
                                        ; implicit-def: $vgpr22_vgpr23
                                        ; implicit-def: $vgpr24_vgpr25
	s_mov_b64 s[34:35], s[12:13]
	s_branch .LBB1299_172
.LBB1299_175:
	v_mov_b64_e32 v[46:47], 0
	s_branch .LBB1299_178
.LBB1299_176:
	s_or_b64 exec, exec, s[28:29]
	v_cmp_gt_i64_e32 vcc, s[12:13], v[26:27]
	s_mov_b32 s26, 0
	v_mov_b32_e32 v47, s26
	v_cndmask_b32_e64 v46, 0, 1, vcc
.LBB1299_177:
	s_or_b64 exec, exec, s[24:25]
.LBB1299_178:
	s_or_b64 exec, exec, s[18:19]
	v_add_u32_e32 v22, 6, v1
	v_cmp_gt_u32_e32 vcc, s21, v22
	v_mov_b64_e32 v[48:49], v[14:15]
	s_and_saveexec_b64 s[18:19], vcc
	s_cbranch_execz .LBB1299_189
; %bb.179:
	s_and_b64 vcc, exec, s[2:3]
	s_cbranch_vccnz .LBB1299_186
; %bb.180:
	v_mul_lo_u32 v24, v15, s12
	v_mul_lo_u32 v25, v14, s13
	v_mad_u64_u32 v[22:23], s[24:25], v14, s12, 0
	v_add3_u32 v23, v23, v25, v24
	v_mul_lo_u32 v24, v13, s12
	v_mul_lo_u32 v25, v12, s13
	v_mad_u64_u32 v[26:27], s[24:25], v12, s12, 0
	v_add3_u32 v27, v27, v25, v24
	v_lshl_add_u64 v[24:25], v[22:23], 1, s[14:15]
	v_lshl_add_u64 v[22:23], v[26:27], 1, s[14:15]
	global_load_ushort v26, v[24:25], off
	global_load_ushort v27, v[22:23], off
	v_mov_b64_e32 v[48:49], 1
	s_waitcnt vmcnt(0)
	v_cmp_eq_f16_e32 vcc, v26, v27
	s_and_saveexec_b64 s[24:25], vcc
	s_cbranch_execz .LBB1299_188
; %bb.181:
	s_add_u32 s26, s12, -1
	v_lshl_add_u64 v[22:23], v[22:23], 0, 2
	v_lshl_add_u64 v[24:25], v[24:25], 0, 2
	s_addc_u32 s27, s13, -1
	s_mov_b64 s[28:29], 0
	s_mov_b64 s[34:35], 0
                                        ; implicit-def: $sgpr30_sgpr31
	s_branch .LBB1299_184
.LBB1299_182:                           ;   in Loop: Header=BB1299_184 Depth=1
	global_load_ushort v26, v[24:25], off
	global_load_ushort v27, v[22:23], off
	s_add_u32 s34, s34, 1
	s_addc_u32 s35, s35, 0
	s_andn2_b64 s[30:31], s[30:31], exec
	v_lshl_add_u64 v[22:23], v[22:23], 0, 2
	v_lshl_add_u64 v[24:25], v[24:25], 0, 2
	s_waitcnt vmcnt(0)
	v_cmp_neq_f16_e32 vcc, v26, v27
	s_and_b64 s[36:37], vcc, exec
	s_or_b64 s[30:31], s[30:31], s[36:37]
.LBB1299_183:                           ;   in Loop: Header=BB1299_184 Depth=1
	s_and_b64 s[36:37], exec, s[30:31]
	s_or_b64 s[28:29], s[36:37], s[28:29]
	v_mov_b64_e32 v[26:27], s[34:35]
	s_andn2_b64 exec, exec, s[28:29]
	s_cbranch_execz .LBB1299_187
.LBB1299_184:                           ; =>This Inner Loop Header: Depth=1
	s_or_b64 s[30:31], s[30:31], exec
	s_cmp_eq_u64 s[26:27], s[34:35]
	s_cbranch_scc0 .LBB1299_182
; %bb.185:                              ;   in Loop: Header=BB1299_184 Depth=1
                                        ; implicit-def: $vgpr22_vgpr23
                                        ; implicit-def: $vgpr24_vgpr25
	s_mov_b64 s[34:35], s[12:13]
	s_branch .LBB1299_183
.LBB1299_186:
	v_mov_b64_e32 v[48:49], 0
	s_branch .LBB1299_189
.LBB1299_187:
	s_or_b64 exec, exec, s[28:29]
	v_cmp_gt_i64_e32 vcc, s[12:13], v[26:27]
	s_mov_b32 s26, 0
	v_mov_b32_e32 v49, s26
	v_cndmask_b32_e64 v48, 0, 1, vcc
.LBB1299_188:
	s_or_b64 exec, exec, s[24:25]
.LBB1299_189:
	s_or_b64 exec, exec, s[18:19]
	v_add_u32_e32 v22, 5, v1
	v_cmp_gt_u32_e32 vcc, s21, v22
	v_mov_b64_e32 v[50:51], v[12:13]
	s_and_saveexec_b64 s[18:19], vcc
	s_cbranch_execz .LBB1299_200
; %bb.190:
	s_and_b64 vcc, exec, s[2:3]
	s_cbranch_vccnz .LBB1299_197
; %bb.191:
	v_mul_lo_u32 v24, v13, s12
	v_mul_lo_u32 v25, v12, s13
	v_mad_u64_u32 v[22:23], s[24:25], v12, s12, 0
	v_add3_u32 v23, v23, v25, v24
	v_mul_lo_u32 v24, v11, s12
	v_mul_lo_u32 v25, v10, s13
	v_mad_u64_u32 v[26:27], s[24:25], v10, s12, 0
	v_add3_u32 v27, v27, v25, v24
	v_lshl_add_u64 v[24:25], v[22:23], 1, s[14:15]
	v_lshl_add_u64 v[22:23], v[26:27], 1, s[14:15]
	global_load_ushort v26, v[24:25], off
	global_load_ushort v27, v[22:23], off
	v_mov_b64_e32 v[50:51], 1
	s_waitcnt vmcnt(0)
	v_cmp_eq_f16_e32 vcc, v26, v27
	s_and_saveexec_b64 s[24:25], vcc
	s_cbranch_execz .LBB1299_199
; %bb.192:
	s_add_u32 s26, s12, -1
	v_lshl_add_u64 v[22:23], v[22:23], 0, 2
	v_lshl_add_u64 v[24:25], v[24:25], 0, 2
	s_addc_u32 s27, s13, -1
	s_mov_b64 s[28:29], 0
	s_mov_b64 s[34:35], 0
                                        ; implicit-def: $sgpr30_sgpr31
	s_branch .LBB1299_195
.LBB1299_193:                           ;   in Loop: Header=BB1299_195 Depth=1
	global_load_ushort v26, v[24:25], off
	global_load_ushort v27, v[22:23], off
	s_add_u32 s34, s34, 1
	s_addc_u32 s35, s35, 0
	s_andn2_b64 s[30:31], s[30:31], exec
	v_lshl_add_u64 v[22:23], v[22:23], 0, 2
	v_lshl_add_u64 v[24:25], v[24:25], 0, 2
	s_waitcnt vmcnt(0)
	v_cmp_neq_f16_e32 vcc, v26, v27
	s_and_b64 s[36:37], vcc, exec
	s_or_b64 s[30:31], s[30:31], s[36:37]
.LBB1299_194:                           ;   in Loop: Header=BB1299_195 Depth=1
	s_and_b64 s[36:37], exec, s[30:31]
	s_or_b64 s[28:29], s[36:37], s[28:29]
	v_mov_b64_e32 v[26:27], s[34:35]
	s_andn2_b64 exec, exec, s[28:29]
	s_cbranch_execz .LBB1299_198
.LBB1299_195:                           ; =>This Inner Loop Header: Depth=1
	s_or_b64 s[30:31], s[30:31], exec
	s_cmp_eq_u64 s[26:27], s[34:35]
	s_cbranch_scc0 .LBB1299_193
; %bb.196:                              ;   in Loop: Header=BB1299_195 Depth=1
                                        ; implicit-def: $vgpr22_vgpr23
                                        ; implicit-def: $vgpr24_vgpr25
	s_mov_b64 s[34:35], s[12:13]
	s_branch .LBB1299_194
.LBB1299_197:
	v_mov_b64_e32 v[50:51], 0
	s_branch .LBB1299_200
.LBB1299_198:
	s_or_b64 exec, exec, s[28:29]
	v_cmp_gt_i64_e32 vcc, s[12:13], v[26:27]
	s_mov_b32 s26, 0
	v_mov_b32_e32 v51, s26
	v_cndmask_b32_e64 v50, 0, 1, vcc
.LBB1299_199:
	s_or_b64 exec, exec, s[24:25]
.LBB1299_200:
	s_or_b64 exec, exec, s[18:19]
	v_add_u32_e32 v22, 4, v1
	v_cmp_gt_u32_e32 vcc, s21, v22
	v_mov_b64_e32 v[52:53], v[10:11]
	s_and_saveexec_b64 s[18:19], vcc
	s_cbranch_execz .LBB1299_211
; %bb.201:
	s_and_b64 vcc, exec, s[2:3]
	s_cbranch_vccnz .LBB1299_208
; %bb.202:
	v_mul_lo_u32 v24, v11, s12
	v_mul_lo_u32 v25, v10, s13
	v_mad_u64_u32 v[22:23], s[24:25], v10, s12, 0
	v_add3_u32 v23, v23, v25, v24
	v_mul_lo_u32 v24, v9, s12
	v_mul_lo_u32 v25, v8, s13
	v_mad_u64_u32 v[26:27], s[24:25], v8, s12, 0
	v_add3_u32 v27, v27, v25, v24
	v_lshl_add_u64 v[24:25], v[22:23], 1, s[14:15]
	v_lshl_add_u64 v[22:23], v[26:27], 1, s[14:15]
	global_load_ushort v26, v[24:25], off
	global_load_ushort v27, v[22:23], off
	v_mov_b64_e32 v[52:53], 1
	s_waitcnt vmcnt(0)
	v_cmp_eq_f16_e32 vcc, v26, v27
	s_and_saveexec_b64 s[24:25], vcc
	s_cbranch_execz .LBB1299_210
; %bb.203:
	s_add_u32 s26, s12, -1
	v_lshl_add_u64 v[22:23], v[22:23], 0, 2
	v_lshl_add_u64 v[24:25], v[24:25], 0, 2
	s_addc_u32 s27, s13, -1
	s_mov_b64 s[28:29], 0
	s_mov_b64 s[34:35], 0
                                        ; implicit-def: $sgpr30_sgpr31
	s_branch .LBB1299_206
.LBB1299_204:                           ;   in Loop: Header=BB1299_206 Depth=1
	global_load_ushort v26, v[24:25], off
	global_load_ushort v27, v[22:23], off
	s_add_u32 s34, s34, 1
	s_addc_u32 s35, s35, 0
	s_andn2_b64 s[30:31], s[30:31], exec
	v_lshl_add_u64 v[22:23], v[22:23], 0, 2
	v_lshl_add_u64 v[24:25], v[24:25], 0, 2
	s_waitcnt vmcnt(0)
	v_cmp_neq_f16_e32 vcc, v26, v27
	s_and_b64 s[36:37], vcc, exec
	s_or_b64 s[30:31], s[30:31], s[36:37]
.LBB1299_205:                           ;   in Loop: Header=BB1299_206 Depth=1
	s_and_b64 s[36:37], exec, s[30:31]
	s_or_b64 s[28:29], s[36:37], s[28:29]
	v_mov_b64_e32 v[26:27], s[34:35]
	s_andn2_b64 exec, exec, s[28:29]
	s_cbranch_execz .LBB1299_209
.LBB1299_206:                           ; =>This Inner Loop Header: Depth=1
	s_or_b64 s[30:31], s[30:31], exec
	s_cmp_eq_u64 s[26:27], s[34:35]
	s_cbranch_scc0 .LBB1299_204
; %bb.207:                              ;   in Loop: Header=BB1299_206 Depth=1
                                        ; implicit-def: $vgpr22_vgpr23
                                        ; implicit-def: $vgpr24_vgpr25
	s_mov_b64 s[34:35], s[12:13]
	s_branch .LBB1299_205
.LBB1299_208:
	v_mov_b64_e32 v[52:53], 0
	s_branch .LBB1299_211
.LBB1299_209:
	s_or_b64 exec, exec, s[28:29]
	v_cmp_gt_i64_e32 vcc, s[12:13], v[26:27]
	s_mov_b32 s26, 0
	v_mov_b32_e32 v53, s26
	v_cndmask_b32_e64 v52, 0, 1, vcc
.LBB1299_210:
	s_or_b64 exec, exec, s[24:25]
.LBB1299_211:
	s_or_b64 exec, exec, s[18:19]
	v_add_u32_e32 v22, 3, v1
	v_cmp_gt_u32_e32 vcc, s21, v22
	v_mov_b64_e32 v[54:55], v[8:9]
	s_and_saveexec_b64 s[18:19], vcc
	s_cbranch_execz .LBB1299_222
; %bb.212:
	s_and_b64 vcc, exec, s[2:3]
	s_cbranch_vccnz .LBB1299_219
; %bb.213:
	v_mul_lo_u32 v24, v9, s12
	v_mul_lo_u32 v25, v8, s13
	v_mad_u64_u32 v[22:23], s[24:25], v8, s12, 0
	v_add3_u32 v23, v23, v25, v24
	v_mul_lo_u32 v24, v7, s12
	v_mul_lo_u32 v25, v6, s13
	v_mad_u64_u32 v[26:27], s[24:25], v6, s12, 0
	v_add3_u32 v27, v27, v25, v24
	v_lshl_add_u64 v[24:25], v[22:23], 1, s[14:15]
	v_lshl_add_u64 v[22:23], v[26:27], 1, s[14:15]
	global_load_ushort v26, v[24:25], off
	global_load_ushort v27, v[22:23], off
	v_mov_b64_e32 v[54:55], 1
	s_waitcnt vmcnt(0)
	v_cmp_eq_f16_e32 vcc, v26, v27
	s_and_saveexec_b64 s[24:25], vcc
	s_cbranch_execz .LBB1299_221
; %bb.214:
	s_add_u32 s26, s12, -1
	v_lshl_add_u64 v[22:23], v[22:23], 0, 2
	v_lshl_add_u64 v[24:25], v[24:25], 0, 2
	s_addc_u32 s27, s13, -1
	s_mov_b64 s[28:29], 0
	s_mov_b64 s[34:35], 0
                                        ; implicit-def: $sgpr30_sgpr31
	s_branch .LBB1299_217
.LBB1299_215:                           ;   in Loop: Header=BB1299_217 Depth=1
	global_load_ushort v26, v[24:25], off
	global_load_ushort v27, v[22:23], off
	s_add_u32 s34, s34, 1
	s_addc_u32 s35, s35, 0
	s_andn2_b64 s[30:31], s[30:31], exec
	v_lshl_add_u64 v[22:23], v[22:23], 0, 2
	v_lshl_add_u64 v[24:25], v[24:25], 0, 2
	s_waitcnt vmcnt(0)
	v_cmp_neq_f16_e32 vcc, v26, v27
	s_and_b64 s[36:37], vcc, exec
	s_or_b64 s[30:31], s[30:31], s[36:37]
.LBB1299_216:                           ;   in Loop: Header=BB1299_217 Depth=1
	s_and_b64 s[36:37], exec, s[30:31]
	s_or_b64 s[28:29], s[36:37], s[28:29]
	v_mov_b64_e32 v[26:27], s[34:35]
	s_andn2_b64 exec, exec, s[28:29]
	s_cbranch_execz .LBB1299_220
.LBB1299_217:                           ; =>This Inner Loop Header: Depth=1
	s_or_b64 s[30:31], s[30:31], exec
	s_cmp_eq_u64 s[26:27], s[34:35]
	s_cbranch_scc0 .LBB1299_215
; %bb.218:                              ;   in Loop: Header=BB1299_217 Depth=1
                                        ; implicit-def: $vgpr22_vgpr23
                                        ; implicit-def: $vgpr24_vgpr25
	s_mov_b64 s[34:35], s[12:13]
	s_branch .LBB1299_216
.LBB1299_219:
	v_mov_b64_e32 v[54:55], 0
	s_branch .LBB1299_222
.LBB1299_220:
	s_or_b64 exec, exec, s[28:29]
	v_cmp_gt_i64_e32 vcc, s[12:13], v[26:27]
	s_mov_b32 s26, 0
	v_mov_b32_e32 v55, s26
	v_cndmask_b32_e64 v54, 0, 1, vcc
.LBB1299_221:
	s_or_b64 exec, exec, s[24:25]
.LBB1299_222:
	s_or_b64 exec, exec, s[18:19]
	v_add_u32_e32 v22, 2, v1
	v_cmp_gt_u32_e32 vcc, s21, v22
	v_mov_b64_e32 v[56:57], v[6:7]
	s_and_saveexec_b64 s[18:19], vcc
	s_cbranch_execz .LBB1299_233
; %bb.223:
	s_and_b64 vcc, exec, s[2:3]
	s_cbranch_vccnz .LBB1299_230
; %bb.224:
	v_mul_lo_u32 v24, v7, s12
	v_mul_lo_u32 v25, v6, s13
	v_mad_u64_u32 v[22:23], s[24:25], v6, s12, 0
	v_add3_u32 v23, v23, v25, v24
	v_mul_lo_u32 v24, v5, s12
	v_mul_lo_u32 v25, v4, s13
	v_mad_u64_u32 v[26:27], s[24:25], v4, s12, 0
	v_add3_u32 v27, v27, v25, v24
	v_lshl_add_u64 v[24:25], v[22:23], 1, s[14:15]
	v_lshl_add_u64 v[22:23], v[26:27], 1, s[14:15]
	global_load_ushort v26, v[24:25], off
	global_load_ushort v27, v[22:23], off
	v_mov_b64_e32 v[56:57], 1
	s_waitcnt vmcnt(0)
	v_cmp_eq_f16_e32 vcc, v26, v27
	s_and_saveexec_b64 s[24:25], vcc
	s_cbranch_execz .LBB1299_232
; %bb.225:
	s_add_u32 s26, s12, -1
	v_lshl_add_u64 v[22:23], v[22:23], 0, 2
	v_lshl_add_u64 v[24:25], v[24:25], 0, 2
	s_addc_u32 s27, s13, -1
	s_mov_b64 s[28:29], 0
	s_mov_b64 s[34:35], 0
                                        ; implicit-def: $sgpr30_sgpr31
	s_branch .LBB1299_228
.LBB1299_226:                           ;   in Loop: Header=BB1299_228 Depth=1
	global_load_ushort v26, v[24:25], off
	global_load_ushort v27, v[22:23], off
	s_add_u32 s34, s34, 1
	s_addc_u32 s35, s35, 0
	s_andn2_b64 s[30:31], s[30:31], exec
	v_lshl_add_u64 v[22:23], v[22:23], 0, 2
	v_lshl_add_u64 v[24:25], v[24:25], 0, 2
	s_waitcnt vmcnt(0)
	v_cmp_neq_f16_e32 vcc, v26, v27
	s_and_b64 s[36:37], vcc, exec
	s_or_b64 s[30:31], s[30:31], s[36:37]
.LBB1299_227:                           ;   in Loop: Header=BB1299_228 Depth=1
	s_and_b64 s[36:37], exec, s[30:31]
	s_or_b64 s[28:29], s[36:37], s[28:29]
	v_mov_b64_e32 v[26:27], s[34:35]
	s_andn2_b64 exec, exec, s[28:29]
	s_cbranch_execz .LBB1299_231
.LBB1299_228:                           ; =>This Inner Loop Header: Depth=1
	s_or_b64 s[30:31], s[30:31], exec
	s_cmp_eq_u64 s[26:27], s[34:35]
	s_cbranch_scc0 .LBB1299_226
; %bb.229:                              ;   in Loop: Header=BB1299_228 Depth=1
                                        ; implicit-def: $vgpr22_vgpr23
                                        ; implicit-def: $vgpr24_vgpr25
	s_mov_b64 s[34:35], s[12:13]
	s_branch .LBB1299_227
.LBB1299_230:
	v_mov_b64_e32 v[56:57], 0
	s_branch .LBB1299_233
.LBB1299_231:
	s_or_b64 exec, exec, s[28:29]
	v_cmp_gt_i64_e32 vcc, s[12:13], v[26:27]
	s_mov_b32 s26, 0
	v_mov_b32_e32 v57, s26
	v_cndmask_b32_e64 v56, 0, 1, vcc
.LBB1299_232:
	s_or_b64 exec, exec, s[24:25]
.LBB1299_233:
	s_or_b64 exec, exec, s[18:19]
	v_add_u32_e32 v22, 1, v1
	v_cmp_gt_u32_e32 vcc, s21, v22
	v_mov_b64_e32 v[58:59], v[4:5]
	s_and_saveexec_b64 s[18:19], vcc
	s_cbranch_execz .LBB1299_244
; %bb.234:
	s_and_b64 vcc, exec, s[2:3]
	s_cbranch_vccnz .LBB1299_241
; %bb.235:
	v_mul_lo_u32 v24, v5, s12
	v_mul_lo_u32 v25, v4, s13
	v_mad_u64_u32 v[22:23], s[24:25], v4, s12, 0
	v_add3_u32 v23, v23, v25, v24
	v_mul_lo_u32 v24, v3, s12
	v_mul_lo_u32 v25, v2, s13
	v_mad_u64_u32 v[26:27], s[24:25], v2, s12, 0
	v_add3_u32 v27, v27, v25, v24
	v_lshl_add_u64 v[24:25], v[22:23], 1, s[14:15]
	v_lshl_add_u64 v[22:23], v[26:27], 1, s[14:15]
	global_load_ushort v26, v[24:25], off
	global_load_ushort v27, v[22:23], off
	v_mov_b64_e32 v[58:59], 1
	s_waitcnt vmcnt(0)
	v_cmp_eq_f16_e32 vcc, v26, v27
	s_and_saveexec_b64 s[24:25], vcc
	s_cbranch_execz .LBB1299_243
; %bb.236:
	s_add_u32 s26, s12, -1
	v_lshl_add_u64 v[22:23], v[22:23], 0, 2
	v_lshl_add_u64 v[24:25], v[24:25], 0, 2
	s_addc_u32 s27, s13, -1
	s_mov_b64 s[28:29], 0
	s_mov_b64 s[34:35], 0
                                        ; implicit-def: $sgpr30_sgpr31
	s_branch .LBB1299_239
.LBB1299_237:                           ;   in Loop: Header=BB1299_239 Depth=1
	global_load_ushort v26, v[24:25], off
	global_load_ushort v27, v[22:23], off
	s_add_u32 s34, s34, 1
	s_addc_u32 s35, s35, 0
	s_andn2_b64 s[30:31], s[30:31], exec
	v_lshl_add_u64 v[22:23], v[22:23], 0, 2
	v_lshl_add_u64 v[24:25], v[24:25], 0, 2
	s_waitcnt vmcnt(0)
	v_cmp_neq_f16_e32 vcc, v26, v27
	s_and_b64 s[36:37], vcc, exec
	s_or_b64 s[30:31], s[30:31], s[36:37]
.LBB1299_238:                           ;   in Loop: Header=BB1299_239 Depth=1
	s_and_b64 s[36:37], exec, s[30:31]
	s_or_b64 s[28:29], s[36:37], s[28:29]
	v_mov_b64_e32 v[26:27], s[34:35]
	s_andn2_b64 exec, exec, s[28:29]
	s_cbranch_execz .LBB1299_242
.LBB1299_239:                           ; =>This Inner Loop Header: Depth=1
	s_or_b64 s[30:31], s[30:31], exec
	s_cmp_eq_u64 s[26:27], s[34:35]
	s_cbranch_scc0 .LBB1299_237
; %bb.240:                              ;   in Loop: Header=BB1299_239 Depth=1
                                        ; implicit-def: $vgpr22_vgpr23
                                        ; implicit-def: $vgpr24_vgpr25
	s_mov_b64 s[34:35], s[12:13]
	s_branch .LBB1299_238
.LBB1299_241:
	v_mov_b64_e32 v[58:59], 0
	s_branch .LBB1299_244
.LBB1299_242:
	s_or_b64 exec, exec, s[28:29]
	v_cmp_gt_i64_e32 vcc, s[12:13], v[26:27]
	s_mov_b32 s26, 0
	v_mov_b32_e32 v59, s26
	v_cndmask_b32_e64 v58, 0, 1, vcc
.LBB1299_243:
	s_or_b64 exec, exec, s[24:25]
.LBB1299_244:
	s_or_b64 exec, exec, s[18:19]
	v_cmp_ne_u32_e32 vcc, 0, v0
	v_mov_b64_e32 v[22:23], s[16:17]
	s_waitcnt lgkmcnt(0)
	s_barrier
	s_and_saveexec_b64 s[16:17], vcc
	s_cbranch_execz .LBB1299_246
; %bb.245:
	v_add_u32_e32 v22, -8, v40
	ds_read_b64 v[22:23], v22
.LBB1299_246:
	s_or_b64 exec, exec, s[16:17]
	v_cmp_gt_u32_e32 vcc, s21, v1
                                        ; implicit-def: $sgpr18_sgpr19
	s_and_saveexec_b64 s[16:17], vcc
	s_cbranch_execz .LBB1299_258
; %bb.247:
	s_and_b64 vcc, exec, s[2:3]
	s_cbranch_vccnz .LBB1299_254
; %bb.248:
	v_mul_lo_u32 v1, v3, s12
	v_mul_lo_u32 v26, v2, s13
	v_mad_u64_u32 v[24:25], s[2:3], v2, s12, 0
	v_add3_u32 v25, v25, v26, v1
	s_waitcnt lgkmcnt(0)
	v_mul_lo_u32 v1, v23, s12
	v_mul_lo_u32 v26, v22, s13
	v_mad_u64_u32 v[22:23], s[2:3], v22, s12, 0
	v_add3_u32 v23, v23, v26, v1
	v_lshl_add_u64 v[24:25], v[24:25], 1, s[14:15]
	v_lshl_add_u64 v[22:23], v[22:23], 1, s[14:15]
	global_load_ushort v1, v[24:25], off
	global_load_ushort v26, v[22:23], off
	s_mov_b64 s[18:19], -1
	s_waitcnt vmcnt(0)
	v_cmp_eq_f16_e32 vcc, v1, v26
	s_and_saveexec_b64 s[2:3], vcc
	s_cbranch_execz .LBB1299_256
; %bb.249:
	s_add_u32 s18, s12, -1
	v_lshl_add_u64 v[22:23], v[22:23], 0, 2
	v_lshl_add_u64 v[24:25], v[24:25], 0, 2
	s_addc_u32 s19, s13, -1
	s_mov_b64 s[24:25], 0
	s_mov_b64 s[28:29], 0
                                        ; implicit-def: $sgpr26_sgpr27
	s_branch .LBB1299_252
.LBB1299_250:                           ;   in Loop: Header=BB1299_252 Depth=1
	global_load_ushort v1, v[24:25], off
	global_load_ushort v26, v[22:23], off
	s_add_u32 s28, s28, 1
	s_addc_u32 s29, s29, 0
	s_andn2_b64 s[26:27], s[26:27], exec
	v_lshl_add_u64 v[22:23], v[22:23], 0, 2
	v_lshl_add_u64 v[24:25], v[24:25], 0, 2
	s_waitcnt vmcnt(0)
	v_cmp_neq_f16_e32 vcc, v1, v26
	s_and_b64 s[30:31], vcc, exec
	s_or_b64 s[26:27], s[26:27], s[30:31]
.LBB1299_251:                           ;   in Loop: Header=BB1299_252 Depth=1
	s_and_b64 s[30:31], exec, s[26:27]
	s_or_b64 s[24:25], s[30:31], s[24:25]
	v_mov_b64_e32 v[26:27], s[28:29]
	s_andn2_b64 exec, exec, s[24:25]
	s_cbranch_execz .LBB1299_255
.LBB1299_252:                           ; =>This Inner Loop Header: Depth=1
	s_or_b64 s[26:27], s[26:27], exec
	s_cmp_eq_u64 s[18:19], s[28:29]
	s_cbranch_scc0 .LBB1299_250
; %bb.253:                              ;   in Loop: Header=BB1299_252 Depth=1
                                        ; implicit-def: $vgpr22_vgpr23
                                        ; implicit-def: $vgpr24_vgpr25
	s_mov_b64 s[28:29], s[12:13]
	s_branch .LBB1299_251
.LBB1299_254:
	s_mov_b64 s[18:19], 0
	s_branch .LBB1299_257
.LBB1299_255:
	s_or_b64 exec, exec, s[24:25]
	v_cmp_gt_i64_e32 vcc, s[12:13], v[26:27]
	s_orn2_b64 s[18:19], vcc, exec
.LBB1299_256:
	s_or_b64 exec, exec, s[2:3]
.LBB1299_257:
	s_and_b64 s[18:19], s[18:19], exec
	s_or_b64 s[22:23], s[22:23], exec
.LBB1299_258:
	s_or_b64 exec, exec, s[16:17]
	v_mov_b64_e32 v[60:61], v[44:45]
	s_waitcnt lgkmcnt(0)
	v_mov_b64_e32 v[22:23], v[38:39]
	v_mov_b64_e32 v[68:69], v[58:59]
	;; [unrolled: 1-line block ×8, first 2 shown]
	s_branch .LBB1299_488
.LBB1299_259:
	s_cmp_lg_u64 s[4:5], 1
	s_cbranch_scc0 .LBB1299_267
; %bb.260:
	v_mul_lo_u32 v1, v21, s12
	v_mul_lo_u32 v24, v20, s13
	s_waitcnt lgkmcnt(0)
	v_mad_u64_u32 v[22:23], s[16:17], v20, s12, 0
	v_mov_b64_e32 v[38:39], 0
	v_cmp_lt_i64_e64 s[2:3], s[12:13], 1
	v_add3_u32 v23, v23, v24, v1
	v_cmp_gt_i64_e64 s[4:5], s[12:13], 0
	s_and_b64 vcc, exec, s[2:3]
	v_lshl_add_u64 v[22:23], v[22:23], 1, s[14:15]
	v_mov_b64_e32 v[42:43], v[38:39]
	ds_write_b64 v40, v[36:37]
	s_cbranch_vccnz .LBB1299_270
; %bb.261:
	v_mul_lo_u32 v1, v37, s12
	v_mul_lo_u32 v26, v36, s13
	v_mad_u64_u32 v[24:25], s[2:3], v36, s12, 0
	v_add3_u32 v25, v25, v26, v1
	v_lshl_add_u64 v[26:27], v[24:25], 1, s[14:15]
	global_load_ushort v1, v[26:27], off
	global_load_ushort v24, v[22:23], off
	v_mov_b64_e32 v[42:43], 1
	s_waitcnt vmcnt(0)
	v_cmp_eq_f16_e32 vcc, v1, v24
	s_and_saveexec_b64 s[2:3], vcc
	s_cbranch_execz .LBB1299_269
; %bb.262:
	s_add_u32 s16, s12, -1
	v_lshl_add_u64 v[24:25], v[22:23], 0, 2
	v_lshl_add_u64 v[26:27], v[26:27], 0, 2
	s_addc_u32 s17, s13, -1
	s_mov_b64 s[18:19], 0
	s_mov_b64 s[26:27], 0
                                        ; implicit-def: $sgpr24_sgpr25
	s_branch .LBB1299_265
.LBB1299_263:                           ;   in Loop: Header=BB1299_265 Depth=1
	global_load_ushort v1, v[26:27], off
	global_load_ushort v28, v[24:25], off
	s_add_u32 s26, s26, 1
	s_addc_u32 s27, s27, 0
	s_andn2_b64 s[24:25], s[24:25], exec
	v_lshl_add_u64 v[24:25], v[24:25], 0, 2
	v_lshl_add_u64 v[26:27], v[26:27], 0, 2
	s_waitcnt vmcnt(0)
	v_cmp_neq_f16_e32 vcc, v1, v28
	s_and_b64 s[28:29], vcc, exec
	s_or_b64 s[24:25], s[24:25], s[28:29]
.LBB1299_264:                           ;   in Loop: Header=BB1299_265 Depth=1
	s_and_b64 s[28:29], exec, s[24:25]
	s_or_b64 s[18:19], s[28:29], s[18:19]
	v_mov_b64_e32 v[28:29], s[26:27]
	s_andn2_b64 exec, exec, s[18:19]
	s_cbranch_execz .LBB1299_268
.LBB1299_265:                           ; =>This Inner Loop Header: Depth=1
	s_or_b64 s[24:25], s[24:25], exec
	s_cmp_eq_u64 s[16:17], s[26:27]
	s_cbranch_scc0 .LBB1299_263
; %bb.266:                              ;   in Loop: Header=BB1299_265 Depth=1
                                        ; implicit-def: $vgpr24_vgpr25
                                        ; implicit-def: $vgpr26_vgpr27
	s_mov_b64 s[26:27], s[12:13]
	s_branch .LBB1299_264
.LBB1299_267:
                                        ; implicit-def: $vgpr22_vgpr23_vgpr24_vgpr25
                                        ; implicit-def: $sgpr18_sgpr19
                                        ; implicit-def: $vgpr42_vgpr43
                                        ; implicit-def: $vgpr44_vgpr45
                                        ; implicit-def: $vgpr38_vgpr39
                                        ; implicit-def: $vgpr58_vgpr59
                                        ; implicit-def: $vgpr56_vgpr57
                                        ; implicit-def: $vgpr54_vgpr55
                                        ; implicit-def: $vgpr52_vgpr53
                                        ; implicit-def: $vgpr50_vgpr51
                                        ; implicit-def: $vgpr48_vgpr49
                                        ; implicit-def: $vgpr46_vgpr47
                                        ; implicit-def: $vgpr60_vgpr61
                                        ; implicit-def: $vgpr68_vgpr69
                                        ; implicit-def: $vgpr62_vgpr63
                                        ; implicit-def: $vgpr64_vgpr65
                                        ; implicit-def: $vgpr66_vgpr67
                                        ; implicit-def: $vgpr24_vgpr25_vgpr26_vgpr27
                                        ; implicit-def: $vgpr28_vgpr29_vgpr30_vgpr31
                                        ; implicit-def: $vgpr32_vgpr33_vgpr34_vgpr35
	s_cbranch_execnz .LBB1299_365
	s_branch .LBB1299_488
.LBB1299_268:
	s_or_b64 exec, exec, s[18:19]
	v_cmp_gt_i64_e32 vcc, s[12:13], v[28:29]
	s_mov_b32 s16, 0
	v_mov_b32_e32 v43, s16
	v_cndmask_b32_e64 v42, 0, 1, vcc
.LBB1299_269:
	s_or_b64 exec, exec, s[2:3]
.LBB1299_270:
	v_mul_lo_u32 v1, v19, s12
	v_mul_lo_u32 v26, v18, s13
	v_mad_u64_u32 v[24:25], s[2:3], v18, s12, 0
	v_add3_u32 v25, v25, v26, v1
	v_cndmask_b32_e64 v1, 0, 1, s[4:5]
	v_cmp_ne_u32_e64 s[2:3], 1, v1
	s_andn2_b64 vcc, exec, s[4:5]
	v_lshl_add_u64 v[24:25], v[24:25], 1, s[14:15]
	v_mov_b64_e32 v[44:45], v[38:39]
	s_cbranch_vccnz .LBB1299_279
; %bb.271:
	global_load_ushort v1, v[22:23], off
	global_load_ushort v26, v[24:25], off
	v_mov_b64_e32 v[44:45], 1
	s_waitcnt vmcnt(0)
	v_cmp_eq_f16_e32 vcc, v1, v26
	s_and_saveexec_b64 s[4:5], vcc
	s_cbranch_execz .LBB1299_278
; %bb.272:
	s_add_u32 s16, s12, -1
	v_lshl_add_u64 v[26:27], v[24:25], 0, 2
	v_lshl_add_u64 v[22:23], v[22:23], 0, 2
	s_addc_u32 s17, s13, -1
	s_mov_b64 s[18:19], 0
	s_mov_b64 s[26:27], 0
                                        ; implicit-def: $sgpr24_sgpr25
	s_branch .LBB1299_275
.LBB1299_273:                           ;   in Loop: Header=BB1299_275 Depth=1
	global_load_ushort v1, v[22:23], off
	global_load_ushort v28, v[26:27], off
	s_add_u32 s26, s26, 1
	s_addc_u32 s27, s27, 0
	s_andn2_b64 s[24:25], s[24:25], exec
	v_lshl_add_u64 v[26:27], v[26:27], 0, 2
	v_lshl_add_u64 v[22:23], v[22:23], 0, 2
	s_waitcnt vmcnt(0)
	v_cmp_neq_f16_e32 vcc, v1, v28
	s_and_b64 s[28:29], vcc, exec
	s_or_b64 s[24:25], s[24:25], s[28:29]
.LBB1299_274:                           ;   in Loop: Header=BB1299_275 Depth=1
	s_and_b64 s[28:29], exec, s[24:25]
	s_or_b64 s[18:19], s[28:29], s[18:19]
	v_mov_b64_e32 v[28:29], s[26:27]
	s_andn2_b64 exec, exec, s[18:19]
	s_cbranch_execz .LBB1299_277
.LBB1299_275:                           ; =>This Inner Loop Header: Depth=1
	s_or_b64 s[24:25], s[24:25], exec
	s_cmp_eq_u64 s[16:17], s[26:27]
	s_cbranch_scc0 .LBB1299_273
; %bb.276:                              ;   in Loop: Header=BB1299_275 Depth=1
                                        ; implicit-def: $vgpr26_vgpr27
                                        ; implicit-def: $vgpr22_vgpr23
	s_mov_b64 s[26:27], s[12:13]
	s_branch .LBB1299_274
.LBB1299_277:
	s_or_b64 exec, exec, s[18:19]
	v_cmp_gt_i64_e32 vcc, s[12:13], v[28:29]
	s_mov_b32 s16, 0
	v_mov_b32_e32 v45, s16
	v_cndmask_b32_e64 v44, 0, 1, vcc
.LBB1299_278:
	s_or_b64 exec, exec, s[4:5]
.LBB1299_279:
	v_mul_lo_u32 v1, v17, s12
	v_mul_lo_u32 v26, v16, s13
	v_mad_u64_u32 v[22:23], s[4:5], v16, s12, 0
	v_add3_u32 v23, v23, v26, v1
	s_and_b64 vcc, exec, s[2:3]
	v_lshl_add_u64 v[22:23], v[22:23], 1, s[14:15]
	s_cbranch_vccnz .LBB1299_288
; %bb.280:
	global_load_ushort v1, v[24:25], off
	global_load_ushort v26, v[22:23], off
	v_mov_b64_e32 v[38:39], 1
	s_waitcnt vmcnt(0)
	v_cmp_eq_f16_e32 vcc, v1, v26
	s_and_saveexec_b64 s[4:5], vcc
	s_cbranch_execz .LBB1299_287
; %bb.281:
	s_add_u32 s16, s12, -1
	v_lshl_add_u64 v[26:27], v[22:23], 0, 2
	v_lshl_add_u64 v[24:25], v[24:25], 0, 2
	s_addc_u32 s17, s13, -1
	s_mov_b64 s[18:19], 0
	s_mov_b64 s[26:27], 0
                                        ; implicit-def: $sgpr24_sgpr25
	s_branch .LBB1299_284
.LBB1299_282:                           ;   in Loop: Header=BB1299_284 Depth=1
	global_load_ushort v1, v[24:25], off
	global_load_ushort v28, v[26:27], off
	s_add_u32 s26, s26, 1
	s_addc_u32 s27, s27, 0
	s_andn2_b64 s[24:25], s[24:25], exec
	v_lshl_add_u64 v[26:27], v[26:27], 0, 2
	v_lshl_add_u64 v[24:25], v[24:25], 0, 2
	s_waitcnt vmcnt(0)
	v_cmp_neq_f16_e32 vcc, v1, v28
	s_and_b64 s[28:29], vcc, exec
	s_or_b64 s[24:25], s[24:25], s[28:29]
.LBB1299_283:                           ;   in Loop: Header=BB1299_284 Depth=1
	s_and_b64 s[28:29], exec, s[24:25]
	s_or_b64 s[18:19], s[28:29], s[18:19]
	v_mov_b64_e32 v[28:29], s[26:27]
	s_andn2_b64 exec, exec, s[18:19]
	s_cbranch_execz .LBB1299_286
.LBB1299_284:                           ; =>This Inner Loop Header: Depth=1
	s_or_b64 s[24:25], s[24:25], exec
	s_cmp_eq_u64 s[16:17], s[26:27]
	s_cbranch_scc0 .LBB1299_282
; %bb.285:                              ;   in Loop: Header=BB1299_284 Depth=1
                                        ; implicit-def: $vgpr26_vgpr27
                                        ; implicit-def: $vgpr24_vgpr25
	s_mov_b64 s[26:27], s[12:13]
	s_branch .LBB1299_283
.LBB1299_286:
	s_or_b64 exec, exec, s[18:19]
	v_cmp_gt_i64_e32 vcc, s[12:13], v[28:29]
	s_mov_b32 s16, 0
	v_mov_b32_e32 v39, s16
	v_cndmask_b32_e64 v38, 0, 1, vcc
.LBB1299_287:
	s_or_b64 exec, exec, s[4:5]
.LBB1299_288:
	v_mul_lo_u32 v1, v15, s12
	v_mul_lo_u32 v26, v14, s13
	v_mad_u64_u32 v[24:25], s[4:5], v14, s12, 0
	v_add3_u32 v25, v25, v26, v1
	v_mov_b64_e32 v[48:49], 0
	s_and_b64 vcc, exec, s[2:3]
	v_lshl_add_u64 v[24:25], v[24:25], 1, s[14:15]
	v_mov_b64_e32 v[46:47], v[48:49]
	s_cbranch_vccnz .LBB1299_297
; %bb.289:
	global_load_ushort v1, v[22:23], off
	global_load_ushort v26, v[24:25], off
	v_mov_b64_e32 v[46:47], 1
	s_waitcnt vmcnt(0)
	v_cmp_eq_f16_e32 vcc, v1, v26
	s_and_saveexec_b64 s[4:5], vcc
	s_cbranch_execz .LBB1299_296
; %bb.290:
	s_add_u32 s16, s12, -1
	v_lshl_add_u64 v[26:27], v[24:25], 0, 2
	v_lshl_add_u64 v[22:23], v[22:23], 0, 2
	s_addc_u32 s17, s13, -1
	s_mov_b64 s[18:19], 0
	s_mov_b64 s[26:27], 0
                                        ; implicit-def: $sgpr24_sgpr25
	s_branch .LBB1299_293
.LBB1299_291:                           ;   in Loop: Header=BB1299_293 Depth=1
	global_load_ushort v1, v[22:23], off
	global_load_ushort v28, v[26:27], off
	s_add_u32 s26, s26, 1
	s_addc_u32 s27, s27, 0
	s_andn2_b64 s[24:25], s[24:25], exec
	v_lshl_add_u64 v[26:27], v[26:27], 0, 2
	v_lshl_add_u64 v[22:23], v[22:23], 0, 2
	s_waitcnt vmcnt(0)
	v_cmp_neq_f16_e32 vcc, v1, v28
	s_and_b64 s[28:29], vcc, exec
	s_or_b64 s[24:25], s[24:25], s[28:29]
.LBB1299_292:                           ;   in Loop: Header=BB1299_293 Depth=1
	s_and_b64 s[28:29], exec, s[24:25]
	s_or_b64 s[18:19], s[28:29], s[18:19]
	v_mov_b64_e32 v[28:29], s[26:27]
	s_andn2_b64 exec, exec, s[18:19]
	s_cbranch_execz .LBB1299_295
.LBB1299_293:                           ; =>This Inner Loop Header: Depth=1
	s_or_b64 s[24:25], s[24:25], exec
	s_cmp_eq_u64 s[16:17], s[26:27]
	s_cbranch_scc0 .LBB1299_291
; %bb.294:                              ;   in Loop: Header=BB1299_293 Depth=1
                                        ; implicit-def: $vgpr26_vgpr27
                                        ; implicit-def: $vgpr22_vgpr23
	s_mov_b64 s[26:27], s[12:13]
	s_branch .LBB1299_292
.LBB1299_295:
	s_or_b64 exec, exec, s[18:19]
	v_cmp_gt_i64_e32 vcc, s[12:13], v[28:29]
	s_mov_b32 s16, 0
	v_mov_b32_e32 v47, s16
	v_cndmask_b32_e64 v46, 0, 1, vcc
.LBB1299_296:
	s_or_b64 exec, exec, s[4:5]
.LBB1299_297:
	v_mul_lo_u32 v1, v13, s12
	v_mul_lo_u32 v26, v12, s13
	v_mad_u64_u32 v[22:23], s[4:5], v12, s12, 0
	v_add3_u32 v23, v23, v26, v1
	s_and_b64 vcc, exec, s[2:3]
	v_lshl_add_u64 v[22:23], v[22:23], 1, s[14:15]
	s_cbranch_vccnz .LBB1299_306
; %bb.298:
	global_load_ushort v1, v[24:25], off
	global_load_ushort v26, v[22:23], off
	v_mov_b64_e32 v[48:49], 1
	s_waitcnt vmcnt(0)
	v_cmp_eq_f16_e32 vcc, v1, v26
	s_and_saveexec_b64 s[4:5], vcc
	s_cbranch_execz .LBB1299_305
; %bb.299:
	s_add_u32 s16, s12, -1
	v_lshl_add_u64 v[26:27], v[22:23], 0, 2
	v_lshl_add_u64 v[24:25], v[24:25], 0, 2
	s_addc_u32 s17, s13, -1
	s_mov_b64 s[18:19], 0
	s_mov_b64 s[26:27], 0
                                        ; implicit-def: $sgpr24_sgpr25
	s_branch .LBB1299_302
.LBB1299_300:                           ;   in Loop: Header=BB1299_302 Depth=1
	global_load_ushort v1, v[24:25], off
	global_load_ushort v28, v[26:27], off
	s_add_u32 s26, s26, 1
	s_addc_u32 s27, s27, 0
	s_andn2_b64 s[24:25], s[24:25], exec
	v_lshl_add_u64 v[26:27], v[26:27], 0, 2
	v_lshl_add_u64 v[24:25], v[24:25], 0, 2
	s_waitcnt vmcnt(0)
	v_cmp_neq_f16_e32 vcc, v1, v28
	s_and_b64 s[28:29], vcc, exec
	s_or_b64 s[24:25], s[24:25], s[28:29]
.LBB1299_301:                           ;   in Loop: Header=BB1299_302 Depth=1
	s_and_b64 s[28:29], exec, s[24:25]
	s_or_b64 s[18:19], s[28:29], s[18:19]
	v_mov_b64_e32 v[28:29], s[26:27]
	s_andn2_b64 exec, exec, s[18:19]
	s_cbranch_execz .LBB1299_304
.LBB1299_302:                           ; =>This Inner Loop Header: Depth=1
	s_or_b64 s[24:25], s[24:25], exec
	s_cmp_eq_u64 s[16:17], s[26:27]
	s_cbranch_scc0 .LBB1299_300
; %bb.303:                              ;   in Loop: Header=BB1299_302 Depth=1
                                        ; implicit-def: $vgpr26_vgpr27
                                        ; implicit-def: $vgpr24_vgpr25
	s_mov_b64 s[26:27], s[12:13]
	s_branch .LBB1299_301
.LBB1299_304:
	s_or_b64 exec, exec, s[18:19]
	v_cmp_gt_i64_e32 vcc, s[12:13], v[28:29]
	s_mov_b32 s16, 0
	v_mov_b32_e32 v49, s16
	v_cndmask_b32_e64 v48, 0, 1, vcc
.LBB1299_305:
	s_or_b64 exec, exec, s[4:5]
.LBB1299_306:
	v_mul_lo_u32 v1, v11, s12
	v_mul_lo_u32 v26, v10, s13
	v_mad_u64_u32 v[24:25], s[4:5], v10, s12, 0
	v_add3_u32 v25, v25, v26, v1
	v_mov_b64_e32 v[52:53], 0
	s_and_b64 vcc, exec, s[2:3]
	v_lshl_add_u64 v[24:25], v[24:25], 1, s[14:15]
	v_mov_b64_e32 v[50:51], v[52:53]
	s_cbranch_vccnz .LBB1299_315
; %bb.307:
	global_load_ushort v1, v[22:23], off
	global_load_ushort v26, v[24:25], off
	v_mov_b64_e32 v[50:51], 1
	s_waitcnt vmcnt(0)
	v_cmp_eq_f16_e32 vcc, v1, v26
	s_and_saveexec_b64 s[4:5], vcc
	s_cbranch_execz .LBB1299_314
; %bb.308:
	s_add_u32 s16, s12, -1
	v_lshl_add_u64 v[26:27], v[24:25], 0, 2
	v_lshl_add_u64 v[22:23], v[22:23], 0, 2
	s_addc_u32 s17, s13, -1
	s_mov_b64 s[18:19], 0
	s_mov_b64 s[26:27], 0
                                        ; implicit-def: $sgpr24_sgpr25
	s_branch .LBB1299_311
.LBB1299_309:                           ;   in Loop: Header=BB1299_311 Depth=1
	global_load_ushort v1, v[22:23], off
	global_load_ushort v28, v[26:27], off
	s_add_u32 s26, s26, 1
	s_addc_u32 s27, s27, 0
	s_andn2_b64 s[24:25], s[24:25], exec
	v_lshl_add_u64 v[26:27], v[26:27], 0, 2
	v_lshl_add_u64 v[22:23], v[22:23], 0, 2
	s_waitcnt vmcnt(0)
	v_cmp_neq_f16_e32 vcc, v1, v28
	s_and_b64 s[28:29], vcc, exec
	s_or_b64 s[24:25], s[24:25], s[28:29]
.LBB1299_310:                           ;   in Loop: Header=BB1299_311 Depth=1
	s_and_b64 s[28:29], exec, s[24:25]
	s_or_b64 s[18:19], s[28:29], s[18:19]
	v_mov_b64_e32 v[28:29], s[26:27]
	s_andn2_b64 exec, exec, s[18:19]
	s_cbranch_execz .LBB1299_313
.LBB1299_311:                           ; =>This Inner Loop Header: Depth=1
	s_or_b64 s[24:25], s[24:25], exec
	s_cmp_eq_u64 s[16:17], s[26:27]
	s_cbranch_scc0 .LBB1299_309
; %bb.312:                              ;   in Loop: Header=BB1299_311 Depth=1
                                        ; implicit-def: $vgpr26_vgpr27
                                        ; implicit-def: $vgpr22_vgpr23
	s_mov_b64 s[26:27], s[12:13]
	s_branch .LBB1299_310
.LBB1299_313:
	s_or_b64 exec, exec, s[18:19]
	v_cmp_gt_i64_e32 vcc, s[12:13], v[28:29]
	s_mov_b32 s16, 0
	v_mov_b32_e32 v51, s16
	v_cndmask_b32_e64 v50, 0, 1, vcc
.LBB1299_314:
	s_or_b64 exec, exec, s[4:5]
.LBB1299_315:
	v_mul_lo_u32 v1, v9, s12
	v_mul_lo_u32 v26, v8, s13
	v_mad_u64_u32 v[22:23], s[4:5], v8, s12, 0
	v_add3_u32 v23, v23, v26, v1
	s_and_b64 vcc, exec, s[2:3]
	v_lshl_add_u64 v[22:23], v[22:23], 1, s[14:15]
	s_cbranch_vccnz .LBB1299_324
; %bb.316:
	global_load_ushort v1, v[24:25], off
	global_load_ushort v26, v[22:23], off
	v_mov_b64_e32 v[52:53], 1
	s_waitcnt vmcnt(0)
	v_cmp_eq_f16_e32 vcc, v1, v26
	s_and_saveexec_b64 s[4:5], vcc
	s_cbranch_execz .LBB1299_323
; %bb.317:
	s_add_u32 s16, s12, -1
	v_lshl_add_u64 v[26:27], v[22:23], 0, 2
	v_lshl_add_u64 v[24:25], v[24:25], 0, 2
	s_addc_u32 s17, s13, -1
	s_mov_b64 s[18:19], 0
	s_mov_b64 s[26:27], 0
                                        ; implicit-def: $sgpr24_sgpr25
	s_branch .LBB1299_320
.LBB1299_318:                           ;   in Loop: Header=BB1299_320 Depth=1
	global_load_ushort v1, v[24:25], off
	global_load_ushort v28, v[26:27], off
	s_add_u32 s26, s26, 1
	s_addc_u32 s27, s27, 0
	s_andn2_b64 s[24:25], s[24:25], exec
	v_lshl_add_u64 v[26:27], v[26:27], 0, 2
	v_lshl_add_u64 v[24:25], v[24:25], 0, 2
	s_waitcnt vmcnt(0)
	v_cmp_neq_f16_e32 vcc, v1, v28
	s_and_b64 s[28:29], vcc, exec
	s_or_b64 s[24:25], s[24:25], s[28:29]
.LBB1299_319:                           ;   in Loop: Header=BB1299_320 Depth=1
	s_and_b64 s[28:29], exec, s[24:25]
	s_or_b64 s[18:19], s[28:29], s[18:19]
	v_mov_b64_e32 v[28:29], s[26:27]
	s_andn2_b64 exec, exec, s[18:19]
	s_cbranch_execz .LBB1299_322
.LBB1299_320:                           ; =>This Inner Loop Header: Depth=1
	s_or_b64 s[24:25], s[24:25], exec
	s_cmp_eq_u64 s[16:17], s[26:27]
	s_cbranch_scc0 .LBB1299_318
; %bb.321:                              ;   in Loop: Header=BB1299_320 Depth=1
                                        ; implicit-def: $vgpr26_vgpr27
                                        ; implicit-def: $vgpr24_vgpr25
	s_mov_b64 s[26:27], s[12:13]
	s_branch .LBB1299_319
.LBB1299_322:
	s_or_b64 exec, exec, s[18:19]
	v_cmp_gt_i64_e32 vcc, s[12:13], v[28:29]
	s_mov_b32 s16, 0
	v_mov_b32_e32 v53, s16
	v_cndmask_b32_e64 v52, 0, 1, vcc
.LBB1299_323:
	s_or_b64 exec, exec, s[4:5]
.LBB1299_324:
	v_mul_lo_u32 v1, v7, s12
	v_mul_lo_u32 v26, v6, s13
	v_mad_u64_u32 v[24:25], s[4:5], v6, s12, 0
	v_add3_u32 v25, v25, v26, v1
	v_mov_b64_e32 v[56:57], 0
	s_and_b64 vcc, exec, s[2:3]
	v_lshl_add_u64 v[24:25], v[24:25], 1, s[14:15]
	v_mov_b64_e32 v[54:55], v[56:57]
	s_cbranch_vccnz .LBB1299_333
; %bb.325:
	global_load_ushort v1, v[22:23], off
	global_load_ushort v26, v[24:25], off
	v_mov_b64_e32 v[54:55], 1
	s_waitcnt vmcnt(0)
	v_cmp_eq_f16_e32 vcc, v1, v26
	s_and_saveexec_b64 s[4:5], vcc
	s_cbranch_execz .LBB1299_332
; %bb.326:
	s_add_u32 s16, s12, -1
	v_lshl_add_u64 v[26:27], v[24:25], 0, 2
	v_lshl_add_u64 v[22:23], v[22:23], 0, 2
	s_addc_u32 s17, s13, -1
	s_mov_b64 s[18:19], 0
	s_mov_b64 s[26:27], 0
                                        ; implicit-def: $sgpr24_sgpr25
	s_branch .LBB1299_329
.LBB1299_327:                           ;   in Loop: Header=BB1299_329 Depth=1
	global_load_ushort v1, v[22:23], off
	global_load_ushort v28, v[26:27], off
	s_add_u32 s26, s26, 1
	s_addc_u32 s27, s27, 0
	s_andn2_b64 s[24:25], s[24:25], exec
	v_lshl_add_u64 v[26:27], v[26:27], 0, 2
	v_lshl_add_u64 v[22:23], v[22:23], 0, 2
	s_waitcnt vmcnt(0)
	v_cmp_neq_f16_e32 vcc, v1, v28
	s_and_b64 s[28:29], vcc, exec
	s_or_b64 s[24:25], s[24:25], s[28:29]
.LBB1299_328:                           ;   in Loop: Header=BB1299_329 Depth=1
	s_and_b64 s[28:29], exec, s[24:25]
	s_or_b64 s[18:19], s[28:29], s[18:19]
	v_mov_b64_e32 v[28:29], s[26:27]
	s_andn2_b64 exec, exec, s[18:19]
	s_cbranch_execz .LBB1299_331
.LBB1299_329:                           ; =>This Inner Loop Header: Depth=1
	s_or_b64 s[24:25], s[24:25], exec
	s_cmp_eq_u64 s[16:17], s[26:27]
	s_cbranch_scc0 .LBB1299_327
; %bb.330:                              ;   in Loop: Header=BB1299_329 Depth=1
                                        ; implicit-def: $vgpr26_vgpr27
                                        ; implicit-def: $vgpr22_vgpr23
	s_mov_b64 s[26:27], s[12:13]
	s_branch .LBB1299_328
.LBB1299_331:
	s_or_b64 exec, exec, s[18:19]
	v_cmp_gt_i64_e32 vcc, s[12:13], v[28:29]
	s_mov_b32 s16, 0
	v_mov_b32_e32 v55, s16
	v_cndmask_b32_e64 v54, 0, 1, vcc
.LBB1299_332:
	s_or_b64 exec, exec, s[4:5]
.LBB1299_333:
	v_mul_lo_u32 v1, v5, s12
	v_mul_lo_u32 v26, v4, s13
	v_mad_u64_u32 v[22:23], s[4:5], v4, s12, 0
	v_add3_u32 v23, v23, v26, v1
	s_and_b64 vcc, exec, s[2:3]
	v_lshl_add_u64 v[22:23], v[22:23], 1, s[14:15]
	s_cbranch_vccnz .LBB1299_342
; %bb.334:
	global_load_ushort v1, v[24:25], off
	global_load_ushort v26, v[22:23], off
	v_mov_b64_e32 v[56:57], 1
	s_waitcnt vmcnt(0)
	v_cmp_eq_f16_e32 vcc, v1, v26
	s_and_saveexec_b64 s[4:5], vcc
	s_cbranch_execz .LBB1299_341
; %bb.335:
	s_add_u32 s16, s12, -1
	v_lshl_add_u64 v[26:27], v[22:23], 0, 2
	v_lshl_add_u64 v[24:25], v[24:25], 0, 2
	s_addc_u32 s17, s13, -1
	s_mov_b64 s[18:19], 0
	s_mov_b64 s[26:27], 0
                                        ; implicit-def: $sgpr24_sgpr25
	s_branch .LBB1299_338
.LBB1299_336:                           ;   in Loop: Header=BB1299_338 Depth=1
	global_load_ushort v1, v[24:25], off
	global_load_ushort v28, v[26:27], off
	s_add_u32 s26, s26, 1
	s_addc_u32 s27, s27, 0
	s_andn2_b64 s[24:25], s[24:25], exec
	v_lshl_add_u64 v[26:27], v[26:27], 0, 2
	v_lshl_add_u64 v[24:25], v[24:25], 0, 2
	s_waitcnt vmcnt(0)
	v_cmp_neq_f16_e32 vcc, v1, v28
	s_and_b64 s[28:29], vcc, exec
	s_or_b64 s[24:25], s[24:25], s[28:29]
.LBB1299_337:                           ;   in Loop: Header=BB1299_338 Depth=1
	s_and_b64 s[28:29], exec, s[24:25]
	s_or_b64 s[18:19], s[28:29], s[18:19]
	v_mov_b64_e32 v[28:29], s[26:27]
	s_andn2_b64 exec, exec, s[18:19]
	s_cbranch_execz .LBB1299_340
.LBB1299_338:                           ; =>This Inner Loop Header: Depth=1
	s_or_b64 s[24:25], s[24:25], exec
	s_cmp_eq_u64 s[16:17], s[26:27]
	s_cbranch_scc0 .LBB1299_336
; %bb.339:                              ;   in Loop: Header=BB1299_338 Depth=1
                                        ; implicit-def: $vgpr26_vgpr27
                                        ; implicit-def: $vgpr24_vgpr25
	s_mov_b64 s[26:27], s[12:13]
	s_branch .LBB1299_337
.LBB1299_340:
	s_or_b64 exec, exec, s[18:19]
	v_cmp_gt_i64_e32 vcc, s[12:13], v[28:29]
	s_mov_b32 s16, 0
	v_mov_b32_e32 v57, s16
	v_cndmask_b32_e64 v56, 0, 1, vcc
.LBB1299_341:
	s_or_b64 exec, exec, s[4:5]
.LBB1299_342:
	s_and_b64 vcc, exec, s[2:3]
	s_cbranch_vccnz .LBB1299_349
; %bb.343:
	v_mul_lo_u32 v1, v3, s12
	v_mul_lo_u32 v26, v2, s13
	v_mad_u64_u32 v[24:25], s[4:5], v2, s12, 0
	v_add3_u32 v25, v25, v26, v1
	v_lshl_add_u64 v[24:25], v[24:25], 1, s[14:15]
	global_load_ushort v1, v[22:23], off
	global_load_ushort v26, v[24:25], off
	v_mov_b64_e32 v[58:59], 1
	s_waitcnt vmcnt(0)
	v_cmp_eq_f16_e32 vcc, v1, v26
	s_and_saveexec_b64 s[4:5], vcc
	s_cbranch_execz .LBB1299_351
; %bb.344:
	s_add_u32 s16, s12, -1
	v_lshl_add_u64 v[24:25], v[24:25], 0, 2
	v_lshl_add_u64 v[22:23], v[22:23], 0, 2
	s_addc_u32 s17, s13, -1
	s_mov_b64 s[18:19], 0
	s_mov_b64 s[26:27], 0
                                        ; implicit-def: $sgpr24_sgpr25
	s_branch .LBB1299_347
.LBB1299_345:                           ;   in Loop: Header=BB1299_347 Depth=1
	global_load_ushort v1, v[22:23], off
	global_load_ushort v26, v[24:25], off
	s_add_u32 s26, s26, 1
	s_addc_u32 s27, s27, 0
	s_andn2_b64 s[24:25], s[24:25], exec
	v_lshl_add_u64 v[24:25], v[24:25], 0, 2
	v_lshl_add_u64 v[22:23], v[22:23], 0, 2
	s_waitcnt vmcnt(0)
	v_cmp_neq_f16_e32 vcc, v1, v26
	s_and_b64 s[28:29], vcc, exec
	s_or_b64 s[24:25], s[24:25], s[28:29]
.LBB1299_346:                           ;   in Loop: Header=BB1299_347 Depth=1
	s_and_b64 s[28:29], exec, s[24:25]
	s_or_b64 s[18:19], s[28:29], s[18:19]
	v_mov_b64_e32 v[26:27], s[26:27]
	s_andn2_b64 exec, exec, s[18:19]
	s_cbranch_execz .LBB1299_350
.LBB1299_347:                           ; =>This Inner Loop Header: Depth=1
	s_or_b64 s[24:25], s[24:25], exec
	s_cmp_eq_u64 s[16:17], s[26:27]
	s_cbranch_scc0 .LBB1299_345
; %bb.348:                              ;   in Loop: Header=BB1299_347 Depth=1
                                        ; implicit-def: $vgpr24_vgpr25
                                        ; implicit-def: $vgpr22_vgpr23
	s_mov_b64 s[26:27], s[12:13]
	s_branch .LBB1299_346
.LBB1299_349:
	v_mov_b64_e32 v[58:59], 0
	s_branch .LBB1299_352
.LBB1299_350:
	s_or_b64 exec, exec, s[18:19]
	v_cmp_gt_i64_e32 vcc, s[12:13], v[26:27]
	s_mov_b32 s16, 0
	v_mov_b32_e32 v59, s16
	v_cndmask_b32_e64 v58, 0, 1, vcc
.LBB1299_351:
	s_or_b64 exec, exec, s[4:5]
.LBB1299_352:
	v_cmp_ne_u32_e32 vcc, 0, v0
	s_waitcnt lgkmcnt(0)
	s_barrier
	s_waitcnt lgkmcnt(0)
                                        ; implicit-def: $sgpr18_sgpr19
	s_and_saveexec_b64 s[4:5], vcc
	s_cbranch_execz .LBB1299_364
; %bb.353:
	s_and_b64 vcc, exec, s[2:3]
	s_cbranch_vccnz .LBB1299_360
; %bb.354:
	v_add_u32_e32 v22, -8, v40
	ds_read_b64 v[22:23], v22
	v_mul_lo_u32 v1, v3, s12
	v_mul_lo_u32 v26, v2, s13
	v_mad_u64_u32 v[24:25], s[2:3], v2, s12, 0
	v_add3_u32 v25, v25, v26, v1
	s_waitcnt lgkmcnt(0)
	v_mul_lo_u32 v1, v23, s12
	v_mul_lo_u32 v26, v22, s13
	v_mad_u64_u32 v[22:23], s[2:3], v22, s12, 0
	v_add3_u32 v23, v23, v26, v1
	v_lshl_add_u64 v[24:25], v[24:25], 1, s[14:15]
	v_lshl_add_u64 v[22:23], v[22:23], 1, s[14:15]
	global_load_ushort v1, v[24:25], off
	global_load_ushort v26, v[22:23], off
	s_mov_b64 s[16:17], -1
	s_waitcnt vmcnt(0)
	v_cmp_eq_f16_e32 vcc, v1, v26
	s_and_saveexec_b64 s[2:3], vcc
	s_cbranch_execz .LBB1299_362
; %bb.355:
	s_add_u32 s16, s12, -1
	v_lshl_add_u64 v[22:23], v[22:23], 0, 2
	v_lshl_add_u64 v[24:25], v[24:25], 0, 2
	s_addc_u32 s17, s13, -1
	s_mov_b64 s[18:19], 0
	s_mov_b64 s[26:27], 0
                                        ; implicit-def: $sgpr24_sgpr25
	s_branch .LBB1299_358
.LBB1299_356:                           ;   in Loop: Header=BB1299_358 Depth=1
	global_load_ushort v1, v[24:25], off
	global_load_ushort v26, v[22:23], off
	s_add_u32 s26, s26, 1
	s_addc_u32 s27, s27, 0
	s_andn2_b64 s[24:25], s[24:25], exec
	v_lshl_add_u64 v[22:23], v[22:23], 0, 2
	v_lshl_add_u64 v[24:25], v[24:25], 0, 2
	s_waitcnt vmcnt(0)
	v_cmp_neq_f16_e32 vcc, v1, v26
	s_and_b64 s[28:29], vcc, exec
	s_or_b64 s[24:25], s[24:25], s[28:29]
.LBB1299_357:                           ;   in Loop: Header=BB1299_358 Depth=1
	s_and_b64 s[28:29], exec, s[24:25]
	s_or_b64 s[18:19], s[28:29], s[18:19]
	v_mov_b64_e32 v[26:27], s[26:27]
	s_andn2_b64 exec, exec, s[18:19]
	s_cbranch_execz .LBB1299_361
.LBB1299_358:                           ; =>This Inner Loop Header: Depth=1
	s_or_b64 s[24:25], s[24:25], exec
	s_cmp_eq_u64 s[16:17], s[26:27]
	s_cbranch_scc0 .LBB1299_356
; %bb.359:                              ;   in Loop: Header=BB1299_358 Depth=1
                                        ; implicit-def: $vgpr22_vgpr23
                                        ; implicit-def: $vgpr24_vgpr25
	s_mov_b64 s[26:27], s[12:13]
	s_branch .LBB1299_357
.LBB1299_360:
	s_mov_b64 s[16:17], 0
	s_branch .LBB1299_363
.LBB1299_361:
	s_or_b64 exec, exec, s[18:19]
	v_cmp_gt_i64_e32 vcc, s[12:13], v[26:27]
	s_orn2_b64 s[16:17], vcc, exec
.LBB1299_362:
	s_or_b64 exec, exec, s[2:3]
.LBB1299_363:
	s_and_b64 s[18:19], s[16:17], exec
	s_or_b64 s[22:23], s[22:23], exec
.LBB1299_364:
	s_or_b64 exec, exec, s[4:5]
	v_mov_b64_e32 v[60:61], v[44:45]
	v_mov_b64_e32 v[22:23], v[38:39]
	;; [unrolled: 1-line block ×9, first 2 shown]
	s_branch .LBB1299_488
.LBB1299_365:
	s_waitcnt lgkmcnt(0)
	v_mad_u32_u24 v22, v0, 11, 10
	v_cmp_gt_i64_e64 s[2:3], s[12:13], 0
	v_cmp_gt_u32_e32 vcc, s10, v22
	v_mul_u32_u24_e32 v1, 11, v0
	v_cndmask_b32_e64 v22, 0, 1, s[2:3]
	v_cmp_ne_u32_e64 s[2:3], 1, v22
	ds_write_b64 v40, v[36:37]
	s_and_saveexec_b64 s[4:5], vcc
	s_cbranch_execz .LBB1299_376
; %bb.366:
	s_and_b64 vcc, exec, s[2:3]
	s_cbranch_vccnz .LBB1299_373
; %bb.367:
	v_mul_lo_u32 v24, v37, s12
	v_mul_lo_u32 v25, v36, s13
	v_mad_u64_u32 v[22:23], s[16:17], v36, s12, 0
	v_add3_u32 v23, v23, v25, v24
	v_mul_lo_u32 v24, v21, s12
	v_mul_lo_u32 v25, v20, s13
	v_mad_u64_u32 v[26:27], s[16:17], v20, s12, 0
	v_add3_u32 v27, v27, v25, v24
	v_lshl_add_u64 v[24:25], v[22:23], 1, s[14:15]
	v_lshl_add_u64 v[22:23], v[26:27], 1, s[14:15]
	global_load_ushort v26, v[24:25], off
	global_load_ushort v27, v[22:23], off
	v_mov_b64_e32 v[36:37], 1
	s_waitcnt vmcnt(0)
	v_cmp_eq_f16_e32 vcc, v26, v27
	s_and_saveexec_b64 s[16:17], vcc
	s_cbranch_execz .LBB1299_375
; %bb.368:
	s_add_u32 s18, s12, -1
	v_lshl_add_u64 v[22:23], v[22:23], 0, 2
	v_lshl_add_u64 v[24:25], v[24:25], 0, 2
	s_addc_u32 s19, s13, -1
	s_mov_b64 s[24:25], 0
	s_mov_b64 s[28:29], 0
                                        ; implicit-def: $sgpr26_sgpr27
	s_branch .LBB1299_371
.LBB1299_369:                           ;   in Loop: Header=BB1299_371 Depth=1
	global_load_ushort v26, v[24:25], off
	global_load_ushort v27, v[22:23], off
	s_add_u32 s28, s28, 1
	s_addc_u32 s29, s29, 0
	s_andn2_b64 s[26:27], s[26:27], exec
	v_lshl_add_u64 v[22:23], v[22:23], 0, 2
	v_lshl_add_u64 v[24:25], v[24:25], 0, 2
	s_waitcnt vmcnt(0)
	v_cmp_neq_f16_e32 vcc, v26, v27
	s_and_b64 s[30:31], vcc, exec
	s_or_b64 s[26:27], s[26:27], s[30:31]
.LBB1299_370:                           ;   in Loop: Header=BB1299_371 Depth=1
	s_and_b64 s[30:31], exec, s[26:27]
	s_or_b64 s[24:25], s[30:31], s[24:25]
	v_mov_b64_e32 v[26:27], s[28:29]
	s_andn2_b64 exec, exec, s[24:25]
	s_cbranch_execz .LBB1299_374
.LBB1299_371:                           ; =>This Inner Loop Header: Depth=1
	s_or_b64 s[26:27], s[26:27], exec
	s_cmp_eq_u64 s[18:19], s[28:29]
	s_cbranch_scc0 .LBB1299_369
; %bb.372:                              ;   in Loop: Header=BB1299_371 Depth=1
                                        ; implicit-def: $vgpr22_vgpr23
                                        ; implicit-def: $vgpr24_vgpr25
	s_mov_b64 s[28:29], s[12:13]
	s_branch .LBB1299_370
.LBB1299_373:
	v_mov_b64_e32 v[36:37], 0
	s_branch .LBB1299_376
.LBB1299_374:
	s_or_b64 exec, exec, s[24:25]
	v_cmp_gt_i64_e32 vcc, s[12:13], v[26:27]
	s_mov_b32 s18, 0
	v_mov_b32_e32 v37, s18
	v_cndmask_b32_e64 v36, 0, 1, vcc
.LBB1299_375:
	s_or_b64 exec, exec, s[16:17]
.LBB1299_376:
	s_or_b64 exec, exec, s[4:5]
	v_add_u32_e32 v22, 9, v1
	v_cmp_gt_u32_e32 vcc, s10, v22
	s_and_saveexec_b64 s[4:5], vcc
	s_cbranch_execz .LBB1299_387
; %bb.377:
	s_and_b64 vcc, exec, s[2:3]
	s_cbranch_vccnz .LBB1299_384
; %bb.378:
	v_mul_lo_u32 v22, v21, s12
	v_mul_lo_u32 v23, v20, s13
	v_mad_u64_u32 v[20:21], s[16:17], v20, s12, 0
	v_add3_u32 v21, v21, v23, v22
	v_mul_lo_u32 v22, v19, s12
	v_mul_lo_u32 v23, v18, s13
	v_mad_u64_u32 v[24:25], s[16:17], v18, s12, 0
	v_add3_u32 v25, v25, v23, v22
	v_lshl_add_u64 v[22:23], v[20:21], 1, s[14:15]
	v_lshl_add_u64 v[24:25], v[24:25], 1, s[14:15]
	global_load_ushort v20, v[22:23], off
	global_load_ushort v21, v[24:25], off
	s_waitcnt vmcnt(0)
	v_cmp_eq_f16_e32 vcc, v20, v21
	v_mov_b64_e32 v[20:21], 1
	s_and_saveexec_b64 s[16:17], vcc
	s_cbranch_execz .LBB1299_386
; %bb.379:
	s_add_u32 s18, s12, -1
	v_lshl_add_u64 v[20:21], v[24:25], 0, 2
	v_lshl_add_u64 v[22:23], v[22:23], 0, 2
	s_addc_u32 s19, s13, -1
	s_mov_b64 s[24:25], 0
	s_mov_b64 s[28:29], 0
                                        ; implicit-def: $sgpr26_sgpr27
	s_branch .LBB1299_382
.LBB1299_380:                           ;   in Loop: Header=BB1299_382 Depth=1
	global_load_ushort v24, v[22:23], off
	global_load_ushort v25, v[20:21], off
	s_add_u32 s28, s28, 1
	s_addc_u32 s29, s29, 0
	s_andn2_b64 s[26:27], s[26:27], exec
	v_lshl_add_u64 v[20:21], v[20:21], 0, 2
	v_lshl_add_u64 v[22:23], v[22:23], 0, 2
	s_waitcnt vmcnt(0)
	v_cmp_neq_f16_e32 vcc, v24, v25
	s_and_b64 s[30:31], vcc, exec
	s_or_b64 s[26:27], s[26:27], s[30:31]
.LBB1299_381:                           ;   in Loop: Header=BB1299_382 Depth=1
	s_and_b64 s[30:31], exec, s[26:27]
	s_or_b64 s[24:25], s[30:31], s[24:25]
	v_mov_b64_e32 v[24:25], s[28:29]
	s_andn2_b64 exec, exec, s[24:25]
	s_cbranch_execz .LBB1299_385
.LBB1299_382:                           ; =>This Inner Loop Header: Depth=1
	s_or_b64 s[26:27], s[26:27], exec
	s_cmp_eq_u64 s[18:19], s[28:29]
	s_cbranch_scc0 .LBB1299_380
; %bb.383:                              ;   in Loop: Header=BB1299_382 Depth=1
                                        ; implicit-def: $vgpr20_vgpr21
                                        ; implicit-def: $vgpr22_vgpr23
	s_mov_b64 s[28:29], s[12:13]
	s_branch .LBB1299_381
.LBB1299_384:
	v_mov_b64_e32 v[20:21], 0
	s_branch .LBB1299_387
.LBB1299_385:
	s_or_b64 exec, exec, s[24:25]
	v_cmp_gt_i64_e32 vcc, s[12:13], v[24:25]
	s_mov_b32 s18, 0
	v_mov_b32_e32 v21, s18
	v_cndmask_b32_e64 v20, 0, 1, vcc
.LBB1299_386:
	s_or_b64 exec, exec, s[16:17]
.LBB1299_387:
	s_or_b64 exec, exec, s[4:5]
	v_add_u32_e32 v22, 8, v1
	v_cmp_gt_u32_e32 vcc, s10, v22
	s_and_saveexec_b64 s[4:5], vcc
	s_cbranch_execz .LBB1299_398
; %bb.388:
	s_and_b64 vcc, exec, s[2:3]
	s_cbranch_vccnz .LBB1299_395
; %bb.389:
	v_mul_lo_u32 v22, v19, s12
	v_mul_lo_u32 v23, v18, s13
	v_mad_u64_u32 v[18:19], s[16:17], v18, s12, 0
	v_add3_u32 v19, v19, v23, v22
	v_mul_lo_u32 v22, v17, s12
	v_mul_lo_u32 v23, v16, s13
	v_mad_u64_u32 v[24:25], s[16:17], v16, s12, 0
	v_add3_u32 v25, v25, v23, v22
	v_lshl_add_u64 v[22:23], v[18:19], 1, s[14:15]
	v_lshl_add_u64 v[24:25], v[24:25], 1, s[14:15]
	global_load_ushort v18, v[22:23], off
	global_load_ushort v19, v[24:25], off
	s_waitcnt vmcnt(0)
	v_cmp_eq_f16_e32 vcc, v18, v19
	v_mov_b64_e32 v[18:19], 1
	s_and_saveexec_b64 s[16:17], vcc
	s_cbranch_execz .LBB1299_397
; %bb.390:
	s_add_u32 s18, s12, -1
	v_lshl_add_u64 v[18:19], v[24:25], 0, 2
	v_lshl_add_u64 v[22:23], v[22:23], 0, 2
	s_addc_u32 s19, s13, -1
	s_mov_b64 s[24:25], 0
	s_mov_b64 s[28:29], 0
                                        ; implicit-def: $sgpr26_sgpr27
	s_branch .LBB1299_393
.LBB1299_391:                           ;   in Loop: Header=BB1299_393 Depth=1
	global_load_ushort v24, v[22:23], off
	global_load_ushort v25, v[18:19], off
	s_add_u32 s28, s28, 1
	s_addc_u32 s29, s29, 0
	s_andn2_b64 s[26:27], s[26:27], exec
	v_lshl_add_u64 v[18:19], v[18:19], 0, 2
	v_lshl_add_u64 v[22:23], v[22:23], 0, 2
	s_waitcnt vmcnt(0)
	v_cmp_neq_f16_e32 vcc, v24, v25
	s_and_b64 s[30:31], vcc, exec
	s_or_b64 s[26:27], s[26:27], s[30:31]
.LBB1299_392:                           ;   in Loop: Header=BB1299_393 Depth=1
	s_and_b64 s[30:31], exec, s[26:27]
	s_or_b64 s[24:25], s[30:31], s[24:25]
	v_mov_b64_e32 v[24:25], s[28:29]
	s_andn2_b64 exec, exec, s[24:25]
	s_cbranch_execz .LBB1299_396
.LBB1299_393:                           ; =>This Inner Loop Header: Depth=1
	s_or_b64 s[26:27], s[26:27], exec
	s_cmp_eq_u64 s[18:19], s[28:29]
	s_cbranch_scc0 .LBB1299_391
; %bb.394:                              ;   in Loop: Header=BB1299_393 Depth=1
                                        ; implicit-def: $vgpr18_vgpr19
                                        ; implicit-def: $vgpr22_vgpr23
	s_mov_b64 s[28:29], s[12:13]
	s_branch .LBB1299_392
.LBB1299_395:
	v_mov_b64_e32 v[18:19], 0
	s_branch .LBB1299_398
.LBB1299_396:
	s_or_b64 exec, exec, s[24:25]
	v_cmp_gt_i64_e32 vcc, s[12:13], v[24:25]
	s_mov_b32 s18, 0
	v_mov_b32_e32 v19, s18
	v_cndmask_b32_e64 v18, 0, 1, vcc
.LBB1299_397:
	s_or_b64 exec, exec, s[16:17]
.LBB1299_398:
	s_or_b64 exec, exec, s[4:5]
	v_add_u32_e32 v22, 7, v1
	v_cmp_gt_u32_e32 vcc, s10, v22
	s_and_saveexec_b64 s[4:5], vcc
	s_cbranch_execz .LBB1299_409
; %bb.399:
	s_and_b64 vcc, exec, s[2:3]
	s_cbranch_vccnz .LBB1299_406
; %bb.400:
	v_mul_lo_u32 v22, v17, s12
	v_mul_lo_u32 v23, v16, s13
	v_mad_u64_u32 v[16:17], s[16:17], v16, s12, 0
	v_add3_u32 v17, v17, v23, v22
	v_mul_lo_u32 v22, v15, s12
	v_mul_lo_u32 v23, v14, s13
	v_mad_u64_u32 v[24:25], s[16:17], v14, s12, 0
	v_add3_u32 v25, v25, v23, v22
	v_lshl_add_u64 v[22:23], v[16:17], 1, s[14:15]
	v_lshl_add_u64 v[24:25], v[24:25], 1, s[14:15]
	global_load_ushort v16, v[22:23], off
	global_load_ushort v17, v[24:25], off
	s_waitcnt vmcnt(0)
	v_cmp_eq_f16_e32 vcc, v16, v17
	v_mov_b64_e32 v[16:17], 1
	s_and_saveexec_b64 s[16:17], vcc
	s_cbranch_execz .LBB1299_408
; %bb.401:
	s_add_u32 s18, s12, -1
	v_lshl_add_u64 v[16:17], v[24:25], 0, 2
	v_lshl_add_u64 v[22:23], v[22:23], 0, 2
	s_addc_u32 s19, s13, -1
	s_mov_b64 s[24:25], 0
	s_mov_b64 s[28:29], 0
                                        ; implicit-def: $sgpr26_sgpr27
	s_branch .LBB1299_404
.LBB1299_402:                           ;   in Loop: Header=BB1299_404 Depth=1
	global_load_ushort v24, v[22:23], off
	global_load_ushort v25, v[16:17], off
	s_add_u32 s28, s28, 1
	s_addc_u32 s29, s29, 0
	s_andn2_b64 s[26:27], s[26:27], exec
	v_lshl_add_u64 v[16:17], v[16:17], 0, 2
	v_lshl_add_u64 v[22:23], v[22:23], 0, 2
	s_waitcnt vmcnt(0)
	v_cmp_neq_f16_e32 vcc, v24, v25
	s_and_b64 s[30:31], vcc, exec
	s_or_b64 s[26:27], s[26:27], s[30:31]
.LBB1299_403:                           ;   in Loop: Header=BB1299_404 Depth=1
	s_and_b64 s[30:31], exec, s[26:27]
	s_or_b64 s[24:25], s[30:31], s[24:25]
	v_mov_b64_e32 v[24:25], s[28:29]
	s_andn2_b64 exec, exec, s[24:25]
	s_cbranch_execz .LBB1299_407
.LBB1299_404:                           ; =>This Inner Loop Header: Depth=1
	s_or_b64 s[26:27], s[26:27], exec
	s_cmp_eq_u64 s[18:19], s[28:29]
	s_cbranch_scc0 .LBB1299_402
; %bb.405:                              ;   in Loop: Header=BB1299_404 Depth=1
                                        ; implicit-def: $vgpr16_vgpr17
                                        ; implicit-def: $vgpr22_vgpr23
	s_mov_b64 s[28:29], s[12:13]
	s_branch .LBB1299_403
.LBB1299_406:
	v_mov_b64_e32 v[16:17], 0
	s_branch .LBB1299_409
.LBB1299_407:
	s_or_b64 exec, exec, s[24:25]
	v_cmp_gt_i64_e32 vcc, s[12:13], v[24:25]
	s_mov_b32 s18, 0
	v_mov_b32_e32 v17, s18
	v_cndmask_b32_e64 v16, 0, 1, vcc
.LBB1299_408:
	s_or_b64 exec, exec, s[16:17]
.LBB1299_409:
	s_or_b64 exec, exec, s[4:5]
	v_add_u32_e32 v22, 6, v1
	v_cmp_gt_u32_e32 vcc, s10, v22
	s_and_saveexec_b64 s[4:5], vcc
	s_cbranch_execz .LBB1299_420
; %bb.410:
	s_and_b64 vcc, exec, s[2:3]
	s_cbranch_vccnz .LBB1299_417
; %bb.411:
	v_mul_lo_u32 v22, v15, s12
	v_mul_lo_u32 v23, v14, s13
	v_mad_u64_u32 v[14:15], s[16:17], v14, s12, 0
	v_add3_u32 v15, v15, v23, v22
	v_mul_lo_u32 v22, v13, s12
	v_mul_lo_u32 v23, v12, s13
	v_mad_u64_u32 v[24:25], s[16:17], v12, s12, 0
	v_add3_u32 v25, v25, v23, v22
	v_lshl_add_u64 v[22:23], v[14:15], 1, s[14:15]
	v_lshl_add_u64 v[24:25], v[24:25], 1, s[14:15]
	global_load_ushort v14, v[22:23], off
	global_load_ushort v15, v[24:25], off
	s_waitcnt vmcnt(0)
	v_cmp_eq_f16_e32 vcc, v14, v15
	v_mov_b64_e32 v[14:15], 1
	s_and_saveexec_b64 s[16:17], vcc
	s_cbranch_execz .LBB1299_419
; %bb.412:
	s_add_u32 s18, s12, -1
	v_lshl_add_u64 v[14:15], v[24:25], 0, 2
	v_lshl_add_u64 v[22:23], v[22:23], 0, 2
	s_addc_u32 s19, s13, -1
	s_mov_b64 s[24:25], 0
	s_mov_b64 s[28:29], 0
                                        ; implicit-def: $sgpr26_sgpr27
	s_branch .LBB1299_415
.LBB1299_413:                           ;   in Loop: Header=BB1299_415 Depth=1
	global_load_ushort v24, v[22:23], off
	global_load_ushort v25, v[14:15], off
	s_add_u32 s28, s28, 1
	s_addc_u32 s29, s29, 0
	s_andn2_b64 s[26:27], s[26:27], exec
	v_lshl_add_u64 v[14:15], v[14:15], 0, 2
	v_lshl_add_u64 v[22:23], v[22:23], 0, 2
	s_waitcnt vmcnt(0)
	v_cmp_neq_f16_e32 vcc, v24, v25
	s_and_b64 s[30:31], vcc, exec
	s_or_b64 s[26:27], s[26:27], s[30:31]
.LBB1299_414:                           ;   in Loop: Header=BB1299_415 Depth=1
	s_and_b64 s[30:31], exec, s[26:27]
	s_or_b64 s[24:25], s[30:31], s[24:25]
	v_mov_b64_e32 v[24:25], s[28:29]
	s_andn2_b64 exec, exec, s[24:25]
	s_cbranch_execz .LBB1299_418
.LBB1299_415:                           ; =>This Inner Loop Header: Depth=1
	s_or_b64 s[26:27], s[26:27], exec
	s_cmp_eq_u64 s[18:19], s[28:29]
	s_cbranch_scc0 .LBB1299_413
; %bb.416:                              ;   in Loop: Header=BB1299_415 Depth=1
                                        ; implicit-def: $vgpr14_vgpr15
                                        ; implicit-def: $vgpr22_vgpr23
	s_mov_b64 s[28:29], s[12:13]
	s_branch .LBB1299_414
.LBB1299_417:
	v_mov_b64_e32 v[14:15], 0
	s_branch .LBB1299_420
.LBB1299_418:
	s_or_b64 exec, exec, s[24:25]
	v_cmp_gt_i64_e32 vcc, s[12:13], v[24:25]
	s_mov_b32 s18, 0
	v_mov_b32_e32 v15, s18
	v_cndmask_b32_e64 v14, 0, 1, vcc
.LBB1299_419:
	s_or_b64 exec, exec, s[16:17]
.LBB1299_420:
	s_or_b64 exec, exec, s[4:5]
	v_add_u32_e32 v22, 5, v1
	v_cmp_gt_u32_e32 vcc, s10, v22
	s_and_saveexec_b64 s[4:5], vcc
	s_cbranch_execz .LBB1299_431
; %bb.421:
	s_and_b64 vcc, exec, s[2:3]
	s_cbranch_vccnz .LBB1299_428
; %bb.422:
	v_mul_lo_u32 v22, v13, s12
	v_mul_lo_u32 v23, v12, s13
	v_mad_u64_u32 v[12:13], s[16:17], v12, s12, 0
	v_add3_u32 v13, v13, v23, v22
	v_mul_lo_u32 v22, v11, s12
	v_mul_lo_u32 v23, v10, s13
	v_mad_u64_u32 v[24:25], s[16:17], v10, s12, 0
	v_add3_u32 v25, v25, v23, v22
	v_lshl_add_u64 v[22:23], v[12:13], 1, s[14:15]
	v_lshl_add_u64 v[24:25], v[24:25], 1, s[14:15]
	global_load_ushort v12, v[22:23], off
	global_load_ushort v13, v[24:25], off
	s_waitcnt vmcnt(0)
	v_cmp_eq_f16_e32 vcc, v12, v13
	v_mov_b64_e32 v[12:13], 1
	s_and_saveexec_b64 s[16:17], vcc
	s_cbranch_execz .LBB1299_430
; %bb.423:
	s_add_u32 s18, s12, -1
	v_lshl_add_u64 v[12:13], v[24:25], 0, 2
	v_lshl_add_u64 v[22:23], v[22:23], 0, 2
	s_addc_u32 s19, s13, -1
	s_mov_b64 s[24:25], 0
	s_mov_b64 s[28:29], 0
                                        ; implicit-def: $sgpr26_sgpr27
	s_branch .LBB1299_426
.LBB1299_424:                           ;   in Loop: Header=BB1299_426 Depth=1
	global_load_ushort v24, v[22:23], off
	global_load_ushort v25, v[12:13], off
	s_add_u32 s28, s28, 1
	s_addc_u32 s29, s29, 0
	s_andn2_b64 s[26:27], s[26:27], exec
	v_lshl_add_u64 v[12:13], v[12:13], 0, 2
	v_lshl_add_u64 v[22:23], v[22:23], 0, 2
	s_waitcnt vmcnt(0)
	v_cmp_neq_f16_e32 vcc, v24, v25
	s_and_b64 s[30:31], vcc, exec
	s_or_b64 s[26:27], s[26:27], s[30:31]
.LBB1299_425:                           ;   in Loop: Header=BB1299_426 Depth=1
	s_and_b64 s[30:31], exec, s[26:27]
	s_or_b64 s[24:25], s[30:31], s[24:25]
	v_mov_b64_e32 v[24:25], s[28:29]
	s_andn2_b64 exec, exec, s[24:25]
	s_cbranch_execz .LBB1299_429
.LBB1299_426:                           ; =>This Inner Loop Header: Depth=1
	s_or_b64 s[26:27], s[26:27], exec
	s_cmp_eq_u64 s[18:19], s[28:29]
	s_cbranch_scc0 .LBB1299_424
; %bb.427:                              ;   in Loop: Header=BB1299_426 Depth=1
                                        ; implicit-def: $vgpr12_vgpr13
                                        ; implicit-def: $vgpr22_vgpr23
	s_mov_b64 s[28:29], s[12:13]
	s_branch .LBB1299_425
.LBB1299_428:
	v_mov_b64_e32 v[12:13], 0
	s_branch .LBB1299_431
.LBB1299_429:
	s_or_b64 exec, exec, s[24:25]
	v_cmp_gt_i64_e32 vcc, s[12:13], v[24:25]
	s_mov_b32 s18, 0
	v_mov_b32_e32 v13, s18
	v_cndmask_b32_e64 v12, 0, 1, vcc
.LBB1299_430:
	s_or_b64 exec, exec, s[16:17]
.LBB1299_431:
	s_or_b64 exec, exec, s[4:5]
	v_add_u32_e32 v22, 4, v1
	v_cmp_gt_u32_e32 vcc, s10, v22
	s_and_saveexec_b64 s[4:5], vcc
	s_cbranch_execz .LBB1299_442
; %bb.432:
	s_and_b64 vcc, exec, s[2:3]
	s_cbranch_vccnz .LBB1299_439
; %bb.433:
	v_mul_lo_u32 v22, v11, s12
	v_mul_lo_u32 v23, v10, s13
	v_mad_u64_u32 v[10:11], s[16:17], v10, s12, 0
	v_add3_u32 v11, v11, v23, v22
	v_mul_lo_u32 v22, v9, s12
	v_mul_lo_u32 v23, v8, s13
	v_mad_u64_u32 v[24:25], s[16:17], v8, s12, 0
	v_add3_u32 v25, v25, v23, v22
	v_lshl_add_u64 v[22:23], v[10:11], 1, s[14:15]
	v_lshl_add_u64 v[24:25], v[24:25], 1, s[14:15]
	global_load_ushort v10, v[22:23], off
	global_load_ushort v11, v[24:25], off
	s_waitcnt vmcnt(0)
	v_cmp_eq_f16_e32 vcc, v10, v11
	v_mov_b64_e32 v[10:11], 1
	s_and_saveexec_b64 s[16:17], vcc
	s_cbranch_execz .LBB1299_441
; %bb.434:
	s_add_u32 s18, s12, -1
	v_lshl_add_u64 v[10:11], v[24:25], 0, 2
	v_lshl_add_u64 v[22:23], v[22:23], 0, 2
	s_addc_u32 s19, s13, -1
	s_mov_b64 s[24:25], 0
	s_mov_b64 s[28:29], 0
                                        ; implicit-def: $sgpr26_sgpr27
	s_branch .LBB1299_437
.LBB1299_435:                           ;   in Loop: Header=BB1299_437 Depth=1
	global_load_ushort v24, v[22:23], off
	global_load_ushort v25, v[10:11], off
	s_add_u32 s28, s28, 1
	s_addc_u32 s29, s29, 0
	s_andn2_b64 s[26:27], s[26:27], exec
	v_lshl_add_u64 v[10:11], v[10:11], 0, 2
	v_lshl_add_u64 v[22:23], v[22:23], 0, 2
	s_waitcnt vmcnt(0)
	v_cmp_neq_f16_e32 vcc, v24, v25
	s_and_b64 s[30:31], vcc, exec
	s_or_b64 s[26:27], s[26:27], s[30:31]
.LBB1299_436:                           ;   in Loop: Header=BB1299_437 Depth=1
	s_and_b64 s[30:31], exec, s[26:27]
	s_or_b64 s[24:25], s[30:31], s[24:25]
	v_mov_b64_e32 v[24:25], s[28:29]
	s_andn2_b64 exec, exec, s[24:25]
	s_cbranch_execz .LBB1299_440
.LBB1299_437:                           ; =>This Inner Loop Header: Depth=1
	s_or_b64 s[26:27], s[26:27], exec
	s_cmp_eq_u64 s[18:19], s[28:29]
	s_cbranch_scc0 .LBB1299_435
; %bb.438:                              ;   in Loop: Header=BB1299_437 Depth=1
                                        ; implicit-def: $vgpr10_vgpr11
                                        ; implicit-def: $vgpr22_vgpr23
	s_mov_b64 s[28:29], s[12:13]
	s_branch .LBB1299_436
.LBB1299_439:
	v_mov_b64_e32 v[10:11], 0
	s_branch .LBB1299_442
.LBB1299_440:
	s_or_b64 exec, exec, s[24:25]
	v_cmp_gt_i64_e32 vcc, s[12:13], v[24:25]
	s_mov_b32 s18, 0
	v_mov_b32_e32 v11, s18
	v_cndmask_b32_e64 v10, 0, 1, vcc
.LBB1299_441:
	s_or_b64 exec, exec, s[16:17]
.LBB1299_442:
	s_or_b64 exec, exec, s[4:5]
	v_add_u32_e32 v22, 3, v1
	v_cmp_gt_u32_e32 vcc, s10, v22
	s_and_saveexec_b64 s[4:5], vcc
	s_cbranch_execz .LBB1299_453
; %bb.443:
	s_and_b64 vcc, exec, s[2:3]
	s_cbranch_vccnz .LBB1299_450
; %bb.444:
	v_mul_lo_u32 v22, v9, s12
	v_mul_lo_u32 v23, v8, s13
	v_mad_u64_u32 v[8:9], s[16:17], v8, s12, 0
	v_add3_u32 v9, v9, v23, v22
	v_mul_lo_u32 v22, v7, s12
	v_mul_lo_u32 v23, v6, s13
	v_mad_u64_u32 v[24:25], s[16:17], v6, s12, 0
	v_add3_u32 v25, v25, v23, v22
	v_lshl_add_u64 v[22:23], v[8:9], 1, s[14:15]
	v_lshl_add_u64 v[24:25], v[24:25], 1, s[14:15]
	global_load_ushort v8, v[22:23], off
	global_load_ushort v9, v[24:25], off
	s_waitcnt vmcnt(0)
	v_cmp_eq_f16_e32 vcc, v8, v9
	v_mov_b64_e32 v[8:9], 1
	s_and_saveexec_b64 s[16:17], vcc
	s_cbranch_execz .LBB1299_452
; %bb.445:
	s_add_u32 s18, s12, -1
	v_lshl_add_u64 v[8:9], v[24:25], 0, 2
	v_lshl_add_u64 v[22:23], v[22:23], 0, 2
	s_addc_u32 s19, s13, -1
	s_mov_b64 s[24:25], 0
	s_mov_b64 s[28:29], 0
                                        ; implicit-def: $sgpr26_sgpr27
	s_branch .LBB1299_448
.LBB1299_446:                           ;   in Loop: Header=BB1299_448 Depth=1
	global_load_ushort v24, v[22:23], off
	global_load_ushort v25, v[8:9], off
	s_add_u32 s28, s28, 1
	s_addc_u32 s29, s29, 0
	s_andn2_b64 s[26:27], s[26:27], exec
	v_lshl_add_u64 v[8:9], v[8:9], 0, 2
	v_lshl_add_u64 v[22:23], v[22:23], 0, 2
	s_waitcnt vmcnt(0)
	v_cmp_neq_f16_e32 vcc, v24, v25
	s_and_b64 s[30:31], vcc, exec
	s_or_b64 s[26:27], s[26:27], s[30:31]
.LBB1299_447:                           ;   in Loop: Header=BB1299_448 Depth=1
	s_and_b64 s[30:31], exec, s[26:27]
	s_or_b64 s[24:25], s[30:31], s[24:25]
	v_mov_b64_e32 v[24:25], s[28:29]
	s_andn2_b64 exec, exec, s[24:25]
	s_cbranch_execz .LBB1299_451
.LBB1299_448:                           ; =>This Inner Loop Header: Depth=1
	s_or_b64 s[26:27], s[26:27], exec
	s_cmp_eq_u64 s[18:19], s[28:29]
	s_cbranch_scc0 .LBB1299_446
; %bb.449:                              ;   in Loop: Header=BB1299_448 Depth=1
                                        ; implicit-def: $vgpr8_vgpr9
                                        ; implicit-def: $vgpr22_vgpr23
	s_mov_b64 s[28:29], s[12:13]
	s_branch .LBB1299_447
.LBB1299_450:
	v_mov_b64_e32 v[8:9], 0
	s_branch .LBB1299_453
.LBB1299_451:
	s_or_b64 exec, exec, s[24:25]
	v_cmp_gt_i64_e32 vcc, s[12:13], v[24:25]
	s_mov_b32 s18, 0
	v_mov_b32_e32 v9, s18
	v_cndmask_b32_e64 v8, 0, 1, vcc
.LBB1299_452:
	s_or_b64 exec, exec, s[16:17]
.LBB1299_453:
	s_or_b64 exec, exec, s[4:5]
	v_add_u32_e32 v22, 2, v1
	v_cmp_gt_u32_e32 vcc, s10, v22
	s_and_saveexec_b64 s[4:5], vcc
	s_cbranch_execz .LBB1299_464
; %bb.454:
	s_and_b64 vcc, exec, s[2:3]
	s_cbranch_vccnz .LBB1299_461
; %bb.455:
	v_mul_lo_u32 v22, v7, s12
	v_mul_lo_u32 v23, v6, s13
	v_mad_u64_u32 v[6:7], s[16:17], v6, s12, 0
	v_add3_u32 v7, v7, v23, v22
	v_mul_lo_u32 v22, v5, s12
	v_mul_lo_u32 v23, v4, s13
	v_mad_u64_u32 v[24:25], s[16:17], v4, s12, 0
	v_add3_u32 v25, v25, v23, v22
	v_lshl_add_u64 v[22:23], v[6:7], 1, s[14:15]
	v_lshl_add_u64 v[24:25], v[24:25], 1, s[14:15]
	global_load_ushort v6, v[22:23], off
	global_load_ushort v7, v[24:25], off
	s_waitcnt vmcnt(0)
	v_cmp_eq_f16_e32 vcc, v6, v7
	v_mov_b64_e32 v[6:7], 1
	s_and_saveexec_b64 s[16:17], vcc
	s_cbranch_execz .LBB1299_463
; %bb.456:
	s_add_u32 s18, s12, -1
	v_lshl_add_u64 v[6:7], v[24:25], 0, 2
	v_lshl_add_u64 v[22:23], v[22:23], 0, 2
	s_addc_u32 s19, s13, -1
	s_mov_b64 s[24:25], 0
	s_mov_b64 s[28:29], 0
                                        ; implicit-def: $sgpr26_sgpr27
	s_branch .LBB1299_459
.LBB1299_457:                           ;   in Loop: Header=BB1299_459 Depth=1
	global_load_ushort v24, v[22:23], off
	global_load_ushort v25, v[6:7], off
	s_add_u32 s28, s28, 1
	s_addc_u32 s29, s29, 0
	s_andn2_b64 s[26:27], s[26:27], exec
	v_lshl_add_u64 v[6:7], v[6:7], 0, 2
	v_lshl_add_u64 v[22:23], v[22:23], 0, 2
	s_waitcnt vmcnt(0)
	v_cmp_neq_f16_e32 vcc, v24, v25
	s_and_b64 s[30:31], vcc, exec
	s_or_b64 s[26:27], s[26:27], s[30:31]
.LBB1299_458:                           ;   in Loop: Header=BB1299_459 Depth=1
	s_and_b64 s[30:31], exec, s[26:27]
	s_or_b64 s[24:25], s[30:31], s[24:25]
	v_mov_b64_e32 v[24:25], s[28:29]
	s_andn2_b64 exec, exec, s[24:25]
	s_cbranch_execz .LBB1299_462
.LBB1299_459:                           ; =>This Inner Loop Header: Depth=1
	s_or_b64 s[26:27], s[26:27], exec
	s_cmp_eq_u64 s[18:19], s[28:29]
	s_cbranch_scc0 .LBB1299_457
; %bb.460:                              ;   in Loop: Header=BB1299_459 Depth=1
                                        ; implicit-def: $vgpr6_vgpr7
                                        ; implicit-def: $vgpr22_vgpr23
	s_mov_b64 s[28:29], s[12:13]
	s_branch .LBB1299_458
.LBB1299_461:
	v_mov_b64_e32 v[6:7], 0
	s_branch .LBB1299_464
.LBB1299_462:
	s_or_b64 exec, exec, s[24:25]
	v_cmp_gt_i64_e32 vcc, s[12:13], v[24:25]
	s_mov_b32 s18, 0
	v_mov_b32_e32 v7, s18
	v_cndmask_b32_e64 v6, 0, 1, vcc
.LBB1299_463:
	s_or_b64 exec, exec, s[16:17]
.LBB1299_464:
	s_or_b64 exec, exec, s[4:5]
	v_add_u32_e32 v22, 1, v1
	v_cmp_gt_u32_e32 vcc, s10, v22
	s_and_saveexec_b64 s[4:5], vcc
	s_cbranch_execz .LBB1299_475
; %bb.465:
	s_and_b64 vcc, exec, s[2:3]
	s_cbranch_vccnz .LBB1299_472
; %bb.466:
	v_mul_lo_u32 v22, v5, s12
	v_mul_lo_u32 v23, v4, s13
	v_mad_u64_u32 v[4:5], s[16:17], v4, s12, 0
	v_add3_u32 v5, v5, v23, v22
	v_mul_lo_u32 v22, v3, s12
	v_mul_lo_u32 v23, v2, s13
	v_mad_u64_u32 v[24:25], s[16:17], v2, s12, 0
	v_add3_u32 v25, v25, v23, v22
	v_lshl_add_u64 v[22:23], v[4:5], 1, s[14:15]
	v_lshl_add_u64 v[24:25], v[24:25], 1, s[14:15]
	global_load_ushort v4, v[22:23], off
	global_load_ushort v5, v[24:25], off
	s_waitcnt vmcnt(0)
	v_cmp_eq_f16_e32 vcc, v4, v5
	v_mov_b64_e32 v[4:5], 1
	s_and_saveexec_b64 s[16:17], vcc
	s_cbranch_execz .LBB1299_474
; %bb.467:
	s_add_u32 s18, s12, -1
	v_lshl_add_u64 v[4:5], v[24:25], 0, 2
	v_lshl_add_u64 v[22:23], v[22:23], 0, 2
	s_addc_u32 s19, s13, -1
	s_mov_b64 s[24:25], 0
	s_mov_b64 s[28:29], 0
                                        ; implicit-def: $sgpr26_sgpr27
	s_branch .LBB1299_470
.LBB1299_468:                           ;   in Loop: Header=BB1299_470 Depth=1
	global_load_ushort v24, v[22:23], off
	global_load_ushort v25, v[4:5], off
	s_add_u32 s28, s28, 1
	s_addc_u32 s29, s29, 0
	s_andn2_b64 s[26:27], s[26:27], exec
	v_lshl_add_u64 v[4:5], v[4:5], 0, 2
	v_lshl_add_u64 v[22:23], v[22:23], 0, 2
	s_waitcnt vmcnt(0)
	v_cmp_neq_f16_e32 vcc, v24, v25
	s_and_b64 s[30:31], vcc, exec
	s_or_b64 s[26:27], s[26:27], s[30:31]
.LBB1299_469:                           ;   in Loop: Header=BB1299_470 Depth=1
	s_and_b64 s[30:31], exec, s[26:27]
	s_or_b64 s[24:25], s[30:31], s[24:25]
	v_mov_b64_e32 v[24:25], s[28:29]
	s_andn2_b64 exec, exec, s[24:25]
	s_cbranch_execz .LBB1299_473
.LBB1299_470:                           ; =>This Inner Loop Header: Depth=1
	s_or_b64 s[26:27], s[26:27], exec
	s_cmp_eq_u64 s[18:19], s[28:29]
	s_cbranch_scc0 .LBB1299_468
; %bb.471:                              ;   in Loop: Header=BB1299_470 Depth=1
                                        ; implicit-def: $vgpr4_vgpr5
                                        ; implicit-def: $vgpr22_vgpr23
	s_mov_b64 s[28:29], s[12:13]
	s_branch .LBB1299_469
.LBB1299_472:
	v_mov_b64_e32 v[4:5], 0
	s_branch .LBB1299_475
.LBB1299_473:
	s_or_b64 exec, exec, s[24:25]
	v_cmp_gt_i64_e32 vcc, s[12:13], v[24:25]
	s_mov_b32 s18, 0
	v_mov_b32_e32 v5, s18
	v_cndmask_b32_e64 v4, 0, 1, vcc
.LBB1299_474:
	s_or_b64 exec, exec, s[16:17]
.LBB1299_475:
	s_or_b64 exec, exec, s[4:5]
	v_cmp_ne_u32_e32 vcc, 0, v0
	v_cmp_gt_u32_e64 s[4:5], s10, v1
	s_and_b64 s[16:17], vcc, s[4:5]
	s_waitcnt lgkmcnt(0)
	s_barrier
	s_waitcnt lgkmcnt(0)
                                        ; implicit-def: $sgpr18_sgpr19
	s_and_saveexec_b64 s[4:5], s[16:17]
	s_cbranch_execz .LBB1299_487
; %bb.476:
	s_and_b64 vcc, exec, s[2:3]
	s_cbranch_vccnz .LBB1299_483
; %bb.477:
	v_mul_lo_u32 v1, v3, s12
	v_add_u32_e32 v3, -8, v40
	ds_read_b64 v[22:23], v3
	v_mul_lo_u32 v24, v2, s13
	v_mad_u64_u32 v[2:3], s[2:3], v2, s12, 0
	v_add3_u32 v3, v3, v24, v1
	s_waitcnt lgkmcnt(0)
	v_mul_lo_u32 v1, v23, s12
	v_mul_lo_u32 v23, v22, s13
	v_mad_u64_u32 v[24:25], s[2:3], v22, s12, 0
	v_add3_u32 v25, v25, v23, v1
	v_lshl_add_u64 v[22:23], v[2:3], 1, s[14:15]
	v_lshl_add_u64 v[2:3], v[24:25], 1, s[14:15]
	global_load_ushort v1, v[22:23], off
	global_load_ushort v24, v[2:3], off
	s_mov_b64 s[14:15], -1
	s_waitcnt vmcnt(0)
	v_cmp_eq_f16_e32 vcc, v1, v24
	s_and_saveexec_b64 s[2:3], vcc
	s_cbranch_execz .LBB1299_485
; %bb.478:
	s_add_u32 s14, s12, -1
	v_lshl_add_u64 v[2:3], v[2:3], 0, 2
	v_lshl_add_u64 v[22:23], v[22:23], 0, 2
	s_addc_u32 s15, s13, -1
	s_mov_b64 s[16:17], 0
	s_mov_b64 s[24:25], 0
                                        ; implicit-def: $sgpr18_sgpr19
	s_branch .LBB1299_481
.LBB1299_479:                           ;   in Loop: Header=BB1299_481 Depth=1
	global_load_ushort v1, v[22:23], off
	global_load_ushort v24, v[2:3], off
	s_add_u32 s24, s24, 1
	s_addc_u32 s25, s25, 0
	s_andn2_b64 s[18:19], s[18:19], exec
	v_lshl_add_u64 v[2:3], v[2:3], 0, 2
	v_lshl_add_u64 v[22:23], v[22:23], 0, 2
	s_waitcnt vmcnt(0)
	v_cmp_neq_f16_e32 vcc, v1, v24
	s_and_b64 s[26:27], vcc, exec
	s_or_b64 s[18:19], s[18:19], s[26:27]
.LBB1299_480:                           ;   in Loop: Header=BB1299_481 Depth=1
	s_and_b64 s[26:27], exec, s[18:19]
	s_or_b64 s[16:17], s[26:27], s[16:17]
	v_mov_b64_e32 v[24:25], s[24:25]
	s_andn2_b64 exec, exec, s[16:17]
	s_cbranch_execz .LBB1299_484
.LBB1299_481:                           ; =>This Inner Loop Header: Depth=1
	s_or_b64 s[18:19], s[18:19], exec
	s_cmp_eq_u64 s[14:15], s[24:25]
	s_cbranch_scc0 .LBB1299_479
; %bb.482:                              ;   in Loop: Header=BB1299_481 Depth=1
                                        ; implicit-def: $vgpr2_vgpr3
                                        ; implicit-def: $vgpr22_vgpr23
	s_mov_b64 s[24:25], s[12:13]
	s_branch .LBB1299_480
.LBB1299_483:
	s_mov_b64 s[14:15], 0
	s_branch .LBB1299_486
.LBB1299_484:
	s_or_b64 exec, exec, s[16:17]
	v_cmp_gt_i64_e32 vcc, s[12:13], v[24:25]
	s_orn2_b64 s[14:15], vcc, exec
.LBB1299_485:
	s_or_b64 exec, exec, s[2:3]
.LBB1299_486:
	s_and_b64 s[18:19], s[14:15], exec
	s_or_b64 s[22:23], s[22:23], exec
.LBB1299_487:
	s_or_b64 exec, exec, s[4:5]
	v_mov_b64_e32 v[42:43], v[36:37]
	v_mov_b64_e32 v[44:45], v[20:21]
	;; [unrolled: 1-line block ×19, first 2 shown]
.LBB1299_488:
	s_and_saveexec_b64 s[2:3], s[22:23]
	s_cbranch_execz .LBB1299_490
; %bb.489:
	s_mov_b32 s4, 0
	v_cndmask_b32_e64 v2, 0, 1, s[18:19]
	v_mov_b32_e32 v3, s4
	v_mov_b64_e32 v[26:27], v[46:47]
	v_mov_b64_e32 v[66:67], v[48:49]
	;; [unrolled: 1-line block ×7, first 2 shown]
	s_waitcnt lgkmcnt(0)
	v_mov_b64_e32 v[22:23], v[38:39]
	v_mov_b64_e32 v[60:61], v[44:45]
.LBB1299_490:
	s_or_b64 exec, exec, s[2:3]
	s_add_u32 s4, s8, s6
	s_addc_u32 s5, s9, s7
	s_and_b64 vcc, exec, s[0:1]
	s_waitcnt lgkmcnt(0)
	s_barrier
	s_cbranch_vccz .LBB1299_512
; %bb.491:
	s_movk_i32 s2, 0x58
	v_mul_u32_u24_e32 v1, 0x58, v0
	v_mov_b32_e32 v4, v68
	v_mov_b32_e32 v5, v69
	v_mul_i32_i24_e32 v24, 0xffffffb0, v0
	ds_write2_b64 v1, v[2:3], v[4:5] offset1:1
	ds_write2_b64 v1, v[62:63], v[34:35] offset0:2 offset1:3
	ds_write2_b64 v1, v[64:65], v[30:31] offset0:4 offset1:5
	ds_write2_b64 v1, v[66:67], v[26:27] offset0:6 offset1:7
	ds_write2_b64 v1, v[22:23], v[60:61] offset0:8 offset1:9
	ds_write_b64 v1, v[42:43] offset:80
	v_mad_u32_u24 v4, v0, s2, v24
	s_waitcnt lgkmcnt(0)
	s_barrier
	ds_read2st64_b64 v[36:39], v4 offset0:4 offset1:8
	ds_read2st64_b64 v[16:19], v4 offset0:12 offset1:16
	;; [unrolled: 1-line block ×5, first 2 shown]
	s_mov_b32 s21, 0
	s_add_i32 s11, s11, s10
	s_lshl_b64 s[0:1], s[20:21], 3
	s_add_u32 s0, s4, s0
	s_addc_u32 s1, s5, s1
	v_mov_b32_e32 v41, 0
	v_lshl_add_u64 v[20:21], s[0:1], 0, v[40:41]
	v_cmp_gt_u32_e32 vcc, s11, v0
	s_and_saveexec_b64 s[0:1], vcc
	s_cbranch_execz .LBB1299_493
; %bb.492:
	v_add_u32_e32 v1, v1, v24
	ds_read_b64 v[24:25], v1
	s_waitcnt lgkmcnt(0)
	global_store_dwordx2 v[20:21], v[24:25], off
.LBB1299_493:
	s_or_b64 exec, exec, s[0:1]
	v_or_b32_e32 v1, 0x100, v0
	v_cmp_gt_u32_e32 vcc, s11, v1
	s_and_saveexec_b64 s[0:1], vcc
	s_cbranch_execz .LBB1299_495
; %bb.494:
	s_waitcnt lgkmcnt(4)
	global_store_dwordx2 v[20:21], v[36:37], off offset:2048
.LBB1299_495:
	s_or_b64 exec, exec, s[0:1]
	v_or_b32_e32 v1, 0x200, v0
	v_cmp_gt_u32_e32 vcc, s11, v1
	s_and_saveexec_b64 s[0:1], vcc
	s_cbranch_execz .LBB1299_497
; %bb.496:
	v_add_co_u32_e32 v24, vcc, 0x1000, v20
	s_nop 1
	v_addc_co_u32_e32 v25, vcc, 0, v21, vcc
	s_waitcnt lgkmcnt(4)
	global_store_dwordx2 v[24:25], v[38:39], off
.LBB1299_497:
	s_or_b64 exec, exec, s[0:1]
	v_or_b32_e32 v1, 0x300, v0
	v_cmp_gt_u32_e32 vcc, s11, v1
	s_and_saveexec_b64 s[0:1], vcc
	s_cbranch_execz .LBB1299_499
; %bb.498:
	v_add_co_u32_e32 v24, vcc, 0x1000, v20
	s_nop 1
	v_addc_co_u32_e32 v25, vcc, 0, v21, vcc
	s_waitcnt lgkmcnt(3)
	global_store_dwordx2 v[24:25], v[16:17], off offset:2048
.LBB1299_499:
	s_or_b64 exec, exec, s[0:1]
	v_or_b32_e32 v1, 0x400, v0
	v_cmp_gt_u32_e32 vcc, s11, v1
	s_and_saveexec_b64 s[0:1], vcc
	s_cbranch_execz .LBB1299_501
; %bb.500:
	s_waitcnt lgkmcnt(3)
	v_add_co_u32_e32 v16, vcc, 0x2000, v20
	s_nop 1
	v_addc_co_u32_e32 v17, vcc, 0, v21, vcc
	global_store_dwordx2 v[16:17], v[18:19], off
.LBB1299_501:
	s_or_b64 exec, exec, s[0:1]
	v_or_b32_e32 v1, 0x500, v0
	v_cmp_gt_u32_e32 vcc, s11, v1
	s_and_saveexec_b64 s[0:1], vcc
	s_cbranch_execz .LBB1299_503
; %bb.502:
	s_waitcnt lgkmcnt(3)
	v_add_co_u32_e32 v16, vcc, 0x2000, v20
	s_nop 1
	v_addc_co_u32_e32 v17, vcc, 0, v21, vcc
	s_waitcnt lgkmcnt(2)
	global_store_dwordx2 v[16:17], v[12:13], off offset:2048
.LBB1299_503:
	s_or_b64 exec, exec, s[0:1]
	v_or_b32_e32 v1, 0x600, v0
	v_cmp_gt_u32_e32 vcc, s11, v1
	s_and_saveexec_b64 s[0:1], vcc
	s_cbranch_execz .LBB1299_505
; %bb.504:
	s_waitcnt lgkmcnt(2)
	v_add_co_u32_e32 v12, vcc, 0x3000, v20
	s_nop 1
	v_addc_co_u32_e32 v13, vcc, 0, v21, vcc
	global_store_dwordx2 v[12:13], v[14:15], off
.LBB1299_505:
	s_or_b64 exec, exec, s[0:1]
	v_or_b32_e32 v1, 0x700, v0
	v_cmp_gt_u32_e32 vcc, s11, v1
	s_and_saveexec_b64 s[0:1], vcc
	s_cbranch_execz .LBB1299_507
; %bb.506:
	s_waitcnt lgkmcnt(2)
	v_add_co_u32_e32 v12, vcc, 0x3000, v20
	s_nop 1
	v_addc_co_u32_e32 v13, vcc, 0, v21, vcc
	s_waitcnt lgkmcnt(1)
	global_store_dwordx2 v[12:13], v[8:9], off offset:2048
.LBB1299_507:
	;; [unrolled: 25-line block ×3, first 2 shown]
	s_or_b64 exec, exec, s[0:1]
	v_or_b32_e32 v1, 0xa00, v0
	v_cmp_gt_u32_e64 s[0:1], s11, v1
	s_branch .LBB1299_514
.LBB1299_512:
	s_mov_b64 s[0:1], 0
                                        ; implicit-def: $vgpr6_vgpr7
                                        ; implicit-def: $vgpr20_vgpr21
	s_cbranch_execz .LBB1299_514
; %bb.513:
	s_mov_b32 s21, 0
	s_lshl_b64 s[2:3], s[20:21], 3
	v_mul_u32_u24_e32 v1, 0x58, v0
	s_add_u32 s2, s4, s2
	s_movk_i32 s4, 0x58
	ds_write2_b64 v1, v[2:3], v[68:69] offset1:1
	ds_write2_b64 v1, v[62:63], v[34:35] offset0:2 offset1:3
	ds_write2_b64 v1, v[64:65], v[30:31] offset0:4 offset1:5
	;; [unrolled: 1-line block ×4, first 2 shown]
	ds_write_b64 v1, v[42:43] offset:80
	v_mul_i32_i24_e32 v1, 0xffffffb0, v0
	s_addc_u32 s3, s5, s3
	s_waitcnt lgkmcnt(6)
	v_mad_u32_u24 v4, v0, s4, v1
	v_mov_b32_e32 v41, 0
	s_waitcnt lgkmcnt(0)
	s_barrier
	ds_read2st64_b64 v[0:3], v4 offset1:4
	ds_read2st64_b64 v[8:11], v4 offset0:8 offset1:12
	ds_read2st64_b64 v[12:15], v4 offset0:16 offset1:20
	;; [unrolled: 1-line block ×4, first 2 shown]
	ds_read_b64 v[6:7], v4 offset:20480
	v_lshl_add_u64 v[20:21], s[2:3], 0, v[40:41]
	s_waitcnt lgkmcnt(5)
	global_store_dwordx2 v40, v[0:1], s[2:3]
	global_store_dwordx2 v40, v[2:3], s[2:3] offset:2048
	s_movk_i32 s2, 0x1000
	v_add_co_u32_e32 v0, vcc, s2, v20
	s_movk_i32 s2, 0x2000
	s_nop 0
	v_addc_co_u32_e32 v1, vcc, 0, v21, vcc
	v_add_co_u32_e32 v2, vcc, s2, v20
	s_or_b64 s[0:1], s[0:1], exec
	s_nop 0
	v_addc_co_u32_e32 v3, vcc, 0, v21, vcc
	s_waitcnt lgkmcnt(4)
	global_store_dwordx2 v[2:3], v[8:9], off offset:-4096
	global_store_dwordx2 v[0:1], v[10:11], off offset:2048
	s_waitcnt lgkmcnt(3)
	global_store_dwordx2 v[2:3], v[12:13], off
	global_store_dwordx2 v[2:3], v[14:15], off offset:2048
	v_add_co_u32_e32 v0, vcc, 0x3000, v20
	s_nop 1
	v_addc_co_u32_e32 v1, vcc, 0, v21, vcc
	s_waitcnt lgkmcnt(2)
	global_store_dwordx2 v[0:1], v[16:17], off
	global_store_dwordx2 v[0:1], v[18:19], off offset:2048
	v_add_co_u32_e32 v0, vcc, 0x4000, v20
	s_nop 1
	v_addc_co_u32_e32 v1, vcc, 0, v21, vcc
	s_waitcnt lgkmcnt(1)
	global_store_dwordx2 v[0:1], v[22:23], off
	global_store_dwordx2 v[0:1], v[24:25], off offset:2048
.LBB1299_514:
	s_and_saveexec_b64 s[2:3], s[0:1]
	s_cbranch_execnz .LBB1299_516
; %bb.515:
	s_endpgm
.LBB1299_516:
	v_add_co_u32_e32 v0, vcc, 0x5000, v20
	s_nop 1
	v_addc_co_u32_e32 v1, vcc, 0, v21, vcc
	s_waitcnt lgkmcnt(0)
	global_store_dwordx2 v[0:1], v[6:7], off
	s_endpgm
	.section	.rodata,"a",@progbits
	.p2align	6, 0x0
	.amdhsa_kernel _ZN7rocprim17ROCPRIM_400000_NS6detail17trampoline_kernelINS0_14default_configENS1_35adjacent_difference_config_selectorILb1ElEEZNS1_24adjacent_difference_implIS3_Lb1ELb0EPlS7_ZN2at6native12_GLOBAL__N_124unique_dim_cuda_templateIN3c104HalfEEESt5tupleIJNS8_6TensorESF_SF_EERKSF_lbbbEUlllE1_EE10hipError_tPvRmT2_T3_mT4_P12ihipStream_tbEUlT_E_NS1_11comp_targetILNS1_3genE5ELNS1_11target_archE942ELNS1_3gpuE9ELNS1_3repE0EEENS1_30default_config_static_selectorELNS0_4arch9wavefront6targetE1EEEvT1_
		.amdhsa_group_segment_fixed_size 22528
		.amdhsa_private_segment_fixed_size 0
		.amdhsa_kernarg_size 64
		.amdhsa_user_sgpr_count 2
		.amdhsa_user_sgpr_dispatch_ptr 0
		.amdhsa_user_sgpr_queue_ptr 0
		.amdhsa_user_sgpr_kernarg_segment_ptr 1
		.amdhsa_user_sgpr_dispatch_id 0
		.amdhsa_user_sgpr_kernarg_preload_length 0
		.amdhsa_user_sgpr_kernarg_preload_offset 0
		.amdhsa_user_sgpr_private_segment_size 0
		.amdhsa_uses_dynamic_stack 0
		.amdhsa_enable_private_segment 0
		.amdhsa_system_sgpr_workgroup_id_x 1
		.amdhsa_system_sgpr_workgroup_id_y 0
		.amdhsa_system_sgpr_workgroup_id_z 0
		.amdhsa_system_sgpr_workgroup_info 0
		.amdhsa_system_vgpr_workitem_id 0
		.amdhsa_next_free_vgpr 70
		.amdhsa_next_free_sgpr 38
		.amdhsa_accum_offset 72
		.amdhsa_reserve_vcc 1
		.amdhsa_float_round_mode_32 0
		.amdhsa_float_round_mode_16_64 0
		.amdhsa_float_denorm_mode_32 3
		.amdhsa_float_denorm_mode_16_64 3
		.amdhsa_dx10_clamp 1
		.amdhsa_ieee_mode 1
		.amdhsa_fp16_overflow 0
		.amdhsa_tg_split 0
		.amdhsa_exception_fp_ieee_invalid_op 0
		.amdhsa_exception_fp_denorm_src 0
		.amdhsa_exception_fp_ieee_div_zero 0
		.amdhsa_exception_fp_ieee_overflow 0
		.amdhsa_exception_fp_ieee_underflow 0
		.amdhsa_exception_fp_ieee_inexact 0
		.amdhsa_exception_int_div_zero 0
	.end_amdhsa_kernel
	.section	.text._ZN7rocprim17ROCPRIM_400000_NS6detail17trampoline_kernelINS0_14default_configENS1_35adjacent_difference_config_selectorILb1ElEEZNS1_24adjacent_difference_implIS3_Lb1ELb0EPlS7_ZN2at6native12_GLOBAL__N_124unique_dim_cuda_templateIN3c104HalfEEESt5tupleIJNS8_6TensorESF_SF_EERKSF_lbbbEUlllE1_EE10hipError_tPvRmT2_T3_mT4_P12ihipStream_tbEUlT_E_NS1_11comp_targetILNS1_3genE5ELNS1_11target_archE942ELNS1_3gpuE9ELNS1_3repE0EEENS1_30default_config_static_selectorELNS0_4arch9wavefront6targetE1EEEvT1_,"axG",@progbits,_ZN7rocprim17ROCPRIM_400000_NS6detail17trampoline_kernelINS0_14default_configENS1_35adjacent_difference_config_selectorILb1ElEEZNS1_24adjacent_difference_implIS3_Lb1ELb0EPlS7_ZN2at6native12_GLOBAL__N_124unique_dim_cuda_templateIN3c104HalfEEESt5tupleIJNS8_6TensorESF_SF_EERKSF_lbbbEUlllE1_EE10hipError_tPvRmT2_T3_mT4_P12ihipStream_tbEUlT_E_NS1_11comp_targetILNS1_3genE5ELNS1_11target_archE942ELNS1_3gpuE9ELNS1_3repE0EEENS1_30default_config_static_selectorELNS0_4arch9wavefront6targetE1EEEvT1_,comdat
.Lfunc_end1299:
	.size	_ZN7rocprim17ROCPRIM_400000_NS6detail17trampoline_kernelINS0_14default_configENS1_35adjacent_difference_config_selectorILb1ElEEZNS1_24adjacent_difference_implIS3_Lb1ELb0EPlS7_ZN2at6native12_GLOBAL__N_124unique_dim_cuda_templateIN3c104HalfEEESt5tupleIJNS8_6TensorESF_SF_EERKSF_lbbbEUlllE1_EE10hipError_tPvRmT2_T3_mT4_P12ihipStream_tbEUlT_E_NS1_11comp_targetILNS1_3genE5ELNS1_11target_archE942ELNS1_3gpuE9ELNS1_3repE0EEENS1_30default_config_static_selectorELNS0_4arch9wavefront6targetE1EEEvT1_, .Lfunc_end1299-_ZN7rocprim17ROCPRIM_400000_NS6detail17trampoline_kernelINS0_14default_configENS1_35adjacent_difference_config_selectorILb1ElEEZNS1_24adjacent_difference_implIS3_Lb1ELb0EPlS7_ZN2at6native12_GLOBAL__N_124unique_dim_cuda_templateIN3c104HalfEEESt5tupleIJNS8_6TensorESF_SF_EERKSF_lbbbEUlllE1_EE10hipError_tPvRmT2_T3_mT4_P12ihipStream_tbEUlT_E_NS1_11comp_targetILNS1_3genE5ELNS1_11target_archE942ELNS1_3gpuE9ELNS1_3repE0EEENS1_30default_config_static_selectorELNS0_4arch9wavefront6targetE1EEEvT1_
                                        ; -- End function
	.section	.AMDGPU.csdata,"",@progbits
; Kernel info:
; codeLenInByte = 15780
; NumSgprs: 44
; NumVgprs: 70
; NumAgprs: 0
; TotalNumVgprs: 70
; ScratchSize: 0
; MemoryBound: 0
; FloatMode: 240
; IeeeMode: 1
; LDSByteSize: 22528 bytes/workgroup (compile time only)
; SGPRBlocks: 5
; VGPRBlocks: 8
; NumSGPRsForWavesPerEU: 44
; NumVGPRsForWavesPerEU: 70
; AccumOffset: 72
; Occupancy: 2
; WaveLimiterHint : 1
; COMPUTE_PGM_RSRC2:SCRATCH_EN: 0
; COMPUTE_PGM_RSRC2:USER_SGPR: 2
; COMPUTE_PGM_RSRC2:TRAP_HANDLER: 0
; COMPUTE_PGM_RSRC2:TGID_X_EN: 1
; COMPUTE_PGM_RSRC2:TGID_Y_EN: 0
; COMPUTE_PGM_RSRC2:TGID_Z_EN: 0
; COMPUTE_PGM_RSRC2:TIDIG_COMP_CNT: 0
; COMPUTE_PGM_RSRC3_GFX90A:ACCUM_OFFSET: 17
; COMPUTE_PGM_RSRC3_GFX90A:TG_SPLIT: 0
	.section	.text._ZN7rocprim17ROCPRIM_400000_NS6detail17trampoline_kernelINS0_14default_configENS1_35adjacent_difference_config_selectorILb1ElEEZNS1_24adjacent_difference_implIS3_Lb1ELb0EPlS7_ZN2at6native12_GLOBAL__N_124unique_dim_cuda_templateIN3c104HalfEEESt5tupleIJNS8_6TensorESF_SF_EERKSF_lbbbEUlllE1_EE10hipError_tPvRmT2_T3_mT4_P12ihipStream_tbEUlT_E_NS1_11comp_targetILNS1_3genE4ELNS1_11target_archE910ELNS1_3gpuE8ELNS1_3repE0EEENS1_30default_config_static_selectorELNS0_4arch9wavefront6targetE1EEEvT1_,"axG",@progbits,_ZN7rocprim17ROCPRIM_400000_NS6detail17trampoline_kernelINS0_14default_configENS1_35adjacent_difference_config_selectorILb1ElEEZNS1_24adjacent_difference_implIS3_Lb1ELb0EPlS7_ZN2at6native12_GLOBAL__N_124unique_dim_cuda_templateIN3c104HalfEEESt5tupleIJNS8_6TensorESF_SF_EERKSF_lbbbEUlllE1_EE10hipError_tPvRmT2_T3_mT4_P12ihipStream_tbEUlT_E_NS1_11comp_targetILNS1_3genE4ELNS1_11target_archE910ELNS1_3gpuE8ELNS1_3repE0EEENS1_30default_config_static_selectorELNS0_4arch9wavefront6targetE1EEEvT1_,comdat
	.globl	_ZN7rocprim17ROCPRIM_400000_NS6detail17trampoline_kernelINS0_14default_configENS1_35adjacent_difference_config_selectorILb1ElEEZNS1_24adjacent_difference_implIS3_Lb1ELb0EPlS7_ZN2at6native12_GLOBAL__N_124unique_dim_cuda_templateIN3c104HalfEEESt5tupleIJNS8_6TensorESF_SF_EERKSF_lbbbEUlllE1_EE10hipError_tPvRmT2_T3_mT4_P12ihipStream_tbEUlT_E_NS1_11comp_targetILNS1_3genE4ELNS1_11target_archE910ELNS1_3gpuE8ELNS1_3repE0EEENS1_30default_config_static_selectorELNS0_4arch9wavefront6targetE1EEEvT1_ ; -- Begin function _ZN7rocprim17ROCPRIM_400000_NS6detail17trampoline_kernelINS0_14default_configENS1_35adjacent_difference_config_selectorILb1ElEEZNS1_24adjacent_difference_implIS3_Lb1ELb0EPlS7_ZN2at6native12_GLOBAL__N_124unique_dim_cuda_templateIN3c104HalfEEESt5tupleIJNS8_6TensorESF_SF_EERKSF_lbbbEUlllE1_EE10hipError_tPvRmT2_T3_mT4_P12ihipStream_tbEUlT_E_NS1_11comp_targetILNS1_3genE4ELNS1_11target_archE910ELNS1_3gpuE8ELNS1_3repE0EEENS1_30default_config_static_selectorELNS0_4arch9wavefront6targetE1EEEvT1_
	.p2align	8
	.type	_ZN7rocprim17ROCPRIM_400000_NS6detail17trampoline_kernelINS0_14default_configENS1_35adjacent_difference_config_selectorILb1ElEEZNS1_24adjacent_difference_implIS3_Lb1ELb0EPlS7_ZN2at6native12_GLOBAL__N_124unique_dim_cuda_templateIN3c104HalfEEESt5tupleIJNS8_6TensorESF_SF_EERKSF_lbbbEUlllE1_EE10hipError_tPvRmT2_T3_mT4_P12ihipStream_tbEUlT_E_NS1_11comp_targetILNS1_3genE4ELNS1_11target_archE910ELNS1_3gpuE8ELNS1_3repE0EEENS1_30default_config_static_selectorELNS0_4arch9wavefront6targetE1EEEvT1_,@function
_ZN7rocprim17ROCPRIM_400000_NS6detail17trampoline_kernelINS0_14default_configENS1_35adjacent_difference_config_selectorILb1ElEEZNS1_24adjacent_difference_implIS3_Lb1ELb0EPlS7_ZN2at6native12_GLOBAL__N_124unique_dim_cuda_templateIN3c104HalfEEESt5tupleIJNS8_6TensorESF_SF_EERKSF_lbbbEUlllE1_EE10hipError_tPvRmT2_T3_mT4_P12ihipStream_tbEUlT_E_NS1_11comp_targetILNS1_3genE4ELNS1_11target_archE910ELNS1_3gpuE8ELNS1_3repE0EEENS1_30default_config_static_selectorELNS0_4arch9wavefront6targetE1EEEvT1_: ; @_ZN7rocprim17ROCPRIM_400000_NS6detail17trampoline_kernelINS0_14default_configENS1_35adjacent_difference_config_selectorILb1ElEEZNS1_24adjacent_difference_implIS3_Lb1ELb0EPlS7_ZN2at6native12_GLOBAL__N_124unique_dim_cuda_templateIN3c104HalfEEESt5tupleIJNS8_6TensorESF_SF_EERKSF_lbbbEUlllE1_EE10hipError_tPvRmT2_T3_mT4_P12ihipStream_tbEUlT_E_NS1_11comp_targetILNS1_3genE4ELNS1_11target_archE910ELNS1_3gpuE8ELNS1_3repE0EEENS1_30default_config_static_selectorELNS0_4arch9wavefront6targetE1EEEvT1_
; %bb.0:
	.section	.rodata,"a",@progbits
	.p2align	6, 0x0
	.amdhsa_kernel _ZN7rocprim17ROCPRIM_400000_NS6detail17trampoline_kernelINS0_14default_configENS1_35adjacent_difference_config_selectorILb1ElEEZNS1_24adjacent_difference_implIS3_Lb1ELb0EPlS7_ZN2at6native12_GLOBAL__N_124unique_dim_cuda_templateIN3c104HalfEEESt5tupleIJNS8_6TensorESF_SF_EERKSF_lbbbEUlllE1_EE10hipError_tPvRmT2_T3_mT4_P12ihipStream_tbEUlT_E_NS1_11comp_targetILNS1_3genE4ELNS1_11target_archE910ELNS1_3gpuE8ELNS1_3repE0EEENS1_30default_config_static_selectorELNS0_4arch9wavefront6targetE1EEEvT1_
		.amdhsa_group_segment_fixed_size 0
		.amdhsa_private_segment_fixed_size 0
		.amdhsa_kernarg_size 64
		.amdhsa_user_sgpr_count 2
		.amdhsa_user_sgpr_dispatch_ptr 0
		.amdhsa_user_sgpr_queue_ptr 0
		.amdhsa_user_sgpr_kernarg_segment_ptr 1
		.amdhsa_user_sgpr_dispatch_id 0
		.amdhsa_user_sgpr_kernarg_preload_length 0
		.amdhsa_user_sgpr_kernarg_preload_offset 0
		.amdhsa_user_sgpr_private_segment_size 0
		.amdhsa_uses_dynamic_stack 0
		.amdhsa_enable_private_segment 0
		.amdhsa_system_sgpr_workgroup_id_x 1
		.amdhsa_system_sgpr_workgroup_id_y 0
		.amdhsa_system_sgpr_workgroup_id_z 0
		.amdhsa_system_sgpr_workgroup_info 0
		.amdhsa_system_vgpr_workitem_id 0
		.amdhsa_next_free_vgpr 1
		.amdhsa_next_free_sgpr 0
		.amdhsa_accum_offset 4
		.amdhsa_reserve_vcc 0
		.amdhsa_float_round_mode_32 0
		.amdhsa_float_round_mode_16_64 0
		.amdhsa_float_denorm_mode_32 3
		.amdhsa_float_denorm_mode_16_64 3
		.amdhsa_dx10_clamp 1
		.amdhsa_ieee_mode 1
		.amdhsa_fp16_overflow 0
		.amdhsa_tg_split 0
		.amdhsa_exception_fp_ieee_invalid_op 0
		.amdhsa_exception_fp_denorm_src 0
		.amdhsa_exception_fp_ieee_div_zero 0
		.amdhsa_exception_fp_ieee_overflow 0
		.amdhsa_exception_fp_ieee_underflow 0
		.amdhsa_exception_fp_ieee_inexact 0
		.amdhsa_exception_int_div_zero 0
	.end_amdhsa_kernel
	.section	.text._ZN7rocprim17ROCPRIM_400000_NS6detail17trampoline_kernelINS0_14default_configENS1_35adjacent_difference_config_selectorILb1ElEEZNS1_24adjacent_difference_implIS3_Lb1ELb0EPlS7_ZN2at6native12_GLOBAL__N_124unique_dim_cuda_templateIN3c104HalfEEESt5tupleIJNS8_6TensorESF_SF_EERKSF_lbbbEUlllE1_EE10hipError_tPvRmT2_T3_mT4_P12ihipStream_tbEUlT_E_NS1_11comp_targetILNS1_3genE4ELNS1_11target_archE910ELNS1_3gpuE8ELNS1_3repE0EEENS1_30default_config_static_selectorELNS0_4arch9wavefront6targetE1EEEvT1_,"axG",@progbits,_ZN7rocprim17ROCPRIM_400000_NS6detail17trampoline_kernelINS0_14default_configENS1_35adjacent_difference_config_selectorILb1ElEEZNS1_24adjacent_difference_implIS3_Lb1ELb0EPlS7_ZN2at6native12_GLOBAL__N_124unique_dim_cuda_templateIN3c104HalfEEESt5tupleIJNS8_6TensorESF_SF_EERKSF_lbbbEUlllE1_EE10hipError_tPvRmT2_T3_mT4_P12ihipStream_tbEUlT_E_NS1_11comp_targetILNS1_3genE4ELNS1_11target_archE910ELNS1_3gpuE8ELNS1_3repE0EEENS1_30default_config_static_selectorELNS0_4arch9wavefront6targetE1EEEvT1_,comdat
.Lfunc_end1300:
	.size	_ZN7rocprim17ROCPRIM_400000_NS6detail17trampoline_kernelINS0_14default_configENS1_35adjacent_difference_config_selectorILb1ElEEZNS1_24adjacent_difference_implIS3_Lb1ELb0EPlS7_ZN2at6native12_GLOBAL__N_124unique_dim_cuda_templateIN3c104HalfEEESt5tupleIJNS8_6TensorESF_SF_EERKSF_lbbbEUlllE1_EE10hipError_tPvRmT2_T3_mT4_P12ihipStream_tbEUlT_E_NS1_11comp_targetILNS1_3genE4ELNS1_11target_archE910ELNS1_3gpuE8ELNS1_3repE0EEENS1_30default_config_static_selectorELNS0_4arch9wavefront6targetE1EEEvT1_, .Lfunc_end1300-_ZN7rocprim17ROCPRIM_400000_NS6detail17trampoline_kernelINS0_14default_configENS1_35adjacent_difference_config_selectorILb1ElEEZNS1_24adjacent_difference_implIS3_Lb1ELb0EPlS7_ZN2at6native12_GLOBAL__N_124unique_dim_cuda_templateIN3c104HalfEEESt5tupleIJNS8_6TensorESF_SF_EERKSF_lbbbEUlllE1_EE10hipError_tPvRmT2_T3_mT4_P12ihipStream_tbEUlT_E_NS1_11comp_targetILNS1_3genE4ELNS1_11target_archE910ELNS1_3gpuE8ELNS1_3repE0EEENS1_30default_config_static_selectorELNS0_4arch9wavefront6targetE1EEEvT1_
                                        ; -- End function
	.section	.AMDGPU.csdata,"",@progbits
; Kernel info:
; codeLenInByte = 0
; NumSgprs: 6
; NumVgprs: 0
; NumAgprs: 0
; TotalNumVgprs: 0
; ScratchSize: 0
; MemoryBound: 0
; FloatMode: 240
; IeeeMode: 1
; LDSByteSize: 0 bytes/workgroup (compile time only)
; SGPRBlocks: 0
; VGPRBlocks: 0
; NumSGPRsForWavesPerEU: 6
; NumVGPRsForWavesPerEU: 1
; AccumOffset: 4
; Occupancy: 8
; WaveLimiterHint : 0
; COMPUTE_PGM_RSRC2:SCRATCH_EN: 0
; COMPUTE_PGM_RSRC2:USER_SGPR: 2
; COMPUTE_PGM_RSRC2:TRAP_HANDLER: 0
; COMPUTE_PGM_RSRC2:TGID_X_EN: 1
; COMPUTE_PGM_RSRC2:TGID_Y_EN: 0
; COMPUTE_PGM_RSRC2:TGID_Z_EN: 0
; COMPUTE_PGM_RSRC2:TIDIG_COMP_CNT: 0
; COMPUTE_PGM_RSRC3_GFX90A:ACCUM_OFFSET: 0
; COMPUTE_PGM_RSRC3_GFX90A:TG_SPLIT: 0
	.section	.text._ZN7rocprim17ROCPRIM_400000_NS6detail17trampoline_kernelINS0_14default_configENS1_35adjacent_difference_config_selectorILb1ElEEZNS1_24adjacent_difference_implIS3_Lb1ELb0EPlS7_ZN2at6native12_GLOBAL__N_124unique_dim_cuda_templateIN3c104HalfEEESt5tupleIJNS8_6TensorESF_SF_EERKSF_lbbbEUlllE1_EE10hipError_tPvRmT2_T3_mT4_P12ihipStream_tbEUlT_E_NS1_11comp_targetILNS1_3genE3ELNS1_11target_archE908ELNS1_3gpuE7ELNS1_3repE0EEENS1_30default_config_static_selectorELNS0_4arch9wavefront6targetE1EEEvT1_,"axG",@progbits,_ZN7rocprim17ROCPRIM_400000_NS6detail17trampoline_kernelINS0_14default_configENS1_35adjacent_difference_config_selectorILb1ElEEZNS1_24adjacent_difference_implIS3_Lb1ELb0EPlS7_ZN2at6native12_GLOBAL__N_124unique_dim_cuda_templateIN3c104HalfEEESt5tupleIJNS8_6TensorESF_SF_EERKSF_lbbbEUlllE1_EE10hipError_tPvRmT2_T3_mT4_P12ihipStream_tbEUlT_E_NS1_11comp_targetILNS1_3genE3ELNS1_11target_archE908ELNS1_3gpuE7ELNS1_3repE0EEENS1_30default_config_static_selectorELNS0_4arch9wavefront6targetE1EEEvT1_,comdat
	.globl	_ZN7rocprim17ROCPRIM_400000_NS6detail17trampoline_kernelINS0_14default_configENS1_35adjacent_difference_config_selectorILb1ElEEZNS1_24adjacent_difference_implIS3_Lb1ELb0EPlS7_ZN2at6native12_GLOBAL__N_124unique_dim_cuda_templateIN3c104HalfEEESt5tupleIJNS8_6TensorESF_SF_EERKSF_lbbbEUlllE1_EE10hipError_tPvRmT2_T3_mT4_P12ihipStream_tbEUlT_E_NS1_11comp_targetILNS1_3genE3ELNS1_11target_archE908ELNS1_3gpuE7ELNS1_3repE0EEENS1_30default_config_static_selectorELNS0_4arch9wavefront6targetE1EEEvT1_ ; -- Begin function _ZN7rocprim17ROCPRIM_400000_NS6detail17trampoline_kernelINS0_14default_configENS1_35adjacent_difference_config_selectorILb1ElEEZNS1_24adjacent_difference_implIS3_Lb1ELb0EPlS7_ZN2at6native12_GLOBAL__N_124unique_dim_cuda_templateIN3c104HalfEEESt5tupleIJNS8_6TensorESF_SF_EERKSF_lbbbEUlllE1_EE10hipError_tPvRmT2_T3_mT4_P12ihipStream_tbEUlT_E_NS1_11comp_targetILNS1_3genE3ELNS1_11target_archE908ELNS1_3gpuE7ELNS1_3repE0EEENS1_30default_config_static_selectorELNS0_4arch9wavefront6targetE1EEEvT1_
	.p2align	8
	.type	_ZN7rocprim17ROCPRIM_400000_NS6detail17trampoline_kernelINS0_14default_configENS1_35adjacent_difference_config_selectorILb1ElEEZNS1_24adjacent_difference_implIS3_Lb1ELb0EPlS7_ZN2at6native12_GLOBAL__N_124unique_dim_cuda_templateIN3c104HalfEEESt5tupleIJNS8_6TensorESF_SF_EERKSF_lbbbEUlllE1_EE10hipError_tPvRmT2_T3_mT4_P12ihipStream_tbEUlT_E_NS1_11comp_targetILNS1_3genE3ELNS1_11target_archE908ELNS1_3gpuE7ELNS1_3repE0EEENS1_30default_config_static_selectorELNS0_4arch9wavefront6targetE1EEEvT1_,@function
_ZN7rocprim17ROCPRIM_400000_NS6detail17trampoline_kernelINS0_14default_configENS1_35adjacent_difference_config_selectorILb1ElEEZNS1_24adjacent_difference_implIS3_Lb1ELb0EPlS7_ZN2at6native12_GLOBAL__N_124unique_dim_cuda_templateIN3c104HalfEEESt5tupleIJNS8_6TensorESF_SF_EERKSF_lbbbEUlllE1_EE10hipError_tPvRmT2_T3_mT4_P12ihipStream_tbEUlT_E_NS1_11comp_targetILNS1_3genE3ELNS1_11target_archE908ELNS1_3gpuE7ELNS1_3repE0EEENS1_30default_config_static_selectorELNS0_4arch9wavefront6targetE1EEEvT1_: ; @_ZN7rocprim17ROCPRIM_400000_NS6detail17trampoline_kernelINS0_14default_configENS1_35adjacent_difference_config_selectorILb1ElEEZNS1_24adjacent_difference_implIS3_Lb1ELb0EPlS7_ZN2at6native12_GLOBAL__N_124unique_dim_cuda_templateIN3c104HalfEEESt5tupleIJNS8_6TensorESF_SF_EERKSF_lbbbEUlllE1_EE10hipError_tPvRmT2_T3_mT4_P12ihipStream_tbEUlT_E_NS1_11comp_targetILNS1_3genE3ELNS1_11target_archE908ELNS1_3gpuE7ELNS1_3repE0EEENS1_30default_config_static_selectorELNS0_4arch9wavefront6targetE1EEEvT1_
; %bb.0:
	.section	.rodata,"a",@progbits
	.p2align	6, 0x0
	.amdhsa_kernel _ZN7rocprim17ROCPRIM_400000_NS6detail17trampoline_kernelINS0_14default_configENS1_35adjacent_difference_config_selectorILb1ElEEZNS1_24adjacent_difference_implIS3_Lb1ELb0EPlS7_ZN2at6native12_GLOBAL__N_124unique_dim_cuda_templateIN3c104HalfEEESt5tupleIJNS8_6TensorESF_SF_EERKSF_lbbbEUlllE1_EE10hipError_tPvRmT2_T3_mT4_P12ihipStream_tbEUlT_E_NS1_11comp_targetILNS1_3genE3ELNS1_11target_archE908ELNS1_3gpuE7ELNS1_3repE0EEENS1_30default_config_static_selectorELNS0_4arch9wavefront6targetE1EEEvT1_
		.amdhsa_group_segment_fixed_size 0
		.amdhsa_private_segment_fixed_size 0
		.amdhsa_kernarg_size 64
		.amdhsa_user_sgpr_count 2
		.amdhsa_user_sgpr_dispatch_ptr 0
		.amdhsa_user_sgpr_queue_ptr 0
		.amdhsa_user_sgpr_kernarg_segment_ptr 1
		.amdhsa_user_sgpr_dispatch_id 0
		.amdhsa_user_sgpr_kernarg_preload_length 0
		.amdhsa_user_sgpr_kernarg_preload_offset 0
		.amdhsa_user_sgpr_private_segment_size 0
		.amdhsa_uses_dynamic_stack 0
		.amdhsa_enable_private_segment 0
		.amdhsa_system_sgpr_workgroup_id_x 1
		.amdhsa_system_sgpr_workgroup_id_y 0
		.amdhsa_system_sgpr_workgroup_id_z 0
		.amdhsa_system_sgpr_workgroup_info 0
		.amdhsa_system_vgpr_workitem_id 0
		.amdhsa_next_free_vgpr 1
		.amdhsa_next_free_sgpr 0
		.amdhsa_accum_offset 4
		.amdhsa_reserve_vcc 0
		.amdhsa_float_round_mode_32 0
		.amdhsa_float_round_mode_16_64 0
		.amdhsa_float_denorm_mode_32 3
		.amdhsa_float_denorm_mode_16_64 3
		.amdhsa_dx10_clamp 1
		.amdhsa_ieee_mode 1
		.amdhsa_fp16_overflow 0
		.amdhsa_tg_split 0
		.amdhsa_exception_fp_ieee_invalid_op 0
		.amdhsa_exception_fp_denorm_src 0
		.amdhsa_exception_fp_ieee_div_zero 0
		.amdhsa_exception_fp_ieee_overflow 0
		.amdhsa_exception_fp_ieee_underflow 0
		.amdhsa_exception_fp_ieee_inexact 0
		.amdhsa_exception_int_div_zero 0
	.end_amdhsa_kernel
	.section	.text._ZN7rocprim17ROCPRIM_400000_NS6detail17trampoline_kernelINS0_14default_configENS1_35adjacent_difference_config_selectorILb1ElEEZNS1_24adjacent_difference_implIS3_Lb1ELb0EPlS7_ZN2at6native12_GLOBAL__N_124unique_dim_cuda_templateIN3c104HalfEEESt5tupleIJNS8_6TensorESF_SF_EERKSF_lbbbEUlllE1_EE10hipError_tPvRmT2_T3_mT4_P12ihipStream_tbEUlT_E_NS1_11comp_targetILNS1_3genE3ELNS1_11target_archE908ELNS1_3gpuE7ELNS1_3repE0EEENS1_30default_config_static_selectorELNS0_4arch9wavefront6targetE1EEEvT1_,"axG",@progbits,_ZN7rocprim17ROCPRIM_400000_NS6detail17trampoline_kernelINS0_14default_configENS1_35adjacent_difference_config_selectorILb1ElEEZNS1_24adjacent_difference_implIS3_Lb1ELb0EPlS7_ZN2at6native12_GLOBAL__N_124unique_dim_cuda_templateIN3c104HalfEEESt5tupleIJNS8_6TensorESF_SF_EERKSF_lbbbEUlllE1_EE10hipError_tPvRmT2_T3_mT4_P12ihipStream_tbEUlT_E_NS1_11comp_targetILNS1_3genE3ELNS1_11target_archE908ELNS1_3gpuE7ELNS1_3repE0EEENS1_30default_config_static_selectorELNS0_4arch9wavefront6targetE1EEEvT1_,comdat
.Lfunc_end1301:
	.size	_ZN7rocprim17ROCPRIM_400000_NS6detail17trampoline_kernelINS0_14default_configENS1_35adjacent_difference_config_selectorILb1ElEEZNS1_24adjacent_difference_implIS3_Lb1ELb0EPlS7_ZN2at6native12_GLOBAL__N_124unique_dim_cuda_templateIN3c104HalfEEESt5tupleIJNS8_6TensorESF_SF_EERKSF_lbbbEUlllE1_EE10hipError_tPvRmT2_T3_mT4_P12ihipStream_tbEUlT_E_NS1_11comp_targetILNS1_3genE3ELNS1_11target_archE908ELNS1_3gpuE7ELNS1_3repE0EEENS1_30default_config_static_selectorELNS0_4arch9wavefront6targetE1EEEvT1_, .Lfunc_end1301-_ZN7rocprim17ROCPRIM_400000_NS6detail17trampoline_kernelINS0_14default_configENS1_35adjacent_difference_config_selectorILb1ElEEZNS1_24adjacent_difference_implIS3_Lb1ELb0EPlS7_ZN2at6native12_GLOBAL__N_124unique_dim_cuda_templateIN3c104HalfEEESt5tupleIJNS8_6TensorESF_SF_EERKSF_lbbbEUlllE1_EE10hipError_tPvRmT2_T3_mT4_P12ihipStream_tbEUlT_E_NS1_11comp_targetILNS1_3genE3ELNS1_11target_archE908ELNS1_3gpuE7ELNS1_3repE0EEENS1_30default_config_static_selectorELNS0_4arch9wavefront6targetE1EEEvT1_
                                        ; -- End function
	.section	.AMDGPU.csdata,"",@progbits
; Kernel info:
; codeLenInByte = 0
; NumSgprs: 6
; NumVgprs: 0
; NumAgprs: 0
; TotalNumVgprs: 0
; ScratchSize: 0
; MemoryBound: 0
; FloatMode: 240
; IeeeMode: 1
; LDSByteSize: 0 bytes/workgroup (compile time only)
; SGPRBlocks: 0
; VGPRBlocks: 0
; NumSGPRsForWavesPerEU: 6
; NumVGPRsForWavesPerEU: 1
; AccumOffset: 4
; Occupancy: 8
; WaveLimiterHint : 0
; COMPUTE_PGM_RSRC2:SCRATCH_EN: 0
; COMPUTE_PGM_RSRC2:USER_SGPR: 2
; COMPUTE_PGM_RSRC2:TRAP_HANDLER: 0
; COMPUTE_PGM_RSRC2:TGID_X_EN: 1
; COMPUTE_PGM_RSRC2:TGID_Y_EN: 0
; COMPUTE_PGM_RSRC2:TGID_Z_EN: 0
; COMPUTE_PGM_RSRC2:TIDIG_COMP_CNT: 0
; COMPUTE_PGM_RSRC3_GFX90A:ACCUM_OFFSET: 0
; COMPUTE_PGM_RSRC3_GFX90A:TG_SPLIT: 0
	.section	.text._ZN7rocprim17ROCPRIM_400000_NS6detail17trampoline_kernelINS0_14default_configENS1_35adjacent_difference_config_selectorILb1ElEEZNS1_24adjacent_difference_implIS3_Lb1ELb0EPlS7_ZN2at6native12_GLOBAL__N_124unique_dim_cuda_templateIN3c104HalfEEESt5tupleIJNS8_6TensorESF_SF_EERKSF_lbbbEUlllE1_EE10hipError_tPvRmT2_T3_mT4_P12ihipStream_tbEUlT_E_NS1_11comp_targetILNS1_3genE2ELNS1_11target_archE906ELNS1_3gpuE6ELNS1_3repE0EEENS1_30default_config_static_selectorELNS0_4arch9wavefront6targetE1EEEvT1_,"axG",@progbits,_ZN7rocprim17ROCPRIM_400000_NS6detail17trampoline_kernelINS0_14default_configENS1_35adjacent_difference_config_selectorILb1ElEEZNS1_24adjacent_difference_implIS3_Lb1ELb0EPlS7_ZN2at6native12_GLOBAL__N_124unique_dim_cuda_templateIN3c104HalfEEESt5tupleIJNS8_6TensorESF_SF_EERKSF_lbbbEUlllE1_EE10hipError_tPvRmT2_T3_mT4_P12ihipStream_tbEUlT_E_NS1_11comp_targetILNS1_3genE2ELNS1_11target_archE906ELNS1_3gpuE6ELNS1_3repE0EEENS1_30default_config_static_selectorELNS0_4arch9wavefront6targetE1EEEvT1_,comdat
	.globl	_ZN7rocprim17ROCPRIM_400000_NS6detail17trampoline_kernelINS0_14default_configENS1_35adjacent_difference_config_selectorILb1ElEEZNS1_24adjacent_difference_implIS3_Lb1ELb0EPlS7_ZN2at6native12_GLOBAL__N_124unique_dim_cuda_templateIN3c104HalfEEESt5tupleIJNS8_6TensorESF_SF_EERKSF_lbbbEUlllE1_EE10hipError_tPvRmT2_T3_mT4_P12ihipStream_tbEUlT_E_NS1_11comp_targetILNS1_3genE2ELNS1_11target_archE906ELNS1_3gpuE6ELNS1_3repE0EEENS1_30default_config_static_selectorELNS0_4arch9wavefront6targetE1EEEvT1_ ; -- Begin function _ZN7rocprim17ROCPRIM_400000_NS6detail17trampoline_kernelINS0_14default_configENS1_35adjacent_difference_config_selectorILb1ElEEZNS1_24adjacent_difference_implIS3_Lb1ELb0EPlS7_ZN2at6native12_GLOBAL__N_124unique_dim_cuda_templateIN3c104HalfEEESt5tupleIJNS8_6TensorESF_SF_EERKSF_lbbbEUlllE1_EE10hipError_tPvRmT2_T3_mT4_P12ihipStream_tbEUlT_E_NS1_11comp_targetILNS1_3genE2ELNS1_11target_archE906ELNS1_3gpuE6ELNS1_3repE0EEENS1_30default_config_static_selectorELNS0_4arch9wavefront6targetE1EEEvT1_
	.p2align	8
	.type	_ZN7rocprim17ROCPRIM_400000_NS6detail17trampoline_kernelINS0_14default_configENS1_35adjacent_difference_config_selectorILb1ElEEZNS1_24adjacent_difference_implIS3_Lb1ELb0EPlS7_ZN2at6native12_GLOBAL__N_124unique_dim_cuda_templateIN3c104HalfEEESt5tupleIJNS8_6TensorESF_SF_EERKSF_lbbbEUlllE1_EE10hipError_tPvRmT2_T3_mT4_P12ihipStream_tbEUlT_E_NS1_11comp_targetILNS1_3genE2ELNS1_11target_archE906ELNS1_3gpuE6ELNS1_3repE0EEENS1_30default_config_static_selectorELNS0_4arch9wavefront6targetE1EEEvT1_,@function
_ZN7rocprim17ROCPRIM_400000_NS6detail17trampoline_kernelINS0_14default_configENS1_35adjacent_difference_config_selectorILb1ElEEZNS1_24adjacent_difference_implIS3_Lb1ELb0EPlS7_ZN2at6native12_GLOBAL__N_124unique_dim_cuda_templateIN3c104HalfEEESt5tupleIJNS8_6TensorESF_SF_EERKSF_lbbbEUlllE1_EE10hipError_tPvRmT2_T3_mT4_P12ihipStream_tbEUlT_E_NS1_11comp_targetILNS1_3genE2ELNS1_11target_archE906ELNS1_3gpuE6ELNS1_3repE0EEENS1_30default_config_static_selectorELNS0_4arch9wavefront6targetE1EEEvT1_: ; @_ZN7rocprim17ROCPRIM_400000_NS6detail17trampoline_kernelINS0_14default_configENS1_35adjacent_difference_config_selectorILb1ElEEZNS1_24adjacent_difference_implIS3_Lb1ELb0EPlS7_ZN2at6native12_GLOBAL__N_124unique_dim_cuda_templateIN3c104HalfEEESt5tupleIJNS8_6TensorESF_SF_EERKSF_lbbbEUlllE1_EE10hipError_tPvRmT2_T3_mT4_P12ihipStream_tbEUlT_E_NS1_11comp_targetILNS1_3genE2ELNS1_11target_archE906ELNS1_3gpuE6ELNS1_3repE0EEENS1_30default_config_static_selectorELNS0_4arch9wavefront6targetE1EEEvT1_
; %bb.0:
	.section	.rodata,"a",@progbits
	.p2align	6, 0x0
	.amdhsa_kernel _ZN7rocprim17ROCPRIM_400000_NS6detail17trampoline_kernelINS0_14default_configENS1_35adjacent_difference_config_selectorILb1ElEEZNS1_24adjacent_difference_implIS3_Lb1ELb0EPlS7_ZN2at6native12_GLOBAL__N_124unique_dim_cuda_templateIN3c104HalfEEESt5tupleIJNS8_6TensorESF_SF_EERKSF_lbbbEUlllE1_EE10hipError_tPvRmT2_T3_mT4_P12ihipStream_tbEUlT_E_NS1_11comp_targetILNS1_3genE2ELNS1_11target_archE906ELNS1_3gpuE6ELNS1_3repE0EEENS1_30default_config_static_selectorELNS0_4arch9wavefront6targetE1EEEvT1_
		.amdhsa_group_segment_fixed_size 0
		.amdhsa_private_segment_fixed_size 0
		.amdhsa_kernarg_size 64
		.amdhsa_user_sgpr_count 2
		.amdhsa_user_sgpr_dispatch_ptr 0
		.amdhsa_user_sgpr_queue_ptr 0
		.amdhsa_user_sgpr_kernarg_segment_ptr 1
		.amdhsa_user_sgpr_dispatch_id 0
		.amdhsa_user_sgpr_kernarg_preload_length 0
		.amdhsa_user_sgpr_kernarg_preload_offset 0
		.amdhsa_user_sgpr_private_segment_size 0
		.amdhsa_uses_dynamic_stack 0
		.amdhsa_enable_private_segment 0
		.amdhsa_system_sgpr_workgroup_id_x 1
		.amdhsa_system_sgpr_workgroup_id_y 0
		.amdhsa_system_sgpr_workgroup_id_z 0
		.amdhsa_system_sgpr_workgroup_info 0
		.amdhsa_system_vgpr_workitem_id 0
		.amdhsa_next_free_vgpr 1
		.amdhsa_next_free_sgpr 0
		.amdhsa_accum_offset 4
		.amdhsa_reserve_vcc 0
		.amdhsa_float_round_mode_32 0
		.amdhsa_float_round_mode_16_64 0
		.amdhsa_float_denorm_mode_32 3
		.amdhsa_float_denorm_mode_16_64 3
		.amdhsa_dx10_clamp 1
		.amdhsa_ieee_mode 1
		.amdhsa_fp16_overflow 0
		.amdhsa_tg_split 0
		.amdhsa_exception_fp_ieee_invalid_op 0
		.amdhsa_exception_fp_denorm_src 0
		.amdhsa_exception_fp_ieee_div_zero 0
		.amdhsa_exception_fp_ieee_overflow 0
		.amdhsa_exception_fp_ieee_underflow 0
		.amdhsa_exception_fp_ieee_inexact 0
		.amdhsa_exception_int_div_zero 0
	.end_amdhsa_kernel
	.section	.text._ZN7rocprim17ROCPRIM_400000_NS6detail17trampoline_kernelINS0_14default_configENS1_35adjacent_difference_config_selectorILb1ElEEZNS1_24adjacent_difference_implIS3_Lb1ELb0EPlS7_ZN2at6native12_GLOBAL__N_124unique_dim_cuda_templateIN3c104HalfEEESt5tupleIJNS8_6TensorESF_SF_EERKSF_lbbbEUlllE1_EE10hipError_tPvRmT2_T3_mT4_P12ihipStream_tbEUlT_E_NS1_11comp_targetILNS1_3genE2ELNS1_11target_archE906ELNS1_3gpuE6ELNS1_3repE0EEENS1_30default_config_static_selectorELNS0_4arch9wavefront6targetE1EEEvT1_,"axG",@progbits,_ZN7rocprim17ROCPRIM_400000_NS6detail17trampoline_kernelINS0_14default_configENS1_35adjacent_difference_config_selectorILb1ElEEZNS1_24adjacent_difference_implIS3_Lb1ELb0EPlS7_ZN2at6native12_GLOBAL__N_124unique_dim_cuda_templateIN3c104HalfEEESt5tupleIJNS8_6TensorESF_SF_EERKSF_lbbbEUlllE1_EE10hipError_tPvRmT2_T3_mT4_P12ihipStream_tbEUlT_E_NS1_11comp_targetILNS1_3genE2ELNS1_11target_archE906ELNS1_3gpuE6ELNS1_3repE0EEENS1_30default_config_static_selectorELNS0_4arch9wavefront6targetE1EEEvT1_,comdat
.Lfunc_end1302:
	.size	_ZN7rocprim17ROCPRIM_400000_NS6detail17trampoline_kernelINS0_14default_configENS1_35adjacent_difference_config_selectorILb1ElEEZNS1_24adjacent_difference_implIS3_Lb1ELb0EPlS7_ZN2at6native12_GLOBAL__N_124unique_dim_cuda_templateIN3c104HalfEEESt5tupleIJNS8_6TensorESF_SF_EERKSF_lbbbEUlllE1_EE10hipError_tPvRmT2_T3_mT4_P12ihipStream_tbEUlT_E_NS1_11comp_targetILNS1_3genE2ELNS1_11target_archE906ELNS1_3gpuE6ELNS1_3repE0EEENS1_30default_config_static_selectorELNS0_4arch9wavefront6targetE1EEEvT1_, .Lfunc_end1302-_ZN7rocprim17ROCPRIM_400000_NS6detail17trampoline_kernelINS0_14default_configENS1_35adjacent_difference_config_selectorILb1ElEEZNS1_24adjacent_difference_implIS3_Lb1ELb0EPlS7_ZN2at6native12_GLOBAL__N_124unique_dim_cuda_templateIN3c104HalfEEESt5tupleIJNS8_6TensorESF_SF_EERKSF_lbbbEUlllE1_EE10hipError_tPvRmT2_T3_mT4_P12ihipStream_tbEUlT_E_NS1_11comp_targetILNS1_3genE2ELNS1_11target_archE906ELNS1_3gpuE6ELNS1_3repE0EEENS1_30default_config_static_selectorELNS0_4arch9wavefront6targetE1EEEvT1_
                                        ; -- End function
	.section	.AMDGPU.csdata,"",@progbits
; Kernel info:
; codeLenInByte = 0
; NumSgprs: 6
; NumVgprs: 0
; NumAgprs: 0
; TotalNumVgprs: 0
; ScratchSize: 0
; MemoryBound: 0
; FloatMode: 240
; IeeeMode: 1
; LDSByteSize: 0 bytes/workgroup (compile time only)
; SGPRBlocks: 0
; VGPRBlocks: 0
; NumSGPRsForWavesPerEU: 6
; NumVGPRsForWavesPerEU: 1
; AccumOffset: 4
; Occupancy: 8
; WaveLimiterHint : 0
; COMPUTE_PGM_RSRC2:SCRATCH_EN: 0
; COMPUTE_PGM_RSRC2:USER_SGPR: 2
; COMPUTE_PGM_RSRC2:TRAP_HANDLER: 0
; COMPUTE_PGM_RSRC2:TGID_X_EN: 1
; COMPUTE_PGM_RSRC2:TGID_Y_EN: 0
; COMPUTE_PGM_RSRC2:TGID_Z_EN: 0
; COMPUTE_PGM_RSRC2:TIDIG_COMP_CNT: 0
; COMPUTE_PGM_RSRC3_GFX90A:ACCUM_OFFSET: 0
; COMPUTE_PGM_RSRC3_GFX90A:TG_SPLIT: 0
	.section	.text._ZN7rocprim17ROCPRIM_400000_NS6detail17trampoline_kernelINS0_14default_configENS1_35adjacent_difference_config_selectorILb1ElEEZNS1_24adjacent_difference_implIS3_Lb1ELb0EPlS7_ZN2at6native12_GLOBAL__N_124unique_dim_cuda_templateIN3c104HalfEEESt5tupleIJNS8_6TensorESF_SF_EERKSF_lbbbEUlllE1_EE10hipError_tPvRmT2_T3_mT4_P12ihipStream_tbEUlT_E_NS1_11comp_targetILNS1_3genE9ELNS1_11target_archE1100ELNS1_3gpuE3ELNS1_3repE0EEENS1_30default_config_static_selectorELNS0_4arch9wavefront6targetE1EEEvT1_,"axG",@progbits,_ZN7rocprim17ROCPRIM_400000_NS6detail17trampoline_kernelINS0_14default_configENS1_35adjacent_difference_config_selectorILb1ElEEZNS1_24adjacent_difference_implIS3_Lb1ELb0EPlS7_ZN2at6native12_GLOBAL__N_124unique_dim_cuda_templateIN3c104HalfEEESt5tupleIJNS8_6TensorESF_SF_EERKSF_lbbbEUlllE1_EE10hipError_tPvRmT2_T3_mT4_P12ihipStream_tbEUlT_E_NS1_11comp_targetILNS1_3genE9ELNS1_11target_archE1100ELNS1_3gpuE3ELNS1_3repE0EEENS1_30default_config_static_selectorELNS0_4arch9wavefront6targetE1EEEvT1_,comdat
	.globl	_ZN7rocprim17ROCPRIM_400000_NS6detail17trampoline_kernelINS0_14default_configENS1_35adjacent_difference_config_selectorILb1ElEEZNS1_24adjacent_difference_implIS3_Lb1ELb0EPlS7_ZN2at6native12_GLOBAL__N_124unique_dim_cuda_templateIN3c104HalfEEESt5tupleIJNS8_6TensorESF_SF_EERKSF_lbbbEUlllE1_EE10hipError_tPvRmT2_T3_mT4_P12ihipStream_tbEUlT_E_NS1_11comp_targetILNS1_3genE9ELNS1_11target_archE1100ELNS1_3gpuE3ELNS1_3repE0EEENS1_30default_config_static_selectorELNS0_4arch9wavefront6targetE1EEEvT1_ ; -- Begin function _ZN7rocprim17ROCPRIM_400000_NS6detail17trampoline_kernelINS0_14default_configENS1_35adjacent_difference_config_selectorILb1ElEEZNS1_24adjacent_difference_implIS3_Lb1ELb0EPlS7_ZN2at6native12_GLOBAL__N_124unique_dim_cuda_templateIN3c104HalfEEESt5tupleIJNS8_6TensorESF_SF_EERKSF_lbbbEUlllE1_EE10hipError_tPvRmT2_T3_mT4_P12ihipStream_tbEUlT_E_NS1_11comp_targetILNS1_3genE9ELNS1_11target_archE1100ELNS1_3gpuE3ELNS1_3repE0EEENS1_30default_config_static_selectorELNS0_4arch9wavefront6targetE1EEEvT1_
	.p2align	8
	.type	_ZN7rocprim17ROCPRIM_400000_NS6detail17trampoline_kernelINS0_14default_configENS1_35adjacent_difference_config_selectorILb1ElEEZNS1_24adjacent_difference_implIS3_Lb1ELb0EPlS7_ZN2at6native12_GLOBAL__N_124unique_dim_cuda_templateIN3c104HalfEEESt5tupleIJNS8_6TensorESF_SF_EERKSF_lbbbEUlllE1_EE10hipError_tPvRmT2_T3_mT4_P12ihipStream_tbEUlT_E_NS1_11comp_targetILNS1_3genE9ELNS1_11target_archE1100ELNS1_3gpuE3ELNS1_3repE0EEENS1_30default_config_static_selectorELNS0_4arch9wavefront6targetE1EEEvT1_,@function
_ZN7rocprim17ROCPRIM_400000_NS6detail17trampoline_kernelINS0_14default_configENS1_35adjacent_difference_config_selectorILb1ElEEZNS1_24adjacent_difference_implIS3_Lb1ELb0EPlS7_ZN2at6native12_GLOBAL__N_124unique_dim_cuda_templateIN3c104HalfEEESt5tupleIJNS8_6TensorESF_SF_EERKSF_lbbbEUlllE1_EE10hipError_tPvRmT2_T3_mT4_P12ihipStream_tbEUlT_E_NS1_11comp_targetILNS1_3genE9ELNS1_11target_archE1100ELNS1_3gpuE3ELNS1_3repE0EEENS1_30default_config_static_selectorELNS0_4arch9wavefront6targetE1EEEvT1_: ; @_ZN7rocprim17ROCPRIM_400000_NS6detail17trampoline_kernelINS0_14default_configENS1_35adjacent_difference_config_selectorILb1ElEEZNS1_24adjacent_difference_implIS3_Lb1ELb0EPlS7_ZN2at6native12_GLOBAL__N_124unique_dim_cuda_templateIN3c104HalfEEESt5tupleIJNS8_6TensorESF_SF_EERKSF_lbbbEUlllE1_EE10hipError_tPvRmT2_T3_mT4_P12ihipStream_tbEUlT_E_NS1_11comp_targetILNS1_3genE9ELNS1_11target_archE1100ELNS1_3gpuE3ELNS1_3repE0EEENS1_30default_config_static_selectorELNS0_4arch9wavefront6targetE1EEEvT1_
; %bb.0:
	.section	.rodata,"a",@progbits
	.p2align	6, 0x0
	.amdhsa_kernel _ZN7rocprim17ROCPRIM_400000_NS6detail17trampoline_kernelINS0_14default_configENS1_35adjacent_difference_config_selectorILb1ElEEZNS1_24adjacent_difference_implIS3_Lb1ELb0EPlS7_ZN2at6native12_GLOBAL__N_124unique_dim_cuda_templateIN3c104HalfEEESt5tupleIJNS8_6TensorESF_SF_EERKSF_lbbbEUlllE1_EE10hipError_tPvRmT2_T3_mT4_P12ihipStream_tbEUlT_E_NS1_11comp_targetILNS1_3genE9ELNS1_11target_archE1100ELNS1_3gpuE3ELNS1_3repE0EEENS1_30default_config_static_selectorELNS0_4arch9wavefront6targetE1EEEvT1_
		.amdhsa_group_segment_fixed_size 0
		.amdhsa_private_segment_fixed_size 0
		.amdhsa_kernarg_size 64
		.amdhsa_user_sgpr_count 2
		.amdhsa_user_sgpr_dispatch_ptr 0
		.amdhsa_user_sgpr_queue_ptr 0
		.amdhsa_user_sgpr_kernarg_segment_ptr 1
		.amdhsa_user_sgpr_dispatch_id 0
		.amdhsa_user_sgpr_kernarg_preload_length 0
		.amdhsa_user_sgpr_kernarg_preload_offset 0
		.amdhsa_user_sgpr_private_segment_size 0
		.amdhsa_uses_dynamic_stack 0
		.amdhsa_enable_private_segment 0
		.amdhsa_system_sgpr_workgroup_id_x 1
		.amdhsa_system_sgpr_workgroup_id_y 0
		.amdhsa_system_sgpr_workgroup_id_z 0
		.amdhsa_system_sgpr_workgroup_info 0
		.amdhsa_system_vgpr_workitem_id 0
		.amdhsa_next_free_vgpr 1
		.amdhsa_next_free_sgpr 0
		.amdhsa_accum_offset 4
		.amdhsa_reserve_vcc 0
		.amdhsa_float_round_mode_32 0
		.amdhsa_float_round_mode_16_64 0
		.amdhsa_float_denorm_mode_32 3
		.amdhsa_float_denorm_mode_16_64 3
		.amdhsa_dx10_clamp 1
		.amdhsa_ieee_mode 1
		.amdhsa_fp16_overflow 0
		.amdhsa_tg_split 0
		.amdhsa_exception_fp_ieee_invalid_op 0
		.amdhsa_exception_fp_denorm_src 0
		.amdhsa_exception_fp_ieee_div_zero 0
		.amdhsa_exception_fp_ieee_overflow 0
		.amdhsa_exception_fp_ieee_underflow 0
		.amdhsa_exception_fp_ieee_inexact 0
		.amdhsa_exception_int_div_zero 0
	.end_amdhsa_kernel
	.section	.text._ZN7rocprim17ROCPRIM_400000_NS6detail17trampoline_kernelINS0_14default_configENS1_35adjacent_difference_config_selectorILb1ElEEZNS1_24adjacent_difference_implIS3_Lb1ELb0EPlS7_ZN2at6native12_GLOBAL__N_124unique_dim_cuda_templateIN3c104HalfEEESt5tupleIJNS8_6TensorESF_SF_EERKSF_lbbbEUlllE1_EE10hipError_tPvRmT2_T3_mT4_P12ihipStream_tbEUlT_E_NS1_11comp_targetILNS1_3genE9ELNS1_11target_archE1100ELNS1_3gpuE3ELNS1_3repE0EEENS1_30default_config_static_selectorELNS0_4arch9wavefront6targetE1EEEvT1_,"axG",@progbits,_ZN7rocprim17ROCPRIM_400000_NS6detail17trampoline_kernelINS0_14default_configENS1_35adjacent_difference_config_selectorILb1ElEEZNS1_24adjacent_difference_implIS3_Lb1ELb0EPlS7_ZN2at6native12_GLOBAL__N_124unique_dim_cuda_templateIN3c104HalfEEESt5tupleIJNS8_6TensorESF_SF_EERKSF_lbbbEUlllE1_EE10hipError_tPvRmT2_T3_mT4_P12ihipStream_tbEUlT_E_NS1_11comp_targetILNS1_3genE9ELNS1_11target_archE1100ELNS1_3gpuE3ELNS1_3repE0EEENS1_30default_config_static_selectorELNS0_4arch9wavefront6targetE1EEEvT1_,comdat
.Lfunc_end1303:
	.size	_ZN7rocprim17ROCPRIM_400000_NS6detail17trampoline_kernelINS0_14default_configENS1_35adjacent_difference_config_selectorILb1ElEEZNS1_24adjacent_difference_implIS3_Lb1ELb0EPlS7_ZN2at6native12_GLOBAL__N_124unique_dim_cuda_templateIN3c104HalfEEESt5tupleIJNS8_6TensorESF_SF_EERKSF_lbbbEUlllE1_EE10hipError_tPvRmT2_T3_mT4_P12ihipStream_tbEUlT_E_NS1_11comp_targetILNS1_3genE9ELNS1_11target_archE1100ELNS1_3gpuE3ELNS1_3repE0EEENS1_30default_config_static_selectorELNS0_4arch9wavefront6targetE1EEEvT1_, .Lfunc_end1303-_ZN7rocprim17ROCPRIM_400000_NS6detail17trampoline_kernelINS0_14default_configENS1_35adjacent_difference_config_selectorILb1ElEEZNS1_24adjacent_difference_implIS3_Lb1ELb0EPlS7_ZN2at6native12_GLOBAL__N_124unique_dim_cuda_templateIN3c104HalfEEESt5tupleIJNS8_6TensorESF_SF_EERKSF_lbbbEUlllE1_EE10hipError_tPvRmT2_T3_mT4_P12ihipStream_tbEUlT_E_NS1_11comp_targetILNS1_3genE9ELNS1_11target_archE1100ELNS1_3gpuE3ELNS1_3repE0EEENS1_30default_config_static_selectorELNS0_4arch9wavefront6targetE1EEEvT1_
                                        ; -- End function
	.section	.AMDGPU.csdata,"",@progbits
; Kernel info:
; codeLenInByte = 0
; NumSgprs: 6
; NumVgprs: 0
; NumAgprs: 0
; TotalNumVgprs: 0
; ScratchSize: 0
; MemoryBound: 0
; FloatMode: 240
; IeeeMode: 1
; LDSByteSize: 0 bytes/workgroup (compile time only)
; SGPRBlocks: 0
; VGPRBlocks: 0
; NumSGPRsForWavesPerEU: 6
; NumVGPRsForWavesPerEU: 1
; AccumOffset: 4
; Occupancy: 8
; WaveLimiterHint : 0
; COMPUTE_PGM_RSRC2:SCRATCH_EN: 0
; COMPUTE_PGM_RSRC2:USER_SGPR: 2
; COMPUTE_PGM_RSRC2:TRAP_HANDLER: 0
; COMPUTE_PGM_RSRC2:TGID_X_EN: 1
; COMPUTE_PGM_RSRC2:TGID_Y_EN: 0
; COMPUTE_PGM_RSRC2:TGID_Z_EN: 0
; COMPUTE_PGM_RSRC2:TIDIG_COMP_CNT: 0
; COMPUTE_PGM_RSRC3_GFX90A:ACCUM_OFFSET: 0
; COMPUTE_PGM_RSRC3_GFX90A:TG_SPLIT: 0
	.section	.text._ZN7rocprim17ROCPRIM_400000_NS6detail17trampoline_kernelINS0_14default_configENS1_35adjacent_difference_config_selectorILb1ElEEZNS1_24adjacent_difference_implIS3_Lb1ELb0EPlS7_ZN2at6native12_GLOBAL__N_124unique_dim_cuda_templateIN3c104HalfEEESt5tupleIJNS8_6TensorESF_SF_EERKSF_lbbbEUlllE1_EE10hipError_tPvRmT2_T3_mT4_P12ihipStream_tbEUlT_E_NS1_11comp_targetILNS1_3genE8ELNS1_11target_archE1030ELNS1_3gpuE2ELNS1_3repE0EEENS1_30default_config_static_selectorELNS0_4arch9wavefront6targetE1EEEvT1_,"axG",@progbits,_ZN7rocprim17ROCPRIM_400000_NS6detail17trampoline_kernelINS0_14default_configENS1_35adjacent_difference_config_selectorILb1ElEEZNS1_24adjacent_difference_implIS3_Lb1ELb0EPlS7_ZN2at6native12_GLOBAL__N_124unique_dim_cuda_templateIN3c104HalfEEESt5tupleIJNS8_6TensorESF_SF_EERKSF_lbbbEUlllE1_EE10hipError_tPvRmT2_T3_mT4_P12ihipStream_tbEUlT_E_NS1_11comp_targetILNS1_3genE8ELNS1_11target_archE1030ELNS1_3gpuE2ELNS1_3repE0EEENS1_30default_config_static_selectorELNS0_4arch9wavefront6targetE1EEEvT1_,comdat
	.globl	_ZN7rocprim17ROCPRIM_400000_NS6detail17trampoline_kernelINS0_14default_configENS1_35adjacent_difference_config_selectorILb1ElEEZNS1_24adjacent_difference_implIS3_Lb1ELb0EPlS7_ZN2at6native12_GLOBAL__N_124unique_dim_cuda_templateIN3c104HalfEEESt5tupleIJNS8_6TensorESF_SF_EERKSF_lbbbEUlllE1_EE10hipError_tPvRmT2_T3_mT4_P12ihipStream_tbEUlT_E_NS1_11comp_targetILNS1_3genE8ELNS1_11target_archE1030ELNS1_3gpuE2ELNS1_3repE0EEENS1_30default_config_static_selectorELNS0_4arch9wavefront6targetE1EEEvT1_ ; -- Begin function _ZN7rocprim17ROCPRIM_400000_NS6detail17trampoline_kernelINS0_14default_configENS1_35adjacent_difference_config_selectorILb1ElEEZNS1_24adjacent_difference_implIS3_Lb1ELb0EPlS7_ZN2at6native12_GLOBAL__N_124unique_dim_cuda_templateIN3c104HalfEEESt5tupleIJNS8_6TensorESF_SF_EERKSF_lbbbEUlllE1_EE10hipError_tPvRmT2_T3_mT4_P12ihipStream_tbEUlT_E_NS1_11comp_targetILNS1_3genE8ELNS1_11target_archE1030ELNS1_3gpuE2ELNS1_3repE0EEENS1_30default_config_static_selectorELNS0_4arch9wavefront6targetE1EEEvT1_
	.p2align	8
	.type	_ZN7rocprim17ROCPRIM_400000_NS6detail17trampoline_kernelINS0_14default_configENS1_35adjacent_difference_config_selectorILb1ElEEZNS1_24adjacent_difference_implIS3_Lb1ELb0EPlS7_ZN2at6native12_GLOBAL__N_124unique_dim_cuda_templateIN3c104HalfEEESt5tupleIJNS8_6TensorESF_SF_EERKSF_lbbbEUlllE1_EE10hipError_tPvRmT2_T3_mT4_P12ihipStream_tbEUlT_E_NS1_11comp_targetILNS1_3genE8ELNS1_11target_archE1030ELNS1_3gpuE2ELNS1_3repE0EEENS1_30default_config_static_selectorELNS0_4arch9wavefront6targetE1EEEvT1_,@function
_ZN7rocprim17ROCPRIM_400000_NS6detail17trampoline_kernelINS0_14default_configENS1_35adjacent_difference_config_selectorILb1ElEEZNS1_24adjacent_difference_implIS3_Lb1ELb0EPlS7_ZN2at6native12_GLOBAL__N_124unique_dim_cuda_templateIN3c104HalfEEESt5tupleIJNS8_6TensorESF_SF_EERKSF_lbbbEUlllE1_EE10hipError_tPvRmT2_T3_mT4_P12ihipStream_tbEUlT_E_NS1_11comp_targetILNS1_3genE8ELNS1_11target_archE1030ELNS1_3gpuE2ELNS1_3repE0EEENS1_30default_config_static_selectorELNS0_4arch9wavefront6targetE1EEEvT1_: ; @_ZN7rocprim17ROCPRIM_400000_NS6detail17trampoline_kernelINS0_14default_configENS1_35adjacent_difference_config_selectorILb1ElEEZNS1_24adjacent_difference_implIS3_Lb1ELb0EPlS7_ZN2at6native12_GLOBAL__N_124unique_dim_cuda_templateIN3c104HalfEEESt5tupleIJNS8_6TensorESF_SF_EERKSF_lbbbEUlllE1_EE10hipError_tPvRmT2_T3_mT4_P12ihipStream_tbEUlT_E_NS1_11comp_targetILNS1_3genE8ELNS1_11target_archE1030ELNS1_3gpuE2ELNS1_3repE0EEENS1_30default_config_static_selectorELNS0_4arch9wavefront6targetE1EEEvT1_
; %bb.0:
	.section	.rodata,"a",@progbits
	.p2align	6, 0x0
	.amdhsa_kernel _ZN7rocprim17ROCPRIM_400000_NS6detail17trampoline_kernelINS0_14default_configENS1_35adjacent_difference_config_selectorILb1ElEEZNS1_24adjacent_difference_implIS3_Lb1ELb0EPlS7_ZN2at6native12_GLOBAL__N_124unique_dim_cuda_templateIN3c104HalfEEESt5tupleIJNS8_6TensorESF_SF_EERKSF_lbbbEUlllE1_EE10hipError_tPvRmT2_T3_mT4_P12ihipStream_tbEUlT_E_NS1_11comp_targetILNS1_3genE8ELNS1_11target_archE1030ELNS1_3gpuE2ELNS1_3repE0EEENS1_30default_config_static_selectorELNS0_4arch9wavefront6targetE1EEEvT1_
		.amdhsa_group_segment_fixed_size 0
		.amdhsa_private_segment_fixed_size 0
		.amdhsa_kernarg_size 64
		.amdhsa_user_sgpr_count 2
		.amdhsa_user_sgpr_dispatch_ptr 0
		.amdhsa_user_sgpr_queue_ptr 0
		.amdhsa_user_sgpr_kernarg_segment_ptr 1
		.amdhsa_user_sgpr_dispatch_id 0
		.amdhsa_user_sgpr_kernarg_preload_length 0
		.amdhsa_user_sgpr_kernarg_preload_offset 0
		.amdhsa_user_sgpr_private_segment_size 0
		.amdhsa_uses_dynamic_stack 0
		.amdhsa_enable_private_segment 0
		.amdhsa_system_sgpr_workgroup_id_x 1
		.amdhsa_system_sgpr_workgroup_id_y 0
		.amdhsa_system_sgpr_workgroup_id_z 0
		.amdhsa_system_sgpr_workgroup_info 0
		.amdhsa_system_vgpr_workitem_id 0
		.amdhsa_next_free_vgpr 1
		.amdhsa_next_free_sgpr 0
		.amdhsa_accum_offset 4
		.amdhsa_reserve_vcc 0
		.amdhsa_float_round_mode_32 0
		.amdhsa_float_round_mode_16_64 0
		.amdhsa_float_denorm_mode_32 3
		.amdhsa_float_denorm_mode_16_64 3
		.amdhsa_dx10_clamp 1
		.amdhsa_ieee_mode 1
		.amdhsa_fp16_overflow 0
		.amdhsa_tg_split 0
		.amdhsa_exception_fp_ieee_invalid_op 0
		.amdhsa_exception_fp_denorm_src 0
		.amdhsa_exception_fp_ieee_div_zero 0
		.amdhsa_exception_fp_ieee_overflow 0
		.amdhsa_exception_fp_ieee_underflow 0
		.amdhsa_exception_fp_ieee_inexact 0
		.amdhsa_exception_int_div_zero 0
	.end_amdhsa_kernel
	.section	.text._ZN7rocprim17ROCPRIM_400000_NS6detail17trampoline_kernelINS0_14default_configENS1_35adjacent_difference_config_selectorILb1ElEEZNS1_24adjacent_difference_implIS3_Lb1ELb0EPlS7_ZN2at6native12_GLOBAL__N_124unique_dim_cuda_templateIN3c104HalfEEESt5tupleIJNS8_6TensorESF_SF_EERKSF_lbbbEUlllE1_EE10hipError_tPvRmT2_T3_mT4_P12ihipStream_tbEUlT_E_NS1_11comp_targetILNS1_3genE8ELNS1_11target_archE1030ELNS1_3gpuE2ELNS1_3repE0EEENS1_30default_config_static_selectorELNS0_4arch9wavefront6targetE1EEEvT1_,"axG",@progbits,_ZN7rocprim17ROCPRIM_400000_NS6detail17trampoline_kernelINS0_14default_configENS1_35adjacent_difference_config_selectorILb1ElEEZNS1_24adjacent_difference_implIS3_Lb1ELb0EPlS7_ZN2at6native12_GLOBAL__N_124unique_dim_cuda_templateIN3c104HalfEEESt5tupleIJNS8_6TensorESF_SF_EERKSF_lbbbEUlllE1_EE10hipError_tPvRmT2_T3_mT4_P12ihipStream_tbEUlT_E_NS1_11comp_targetILNS1_3genE8ELNS1_11target_archE1030ELNS1_3gpuE2ELNS1_3repE0EEENS1_30default_config_static_selectorELNS0_4arch9wavefront6targetE1EEEvT1_,comdat
.Lfunc_end1304:
	.size	_ZN7rocprim17ROCPRIM_400000_NS6detail17trampoline_kernelINS0_14default_configENS1_35adjacent_difference_config_selectorILb1ElEEZNS1_24adjacent_difference_implIS3_Lb1ELb0EPlS7_ZN2at6native12_GLOBAL__N_124unique_dim_cuda_templateIN3c104HalfEEESt5tupleIJNS8_6TensorESF_SF_EERKSF_lbbbEUlllE1_EE10hipError_tPvRmT2_T3_mT4_P12ihipStream_tbEUlT_E_NS1_11comp_targetILNS1_3genE8ELNS1_11target_archE1030ELNS1_3gpuE2ELNS1_3repE0EEENS1_30default_config_static_selectorELNS0_4arch9wavefront6targetE1EEEvT1_, .Lfunc_end1304-_ZN7rocprim17ROCPRIM_400000_NS6detail17trampoline_kernelINS0_14default_configENS1_35adjacent_difference_config_selectorILb1ElEEZNS1_24adjacent_difference_implIS3_Lb1ELb0EPlS7_ZN2at6native12_GLOBAL__N_124unique_dim_cuda_templateIN3c104HalfEEESt5tupleIJNS8_6TensorESF_SF_EERKSF_lbbbEUlllE1_EE10hipError_tPvRmT2_T3_mT4_P12ihipStream_tbEUlT_E_NS1_11comp_targetILNS1_3genE8ELNS1_11target_archE1030ELNS1_3gpuE2ELNS1_3repE0EEENS1_30default_config_static_selectorELNS0_4arch9wavefront6targetE1EEEvT1_
                                        ; -- End function
	.section	.AMDGPU.csdata,"",@progbits
; Kernel info:
; codeLenInByte = 0
; NumSgprs: 6
; NumVgprs: 0
; NumAgprs: 0
; TotalNumVgprs: 0
; ScratchSize: 0
; MemoryBound: 0
; FloatMode: 240
; IeeeMode: 1
; LDSByteSize: 0 bytes/workgroup (compile time only)
; SGPRBlocks: 0
; VGPRBlocks: 0
; NumSGPRsForWavesPerEU: 6
; NumVGPRsForWavesPerEU: 1
; AccumOffset: 4
; Occupancy: 8
; WaveLimiterHint : 0
; COMPUTE_PGM_RSRC2:SCRATCH_EN: 0
; COMPUTE_PGM_RSRC2:USER_SGPR: 2
; COMPUTE_PGM_RSRC2:TRAP_HANDLER: 0
; COMPUTE_PGM_RSRC2:TGID_X_EN: 1
; COMPUTE_PGM_RSRC2:TGID_Y_EN: 0
; COMPUTE_PGM_RSRC2:TGID_Z_EN: 0
; COMPUTE_PGM_RSRC2:TIDIG_COMP_CNT: 0
; COMPUTE_PGM_RSRC3_GFX90A:ACCUM_OFFSET: 0
; COMPUTE_PGM_RSRC3_GFX90A:TG_SPLIT: 0
	.section	.text._ZN7rocprim17ROCPRIM_400000_NS6detail17trampoline_kernelINS0_14default_configENS1_25partition_config_selectorILNS1_17partition_subalgoE8ElNS0_10empty_typeEbEEZZNS1_14partition_implILS5_8ELb0ES3_jPlPS6_PKS6_NS0_5tupleIJS9_S6_EEENSD_IJSA_SA_EEENS0_18inequality_wrapperIZN2at6native12_GLOBAL__N_124unique_dim_cuda_templateIN3c104HalfEEESt5tupleIJNSH_6TensorESO_SO_EERKSO_lbbbEUlllE0_EEPmJS6_EEE10hipError_tPvRmT3_T4_T5_T6_T7_T9_mT8_P12ihipStream_tbDpT10_ENKUlT_T0_E_clISt17integral_constantIbLb0EES1E_EEDaS19_S1A_EUlS19_E_NS1_11comp_targetILNS1_3genE0ELNS1_11target_archE4294967295ELNS1_3gpuE0ELNS1_3repE0EEENS1_30default_config_static_selectorELNS0_4arch9wavefront6targetE1EEEvT1_,"axG",@progbits,_ZN7rocprim17ROCPRIM_400000_NS6detail17trampoline_kernelINS0_14default_configENS1_25partition_config_selectorILNS1_17partition_subalgoE8ElNS0_10empty_typeEbEEZZNS1_14partition_implILS5_8ELb0ES3_jPlPS6_PKS6_NS0_5tupleIJS9_S6_EEENSD_IJSA_SA_EEENS0_18inequality_wrapperIZN2at6native12_GLOBAL__N_124unique_dim_cuda_templateIN3c104HalfEEESt5tupleIJNSH_6TensorESO_SO_EERKSO_lbbbEUlllE0_EEPmJS6_EEE10hipError_tPvRmT3_T4_T5_T6_T7_T9_mT8_P12ihipStream_tbDpT10_ENKUlT_T0_E_clISt17integral_constantIbLb0EES1E_EEDaS19_S1A_EUlS19_E_NS1_11comp_targetILNS1_3genE0ELNS1_11target_archE4294967295ELNS1_3gpuE0ELNS1_3repE0EEENS1_30default_config_static_selectorELNS0_4arch9wavefront6targetE1EEEvT1_,comdat
	.globl	_ZN7rocprim17ROCPRIM_400000_NS6detail17trampoline_kernelINS0_14default_configENS1_25partition_config_selectorILNS1_17partition_subalgoE8ElNS0_10empty_typeEbEEZZNS1_14partition_implILS5_8ELb0ES3_jPlPS6_PKS6_NS0_5tupleIJS9_S6_EEENSD_IJSA_SA_EEENS0_18inequality_wrapperIZN2at6native12_GLOBAL__N_124unique_dim_cuda_templateIN3c104HalfEEESt5tupleIJNSH_6TensorESO_SO_EERKSO_lbbbEUlllE0_EEPmJS6_EEE10hipError_tPvRmT3_T4_T5_T6_T7_T9_mT8_P12ihipStream_tbDpT10_ENKUlT_T0_E_clISt17integral_constantIbLb0EES1E_EEDaS19_S1A_EUlS19_E_NS1_11comp_targetILNS1_3genE0ELNS1_11target_archE4294967295ELNS1_3gpuE0ELNS1_3repE0EEENS1_30default_config_static_selectorELNS0_4arch9wavefront6targetE1EEEvT1_ ; -- Begin function _ZN7rocprim17ROCPRIM_400000_NS6detail17trampoline_kernelINS0_14default_configENS1_25partition_config_selectorILNS1_17partition_subalgoE8ElNS0_10empty_typeEbEEZZNS1_14partition_implILS5_8ELb0ES3_jPlPS6_PKS6_NS0_5tupleIJS9_S6_EEENSD_IJSA_SA_EEENS0_18inequality_wrapperIZN2at6native12_GLOBAL__N_124unique_dim_cuda_templateIN3c104HalfEEESt5tupleIJNSH_6TensorESO_SO_EERKSO_lbbbEUlllE0_EEPmJS6_EEE10hipError_tPvRmT3_T4_T5_T6_T7_T9_mT8_P12ihipStream_tbDpT10_ENKUlT_T0_E_clISt17integral_constantIbLb0EES1E_EEDaS19_S1A_EUlS19_E_NS1_11comp_targetILNS1_3genE0ELNS1_11target_archE4294967295ELNS1_3gpuE0ELNS1_3repE0EEENS1_30default_config_static_selectorELNS0_4arch9wavefront6targetE1EEEvT1_
	.p2align	8
	.type	_ZN7rocprim17ROCPRIM_400000_NS6detail17trampoline_kernelINS0_14default_configENS1_25partition_config_selectorILNS1_17partition_subalgoE8ElNS0_10empty_typeEbEEZZNS1_14partition_implILS5_8ELb0ES3_jPlPS6_PKS6_NS0_5tupleIJS9_S6_EEENSD_IJSA_SA_EEENS0_18inequality_wrapperIZN2at6native12_GLOBAL__N_124unique_dim_cuda_templateIN3c104HalfEEESt5tupleIJNSH_6TensorESO_SO_EERKSO_lbbbEUlllE0_EEPmJS6_EEE10hipError_tPvRmT3_T4_T5_T6_T7_T9_mT8_P12ihipStream_tbDpT10_ENKUlT_T0_E_clISt17integral_constantIbLb0EES1E_EEDaS19_S1A_EUlS19_E_NS1_11comp_targetILNS1_3genE0ELNS1_11target_archE4294967295ELNS1_3gpuE0ELNS1_3repE0EEENS1_30default_config_static_selectorELNS0_4arch9wavefront6targetE1EEEvT1_,@function
_ZN7rocprim17ROCPRIM_400000_NS6detail17trampoline_kernelINS0_14default_configENS1_25partition_config_selectorILNS1_17partition_subalgoE8ElNS0_10empty_typeEbEEZZNS1_14partition_implILS5_8ELb0ES3_jPlPS6_PKS6_NS0_5tupleIJS9_S6_EEENSD_IJSA_SA_EEENS0_18inequality_wrapperIZN2at6native12_GLOBAL__N_124unique_dim_cuda_templateIN3c104HalfEEESt5tupleIJNSH_6TensorESO_SO_EERKSO_lbbbEUlllE0_EEPmJS6_EEE10hipError_tPvRmT3_T4_T5_T6_T7_T9_mT8_P12ihipStream_tbDpT10_ENKUlT_T0_E_clISt17integral_constantIbLb0EES1E_EEDaS19_S1A_EUlS19_E_NS1_11comp_targetILNS1_3genE0ELNS1_11target_archE4294967295ELNS1_3gpuE0ELNS1_3repE0EEENS1_30default_config_static_selectorELNS0_4arch9wavefront6targetE1EEEvT1_: ; @_ZN7rocprim17ROCPRIM_400000_NS6detail17trampoline_kernelINS0_14default_configENS1_25partition_config_selectorILNS1_17partition_subalgoE8ElNS0_10empty_typeEbEEZZNS1_14partition_implILS5_8ELb0ES3_jPlPS6_PKS6_NS0_5tupleIJS9_S6_EEENSD_IJSA_SA_EEENS0_18inequality_wrapperIZN2at6native12_GLOBAL__N_124unique_dim_cuda_templateIN3c104HalfEEESt5tupleIJNSH_6TensorESO_SO_EERKSO_lbbbEUlllE0_EEPmJS6_EEE10hipError_tPvRmT3_T4_T5_T6_T7_T9_mT8_P12ihipStream_tbDpT10_ENKUlT_T0_E_clISt17integral_constantIbLb0EES1E_EEDaS19_S1A_EUlS19_E_NS1_11comp_targetILNS1_3genE0ELNS1_11target_archE4294967295ELNS1_3gpuE0ELNS1_3repE0EEENS1_30default_config_static_selectorELNS0_4arch9wavefront6targetE1EEEvT1_
; %bb.0:
	.section	.rodata,"a",@progbits
	.p2align	6, 0x0
	.amdhsa_kernel _ZN7rocprim17ROCPRIM_400000_NS6detail17trampoline_kernelINS0_14default_configENS1_25partition_config_selectorILNS1_17partition_subalgoE8ElNS0_10empty_typeEbEEZZNS1_14partition_implILS5_8ELb0ES3_jPlPS6_PKS6_NS0_5tupleIJS9_S6_EEENSD_IJSA_SA_EEENS0_18inequality_wrapperIZN2at6native12_GLOBAL__N_124unique_dim_cuda_templateIN3c104HalfEEESt5tupleIJNSH_6TensorESO_SO_EERKSO_lbbbEUlllE0_EEPmJS6_EEE10hipError_tPvRmT3_T4_T5_T6_T7_T9_mT8_P12ihipStream_tbDpT10_ENKUlT_T0_E_clISt17integral_constantIbLb0EES1E_EEDaS19_S1A_EUlS19_E_NS1_11comp_targetILNS1_3genE0ELNS1_11target_archE4294967295ELNS1_3gpuE0ELNS1_3repE0EEENS1_30default_config_static_selectorELNS0_4arch9wavefront6targetE1EEEvT1_
		.amdhsa_group_segment_fixed_size 0
		.amdhsa_private_segment_fixed_size 0
		.amdhsa_kernarg_size 120
		.amdhsa_user_sgpr_count 2
		.amdhsa_user_sgpr_dispatch_ptr 0
		.amdhsa_user_sgpr_queue_ptr 0
		.amdhsa_user_sgpr_kernarg_segment_ptr 1
		.amdhsa_user_sgpr_dispatch_id 0
		.amdhsa_user_sgpr_kernarg_preload_length 0
		.amdhsa_user_sgpr_kernarg_preload_offset 0
		.amdhsa_user_sgpr_private_segment_size 0
		.amdhsa_uses_dynamic_stack 0
		.amdhsa_enable_private_segment 0
		.amdhsa_system_sgpr_workgroup_id_x 1
		.amdhsa_system_sgpr_workgroup_id_y 0
		.amdhsa_system_sgpr_workgroup_id_z 0
		.amdhsa_system_sgpr_workgroup_info 0
		.amdhsa_system_vgpr_workitem_id 0
		.amdhsa_next_free_vgpr 1
		.amdhsa_next_free_sgpr 0
		.amdhsa_accum_offset 4
		.amdhsa_reserve_vcc 0
		.amdhsa_float_round_mode_32 0
		.amdhsa_float_round_mode_16_64 0
		.amdhsa_float_denorm_mode_32 3
		.amdhsa_float_denorm_mode_16_64 3
		.amdhsa_dx10_clamp 1
		.amdhsa_ieee_mode 1
		.amdhsa_fp16_overflow 0
		.amdhsa_tg_split 0
		.amdhsa_exception_fp_ieee_invalid_op 0
		.amdhsa_exception_fp_denorm_src 0
		.amdhsa_exception_fp_ieee_div_zero 0
		.amdhsa_exception_fp_ieee_overflow 0
		.amdhsa_exception_fp_ieee_underflow 0
		.amdhsa_exception_fp_ieee_inexact 0
		.amdhsa_exception_int_div_zero 0
	.end_amdhsa_kernel
	.section	.text._ZN7rocprim17ROCPRIM_400000_NS6detail17trampoline_kernelINS0_14default_configENS1_25partition_config_selectorILNS1_17partition_subalgoE8ElNS0_10empty_typeEbEEZZNS1_14partition_implILS5_8ELb0ES3_jPlPS6_PKS6_NS0_5tupleIJS9_S6_EEENSD_IJSA_SA_EEENS0_18inequality_wrapperIZN2at6native12_GLOBAL__N_124unique_dim_cuda_templateIN3c104HalfEEESt5tupleIJNSH_6TensorESO_SO_EERKSO_lbbbEUlllE0_EEPmJS6_EEE10hipError_tPvRmT3_T4_T5_T6_T7_T9_mT8_P12ihipStream_tbDpT10_ENKUlT_T0_E_clISt17integral_constantIbLb0EES1E_EEDaS19_S1A_EUlS19_E_NS1_11comp_targetILNS1_3genE0ELNS1_11target_archE4294967295ELNS1_3gpuE0ELNS1_3repE0EEENS1_30default_config_static_selectorELNS0_4arch9wavefront6targetE1EEEvT1_,"axG",@progbits,_ZN7rocprim17ROCPRIM_400000_NS6detail17trampoline_kernelINS0_14default_configENS1_25partition_config_selectorILNS1_17partition_subalgoE8ElNS0_10empty_typeEbEEZZNS1_14partition_implILS5_8ELb0ES3_jPlPS6_PKS6_NS0_5tupleIJS9_S6_EEENSD_IJSA_SA_EEENS0_18inequality_wrapperIZN2at6native12_GLOBAL__N_124unique_dim_cuda_templateIN3c104HalfEEESt5tupleIJNSH_6TensorESO_SO_EERKSO_lbbbEUlllE0_EEPmJS6_EEE10hipError_tPvRmT3_T4_T5_T6_T7_T9_mT8_P12ihipStream_tbDpT10_ENKUlT_T0_E_clISt17integral_constantIbLb0EES1E_EEDaS19_S1A_EUlS19_E_NS1_11comp_targetILNS1_3genE0ELNS1_11target_archE4294967295ELNS1_3gpuE0ELNS1_3repE0EEENS1_30default_config_static_selectorELNS0_4arch9wavefront6targetE1EEEvT1_,comdat
.Lfunc_end1305:
	.size	_ZN7rocprim17ROCPRIM_400000_NS6detail17trampoline_kernelINS0_14default_configENS1_25partition_config_selectorILNS1_17partition_subalgoE8ElNS0_10empty_typeEbEEZZNS1_14partition_implILS5_8ELb0ES3_jPlPS6_PKS6_NS0_5tupleIJS9_S6_EEENSD_IJSA_SA_EEENS0_18inequality_wrapperIZN2at6native12_GLOBAL__N_124unique_dim_cuda_templateIN3c104HalfEEESt5tupleIJNSH_6TensorESO_SO_EERKSO_lbbbEUlllE0_EEPmJS6_EEE10hipError_tPvRmT3_T4_T5_T6_T7_T9_mT8_P12ihipStream_tbDpT10_ENKUlT_T0_E_clISt17integral_constantIbLb0EES1E_EEDaS19_S1A_EUlS19_E_NS1_11comp_targetILNS1_3genE0ELNS1_11target_archE4294967295ELNS1_3gpuE0ELNS1_3repE0EEENS1_30default_config_static_selectorELNS0_4arch9wavefront6targetE1EEEvT1_, .Lfunc_end1305-_ZN7rocprim17ROCPRIM_400000_NS6detail17trampoline_kernelINS0_14default_configENS1_25partition_config_selectorILNS1_17partition_subalgoE8ElNS0_10empty_typeEbEEZZNS1_14partition_implILS5_8ELb0ES3_jPlPS6_PKS6_NS0_5tupleIJS9_S6_EEENSD_IJSA_SA_EEENS0_18inequality_wrapperIZN2at6native12_GLOBAL__N_124unique_dim_cuda_templateIN3c104HalfEEESt5tupleIJNSH_6TensorESO_SO_EERKSO_lbbbEUlllE0_EEPmJS6_EEE10hipError_tPvRmT3_T4_T5_T6_T7_T9_mT8_P12ihipStream_tbDpT10_ENKUlT_T0_E_clISt17integral_constantIbLb0EES1E_EEDaS19_S1A_EUlS19_E_NS1_11comp_targetILNS1_3genE0ELNS1_11target_archE4294967295ELNS1_3gpuE0ELNS1_3repE0EEENS1_30default_config_static_selectorELNS0_4arch9wavefront6targetE1EEEvT1_
                                        ; -- End function
	.section	.AMDGPU.csdata,"",@progbits
; Kernel info:
; codeLenInByte = 0
; NumSgprs: 6
; NumVgprs: 0
; NumAgprs: 0
; TotalNumVgprs: 0
; ScratchSize: 0
; MemoryBound: 0
; FloatMode: 240
; IeeeMode: 1
; LDSByteSize: 0 bytes/workgroup (compile time only)
; SGPRBlocks: 0
; VGPRBlocks: 0
; NumSGPRsForWavesPerEU: 6
; NumVGPRsForWavesPerEU: 1
; AccumOffset: 4
; Occupancy: 8
; WaveLimiterHint : 0
; COMPUTE_PGM_RSRC2:SCRATCH_EN: 0
; COMPUTE_PGM_RSRC2:USER_SGPR: 2
; COMPUTE_PGM_RSRC2:TRAP_HANDLER: 0
; COMPUTE_PGM_RSRC2:TGID_X_EN: 1
; COMPUTE_PGM_RSRC2:TGID_Y_EN: 0
; COMPUTE_PGM_RSRC2:TGID_Z_EN: 0
; COMPUTE_PGM_RSRC2:TIDIG_COMP_CNT: 0
; COMPUTE_PGM_RSRC3_GFX90A:ACCUM_OFFSET: 0
; COMPUTE_PGM_RSRC3_GFX90A:TG_SPLIT: 0
	.section	.text._ZN7rocprim17ROCPRIM_400000_NS6detail17trampoline_kernelINS0_14default_configENS1_25partition_config_selectorILNS1_17partition_subalgoE8ElNS0_10empty_typeEbEEZZNS1_14partition_implILS5_8ELb0ES3_jPlPS6_PKS6_NS0_5tupleIJS9_S6_EEENSD_IJSA_SA_EEENS0_18inequality_wrapperIZN2at6native12_GLOBAL__N_124unique_dim_cuda_templateIN3c104HalfEEESt5tupleIJNSH_6TensorESO_SO_EERKSO_lbbbEUlllE0_EEPmJS6_EEE10hipError_tPvRmT3_T4_T5_T6_T7_T9_mT8_P12ihipStream_tbDpT10_ENKUlT_T0_E_clISt17integral_constantIbLb0EES1E_EEDaS19_S1A_EUlS19_E_NS1_11comp_targetILNS1_3genE5ELNS1_11target_archE942ELNS1_3gpuE9ELNS1_3repE0EEENS1_30default_config_static_selectorELNS0_4arch9wavefront6targetE1EEEvT1_,"axG",@progbits,_ZN7rocprim17ROCPRIM_400000_NS6detail17trampoline_kernelINS0_14default_configENS1_25partition_config_selectorILNS1_17partition_subalgoE8ElNS0_10empty_typeEbEEZZNS1_14partition_implILS5_8ELb0ES3_jPlPS6_PKS6_NS0_5tupleIJS9_S6_EEENSD_IJSA_SA_EEENS0_18inequality_wrapperIZN2at6native12_GLOBAL__N_124unique_dim_cuda_templateIN3c104HalfEEESt5tupleIJNSH_6TensorESO_SO_EERKSO_lbbbEUlllE0_EEPmJS6_EEE10hipError_tPvRmT3_T4_T5_T6_T7_T9_mT8_P12ihipStream_tbDpT10_ENKUlT_T0_E_clISt17integral_constantIbLb0EES1E_EEDaS19_S1A_EUlS19_E_NS1_11comp_targetILNS1_3genE5ELNS1_11target_archE942ELNS1_3gpuE9ELNS1_3repE0EEENS1_30default_config_static_selectorELNS0_4arch9wavefront6targetE1EEEvT1_,comdat
	.globl	_ZN7rocprim17ROCPRIM_400000_NS6detail17trampoline_kernelINS0_14default_configENS1_25partition_config_selectorILNS1_17partition_subalgoE8ElNS0_10empty_typeEbEEZZNS1_14partition_implILS5_8ELb0ES3_jPlPS6_PKS6_NS0_5tupleIJS9_S6_EEENSD_IJSA_SA_EEENS0_18inequality_wrapperIZN2at6native12_GLOBAL__N_124unique_dim_cuda_templateIN3c104HalfEEESt5tupleIJNSH_6TensorESO_SO_EERKSO_lbbbEUlllE0_EEPmJS6_EEE10hipError_tPvRmT3_T4_T5_T6_T7_T9_mT8_P12ihipStream_tbDpT10_ENKUlT_T0_E_clISt17integral_constantIbLb0EES1E_EEDaS19_S1A_EUlS19_E_NS1_11comp_targetILNS1_3genE5ELNS1_11target_archE942ELNS1_3gpuE9ELNS1_3repE0EEENS1_30default_config_static_selectorELNS0_4arch9wavefront6targetE1EEEvT1_ ; -- Begin function _ZN7rocprim17ROCPRIM_400000_NS6detail17trampoline_kernelINS0_14default_configENS1_25partition_config_selectorILNS1_17partition_subalgoE8ElNS0_10empty_typeEbEEZZNS1_14partition_implILS5_8ELb0ES3_jPlPS6_PKS6_NS0_5tupleIJS9_S6_EEENSD_IJSA_SA_EEENS0_18inequality_wrapperIZN2at6native12_GLOBAL__N_124unique_dim_cuda_templateIN3c104HalfEEESt5tupleIJNSH_6TensorESO_SO_EERKSO_lbbbEUlllE0_EEPmJS6_EEE10hipError_tPvRmT3_T4_T5_T6_T7_T9_mT8_P12ihipStream_tbDpT10_ENKUlT_T0_E_clISt17integral_constantIbLb0EES1E_EEDaS19_S1A_EUlS19_E_NS1_11comp_targetILNS1_3genE5ELNS1_11target_archE942ELNS1_3gpuE9ELNS1_3repE0EEENS1_30default_config_static_selectorELNS0_4arch9wavefront6targetE1EEEvT1_
	.p2align	8
	.type	_ZN7rocprim17ROCPRIM_400000_NS6detail17trampoline_kernelINS0_14default_configENS1_25partition_config_selectorILNS1_17partition_subalgoE8ElNS0_10empty_typeEbEEZZNS1_14partition_implILS5_8ELb0ES3_jPlPS6_PKS6_NS0_5tupleIJS9_S6_EEENSD_IJSA_SA_EEENS0_18inequality_wrapperIZN2at6native12_GLOBAL__N_124unique_dim_cuda_templateIN3c104HalfEEESt5tupleIJNSH_6TensorESO_SO_EERKSO_lbbbEUlllE0_EEPmJS6_EEE10hipError_tPvRmT3_T4_T5_T6_T7_T9_mT8_P12ihipStream_tbDpT10_ENKUlT_T0_E_clISt17integral_constantIbLb0EES1E_EEDaS19_S1A_EUlS19_E_NS1_11comp_targetILNS1_3genE5ELNS1_11target_archE942ELNS1_3gpuE9ELNS1_3repE0EEENS1_30default_config_static_selectorELNS0_4arch9wavefront6targetE1EEEvT1_,@function
_ZN7rocprim17ROCPRIM_400000_NS6detail17trampoline_kernelINS0_14default_configENS1_25partition_config_selectorILNS1_17partition_subalgoE8ElNS0_10empty_typeEbEEZZNS1_14partition_implILS5_8ELb0ES3_jPlPS6_PKS6_NS0_5tupleIJS9_S6_EEENSD_IJSA_SA_EEENS0_18inequality_wrapperIZN2at6native12_GLOBAL__N_124unique_dim_cuda_templateIN3c104HalfEEESt5tupleIJNSH_6TensorESO_SO_EERKSO_lbbbEUlllE0_EEPmJS6_EEE10hipError_tPvRmT3_T4_T5_T6_T7_T9_mT8_P12ihipStream_tbDpT10_ENKUlT_T0_E_clISt17integral_constantIbLb0EES1E_EEDaS19_S1A_EUlS19_E_NS1_11comp_targetILNS1_3genE5ELNS1_11target_archE942ELNS1_3gpuE9ELNS1_3repE0EEENS1_30default_config_static_selectorELNS0_4arch9wavefront6targetE1EEEvT1_: ; @_ZN7rocprim17ROCPRIM_400000_NS6detail17trampoline_kernelINS0_14default_configENS1_25partition_config_selectorILNS1_17partition_subalgoE8ElNS0_10empty_typeEbEEZZNS1_14partition_implILS5_8ELb0ES3_jPlPS6_PKS6_NS0_5tupleIJS9_S6_EEENSD_IJSA_SA_EEENS0_18inequality_wrapperIZN2at6native12_GLOBAL__N_124unique_dim_cuda_templateIN3c104HalfEEESt5tupleIJNSH_6TensorESO_SO_EERKSO_lbbbEUlllE0_EEPmJS6_EEE10hipError_tPvRmT3_T4_T5_T6_T7_T9_mT8_P12ihipStream_tbDpT10_ENKUlT_T0_E_clISt17integral_constantIbLb0EES1E_EEDaS19_S1A_EUlS19_E_NS1_11comp_targetILNS1_3genE5ELNS1_11target_archE942ELNS1_3gpuE9ELNS1_3repE0EEENS1_30default_config_static_selectorELNS0_4arch9wavefront6targetE1EEEvT1_
; %bb.0:
	s_load_dwordx8 s[20:27], s[0:1], 0x40
	s_load_dwordx4 s[4:7], s[0:1], 0x8
	s_load_dwordx4 s[28:31], s[0:1], 0x60
	s_load_dword s3, s[0:1], 0x70
	s_waitcnt lgkmcnt(0)
	v_mov_b32_e32 v2, s24
	s_lshl_b64 s[8:9], s[6:7], 3
	s_add_u32 s12, s4, s8
	s_mul_i32 s8, s3, 0xe00
	s_addc_u32 s13, s5, s9
	s_add_i32 s10, s3, -1
	s_add_i32 s3, s8, s6
	s_sub_i32 s3, s24, s3
	s_add_u32 s8, s6, s8
	s_addc_u32 s9, s7, 0
	v_mov_b32_e32 v3, s25
	s_cmp_eq_u32 s2, s10
	s_load_dwordx2 s[22:23], s[22:23], 0x0
	v_cmp_ge_u64_e32 vcc, s[8:9], v[2:3]
	s_cselect_b64 s[24:25], -1, 0
	s_mul_i32 s4, s2, 0xe00
	s_mov_b32 s5, 0
	s_and_b64 s[8:9], s[24:25], vcc
	s_xor_b64 s[34:35], s[8:9], -1
	s_lshl_b64 s[4:5], s[4:5], 3
	s_add_u32 s4, s12, s4
	s_mov_b64 s[10:11], -1
	s_addc_u32 s5, s13, s5
	s_and_b64 vcc, exec, s[34:35]
	s_cbranch_vccz .LBB1306_2
; %bb.1:
	v_lshlrev_b32_e32 v2, 3, v0
	v_mov_b32_e32 v3, 0
	v_lshl_add_u64 v[4:5], s[4:5], 0, v[2:3]
	v_add_co_u32_e32 v8, vcc, 0x1000, v4
	global_load_dwordx2 v[6:7], v2, s[4:5]
	s_nop 0
	v_addc_co_u32_e32 v9, vcc, 0, v5, vcc
	v_add_co_u32_e32 v10, vcc, 0x2000, v4
	s_mov_b64 s[10:11], 0
	s_nop 0
	v_addc_co_u32_e32 v11, vcc, 0, v5, vcc
	v_add_co_u32_e32 v12, vcc, 0x3000, v4
	s_nop 1
	v_addc_co_u32_e32 v13, vcc, 0, v5, vcc
	v_add_co_u32_e32 v14, vcc, 0x4000, v4
	s_nop 1
	v_addc_co_u32_e32 v15, vcc, 0, v5, vcc
	global_load_dwordx2 v[16:17], v[8:9], off
	global_load_dwordx2 v[18:19], v[10:11], off
	;; [unrolled: 1-line block ×4, first 2 shown]
	v_add_co_u32_e32 v8, vcc, 0x5000, v4
	s_nop 1
	v_addc_co_u32_e32 v9, vcc, 0, v5, vcc
	v_add_co_u32_e32 v4, vcc, 0x6000, v4
	global_load_dwordx2 v[8:9], v[8:9], off
	s_nop 0
	v_addc_co_u32_e32 v5, vcc, 0, v5, vcc
	global_load_dwordx2 v[4:5], v[4:5], off
	s_waitcnt vmcnt(5)
	ds_write2st64_b64 v2, v[6:7], v[16:17] offset1:8
	s_waitcnt vmcnt(3)
	ds_write2st64_b64 v2, v[18:19], v[20:21] offset0:16 offset1:24
	s_waitcnt vmcnt(1)
	ds_write2st64_b64 v2, v[22:23], v[8:9] offset0:32 offset1:40
	s_waitcnt vmcnt(0)
	ds_write_b64 v2, v[4:5] offset:24576
	s_waitcnt lgkmcnt(0)
	s_barrier
.LBB1306_2:
	s_andn2_b64 vcc, exec, s[10:11]
	s_addk_i32 s3, 0xe00
	s_cbranch_vccnz .LBB1306_18
; %bb.3:
	v_cmp_gt_u32_e32 vcc, s3, v0
                                        ; implicit-def: $vgpr2_vgpr3_vgpr4_vgpr5_vgpr6_vgpr7_vgpr8_vgpr9_vgpr10_vgpr11_vgpr12_vgpr13_vgpr14_vgpr15_vgpr16_vgpr17
	s_and_saveexec_b64 s[10:11], vcc
	s_cbranch_execz .LBB1306_5
; %bb.4:
	v_lshlrev_b32_e32 v1, 3, v0
	global_load_dwordx2 v[2:3], v1, s[4:5]
.LBB1306_5:
	s_or_b64 exec, exec, s[10:11]
	v_or_b32_e32 v1, 0x200, v0
	v_cmp_gt_u32_e32 vcc, s3, v1
	s_and_saveexec_b64 s[10:11], vcc
	s_cbranch_execz .LBB1306_7
; %bb.6:
	v_lshlrev_b32_e32 v1, 3, v1
	global_load_dwordx2 v[4:5], v1, s[4:5]
.LBB1306_7:
	s_or_b64 exec, exec, s[10:11]
	v_or_b32_e32 v1, 0x400, v0
	v_cmp_gt_u32_e32 vcc, s3, v1
	;; [unrolled: 9-line block ×6, first 2 shown]
	s_and_saveexec_b64 s[10:11], vcc
	s_cbranch_execz .LBB1306_17
; %bb.16:
	v_lshlrev_b32_e32 v1, 3, v1
	global_load_dwordx2 v[14:15], v1, s[4:5]
.LBB1306_17:
	s_or_b64 exec, exec, s[10:11]
	v_lshlrev_b32_e32 v1, 3, v0
	s_waitcnt vmcnt(0)
	ds_write2st64_b64 v1, v[2:3], v[4:5] offset1:8
	ds_write2st64_b64 v1, v[6:7], v[8:9] offset0:16 offset1:24
	ds_write2st64_b64 v1, v[10:11], v[12:13] offset0:32 offset1:40
	ds_write_b64 v1, v[14:15] offset:24576
	s_waitcnt lgkmcnt(0)
	s_barrier
.LBB1306_18:
	v_mul_u32_u24_e32 v1, 7, v0
	v_lshlrev_b32_e32 v30, 3, v1
	s_waitcnt lgkmcnt(0)
	ds_read2_b64 v[10:13], v30 offset1:1
	ds_read2_b64 v[6:9], v30 offset0:2 offset1:3
	ds_read2_b64 v[2:5], v30 offset0:4 offset1:5
	ds_read_b64 v[14:15], v30 offset:48
	s_cmp_lg_u32 s2, 0
	s_cselect_b64 s[16:17], -1, 0
	s_cmp_lg_u64 s[6:7], 0
	s_cselect_b64 s[6:7], -1, 0
	s_or_b64 s[6:7], s[16:17], s[6:7]
	v_mad_u32_u24 v25, v0, 7, 1
	v_mad_u32_u24 v24, v0, 7, 2
	;; [unrolled: 1-line block ×6, first 2 shown]
	s_mov_b64 s[10:11], 0
	s_and_b64 vcc, exec, s[6:7]
	v_cmp_gt_i64_e64 s[12:13], s[26:27], 0
	s_waitcnt lgkmcnt(0)
	s_barrier
	s_cbranch_vccz .LBB1306_27
; %bb.19:
	s_add_u32 s4, s4, -8
	s_addc_u32 s5, s5, -1
	s_load_dwordx2 s[6:7], s[4:5], 0x0
	v_cndmask_b32_e64 v16, 0, 1, s[12:13]
	v_lshlrev_b32_e32 v31, 3, v0
	s_and_b64 vcc, exec, s[34:35]
	v_cmp_ne_u32_e64 s[4:5], 1, v16
	ds_write_b64 v31, v[14:15]
	s_cbranch_vccz .LBB1306_29
; %bb.20:
	v_mul_lo_u32 v18, v5, s26
	v_mul_lo_u32 v19, v4, s27
	v_mad_u64_u32 v[16:17], s[12:13], v4, s26, 0
	v_add3_u32 v17, v17, v19, v18
	s_and_b64 vcc, exec, s[4:5]
	v_lshl_add_u64 v[16:17], v[16:17], 1, s[28:29]
	s_cbranch_vccnz .LBB1306_32
; %bb.21:
	v_mul_lo_u32 v20, v15, s26
	v_mul_lo_u32 v21, v14, s27
	v_mad_u64_u32 v[18:19], s[10:11], v14, s26, 0
	v_add3_u32 v19, v19, v21, v20
	v_lshl_add_u64 v[18:19], v[18:19], 1, s[28:29]
	global_load_ushort v20, v[16:17], off
	global_load_ushort v21, v[18:19], off
	s_mov_b64 s[10:11], -1
	s_waitcnt vmcnt(0)
	v_cmp_eq_f16_e32 vcc, v20, v21
	s_and_saveexec_b64 s[12:13], vcc
	s_cbranch_execz .LBB1306_31
; %bb.22:
	s_add_u32 s10, s26, -1
	v_lshl_add_u64 v[18:19], v[18:19], 0, 2
	v_lshl_add_u64 v[20:21], v[16:17], 0, 2
	s_addc_u32 s11, s27, -1
	s_mov_b64 s[14:15], 0
	s_mov_b64 s[36:37], 0
                                        ; implicit-def: $sgpr18_sgpr19
	s_branch .LBB1306_25
.LBB1306_23:                            ;   in Loop: Header=BB1306_25 Depth=1
	global_load_ushort v22, v[20:21], off
	global_load_ushort v23, v[18:19], off
	s_add_u32 s36, s36, 1
	s_addc_u32 s37, s37, 0
	s_andn2_b64 s[18:19], s[18:19], exec
	v_lshl_add_u64 v[18:19], v[18:19], 0, 2
	v_lshl_add_u64 v[20:21], v[20:21], 0, 2
	s_waitcnt vmcnt(0)
	v_cmp_neq_f16_e32 vcc, v22, v23
	s_and_b64 s[38:39], vcc, exec
	s_or_b64 s[18:19], s[18:19], s[38:39]
.LBB1306_24:                            ;   in Loop: Header=BB1306_25 Depth=1
	s_and_b64 s[38:39], exec, s[18:19]
	s_or_b64 s[14:15], s[38:39], s[14:15]
	v_mov_b64_e32 v[22:23], s[36:37]
	s_andn2_b64 exec, exec, s[14:15]
	s_cbranch_execz .LBB1306_30
.LBB1306_25:                            ; =>This Inner Loop Header: Depth=1
	s_or_b64 s[18:19], s[18:19], exec
	s_cmp_eq_u64 s[10:11], s[36:37]
	s_cbranch_scc0 .LBB1306_23
; %bb.26:                               ;   in Loop: Header=BB1306_25 Depth=1
                                        ; implicit-def: $vgpr18_vgpr19
                                        ; implicit-def: $vgpr20_vgpr21
	s_mov_b64 s[36:37], s[26:27]
	s_branch .LBB1306_24
.LBB1306_27:
                                        ; implicit-def: $sgpr18_sgpr19
                                        ; implicit-def: $vgpr34
                                        ; implicit-def: $vgpr33
                                        ; implicit-def: $vgpr32
                                        ; implicit-def: $vgpr20
	s_branch .LBB1306_170
.LBB1306_28:
                                        ; implicit-def: $vgpr16_vgpr17
	s_branch .LBB1306_318
.LBB1306_29:
                                        ; implicit-def: $sgpr18_sgpr19
                                        ; implicit-def: $vgpr34
                                        ; implicit-def: $vgpr33
                                        ; implicit-def: $vgpr32
                                        ; implicit-def: $vgpr20
	s_cbranch_execnz .LBB1306_89
	s_branch .LBB1306_169
.LBB1306_30:
	s_or_b64 exec, exec, s[14:15]
	v_cmp_gt_i64_e32 vcc, s[26:27], v[22:23]
	s_orn2_b64 s[10:11], vcc, exec
.LBB1306_31:
	s_or_b64 exec, exec, s[12:13]
.LBB1306_32:
	v_mul_lo_u32 v20, v3, s26
	v_mul_lo_u32 v21, v2, s27
	v_mad_u64_u32 v[18:19], s[12:13], v2, s26, 0
	v_add3_u32 v19, v19, v21, v20
	s_mov_b64 s[12:13], 0
	s_and_b64 vcc, exec, s[4:5]
	v_lshl_add_u64 v[18:19], v[18:19], 1, s[28:29]
	s_mov_b64 s[14:15], 0
	s_cbranch_vccnz .LBB1306_41
; %bb.33:
	global_load_ushort v20, v[18:19], off
	global_load_ushort v21, v[16:17], off
	s_mov_b64 s[14:15], -1
	s_waitcnt vmcnt(0)
	v_cmp_eq_f16_e32 vcc, v20, v21
	s_and_saveexec_b64 s[18:19], vcc
	s_cbranch_execz .LBB1306_40
; %bb.34:
	s_add_u32 s14, s26, -1
	v_lshl_add_u64 v[16:17], v[16:17], 0, 2
	v_lshl_add_u64 v[20:21], v[18:19], 0, 2
	s_addc_u32 s15, s27, -1
	s_mov_b64 s[36:37], 0
	s_mov_b64 s[40:41], 0
                                        ; implicit-def: $sgpr38_sgpr39
	s_branch .LBB1306_37
.LBB1306_35:                            ;   in Loop: Header=BB1306_37 Depth=1
	global_load_ushort v22, v[20:21], off
	global_load_ushort v23, v[16:17], off
	s_add_u32 s40, s40, 1
	s_addc_u32 s41, s41, 0
	s_andn2_b64 s[38:39], s[38:39], exec
	v_lshl_add_u64 v[16:17], v[16:17], 0, 2
	v_lshl_add_u64 v[20:21], v[20:21], 0, 2
	s_waitcnt vmcnt(0)
	v_cmp_neq_f16_e32 vcc, v22, v23
	s_and_b64 s[42:43], vcc, exec
	s_or_b64 s[38:39], s[38:39], s[42:43]
.LBB1306_36:                            ;   in Loop: Header=BB1306_37 Depth=1
	s_and_b64 s[42:43], exec, s[38:39]
	s_or_b64 s[36:37], s[42:43], s[36:37]
	v_mov_b64_e32 v[22:23], s[40:41]
	s_andn2_b64 exec, exec, s[36:37]
	s_cbranch_execz .LBB1306_39
.LBB1306_37:                            ; =>This Inner Loop Header: Depth=1
	s_or_b64 s[38:39], s[38:39], exec
	s_cmp_eq_u64 s[14:15], s[40:41]
	s_cbranch_scc0 .LBB1306_35
; %bb.38:                               ;   in Loop: Header=BB1306_37 Depth=1
                                        ; implicit-def: $vgpr16_vgpr17
                                        ; implicit-def: $vgpr20_vgpr21
	s_mov_b64 s[40:41], s[26:27]
	s_branch .LBB1306_36
.LBB1306_39:
	s_or_b64 exec, exec, s[36:37]
	v_cmp_gt_i64_e32 vcc, s[26:27], v[22:23]
	s_orn2_b64 s[14:15], vcc, exec
.LBB1306_40:
	s_or_b64 exec, exec, s[18:19]
.LBB1306_41:
	v_mul_lo_u32 v20, v9, s26
	v_mul_lo_u32 v21, v8, s27
	v_mad_u64_u32 v[16:17], s[18:19], v8, s26, 0
	v_add3_u32 v17, v17, v21, v20
	s_and_b64 vcc, exec, s[4:5]
	v_lshl_add_u64 v[16:17], v[16:17], 1, s[28:29]
	s_cbranch_vccnz .LBB1306_50
; %bb.42:
	global_load_ushort v20, v[16:17], off
	global_load_ushort v21, v[18:19], off
	s_mov_b64 s[12:13], -1
	s_waitcnt vmcnt(0)
	v_cmp_eq_f16_e32 vcc, v20, v21
	s_and_saveexec_b64 s[18:19], vcc
	s_cbranch_execz .LBB1306_49
; %bb.43:
	s_add_u32 s12, s26, -1
	v_lshl_add_u64 v[18:19], v[18:19], 0, 2
	v_lshl_add_u64 v[20:21], v[16:17], 0, 2
	s_addc_u32 s13, s27, -1
	s_mov_b64 s[36:37], 0
	s_mov_b64 s[40:41], 0
                                        ; implicit-def: $sgpr38_sgpr39
	s_branch .LBB1306_46
.LBB1306_44:                            ;   in Loop: Header=BB1306_46 Depth=1
	global_load_ushort v22, v[20:21], off
	global_load_ushort v23, v[18:19], off
	s_add_u32 s40, s40, 1
	s_addc_u32 s41, s41, 0
	s_andn2_b64 s[38:39], s[38:39], exec
	v_lshl_add_u64 v[18:19], v[18:19], 0, 2
	v_lshl_add_u64 v[20:21], v[20:21], 0, 2
	s_waitcnt vmcnt(0)
	v_cmp_neq_f16_e32 vcc, v22, v23
	s_and_b64 s[42:43], vcc, exec
	s_or_b64 s[38:39], s[38:39], s[42:43]
.LBB1306_45:                            ;   in Loop: Header=BB1306_46 Depth=1
	s_and_b64 s[42:43], exec, s[38:39]
	s_or_b64 s[36:37], s[42:43], s[36:37]
	v_mov_b64_e32 v[22:23], s[40:41]
	s_andn2_b64 exec, exec, s[36:37]
	s_cbranch_execz .LBB1306_48
.LBB1306_46:                            ; =>This Inner Loop Header: Depth=1
	s_or_b64 s[38:39], s[38:39], exec
	s_cmp_eq_u64 s[12:13], s[40:41]
	s_cbranch_scc0 .LBB1306_44
; %bb.47:                               ;   in Loop: Header=BB1306_46 Depth=1
                                        ; implicit-def: $vgpr18_vgpr19
                                        ; implicit-def: $vgpr20_vgpr21
	s_mov_b64 s[40:41], s[26:27]
	s_branch .LBB1306_45
.LBB1306_48:
	s_or_b64 exec, exec, s[36:37]
	v_cmp_gt_i64_e32 vcc, s[26:27], v[22:23]
	s_orn2_b64 s[12:13], vcc, exec
.LBB1306_49:
	s_or_b64 exec, exec, s[18:19]
.LBB1306_50:
	v_mul_lo_u32 v20, v7, s26
	v_mul_lo_u32 v21, v6, s27
	v_mad_u64_u32 v[18:19], s[18:19], v6, s26, 0
	v_add3_u32 v19, v19, v21, v20
	s_mov_b64 s[18:19], 0
	s_and_b64 vcc, exec, s[4:5]
	v_lshl_add_u64 v[20:21], v[18:19], 1, s[28:29]
	s_mov_b64 s[36:37], 0
	s_cbranch_vccnz .LBB1306_59
; %bb.51:
	global_load_ushort v18, v[20:21], off
	global_load_ushort v19, v[16:17], off
	s_mov_b64 s[36:37], -1
	s_waitcnt vmcnt(0)
	v_cmp_eq_f16_e32 vcc, v18, v19
	s_and_saveexec_b64 s[38:39], vcc
	s_cbranch_execz .LBB1306_58
; %bb.52:
	s_add_u32 s36, s26, -1
	v_lshl_add_u64 v[16:17], v[16:17], 0, 2
	v_lshl_add_u64 v[18:19], v[20:21], 0, 2
	s_addc_u32 s37, s27, -1
	s_mov_b64 s[40:41], 0
	s_mov_b64 s[44:45], 0
                                        ; implicit-def: $sgpr42_sgpr43
	s_branch .LBB1306_55
.LBB1306_53:                            ;   in Loop: Header=BB1306_55 Depth=1
	global_load_ushort v22, v[18:19], off
	global_load_ushort v23, v[16:17], off
	s_add_u32 s44, s44, 1
	s_addc_u32 s45, s45, 0
	s_andn2_b64 s[42:43], s[42:43], exec
	v_lshl_add_u64 v[16:17], v[16:17], 0, 2
	v_lshl_add_u64 v[18:19], v[18:19], 0, 2
	s_waitcnt vmcnt(0)
	v_cmp_neq_f16_e32 vcc, v22, v23
	s_and_b64 s[46:47], vcc, exec
	s_or_b64 s[42:43], s[42:43], s[46:47]
.LBB1306_54:                            ;   in Loop: Header=BB1306_55 Depth=1
	s_and_b64 s[46:47], exec, s[42:43]
	s_or_b64 s[40:41], s[46:47], s[40:41]
	v_mov_b64_e32 v[22:23], s[44:45]
	s_andn2_b64 exec, exec, s[40:41]
	s_cbranch_execz .LBB1306_57
.LBB1306_55:                            ; =>This Inner Loop Header: Depth=1
	s_or_b64 s[42:43], s[42:43], exec
	s_cmp_eq_u64 s[36:37], s[44:45]
	s_cbranch_scc0 .LBB1306_53
; %bb.56:                               ;   in Loop: Header=BB1306_55 Depth=1
                                        ; implicit-def: $vgpr16_vgpr17
                                        ; implicit-def: $vgpr18_vgpr19
	s_mov_b64 s[44:45], s[26:27]
	s_branch .LBB1306_54
.LBB1306_57:
	s_or_b64 exec, exec, s[40:41]
	v_cmp_gt_i64_e32 vcc, s[26:27], v[22:23]
	s_orn2_b64 s[36:37], vcc, exec
.LBB1306_58:
	s_or_b64 exec, exec, s[38:39]
.LBB1306_59:
	v_mul_lo_u32 v18, v13, s26
	v_mul_lo_u32 v19, v12, s27
	v_mad_u64_u32 v[16:17], s[38:39], v12, s26, 0
	v_add3_u32 v17, v17, v19, v18
	s_and_b64 vcc, exec, s[4:5]
	v_lshl_add_u64 v[18:19], v[16:17], 1, s[28:29]
	s_cbranch_vccnz .LBB1306_68
; %bb.60:
	global_load_ushort v16, v[18:19], off
	global_load_ushort v17, v[20:21], off
	s_mov_b64 s[18:19], -1
	s_waitcnt vmcnt(0)
	v_cmp_eq_f16_e32 vcc, v16, v17
	s_and_saveexec_b64 s[38:39], vcc
	s_cbranch_execz .LBB1306_67
; %bb.61:
	s_add_u32 s18, s26, -1
	v_lshl_add_u64 v[16:17], v[20:21], 0, 2
	v_lshl_add_u64 v[20:21], v[18:19], 0, 2
	s_addc_u32 s19, s27, -1
	s_mov_b64 s[40:41], 0
	s_mov_b64 s[44:45], 0
                                        ; implicit-def: $sgpr42_sgpr43
	s_branch .LBB1306_64
.LBB1306_62:                            ;   in Loop: Header=BB1306_64 Depth=1
	global_load_ushort v22, v[20:21], off
	global_load_ushort v23, v[16:17], off
	s_add_u32 s44, s44, 1
	s_addc_u32 s45, s45, 0
	s_andn2_b64 s[42:43], s[42:43], exec
	v_lshl_add_u64 v[16:17], v[16:17], 0, 2
	v_lshl_add_u64 v[20:21], v[20:21], 0, 2
	s_waitcnt vmcnt(0)
	v_cmp_neq_f16_e32 vcc, v22, v23
	s_and_b64 s[46:47], vcc, exec
	s_or_b64 s[42:43], s[42:43], s[46:47]
.LBB1306_63:                            ;   in Loop: Header=BB1306_64 Depth=1
	s_and_b64 s[46:47], exec, s[42:43]
	s_or_b64 s[40:41], s[46:47], s[40:41]
	v_mov_b64_e32 v[22:23], s[44:45]
	s_andn2_b64 exec, exec, s[40:41]
	s_cbranch_execz .LBB1306_66
.LBB1306_64:                            ; =>This Inner Loop Header: Depth=1
	s_or_b64 s[42:43], s[42:43], exec
	s_cmp_eq_u64 s[18:19], s[44:45]
	s_cbranch_scc0 .LBB1306_62
; %bb.65:                               ;   in Loop: Header=BB1306_64 Depth=1
                                        ; implicit-def: $vgpr16_vgpr17
                                        ; implicit-def: $vgpr20_vgpr21
	s_mov_b64 s[44:45], s[26:27]
	s_branch .LBB1306_63
.LBB1306_66:
	s_or_b64 exec, exec, s[40:41]
	v_cmp_gt_i64_e32 vcc, s[26:27], v[22:23]
	s_orn2_b64 s[18:19], vcc, exec
.LBB1306_67:
	s_or_b64 exec, exec, s[38:39]
.LBB1306_68:
	v_mul_lo_u32 v20, v11, s26
	v_mul_lo_u32 v21, v10, s27
	v_mad_u64_u32 v[16:17], s[38:39], v10, s26, 0
	v_add3_u32 v17, v17, v21, v20
	s_mov_b64 s[40:41], 0
	s_and_b64 vcc, exec, s[4:5]
	v_lshl_add_u64 v[16:17], v[16:17], 1, s[28:29]
	s_cbranch_vccnz .LBB1306_77
; %bb.69:
	global_load_ushort v20, v[16:17], off
	global_load_ushort v21, v[18:19], off
	s_mov_b64 s[40:41], -1
	s_waitcnt vmcnt(0)
	v_cmp_eq_f16_e32 vcc, v20, v21
	s_and_saveexec_b64 s[38:39], vcc
	s_cbranch_execz .LBB1306_76
; %bb.70:
	s_add_u32 s40, s26, -1
	v_lshl_add_u64 v[18:19], v[18:19], 0, 2
	v_lshl_add_u64 v[20:21], v[16:17], 0, 2
	s_addc_u32 s41, s27, -1
	s_mov_b64 s[42:43], 0
	s_mov_b64 s[46:47], 0
                                        ; implicit-def: $sgpr44_sgpr45
	s_branch .LBB1306_73
.LBB1306_71:                            ;   in Loop: Header=BB1306_73 Depth=1
	global_load_ushort v22, v[20:21], off
	global_load_ushort v23, v[18:19], off
	s_add_u32 s46, s46, 1
	s_addc_u32 s47, s47, 0
	s_andn2_b64 s[44:45], s[44:45], exec
	v_lshl_add_u64 v[18:19], v[18:19], 0, 2
	v_lshl_add_u64 v[20:21], v[20:21], 0, 2
	s_waitcnt vmcnt(0)
	v_cmp_neq_f16_e32 vcc, v22, v23
	s_and_b64 s[48:49], vcc, exec
	s_or_b64 s[44:45], s[44:45], s[48:49]
.LBB1306_72:                            ;   in Loop: Header=BB1306_73 Depth=1
	s_and_b64 s[48:49], exec, s[44:45]
	s_or_b64 s[42:43], s[48:49], s[42:43]
	v_mov_b64_e32 v[22:23], s[46:47]
	s_andn2_b64 exec, exec, s[42:43]
	s_cbranch_execz .LBB1306_75
.LBB1306_73:                            ; =>This Inner Loop Header: Depth=1
	s_or_b64 s[44:45], s[44:45], exec
	s_cmp_eq_u64 s[40:41], s[46:47]
	s_cbranch_scc0 .LBB1306_71
; %bb.74:                               ;   in Loop: Header=BB1306_73 Depth=1
                                        ; implicit-def: $vgpr18_vgpr19
                                        ; implicit-def: $vgpr20_vgpr21
	s_mov_b64 s[46:47], s[26:27]
	s_branch .LBB1306_72
.LBB1306_75:
	s_or_b64 exec, exec, s[42:43]
	v_cmp_gt_i64_e32 vcc, s[26:27], v[22:23]
	s_orn2_b64 s[40:41], vcc, exec
.LBB1306_76:
	s_or_b64 exec, exec, s[38:39]
.LBB1306_77:
	v_cmp_ne_u32_e32 vcc, 0, v0
	s_waitcnt lgkmcnt(0)
	v_mov_b64_e32 v[18:19], s[6:7]
	s_barrier
	s_and_saveexec_b64 s[38:39], vcc
	s_cbranch_execz .LBB1306_79
; %bb.78:
	v_add_u32_e32 v18, -8, v31
	ds_read_b64 v[18:19], v18
.LBB1306_79:
	s_or_b64 exec, exec, s[38:39]
	v_cndmask_b32_e64 v21, 0, 1, s[36:37]
	v_cndmask_b32_e64 v20, 0, 1, s[18:19]
	;; [unrolled: 1-line block ×3, first 2 shown]
	v_lshlrev_b16_e32 v21, 8, v21
	v_lshlrev_b16_e32 v22, 8, v22
	v_or_b32_sdwa v23, v20, v21 dst_sel:WORD_1 dst_unused:UNUSED_PAD src0_sel:DWORD src1_sel:DWORD
	s_mov_b64 s[36:37], 0
	s_and_b64 vcc, exec, s[4:5]
	s_mov_b64 s[18:19], 0
	s_cbranch_vccnz .LBB1306_88
; %bb.80:
	s_waitcnt lgkmcnt(0)
	v_mul_lo_u32 v20, v19, s26
	v_mul_lo_u32 v21, v18, s27
	v_mad_u64_u32 v[18:19], s[18:19], v18, s26, 0
	v_add3_u32 v19, v19, v21, v20
	v_lshl_add_u64 v[18:19], v[18:19], 1, s[28:29]
	global_load_ushort v20, v[18:19], off
	global_load_ushort v21, v[16:17], off
	s_mov_b64 s[18:19], -1
	s_waitcnt vmcnt(0)
	v_cmp_eq_f16_e32 vcc, v20, v21
	s_and_saveexec_b64 s[38:39], vcc
	s_cbranch_execz .LBB1306_87
; %bb.81:
	s_add_u32 s18, s26, -1
	v_lshl_add_u64 v[16:17], v[16:17], 0, 2
	v_lshl_add_u64 v[18:19], v[18:19], 0, 2
	s_addc_u32 s19, s27, -1
	s_mov_b64 s[40:41], 0
	s_mov_b64 s[44:45], 0
                                        ; implicit-def: $sgpr42_sgpr43
	s_branch .LBB1306_84
.LBB1306_82:                            ;   in Loop: Header=BB1306_84 Depth=1
	global_load_ushort v20, v[18:19], off
	global_load_ushort v21, v[16:17], off
	s_add_u32 s44, s44, 1
	s_addc_u32 s45, s45, 0
	s_andn2_b64 s[42:43], s[42:43], exec
	v_lshl_add_u64 v[16:17], v[16:17], 0, 2
	v_lshl_add_u64 v[18:19], v[18:19], 0, 2
	s_waitcnt vmcnt(0)
	v_cmp_neq_f16_e32 vcc, v20, v21
	s_and_b64 s[46:47], vcc, exec
	s_or_b64 s[42:43], s[42:43], s[46:47]
.LBB1306_83:                            ;   in Loop: Header=BB1306_84 Depth=1
	s_and_b64 s[46:47], exec, s[42:43]
	s_or_b64 s[40:41], s[46:47], s[40:41]
	v_mov_b64_e32 v[20:21], s[44:45]
	s_andn2_b64 exec, exec, s[40:41]
	s_cbranch_execz .LBB1306_86
.LBB1306_84:                            ; =>This Inner Loop Header: Depth=1
	s_or_b64 s[42:43], s[42:43], exec
	s_cmp_eq_u64 s[18:19], s[44:45]
	s_cbranch_scc0 .LBB1306_82
; %bb.85:                               ;   in Loop: Header=BB1306_84 Depth=1
                                        ; implicit-def: $vgpr16_vgpr17
                                        ; implicit-def: $vgpr18_vgpr19
	s_mov_b64 s[44:45], s[26:27]
	s_branch .LBB1306_83
.LBB1306_86:
	s_or_b64 exec, exec, s[40:41]
	v_cmp_gt_i64_e32 vcc, s[26:27], v[20:21]
	s_orn2_b64 s[18:19], vcc, exec
.LBB1306_87:
	s_or_b64 exec, exec, s[38:39]
.LBB1306_88:
	v_cndmask_b32_e64 v32, 0, 1, s[12:13]
	v_cndmask_b32_e64 v33, 0, 1, s[14:15]
	v_cndmask_b32_e64 v34, 0, 1, s[10:11]
	v_or_b32_e32 v20, v22, v23
	s_and_b64 vcc, exec, s[36:37]
	s_cbranch_vccz .LBB1306_169
.LBB1306_89:
	v_cmp_gt_u32_e32 vcc, s3, v27
	s_mov_b64 s[12:13], 0
	s_mov_b64 s[10:11], 0
	s_and_saveexec_b64 s[14:15], vcc
	s_cbranch_execz .LBB1306_100
; %bb.90:
	s_and_b64 vcc, exec, s[4:5]
	s_mov_b64 s[18:19], 0
	s_cbranch_vccnz .LBB1306_99
; %bb.91:
	s_waitcnt lgkmcnt(0)
	v_mul_lo_u32 v18, v5, s26
	v_mul_lo_u32 v19, v4, s27
	v_mad_u64_u32 v[16:17], s[10:11], v4, s26, 0
	v_add3_u32 v17, v17, v19, v18
	v_mul_lo_u32 v18, v15, s26
	v_mul_lo_u32 v19, v14, s27
	v_mad_u64_u32 v[20:21], s[10:11], v14, s26, 0
	v_add3_u32 v21, v21, v19, v18
	v_lshl_add_u64 v[18:19], v[16:17], 1, s[28:29]
	v_lshl_add_u64 v[16:17], v[20:21], 1, s[28:29]
	global_load_ushort v20, v[18:19], off
	global_load_ushort v21, v[16:17], off
	s_mov_b64 s[18:19], -1
	s_waitcnt vmcnt(0)
	v_cmp_eq_f16_e32 vcc, v20, v21
	s_and_saveexec_b64 s[10:11], vcc
	s_cbranch_execz .LBB1306_98
; %bb.92:
	s_add_u32 s18, s26, -1
	v_lshl_add_u64 v[16:17], v[16:17], 0, 2
	v_lshl_add_u64 v[18:19], v[18:19], 0, 2
	s_addc_u32 s19, s27, -1
	s_mov_b64 s[36:37], 0
	s_mov_b64 s[40:41], 0
                                        ; implicit-def: $sgpr38_sgpr39
	s_branch .LBB1306_95
.LBB1306_93:                            ;   in Loop: Header=BB1306_95 Depth=1
	global_load_ushort v20, v[18:19], off
	global_load_ushort v21, v[16:17], off
	s_add_u32 s40, s40, 1
	s_addc_u32 s41, s41, 0
	s_andn2_b64 s[38:39], s[38:39], exec
	v_lshl_add_u64 v[16:17], v[16:17], 0, 2
	v_lshl_add_u64 v[18:19], v[18:19], 0, 2
	s_waitcnt vmcnt(0)
	v_cmp_neq_f16_e32 vcc, v20, v21
	s_and_b64 s[42:43], vcc, exec
	s_or_b64 s[38:39], s[38:39], s[42:43]
.LBB1306_94:                            ;   in Loop: Header=BB1306_95 Depth=1
	s_and_b64 s[42:43], exec, s[38:39]
	s_or_b64 s[36:37], s[42:43], s[36:37]
	v_mov_b64_e32 v[20:21], s[40:41]
	s_andn2_b64 exec, exec, s[36:37]
	s_cbranch_execz .LBB1306_97
.LBB1306_95:                            ; =>This Inner Loop Header: Depth=1
	s_or_b64 s[38:39], s[38:39], exec
	s_cmp_eq_u64 s[18:19], s[40:41]
	s_cbranch_scc0 .LBB1306_93
; %bb.96:                               ;   in Loop: Header=BB1306_95 Depth=1
                                        ; implicit-def: $vgpr16_vgpr17
                                        ; implicit-def: $vgpr18_vgpr19
	s_mov_b64 s[40:41], s[26:27]
	s_branch .LBB1306_94
.LBB1306_97:
	s_or_b64 exec, exec, s[36:37]
	v_cmp_gt_i64_e32 vcc, s[26:27], v[20:21]
	s_orn2_b64 s[18:19], vcc, exec
.LBB1306_98:
	s_or_b64 exec, exec, s[10:11]
.LBB1306_99:
	s_and_b64 s[10:11], s[18:19], exec
.LBB1306_100:
	s_or_b64 exec, exec, s[14:15]
	v_cmp_gt_u32_e32 vcc, s3, v29
	s_and_saveexec_b64 s[14:15], vcc
	s_cbranch_execz .LBB1306_111
; %bb.101:
	s_and_b64 vcc, exec, s[4:5]
	s_mov_b64 s[18:19], 0
	s_cbranch_vccnz .LBB1306_110
; %bb.102:
	s_waitcnt lgkmcnt(0)
	v_mul_lo_u32 v18, v3, s26
	v_mul_lo_u32 v19, v2, s27
	v_mad_u64_u32 v[16:17], s[12:13], v2, s26, 0
	v_add3_u32 v17, v17, v19, v18
	v_mul_lo_u32 v18, v5, s26
	v_mul_lo_u32 v19, v4, s27
	v_mad_u64_u32 v[20:21], s[12:13], v4, s26, 0
	v_add3_u32 v21, v21, v19, v18
	v_lshl_add_u64 v[18:19], v[16:17], 1, s[28:29]
	v_lshl_add_u64 v[16:17], v[20:21], 1, s[28:29]
	global_load_ushort v20, v[18:19], off
	global_load_ushort v21, v[16:17], off
	s_mov_b64 s[18:19], -1
	s_waitcnt vmcnt(0)
	v_cmp_eq_f16_e32 vcc, v20, v21
	s_and_saveexec_b64 s[12:13], vcc
	s_cbranch_execz .LBB1306_109
; %bb.103:
	s_add_u32 s18, s26, -1
	v_lshl_add_u64 v[16:17], v[16:17], 0, 2
	v_lshl_add_u64 v[18:19], v[18:19], 0, 2
	s_addc_u32 s19, s27, -1
	s_mov_b64 s[36:37], 0
	s_mov_b64 s[40:41], 0
                                        ; implicit-def: $sgpr38_sgpr39
	s_branch .LBB1306_106
.LBB1306_104:                           ;   in Loop: Header=BB1306_106 Depth=1
	global_load_ushort v20, v[18:19], off
	global_load_ushort v21, v[16:17], off
	s_add_u32 s40, s40, 1
	s_addc_u32 s41, s41, 0
	s_andn2_b64 s[38:39], s[38:39], exec
	v_lshl_add_u64 v[16:17], v[16:17], 0, 2
	v_lshl_add_u64 v[18:19], v[18:19], 0, 2
	s_waitcnt vmcnt(0)
	v_cmp_neq_f16_e32 vcc, v20, v21
	s_and_b64 s[42:43], vcc, exec
	s_or_b64 s[38:39], s[38:39], s[42:43]
.LBB1306_105:                           ;   in Loop: Header=BB1306_106 Depth=1
	s_and_b64 s[42:43], exec, s[38:39]
	s_or_b64 s[36:37], s[42:43], s[36:37]
	v_mov_b64_e32 v[20:21], s[40:41]
	s_andn2_b64 exec, exec, s[36:37]
	s_cbranch_execz .LBB1306_108
.LBB1306_106:                           ; =>This Inner Loop Header: Depth=1
	s_or_b64 s[38:39], s[38:39], exec
	s_cmp_eq_u64 s[18:19], s[40:41]
	s_cbranch_scc0 .LBB1306_104
; %bb.107:                              ;   in Loop: Header=BB1306_106 Depth=1
                                        ; implicit-def: $vgpr16_vgpr17
                                        ; implicit-def: $vgpr18_vgpr19
	s_mov_b64 s[40:41], s[26:27]
	s_branch .LBB1306_105
.LBB1306_108:
	s_or_b64 exec, exec, s[36:37]
	v_cmp_gt_i64_e32 vcc, s[26:27], v[20:21]
	s_orn2_b64 s[18:19], vcc, exec
.LBB1306_109:
	s_or_b64 exec, exec, s[12:13]
.LBB1306_110:
	s_and_b64 s[12:13], s[18:19], exec
.LBB1306_111:
	s_or_b64 exec, exec, s[14:15]
	v_cmp_gt_u32_e32 vcc, s3, v26
	s_mov_b64 s[18:19], 0
	s_mov_b64 s[14:15], 0
	s_and_saveexec_b64 s[36:37], vcc
	s_cbranch_execz .LBB1306_122
; %bb.112:
	s_and_b64 vcc, exec, s[4:5]
	s_mov_b64 s[38:39], 0
	s_cbranch_vccnz .LBB1306_121
; %bb.113:
	s_waitcnt lgkmcnt(0)
	v_mul_lo_u32 v18, v9, s26
	v_mul_lo_u32 v19, v8, s27
	v_mad_u64_u32 v[16:17], s[14:15], v8, s26, 0
	v_add3_u32 v17, v17, v19, v18
	v_mul_lo_u32 v18, v3, s26
	v_mul_lo_u32 v19, v2, s27
	v_mad_u64_u32 v[20:21], s[14:15], v2, s26, 0
	v_add3_u32 v21, v21, v19, v18
	v_lshl_add_u64 v[18:19], v[16:17], 1, s[28:29]
	v_lshl_add_u64 v[16:17], v[20:21], 1, s[28:29]
	global_load_ushort v20, v[18:19], off
	global_load_ushort v21, v[16:17], off
	s_mov_b64 s[38:39], -1
	s_waitcnt vmcnt(0)
	v_cmp_eq_f16_e32 vcc, v20, v21
	s_and_saveexec_b64 s[14:15], vcc
	s_cbranch_execz .LBB1306_120
; %bb.114:
	s_add_u32 s38, s26, -1
	v_lshl_add_u64 v[16:17], v[16:17], 0, 2
	v_lshl_add_u64 v[18:19], v[18:19], 0, 2
	s_addc_u32 s39, s27, -1
	s_mov_b64 s[40:41], 0
	s_mov_b64 s[44:45], 0
                                        ; implicit-def: $sgpr42_sgpr43
	s_branch .LBB1306_117
.LBB1306_115:                           ;   in Loop: Header=BB1306_117 Depth=1
	global_load_ushort v20, v[18:19], off
	global_load_ushort v21, v[16:17], off
	s_add_u32 s44, s44, 1
	s_addc_u32 s45, s45, 0
	s_andn2_b64 s[42:43], s[42:43], exec
	v_lshl_add_u64 v[16:17], v[16:17], 0, 2
	v_lshl_add_u64 v[18:19], v[18:19], 0, 2
	s_waitcnt vmcnt(0)
	v_cmp_neq_f16_e32 vcc, v20, v21
	s_and_b64 s[46:47], vcc, exec
	s_or_b64 s[42:43], s[42:43], s[46:47]
.LBB1306_116:                           ;   in Loop: Header=BB1306_117 Depth=1
	s_and_b64 s[46:47], exec, s[42:43]
	s_or_b64 s[40:41], s[46:47], s[40:41]
	v_mov_b64_e32 v[20:21], s[44:45]
	s_andn2_b64 exec, exec, s[40:41]
	s_cbranch_execz .LBB1306_119
.LBB1306_117:                           ; =>This Inner Loop Header: Depth=1
	s_or_b64 s[42:43], s[42:43], exec
	s_cmp_eq_u64 s[38:39], s[44:45]
	s_cbranch_scc0 .LBB1306_115
; %bb.118:                              ;   in Loop: Header=BB1306_117 Depth=1
                                        ; implicit-def: $vgpr16_vgpr17
                                        ; implicit-def: $vgpr18_vgpr19
	s_mov_b64 s[44:45], s[26:27]
	s_branch .LBB1306_116
.LBB1306_119:
	s_or_b64 exec, exec, s[40:41]
	v_cmp_gt_i64_e32 vcc, s[26:27], v[20:21]
	s_orn2_b64 s[38:39], vcc, exec
.LBB1306_120:
	s_or_b64 exec, exec, s[14:15]
.LBB1306_121:
	s_and_b64 s[14:15], s[38:39], exec
.LBB1306_122:
	s_or_b64 exec, exec, s[36:37]
	v_cmp_gt_u32_e32 vcc, s3, v28
	s_and_saveexec_b64 s[36:37], vcc
	s_cbranch_execz .LBB1306_133
; %bb.123:
	s_and_b64 vcc, exec, s[4:5]
	s_mov_b64 s[38:39], 0
	s_cbranch_vccnz .LBB1306_132
; %bb.124:
	s_waitcnt lgkmcnt(0)
	v_mul_lo_u32 v18, v7, s26
	v_mul_lo_u32 v19, v6, s27
	v_mad_u64_u32 v[16:17], s[18:19], v6, s26, 0
	v_add3_u32 v17, v17, v19, v18
	v_mul_lo_u32 v18, v9, s26
	v_mul_lo_u32 v19, v8, s27
	v_mad_u64_u32 v[20:21], s[18:19], v8, s26, 0
	v_add3_u32 v21, v21, v19, v18
	v_lshl_add_u64 v[18:19], v[16:17], 1, s[28:29]
	v_lshl_add_u64 v[16:17], v[20:21], 1, s[28:29]
	global_load_ushort v20, v[18:19], off
	global_load_ushort v21, v[16:17], off
	s_mov_b64 s[38:39], -1
	s_waitcnt vmcnt(0)
	v_cmp_eq_f16_e32 vcc, v20, v21
	s_and_saveexec_b64 s[18:19], vcc
	s_cbranch_execz .LBB1306_131
; %bb.125:
	s_add_u32 s38, s26, -1
	v_lshl_add_u64 v[16:17], v[16:17], 0, 2
	v_lshl_add_u64 v[18:19], v[18:19], 0, 2
	s_addc_u32 s39, s27, -1
	s_mov_b64 s[40:41], 0
	s_mov_b64 s[44:45], 0
                                        ; implicit-def: $sgpr42_sgpr43
	s_branch .LBB1306_128
.LBB1306_126:                           ;   in Loop: Header=BB1306_128 Depth=1
	global_load_ushort v20, v[18:19], off
	global_load_ushort v21, v[16:17], off
	s_add_u32 s44, s44, 1
	s_addc_u32 s45, s45, 0
	s_andn2_b64 s[42:43], s[42:43], exec
	v_lshl_add_u64 v[16:17], v[16:17], 0, 2
	v_lshl_add_u64 v[18:19], v[18:19], 0, 2
	s_waitcnt vmcnt(0)
	v_cmp_neq_f16_e32 vcc, v20, v21
	s_and_b64 s[46:47], vcc, exec
	s_or_b64 s[42:43], s[42:43], s[46:47]
.LBB1306_127:                           ;   in Loop: Header=BB1306_128 Depth=1
	s_and_b64 s[46:47], exec, s[42:43]
	s_or_b64 s[40:41], s[46:47], s[40:41]
	v_mov_b64_e32 v[20:21], s[44:45]
	s_andn2_b64 exec, exec, s[40:41]
	s_cbranch_execz .LBB1306_130
.LBB1306_128:                           ; =>This Inner Loop Header: Depth=1
	s_or_b64 s[42:43], s[42:43], exec
	s_cmp_eq_u64 s[38:39], s[44:45]
	s_cbranch_scc0 .LBB1306_126
; %bb.129:                              ;   in Loop: Header=BB1306_128 Depth=1
                                        ; implicit-def: $vgpr16_vgpr17
                                        ; implicit-def: $vgpr18_vgpr19
	s_mov_b64 s[44:45], s[26:27]
	s_branch .LBB1306_127
.LBB1306_130:
	s_or_b64 exec, exec, s[40:41]
	v_cmp_gt_i64_e32 vcc, s[26:27], v[20:21]
	s_orn2_b64 s[38:39], vcc, exec
.LBB1306_131:
	s_or_b64 exec, exec, s[18:19]
.LBB1306_132:
	s_and_b64 s[18:19], s[38:39], exec
.LBB1306_133:
	s_or_b64 exec, exec, s[36:37]
	v_cmp_gt_u32_e32 vcc, s3, v24
	s_mov_b64 s[36:37], 0
	s_mov_b64 s[38:39], 0
	s_and_saveexec_b64 s[40:41], vcc
	s_cbranch_execz .LBB1306_144
; %bb.134:
	s_and_b64 vcc, exec, s[4:5]
	s_mov_b64 s[42:43], 0
	s_cbranch_vccnz .LBB1306_143
; %bb.135:
	s_waitcnt lgkmcnt(0)
	v_mul_lo_u32 v18, v13, s26
	v_mul_lo_u32 v19, v12, s27
	v_mad_u64_u32 v[16:17], s[38:39], v12, s26, 0
	v_add3_u32 v17, v17, v19, v18
	v_mul_lo_u32 v18, v7, s26
	v_mul_lo_u32 v19, v6, s27
	v_mad_u64_u32 v[20:21], s[38:39], v6, s26, 0
	v_add3_u32 v21, v21, v19, v18
	v_lshl_add_u64 v[18:19], v[16:17], 1, s[28:29]
	v_lshl_add_u64 v[16:17], v[20:21], 1, s[28:29]
	global_load_ushort v20, v[18:19], off
	global_load_ushort v21, v[16:17], off
	s_mov_b64 s[42:43], -1
	s_waitcnt vmcnt(0)
	v_cmp_eq_f16_e32 vcc, v20, v21
	s_and_saveexec_b64 s[38:39], vcc
	s_cbranch_execz .LBB1306_142
; %bb.136:
	s_add_u32 s42, s26, -1
	v_lshl_add_u64 v[16:17], v[16:17], 0, 2
	v_lshl_add_u64 v[18:19], v[18:19], 0, 2
	s_addc_u32 s43, s27, -1
	s_mov_b64 s[44:45], 0
	s_mov_b64 s[48:49], 0
                                        ; implicit-def: $sgpr46_sgpr47
	s_branch .LBB1306_139
.LBB1306_137:                           ;   in Loop: Header=BB1306_139 Depth=1
	global_load_ushort v20, v[18:19], off
	global_load_ushort v21, v[16:17], off
	s_add_u32 s48, s48, 1
	s_addc_u32 s49, s49, 0
	s_andn2_b64 s[46:47], s[46:47], exec
	v_lshl_add_u64 v[16:17], v[16:17], 0, 2
	v_lshl_add_u64 v[18:19], v[18:19], 0, 2
	s_waitcnt vmcnt(0)
	v_cmp_neq_f16_e32 vcc, v20, v21
	s_and_b64 s[50:51], vcc, exec
	s_or_b64 s[46:47], s[46:47], s[50:51]
.LBB1306_138:                           ;   in Loop: Header=BB1306_139 Depth=1
	s_and_b64 s[50:51], exec, s[46:47]
	s_or_b64 s[44:45], s[50:51], s[44:45]
	v_mov_b64_e32 v[20:21], s[48:49]
	s_andn2_b64 exec, exec, s[44:45]
	s_cbranch_execz .LBB1306_141
.LBB1306_139:                           ; =>This Inner Loop Header: Depth=1
	s_or_b64 s[46:47], s[46:47], exec
	s_cmp_eq_u64 s[42:43], s[48:49]
	s_cbranch_scc0 .LBB1306_137
; %bb.140:                              ;   in Loop: Header=BB1306_139 Depth=1
                                        ; implicit-def: $vgpr16_vgpr17
                                        ; implicit-def: $vgpr18_vgpr19
	s_mov_b64 s[48:49], s[26:27]
	s_branch .LBB1306_138
.LBB1306_141:
	s_or_b64 exec, exec, s[44:45]
	v_cmp_gt_i64_e32 vcc, s[26:27], v[20:21]
	s_orn2_b64 s[42:43], vcc, exec
.LBB1306_142:
	s_or_b64 exec, exec, s[38:39]
.LBB1306_143:
	s_and_b64 s[38:39], s[42:43], exec
.LBB1306_144:
	s_or_b64 exec, exec, s[40:41]
	v_cmp_gt_u32_e32 vcc, s3, v25
	s_and_saveexec_b64 s[40:41], vcc
	s_cbranch_execz .LBB1306_155
; %bb.145:
	s_and_b64 vcc, exec, s[4:5]
	s_mov_b64 s[42:43], 0
	s_cbranch_vccnz .LBB1306_154
; %bb.146:
	s_waitcnt lgkmcnt(0)
	v_mul_lo_u32 v18, v11, s26
	v_mul_lo_u32 v19, v10, s27
	v_mad_u64_u32 v[16:17], s[36:37], v10, s26, 0
	v_add3_u32 v17, v17, v19, v18
	v_mul_lo_u32 v18, v13, s26
	v_mul_lo_u32 v19, v12, s27
	v_mad_u64_u32 v[20:21], s[36:37], v12, s26, 0
	v_add3_u32 v21, v21, v19, v18
	v_lshl_add_u64 v[18:19], v[16:17], 1, s[28:29]
	v_lshl_add_u64 v[16:17], v[20:21], 1, s[28:29]
	global_load_ushort v20, v[18:19], off
	global_load_ushort v21, v[16:17], off
	s_mov_b64 s[42:43], -1
	s_waitcnt vmcnt(0)
	v_cmp_eq_f16_e32 vcc, v20, v21
	s_and_saveexec_b64 s[36:37], vcc
	s_cbranch_execz .LBB1306_153
; %bb.147:
	s_add_u32 s42, s26, -1
	v_lshl_add_u64 v[16:17], v[16:17], 0, 2
	v_lshl_add_u64 v[18:19], v[18:19], 0, 2
	s_addc_u32 s43, s27, -1
	s_mov_b64 s[44:45], 0
	s_mov_b64 s[48:49], 0
                                        ; implicit-def: $sgpr46_sgpr47
	s_branch .LBB1306_150
.LBB1306_148:                           ;   in Loop: Header=BB1306_150 Depth=1
	global_load_ushort v20, v[18:19], off
	global_load_ushort v21, v[16:17], off
	s_add_u32 s48, s48, 1
	s_addc_u32 s49, s49, 0
	s_andn2_b64 s[46:47], s[46:47], exec
	v_lshl_add_u64 v[16:17], v[16:17], 0, 2
	v_lshl_add_u64 v[18:19], v[18:19], 0, 2
	s_waitcnt vmcnt(0)
	v_cmp_neq_f16_e32 vcc, v20, v21
	s_and_b64 s[50:51], vcc, exec
	s_or_b64 s[46:47], s[46:47], s[50:51]
.LBB1306_149:                           ;   in Loop: Header=BB1306_150 Depth=1
	s_and_b64 s[50:51], exec, s[46:47]
	s_or_b64 s[44:45], s[50:51], s[44:45]
	v_mov_b64_e32 v[20:21], s[48:49]
	s_andn2_b64 exec, exec, s[44:45]
	s_cbranch_execz .LBB1306_152
.LBB1306_150:                           ; =>This Inner Loop Header: Depth=1
	s_or_b64 s[46:47], s[46:47], exec
	s_cmp_eq_u64 s[42:43], s[48:49]
	s_cbranch_scc0 .LBB1306_148
; %bb.151:                              ;   in Loop: Header=BB1306_150 Depth=1
                                        ; implicit-def: $vgpr16_vgpr17
                                        ; implicit-def: $vgpr18_vgpr19
	s_mov_b64 s[48:49], s[26:27]
	s_branch .LBB1306_149
.LBB1306_152:
	s_or_b64 exec, exec, s[44:45]
	v_cmp_gt_i64_e32 vcc, s[26:27], v[20:21]
	s_orn2_b64 s[42:43], vcc, exec
.LBB1306_153:
	s_or_b64 exec, exec, s[36:37]
.LBB1306_154:
	s_and_b64 s[36:37], s[42:43], exec
.LBB1306_155:
	s_or_b64 exec, exec, s[40:41]
	v_cmp_ne_u32_e32 vcc, 0, v0
	s_waitcnt lgkmcnt(0)
	v_mov_b64_e32 v[16:17], s[6:7]
	s_barrier
	s_and_saveexec_b64 s[6:7], vcc
	s_cbranch_execz .LBB1306_157
; %bb.156:
	v_add_u32_e32 v16, -8, v31
	ds_read_b64 v[16:17], v16
.LBB1306_157:
	s_or_b64 exec, exec, s[6:7]
	v_cndmask_b32_e64 v19, 0, 1, s[18:19]
	v_cndmask_b32_e64 v18, 0, 1, s[38:39]
	;; [unrolled: 1-line block ×3, first 2 shown]
	v_lshlrev_b16_e32 v19, 8, v19
	v_cmp_gt_u32_e32 vcc, s3, v1
	v_lshlrev_b16_e32 v22, 8, v20
	v_or_b32_sdwa v23, v18, v19 dst_sel:WORD_1 dst_unused:UNUSED_PAD src0_sel:DWORD src1_sel:DWORD
	s_mov_b64 s[18:19], 0
	s_and_saveexec_b64 s[6:7], vcc
	s_cbranch_execz .LBB1306_168
; %bb.158:
	s_and_b64 vcc, exec, s[4:5]
	s_cbranch_vccnz .LBB1306_167
; %bb.159:
	s_waitcnt lgkmcnt(0)
	v_mul_lo_u32 v18, v17, s26
	v_mul_lo_u32 v19, v16, s27
	v_mad_u64_u32 v[16:17], s[4:5], v16, s26, 0
	v_add3_u32 v17, v17, v19, v18
	v_mul_lo_u32 v18, v11, s26
	v_mul_lo_u32 v19, v10, s27
	v_mad_u64_u32 v[20:21], s[4:5], v10, s26, 0
	v_add3_u32 v21, v21, v19, v18
	v_lshl_add_u64 v[18:19], v[16:17], 1, s[28:29]
	v_lshl_add_u64 v[16:17], v[20:21], 1, s[28:29]
	global_load_ushort v20, v[18:19], off
	global_load_ushort v21, v[16:17], off
	s_mov_b64 s[18:19], -1
	s_waitcnt vmcnt(0)
	v_cmp_eq_f16_e32 vcc, v20, v21
	s_and_saveexec_b64 s[4:5], vcc
	s_cbranch_execz .LBB1306_166
; %bb.160:
	s_add_u32 s18, s26, -1
	v_lshl_add_u64 v[16:17], v[16:17], 0, 2
	v_lshl_add_u64 v[18:19], v[18:19], 0, 2
	s_addc_u32 s19, s27, -1
	s_mov_b64 s[36:37], 0
	s_mov_b64 s[40:41], 0
                                        ; implicit-def: $sgpr38_sgpr39
	s_branch .LBB1306_163
.LBB1306_161:                           ;   in Loop: Header=BB1306_163 Depth=1
	global_load_ushort v20, v[18:19], off
	global_load_ushort v21, v[16:17], off
	s_add_u32 s40, s40, 1
	s_addc_u32 s41, s41, 0
	s_andn2_b64 s[38:39], s[38:39], exec
	v_lshl_add_u64 v[16:17], v[16:17], 0, 2
	v_lshl_add_u64 v[18:19], v[18:19], 0, 2
	s_waitcnt vmcnt(0)
	v_cmp_neq_f16_e32 vcc, v20, v21
	s_and_b64 s[42:43], vcc, exec
	s_or_b64 s[38:39], s[38:39], s[42:43]
.LBB1306_162:                           ;   in Loop: Header=BB1306_163 Depth=1
	s_and_b64 s[42:43], exec, s[38:39]
	s_or_b64 s[36:37], s[42:43], s[36:37]
	v_mov_b64_e32 v[20:21], s[40:41]
	s_andn2_b64 exec, exec, s[36:37]
	s_cbranch_execz .LBB1306_165
.LBB1306_163:                           ; =>This Inner Loop Header: Depth=1
	s_or_b64 s[38:39], s[38:39], exec
	s_cmp_eq_u64 s[18:19], s[40:41]
	s_cbranch_scc0 .LBB1306_161
; %bb.164:                              ;   in Loop: Header=BB1306_163 Depth=1
                                        ; implicit-def: $vgpr16_vgpr17
                                        ; implicit-def: $vgpr18_vgpr19
	s_mov_b64 s[40:41], s[26:27]
	s_branch .LBB1306_162
.LBB1306_165:
	s_or_b64 exec, exec, s[36:37]
	v_cmp_gt_i64_e32 vcc, s[26:27], v[20:21]
	s_orn2_b64 s[18:19], vcc, exec
.LBB1306_166:
	s_or_b64 exec, exec, s[4:5]
.LBB1306_167:
	s_and_b64 s[18:19], s[18:19], exec
.LBB1306_168:
	s_or_b64 exec, exec, s[6:7]
	v_cndmask_b32_e64 v32, 0, 1, s[14:15]
	v_cndmask_b32_e64 v33, 0, 1, s[12:13]
	;; [unrolled: 1-line block ×3, first 2 shown]
	v_or_b32_e32 v20, v22, v23
.LBB1306_169:
	s_mov_b64 s[10:11], -1
	s_cbranch_execnz .LBB1306_28
.LBB1306_170:
	s_movk_i32 s4, 0xffd0
	v_mad_i32_i24 v30, v0, s4, v30
	s_mov_b64 s[12:13], 0
	s_waitcnt lgkmcnt(0)
	v_cmp_gt_i64_e64 s[6:7], s[26:27], 0
	s_and_b64 vcc, exec, s[34:35]
	ds_write_b64 v30, v[14:15]
	s_cbranch_vccz .LBB1306_178
; %bb.171:
	v_mul_lo_u32 v18, v5, s26
	v_mul_lo_u32 v19, v4, s27
	v_mad_u64_u32 v[16:17], s[4:5], v4, s26, 0
	v_add3_u32 v17, v17, v19, v18
	v_cndmask_b32_e64 v18, 0, 1, s[6:7]
	v_cmp_ne_u32_e64 s[4:5], 1, v18
	s_andn2_b64 vcc, exec, s[6:7]
	v_lshl_add_u64 v[16:17], v[16:17], 1, s[28:29]
	s_cbranch_vccnz .LBB1306_181
; %bb.172:
	v_mul_lo_u32 v20, v15, s26
	v_mul_lo_u32 v21, v14, s27
	v_mad_u64_u32 v[18:19], s[12:13], v14, s26, 0
	v_add3_u32 v19, v19, v21, v20
	v_lshl_add_u64 v[18:19], v[18:19], 1, s[28:29]
	global_load_ushort v20, v[16:17], off
	global_load_ushort v21, v[18:19], off
	s_mov_b64 s[12:13], -1
	s_waitcnt vmcnt(0)
	v_cmp_eq_f16_e32 vcc, v20, v21
	s_and_saveexec_b64 s[14:15], vcc
	s_cbranch_execz .LBB1306_180
; %bb.173:
	s_add_u32 s12, s26, -1
	v_lshl_add_u64 v[18:19], v[18:19], 0, 2
	v_lshl_add_u64 v[20:21], v[16:17], 0, 2
	s_addc_u32 s13, s27, -1
	s_mov_b64 s[18:19], 0
	s_mov_b64 s[38:39], 0
                                        ; implicit-def: $sgpr36_sgpr37
	s_branch .LBB1306_176
.LBB1306_174:                           ;   in Loop: Header=BB1306_176 Depth=1
	global_load_ushort v22, v[20:21], off
	global_load_ushort v23, v[18:19], off
	s_add_u32 s38, s38, 1
	s_addc_u32 s39, s39, 0
	s_andn2_b64 s[36:37], s[36:37], exec
	v_lshl_add_u64 v[18:19], v[18:19], 0, 2
	v_lshl_add_u64 v[20:21], v[20:21], 0, 2
	s_waitcnt vmcnt(0)
	v_cmp_neq_f16_e32 vcc, v22, v23
	s_and_b64 s[40:41], vcc, exec
	s_or_b64 s[36:37], s[36:37], s[40:41]
.LBB1306_175:                           ;   in Loop: Header=BB1306_176 Depth=1
	s_and_b64 s[40:41], exec, s[36:37]
	s_or_b64 s[18:19], s[40:41], s[18:19]
	v_mov_b64_e32 v[22:23], s[38:39]
	s_andn2_b64 exec, exec, s[18:19]
	s_cbranch_execz .LBB1306_179
.LBB1306_176:                           ; =>This Inner Loop Header: Depth=1
	s_or_b64 s[36:37], s[36:37], exec
	s_cmp_eq_u64 s[12:13], s[38:39]
	s_cbranch_scc0 .LBB1306_174
; %bb.177:                              ;   in Loop: Header=BB1306_176 Depth=1
                                        ; implicit-def: $vgpr18_vgpr19
                                        ; implicit-def: $vgpr20_vgpr21
	s_mov_b64 s[38:39], s[26:27]
	s_branch .LBB1306_175
.LBB1306_178:
                                        ; implicit-def: $sgpr18_sgpr19
                                        ; implicit-def: $vgpr34
                                        ; implicit-def: $vgpr33
                                        ; implicit-def: $vgpr32
                                        ; implicit-def: $vgpr20
                                        ; implicit-def: $vgpr16_vgpr17
	s_cbranch_execnz .LBB1306_238
	s_branch .LBB1306_318
.LBB1306_179:
	s_or_b64 exec, exec, s[18:19]
	v_cmp_gt_i64_e32 vcc, s[26:27], v[22:23]
	s_orn2_b64 s[12:13], vcc, exec
.LBB1306_180:
	s_or_b64 exec, exec, s[14:15]
.LBB1306_181:
	v_mul_lo_u32 v20, v3, s26
	v_mul_lo_u32 v21, v2, s27
	v_mad_u64_u32 v[18:19], s[14:15], v2, s26, 0
	v_add3_u32 v19, v19, v21, v20
	s_mov_b64 s[14:15], 0
	s_and_b64 vcc, exec, s[4:5]
	v_lshl_add_u64 v[18:19], v[18:19], 1, s[28:29]
	s_mov_b64 s[18:19], 0
	s_cbranch_vccnz .LBB1306_190
; %bb.182:
	global_load_ushort v20, v[18:19], off
	global_load_ushort v21, v[16:17], off
	s_mov_b64 s[18:19], -1
	s_waitcnt vmcnt(0)
	v_cmp_eq_f16_e32 vcc, v20, v21
	s_and_saveexec_b64 s[36:37], vcc
	s_cbranch_execz .LBB1306_189
; %bb.183:
	s_add_u32 s18, s26, -1
	v_lshl_add_u64 v[16:17], v[16:17], 0, 2
	v_lshl_add_u64 v[20:21], v[18:19], 0, 2
	s_addc_u32 s19, s27, -1
	s_mov_b64 s[38:39], 0
	s_mov_b64 s[42:43], 0
                                        ; implicit-def: $sgpr40_sgpr41
	s_branch .LBB1306_186
.LBB1306_184:                           ;   in Loop: Header=BB1306_186 Depth=1
	global_load_ushort v22, v[20:21], off
	global_load_ushort v23, v[16:17], off
	s_add_u32 s42, s42, 1
	s_addc_u32 s43, s43, 0
	s_andn2_b64 s[40:41], s[40:41], exec
	v_lshl_add_u64 v[16:17], v[16:17], 0, 2
	v_lshl_add_u64 v[20:21], v[20:21], 0, 2
	s_waitcnt vmcnt(0)
	v_cmp_neq_f16_e32 vcc, v22, v23
	s_and_b64 s[44:45], vcc, exec
	s_or_b64 s[40:41], s[40:41], s[44:45]
.LBB1306_185:                           ;   in Loop: Header=BB1306_186 Depth=1
	s_and_b64 s[44:45], exec, s[40:41]
	s_or_b64 s[38:39], s[44:45], s[38:39]
	v_mov_b64_e32 v[22:23], s[42:43]
	s_andn2_b64 exec, exec, s[38:39]
	s_cbranch_execz .LBB1306_188
.LBB1306_186:                           ; =>This Inner Loop Header: Depth=1
	s_or_b64 s[40:41], s[40:41], exec
	s_cmp_eq_u64 s[18:19], s[42:43]
	s_cbranch_scc0 .LBB1306_184
; %bb.187:                              ;   in Loop: Header=BB1306_186 Depth=1
                                        ; implicit-def: $vgpr16_vgpr17
                                        ; implicit-def: $vgpr20_vgpr21
	s_mov_b64 s[42:43], s[26:27]
	s_branch .LBB1306_185
.LBB1306_188:
	s_or_b64 exec, exec, s[38:39]
	v_cmp_gt_i64_e32 vcc, s[26:27], v[22:23]
	s_orn2_b64 s[18:19], vcc, exec
.LBB1306_189:
	s_or_b64 exec, exec, s[36:37]
.LBB1306_190:
	v_mul_lo_u32 v20, v9, s26
	v_mul_lo_u32 v21, v8, s27
	v_mad_u64_u32 v[16:17], s[36:37], v8, s26, 0
	v_add3_u32 v17, v17, v21, v20
	s_and_b64 vcc, exec, s[4:5]
	v_lshl_add_u64 v[16:17], v[16:17], 1, s[28:29]
	s_cbranch_vccnz .LBB1306_199
; %bb.191:
	global_load_ushort v20, v[16:17], off
	global_load_ushort v21, v[18:19], off
	s_mov_b64 s[14:15], -1
	s_waitcnt vmcnt(0)
	v_cmp_eq_f16_e32 vcc, v20, v21
	s_and_saveexec_b64 s[36:37], vcc
	s_cbranch_execz .LBB1306_198
; %bb.192:
	s_add_u32 s14, s26, -1
	v_lshl_add_u64 v[18:19], v[18:19], 0, 2
	v_lshl_add_u64 v[20:21], v[16:17], 0, 2
	s_addc_u32 s15, s27, -1
	s_mov_b64 s[38:39], 0
	s_mov_b64 s[42:43], 0
                                        ; implicit-def: $sgpr40_sgpr41
	s_branch .LBB1306_195
.LBB1306_193:                           ;   in Loop: Header=BB1306_195 Depth=1
	global_load_ushort v22, v[20:21], off
	global_load_ushort v23, v[18:19], off
	s_add_u32 s42, s42, 1
	s_addc_u32 s43, s43, 0
	s_andn2_b64 s[40:41], s[40:41], exec
	v_lshl_add_u64 v[18:19], v[18:19], 0, 2
	v_lshl_add_u64 v[20:21], v[20:21], 0, 2
	s_waitcnt vmcnt(0)
	v_cmp_neq_f16_e32 vcc, v22, v23
	s_and_b64 s[44:45], vcc, exec
	s_or_b64 s[40:41], s[40:41], s[44:45]
.LBB1306_194:                           ;   in Loop: Header=BB1306_195 Depth=1
	s_and_b64 s[44:45], exec, s[40:41]
	s_or_b64 s[38:39], s[44:45], s[38:39]
	v_mov_b64_e32 v[22:23], s[42:43]
	s_andn2_b64 exec, exec, s[38:39]
	s_cbranch_execz .LBB1306_197
.LBB1306_195:                           ; =>This Inner Loop Header: Depth=1
	s_or_b64 s[40:41], s[40:41], exec
	s_cmp_eq_u64 s[14:15], s[42:43]
	s_cbranch_scc0 .LBB1306_193
; %bb.196:                              ;   in Loop: Header=BB1306_195 Depth=1
                                        ; implicit-def: $vgpr18_vgpr19
                                        ; implicit-def: $vgpr20_vgpr21
	s_mov_b64 s[42:43], s[26:27]
	s_branch .LBB1306_194
.LBB1306_197:
	s_or_b64 exec, exec, s[38:39]
	v_cmp_gt_i64_e32 vcc, s[26:27], v[22:23]
	s_orn2_b64 s[14:15], vcc, exec
.LBB1306_198:
	s_or_b64 exec, exec, s[36:37]
.LBB1306_199:
	v_mul_lo_u32 v20, v7, s26
	v_mul_lo_u32 v21, v6, s27
	v_mad_u64_u32 v[18:19], s[36:37], v6, s26, 0
	v_add3_u32 v19, v19, v21, v20
	s_mov_b64 s[36:37], 0
	s_and_b64 vcc, exec, s[4:5]
	v_lshl_add_u64 v[18:19], v[18:19], 1, s[28:29]
	s_mov_b64 s[38:39], 0
	s_cbranch_vccnz .LBB1306_208
; %bb.200:
	global_load_ushort v20, v[18:19], off
	global_load_ushort v21, v[16:17], off
	s_mov_b64 s[38:39], -1
	s_waitcnt vmcnt(0)
	v_cmp_eq_f16_e32 vcc, v20, v21
	s_and_saveexec_b64 s[40:41], vcc
	s_cbranch_execz .LBB1306_207
; %bb.201:
	s_add_u32 s38, s26, -1
	v_lshl_add_u64 v[16:17], v[16:17], 0, 2
	v_lshl_add_u64 v[20:21], v[18:19], 0, 2
	s_addc_u32 s39, s27, -1
	s_mov_b64 s[42:43], 0
	s_mov_b64 s[46:47], 0
                                        ; implicit-def: $sgpr44_sgpr45
	s_branch .LBB1306_204
.LBB1306_202:                           ;   in Loop: Header=BB1306_204 Depth=1
	global_load_ushort v22, v[20:21], off
	global_load_ushort v23, v[16:17], off
	s_add_u32 s46, s46, 1
	s_addc_u32 s47, s47, 0
	s_andn2_b64 s[44:45], s[44:45], exec
	v_lshl_add_u64 v[16:17], v[16:17], 0, 2
	v_lshl_add_u64 v[20:21], v[20:21], 0, 2
	s_waitcnt vmcnt(0)
	v_cmp_neq_f16_e32 vcc, v22, v23
	s_and_b64 s[48:49], vcc, exec
	s_or_b64 s[44:45], s[44:45], s[48:49]
.LBB1306_203:                           ;   in Loop: Header=BB1306_204 Depth=1
	s_and_b64 s[48:49], exec, s[44:45]
	s_or_b64 s[42:43], s[48:49], s[42:43]
	v_mov_b64_e32 v[22:23], s[46:47]
	s_andn2_b64 exec, exec, s[42:43]
	s_cbranch_execz .LBB1306_206
.LBB1306_204:                           ; =>This Inner Loop Header: Depth=1
	s_or_b64 s[44:45], s[44:45], exec
	s_cmp_eq_u64 s[38:39], s[46:47]
	s_cbranch_scc0 .LBB1306_202
; %bb.205:                              ;   in Loop: Header=BB1306_204 Depth=1
                                        ; implicit-def: $vgpr16_vgpr17
                                        ; implicit-def: $vgpr20_vgpr21
	s_mov_b64 s[46:47], s[26:27]
	s_branch .LBB1306_203
.LBB1306_206:
	s_or_b64 exec, exec, s[42:43]
	v_cmp_gt_i64_e32 vcc, s[26:27], v[22:23]
	s_orn2_b64 s[38:39], vcc, exec
.LBB1306_207:
	s_or_b64 exec, exec, s[40:41]
.LBB1306_208:
	v_mul_lo_u32 v20, v13, s26
	v_mul_lo_u32 v21, v12, s27
	v_mad_u64_u32 v[16:17], s[40:41], v12, s26, 0
	v_add3_u32 v17, v17, v21, v20
	s_and_b64 vcc, exec, s[4:5]
	v_lshl_add_u64 v[16:17], v[16:17], 1, s[28:29]
	s_cbranch_vccnz .LBB1306_217
; %bb.209:
	global_load_ushort v20, v[16:17], off
	global_load_ushort v21, v[18:19], off
	s_mov_b64 s[36:37], -1
	s_waitcnt vmcnt(0)
	v_cmp_eq_f16_e32 vcc, v20, v21
	s_and_saveexec_b64 s[40:41], vcc
	s_cbranch_execz .LBB1306_216
; %bb.210:
	s_add_u32 s36, s26, -1
	v_lshl_add_u64 v[18:19], v[18:19], 0, 2
	v_lshl_add_u64 v[20:21], v[16:17], 0, 2
	s_addc_u32 s37, s27, -1
	s_mov_b64 s[42:43], 0
	s_mov_b64 s[46:47], 0
                                        ; implicit-def: $sgpr44_sgpr45
	s_branch .LBB1306_213
.LBB1306_211:                           ;   in Loop: Header=BB1306_213 Depth=1
	global_load_ushort v22, v[20:21], off
	global_load_ushort v23, v[18:19], off
	s_add_u32 s46, s46, 1
	s_addc_u32 s47, s47, 0
	s_andn2_b64 s[44:45], s[44:45], exec
	v_lshl_add_u64 v[18:19], v[18:19], 0, 2
	v_lshl_add_u64 v[20:21], v[20:21], 0, 2
	s_waitcnt vmcnt(0)
	v_cmp_neq_f16_e32 vcc, v22, v23
	s_and_b64 s[48:49], vcc, exec
	s_or_b64 s[44:45], s[44:45], s[48:49]
.LBB1306_212:                           ;   in Loop: Header=BB1306_213 Depth=1
	s_and_b64 s[48:49], exec, s[44:45]
	s_or_b64 s[42:43], s[48:49], s[42:43]
	v_mov_b64_e32 v[22:23], s[46:47]
	s_andn2_b64 exec, exec, s[42:43]
	s_cbranch_execz .LBB1306_215
.LBB1306_213:                           ; =>This Inner Loop Header: Depth=1
	s_or_b64 s[44:45], s[44:45], exec
	s_cmp_eq_u64 s[36:37], s[46:47]
	s_cbranch_scc0 .LBB1306_211
; %bb.214:                              ;   in Loop: Header=BB1306_213 Depth=1
                                        ; implicit-def: $vgpr18_vgpr19
                                        ; implicit-def: $vgpr20_vgpr21
	s_mov_b64 s[46:47], s[26:27]
	s_branch .LBB1306_212
.LBB1306_215:
	s_or_b64 exec, exec, s[42:43]
	v_cmp_gt_i64_e32 vcc, s[26:27], v[22:23]
	s_orn2_b64 s[36:37], vcc, exec
.LBB1306_216:
	s_or_b64 exec, exec, s[40:41]
.LBB1306_217:
	v_mul_lo_u32 v20, v11, s26
	v_mul_lo_u32 v21, v10, s27
	v_mad_u64_u32 v[18:19], s[40:41], v10, s26, 0
	v_add3_u32 v19, v19, v21, v20
	s_and_b64 vcc, exec, s[4:5]
	s_mov_b64 s[42:43], 0
	s_cbranch_vccnz .LBB1306_226
; %bb.218:
	v_lshl_add_u64 v[20:21], v[18:19], 1, s[28:29]
	global_load_ushort v22, v[20:21], off
	global_load_ushort v23, v[16:17], off
	s_mov_b64 s[42:43], -1
	s_waitcnt vmcnt(0)
	v_cmp_eq_f16_e32 vcc, v22, v23
	s_and_saveexec_b64 s[40:41], vcc
	s_cbranch_execz .LBB1306_225
; %bb.219:
	s_add_u32 s42, s26, -1
	v_lshl_add_u64 v[16:17], v[16:17], 0, 2
	v_lshl_add_u64 v[20:21], v[20:21], 0, 2
	s_addc_u32 s43, s27, -1
	s_mov_b64 s[44:45], 0
	s_mov_b64 s[48:49], 0
                                        ; implicit-def: $sgpr46_sgpr47
	s_branch .LBB1306_222
.LBB1306_220:                           ;   in Loop: Header=BB1306_222 Depth=1
	global_load_ushort v22, v[20:21], off
	global_load_ushort v23, v[16:17], off
	s_add_u32 s48, s48, 1
	s_addc_u32 s49, s49, 0
	s_andn2_b64 s[46:47], s[46:47], exec
	v_lshl_add_u64 v[16:17], v[16:17], 0, 2
	v_lshl_add_u64 v[20:21], v[20:21], 0, 2
	s_waitcnt vmcnt(0)
	v_cmp_neq_f16_e32 vcc, v22, v23
	s_and_b64 s[50:51], vcc, exec
	s_or_b64 s[46:47], s[46:47], s[50:51]
.LBB1306_221:                           ;   in Loop: Header=BB1306_222 Depth=1
	s_and_b64 s[50:51], exec, s[46:47]
	s_or_b64 s[44:45], s[50:51], s[44:45]
	v_mov_b64_e32 v[22:23], s[48:49]
	s_andn2_b64 exec, exec, s[44:45]
	s_cbranch_execz .LBB1306_224
.LBB1306_222:                           ; =>This Inner Loop Header: Depth=1
	s_or_b64 s[46:47], s[46:47], exec
	s_cmp_eq_u64 s[42:43], s[48:49]
	s_cbranch_scc0 .LBB1306_220
; %bb.223:                              ;   in Loop: Header=BB1306_222 Depth=1
                                        ; implicit-def: $vgpr16_vgpr17
                                        ; implicit-def: $vgpr20_vgpr21
	s_mov_b64 s[48:49], s[26:27]
	s_branch .LBB1306_221
.LBB1306_224:
	s_or_b64 exec, exec, s[44:45]
	v_cmp_gt_i64_e32 vcc, s[26:27], v[22:23]
	s_orn2_b64 s[42:43], vcc, exec
.LBB1306_225:
	s_or_b64 exec, exec, s[40:41]
.LBB1306_226:
	v_cndmask_b32_e64 v17, 0, 1, s[38:39]
	v_cndmask_b32_e64 v16, 0, 1, s[36:37]
	;; [unrolled: 1-line block ×3, first 2 shown]
	v_lshlrev_b16_e32 v17, 8, v17
	v_cndmask_b32_e64 v32, 0, 1, s[14:15]
	v_cndmask_b32_e64 v20, 0, 1, s[42:43]
	v_or_b32_sdwa v16, v16, v17 dst_sel:WORD_1 dst_unused:UNUSED_PAD src0_sel:DWORD src1_sel:DWORD
	v_lshlrev_b16_e32 v17, 8, v33
	v_lshlrev_b16_e32 v20, 8, v20
	v_or_b32_e32 v17, v32, v17
	v_or_b32_e32 v20, 1, v20
	v_and_b32_e32 v17, 0xffff, v17
	v_cndmask_b32_e64 v34, 0, 1, s[12:13]
	v_or_b32_sdwa v16, v20, v16 dst_sel:DWORD dst_unused:UNUSED_PAD src0_sel:WORD_0 src1_sel:DWORD
	v_lshl_or_b32 v17, v34, 16, v17
	v_cmp_ne_u32_e32 vcc, 0, v0
	s_waitcnt lgkmcnt(0)
	s_barrier
	s_waitcnt lgkmcnt(0)
                                        ; implicit-def: $sgpr18_sgpr19
                                        ; implicit-def: $vgpr20
	s_and_saveexec_b64 s[12:13], vcc
	s_xor_b64 s[12:13], exec, s[12:13]
	s_cbranch_execz .LBB1306_237
; %bb.227:
	s_mov_b32 s33, 0x3020104
	s_and_b64 vcc, exec, s[4:5]
	s_mov_b64 s[14:15], 0
	s_cbranch_vccnz .LBB1306_236
; %bb.228:
	v_add_u32_e32 v17, -8, v30
	ds_read_b64 v[20:21], v17
	v_lshl_add_u64 v[18:19], v[18:19], 1, s[28:29]
	s_mov_b64 s[14:15], -1
	s_waitcnt lgkmcnt(0)
	v_mul_lo_u32 v17, v21, s26
	v_mul_lo_u32 v22, v20, s27
	v_mad_u64_u32 v[20:21], s[4:5], v20, s26, 0
	v_add3_u32 v21, v21, v22, v17
	v_lshl_add_u64 v[20:21], v[20:21], 1, s[28:29]
	global_load_ushort v17, v[20:21], off
	global_load_ushort v22, v[18:19], off
	s_waitcnt vmcnt(0)
	v_cmp_eq_f16_e32 vcc, v17, v22
	s_and_saveexec_b64 s[4:5], vcc
	s_cbranch_execz .LBB1306_235
; %bb.229:
	s_add_u32 s14, s26, -1
	v_lshl_add_u64 v[18:19], v[18:19], 0, 2
	v_lshl_add_u64 v[20:21], v[20:21], 0, 2
	s_addc_u32 s15, s27, -1
	s_mov_b64 s[18:19], 0
	s_mov_b64 s[38:39], 0
                                        ; implicit-def: $sgpr36_sgpr37
	s_branch .LBB1306_232
.LBB1306_230:                           ;   in Loop: Header=BB1306_232 Depth=1
	global_load_ushort v17, v[20:21], off
	global_load_ushort v22, v[18:19], off
	s_add_u32 s38, s38, 1
	s_addc_u32 s39, s39, 0
	s_andn2_b64 s[36:37], s[36:37], exec
	v_lshl_add_u64 v[18:19], v[18:19], 0, 2
	v_lshl_add_u64 v[20:21], v[20:21], 0, 2
	s_waitcnt vmcnt(0)
	v_cmp_neq_f16_e32 vcc, v17, v22
	s_and_b64 s[40:41], vcc, exec
	s_or_b64 s[36:37], s[36:37], s[40:41]
.LBB1306_231:                           ;   in Loop: Header=BB1306_232 Depth=1
	s_and_b64 s[40:41], exec, s[36:37]
	s_or_b64 s[18:19], s[40:41], s[18:19]
	v_mov_b64_e32 v[22:23], s[38:39]
	s_andn2_b64 exec, exec, s[18:19]
	s_cbranch_execz .LBB1306_234
.LBB1306_232:                           ; =>This Inner Loop Header: Depth=1
	s_or_b64 s[36:37], s[36:37], exec
	s_cmp_eq_u64 s[14:15], s[38:39]
	s_cbranch_scc0 .LBB1306_230
; %bb.233:                              ;   in Loop: Header=BB1306_232 Depth=1
                                        ; implicit-def: $vgpr18_vgpr19
                                        ; implicit-def: $vgpr20_vgpr21
	s_mov_b64 s[38:39], s[26:27]
	s_branch .LBB1306_231
.LBB1306_234:
	s_or_b64 exec, exec, s[18:19]
	v_cmp_gt_i64_e32 vcc, s[26:27], v[22:23]
	s_orn2_b64 s[14:15], vcc, exec
.LBB1306_235:
	s_or_b64 exec, exec, s[4:5]
.LBB1306_236:
	v_perm_b32 v20, v16, v16, s33
	s_and_b64 s[18:19], s[14:15], exec
	s_or_b64 s[10:11], s[10:11], exec
                                        ; implicit-def: $vgpr16_vgpr17
.LBB1306_237:
	s_or_b64 exec, exec, s[12:13]
	s_branch .LBB1306_318
.LBB1306_238:
	v_cmp_gt_u32_e32 vcc, s3, v27
	s_mov_b64 s[12:13], 0
	s_mov_b64 s[4:5], 0
	s_and_saveexec_b64 s[14:15], vcc
	s_cbranch_execz .LBB1306_249
; %bb.239:
	s_andn2_b64 vcc, exec, s[6:7]
	s_mov_b64 s[18:19], 0
	s_cbranch_vccnz .LBB1306_248
; %bb.240:
	v_mul_lo_u32 v18, v5, s26
	v_mul_lo_u32 v19, v4, s27
	v_mad_u64_u32 v[16:17], s[4:5], v4, s26, 0
	v_add3_u32 v17, v17, v19, v18
	v_mul_lo_u32 v18, v15, s26
	v_mul_lo_u32 v19, v14, s27
	v_mad_u64_u32 v[20:21], s[4:5], v14, s26, 0
	v_add3_u32 v21, v21, v19, v18
	v_lshl_add_u64 v[18:19], v[16:17], 1, s[28:29]
	v_lshl_add_u64 v[16:17], v[20:21], 1, s[28:29]
	global_load_ushort v20, v[18:19], off
	global_load_ushort v21, v[16:17], off
	s_mov_b64 s[18:19], -1
	s_waitcnt vmcnt(0)
	v_cmp_eq_f16_e32 vcc, v20, v21
	s_and_saveexec_b64 s[4:5], vcc
	s_cbranch_execz .LBB1306_247
; %bb.241:
	s_add_u32 s18, s26, -1
	v_lshl_add_u64 v[16:17], v[16:17], 0, 2
	v_lshl_add_u64 v[18:19], v[18:19], 0, 2
	s_addc_u32 s19, s27, -1
	s_mov_b64 s[36:37], 0
	s_mov_b64 s[40:41], 0
                                        ; implicit-def: $sgpr38_sgpr39
	s_branch .LBB1306_244
.LBB1306_242:                           ;   in Loop: Header=BB1306_244 Depth=1
	global_load_ushort v20, v[18:19], off
	global_load_ushort v21, v[16:17], off
	s_add_u32 s40, s40, 1
	s_addc_u32 s41, s41, 0
	s_andn2_b64 s[38:39], s[38:39], exec
	v_lshl_add_u64 v[16:17], v[16:17], 0, 2
	v_lshl_add_u64 v[18:19], v[18:19], 0, 2
	s_waitcnt vmcnt(0)
	v_cmp_neq_f16_e32 vcc, v20, v21
	s_and_b64 s[42:43], vcc, exec
	s_or_b64 s[38:39], s[38:39], s[42:43]
.LBB1306_243:                           ;   in Loop: Header=BB1306_244 Depth=1
	s_and_b64 s[42:43], exec, s[38:39]
	s_or_b64 s[36:37], s[42:43], s[36:37]
	v_mov_b64_e32 v[20:21], s[40:41]
	s_andn2_b64 exec, exec, s[36:37]
	s_cbranch_execz .LBB1306_246
.LBB1306_244:                           ; =>This Inner Loop Header: Depth=1
	s_or_b64 s[38:39], s[38:39], exec
	s_cmp_eq_u64 s[18:19], s[40:41]
	s_cbranch_scc0 .LBB1306_242
; %bb.245:                              ;   in Loop: Header=BB1306_244 Depth=1
                                        ; implicit-def: $vgpr16_vgpr17
                                        ; implicit-def: $vgpr18_vgpr19
	s_mov_b64 s[40:41], s[26:27]
	s_branch .LBB1306_243
.LBB1306_246:
	s_or_b64 exec, exec, s[36:37]
	v_cmp_gt_i64_e32 vcc, s[26:27], v[20:21]
	s_orn2_b64 s[18:19], vcc, exec
.LBB1306_247:
	s_or_b64 exec, exec, s[4:5]
.LBB1306_248:
	s_and_b64 s[4:5], s[18:19], exec
.LBB1306_249:
	s_or_b64 exec, exec, s[14:15]
	v_cmp_gt_u32_e32 vcc, s3, v29
	s_and_saveexec_b64 s[14:15], vcc
	s_cbranch_execz .LBB1306_260
; %bb.250:
	s_andn2_b64 vcc, exec, s[6:7]
	s_mov_b64 s[18:19], 0
	s_cbranch_vccnz .LBB1306_259
; %bb.251:
	v_mul_lo_u32 v18, v3, s26
	v_mul_lo_u32 v19, v2, s27
	v_mad_u64_u32 v[16:17], s[12:13], v2, s26, 0
	v_add3_u32 v17, v17, v19, v18
	v_mul_lo_u32 v18, v5, s26
	v_mul_lo_u32 v19, v4, s27
	v_mad_u64_u32 v[20:21], s[12:13], v4, s26, 0
	v_add3_u32 v21, v21, v19, v18
	v_lshl_add_u64 v[18:19], v[16:17], 1, s[28:29]
	v_lshl_add_u64 v[16:17], v[20:21], 1, s[28:29]
	global_load_ushort v20, v[18:19], off
	global_load_ushort v21, v[16:17], off
	s_mov_b64 s[18:19], -1
	s_waitcnt vmcnt(0)
	v_cmp_eq_f16_e32 vcc, v20, v21
	s_and_saveexec_b64 s[12:13], vcc
	s_cbranch_execz .LBB1306_258
; %bb.252:
	s_add_u32 s18, s26, -1
	v_lshl_add_u64 v[16:17], v[16:17], 0, 2
	v_lshl_add_u64 v[18:19], v[18:19], 0, 2
	s_addc_u32 s19, s27, -1
	s_mov_b64 s[36:37], 0
	s_mov_b64 s[40:41], 0
                                        ; implicit-def: $sgpr38_sgpr39
	s_branch .LBB1306_255
.LBB1306_253:                           ;   in Loop: Header=BB1306_255 Depth=1
	global_load_ushort v20, v[18:19], off
	global_load_ushort v21, v[16:17], off
	s_add_u32 s40, s40, 1
	s_addc_u32 s41, s41, 0
	s_andn2_b64 s[38:39], s[38:39], exec
	v_lshl_add_u64 v[16:17], v[16:17], 0, 2
	v_lshl_add_u64 v[18:19], v[18:19], 0, 2
	s_waitcnt vmcnt(0)
	v_cmp_neq_f16_e32 vcc, v20, v21
	s_and_b64 s[42:43], vcc, exec
	s_or_b64 s[38:39], s[38:39], s[42:43]
.LBB1306_254:                           ;   in Loop: Header=BB1306_255 Depth=1
	s_and_b64 s[42:43], exec, s[38:39]
	s_or_b64 s[36:37], s[42:43], s[36:37]
	v_mov_b64_e32 v[20:21], s[40:41]
	s_andn2_b64 exec, exec, s[36:37]
	s_cbranch_execz .LBB1306_257
.LBB1306_255:                           ; =>This Inner Loop Header: Depth=1
	s_or_b64 s[38:39], s[38:39], exec
	s_cmp_eq_u64 s[18:19], s[40:41]
	s_cbranch_scc0 .LBB1306_253
; %bb.256:                              ;   in Loop: Header=BB1306_255 Depth=1
                                        ; implicit-def: $vgpr16_vgpr17
                                        ; implicit-def: $vgpr18_vgpr19
	s_mov_b64 s[40:41], s[26:27]
	s_branch .LBB1306_254
.LBB1306_257:
	s_or_b64 exec, exec, s[36:37]
	v_cmp_gt_i64_e32 vcc, s[26:27], v[20:21]
	s_orn2_b64 s[18:19], vcc, exec
.LBB1306_258:
	s_or_b64 exec, exec, s[12:13]
.LBB1306_259:
	s_and_b64 s[12:13], s[18:19], exec
.LBB1306_260:
	s_or_b64 exec, exec, s[14:15]
	v_cmp_gt_u32_e32 vcc, s3, v26
	s_mov_b64 s[18:19], 0
	s_mov_b64 s[14:15], 0
	s_and_saveexec_b64 s[36:37], vcc
	s_cbranch_execz .LBB1306_271
; %bb.261:
	s_andn2_b64 vcc, exec, s[6:7]
	s_mov_b64 s[38:39], 0
	s_cbranch_vccnz .LBB1306_270
; %bb.262:
	v_mul_lo_u32 v18, v9, s26
	v_mul_lo_u32 v19, v8, s27
	v_mad_u64_u32 v[16:17], s[14:15], v8, s26, 0
	v_add3_u32 v17, v17, v19, v18
	v_mul_lo_u32 v18, v3, s26
	v_mul_lo_u32 v19, v2, s27
	v_mad_u64_u32 v[20:21], s[14:15], v2, s26, 0
	v_add3_u32 v21, v21, v19, v18
	v_lshl_add_u64 v[18:19], v[16:17], 1, s[28:29]
	v_lshl_add_u64 v[16:17], v[20:21], 1, s[28:29]
	global_load_ushort v20, v[18:19], off
	global_load_ushort v21, v[16:17], off
	s_mov_b64 s[38:39], -1
	s_waitcnt vmcnt(0)
	v_cmp_eq_f16_e32 vcc, v20, v21
	s_and_saveexec_b64 s[14:15], vcc
	s_cbranch_execz .LBB1306_269
; %bb.263:
	s_add_u32 s38, s26, -1
	v_lshl_add_u64 v[16:17], v[16:17], 0, 2
	v_lshl_add_u64 v[18:19], v[18:19], 0, 2
	s_addc_u32 s39, s27, -1
	s_mov_b64 s[40:41], 0
	s_mov_b64 s[44:45], 0
                                        ; implicit-def: $sgpr42_sgpr43
	s_branch .LBB1306_266
.LBB1306_264:                           ;   in Loop: Header=BB1306_266 Depth=1
	global_load_ushort v20, v[18:19], off
	global_load_ushort v21, v[16:17], off
	s_add_u32 s44, s44, 1
	s_addc_u32 s45, s45, 0
	s_andn2_b64 s[42:43], s[42:43], exec
	v_lshl_add_u64 v[16:17], v[16:17], 0, 2
	v_lshl_add_u64 v[18:19], v[18:19], 0, 2
	s_waitcnt vmcnt(0)
	v_cmp_neq_f16_e32 vcc, v20, v21
	s_and_b64 s[46:47], vcc, exec
	s_or_b64 s[42:43], s[42:43], s[46:47]
.LBB1306_265:                           ;   in Loop: Header=BB1306_266 Depth=1
	s_and_b64 s[46:47], exec, s[42:43]
	s_or_b64 s[40:41], s[46:47], s[40:41]
	v_mov_b64_e32 v[20:21], s[44:45]
	s_andn2_b64 exec, exec, s[40:41]
	s_cbranch_execz .LBB1306_268
.LBB1306_266:                           ; =>This Inner Loop Header: Depth=1
	s_or_b64 s[42:43], s[42:43], exec
	s_cmp_eq_u64 s[38:39], s[44:45]
	s_cbranch_scc0 .LBB1306_264
; %bb.267:                              ;   in Loop: Header=BB1306_266 Depth=1
                                        ; implicit-def: $vgpr16_vgpr17
                                        ; implicit-def: $vgpr18_vgpr19
	s_mov_b64 s[44:45], s[26:27]
	s_branch .LBB1306_265
.LBB1306_268:
	s_or_b64 exec, exec, s[40:41]
	v_cmp_gt_i64_e32 vcc, s[26:27], v[20:21]
	s_orn2_b64 s[38:39], vcc, exec
.LBB1306_269:
	s_or_b64 exec, exec, s[14:15]
.LBB1306_270:
	s_and_b64 s[14:15], s[38:39], exec
.LBB1306_271:
	s_or_b64 exec, exec, s[36:37]
	v_cmp_gt_u32_e32 vcc, s3, v28
	s_and_saveexec_b64 s[36:37], vcc
	s_cbranch_execz .LBB1306_282
; %bb.272:
	s_andn2_b64 vcc, exec, s[6:7]
	s_mov_b64 s[38:39], 0
	s_cbranch_vccnz .LBB1306_281
; %bb.273:
	v_mul_lo_u32 v18, v7, s26
	v_mul_lo_u32 v19, v6, s27
	v_mad_u64_u32 v[16:17], s[18:19], v6, s26, 0
	v_add3_u32 v17, v17, v19, v18
	v_mul_lo_u32 v18, v9, s26
	v_mul_lo_u32 v19, v8, s27
	v_mad_u64_u32 v[20:21], s[18:19], v8, s26, 0
	v_add3_u32 v21, v21, v19, v18
	v_lshl_add_u64 v[18:19], v[16:17], 1, s[28:29]
	v_lshl_add_u64 v[16:17], v[20:21], 1, s[28:29]
	global_load_ushort v20, v[18:19], off
	global_load_ushort v21, v[16:17], off
	s_mov_b64 s[38:39], -1
	s_waitcnt vmcnt(0)
	v_cmp_eq_f16_e32 vcc, v20, v21
	s_and_saveexec_b64 s[18:19], vcc
	s_cbranch_execz .LBB1306_280
; %bb.274:
	s_add_u32 s38, s26, -1
	v_lshl_add_u64 v[16:17], v[16:17], 0, 2
	v_lshl_add_u64 v[18:19], v[18:19], 0, 2
	s_addc_u32 s39, s27, -1
	s_mov_b64 s[40:41], 0
	s_mov_b64 s[44:45], 0
                                        ; implicit-def: $sgpr42_sgpr43
	s_branch .LBB1306_277
.LBB1306_275:                           ;   in Loop: Header=BB1306_277 Depth=1
	global_load_ushort v20, v[18:19], off
	global_load_ushort v21, v[16:17], off
	s_add_u32 s44, s44, 1
	s_addc_u32 s45, s45, 0
	s_andn2_b64 s[42:43], s[42:43], exec
	v_lshl_add_u64 v[16:17], v[16:17], 0, 2
	v_lshl_add_u64 v[18:19], v[18:19], 0, 2
	s_waitcnt vmcnt(0)
	v_cmp_neq_f16_e32 vcc, v20, v21
	s_and_b64 s[46:47], vcc, exec
	s_or_b64 s[42:43], s[42:43], s[46:47]
.LBB1306_276:                           ;   in Loop: Header=BB1306_277 Depth=1
	s_and_b64 s[46:47], exec, s[42:43]
	s_or_b64 s[40:41], s[46:47], s[40:41]
	v_mov_b64_e32 v[20:21], s[44:45]
	s_andn2_b64 exec, exec, s[40:41]
	s_cbranch_execz .LBB1306_279
.LBB1306_277:                           ; =>This Inner Loop Header: Depth=1
	s_or_b64 s[42:43], s[42:43], exec
	s_cmp_eq_u64 s[38:39], s[44:45]
	s_cbranch_scc0 .LBB1306_275
; %bb.278:                              ;   in Loop: Header=BB1306_277 Depth=1
                                        ; implicit-def: $vgpr16_vgpr17
                                        ; implicit-def: $vgpr18_vgpr19
	s_mov_b64 s[44:45], s[26:27]
	s_branch .LBB1306_276
.LBB1306_279:
	s_or_b64 exec, exec, s[40:41]
	v_cmp_gt_i64_e32 vcc, s[26:27], v[20:21]
	s_orn2_b64 s[38:39], vcc, exec
.LBB1306_280:
	s_or_b64 exec, exec, s[18:19]
.LBB1306_281:
	s_and_b64 s[18:19], s[38:39], exec
.LBB1306_282:
	s_or_b64 exec, exec, s[36:37]
	v_cmp_gt_u32_e32 vcc, s3, v24
	s_mov_b64 s[36:37], 0
	s_mov_b64 s[38:39], 0
	s_and_saveexec_b64 s[40:41], vcc
	s_cbranch_execz .LBB1306_293
; %bb.283:
	s_andn2_b64 vcc, exec, s[6:7]
	s_mov_b64 s[42:43], 0
	s_cbranch_vccnz .LBB1306_292
; %bb.284:
	v_mul_lo_u32 v18, v13, s26
	v_mul_lo_u32 v19, v12, s27
	v_mad_u64_u32 v[16:17], s[38:39], v12, s26, 0
	v_add3_u32 v17, v17, v19, v18
	v_mul_lo_u32 v18, v7, s26
	v_mul_lo_u32 v19, v6, s27
	v_mad_u64_u32 v[20:21], s[38:39], v6, s26, 0
	v_add3_u32 v21, v21, v19, v18
	v_lshl_add_u64 v[18:19], v[16:17], 1, s[28:29]
	v_lshl_add_u64 v[16:17], v[20:21], 1, s[28:29]
	global_load_ushort v20, v[18:19], off
	global_load_ushort v21, v[16:17], off
	s_mov_b64 s[42:43], -1
	s_waitcnt vmcnt(0)
	v_cmp_eq_f16_e32 vcc, v20, v21
	s_and_saveexec_b64 s[38:39], vcc
	s_cbranch_execz .LBB1306_291
; %bb.285:
	s_add_u32 s42, s26, -1
	v_lshl_add_u64 v[16:17], v[16:17], 0, 2
	v_lshl_add_u64 v[18:19], v[18:19], 0, 2
	s_addc_u32 s43, s27, -1
	s_mov_b64 s[44:45], 0
	s_mov_b64 s[48:49], 0
                                        ; implicit-def: $sgpr46_sgpr47
	s_branch .LBB1306_288
.LBB1306_286:                           ;   in Loop: Header=BB1306_288 Depth=1
	global_load_ushort v20, v[18:19], off
	global_load_ushort v21, v[16:17], off
	s_add_u32 s48, s48, 1
	s_addc_u32 s49, s49, 0
	s_andn2_b64 s[46:47], s[46:47], exec
	v_lshl_add_u64 v[16:17], v[16:17], 0, 2
	v_lshl_add_u64 v[18:19], v[18:19], 0, 2
	s_waitcnt vmcnt(0)
	v_cmp_neq_f16_e32 vcc, v20, v21
	s_and_b64 s[50:51], vcc, exec
	s_or_b64 s[46:47], s[46:47], s[50:51]
.LBB1306_287:                           ;   in Loop: Header=BB1306_288 Depth=1
	s_and_b64 s[50:51], exec, s[46:47]
	s_or_b64 s[44:45], s[50:51], s[44:45]
	v_mov_b64_e32 v[20:21], s[48:49]
	s_andn2_b64 exec, exec, s[44:45]
	s_cbranch_execz .LBB1306_290
.LBB1306_288:                           ; =>This Inner Loop Header: Depth=1
	s_or_b64 s[46:47], s[46:47], exec
	s_cmp_eq_u64 s[42:43], s[48:49]
	s_cbranch_scc0 .LBB1306_286
; %bb.289:                              ;   in Loop: Header=BB1306_288 Depth=1
                                        ; implicit-def: $vgpr16_vgpr17
                                        ; implicit-def: $vgpr18_vgpr19
	s_mov_b64 s[48:49], s[26:27]
	s_branch .LBB1306_287
.LBB1306_290:
	s_or_b64 exec, exec, s[44:45]
	v_cmp_gt_i64_e32 vcc, s[26:27], v[20:21]
	s_orn2_b64 s[42:43], vcc, exec
.LBB1306_291:
	s_or_b64 exec, exec, s[38:39]
.LBB1306_292:
	s_and_b64 s[38:39], s[42:43], exec
.LBB1306_293:
	s_or_b64 exec, exec, s[40:41]
	v_cmp_gt_u32_e32 vcc, s3, v25
	s_and_saveexec_b64 s[40:41], vcc
	s_cbranch_execz .LBB1306_304
; %bb.294:
	s_andn2_b64 vcc, exec, s[6:7]
	s_mov_b64 s[42:43], 0
	s_cbranch_vccnz .LBB1306_303
; %bb.295:
	v_mul_lo_u32 v18, v11, s26
	v_mul_lo_u32 v19, v10, s27
	v_mad_u64_u32 v[16:17], s[36:37], v10, s26, 0
	v_add3_u32 v17, v17, v19, v18
	v_mul_lo_u32 v18, v13, s26
	v_mul_lo_u32 v19, v12, s27
	v_mad_u64_u32 v[20:21], s[36:37], v12, s26, 0
	v_add3_u32 v21, v21, v19, v18
	v_lshl_add_u64 v[18:19], v[16:17], 1, s[28:29]
	v_lshl_add_u64 v[16:17], v[20:21], 1, s[28:29]
	global_load_ushort v20, v[18:19], off
	global_load_ushort v21, v[16:17], off
	s_mov_b64 s[42:43], -1
	s_waitcnt vmcnt(0)
	v_cmp_eq_f16_e32 vcc, v20, v21
	s_and_saveexec_b64 s[36:37], vcc
	s_cbranch_execz .LBB1306_302
; %bb.296:
	s_add_u32 s42, s26, -1
	v_lshl_add_u64 v[16:17], v[16:17], 0, 2
	v_lshl_add_u64 v[18:19], v[18:19], 0, 2
	s_addc_u32 s43, s27, -1
	s_mov_b64 s[44:45], 0
	s_mov_b64 s[48:49], 0
                                        ; implicit-def: $sgpr46_sgpr47
	s_branch .LBB1306_299
.LBB1306_297:                           ;   in Loop: Header=BB1306_299 Depth=1
	global_load_ushort v20, v[18:19], off
	global_load_ushort v21, v[16:17], off
	s_add_u32 s48, s48, 1
	s_addc_u32 s49, s49, 0
	s_andn2_b64 s[46:47], s[46:47], exec
	v_lshl_add_u64 v[16:17], v[16:17], 0, 2
	v_lshl_add_u64 v[18:19], v[18:19], 0, 2
	s_waitcnt vmcnt(0)
	v_cmp_neq_f16_e32 vcc, v20, v21
	s_and_b64 s[50:51], vcc, exec
	s_or_b64 s[46:47], s[46:47], s[50:51]
.LBB1306_298:                           ;   in Loop: Header=BB1306_299 Depth=1
	s_and_b64 s[50:51], exec, s[46:47]
	s_or_b64 s[44:45], s[50:51], s[44:45]
	v_mov_b64_e32 v[20:21], s[48:49]
	s_andn2_b64 exec, exec, s[44:45]
	s_cbranch_execz .LBB1306_301
.LBB1306_299:                           ; =>This Inner Loop Header: Depth=1
	s_or_b64 s[46:47], s[46:47], exec
	s_cmp_eq_u64 s[42:43], s[48:49]
	s_cbranch_scc0 .LBB1306_297
; %bb.300:                              ;   in Loop: Header=BB1306_299 Depth=1
                                        ; implicit-def: $vgpr16_vgpr17
                                        ; implicit-def: $vgpr18_vgpr19
	s_mov_b64 s[48:49], s[26:27]
	s_branch .LBB1306_298
.LBB1306_301:
	s_or_b64 exec, exec, s[44:45]
	v_cmp_gt_i64_e32 vcc, s[26:27], v[20:21]
	s_orn2_b64 s[42:43], vcc, exec
.LBB1306_302:
	s_or_b64 exec, exec, s[36:37]
.LBB1306_303:
	s_and_b64 s[36:37], s[42:43], exec
.LBB1306_304:
	s_or_b64 exec, exec, s[40:41]
	v_cndmask_b32_e64 v17, 0, 1, s[18:19]
	v_cndmask_b32_e64 v16, 0, 1, s[38:39]
	;; [unrolled: 1-line block ×3, first 2 shown]
	v_lshlrev_b16_e32 v17, 8, v17
	v_cndmask_b32_e64 v32, 0, 1, s[14:15]
	v_cndmask_b32_e64 v18, 0, 1, s[36:37]
	v_or_b32_sdwa v16, v16, v17 dst_sel:WORD_1 dst_unused:UNUSED_PAD src0_sel:DWORD src1_sel:DWORD
	v_lshlrev_b16_e32 v17, 8, v33
	v_lshlrev_b16_e32 v18, 8, v18
	v_or_b32_e32 v17, v32, v17
	v_or_b32_e32 v18, 1, v18
	v_and_b32_e32 v17, 0xffff, v17
	v_cndmask_b32_e64 v34, 0, 1, s[4:5]
	v_or_b32_sdwa v16, v18, v16 dst_sel:DWORD dst_unused:UNUSED_PAD src0_sel:WORD_0 src1_sel:DWORD
	v_lshl_or_b32 v17, v34, 16, v17
	v_cmp_ne_u32_e32 vcc, 0, v0
	s_waitcnt lgkmcnt(0)
	s_barrier
	s_waitcnt lgkmcnt(0)
                                        ; implicit-def: $sgpr18_sgpr19
                                        ; implicit-def: $vgpr20
	s_and_saveexec_b64 s[4:5], vcc
	s_cbranch_execz .LBB1306_317
; %bb.305:
	v_cmp_gt_u32_e32 vcc, s3, v1
	s_mov_b32 s33, 0x3020104
	s_mov_b64 s[14:15], 0
	s_and_saveexec_b64 s[12:13], vcc
	s_cbranch_execz .LBB1306_316
; %bb.306:
	s_andn2_b64 vcc, exec, s[6:7]
	s_cbranch_vccnz .LBB1306_315
; %bb.307:
	v_add_u32_e32 v17, -8, v30
	ds_read_b64 v[18:19], v17
	v_mul_lo_u32 v17, v11, s26
	v_mad_u64_u32 v[22:23], s[6:7], v10, s26, 0
	s_mov_b64 s[14:15], -1
	s_waitcnt lgkmcnt(0)
	v_mul_lo_u32 v20, v19, s26
	v_mul_lo_u32 v21, v18, s27
	v_mad_u64_u32 v[18:19], s[6:7], v18, s26, 0
	v_add3_u32 v19, v19, v21, v20
	v_mul_lo_u32 v20, v10, s27
	v_add3_u32 v23, v23, v20, v17
	v_lshl_add_u64 v[20:21], v[18:19], 1, s[28:29]
	v_lshl_add_u64 v[18:19], v[22:23], 1, s[28:29]
	global_load_ushort v17, v[20:21], off
	global_load_ushort v22, v[18:19], off
	s_waitcnt vmcnt(0)
	v_cmp_eq_f16_e32 vcc, v17, v22
	s_and_saveexec_b64 s[6:7], vcc
	s_cbranch_execz .LBB1306_314
; %bb.308:
	s_add_u32 s14, s26, -1
	v_lshl_add_u64 v[18:19], v[18:19], 0, 2
	v_lshl_add_u64 v[20:21], v[20:21], 0, 2
	s_addc_u32 s15, s27, -1
	s_mov_b64 s[18:19], 0
	s_mov_b64 s[36:37], 0
                                        ; implicit-def: $sgpr28_sgpr29
	s_branch .LBB1306_311
.LBB1306_309:                           ;   in Loop: Header=BB1306_311 Depth=1
	global_load_ushort v17, v[20:21], off
	global_load_ushort v22, v[18:19], off
	s_add_u32 s36, s36, 1
	s_addc_u32 s37, s37, 0
	s_andn2_b64 s[28:29], s[28:29], exec
	v_lshl_add_u64 v[18:19], v[18:19], 0, 2
	v_lshl_add_u64 v[20:21], v[20:21], 0, 2
	s_waitcnt vmcnt(0)
	v_cmp_neq_f16_e32 vcc, v17, v22
	s_and_b64 s[38:39], vcc, exec
	s_or_b64 s[28:29], s[28:29], s[38:39]
.LBB1306_310:                           ;   in Loop: Header=BB1306_311 Depth=1
	s_and_b64 s[38:39], exec, s[28:29]
	s_or_b64 s[18:19], s[38:39], s[18:19]
	v_mov_b64_e32 v[22:23], s[36:37]
	s_andn2_b64 exec, exec, s[18:19]
	s_cbranch_execz .LBB1306_313
.LBB1306_311:                           ; =>This Inner Loop Header: Depth=1
	s_or_b64 s[28:29], s[28:29], exec
	s_cmp_eq_u64 s[14:15], s[36:37]
	s_cbranch_scc0 .LBB1306_309
; %bb.312:                              ;   in Loop: Header=BB1306_311 Depth=1
                                        ; implicit-def: $vgpr18_vgpr19
                                        ; implicit-def: $vgpr20_vgpr21
	s_mov_b64 s[36:37], s[26:27]
	s_branch .LBB1306_310
.LBB1306_313:
	s_or_b64 exec, exec, s[18:19]
	v_cmp_gt_i64_e32 vcc, s[26:27], v[22:23]
	s_orn2_b64 s[14:15], vcc, exec
.LBB1306_314:
	s_or_b64 exec, exec, s[6:7]
.LBB1306_315:
	s_and_b64 s[14:15], s[14:15], exec
.LBB1306_316:
	s_or_b64 exec, exec, s[12:13]
	v_perm_b32 v20, v16, v16, s33
	s_and_b64 s[18:19], s[14:15], exec
	s_or_b64 s[10:11], s[10:11], exec
                                        ; implicit-def: $vgpr16_vgpr17
.LBB1306_317:
	s_or_b64 exec, exec, s[4:5]
.LBB1306_318:
	s_and_saveexec_b64 s[4:5], s[10:11]
	s_cbranch_execz .LBB1306_320
; %bb.319:
	s_waitcnt lgkmcnt(0)
	v_lshlrev_b16_e32 v17, 8, v33
	v_and_b32_e32 v18, 0xff, v34
	v_or_b32_sdwa v17, v32, v17 dst_sel:DWORD dst_unused:UNUSED_PAD src0_sel:BYTE_0 src1_sel:DWORD
	v_lshlrev_b32_e32 v18, 16, v18
	s_movk_i32 s6, 0xff
	v_or_b32_sdwa v17, v17, v18 dst_sel:DWORD dst_unused:UNUSED_PAD src0_sel:WORD_0 src1_sel:DWORD
	v_lshrrev_b32_e32 v18, 24, v20
	v_lshlrev_b16_e32 v18, 8, v18
	v_and_b32_sdwa v19, v20, s6 dst_sel:DWORD dst_unused:UNUSED_PAD src0_sel:WORD_1 src1_sel:DWORD
	v_or_b32_sdwa v18, v19, v18 dst_sel:WORD_1 dst_unused:UNUSED_PAD src0_sel:DWORD src1_sel:DWORD
	v_mov_b32_e32 v19, 8
	v_cndmask_b32_e64 v16, 0, 1, s[18:19]
	v_lshrrev_b32_sdwa v19, v19, v20 dst_sel:BYTE_1 dst_unused:UNUSED_PAD src0_sel:DWORD src1_sel:DWORD
	s_nop 0
	v_or_b32_e32 v16, v16, v19
	v_or_b32_sdwa v16, v16, v18 dst_sel:DWORD dst_unused:UNUSED_PAD src0_sel:WORD_0 src1_sel:DWORD
.LBB1306_320:
	s_or_b64 exec, exec, s[4:5]
	s_andn2_b64 vcc, exec, s[8:9]
	s_cbranch_vccnz .LBB1306_322
; %bb.321:
	s_waitcnt lgkmcnt(0)
	v_and_b32_e32 v18, 0xffff0000, v16
	v_cmp_gt_u32_e32 vcc, s3, v1
	s_mov_b32 s4, 0x40c0100
	s_nop 0
	v_cndmask_b32_e32 v1, v18, v16, vcc
	v_and_b32_e32 v1, 0xffff00ff, v1
	v_cmp_gt_u32_e32 vcc, s3, v25
	s_nop 1
	v_cndmask_b32_e32 v1, v1, v16, vcc
	v_lshrrev_b32_e32 v18, 24, v1
	v_perm_b32 v1, v18, v1, s4
	v_cmp_gt_u32_e32 vcc, s3, v24
	v_and_b32_e32 v18, 0xffffff00, v17
	s_nop 0
	v_cndmask_b32_e32 v1, v1, v16, vcc
	v_and_b32_e32 v1, 0xffffff, v1
	v_cmp_gt_u32_e32 vcc, s3, v28
	s_nop 1
	v_cndmask_b32_e32 v1, v1, v16, vcc
	v_cmp_gt_u32_e32 vcc, s3, v26
	s_nop 1
	v_cndmask_b32_e32 v18, v18, v17, vcc
	v_and_b32_e32 v18, 0xffff00ff, v18
	v_cndmask_b32_e32 v1, v1, v16, vcc
	v_cmp_gt_u32_e32 vcc, s3, v29
	s_nop 1
	v_cndmask_b32_e32 v18, v18, v17, vcc
	v_lshrrev_b32_e32 v19, 24, v18
	v_cndmask_b32_e32 v1, v1, v16, vcc
	v_perm_b32 v18, v19, v18, s4
	v_cmp_gt_u32_e32 vcc, s3, v27
	s_mov_b32 s3, 0x3020104
	s_nop 0
	v_cndmask_b32_e32 v1, v1, v16, vcc
	v_cndmask_b32_e32 v16, v18, v17, vcc
	v_mov_b32_e32 v17, 8
	v_lshrrev_b32_sdwa v17, v17, v16 dst_sel:BYTE_1 dst_unused:UNUSED_PAD src0_sel:DWORD src1_sel:DWORD
	s_nop 0
	v_or_b32_sdwa v17, v16, v17 dst_sel:DWORD dst_unused:UNUSED_PAD src0_sel:BYTE_0 src1_sel:DWORD
	v_and_b32_e32 v17, 0xffff, v17
	v_bfe_u32 v16, v16, 16, 8
	v_lshl_or_b32 v17, v16, 16, v17
	v_perm_b32 v16, v1, v1, s3
.LBB1306_322:
	s_waitcnt lgkmcnt(0)
	v_and_b32_e32 v1, 0xff, v16
	v_bfe_u32 v29, v16, 8, 8
	v_bfe_u32 v31, v16, 16, 8
	v_alignbit_b32 v18, v17, v16, 24
	v_and_b32_e32 v33, 0xff, v18
	v_and_b32_e32 v35, 0xff, v17
	v_add3_u32 v19, v29, v1, v31
	v_bfe_u32 v36, v17, 8, 8
	v_bfe_u32 v18, v17, 16, 8
	v_add3_u32 v19, v19, v33, v35
	v_add3_u32 v39, v19, v36, v18
	v_mbcnt_lo_u32_b32 v18, -1, 0
	v_mbcnt_hi_u32_b32 v37, -1, v18
	v_and_b32_e32 v18, 15, v37
	v_cmp_eq_u32_e64 s[14:15], 0, v18
	v_cmp_lt_u32_e64 s[12:13], 1, v18
	v_cmp_lt_u32_e64 s[10:11], 3, v18
	;; [unrolled: 1-line block ×3, first 2 shown]
	v_and_b32_e32 v18, 16, v37
	v_cmp_eq_u32_e64 s[6:7], 0, v18
	v_or_b32_e32 v18, 63, v0
	v_cmp_lt_u32_e64 s[18:19], 31, v37
	v_lshrrev_b32_e32 v38, 6, v0
	v_cmp_eq_u32_e64 s[4:5], v18, v0
	s_and_b64 vcc, exec, s[16:17]
	s_barrier
	s_cbranch_vccz .LBB1306_349
; %bb.323:
	v_mov_b32_dpp v18, v39 row_shr:1 row_mask:0xf bank_mask:0xf
	v_cndmask_b32_e64 v18, v18, 0, s[14:15]
	v_add_u32_e32 v18, v18, v39
	s_nop 1
	v_mov_b32_dpp v19, v18 row_shr:2 row_mask:0xf bank_mask:0xf
	v_cndmask_b32_e64 v19, 0, v19, s[12:13]
	v_add_u32_e32 v18, v18, v19
	s_nop 1
	;; [unrolled: 4-line block ×4, first 2 shown]
	v_mov_b32_dpp v19, v18 row_bcast:15 row_mask:0xf bank_mask:0xf
	v_cndmask_b32_e64 v19, v19, 0, s[6:7]
	v_add_u32_e32 v18, v18, v19
	s_nop 1
	v_mov_b32_dpp v19, v18 row_bcast:31 row_mask:0xf bank_mask:0xf
	v_cndmask_b32_e64 v19, 0, v19, s[18:19]
	v_add_u32_e32 v18, v18, v19
	s_and_saveexec_b64 s[16:17], s[4:5]
	s_cbranch_execz .LBB1306_325
; %bb.324:
	v_lshlrev_b32_e32 v19, 2, v38
	ds_write_b32 v19, v18
.LBB1306_325:
	s_or_b64 exec, exec, s[16:17]
	v_cmp_gt_u32_e32 vcc, 8, v0
	s_waitcnt lgkmcnt(0)
	s_barrier
	s_and_saveexec_b64 s[16:17], vcc
	s_cbranch_execz .LBB1306_327
; %bb.326:
	v_lshlrev_b32_e32 v19, 2, v0
	ds_read_b32 v20, v19
	v_and_b32_e32 v21, 7, v37
	v_cmp_ne_u32_e32 vcc, 0, v21
	s_waitcnt lgkmcnt(0)
	v_mov_b32_dpp v22, v20 row_shr:1 row_mask:0xf bank_mask:0xf
	v_cndmask_b32_e32 v22, 0, v22, vcc
	v_add_u32_e32 v20, v22, v20
	v_cmp_lt_u32_e32 vcc, 1, v21
	s_nop 0
	v_mov_b32_dpp v22, v20 row_shr:2 row_mask:0xf bank_mask:0xf
	v_cndmask_b32_e32 v22, 0, v22, vcc
	v_add_u32_e32 v20, v20, v22
	v_cmp_lt_u32_e32 vcc, 3, v21
	s_nop 0
	v_mov_b32_dpp v22, v20 row_shr:4 row_mask:0xf bank_mask:0xf
	v_cndmask_b32_e32 v21, 0, v22, vcc
	v_add_u32_e32 v20, v20, v21
	ds_write_b32 v19, v20
.LBB1306_327:
	s_or_b64 exec, exec, s[16:17]
	v_cmp_gt_u32_e32 vcc, 64, v0
	v_cmp_lt_u32_e64 s[16:17], 63, v0
	s_waitcnt lgkmcnt(0)
	s_barrier
	s_waitcnt lgkmcnt(0)
                                        ; implicit-def: $vgpr28
	s_and_saveexec_b64 s[26:27], s[16:17]
	s_cbranch_execz .LBB1306_329
; %bb.328:
	v_lshl_add_u32 v19, v38, 2, -4
	ds_read_b32 v28, v19
	s_waitcnt lgkmcnt(0)
	v_add_u32_e32 v18, v28, v18
.LBB1306_329:
	s_or_b64 exec, exec, s[26:27]
	v_add_u32_e32 v19, -1, v37
	v_and_b32_e32 v20, 64, v37
	v_cmp_lt_i32_e64 s[16:17], v19, v20
	s_nop 1
	v_cndmask_b32_e64 v19, v19, v37, s[16:17]
	v_lshlrev_b32_e32 v19, 2, v19
	ds_bpermute_b32 v30, v19, v18
	v_cmp_eq_u32_e64 s[16:17], 0, v37
	s_and_saveexec_b64 s[26:27], vcc
	s_cbranch_execz .LBB1306_348
; %bb.330:
	v_mov_b32_e32 v25, 0
	ds_read_b32 v18, v25 offset:28
	s_and_saveexec_b64 s[28:29], s[16:17]
	s_cbranch_execz .LBB1306_332
; %bb.331:
	s_add_i32 s36, s2, 64
	s_mov_b32 s37, 0
	s_lshl_b64 s[36:37], s[36:37], 3
	s_add_u32 s36, s30, s36
	v_mov_b32_e32 v19, 1
	s_addc_u32 s37, s31, s37
	s_waitcnt lgkmcnt(0)
	global_store_dwordx2 v25, v[18:19], s[36:37] sc1
.LBB1306_332:
	s_or_b64 exec, exec, s[28:29]
	v_xad_u32 v20, v37, -1, s2
	v_add_u32_e32 v24, 64, v20
	v_lshl_add_u64 v[26:27], v[24:25], 3, s[30:31]
	global_load_dwordx2 v[22:23], v[26:27], off sc1
	s_waitcnt vmcnt(0)
	v_cmp_eq_u16_sdwa s[36:37], v23, v25 src0_sel:BYTE_0 src1_sel:DWORD
	s_and_saveexec_b64 s[28:29], s[36:37]
	s_cbranch_execz .LBB1306_336
; %bb.333:
	s_mov_b64 s[36:37], 0
	v_mov_b32_e32 v19, 0
.LBB1306_334:                           ; =>This Inner Loop Header: Depth=1
	global_load_dwordx2 v[22:23], v[26:27], off sc1
	s_waitcnt vmcnt(0)
	v_cmp_ne_u16_sdwa s[38:39], v23, v19 src0_sel:BYTE_0 src1_sel:DWORD
	s_or_b64 s[36:37], s[38:39], s[36:37]
	s_andn2_b64 exec, exec, s[36:37]
	s_cbranch_execnz .LBB1306_334
; %bb.335:
	s_or_b64 exec, exec, s[36:37]
.LBB1306_336:
	s_or_b64 exec, exec, s[28:29]
	v_and_b32_e32 v32, 63, v37
	v_mov_b32_e32 v19, 2
	v_cmp_ne_u32_e32 vcc, 63, v32
	v_cmp_eq_u16_sdwa s[28:29], v23, v19 src0_sel:BYTE_0 src1_sel:DWORD
	v_lshlrev_b64 v[24:25], v37, -1
	v_addc_co_u32_e32 v27, vcc, 0, v37, vcc
	v_and_b32_e32 v21, s29, v25
	v_lshlrev_b32_e32 v34, 2, v27
	v_or_b32_e32 v21, 0x80000000, v21
	ds_bpermute_b32 v27, v34, v22
	v_and_b32_e32 v26, s28, v24
	v_ffbl_b32_e32 v21, v21
	v_add_u32_e32 v21, 32, v21
	v_ffbl_b32_e32 v26, v26
	v_min_u32_e32 v21, v26, v21
	v_cmp_lt_u32_e32 vcc, v32, v21
	v_add_u32_e32 v41, 2, v32
	v_add_u32_e32 v43, 4, v32
	s_waitcnt lgkmcnt(0)
	v_cndmask_b32_e32 v26, 0, v27, vcc
	v_cmp_gt_u32_e32 vcc, 62, v32
	v_add_u32_e32 v22, v26, v22
	v_add_u32_e32 v45, 8, v32
	v_cndmask_b32_e64 v26, 0, 1, vcc
	v_lshlrev_b32_e32 v26, 1, v26
	v_add_lshl_u32 v40, v26, v37, 2
	ds_bpermute_b32 v26, v40, v22
	v_cmp_le_u32_e32 vcc, v41, v21
	v_add_u32_e32 v48, 16, v32
	v_add_u32_e32 v50, 32, v32
	s_waitcnt lgkmcnt(0)
	v_cndmask_b32_e32 v26, 0, v26, vcc
	v_cmp_gt_u32_e32 vcc, 60, v32
	v_add_u32_e32 v22, v22, v26
	s_nop 0
	v_cndmask_b32_e64 v26, 0, 1, vcc
	v_lshlrev_b32_e32 v26, 2, v26
	v_add_lshl_u32 v42, v26, v37, 2
	ds_bpermute_b32 v26, v42, v22
	v_cmp_le_u32_e32 vcc, v43, v21
	s_waitcnt lgkmcnt(0)
	s_nop 0
	v_cndmask_b32_e32 v26, 0, v26, vcc
	v_cmp_gt_u32_e32 vcc, 56, v32
	v_add_u32_e32 v22, v22, v26
	s_nop 0
	v_cndmask_b32_e64 v26, 0, 1, vcc
	v_lshlrev_b32_e32 v26, 3, v26
	v_add_lshl_u32 v44, v26, v37, 2
	ds_bpermute_b32 v26, v44, v22
	v_cmp_le_u32_e32 vcc, v45, v21
	s_waitcnt lgkmcnt(0)
	s_nop 0
	v_cndmask_b32_e32 v26, 0, v26, vcc
	v_cmp_gt_u32_e32 vcc, 48, v32
	v_add_u32_e32 v22, v22, v26
	s_nop 0
	v_cndmask_b32_e64 v26, 0, 1, vcc
	v_lshlrev_b32_e32 v26, 4, v26
	v_add_lshl_u32 v47, v26, v37, 2
	ds_bpermute_b32 v26, v47, v22
	v_cmp_le_u32_e32 vcc, v48, v21
	s_waitcnt lgkmcnt(0)
	s_nop 0
	v_cndmask_b32_e32 v26, 0, v26, vcc
	v_cmp_gt_u32_e32 vcc, 32, v32
	v_add_u32_e32 v22, v22, v26
	s_nop 0
	v_cndmask_b32_e64 v26, 0, 1, vcc
	v_lshlrev_b32_e32 v26, 5, v26
	v_add_lshl_u32 v49, v26, v37, 2
	ds_bpermute_b32 v26, v49, v22
	v_cmp_le_u32_e32 vcc, v50, v21
	s_waitcnt lgkmcnt(0)
	s_nop 0
	v_cndmask_b32_e32 v21, 0, v26, vcc
	v_add_u32_e32 v22, v22, v21
	v_mov_b32_e32 v21, 0
	s_branch .LBB1306_338
.LBB1306_337:                           ;   in Loop: Header=BB1306_338 Depth=1
	s_or_b64 exec, exec, s[28:29]
	v_cmp_eq_u16_sdwa s[28:29], v23, v19 src0_sel:BYTE_0 src1_sel:DWORD
	ds_bpermute_b32 v51, v34, v22
	v_subrev_u32_e32 v20, 64, v20
	v_and_b32_e32 v26, s29, v25
	v_or_b32_e32 v26, 0x80000000, v26
	v_and_b32_e32 v27, s28, v24
	v_ffbl_b32_e32 v26, v26
	v_add_u32_e32 v26, 32, v26
	v_ffbl_b32_e32 v27, v27
	v_min_u32_e32 v26, v27, v26
	v_cmp_lt_u32_e32 vcc, v32, v26
	s_waitcnt lgkmcnt(0)
	s_nop 0
	v_cndmask_b32_e32 v27, 0, v51, vcc
	v_add_u32_e32 v22, v27, v22
	ds_bpermute_b32 v27, v40, v22
	v_cmp_le_u32_e32 vcc, v41, v26
	s_waitcnt lgkmcnt(0)
	s_nop 0
	v_cndmask_b32_e32 v27, 0, v27, vcc
	v_add_u32_e32 v22, v22, v27
	ds_bpermute_b32 v27, v42, v22
	v_cmp_le_u32_e32 vcc, v43, v26
	;; [unrolled: 6-line block ×5, first 2 shown]
	s_waitcnt lgkmcnt(0)
	s_nop 0
	v_cndmask_b32_e32 v26, 0, v27, vcc
	v_add3_u32 v22, v26, v46, v22
.LBB1306_338:                           ; =>This Loop Header: Depth=1
                                        ;     Child Loop BB1306_341 Depth 2
	v_cmp_ne_u16_sdwa s[28:29], v23, v19 src0_sel:BYTE_0 src1_sel:DWORD
	v_mov_b32_e32 v46, v22
	s_nop 0
	v_cndmask_b32_e64 v23, 0, 1, s[28:29]
	;;#ASMSTART
	;;#ASMEND
	s_nop 0
	v_cmp_ne_u32_e32 vcc, 0, v23
	s_cmp_lg_u64 vcc, exec
	s_cbranch_scc1 .LBB1306_343
; %bb.339:                              ;   in Loop: Header=BB1306_338 Depth=1
	v_lshl_add_u64 v[26:27], v[20:21], 3, s[30:31]
	global_load_dwordx2 v[22:23], v[26:27], off sc1
	s_waitcnt vmcnt(0)
	v_cmp_eq_u16_sdwa s[36:37], v23, v21 src0_sel:BYTE_0 src1_sel:DWORD
	s_and_saveexec_b64 s[28:29], s[36:37]
	s_cbranch_execz .LBB1306_337
; %bb.340:                              ;   in Loop: Header=BB1306_338 Depth=1
	s_mov_b64 s[36:37], 0
.LBB1306_341:                           ;   Parent Loop BB1306_338 Depth=1
                                        ; =>  This Inner Loop Header: Depth=2
	global_load_dwordx2 v[22:23], v[26:27], off sc1
	s_waitcnt vmcnt(0)
	v_cmp_ne_u16_sdwa s[38:39], v23, v21 src0_sel:BYTE_0 src1_sel:DWORD
	s_or_b64 s[36:37], s[38:39], s[36:37]
	s_andn2_b64 exec, exec, s[36:37]
	s_cbranch_execnz .LBB1306_341
; %bb.342:                              ;   in Loop: Header=BB1306_338 Depth=1
	s_or_b64 exec, exec, s[36:37]
	s_branch .LBB1306_337
.LBB1306_343:                           ;   in Loop: Header=BB1306_338 Depth=1
                                        ; implicit-def: $vgpr22
                                        ; implicit-def: $vgpr23
	s_cbranch_execz .LBB1306_338
; %bb.344:
	s_and_saveexec_b64 s[28:29], s[16:17]
	s_cbranch_execz .LBB1306_346
; %bb.345:
	s_add_i32 s2, s2, 64
	s_mov_b32 s3, 0
	s_lshl_b64 s[2:3], s[2:3], 3
	s_add_u32 s2, s30, s2
	v_add_u32_e32 v20, v46, v18
	v_mov_b32_e32 v21, 2
	s_addc_u32 s3, s31, s3
	v_mov_b32_e32 v19, 0
	global_store_dwordx2 v19, v[20:21], s[2:3] sc1
	s_movk_i32 s2, 0x7000
	v_add_u32_e64 v19, s2, 0
	ds_write2_b32 v19, v18, v46 offset1:2
.LBB1306_346:
	s_or_b64 exec, exec, s[28:29]
	v_cmp_eq_u32_e32 vcc, 0, v0
	s_and_b64 exec, exec, vcc
	s_cbranch_execz .LBB1306_348
; %bb.347:
	v_mov_b32_e32 v18, 0
	ds_write_b32 v18, v46 offset:28
.LBB1306_348:
	s_or_b64 exec, exec, s[26:27]
	v_mov_b32_e32 v18, 0
	s_waitcnt lgkmcnt(0)
	s_barrier
	ds_read_b32 v18, v18 offset:28
	v_cndmask_b32_e64 v19, v30, v28, s[16:17]
	v_cmp_ne_u32_e32 vcc, 0, v0
	s_movk_i32 s2, 0x7000
	s_waitcnt lgkmcnt(0)
	v_cndmask_b32_e32 v19, 0, v19, vcc
	v_add_u32_e32 v34, v18, v19
	v_add_u32_e32 v32, v34, v1
	v_add_u32_e64 v18, s2, 0
	v_add_u32_e32 v30, v32, v29
	s_barrier
	ds_read2_b32 v[18:19], v18 offset1:2
	v_add_u32_e32 v28, v30, v31
	v_add_u32_e32 v26, v28, v33
	;; [unrolled: 1-line block ×4, first 2 shown]
	s_load_dwordx2 s[2:3], s[0:1], 0x28
	v_lshrrev_b64 v[20:21], 24, v[16:17]
	s_branch .LBB1306_359
.LBB1306_349:
                                        ; implicit-def: $vgpr22
                                        ; implicit-def: $vgpr24
                                        ; implicit-def: $vgpr26
                                        ; implicit-def: $vgpr28
                                        ; implicit-def: $vgpr30
                                        ; implicit-def: $vgpr32
                                        ; implicit-def: $vgpr34
                                        ; implicit-def: $vgpr19
	s_load_dwordx2 s[2:3], s[0:1], 0x28
	v_lshrrev_b64 v[20:21], 24, v[16:17]
	s_cbranch_execz .LBB1306_359
; %bb.350:
	s_waitcnt lgkmcnt(0)
	v_mov_b32_dpp v18, v39 row_shr:1 row_mask:0xf bank_mask:0xf
	v_cndmask_b32_e64 v18, v18, 0, s[14:15]
	v_add_u32_e32 v18, v18, v39
	s_nop 1
	v_mov_b32_dpp v19, v18 row_shr:2 row_mask:0xf bank_mask:0xf
	v_cndmask_b32_e64 v19, 0, v19, s[12:13]
	v_add_u32_e32 v18, v18, v19
	s_nop 1
	;; [unrolled: 4-line block ×4, first 2 shown]
	v_mov_b32_dpp v19, v18 row_bcast:15 row_mask:0xf bank_mask:0xf
	v_cndmask_b32_e64 v19, v19, 0, s[6:7]
	v_add_u32_e32 v18, v18, v19
	s_nop 1
	v_mov_b32_dpp v19, v18 row_bcast:31 row_mask:0xf bank_mask:0xf
	v_cndmask_b32_e64 v19, 0, v19, s[18:19]
	v_add_u32_e32 v18, v18, v19
	s_and_saveexec_b64 s[0:1], s[4:5]
	s_cbranch_execz .LBB1306_352
; %bb.351:
	v_lshlrev_b32_e32 v19, 2, v38
	ds_write_b32 v19, v18
.LBB1306_352:
	s_or_b64 exec, exec, s[0:1]
	v_cmp_gt_u32_e32 vcc, 8, v0
	s_waitcnt lgkmcnt(0)
	s_barrier
	s_and_saveexec_b64 s[0:1], vcc
	s_cbranch_execz .LBB1306_354
; %bb.353:
	v_lshlrev_b32_e32 v19, 2, v0
	ds_read_b32 v21, v19
	v_and_b32_e32 v22, 7, v37
	v_cmp_ne_u32_e32 vcc, 0, v22
	s_waitcnt lgkmcnt(0)
	v_mov_b32_dpp v23, v21 row_shr:1 row_mask:0xf bank_mask:0xf
	v_cndmask_b32_e32 v23, 0, v23, vcc
	v_add_u32_e32 v21, v23, v21
	v_cmp_lt_u32_e32 vcc, 1, v22
	s_nop 0
	v_mov_b32_dpp v23, v21 row_shr:2 row_mask:0xf bank_mask:0xf
	v_cndmask_b32_e32 v23, 0, v23, vcc
	v_add_u32_e32 v21, v21, v23
	v_cmp_lt_u32_e32 vcc, 3, v22
	s_nop 0
	v_mov_b32_dpp v23, v21 row_shr:4 row_mask:0xf bank_mask:0xf
	v_cndmask_b32_e32 v22, 0, v23, vcc
	v_add_u32_e32 v21, v21, v22
	ds_write_b32 v19, v21
.LBB1306_354:
	s_or_b64 exec, exec, s[0:1]
	v_cmp_lt_u32_e32 vcc, 63, v0
	v_mov_b32_e32 v19, 0
	v_mov_b32_e32 v21, 0
	s_waitcnt lgkmcnt(0)
	s_barrier
	s_and_saveexec_b64 s[0:1], vcc
	s_cbranch_execz .LBB1306_356
; %bb.355:
	v_lshl_add_u32 v21, v38, 2, -4
	ds_read_b32 v21, v21
.LBB1306_356:
	s_or_b64 exec, exec, s[0:1]
	v_add_u32_e32 v22, -1, v37
	v_and_b32_e32 v23, 64, v37
	v_cmp_lt_i32_e32 vcc, v22, v23
	s_waitcnt lgkmcnt(0)
	v_add_u32_e32 v18, v21, v18
	v_cndmask_b32_e32 v22, v22, v37, vcc
	v_lshlrev_b32_e32 v22, 2, v22
	ds_bpermute_b32 v22, v22, v18
	ds_read_b32 v18, v19 offset:28
	v_cmp_eq_u32_e32 vcc, 0, v0
	s_and_saveexec_b64 s[0:1], vcc
	s_cbranch_execz .LBB1306_358
; %bb.357:
	v_mov_b32_e32 v23, 0
	v_mov_b32_e32 v19, 2
	s_waitcnt lgkmcnt(0)
	global_store_dwordx2 v23, v[18:19], s[30:31] offset:512 sc1
.LBB1306_358:
	s_or_b64 exec, exec, s[0:1]
	v_cmp_eq_u32_e64 s[0:1], 0, v37
	v_mov_b32_e32 v19, 0
	s_waitcnt lgkmcnt(0)
	v_cndmask_b32_e64 v21, v22, v21, s[0:1]
	v_cndmask_b32_e64 v34, v21, 0, vcc
	v_add_u32_e32 v32, v34, v1
	v_add_u32_e32 v30, v32, v29
	;; [unrolled: 1-line block ×6, first 2 shown]
	s_barrier
.LBB1306_359:
	s_movk_i32 s0, 0x201
	s_waitcnt lgkmcnt(0)
	v_cmp_gt_u32_e32 vcc, s0, v18
	v_lshrrev_b32_e32 v21, 8, v16
	v_lshrrev_b32_e32 v1, 8, v17
	s_mov_b64 s[0:1], -1
	s_cbranch_vccnz .LBB1306_363
; %bb.360:
	s_and_b64 vcc, exec, s[0:1]
	s_cbranch_vccnz .LBB1306_385
.LBB1306_361:
	v_cmp_eq_u32_e32 vcc, 0, v0
	s_and_b64 s[0:1], vcc, s[24:25]
	s_and_saveexec_b64 s[2:3], s[0:1]
	s_cbranch_execnz .LBB1306_403
.LBB1306_362:
	s_endpgm
.LBB1306_363:
	v_add_u32_e32 v23, v19, v18
	v_cmp_lt_u32_e32 vcc, v34, v23
	s_or_b64 s[4:5], s[34:35], vcc
	s_and_saveexec_b64 s[0:1], s[4:5]
	s_cbranch_execz .LBB1306_366
; %bb.364:
	v_and_b32_e32 v25, 1, v16
	v_cmp_eq_u32_e32 vcc, 1, v25
	s_and_b64 exec, exec, vcc
	s_cbranch_execz .LBB1306_366
; %bb.365:
	s_lshl_b64 s[4:5], s[22:23], 3
	s_add_u32 s4, s2, s4
	s_addc_u32 s5, s3, s5
	v_mov_b32_e32 v35, 0
	v_lshl_add_u64 v[36:37], v[34:35], 3, s[4:5]
	global_store_dwordx2 v[36:37], v[10:11], off
.LBB1306_366:
	s_or_b64 exec, exec, s[0:1]
	v_cmp_lt_u32_e32 vcc, v32, v23
	s_or_b64 s[4:5], s[34:35], vcc
	s_and_saveexec_b64 s[0:1], s[4:5]
	s_cbranch_execz .LBB1306_369
; %bb.367:
	v_and_b32_e32 v25, 1, v21
	v_cmp_eq_u32_e32 vcc, 1, v25
	s_and_b64 exec, exec, vcc
	s_cbranch_execz .LBB1306_369
; %bb.368:
	s_lshl_b64 s[4:5], s[22:23], 3
	s_add_u32 s4, s2, s4
	s_addc_u32 s5, s3, s5
	v_mov_b32_e32 v33, 0
	v_lshl_add_u64 v[36:37], v[32:33], 3, s[4:5]
	global_store_dwordx2 v[36:37], v[12:13], off
.LBB1306_369:
	s_or_b64 exec, exec, s[0:1]
	v_cmp_lt_u32_e32 vcc, v30, v23
	s_or_b64 s[4:5], s[34:35], vcc
	s_and_saveexec_b64 s[0:1], s[4:5]
	s_cbranch_execz .LBB1306_372
; %bb.370:
	v_mov_b32_e32 v25, 1
	v_and_b32_sdwa v25, v25, v16 dst_sel:DWORD dst_unused:UNUSED_PAD src0_sel:DWORD src1_sel:WORD_1
	v_cmp_eq_u32_e32 vcc, 1, v25
	s_and_b64 exec, exec, vcc
	s_cbranch_execz .LBB1306_372
; %bb.371:
	s_lshl_b64 s[4:5], s[22:23], 3
	s_add_u32 s4, s2, s4
	s_addc_u32 s5, s3, s5
	v_mov_b32_e32 v31, 0
	v_lshl_add_u64 v[36:37], v[30:31], 3, s[4:5]
	global_store_dwordx2 v[36:37], v[6:7], off
.LBB1306_372:
	s_or_b64 exec, exec, s[0:1]
	v_cmp_lt_u32_e32 vcc, v28, v23
	s_or_b64 s[4:5], s[34:35], vcc
	s_and_saveexec_b64 s[0:1], s[4:5]
	s_cbranch_execz .LBB1306_375
; %bb.373:
	v_and_b32_e32 v25, 1, v20
	v_cmp_eq_u32_e32 vcc, 1, v25
	s_and_b64 exec, exec, vcc
	s_cbranch_execz .LBB1306_375
; %bb.374:
	s_lshl_b64 s[4:5], s[22:23], 3
	s_add_u32 s4, s2, s4
	s_addc_u32 s5, s3, s5
	v_mov_b32_e32 v29, 0
	v_lshl_add_u64 v[36:37], v[28:29], 3, s[4:5]
	global_store_dwordx2 v[36:37], v[8:9], off
.LBB1306_375:
	s_or_b64 exec, exec, s[0:1]
	v_cmp_lt_u32_e32 vcc, v26, v23
	s_or_b64 s[4:5], s[34:35], vcc
	s_and_saveexec_b64 s[0:1], s[4:5]
	s_cbranch_execz .LBB1306_378
; %bb.376:
	v_and_b32_e32 v25, 1, v17
	v_cmp_eq_u32_e32 vcc, 1, v25
	s_and_b64 exec, exec, vcc
	s_cbranch_execz .LBB1306_378
; %bb.377:
	s_lshl_b64 s[4:5], s[22:23], 3
	s_add_u32 s4, s2, s4
	s_addc_u32 s5, s3, s5
	v_mov_b32_e32 v27, 0
	v_lshl_add_u64 v[36:37], v[26:27], 3, s[4:5]
	global_store_dwordx2 v[36:37], v[2:3], off
.LBB1306_378:
	;; [unrolled: 18-line block ×3, first 2 shown]
	s_or_b64 exec, exec, s[0:1]
	v_cmp_lt_u32_e32 vcc, v22, v23
	s_or_b64 s[4:5], s[34:35], vcc
	s_and_saveexec_b64 s[0:1], s[4:5]
	s_cbranch_execz .LBB1306_384
; %bb.382:
	v_mov_b32_e32 v23, 1
	v_and_b32_sdwa v23, v23, v17 dst_sel:DWORD dst_unused:UNUSED_PAD src0_sel:DWORD src1_sel:WORD_1
	v_cmp_eq_u32_e32 vcc, 1, v23
	s_and_b64 exec, exec, vcc
	s_cbranch_execz .LBB1306_384
; %bb.383:
	s_lshl_b64 s[4:5], s[22:23], 3
	s_add_u32 s4, s2, s4
	s_addc_u32 s5, s3, s5
	v_mov_b32_e32 v23, 0
	v_lshl_add_u64 v[36:37], v[22:23], 3, s[4:5]
	global_store_dwordx2 v[36:37], v[14:15], off
.LBB1306_384:
	s_or_b64 exec, exec, s[0:1]
	s_branch .LBB1306_361
.LBB1306_385:
	v_and_b32_e32 v23, 1, v16
	v_cmp_eq_u32_e32 vcc, 1, v23
	s_and_saveexec_b64 s[0:1], vcc
	s_cbranch_execz .LBB1306_387
; %bb.386:
	v_sub_u32_e32 v23, v34, v19
	v_lshlrev_b32_e32 v23, 3, v23
	ds_write_b64 v23, v[10:11]
.LBB1306_387:
	s_or_b64 exec, exec, s[0:1]
	v_and_b32_e32 v10, 1, v21
	v_cmp_eq_u32_e32 vcc, 1, v10
	s_and_saveexec_b64 s[0:1], vcc
	s_cbranch_execz .LBB1306_389
; %bb.388:
	v_sub_u32_e32 v10, v32, v19
	v_lshlrev_b32_e32 v10, 3, v10
	ds_write_b64 v10, v[12:13]
.LBB1306_389:
	s_or_b64 exec, exec, s[0:1]
	v_mov_b32_e32 v10, 1
	v_and_b32_sdwa v10, v10, v16 dst_sel:DWORD dst_unused:UNUSED_PAD src0_sel:DWORD src1_sel:WORD_1
	v_cmp_eq_u32_e32 vcc, 1, v10
	s_and_saveexec_b64 s[0:1], vcc
	s_cbranch_execz .LBB1306_391
; %bb.390:
	v_sub_u32_e32 v10, v30, v19
	v_lshlrev_b32_e32 v10, 3, v10
	ds_write_b64 v10, v[6:7]
.LBB1306_391:
	s_or_b64 exec, exec, s[0:1]
	v_and_b32_e32 v6, 1, v20
	v_cmp_eq_u32_e32 vcc, 1, v6
	s_and_saveexec_b64 s[0:1], vcc
	s_cbranch_execz .LBB1306_393
; %bb.392:
	v_sub_u32_e32 v6, v28, v19
	v_lshlrev_b32_e32 v6, 3, v6
	ds_write_b64 v6, v[8:9]
.LBB1306_393:
	s_or_b64 exec, exec, s[0:1]
	v_and_b32_e32 v6, 1, v17
	;; [unrolled: 10-line block ×3, first 2 shown]
	v_cmp_eq_u32_e32 vcc, 1, v1
	s_and_saveexec_b64 s[0:1], vcc
	s_cbranch_execz .LBB1306_397
; %bb.396:
	v_sub_u32_e32 v1, v24, v19
	v_lshlrev_b32_e32 v1, 3, v1
	ds_write_b64 v1, v[4:5]
.LBB1306_397:
	s_or_b64 exec, exec, s[0:1]
	v_mov_b32_e32 v1, 1
	v_and_b32_sdwa v1, v1, v17 dst_sel:DWORD dst_unused:UNUSED_PAD src0_sel:DWORD src1_sel:WORD_1
	v_cmp_eq_u32_e32 vcc, 1, v1
	s_and_saveexec_b64 s[0:1], vcc
	s_cbranch_execz .LBB1306_399
; %bb.398:
	v_sub_u32_e32 v1, v22, v19
	v_lshlrev_b32_e32 v1, 3, v1
	ds_write_b64 v1, v[14:15]
.LBB1306_399:
	s_or_b64 exec, exec, s[0:1]
	v_cmp_lt_u32_e32 vcc, v0, v18
	s_waitcnt lgkmcnt(0)
	s_barrier
	s_and_saveexec_b64 s[0:1], vcc
	s_cbranch_execz .LBB1306_402
; %bb.400:
	v_mov_b32_e32 v5, 0
	v_mov_b32_e32 v4, v19
	s_lshl_b64 s[4:5], s[22:23], 3
	v_lshlrev_b64 v[6:7], 3, v[4:5]
	v_lshl_add_u64 v[6:7], s[4:5], 0, v[6:7]
	v_lshlrev_b32_e32 v2, 3, v0
	v_mov_b32_e32 v3, v5
	v_lshl_add_u64 v[4:5], s[2:3], 0, v[6:7]
	v_lshl_add_u64 v[4:5], v[4:5], 0, v[2:3]
	s_mov_b64 s[2:3], 0
	s_mov_b64 s[4:5], 0x1000
	v_mov_b32_e32 v1, v0
.LBB1306_401:                           ; =>This Inner Loop Header: Depth=1
	ds_read_b64 v[6:7], v2
	v_add_u32_e32 v1, 0x200, v1
	v_cmp_ge_u32_e32 vcc, v1, v18
	v_add_u32_e32 v2, 0x1000, v2
	s_or_b64 s[2:3], vcc, s[2:3]
	s_waitcnt lgkmcnt(0)
	global_store_dwordx2 v[4:5], v[6:7], off
	v_lshl_add_u64 v[4:5], v[4:5], 0, s[4:5]
	s_andn2_b64 exec, exec, s[2:3]
	s_cbranch_execnz .LBB1306_401
.LBB1306_402:
	s_or_b64 exec, exec, s[0:1]
	v_cmp_eq_u32_e32 vcc, 0, v0
	s_and_b64 s[0:1], vcc, s[24:25]
	s_and_saveexec_b64 s[2:3], s[0:1]
	s_cbranch_execz .LBB1306_362
.LBB1306_403:
	v_mov_b32_e32 v1, 0
	v_mov_b32_e32 v0, v18
	v_lshl_add_u64 v[2:3], s[22:23], 0, v[0:1]
	v_mov_b32_e32 v0, v19
	v_lshl_add_u64 v[2:3], v[2:3], 0, v[0:1]
	global_store_dwordx2 v1, v[2:3], s[20:21]
	s_endpgm
	.section	.rodata,"a",@progbits
	.p2align	6, 0x0
	.amdhsa_kernel _ZN7rocprim17ROCPRIM_400000_NS6detail17trampoline_kernelINS0_14default_configENS1_25partition_config_selectorILNS1_17partition_subalgoE8ElNS0_10empty_typeEbEEZZNS1_14partition_implILS5_8ELb0ES3_jPlPS6_PKS6_NS0_5tupleIJS9_S6_EEENSD_IJSA_SA_EEENS0_18inequality_wrapperIZN2at6native12_GLOBAL__N_124unique_dim_cuda_templateIN3c104HalfEEESt5tupleIJNSH_6TensorESO_SO_EERKSO_lbbbEUlllE0_EEPmJS6_EEE10hipError_tPvRmT3_T4_T5_T6_T7_T9_mT8_P12ihipStream_tbDpT10_ENKUlT_T0_E_clISt17integral_constantIbLb0EES1E_EEDaS19_S1A_EUlS19_E_NS1_11comp_targetILNS1_3genE5ELNS1_11target_archE942ELNS1_3gpuE9ELNS1_3repE0EEENS1_30default_config_static_selectorELNS0_4arch9wavefront6targetE1EEEvT1_
		.amdhsa_group_segment_fixed_size 28684
		.amdhsa_private_segment_fixed_size 0
		.amdhsa_kernarg_size 120
		.amdhsa_user_sgpr_count 2
		.amdhsa_user_sgpr_dispatch_ptr 0
		.amdhsa_user_sgpr_queue_ptr 0
		.amdhsa_user_sgpr_kernarg_segment_ptr 1
		.amdhsa_user_sgpr_dispatch_id 0
		.amdhsa_user_sgpr_kernarg_preload_length 0
		.amdhsa_user_sgpr_kernarg_preload_offset 0
		.amdhsa_user_sgpr_private_segment_size 0
		.amdhsa_uses_dynamic_stack 0
		.amdhsa_enable_private_segment 0
		.amdhsa_system_sgpr_workgroup_id_x 1
		.amdhsa_system_sgpr_workgroup_id_y 0
		.amdhsa_system_sgpr_workgroup_id_z 0
		.amdhsa_system_sgpr_workgroup_info 0
		.amdhsa_system_vgpr_workitem_id 0
		.amdhsa_next_free_vgpr 52
		.amdhsa_next_free_sgpr 52
		.amdhsa_accum_offset 52
		.amdhsa_reserve_vcc 1
		.amdhsa_float_round_mode_32 0
		.amdhsa_float_round_mode_16_64 0
		.amdhsa_float_denorm_mode_32 3
		.amdhsa_float_denorm_mode_16_64 3
		.amdhsa_dx10_clamp 1
		.amdhsa_ieee_mode 1
		.amdhsa_fp16_overflow 0
		.amdhsa_tg_split 0
		.amdhsa_exception_fp_ieee_invalid_op 0
		.amdhsa_exception_fp_denorm_src 0
		.amdhsa_exception_fp_ieee_div_zero 0
		.amdhsa_exception_fp_ieee_overflow 0
		.amdhsa_exception_fp_ieee_underflow 0
		.amdhsa_exception_fp_ieee_inexact 0
		.amdhsa_exception_int_div_zero 0
	.end_amdhsa_kernel
	.section	.text._ZN7rocprim17ROCPRIM_400000_NS6detail17trampoline_kernelINS0_14default_configENS1_25partition_config_selectorILNS1_17partition_subalgoE8ElNS0_10empty_typeEbEEZZNS1_14partition_implILS5_8ELb0ES3_jPlPS6_PKS6_NS0_5tupleIJS9_S6_EEENSD_IJSA_SA_EEENS0_18inequality_wrapperIZN2at6native12_GLOBAL__N_124unique_dim_cuda_templateIN3c104HalfEEESt5tupleIJNSH_6TensorESO_SO_EERKSO_lbbbEUlllE0_EEPmJS6_EEE10hipError_tPvRmT3_T4_T5_T6_T7_T9_mT8_P12ihipStream_tbDpT10_ENKUlT_T0_E_clISt17integral_constantIbLb0EES1E_EEDaS19_S1A_EUlS19_E_NS1_11comp_targetILNS1_3genE5ELNS1_11target_archE942ELNS1_3gpuE9ELNS1_3repE0EEENS1_30default_config_static_selectorELNS0_4arch9wavefront6targetE1EEEvT1_,"axG",@progbits,_ZN7rocprim17ROCPRIM_400000_NS6detail17trampoline_kernelINS0_14default_configENS1_25partition_config_selectorILNS1_17partition_subalgoE8ElNS0_10empty_typeEbEEZZNS1_14partition_implILS5_8ELb0ES3_jPlPS6_PKS6_NS0_5tupleIJS9_S6_EEENSD_IJSA_SA_EEENS0_18inequality_wrapperIZN2at6native12_GLOBAL__N_124unique_dim_cuda_templateIN3c104HalfEEESt5tupleIJNSH_6TensorESO_SO_EERKSO_lbbbEUlllE0_EEPmJS6_EEE10hipError_tPvRmT3_T4_T5_T6_T7_T9_mT8_P12ihipStream_tbDpT10_ENKUlT_T0_E_clISt17integral_constantIbLb0EES1E_EEDaS19_S1A_EUlS19_E_NS1_11comp_targetILNS1_3genE5ELNS1_11target_archE942ELNS1_3gpuE9ELNS1_3repE0EEENS1_30default_config_static_selectorELNS0_4arch9wavefront6targetE1EEEvT1_,comdat
.Lfunc_end1306:
	.size	_ZN7rocprim17ROCPRIM_400000_NS6detail17trampoline_kernelINS0_14default_configENS1_25partition_config_selectorILNS1_17partition_subalgoE8ElNS0_10empty_typeEbEEZZNS1_14partition_implILS5_8ELb0ES3_jPlPS6_PKS6_NS0_5tupleIJS9_S6_EEENSD_IJSA_SA_EEENS0_18inequality_wrapperIZN2at6native12_GLOBAL__N_124unique_dim_cuda_templateIN3c104HalfEEESt5tupleIJNSH_6TensorESO_SO_EERKSO_lbbbEUlllE0_EEPmJS6_EEE10hipError_tPvRmT3_T4_T5_T6_T7_T9_mT8_P12ihipStream_tbDpT10_ENKUlT_T0_E_clISt17integral_constantIbLb0EES1E_EEDaS19_S1A_EUlS19_E_NS1_11comp_targetILNS1_3genE5ELNS1_11target_archE942ELNS1_3gpuE9ELNS1_3repE0EEENS1_30default_config_static_selectorELNS0_4arch9wavefront6targetE1EEEvT1_, .Lfunc_end1306-_ZN7rocprim17ROCPRIM_400000_NS6detail17trampoline_kernelINS0_14default_configENS1_25partition_config_selectorILNS1_17partition_subalgoE8ElNS0_10empty_typeEbEEZZNS1_14partition_implILS5_8ELb0ES3_jPlPS6_PKS6_NS0_5tupleIJS9_S6_EEENSD_IJSA_SA_EEENS0_18inequality_wrapperIZN2at6native12_GLOBAL__N_124unique_dim_cuda_templateIN3c104HalfEEESt5tupleIJNSH_6TensorESO_SO_EERKSO_lbbbEUlllE0_EEPmJS6_EEE10hipError_tPvRmT3_T4_T5_T6_T7_T9_mT8_P12ihipStream_tbDpT10_ENKUlT_T0_E_clISt17integral_constantIbLb0EES1E_EEDaS19_S1A_EUlS19_E_NS1_11comp_targetILNS1_3genE5ELNS1_11target_archE942ELNS1_3gpuE9ELNS1_3repE0EEENS1_30default_config_static_selectorELNS0_4arch9wavefront6targetE1EEEvT1_
                                        ; -- End function
	.section	.AMDGPU.csdata,"",@progbits
; Kernel info:
; codeLenInByte = 12836
; NumSgprs: 58
; NumVgprs: 52
; NumAgprs: 0
; TotalNumVgprs: 52
; ScratchSize: 0
; MemoryBound: 0
; FloatMode: 240
; IeeeMode: 1
; LDSByteSize: 28684 bytes/workgroup (compile time only)
; SGPRBlocks: 7
; VGPRBlocks: 6
; NumSGPRsForWavesPerEU: 58
; NumVGPRsForWavesPerEU: 52
; AccumOffset: 52
; Occupancy: 4
; WaveLimiterHint : 1
; COMPUTE_PGM_RSRC2:SCRATCH_EN: 0
; COMPUTE_PGM_RSRC2:USER_SGPR: 2
; COMPUTE_PGM_RSRC2:TRAP_HANDLER: 0
; COMPUTE_PGM_RSRC2:TGID_X_EN: 1
; COMPUTE_PGM_RSRC2:TGID_Y_EN: 0
; COMPUTE_PGM_RSRC2:TGID_Z_EN: 0
; COMPUTE_PGM_RSRC2:TIDIG_COMP_CNT: 0
; COMPUTE_PGM_RSRC3_GFX90A:ACCUM_OFFSET: 12
; COMPUTE_PGM_RSRC3_GFX90A:TG_SPLIT: 0
	.section	.text._ZN7rocprim17ROCPRIM_400000_NS6detail17trampoline_kernelINS0_14default_configENS1_25partition_config_selectorILNS1_17partition_subalgoE8ElNS0_10empty_typeEbEEZZNS1_14partition_implILS5_8ELb0ES3_jPlPS6_PKS6_NS0_5tupleIJS9_S6_EEENSD_IJSA_SA_EEENS0_18inequality_wrapperIZN2at6native12_GLOBAL__N_124unique_dim_cuda_templateIN3c104HalfEEESt5tupleIJNSH_6TensorESO_SO_EERKSO_lbbbEUlllE0_EEPmJS6_EEE10hipError_tPvRmT3_T4_T5_T6_T7_T9_mT8_P12ihipStream_tbDpT10_ENKUlT_T0_E_clISt17integral_constantIbLb0EES1E_EEDaS19_S1A_EUlS19_E_NS1_11comp_targetILNS1_3genE4ELNS1_11target_archE910ELNS1_3gpuE8ELNS1_3repE0EEENS1_30default_config_static_selectorELNS0_4arch9wavefront6targetE1EEEvT1_,"axG",@progbits,_ZN7rocprim17ROCPRIM_400000_NS6detail17trampoline_kernelINS0_14default_configENS1_25partition_config_selectorILNS1_17partition_subalgoE8ElNS0_10empty_typeEbEEZZNS1_14partition_implILS5_8ELb0ES3_jPlPS6_PKS6_NS0_5tupleIJS9_S6_EEENSD_IJSA_SA_EEENS0_18inequality_wrapperIZN2at6native12_GLOBAL__N_124unique_dim_cuda_templateIN3c104HalfEEESt5tupleIJNSH_6TensorESO_SO_EERKSO_lbbbEUlllE0_EEPmJS6_EEE10hipError_tPvRmT3_T4_T5_T6_T7_T9_mT8_P12ihipStream_tbDpT10_ENKUlT_T0_E_clISt17integral_constantIbLb0EES1E_EEDaS19_S1A_EUlS19_E_NS1_11comp_targetILNS1_3genE4ELNS1_11target_archE910ELNS1_3gpuE8ELNS1_3repE0EEENS1_30default_config_static_selectorELNS0_4arch9wavefront6targetE1EEEvT1_,comdat
	.globl	_ZN7rocprim17ROCPRIM_400000_NS6detail17trampoline_kernelINS0_14default_configENS1_25partition_config_selectorILNS1_17partition_subalgoE8ElNS0_10empty_typeEbEEZZNS1_14partition_implILS5_8ELb0ES3_jPlPS6_PKS6_NS0_5tupleIJS9_S6_EEENSD_IJSA_SA_EEENS0_18inequality_wrapperIZN2at6native12_GLOBAL__N_124unique_dim_cuda_templateIN3c104HalfEEESt5tupleIJNSH_6TensorESO_SO_EERKSO_lbbbEUlllE0_EEPmJS6_EEE10hipError_tPvRmT3_T4_T5_T6_T7_T9_mT8_P12ihipStream_tbDpT10_ENKUlT_T0_E_clISt17integral_constantIbLb0EES1E_EEDaS19_S1A_EUlS19_E_NS1_11comp_targetILNS1_3genE4ELNS1_11target_archE910ELNS1_3gpuE8ELNS1_3repE0EEENS1_30default_config_static_selectorELNS0_4arch9wavefront6targetE1EEEvT1_ ; -- Begin function _ZN7rocprim17ROCPRIM_400000_NS6detail17trampoline_kernelINS0_14default_configENS1_25partition_config_selectorILNS1_17partition_subalgoE8ElNS0_10empty_typeEbEEZZNS1_14partition_implILS5_8ELb0ES3_jPlPS6_PKS6_NS0_5tupleIJS9_S6_EEENSD_IJSA_SA_EEENS0_18inequality_wrapperIZN2at6native12_GLOBAL__N_124unique_dim_cuda_templateIN3c104HalfEEESt5tupleIJNSH_6TensorESO_SO_EERKSO_lbbbEUlllE0_EEPmJS6_EEE10hipError_tPvRmT3_T4_T5_T6_T7_T9_mT8_P12ihipStream_tbDpT10_ENKUlT_T0_E_clISt17integral_constantIbLb0EES1E_EEDaS19_S1A_EUlS19_E_NS1_11comp_targetILNS1_3genE4ELNS1_11target_archE910ELNS1_3gpuE8ELNS1_3repE0EEENS1_30default_config_static_selectorELNS0_4arch9wavefront6targetE1EEEvT1_
	.p2align	8
	.type	_ZN7rocprim17ROCPRIM_400000_NS6detail17trampoline_kernelINS0_14default_configENS1_25partition_config_selectorILNS1_17partition_subalgoE8ElNS0_10empty_typeEbEEZZNS1_14partition_implILS5_8ELb0ES3_jPlPS6_PKS6_NS0_5tupleIJS9_S6_EEENSD_IJSA_SA_EEENS0_18inequality_wrapperIZN2at6native12_GLOBAL__N_124unique_dim_cuda_templateIN3c104HalfEEESt5tupleIJNSH_6TensorESO_SO_EERKSO_lbbbEUlllE0_EEPmJS6_EEE10hipError_tPvRmT3_T4_T5_T6_T7_T9_mT8_P12ihipStream_tbDpT10_ENKUlT_T0_E_clISt17integral_constantIbLb0EES1E_EEDaS19_S1A_EUlS19_E_NS1_11comp_targetILNS1_3genE4ELNS1_11target_archE910ELNS1_3gpuE8ELNS1_3repE0EEENS1_30default_config_static_selectorELNS0_4arch9wavefront6targetE1EEEvT1_,@function
_ZN7rocprim17ROCPRIM_400000_NS6detail17trampoline_kernelINS0_14default_configENS1_25partition_config_selectorILNS1_17partition_subalgoE8ElNS0_10empty_typeEbEEZZNS1_14partition_implILS5_8ELb0ES3_jPlPS6_PKS6_NS0_5tupleIJS9_S6_EEENSD_IJSA_SA_EEENS0_18inequality_wrapperIZN2at6native12_GLOBAL__N_124unique_dim_cuda_templateIN3c104HalfEEESt5tupleIJNSH_6TensorESO_SO_EERKSO_lbbbEUlllE0_EEPmJS6_EEE10hipError_tPvRmT3_T4_T5_T6_T7_T9_mT8_P12ihipStream_tbDpT10_ENKUlT_T0_E_clISt17integral_constantIbLb0EES1E_EEDaS19_S1A_EUlS19_E_NS1_11comp_targetILNS1_3genE4ELNS1_11target_archE910ELNS1_3gpuE8ELNS1_3repE0EEENS1_30default_config_static_selectorELNS0_4arch9wavefront6targetE1EEEvT1_: ; @_ZN7rocprim17ROCPRIM_400000_NS6detail17trampoline_kernelINS0_14default_configENS1_25partition_config_selectorILNS1_17partition_subalgoE8ElNS0_10empty_typeEbEEZZNS1_14partition_implILS5_8ELb0ES3_jPlPS6_PKS6_NS0_5tupleIJS9_S6_EEENSD_IJSA_SA_EEENS0_18inequality_wrapperIZN2at6native12_GLOBAL__N_124unique_dim_cuda_templateIN3c104HalfEEESt5tupleIJNSH_6TensorESO_SO_EERKSO_lbbbEUlllE0_EEPmJS6_EEE10hipError_tPvRmT3_T4_T5_T6_T7_T9_mT8_P12ihipStream_tbDpT10_ENKUlT_T0_E_clISt17integral_constantIbLb0EES1E_EEDaS19_S1A_EUlS19_E_NS1_11comp_targetILNS1_3genE4ELNS1_11target_archE910ELNS1_3gpuE8ELNS1_3repE0EEENS1_30default_config_static_selectorELNS0_4arch9wavefront6targetE1EEEvT1_
; %bb.0:
	.section	.rodata,"a",@progbits
	.p2align	6, 0x0
	.amdhsa_kernel _ZN7rocprim17ROCPRIM_400000_NS6detail17trampoline_kernelINS0_14default_configENS1_25partition_config_selectorILNS1_17partition_subalgoE8ElNS0_10empty_typeEbEEZZNS1_14partition_implILS5_8ELb0ES3_jPlPS6_PKS6_NS0_5tupleIJS9_S6_EEENSD_IJSA_SA_EEENS0_18inequality_wrapperIZN2at6native12_GLOBAL__N_124unique_dim_cuda_templateIN3c104HalfEEESt5tupleIJNSH_6TensorESO_SO_EERKSO_lbbbEUlllE0_EEPmJS6_EEE10hipError_tPvRmT3_T4_T5_T6_T7_T9_mT8_P12ihipStream_tbDpT10_ENKUlT_T0_E_clISt17integral_constantIbLb0EES1E_EEDaS19_S1A_EUlS19_E_NS1_11comp_targetILNS1_3genE4ELNS1_11target_archE910ELNS1_3gpuE8ELNS1_3repE0EEENS1_30default_config_static_selectorELNS0_4arch9wavefront6targetE1EEEvT1_
		.amdhsa_group_segment_fixed_size 0
		.amdhsa_private_segment_fixed_size 0
		.amdhsa_kernarg_size 120
		.amdhsa_user_sgpr_count 2
		.amdhsa_user_sgpr_dispatch_ptr 0
		.amdhsa_user_sgpr_queue_ptr 0
		.amdhsa_user_sgpr_kernarg_segment_ptr 1
		.amdhsa_user_sgpr_dispatch_id 0
		.amdhsa_user_sgpr_kernarg_preload_length 0
		.amdhsa_user_sgpr_kernarg_preload_offset 0
		.amdhsa_user_sgpr_private_segment_size 0
		.amdhsa_uses_dynamic_stack 0
		.amdhsa_enable_private_segment 0
		.amdhsa_system_sgpr_workgroup_id_x 1
		.amdhsa_system_sgpr_workgroup_id_y 0
		.amdhsa_system_sgpr_workgroup_id_z 0
		.amdhsa_system_sgpr_workgroup_info 0
		.amdhsa_system_vgpr_workitem_id 0
		.amdhsa_next_free_vgpr 1
		.amdhsa_next_free_sgpr 0
		.amdhsa_accum_offset 4
		.amdhsa_reserve_vcc 0
		.amdhsa_float_round_mode_32 0
		.amdhsa_float_round_mode_16_64 0
		.amdhsa_float_denorm_mode_32 3
		.amdhsa_float_denorm_mode_16_64 3
		.amdhsa_dx10_clamp 1
		.amdhsa_ieee_mode 1
		.amdhsa_fp16_overflow 0
		.amdhsa_tg_split 0
		.amdhsa_exception_fp_ieee_invalid_op 0
		.amdhsa_exception_fp_denorm_src 0
		.amdhsa_exception_fp_ieee_div_zero 0
		.amdhsa_exception_fp_ieee_overflow 0
		.amdhsa_exception_fp_ieee_underflow 0
		.amdhsa_exception_fp_ieee_inexact 0
		.amdhsa_exception_int_div_zero 0
	.end_amdhsa_kernel
	.section	.text._ZN7rocprim17ROCPRIM_400000_NS6detail17trampoline_kernelINS0_14default_configENS1_25partition_config_selectorILNS1_17partition_subalgoE8ElNS0_10empty_typeEbEEZZNS1_14partition_implILS5_8ELb0ES3_jPlPS6_PKS6_NS0_5tupleIJS9_S6_EEENSD_IJSA_SA_EEENS0_18inequality_wrapperIZN2at6native12_GLOBAL__N_124unique_dim_cuda_templateIN3c104HalfEEESt5tupleIJNSH_6TensorESO_SO_EERKSO_lbbbEUlllE0_EEPmJS6_EEE10hipError_tPvRmT3_T4_T5_T6_T7_T9_mT8_P12ihipStream_tbDpT10_ENKUlT_T0_E_clISt17integral_constantIbLb0EES1E_EEDaS19_S1A_EUlS19_E_NS1_11comp_targetILNS1_3genE4ELNS1_11target_archE910ELNS1_3gpuE8ELNS1_3repE0EEENS1_30default_config_static_selectorELNS0_4arch9wavefront6targetE1EEEvT1_,"axG",@progbits,_ZN7rocprim17ROCPRIM_400000_NS6detail17trampoline_kernelINS0_14default_configENS1_25partition_config_selectorILNS1_17partition_subalgoE8ElNS0_10empty_typeEbEEZZNS1_14partition_implILS5_8ELb0ES3_jPlPS6_PKS6_NS0_5tupleIJS9_S6_EEENSD_IJSA_SA_EEENS0_18inequality_wrapperIZN2at6native12_GLOBAL__N_124unique_dim_cuda_templateIN3c104HalfEEESt5tupleIJNSH_6TensorESO_SO_EERKSO_lbbbEUlllE0_EEPmJS6_EEE10hipError_tPvRmT3_T4_T5_T6_T7_T9_mT8_P12ihipStream_tbDpT10_ENKUlT_T0_E_clISt17integral_constantIbLb0EES1E_EEDaS19_S1A_EUlS19_E_NS1_11comp_targetILNS1_3genE4ELNS1_11target_archE910ELNS1_3gpuE8ELNS1_3repE0EEENS1_30default_config_static_selectorELNS0_4arch9wavefront6targetE1EEEvT1_,comdat
.Lfunc_end1307:
	.size	_ZN7rocprim17ROCPRIM_400000_NS6detail17trampoline_kernelINS0_14default_configENS1_25partition_config_selectorILNS1_17partition_subalgoE8ElNS0_10empty_typeEbEEZZNS1_14partition_implILS5_8ELb0ES3_jPlPS6_PKS6_NS0_5tupleIJS9_S6_EEENSD_IJSA_SA_EEENS0_18inequality_wrapperIZN2at6native12_GLOBAL__N_124unique_dim_cuda_templateIN3c104HalfEEESt5tupleIJNSH_6TensorESO_SO_EERKSO_lbbbEUlllE0_EEPmJS6_EEE10hipError_tPvRmT3_T4_T5_T6_T7_T9_mT8_P12ihipStream_tbDpT10_ENKUlT_T0_E_clISt17integral_constantIbLb0EES1E_EEDaS19_S1A_EUlS19_E_NS1_11comp_targetILNS1_3genE4ELNS1_11target_archE910ELNS1_3gpuE8ELNS1_3repE0EEENS1_30default_config_static_selectorELNS0_4arch9wavefront6targetE1EEEvT1_, .Lfunc_end1307-_ZN7rocprim17ROCPRIM_400000_NS6detail17trampoline_kernelINS0_14default_configENS1_25partition_config_selectorILNS1_17partition_subalgoE8ElNS0_10empty_typeEbEEZZNS1_14partition_implILS5_8ELb0ES3_jPlPS6_PKS6_NS0_5tupleIJS9_S6_EEENSD_IJSA_SA_EEENS0_18inequality_wrapperIZN2at6native12_GLOBAL__N_124unique_dim_cuda_templateIN3c104HalfEEESt5tupleIJNSH_6TensorESO_SO_EERKSO_lbbbEUlllE0_EEPmJS6_EEE10hipError_tPvRmT3_T4_T5_T6_T7_T9_mT8_P12ihipStream_tbDpT10_ENKUlT_T0_E_clISt17integral_constantIbLb0EES1E_EEDaS19_S1A_EUlS19_E_NS1_11comp_targetILNS1_3genE4ELNS1_11target_archE910ELNS1_3gpuE8ELNS1_3repE0EEENS1_30default_config_static_selectorELNS0_4arch9wavefront6targetE1EEEvT1_
                                        ; -- End function
	.section	.AMDGPU.csdata,"",@progbits
; Kernel info:
; codeLenInByte = 0
; NumSgprs: 6
; NumVgprs: 0
; NumAgprs: 0
; TotalNumVgprs: 0
; ScratchSize: 0
; MemoryBound: 0
; FloatMode: 240
; IeeeMode: 1
; LDSByteSize: 0 bytes/workgroup (compile time only)
; SGPRBlocks: 0
; VGPRBlocks: 0
; NumSGPRsForWavesPerEU: 6
; NumVGPRsForWavesPerEU: 1
; AccumOffset: 4
; Occupancy: 8
; WaveLimiterHint : 0
; COMPUTE_PGM_RSRC2:SCRATCH_EN: 0
; COMPUTE_PGM_RSRC2:USER_SGPR: 2
; COMPUTE_PGM_RSRC2:TRAP_HANDLER: 0
; COMPUTE_PGM_RSRC2:TGID_X_EN: 1
; COMPUTE_PGM_RSRC2:TGID_Y_EN: 0
; COMPUTE_PGM_RSRC2:TGID_Z_EN: 0
; COMPUTE_PGM_RSRC2:TIDIG_COMP_CNT: 0
; COMPUTE_PGM_RSRC3_GFX90A:ACCUM_OFFSET: 0
; COMPUTE_PGM_RSRC3_GFX90A:TG_SPLIT: 0
	.section	.text._ZN7rocprim17ROCPRIM_400000_NS6detail17trampoline_kernelINS0_14default_configENS1_25partition_config_selectorILNS1_17partition_subalgoE8ElNS0_10empty_typeEbEEZZNS1_14partition_implILS5_8ELb0ES3_jPlPS6_PKS6_NS0_5tupleIJS9_S6_EEENSD_IJSA_SA_EEENS0_18inequality_wrapperIZN2at6native12_GLOBAL__N_124unique_dim_cuda_templateIN3c104HalfEEESt5tupleIJNSH_6TensorESO_SO_EERKSO_lbbbEUlllE0_EEPmJS6_EEE10hipError_tPvRmT3_T4_T5_T6_T7_T9_mT8_P12ihipStream_tbDpT10_ENKUlT_T0_E_clISt17integral_constantIbLb0EES1E_EEDaS19_S1A_EUlS19_E_NS1_11comp_targetILNS1_3genE3ELNS1_11target_archE908ELNS1_3gpuE7ELNS1_3repE0EEENS1_30default_config_static_selectorELNS0_4arch9wavefront6targetE1EEEvT1_,"axG",@progbits,_ZN7rocprim17ROCPRIM_400000_NS6detail17trampoline_kernelINS0_14default_configENS1_25partition_config_selectorILNS1_17partition_subalgoE8ElNS0_10empty_typeEbEEZZNS1_14partition_implILS5_8ELb0ES3_jPlPS6_PKS6_NS0_5tupleIJS9_S6_EEENSD_IJSA_SA_EEENS0_18inequality_wrapperIZN2at6native12_GLOBAL__N_124unique_dim_cuda_templateIN3c104HalfEEESt5tupleIJNSH_6TensorESO_SO_EERKSO_lbbbEUlllE0_EEPmJS6_EEE10hipError_tPvRmT3_T4_T5_T6_T7_T9_mT8_P12ihipStream_tbDpT10_ENKUlT_T0_E_clISt17integral_constantIbLb0EES1E_EEDaS19_S1A_EUlS19_E_NS1_11comp_targetILNS1_3genE3ELNS1_11target_archE908ELNS1_3gpuE7ELNS1_3repE0EEENS1_30default_config_static_selectorELNS0_4arch9wavefront6targetE1EEEvT1_,comdat
	.globl	_ZN7rocprim17ROCPRIM_400000_NS6detail17trampoline_kernelINS0_14default_configENS1_25partition_config_selectorILNS1_17partition_subalgoE8ElNS0_10empty_typeEbEEZZNS1_14partition_implILS5_8ELb0ES3_jPlPS6_PKS6_NS0_5tupleIJS9_S6_EEENSD_IJSA_SA_EEENS0_18inequality_wrapperIZN2at6native12_GLOBAL__N_124unique_dim_cuda_templateIN3c104HalfEEESt5tupleIJNSH_6TensorESO_SO_EERKSO_lbbbEUlllE0_EEPmJS6_EEE10hipError_tPvRmT3_T4_T5_T6_T7_T9_mT8_P12ihipStream_tbDpT10_ENKUlT_T0_E_clISt17integral_constantIbLb0EES1E_EEDaS19_S1A_EUlS19_E_NS1_11comp_targetILNS1_3genE3ELNS1_11target_archE908ELNS1_3gpuE7ELNS1_3repE0EEENS1_30default_config_static_selectorELNS0_4arch9wavefront6targetE1EEEvT1_ ; -- Begin function _ZN7rocprim17ROCPRIM_400000_NS6detail17trampoline_kernelINS0_14default_configENS1_25partition_config_selectorILNS1_17partition_subalgoE8ElNS0_10empty_typeEbEEZZNS1_14partition_implILS5_8ELb0ES3_jPlPS6_PKS6_NS0_5tupleIJS9_S6_EEENSD_IJSA_SA_EEENS0_18inequality_wrapperIZN2at6native12_GLOBAL__N_124unique_dim_cuda_templateIN3c104HalfEEESt5tupleIJNSH_6TensorESO_SO_EERKSO_lbbbEUlllE0_EEPmJS6_EEE10hipError_tPvRmT3_T4_T5_T6_T7_T9_mT8_P12ihipStream_tbDpT10_ENKUlT_T0_E_clISt17integral_constantIbLb0EES1E_EEDaS19_S1A_EUlS19_E_NS1_11comp_targetILNS1_3genE3ELNS1_11target_archE908ELNS1_3gpuE7ELNS1_3repE0EEENS1_30default_config_static_selectorELNS0_4arch9wavefront6targetE1EEEvT1_
	.p2align	8
	.type	_ZN7rocprim17ROCPRIM_400000_NS6detail17trampoline_kernelINS0_14default_configENS1_25partition_config_selectorILNS1_17partition_subalgoE8ElNS0_10empty_typeEbEEZZNS1_14partition_implILS5_8ELb0ES3_jPlPS6_PKS6_NS0_5tupleIJS9_S6_EEENSD_IJSA_SA_EEENS0_18inequality_wrapperIZN2at6native12_GLOBAL__N_124unique_dim_cuda_templateIN3c104HalfEEESt5tupleIJNSH_6TensorESO_SO_EERKSO_lbbbEUlllE0_EEPmJS6_EEE10hipError_tPvRmT3_T4_T5_T6_T7_T9_mT8_P12ihipStream_tbDpT10_ENKUlT_T0_E_clISt17integral_constantIbLb0EES1E_EEDaS19_S1A_EUlS19_E_NS1_11comp_targetILNS1_3genE3ELNS1_11target_archE908ELNS1_3gpuE7ELNS1_3repE0EEENS1_30default_config_static_selectorELNS0_4arch9wavefront6targetE1EEEvT1_,@function
_ZN7rocprim17ROCPRIM_400000_NS6detail17trampoline_kernelINS0_14default_configENS1_25partition_config_selectorILNS1_17partition_subalgoE8ElNS0_10empty_typeEbEEZZNS1_14partition_implILS5_8ELb0ES3_jPlPS6_PKS6_NS0_5tupleIJS9_S6_EEENSD_IJSA_SA_EEENS0_18inequality_wrapperIZN2at6native12_GLOBAL__N_124unique_dim_cuda_templateIN3c104HalfEEESt5tupleIJNSH_6TensorESO_SO_EERKSO_lbbbEUlllE0_EEPmJS6_EEE10hipError_tPvRmT3_T4_T5_T6_T7_T9_mT8_P12ihipStream_tbDpT10_ENKUlT_T0_E_clISt17integral_constantIbLb0EES1E_EEDaS19_S1A_EUlS19_E_NS1_11comp_targetILNS1_3genE3ELNS1_11target_archE908ELNS1_3gpuE7ELNS1_3repE0EEENS1_30default_config_static_selectorELNS0_4arch9wavefront6targetE1EEEvT1_: ; @_ZN7rocprim17ROCPRIM_400000_NS6detail17trampoline_kernelINS0_14default_configENS1_25partition_config_selectorILNS1_17partition_subalgoE8ElNS0_10empty_typeEbEEZZNS1_14partition_implILS5_8ELb0ES3_jPlPS6_PKS6_NS0_5tupleIJS9_S6_EEENSD_IJSA_SA_EEENS0_18inequality_wrapperIZN2at6native12_GLOBAL__N_124unique_dim_cuda_templateIN3c104HalfEEESt5tupleIJNSH_6TensorESO_SO_EERKSO_lbbbEUlllE0_EEPmJS6_EEE10hipError_tPvRmT3_T4_T5_T6_T7_T9_mT8_P12ihipStream_tbDpT10_ENKUlT_T0_E_clISt17integral_constantIbLb0EES1E_EEDaS19_S1A_EUlS19_E_NS1_11comp_targetILNS1_3genE3ELNS1_11target_archE908ELNS1_3gpuE7ELNS1_3repE0EEENS1_30default_config_static_selectorELNS0_4arch9wavefront6targetE1EEEvT1_
; %bb.0:
	.section	.rodata,"a",@progbits
	.p2align	6, 0x0
	.amdhsa_kernel _ZN7rocprim17ROCPRIM_400000_NS6detail17trampoline_kernelINS0_14default_configENS1_25partition_config_selectorILNS1_17partition_subalgoE8ElNS0_10empty_typeEbEEZZNS1_14partition_implILS5_8ELb0ES3_jPlPS6_PKS6_NS0_5tupleIJS9_S6_EEENSD_IJSA_SA_EEENS0_18inequality_wrapperIZN2at6native12_GLOBAL__N_124unique_dim_cuda_templateIN3c104HalfEEESt5tupleIJNSH_6TensorESO_SO_EERKSO_lbbbEUlllE0_EEPmJS6_EEE10hipError_tPvRmT3_T4_T5_T6_T7_T9_mT8_P12ihipStream_tbDpT10_ENKUlT_T0_E_clISt17integral_constantIbLb0EES1E_EEDaS19_S1A_EUlS19_E_NS1_11comp_targetILNS1_3genE3ELNS1_11target_archE908ELNS1_3gpuE7ELNS1_3repE0EEENS1_30default_config_static_selectorELNS0_4arch9wavefront6targetE1EEEvT1_
		.amdhsa_group_segment_fixed_size 0
		.amdhsa_private_segment_fixed_size 0
		.amdhsa_kernarg_size 120
		.amdhsa_user_sgpr_count 2
		.amdhsa_user_sgpr_dispatch_ptr 0
		.amdhsa_user_sgpr_queue_ptr 0
		.amdhsa_user_sgpr_kernarg_segment_ptr 1
		.amdhsa_user_sgpr_dispatch_id 0
		.amdhsa_user_sgpr_kernarg_preload_length 0
		.amdhsa_user_sgpr_kernarg_preload_offset 0
		.amdhsa_user_sgpr_private_segment_size 0
		.amdhsa_uses_dynamic_stack 0
		.amdhsa_enable_private_segment 0
		.amdhsa_system_sgpr_workgroup_id_x 1
		.amdhsa_system_sgpr_workgroup_id_y 0
		.amdhsa_system_sgpr_workgroup_id_z 0
		.amdhsa_system_sgpr_workgroup_info 0
		.amdhsa_system_vgpr_workitem_id 0
		.amdhsa_next_free_vgpr 1
		.amdhsa_next_free_sgpr 0
		.amdhsa_accum_offset 4
		.amdhsa_reserve_vcc 0
		.amdhsa_float_round_mode_32 0
		.amdhsa_float_round_mode_16_64 0
		.amdhsa_float_denorm_mode_32 3
		.amdhsa_float_denorm_mode_16_64 3
		.amdhsa_dx10_clamp 1
		.amdhsa_ieee_mode 1
		.amdhsa_fp16_overflow 0
		.amdhsa_tg_split 0
		.amdhsa_exception_fp_ieee_invalid_op 0
		.amdhsa_exception_fp_denorm_src 0
		.amdhsa_exception_fp_ieee_div_zero 0
		.amdhsa_exception_fp_ieee_overflow 0
		.amdhsa_exception_fp_ieee_underflow 0
		.amdhsa_exception_fp_ieee_inexact 0
		.amdhsa_exception_int_div_zero 0
	.end_amdhsa_kernel
	.section	.text._ZN7rocprim17ROCPRIM_400000_NS6detail17trampoline_kernelINS0_14default_configENS1_25partition_config_selectorILNS1_17partition_subalgoE8ElNS0_10empty_typeEbEEZZNS1_14partition_implILS5_8ELb0ES3_jPlPS6_PKS6_NS0_5tupleIJS9_S6_EEENSD_IJSA_SA_EEENS0_18inequality_wrapperIZN2at6native12_GLOBAL__N_124unique_dim_cuda_templateIN3c104HalfEEESt5tupleIJNSH_6TensorESO_SO_EERKSO_lbbbEUlllE0_EEPmJS6_EEE10hipError_tPvRmT3_T4_T5_T6_T7_T9_mT8_P12ihipStream_tbDpT10_ENKUlT_T0_E_clISt17integral_constantIbLb0EES1E_EEDaS19_S1A_EUlS19_E_NS1_11comp_targetILNS1_3genE3ELNS1_11target_archE908ELNS1_3gpuE7ELNS1_3repE0EEENS1_30default_config_static_selectorELNS0_4arch9wavefront6targetE1EEEvT1_,"axG",@progbits,_ZN7rocprim17ROCPRIM_400000_NS6detail17trampoline_kernelINS0_14default_configENS1_25partition_config_selectorILNS1_17partition_subalgoE8ElNS0_10empty_typeEbEEZZNS1_14partition_implILS5_8ELb0ES3_jPlPS6_PKS6_NS0_5tupleIJS9_S6_EEENSD_IJSA_SA_EEENS0_18inequality_wrapperIZN2at6native12_GLOBAL__N_124unique_dim_cuda_templateIN3c104HalfEEESt5tupleIJNSH_6TensorESO_SO_EERKSO_lbbbEUlllE0_EEPmJS6_EEE10hipError_tPvRmT3_T4_T5_T6_T7_T9_mT8_P12ihipStream_tbDpT10_ENKUlT_T0_E_clISt17integral_constantIbLb0EES1E_EEDaS19_S1A_EUlS19_E_NS1_11comp_targetILNS1_3genE3ELNS1_11target_archE908ELNS1_3gpuE7ELNS1_3repE0EEENS1_30default_config_static_selectorELNS0_4arch9wavefront6targetE1EEEvT1_,comdat
.Lfunc_end1308:
	.size	_ZN7rocprim17ROCPRIM_400000_NS6detail17trampoline_kernelINS0_14default_configENS1_25partition_config_selectorILNS1_17partition_subalgoE8ElNS0_10empty_typeEbEEZZNS1_14partition_implILS5_8ELb0ES3_jPlPS6_PKS6_NS0_5tupleIJS9_S6_EEENSD_IJSA_SA_EEENS0_18inequality_wrapperIZN2at6native12_GLOBAL__N_124unique_dim_cuda_templateIN3c104HalfEEESt5tupleIJNSH_6TensorESO_SO_EERKSO_lbbbEUlllE0_EEPmJS6_EEE10hipError_tPvRmT3_T4_T5_T6_T7_T9_mT8_P12ihipStream_tbDpT10_ENKUlT_T0_E_clISt17integral_constantIbLb0EES1E_EEDaS19_S1A_EUlS19_E_NS1_11comp_targetILNS1_3genE3ELNS1_11target_archE908ELNS1_3gpuE7ELNS1_3repE0EEENS1_30default_config_static_selectorELNS0_4arch9wavefront6targetE1EEEvT1_, .Lfunc_end1308-_ZN7rocprim17ROCPRIM_400000_NS6detail17trampoline_kernelINS0_14default_configENS1_25partition_config_selectorILNS1_17partition_subalgoE8ElNS0_10empty_typeEbEEZZNS1_14partition_implILS5_8ELb0ES3_jPlPS6_PKS6_NS0_5tupleIJS9_S6_EEENSD_IJSA_SA_EEENS0_18inequality_wrapperIZN2at6native12_GLOBAL__N_124unique_dim_cuda_templateIN3c104HalfEEESt5tupleIJNSH_6TensorESO_SO_EERKSO_lbbbEUlllE0_EEPmJS6_EEE10hipError_tPvRmT3_T4_T5_T6_T7_T9_mT8_P12ihipStream_tbDpT10_ENKUlT_T0_E_clISt17integral_constantIbLb0EES1E_EEDaS19_S1A_EUlS19_E_NS1_11comp_targetILNS1_3genE3ELNS1_11target_archE908ELNS1_3gpuE7ELNS1_3repE0EEENS1_30default_config_static_selectorELNS0_4arch9wavefront6targetE1EEEvT1_
                                        ; -- End function
	.section	.AMDGPU.csdata,"",@progbits
; Kernel info:
; codeLenInByte = 0
; NumSgprs: 6
; NumVgprs: 0
; NumAgprs: 0
; TotalNumVgprs: 0
; ScratchSize: 0
; MemoryBound: 0
; FloatMode: 240
; IeeeMode: 1
; LDSByteSize: 0 bytes/workgroup (compile time only)
; SGPRBlocks: 0
; VGPRBlocks: 0
; NumSGPRsForWavesPerEU: 6
; NumVGPRsForWavesPerEU: 1
; AccumOffset: 4
; Occupancy: 8
; WaveLimiterHint : 0
; COMPUTE_PGM_RSRC2:SCRATCH_EN: 0
; COMPUTE_PGM_RSRC2:USER_SGPR: 2
; COMPUTE_PGM_RSRC2:TRAP_HANDLER: 0
; COMPUTE_PGM_RSRC2:TGID_X_EN: 1
; COMPUTE_PGM_RSRC2:TGID_Y_EN: 0
; COMPUTE_PGM_RSRC2:TGID_Z_EN: 0
; COMPUTE_PGM_RSRC2:TIDIG_COMP_CNT: 0
; COMPUTE_PGM_RSRC3_GFX90A:ACCUM_OFFSET: 0
; COMPUTE_PGM_RSRC3_GFX90A:TG_SPLIT: 0
	.section	.text._ZN7rocprim17ROCPRIM_400000_NS6detail17trampoline_kernelINS0_14default_configENS1_25partition_config_selectorILNS1_17partition_subalgoE8ElNS0_10empty_typeEbEEZZNS1_14partition_implILS5_8ELb0ES3_jPlPS6_PKS6_NS0_5tupleIJS9_S6_EEENSD_IJSA_SA_EEENS0_18inequality_wrapperIZN2at6native12_GLOBAL__N_124unique_dim_cuda_templateIN3c104HalfEEESt5tupleIJNSH_6TensorESO_SO_EERKSO_lbbbEUlllE0_EEPmJS6_EEE10hipError_tPvRmT3_T4_T5_T6_T7_T9_mT8_P12ihipStream_tbDpT10_ENKUlT_T0_E_clISt17integral_constantIbLb0EES1E_EEDaS19_S1A_EUlS19_E_NS1_11comp_targetILNS1_3genE2ELNS1_11target_archE906ELNS1_3gpuE6ELNS1_3repE0EEENS1_30default_config_static_selectorELNS0_4arch9wavefront6targetE1EEEvT1_,"axG",@progbits,_ZN7rocprim17ROCPRIM_400000_NS6detail17trampoline_kernelINS0_14default_configENS1_25partition_config_selectorILNS1_17partition_subalgoE8ElNS0_10empty_typeEbEEZZNS1_14partition_implILS5_8ELb0ES3_jPlPS6_PKS6_NS0_5tupleIJS9_S6_EEENSD_IJSA_SA_EEENS0_18inequality_wrapperIZN2at6native12_GLOBAL__N_124unique_dim_cuda_templateIN3c104HalfEEESt5tupleIJNSH_6TensorESO_SO_EERKSO_lbbbEUlllE0_EEPmJS6_EEE10hipError_tPvRmT3_T4_T5_T6_T7_T9_mT8_P12ihipStream_tbDpT10_ENKUlT_T0_E_clISt17integral_constantIbLb0EES1E_EEDaS19_S1A_EUlS19_E_NS1_11comp_targetILNS1_3genE2ELNS1_11target_archE906ELNS1_3gpuE6ELNS1_3repE0EEENS1_30default_config_static_selectorELNS0_4arch9wavefront6targetE1EEEvT1_,comdat
	.globl	_ZN7rocprim17ROCPRIM_400000_NS6detail17trampoline_kernelINS0_14default_configENS1_25partition_config_selectorILNS1_17partition_subalgoE8ElNS0_10empty_typeEbEEZZNS1_14partition_implILS5_8ELb0ES3_jPlPS6_PKS6_NS0_5tupleIJS9_S6_EEENSD_IJSA_SA_EEENS0_18inequality_wrapperIZN2at6native12_GLOBAL__N_124unique_dim_cuda_templateIN3c104HalfEEESt5tupleIJNSH_6TensorESO_SO_EERKSO_lbbbEUlllE0_EEPmJS6_EEE10hipError_tPvRmT3_T4_T5_T6_T7_T9_mT8_P12ihipStream_tbDpT10_ENKUlT_T0_E_clISt17integral_constantIbLb0EES1E_EEDaS19_S1A_EUlS19_E_NS1_11comp_targetILNS1_3genE2ELNS1_11target_archE906ELNS1_3gpuE6ELNS1_3repE0EEENS1_30default_config_static_selectorELNS0_4arch9wavefront6targetE1EEEvT1_ ; -- Begin function _ZN7rocprim17ROCPRIM_400000_NS6detail17trampoline_kernelINS0_14default_configENS1_25partition_config_selectorILNS1_17partition_subalgoE8ElNS0_10empty_typeEbEEZZNS1_14partition_implILS5_8ELb0ES3_jPlPS6_PKS6_NS0_5tupleIJS9_S6_EEENSD_IJSA_SA_EEENS0_18inequality_wrapperIZN2at6native12_GLOBAL__N_124unique_dim_cuda_templateIN3c104HalfEEESt5tupleIJNSH_6TensorESO_SO_EERKSO_lbbbEUlllE0_EEPmJS6_EEE10hipError_tPvRmT3_T4_T5_T6_T7_T9_mT8_P12ihipStream_tbDpT10_ENKUlT_T0_E_clISt17integral_constantIbLb0EES1E_EEDaS19_S1A_EUlS19_E_NS1_11comp_targetILNS1_3genE2ELNS1_11target_archE906ELNS1_3gpuE6ELNS1_3repE0EEENS1_30default_config_static_selectorELNS0_4arch9wavefront6targetE1EEEvT1_
	.p2align	8
	.type	_ZN7rocprim17ROCPRIM_400000_NS6detail17trampoline_kernelINS0_14default_configENS1_25partition_config_selectorILNS1_17partition_subalgoE8ElNS0_10empty_typeEbEEZZNS1_14partition_implILS5_8ELb0ES3_jPlPS6_PKS6_NS0_5tupleIJS9_S6_EEENSD_IJSA_SA_EEENS0_18inequality_wrapperIZN2at6native12_GLOBAL__N_124unique_dim_cuda_templateIN3c104HalfEEESt5tupleIJNSH_6TensorESO_SO_EERKSO_lbbbEUlllE0_EEPmJS6_EEE10hipError_tPvRmT3_T4_T5_T6_T7_T9_mT8_P12ihipStream_tbDpT10_ENKUlT_T0_E_clISt17integral_constantIbLb0EES1E_EEDaS19_S1A_EUlS19_E_NS1_11comp_targetILNS1_3genE2ELNS1_11target_archE906ELNS1_3gpuE6ELNS1_3repE0EEENS1_30default_config_static_selectorELNS0_4arch9wavefront6targetE1EEEvT1_,@function
_ZN7rocprim17ROCPRIM_400000_NS6detail17trampoline_kernelINS0_14default_configENS1_25partition_config_selectorILNS1_17partition_subalgoE8ElNS0_10empty_typeEbEEZZNS1_14partition_implILS5_8ELb0ES3_jPlPS6_PKS6_NS0_5tupleIJS9_S6_EEENSD_IJSA_SA_EEENS0_18inequality_wrapperIZN2at6native12_GLOBAL__N_124unique_dim_cuda_templateIN3c104HalfEEESt5tupleIJNSH_6TensorESO_SO_EERKSO_lbbbEUlllE0_EEPmJS6_EEE10hipError_tPvRmT3_T4_T5_T6_T7_T9_mT8_P12ihipStream_tbDpT10_ENKUlT_T0_E_clISt17integral_constantIbLb0EES1E_EEDaS19_S1A_EUlS19_E_NS1_11comp_targetILNS1_3genE2ELNS1_11target_archE906ELNS1_3gpuE6ELNS1_3repE0EEENS1_30default_config_static_selectorELNS0_4arch9wavefront6targetE1EEEvT1_: ; @_ZN7rocprim17ROCPRIM_400000_NS6detail17trampoline_kernelINS0_14default_configENS1_25partition_config_selectorILNS1_17partition_subalgoE8ElNS0_10empty_typeEbEEZZNS1_14partition_implILS5_8ELb0ES3_jPlPS6_PKS6_NS0_5tupleIJS9_S6_EEENSD_IJSA_SA_EEENS0_18inequality_wrapperIZN2at6native12_GLOBAL__N_124unique_dim_cuda_templateIN3c104HalfEEESt5tupleIJNSH_6TensorESO_SO_EERKSO_lbbbEUlllE0_EEPmJS6_EEE10hipError_tPvRmT3_T4_T5_T6_T7_T9_mT8_P12ihipStream_tbDpT10_ENKUlT_T0_E_clISt17integral_constantIbLb0EES1E_EEDaS19_S1A_EUlS19_E_NS1_11comp_targetILNS1_3genE2ELNS1_11target_archE906ELNS1_3gpuE6ELNS1_3repE0EEENS1_30default_config_static_selectorELNS0_4arch9wavefront6targetE1EEEvT1_
; %bb.0:
	.section	.rodata,"a",@progbits
	.p2align	6, 0x0
	.amdhsa_kernel _ZN7rocprim17ROCPRIM_400000_NS6detail17trampoline_kernelINS0_14default_configENS1_25partition_config_selectorILNS1_17partition_subalgoE8ElNS0_10empty_typeEbEEZZNS1_14partition_implILS5_8ELb0ES3_jPlPS6_PKS6_NS0_5tupleIJS9_S6_EEENSD_IJSA_SA_EEENS0_18inequality_wrapperIZN2at6native12_GLOBAL__N_124unique_dim_cuda_templateIN3c104HalfEEESt5tupleIJNSH_6TensorESO_SO_EERKSO_lbbbEUlllE0_EEPmJS6_EEE10hipError_tPvRmT3_T4_T5_T6_T7_T9_mT8_P12ihipStream_tbDpT10_ENKUlT_T0_E_clISt17integral_constantIbLb0EES1E_EEDaS19_S1A_EUlS19_E_NS1_11comp_targetILNS1_3genE2ELNS1_11target_archE906ELNS1_3gpuE6ELNS1_3repE0EEENS1_30default_config_static_selectorELNS0_4arch9wavefront6targetE1EEEvT1_
		.amdhsa_group_segment_fixed_size 0
		.amdhsa_private_segment_fixed_size 0
		.amdhsa_kernarg_size 120
		.amdhsa_user_sgpr_count 2
		.amdhsa_user_sgpr_dispatch_ptr 0
		.amdhsa_user_sgpr_queue_ptr 0
		.amdhsa_user_sgpr_kernarg_segment_ptr 1
		.amdhsa_user_sgpr_dispatch_id 0
		.amdhsa_user_sgpr_kernarg_preload_length 0
		.amdhsa_user_sgpr_kernarg_preload_offset 0
		.amdhsa_user_sgpr_private_segment_size 0
		.amdhsa_uses_dynamic_stack 0
		.amdhsa_enable_private_segment 0
		.amdhsa_system_sgpr_workgroup_id_x 1
		.amdhsa_system_sgpr_workgroup_id_y 0
		.amdhsa_system_sgpr_workgroup_id_z 0
		.amdhsa_system_sgpr_workgroup_info 0
		.amdhsa_system_vgpr_workitem_id 0
		.amdhsa_next_free_vgpr 1
		.amdhsa_next_free_sgpr 0
		.amdhsa_accum_offset 4
		.amdhsa_reserve_vcc 0
		.amdhsa_float_round_mode_32 0
		.amdhsa_float_round_mode_16_64 0
		.amdhsa_float_denorm_mode_32 3
		.amdhsa_float_denorm_mode_16_64 3
		.amdhsa_dx10_clamp 1
		.amdhsa_ieee_mode 1
		.amdhsa_fp16_overflow 0
		.amdhsa_tg_split 0
		.amdhsa_exception_fp_ieee_invalid_op 0
		.amdhsa_exception_fp_denorm_src 0
		.amdhsa_exception_fp_ieee_div_zero 0
		.amdhsa_exception_fp_ieee_overflow 0
		.amdhsa_exception_fp_ieee_underflow 0
		.amdhsa_exception_fp_ieee_inexact 0
		.amdhsa_exception_int_div_zero 0
	.end_amdhsa_kernel
	.section	.text._ZN7rocprim17ROCPRIM_400000_NS6detail17trampoline_kernelINS0_14default_configENS1_25partition_config_selectorILNS1_17partition_subalgoE8ElNS0_10empty_typeEbEEZZNS1_14partition_implILS5_8ELb0ES3_jPlPS6_PKS6_NS0_5tupleIJS9_S6_EEENSD_IJSA_SA_EEENS0_18inequality_wrapperIZN2at6native12_GLOBAL__N_124unique_dim_cuda_templateIN3c104HalfEEESt5tupleIJNSH_6TensorESO_SO_EERKSO_lbbbEUlllE0_EEPmJS6_EEE10hipError_tPvRmT3_T4_T5_T6_T7_T9_mT8_P12ihipStream_tbDpT10_ENKUlT_T0_E_clISt17integral_constantIbLb0EES1E_EEDaS19_S1A_EUlS19_E_NS1_11comp_targetILNS1_3genE2ELNS1_11target_archE906ELNS1_3gpuE6ELNS1_3repE0EEENS1_30default_config_static_selectorELNS0_4arch9wavefront6targetE1EEEvT1_,"axG",@progbits,_ZN7rocprim17ROCPRIM_400000_NS6detail17trampoline_kernelINS0_14default_configENS1_25partition_config_selectorILNS1_17partition_subalgoE8ElNS0_10empty_typeEbEEZZNS1_14partition_implILS5_8ELb0ES3_jPlPS6_PKS6_NS0_5tupleIJS9_S6_EEENSD_IJSA_SA_EEENS0_18inequality_wrapperIZN2at6native12_GLOBAL__N_124unique_dim_cuda_templateIN3c104HalfEEESt5tupleIJNSH_6TensorESO_SO_EERKSO_lbbbEUlllE0_EEPmJS6_EEE10hipError_tPvRmT3_T4_T5_T6_T7_T9_mT8_P12ihipStream_tbDpT10_ENKUlT_T0_E_clISt17integral_constantIbLb0EES1E_EEDaS19_S1A_EUlS19_E_NS1_11comp_targetILNS1_3genE2ELNS1_11target_archE906ELNS1_3gpuE6ELNS1_3repE0EEENS1_30default_config_static_selectorELNS0_4arch9wavefront6targetE1EEEvT1_,comdat
.Lfunc_end1309:
	.size	_ZN7rocprim17ROCPRIM_400000_NS6detail17trampoline_kernelINS0_14default_configENS1_25partition_config_selectorILNS1_17partition_subalgoE8ElNS0_10empty_typeEbEEZZNS1_14partition_implILS5_8ELb0ES3_jPlPS6_PKS6_NS0_5tupleIJS9_S6_EEENSD_IJSA_SA_EEENS0_18inequality_wrapperIZN2at6native12_GLOBAL__N_124unique_dim_cuda_templateIN3c104HalfEEESt5tupleIJNSH_6TensorESO_SO_EERKSO_lbbbEUlllE0_EEPmJS6_EEE10hipError_tPvRmT3_T4_T5_T6_T7_T9_mT8_P12ihipStream_tbDpT10_ENKUlT_T0_E_clISt17integral_constantIbLb0EES1E_EEDaS19_S1A_EUlS19_E_NS1_11comp_targetILNS1_3genE2ELNS1_11target_archE906ELNS1_3gpuE6ELNS1_3repE0EEENS1_30default_config_static_selectorELNS0_4arch9wavefront6targetE1EEEvT1_, .Lfunc_end1309-_ZN7rocprim17ROCPRIM_400000_NS6detail17trampoline_kernelINS0_14default_configENS1_25partition_config_selectorILNS1_17partition_subalgoE8ElNS0_10empty_typeEbEEZZNS1_14partition_implILS5_8ELb0ES3_jPlPS6_PKS6_NS0_5tupleIJS9_S6_EEENSD_IJSA_SA_EEENS0_18inequality_wrapperIZN2at6native12_GLOBAL__N_124unique_dim_cuda_templateIN3c104HalfEEESt5tupleIJNSH_6TensorESO_SO_EERKSO_lbbbEUlllE0_EEPmJS6_EEE10hipError_tPvRmT3_T4_T5_T6_T7_T9_mT8_P12ihipStream_tbDpT10_ENKUlT_T0_E_clISt17integral_constantIbLb0EES1E_EEDaS19_S1A_EUlS19_E_NS1_11comp_targetILNS1_3genE2ELNS1_11target_archE906ELNS1_3gpuE6ELNS1_3repE0EEENS1_30default_config_static_selectorELNS0_4arch9wavefront6targetE1EEEvT1_
                                        ; -- End function
	.section	.AMDGPU.csdata,"",@progbits
; Kernel info:
; codeLenInByte = 0
; NumSgprs: 6
; NumVgprs: 0
; NumAgprs: 0
; TotalNumVgprs: 0
; ScratchSize: 0
; MemoryBound: 0
; FloatMode: 240
; IeeeMode: 1
; LDSByteSize: 0 bytes/workgroup (compile time only)
; SGPRBlocks: 0
; VGPRBlocks: 0
; NumSGPRsForWavesPerEU: 6
; NumVGPRsForWavesPerEU: 1
; AccumOffset: 4
; Occupancy: 8
; WaveLimiterHint : 0
; COMPUTE_PGM_RSRC2:SCRATCH_EN: 0
; COMPUTE_PGM_RSRC2:USER_SGPR: 2
; COMPUTE_PGM_RSRC2:TRAP_HANDLER: 0
; COMPUTE_PGM_RSRC2:TGID_X_EN: 1
; COMPUTE_PGM_RSRC2:TGID_Y_EN: 0
; COMPUTE_PGM_RSRC2:TGID_Z_EN: 0
; COMPUTE_PGM_RSRC2:TIDIG_COMP_CNT: 0
; COMPUTE_PGM_RSRC3_GFX90A:ACCUM_OFFSET: 0
; COMPUTE_PGM_RSRC3_GFX90A:TG_SPLIT: 0
	.section	.text._ZN7rocprim17ROCPRIM_400000_NS6detail17trampoline_kernelINS0_14default_configENS1_25partition_config_selectorILNS1_17partition_subalgoE8ElNS0_10empty_typeEbEEZZNS1_14partition_implILS5_8ELb0ES3_jPlPS6_PKS6_NS0_5tupleIJS9_S6_EEENSD_IJSA_SA_EEENS0_18inequality_wrapperIZN2at6native12_GLOBAL__N_124unique_dim_cuda_templateIN3c104HalfEEESt5tupleIJNSH_6TensorESO_SO_EERKSO_lbbbEUlllE0_EEPmJS6_EEE10hipError_tPvRmT3_T4_T5_T6_T7_T9_mT8_P12ihipStream_tbDpT10_ENKUlT_T0_E_clISt17integral_constantIbLb0EES1E_EEDaS19_S1A_EUlS19_E_NS1_11comp_targetILNS1_3genE10ELNS1_11target_archE1200ELNS1_3gpuE4ELNS1_3repE0EEENS1_30default_config_static_selectorELNS0_4arch9wavefront6targetE1EEEvT1_,"axG",@progbits,_ZN7rocprim17ROCPRIM_400000_NS6detail17trampoline_kernelINS0_14default_configENS1_25partition_config_selectorILNS1_17partition_subalgoE8ElNS0_10empty_typeEbEEZZNS1_14partition_implILS5_8ELb0ES3_jPlPS6_PKS6_NS0_5tupleIJS9_S6_EEENSD_IJSA_SA_EEENS0_18inequality_wrapperIZN2at6native12_GLOBAL__N_124unique_dim_cuda_templateIN3c104HalfEEESt5tupleIJNSH_6TensorESO_SO_EERKSO_lbbbEUlllE0_EEPmJS6_EEE10hipError_tPvRmT3_T4_T5_T6_T7_T9_mT8_P12ihipStream_tbDpT10_ENKUlT_T0_E_clISt17integral_constantIbLb0EES1E_EEDaS19_S1A_EUlS19_E_NS1_11comp_targetILNS1_3genE10ELNS1_11target_archE1200ELNS1_3gpuE4ELNS1_3repE0EEENS1_30default_config_static_selectorELNS0_4arch9wavefront6targetE1EEEvT1_,comdat
	.globl	_ZN7rocprim17ROCPRIM_400000_NS6detail17trampoline_kernelINS0_14default_configENS1_25partition_config_selectorILNS1_17partition_subalgoE8ElNS0_10empty_typeEbEEZZNS1_14partition_implILS5_8ELb0ES3_jPlPS6_PKS6_NS0_5tupleIJS9_S6_EEENSD_IJSA_SA_EEENS0_18inequality_wrapperIZN2at6native12_GLOBAL__N_124unique_dim_cuda_templateIN3c104HalfEEESt5tupleIJNSH_6TensorESO_SO_EERKSO_lbbbEUlllE0_EEPmJS6_EEE10hipError_tPvRmT3_T4_T5_T6_T7_T9_mT8_P12ihipStream_tbDpT10_ENKUlT_T0_E_clISt17integral_constantIbLb0EES1E_EEDaS19_S1A_EUlS19_E_NS1_11comp_targetILNS1_3genE10ELNS1_11target_archE1200ELNS1_3gpuE4ELNS1_3repE0EEENS1_30default_config_static_selectorELNS0_4arch9wavefront6targetE1EEEvT1_ ; -- Begin function _ZN7rocprim17ROCPRIM_400000_NS6detail17trampoline_kernelINS0_14default_configENS1_25partition_config_selectorILNS1_17partition_subalgoE8ElNS0_10empty_typeEbEEZZNS1_14partition_implILS5_8ELb0ES3_jPlPS6_PKS6_NS0_5tupleIJS9_S6_EEENSD_IJSA_SA_EEENS0_18inequality_wrapperIZN2at6native12_GLOBAL__N_124unique_dim_cuda_templateIN3c104HalfEEESt5tupleIJNSH_6TensorESO_SO_EERKSO_lbbbEUlllE0_EEPmJS6_EEE10hipError_tPvRmT3_T4_T5_T6_T7_T9_mT8_P12ihipStream_tbDpT10_ENKUlT_T0_E_clISt17integral_constantIbLb0EES1E_EEDaS19_S1A_EUlS19_E_NS1_11comp_targetILNS1_3genE10ELNS1_11target_archE1200ELNS1_3gpuE4ELNS1_3repE0EEENS1_30default_config_static_selectorELNS0_4arch9wavefront6targetE1EEEvT1_
	.p2align	8
	.type	_ZN7rocprim17ROCPRIM_400000_NS6detail17trampoline_kernelINS0_14default_configENS1_25partition_config_selectorILNS1_17partition_subalgoE8ElNS0_10empty_typeEbEEZZNS1_14partition_implILS5_8ELb0ES3_jPlPS6_PKS6_NS0_5tupleIJS9_S6_EEENSD_IJSA_SA_EEENS0_18inequality_wrapperIZN2at6native12_GLOBAL__N_124unique_dim_cuda_templateIN3c104HalfEEESt5tupleIJNSH_6TensorESO_SO_EERKSO_lbbbEUlllE0_EEPmJS6_EEE10hipError_tPvRmT3_T4_T5_T6_T7_T9_mT8_P12ihipStream_tbDpT10_ENKUlT_T0_E_clISt17integral_constantIbLb0EES1E_EEDaS19_S1A_EUlS19_E_NS1_11comp_targetILNS1_3genE10ELNS1_11target_archE1200ELNS1_3gpuE4ELNS1_3repE0EEENS1_30default_config_static_selectorELNS0_4arch9wavefront6targetE1EEEvT1_,@function
_ZN7rocprim17ROCPRIM_400000_NS6detail17trampoline_kernelINS0_14default_configENS1_25partition_config_selectorILNS1_17partition_subalgoE8ElNS0_10empty_typeEbEEZZNS1_14partition_implILS5_8ELb0ES3_jPlPS6_PKS6_NS0_5tupleIJS9_S6_EEENSD_IJSA_SA_EEENS0_18inequality_wrapperIZN2at6native12_GLOBAL__N_124unique_dim_cuda_templateIN3c104HalfEEESt5tupleIJNSH_6TensorESO_SO_EERKSO_lbbbEUlllE0_EEPmJS6_EEE10hipError_tPvRmT3_T4_T5_T6_T7_T9_mT8_P12ihipStream_tbDpT10_ENKUlT_T0_E_clISt17integral_constantIbLb0EES1E_EEDaS19_S1A_EUlS19_E_NS1_11comp_targetILNS1_3genE10ELNS1_11target_archE1200ELNS1_3gpuE4ELNS1_3repE0EEENS1_30default_config_static_selectorELNS0_4arch9wavefront6targetE1EEEvT1_: ; @_ZN7rocprim17ROCPRIM_400000_NS6detail17trampoline_kernelINS0_14default_configENS1_25partition_config_selectorILNS1_17partition_subalgoE8ElNS0_10empty_typeEbEEZZNS1_14partition_implILS5_8ELb0ES3_jPlPS6_PKS6_NS0_5tupleIJS9_S6_EEENSD_IJSA_SA_EEENS0_18inequality_wrapperIZN2at6native12_GLOBAL__N_124unique_dim_cuda_templateIN3c104HalfEEESt5tupleIJNSH_6TensorESO_SO_EERKSO_lbbbEUlllE0_EEPmJS6_EEE10hipError_tPvRmT3_T4_T5_T6_T7_T9_mT8_P12ihipStream_tbDpT10_ENKUlT_T0_E_clISt17integral_constantIbLb0EES1E_EEDaS19_S1A_EUlS19_E_NS1_11comp_targetILNS1_3genE10ELNS1_11target_archE1200ELNS1_3gpuE4ELNS1_3repE0EEENS1_30default_config_static_selectorELNS0_4arch9wavefront6targetE1EEEvT1_
; %bb.0:
	.section	.rodata,"a",@progbits
	.p2align	6, 0x0
	.amdhsa_kernel _ZN7rocprim17ROCPRIM_400000_NS6detail17trampoline_kernelINS0_14default_configENS1_25partition_config_selectorILNS1_17partition_subalgoE8ElNS0_10empty_typeEbEEZZNS1_14partition_implILS5_8ELb0ES3_jPlPS6_PKS6_NS0_5tupleIJS9_S6_EEENSD_IJSA_SA_EEENS0_18inequality_wrapperIZN2at6native12_GLOBAL__N_124unique_dim_cuda_templateIN3c104HalfEEESt5tupleIJNSH_6TensorESO_SO_EERKSO_lbbbEUlllE0_EEPmJS6_EEE10hipError_tPvRmT3_T4_T5_T6_T7_T9_mT8_P12ihipStream_tbDpT10_ENKUlT_T0_E_clISt17integral_constantIbLb0EES1E_EEDaS19_S1A_EUlS19_E_NS1_11comp_targetILNS1_3genE10ELNS1_11target_archE1200ELNS1_3gpuE4ELNS1_3repE0EEENS1_30default_config_static_selectorELNS0_4arch9wavefront6targetE1EEEvT1_
		.amdhsa_group_segment_fixed_size 0
		.amdhsa_private_segment_fixed_size 0
		.amdhsa_kernarg_size 120
		.amdhsa_user_sgpr_count 2
		.amdhsa_user_sgpr_dispatch_ptr 0
		.amdhsa_user_sgpr_queue_ptr 0
		.amdhsa_user_sgpr_kernarg_segment_ptr 1
		.amdhsa_user_sgpr_dispatch_id 0
		.amdhsa_user_sgpr_kernarg_preload_length 0
		.amdhsa_user_sgpr_kernarg_preload_offset 0
		.amdhsa_user_sgpr_private_segment_size 0
		.amdhsa_uses_dynamic_stack 0
		.amdhsa_enable_private_segment 0
		.amdhsa_system_sgpr_workgroup_id_x 1
		.amdhsa_system_sgpr_workgroup_id_y 0
		.amdhsa_system_sgpr_workgroup_id_z 0
		.amdhsa_system_sgpr_workgroup_info 0
		.amdhsa_system_vgpr_workitem_id 0
		.amdhsa_next_free_vgpr 1
		.amdhsa_next_free_sgpr 0
		.amdhsa_accum_offset 4
		.amdhsa_reserve_vcc 0
		.amdhsa_float_round_mode_32 0
		.amdhsa_float_round_mode_16_64 0
		.amdhsa_float_denorm_mode_32 3
		.amdhsa_float_denorm_mode_16_64 3
		.amdhsa_dx10_clamp 1
		.amdhsa_ieee_mode 1
		.amdhsa_fp16_overflow 0
		.amdhsa_tg_split 0
		.amdhsa_exception_fp_ieee_invalid_op 0
		.amdhsa_exception_fp_denorm_src 0
		.amdhsa_exception_fp_ieee_div_zero 0
		.amdhsa_exception_fp_ieee_overflow 0
		.amdhsa_exception_fp_ieee_underflow 0
		.amdhsa_exception_fp_ieee_inexact 0
		.amdhsa_exception_int_div_zero 0
	.end_amdhsa_kernel
	.section	.text._ZN7rocprim17ROCPRIM_400000_NS6detail17trampoline_kernelINS0_14default_configENS1_25partition_config_selectorILNS1_17partition_subalgoE8ElNS0_10empty_typeEbEEZZNS1_14partition_implILS5_8ELb0ES3_jPlPS6_PKS6_NS0_5tupleIJS9_S6_EEENSD_IJSA_SA_EEENS0_18inequality_wrapperIZN2at6native12_GLOBAL__N_124unique_dim_cuda_templateIN3c104HalfEEESt5tupleIJNSH_6TensorESO_SO_EERKSO_lbbbEUlllE0_EEPmJS6_EEE10hipError_tPvRmT3_T4_T5_T6_T7_T9_mT8_P12ihipStream_tbDpT10_ENKUlT_T0_E_clISt17integral_constantIbLb0EES1E_EEDaS19_S1A_EUlS19_E_NS1_11comp_targetILNS1_3genE10ELNS1_11target_archE1200ELNS1_3gpuE4ELNS1_3repE0EEENS1_30default_config_static_selectorELNS0_4arch9wavefront6targetE1EEEvT1_,"axG",@progbits,_ZN7rocprim17ROCPRIM_400000_NS6detail17trampoline_kernelINS0_14default_configENS1_25partition_config_selectorILNS1_17partition_subalgoE8ElNS0_10empty_typeEbEEZZNS1_14partition_implILS5_8ELb0ES3_jPlPS6_PKS6_NS0_5tupleIJS9_S6_EEENSD_IJSA_SA_EEENS0_18inequality_wrapperIZN2at6native12_GLOBAL__N_124unique_dim_cuda_templateIN3c104HalfEEESt5tupleIJNSH_6TensorESO_SO_EERKSO_lbbbEUlllE0_EEPmJS6_EEE10hipError_tPvRmT3_T4_T5_T6_T7_T9_mT8_P12ihipStream_tbDpT10_ENKUlT_T0_E_clISt17integral_constantIbLb0EES1E_EEDaS19_S1A_EUlS19_E_NS1_11comp_targetILNS1_3genE10ELNS1_11target_archE1200ELNS1_3gpuE4ELNS1_3repE0EEENS1_30default_config_static_selectorELNS0_4arch9wavefront6targetE1EEEvT1_,comdat
.Lfunc_end1310:
	.size	_ZN7rocprim17ROCPRIM_400000_NS6detail17trampoline_kernelINS0_14default_configENS1_25partition_config_selectorILNS1_17partition_subalgoE8ElNS0_10empty_typeEbEEZZNS1_14partition_implILS5_8ELb0ES3_jPlPS6_PKS6_NS0_5tupleIJS9_S6_EEENSD_IJSA_SA_EEENS0_18inequality_wrapperIZN2at6native12_GLOBAL__N_124unique_dim_cuda_templateIN3c104HalfEEESt5tupleIJNSH_6TensorESO_SO_EERKSO_lbbbEUlllE0_EEPmJS6_EEE10hipError_tPvRmT3_T4_T5_T6_T7_T9_mT8_P12ihipStream_tbDpT10_ENKUlT_T0_E_clISt17integral_constantIbLb0EES1E_EEDaS19_S1A_EUlS19_E_NS1_11comp_targetILNS1_3genE10ELNS1_11target_archE1200ELNS1_3gpuE4ELNS1_3repE0EEENS1_30default_config_static_selectorELNS0_4arch9wavefront6targetE1EEEvT1_, .Lfunc_end1310-_ZN7rocprim17ROCPRIM_400000_NS6detail17trampoline_kernelINS0_14default_configENS1_25partition_config_selectorILNS1_17partition_subalgoE8ElNS0_10empty_typeEbEEZZNS1_14partition_implILS5_8ELb0ES3_jPlPS6_PKS6_NS0_5tupleIJS9_S6_EEENSD_IJSA_SA_EEENS0_18inequality_wrapperIZN2at6native12_GLOBAL__N_124unique_dim_cuda_templateIN3c104HalfEEESt5tupleIJNSH_6TensorESO_SO_EERKSO_lbbbEUlllE0_EEPmJS6_EEE10hipError_tPvRmT3_T4_T5_T6_T7_T9_mT8_P12ihipStream_tbDpT10_ENKUlT_T0_E_clISt17integral_constantIbLb0EES1E_EEDaS19_S1A_EUlS19_E_NS1_11comp_targetILNS1_3genE10ELNS1_11target_archE1200ELNS1_3gpuE4ELNS1_3repE0EEENS1_30default_config_static_selectorELNS0_4arch9wavefront6targetE1EEEvT1_
                                        ; -- End function
	.section	.AMDGPU.csdata,"",@progbits
; Kernel info:
; codeLenInByte = 0
; NumSgprs: 6
; NumVgprs: 0
; NumAgprs: 0
; TotalNumVgprs: 0
; ScratchSize: 0
; MemoryBound: 0
; FloatMode: 240
; IeeeMode: 1
; LDSByteSize: 0 bytes/workgroup (compile time only)
; SGPRBlocks: 0
; VGPRBlocks: 0
; NumSGPRsForWavesPerEU: 6
; NumVGPRsForWavesPerEU: 1
; AccumOffset: 4
; Occupancy: 8
; WaveLimiterHint : 0
; COMPUTE_PGM_RSRC2:SCRATCH_EN: 0
; COMPUTE_PGM_RSRC2:USER_SGPR: 2
; COMPUTE_PGM_RSRC2:TRAP_HANDLER: 0
; COMPUTE_PGM_RSRC2:TGID_X_EN: 1
; COMPUTE_PGM_RSRC2:TGID_Y_EN: 0
; COMPUTE_PGM_RSRC2:TGID_Z_EN: 0
; COMPUTE_PGM_RSRC2:TIDIG_COMP_CNT: 0
; COMPUTE_PGM_RSRC3_GFX90A:ACCUM_OFFSET: 0
; COMPUTE_PGM_RSRC3_GFX90A:TG_SPLIT: 0
	.section	.text._ZN7rocprim17ROCPRIM_400000_NS6detail17trampoline_kernelINS0_14default_configENS1_25partition_config_selectorILNS1_17partition_subalgoE8ElNS0_10empty_typeEbEEZZNS1_14partition_implILS5_8ELb0ES3_jPlPS6_PKS6_NS0_5tupleIJS9_S6_EEENSD_IJSA_SA_EEENS0_18inequality_wrapperIZN2at6native12_GLOBAL__N_124unique_dim_cuda_templateIN3c104HalfEEESt5tupleIJNSH_6TensorESO_SO_EERKSO_lbbbEUlllE0_EEPmJS6_EEE10hipError_tPvRmT3_T4_T5_T6_T7_T9_mT8_P12ihipStream_tbDpT10_ENKUlT_T0_E_clISt17integral_constantIbLb0EES1E_EEDaS19_S1A_EUlS19_E_NS1_11comp_targetILNS1_3genE9ELNS1_11target_archE1100ELNS1_3gpuE3ELNS1_3repE0EEENS1_30default_config_static_selectorELNS0_4arch9wavefront6targetE1EEEvT1_,"axG",@progbits,_ZN7rocprim17ROCPRIM_400000_NS6detail17trampoline_kernelINS0_14default_configENS1_25partition_config_selectorILNS1_17partition_subalgoE8ElNS0_10empty_typeEbEEZZNS1_14partition_implILS5_8ELb0ES3_jPlPS6_PKS6_NS0_5tupleIJS9_S6_EEENSD_IJSA_SA_EEENS0_18inequality_wrapperIZN2at6native12_GLOBAL__N_124unique_dim_cuda_templateIN3c104HalfEEESt5tupleIJNSH_6TensorESO_SO_EERKSO_lbbbEUlllE0_EEPmJS6_EEE10hipError_tPvRmT3_T4_T5_T6_T7_T9_mT8_P12ihipStream_tbDpT10_ENKUlT_T0_E_clISt17integral_constantIbLb0EES1E_EEDaS19_S1A_EUlS19_E_NS1_11comp_targetILNS1_3genE9ELNS1_11target_archE1100ELNS1_3gpuE3ELNS1_3repE0EEENS1_30default_config_static_selectorELNS0_4arch9wavefront6targetE1EEEvT1_,comdat
	.globl	_ZN7rocprim17ROCPRIM_400000_NS6detail17trampoline_kernelINS0_14default_configENS1_25partition_config_selectorILNS1_17partition_subalgoE8ElNS0_10empty_typeEbEEZZNS1_14partition_implILS5_8ELb0ES3_jPlPS6_PKS6_NS0_5tupleIJS9_S6_EEENSD_IJSA_SA_EEENS0_18inequality_wrapperIZN2at6native12_GLOBAL__N_124unique_dim_cuda_templateIN3c104HalfEEESt5tupleIJNSH_6TensorESO_SO_EERKSO_lbbbEUlllE0_EEPmJS6_EEE10hipError_tPvRmT3_T4_T5_T6_T7_T9_mT8_P12ihipStream_tbDpT10_ENKUlT_T0_E_clISt17integral_constantIbLb0EES1E_EEDaS19_S1A_EUlS19_E_NS1_11comp_targetILNS1_3genE9ELNS1_11target_archE1100ELNS1_3gpuE3ELNS1_3repE0EEENS1_30default_config_static_selectorELNS0_4arch9wavefront6targetE1EEEvT1_ ; -- Begin function _ZN7rocprim17ROCPRIM_400000_NS6detail17trampoline_kernelINS0_14default_configENS1_25partition_config_selectorILNS1_17partition_subalgoE8ElNS0_10empty_typeEbEEZZNS1_14partition_implILS5_8ELb0ES3_jPlPS6_PKS6_NS0_5tupleIJS9_S6_EEENSD_IJSA_SA_EEENS0_18inequality_wrapperIZN2at6native12_GLOBAL__N_124unique_dim_cuda_templateIN3c104HalfEEESt5tupleIJNSH_6TensorESO_SO_EERKSO_lbbbEUlllE0_EEPmJS6_EEE10hipError_tPvRmT3_T4_T5_T6_T7_T9_mT8_P12ihipStream_tbDpT10_ENKUlT_T0_E_clISt17integral_constantIbLb0EES1E_EEDaS19_S1A_EUlS19_E_NS1_11comp_targetILNS1_3genE9ELNS1_11target_archE1100ELNS1_3gpuE3ELNS1_3repE0EEENS1_30default_config_static_selectorELNS0_4arch9wavefront6targetE1EEEvT1_
	.p2align	8
	.type	_ZN7rocprim17ROCPRIM_400000_NS6detail17trampoline_kernelINS0_14default_configENS1_25partition_config_selectorILNS1_17partition_subalgoE8ElNS0_10empty_typeEbEEZZNS1_14partition_implILS5_8ELb0ES3_jPlPS6_PKS6_NS0_5tupleIJS9_S6_EEENSD_IJSA_SA_EEENS0_18inequality_wrapperIZN2at6native12_GLOBAL__N_124unique_dim_cuda_templateIN3c104HalfEEESt5tupleIJNSH_6TensorESO_SO_EERKSO_lbbbEUlllE0_EEPmJS6_EEE10hipError_tPvRmT3_T4_T5_T6_T7_T9_mT8_P12ihipStream_tbDpT10_ENKUlT_T0_E_clISt17integral_constantIbLb0EES1E_EEDaS19_S1A_EUlS19_E_NS1_11comp_targetILNS1_3genE9ELNS1_11target_archE1100ELNS1_3gpuE3ELNS1_3repE0EEENS1_30default_config_static_selectorELNS0_4arch9wavefront6targetE1EEEvT1_,@function
_ZN7rocprim17ROCPRIM_400000_NS6detail17trampoline_kernelINS0_14default_configENS1_25partition_config_selectorILNS1_17partition_subalgoE8ElNS0_10empty_typeEbEEZZNS1_14partition_implILS5_8ELb0ES3_jPlPS6_PKS6_NS0_5tupleIJS9_S6_EEENSD_IJSA_SA_EEENS0_18inequality_wrapperIZN2at6native12_GLOBAL__N_124unique_dim_cuda_templateIN3c104HalfEEESt5tupleIJNSH_6TensorESO_SO_EERKSO_lbbbEUlllE0_EEPmJS6_EEE10hipError_tPvRmT3_T4_T5_T6_T7_T9_mT8_P12ihipStream_tbDpT10_ENKUlT_T0_E_clISt17integral_constantIbLb0EES1E_EEDaS19_S1A_EUlS19_E_NS1_11comp_targetILNS1_3genE9ELNS1_11target_archE1100ELNS1_3gpuE3ELNS1_3repE0EEENS1_30default_config_static_selectorELNS0_4arch9wavefront6targetE1EEEvT1_: ; @_ZN7rocprim17ROCPRIM_400000_NS6detail17trampoline_kernelINS0_14default_configENS1_25partition_config_selectorILNS1_17partition_subalgoE8ElNS0_10empty_typeEbEEZZNS1_14partition_implILS5_8ELb0ES3_jPlPS6_PKS6_NS0_5tupleIJS9_S6_EEENSD_IJSA_SA_EEENS0_18inequality_wrapperIZN2at6native12_GLOBAL__N_124unique_dim_cuda_templateIN3c104HalfEEESt5tupleIJNSH_6TensorESO_SO_EERKSO_lbbbEUlllE0_EEPmJS6_EEE10hipError_tPvRmT3_T4_T5_T6_T7_T9_mT8_P12ihipStream_tbDpT10_ENKUlT_T0_E_clISt17integral_constantIbLb0EES1E_EEDaS19_S1A_EUlS19_E_NS1_11comp_targetILNS1_3genE9ELNS1_11target_archE1100ELNS1_3gpuE3ELNS1_3repE0EEENS1_30default_config_static_selectorELNS0_4arch9wavefront6targetE1EEEvT1_
; %bb.0:
	.section	.rodata,"a",@progbits
	.p2align	6, 0x0
	.amdhsa_kernel _ZN7rocprim17ROCPRIM_400000_NS6detail17trampoline_kernelINS0_14default_configENS1_25partition_config_selectorILNS1_17partition_subalgoE8ElNS0_10empty_typeEbEEZZNS1_14partition_implILS5_8ELb0ES3_jPlPS6_PKS6_NS0_5tupleIJS9_S6_EEENSD_IJSA_SA_EEENS0_18inequality_wrapperIZN2at6native12_GLOBAL__N_124unique_dim_cuda_templateIN3c104HalfEEESt5tupleIJNSH_6TensorESO_SO_EERKSO_lbbbEUlllE0_EEPmJS6_EEE10hipError_tPvRmT3_T4_T5_T6_T7_T9_mT8_P12ihipStream_tbDpT10_ENKUlT_T0_E_clISt17integral_constantIbLb0EES1E_EEDaS19_S1A_EUlS19_E_NS1_11comp_targetILNS1_3genE9ELNS1_11target_archE1100ELNS1_3gpuE3ELNS1_3repE0EEENS1_30default_config_static_selectorELNS0_4arch9wavefront6targetE1EEEvT1_
		.amdhsa_group_segment_fixed_size 0
		.amdhsa_private_segment_fixed_size 0
		.amdhsa_kernarg_size 120
		.amdhsa_user_sgpr_count 2
		.amdhsa_user_sgpr_dispatch_ptr 0
		.amdhsa_user_sgpr_queue_ptr 0
		.amdhsa_user_sgpr_kernarg_segment_ptr 1
		.amdhsa_user_sgpr_dispatch_id 0
		.amdhsa_user_sgpr_kernarg_preload_length 0
		.amdhsa_user_sgpr_kernarg_preload_offset 0
		.amdhsa_user_sgpr_private_segment_size 0
		.amdhsa_uses_dynamic_stack 0
		.amdhsa_enable_private_segment 0
		.amdhsa_system_sgpr_workgroup_id_x 1
		.amdhsa_system_sgpr_workgroup_id_y 0
		.amdhsa_system_sgpr_workgroup_id_z 0
		.amdhsa_system_sgpr_workgroup_info 0
		.amdhsa_system_vgpr_workitem_id 0
		.amdhsa_next_free_vgpr 1
		.amdhsa_next_free_sgpr 0
		.amdhsa_accum_offset 4
		.amdhsa_reserve_vcc 0
		.amdhsa_float_round_mode_32 0
		.amdhsa_float_round_mode_16_64 0
		.amdhsa_float_denorm_mode_32 3
		.amdhsa_float_denorm_mode_16_64 3
		.amdhsa_dx10_clamp 1
		.amdhsa_ieee_mode 1
		.amdhsa_fp16_overflow 0
		.amdhsa_tg_split 0
		.amdhsa_exception_fp_ieee_invalid_op 0
		.amdhsa_exception_fp_denorm_src 0
		.amdhsa_exception_fp_ieee_div_zero 0
		.amdhsa_exception_fp_ieee_overflow 0
		.amdhsa_exception_fp_ieee_underflow 0
		.amdhsa_exception_fp_ieee_inexact 0
		.amdhsa_exception_int_div_zero 0
	.end_amdhsa_kernel
	.section	.text._ZN7rocprim17ROCPRIM_400000_NS6detail17trampoline_kernelINS0_14default_configENS1_25partition_config_selectorILNS1_17partition_subalgoE8ElNS0_10empty_typeEbEEZZNS1_14partition_implILS5_8ELb0ES3_jPlPS6_PKS6_NS0_5tupleIJS9_S6_EEENSD_IJSA_SA_EEENS0_18inequality_wrapperIZN2at6native12_GLOBAL__N_124unique_dim_cuda_templateIN3c104HalfEEESt5tupleIJNSH_6TensorESO_SO_EERKSO_lbbbEUlllE0_EEPmJS6_EEE10hipError_tPvRmT3_T4_T5_T6_T7_T9_mT8_P12ihipStream_tbDpT10_ENKUlT_T0_E_clISt17integral_constantIbLb0EES1E_EEDaS19_S1A_EUlS19_E_NS1_11comp_targetILNS1_3genE9ELNS1_11target_archE1100ELNS1_3gpuE3ELNS1_3repE0EEENS1_30default_config_static_selectorELNS0_4arch9wavefront6targetE1EEEvT1_,"axG",@progbits,_ZN7rocprim17ROCPRIM_400000_NS6detail17trampoline_kernelINS0_14default_configENS1_25partition_config_selectorILNS1_17partition_subalgoE8ElNS0_10empty_typeEbEEZZNS1_14partition_implILS5_8ELb0ES3_jPlPS6_PKS6_NS0_5tupleIJS9_S6_EEENSD_IJSA_SA_EEENS0_18inequality_wrapperIZN2at6native12_GLOBAL__N_124unique_dim_cuda_templateIN3c104HalfEEESt5tupleIJNSH_6TensorESO_SO_EERKSO_lbbbEUlllE0_EEPmJS6_EEE10hipError_tPvRmT3_T4_T5_T6_T7_T9_mT8_P12ihipStream_tbDpT10_ENKUlT_T0_E_clISt17integral_constantIbLb0EES1E_EEDaS19_S1A_EUlS19_E_NS1_11comp_targetILNS1_3genE9ELNS1_11target_archE1100ELNS1_3gpuE3ELNS1_3repE0EEENS1_30default_config_static_selectorELNS0_4arch9wavefront6targetE1EEEvT1_,comdat
.Lfunc_end1311:
	.size	_ZN7rocprim17ROCPRIM_400000_NS6detail17trampoline_kernelINS0_14default_configENS1_25partition_config_selectorILNS1_17partition_subalgoE8ElNS0_10empty_typeEbEEZZNS1_14partition_implILS5_8ELb0ES3_jPlPS6_PKS6_NS0_5tupleIJS9_S6_EEENSD_IJSA_SA_EEENS0_18inequality_wrapperIZN2at6native12_GLOBAL__N_124unique_dim_cuda_templateIN3c104HalfEEESt5tupleIJNSH_6TensorESO_SO_EERKSO_lbbbEUlllE0_EEPmJS6_EEE10hipError_tPvRmT3_T4_T5_T6_T7_T9_mT8_P12ihipStream_tbDpT10_ENKUlT_T0_E_clISt17integral_constantIbLb0EES1E_EEDaS19_S1A_EUlS19_E_NS1_11comp_targetILNS1_3genE9ELNS1_11target_archE1100ELNS1_3gpuE3ELNS1_3repE0EEENS1_30default_config_static_selectorELNS0_4arch9wavefront6targetE1EEEvT1_, .Lfunc_end1311-_ZN7rocprim17ROCPRIM_400000_NS6detail17trampoline_kernelINS0_14default_configENS1_25partition_config_selectorILNS1_17partition_subalgoE8ElNS0_10empty_typeEbEEZZNS1_14partition_implILS5_8ELb0ES3_jPlPS6_PKS6_NS0_5tupleIJS9_S6_EEENSD_IJSA_SA_EEENS0_18inequality_wrapperIZN2at6native12_GLOBAL__N_124unique_dim_cuda_templateIN3c104HalfEEESt5tupleIJNSH_6TensorESO_SO_EERKSO_lbbbEUlllE0_EEPmJS6_EEE10hipError_tPvRmT3_T4_T5_T6_T7_T9_mT8_P12ihipStream_tbDpT10_ENKUlT_T0_E_clISt17integral_constantIbLb0EES1E_EEDaS19_S1A_EUlS19_E_NS1_11comp_targetILNS1_3genE9ELNS1_11target_archE1100ELNS1_3gpuE3ELNS1_3repE0EEENS1_30default_config_static_selectorELNS0_4arch9wavefront6targetE1EEEvT1_
                                        ; -- End function
	.section	.AMDGPU.csdata,"",@progbits
; Kernel info:
; codeLenInByte = 0
; NumSgprs: 6
; NumVgprs: 0
; NumAgprs: 0
; TotalNumVgprs: 0
; ScratchSize: 0
; MemoryBound: 0
; FloatMode: 240
; IeeeMode: 1
; LDSByteSize: 0 bytes/workgroup (compile time only)
; SGPRBlocks: 0
; VGPRBlocks: 0
; NumSGPRsForWavesPerEU: 6
; NumVGPRsForWavesPerEU: 1
; AccumOffset: 4
; Occupancy: 8
; WaveLimiterHint : 0
; COMPUTE_PGM_RSRC2:SCRATCH_EN: 0
; COMPUTE_PGM_RSRC2:USER_SGPR: 2
; COMPUTE_PGM_RSRC2:TRAP_HANDLER: 0
; COMPUTE_PGM_RSRC2:TGID_X_EN: 1
; COMPUTE_PGM_RSRC2:TGID_Y_EN: 0
; COMPUTE_PGM_RSRC2:TGID_Z_EN: 0
; COMPUTE_PGM_RSRC2:TIDIG_COMP_CNT: 0
; COMPUTE_PGM_RSRC3_GFX90A:ACCUM_OFFSET: 0
; COMPUTE_PGM_RSRC3_GFX90A:TG_SPLIT: 0
	.section	.text._ZN7rocprim17ROCPRIM_400000_NS6detail17trampoline_kernelINS0_14default_configENS1_25partition_config_selectorILNS1_17partition_subalgoE8ElNS0_10empty_typeEbEEZZNS1_14partition_implILS5_8ELb0ES3_jPlPS6_PKS6_NS0_5tupleIJS9_S6_EEENSD_IJSA_SA_EEENS0_18inequality_wrapperIZN2at6native12_GLOBAL__N_124unique_dim_cuda_templateIN3c104HalfEEESt5tupleIJNSH_6TensorESO_SO_EERKSO_lbbbEUlllE0_EEPmJS6_EEE10hipError_tPvRmT3_T4_T5_T6_T7_T9_mT8_P12ihipStream_tbDpT10_ENKUlT_T0_E_clISt17integral_constantIbLb0EES1E_EEDaS19_S1A_EUlS19_E_NS1_11comp_targetILNS1_3genE8ELNS1_11target_archE1030ELNS1_3gpuE2ELNS1_3repE0EEENS1_30default_config_static_selectorELNS0_4arch9wavefront6targetE1EEEvT1_,"axG",@progbits,_ZN7rocprim17ROCPRIM_400000_NS6detail17trampoline_kernelINS0_14default_configENS1_25partition_config_selectorILNS1_17partition_subalgoE8ElNS0_10empty_typeEbEEZZNS1_14partition_implILS5_8ELb0ES3_jPlPS6_PKS6_NS0_5tupleIJS9_S6_EEENSD_IJSA_SA_EEENS0_18inequality_wrapperIZN2at6native12_GLOBAL__N_124unique_dim_cuda_templateIN3c104HalfEEESt5tupleIJNSH_6TensorESO_SO_EERKSO_lbbbEUlllE0_EEPmJS6_EEE10hipError_tPvRmT3_T4_T5_T6_T7_T9_mT8_P12ihipStream_tbDpT10_ENKUlT_T0_E_clISt17integral_constantIbLb0EES1E_EEDaS19_S1A_EUlS19_E_NS1_11comp_targetILNS1_3genE8ELNS1_11target_archE1030ELNS1_3gpuE2ELNS1_3repE0EEENS1_30default_config_static_selectorELNS0_4arch9wavefront6targetE1EEEvT1_,comdat
	.globl	_ZN7rocprim17ROCPRIM_400000_NS6detail17trampoline_kernelINS0_14default_configENS1_25partition_config_selectorILNS1_17partition_subalgoE8ElNS0_10empty_typeEbEEZZNS1_14partition_implILS5_8ELb0ES3_jPlPS6_PKS6_NS0_5tupleIJS9_S6_EEENSD_IJSA_SA_EEENS0_18inequality_wrapperIZN2at6native12_GLOBAL__N_124unique_dim_cuda_templateIN3c104HalfEEESt5tupleIJNSH_6TensorESO_SO_EERKSO_lbbbEUlllE0_EEPmJS6_EEE10hipError_tPvRmT3_T4_T5_T6_T7_T9_mT8_P12ihipStream_tbDpT10_ENKUlT_T0_E_clISt17integral_constantIbLb0EES1E_EEDaS19_S1A_EUlS19_E_NS1_11comp_targetILNS1_3genE8ELNS1_11target_archE1030ELNS1_3gpuE2ELNS1_3repE0EEENS1_30default_config_static_selectorELNS0_4arch9wavefront6targetE1EEEvT1_ ; -- Begin function _ZN7rocprim17ROCPRIM_400000_NS6detail17trampoline_kernelINS0_14default_configENS1_25partition_config_selectorILNS1_17partition_subalgoE8ElNS0_10empty_typeEbEEZZNS1_14partition_implILS5_8ELb0ES3_jPlPS6_PKS6_NS0_5tupleIJS9_S6_EEENSD_IJSA_SA_EEENS0_18inequality_wrapperIZN2at6native12_GLOBAL__N_124unique_dim_cuda_templateIN3c104HalfEEESt5tupleIJNSH_6TensorESO_SO_EERKSO_lbbbEUlllE0_EEPmJS6_EEE10hipError_tPvRmT3_T4_T5_T6_T7_T9_mT8_P12ihipStream_tbDpT10_ENKUlT_T0_E_clISt17integral_constantIbLb0EES1E_EEDaS19_S1A_EUlS19_E_NS1_11comp_targetILNS1_3genE8ELNS1_11target_archE1030ELNS1_3gpuE2ELNS1_3repE0EEENS1_30default_config_static_selectorELNS0_4arch9wavefront6targetE1EEEvT1_
	.p2align	8
	.type	_ZN7rocprim17ROCPRIM_400000_NS6detail17trampoline_kernelINS0_14default_configENS1_25partition_config_selectorILNS1_17partition_subalgoE8ElNS0_10empty_typeEbEEZZNS1_14partition_implILS5_8ELb0ES3_jPlPS6_PKS6_NS0_5tupleIJS9_S6_EEENSD_IJSA_SA_EEENS0_18inequality_wrapperIZN2at6native12_GLOBAL__N_124unique_dim_cuda_templateIN3c104HalfEEESt5tupleIJNSH_6TensorESO_SO_EERKSO_lbbbEUlllE0_EEPmJS6_EEE10hipError_tPvRmT3_T4_T5_T6_T7_T9_mT8_P12ihipStream_tbDpT10_ENKUlT_T0_E_clISt17integral_constantIbLb0EES1E_EEDaS19_S1A_EUlS19_E_NS1_11comp_targetILNS1_3genE8ELNS1_11target_archE1030ELNS1_3gpuE2ELNS1_3repE0EEENS1_30default_config_static_selectorELNS0_4arch9wavefront6targetE1EEEvT1_,@function
_ZN7rocprim17ROCPRIM_400000_NS6detail17trampoline_kernelINS0_14default_configENS1_25partition_config_selectorILNS1_17partition_subalgoE8ElNS0_10empty_typeEbEEZZNS1_14partition_implILS5_8ELb0ES3_jPlPS6_PKS6_NS0_5tupleIJS9_S6_EEENSD_IJSA_SA_EEENS0_18inequality_wrapperIZN2at6native12_GLOBAL__N_124unique_dim_cuda_templateIN3c104HalfEEESt5tupleIJNSH_6TensorESO_SO_EERKSO_lbbbEUlllE0_EEPmJS6_EEE10hipError_tPvRmT3_T4_T5_T6_T7_T9_mT8_P12ihipStream_tbDpT10_ENKUlT_T0_E_clISt17integral_constantIbLb0EES1E_EEDaS19_S1A_EUlS19_E_NS1_11comp_targetILNS1_3genE8ELNS1_11target_archE1030ELNS1_3gpuE2ELNS1_3repE0EEENS1_30default_config_static_selectorELNS0_4arch9wavefront6targetE1EEEvT1_: ; @_ZN7rocprim17ROCPRIM_400000_NS6detail17trampoline_kernelINS0_14default_configENS1_25partition_config_selectorILNS1_17partition_subalgoE8ElNS0_10empty_typeEbEEZZNS1_14partition_implILS5_8ELb0ES3_jPlPS6_PKS6_NS0_5tupleIJS9_S6_EEENSD_IJSA_SA_EEENS0_18inequality_wrapperIZN2at6native12_GLOBAL__N_124unique_dim_cuda_templateIN3c104HalfEEESt5tupleIJNSH_6TensorESO_SO_EERKSO_lbbbEUlllE0_EEPmJS6_EEE10hipError_tPvRmT3_T4_T5_T6_T7_T9_mT8_P12ihipStream_tbDpT10_ENKUlT_T0_E_clISt17integral_constantIbLb0EES1E_EEDaS19_S1A_EUlS19_E_NS1_11comp_targetILNS1_3genE8ELNS1_11target_archE1030ELNS1_3gpuE2ELNS1_3repE0EEENS1_30default_config_static_selectorELNS0_4arch9wavefront6targetE1EEEvT1_
; %bb.0:
	.section	.rodata,"a",@progbits
	.p2align	6, 0x0
	.amdhsa_kernel _ZN7rocprim17ROCPRIM_400000_NS6detail17trampoline_kernelINS0_14default_configENS1_25partition_config_selectorILNS1_17partition_subalgoE8ElNS0_10empty_typeEbEEZZNS1_14partition_implILS5_8ELb0ES3_jPlPS6_PKS6_NS0_5tupleIJS9_S6_EEENSD_IJSA_SA_EEENS0_18inequality_wrapperIZN2at6native12_GLOBAL__N_124unique_dim_cuda_templateIN3c104HalfEEESt5tupleIJNSH_6TensorESO_SO_EERKSO_lbbbEUlllE0_EEPmJS6_EEE10hipError_tPvRmT3_T4_T5_T6_T7_T9_mT8_P12ihipStream_tbDpT10_ENKUlT_T0_E_clISt17integral_constantIbLb0EES1E_EEDaS19_S1A_EUlS19_E_NS1_11comp_targetILNS1_3genE8ELNS1_11target_archE1030ELNS1_3gpuE2ELNS1_3repE0EEENS1_30default_config_static_selectorELNS0_4arch9wavefront6targetE1EEEvT1_
		.amdhsa_group_segment_fixed_size 0
		.amdhsa_private_segment_fixed_size 0
		.amdhsa_kernarg_size 120
		.amdhsa_user_sgpr_count 2
		.amdhsa_user_sgpr_dispatch_ptr 0
		.amdhsa_user_sgpr_queue_ptr 0
		.amdhsa_user_sgpr_kernarg_segment_ptr 1
		.amdhsa_user_sgpr_dispatch_id 0
		.amdhsa_user_sgpr_kernarg_preload_length 0
		.amdhsa_user_sgpr_kernarg_preload_offset 0
		.amdhsa_user_sgpr_private_segment_size 0
		.amdhsa_uses_dynamic_stack 0
		.amdhsa_enable_private_segment 0
		.amdhsa_system_sgpr_workgroup_id_x 1
		.amdhsa_system_sgpr_workgroup_id_y 0
		.amdhsa_system_sgpr_workgroup_id_z 0
		.amdhsa_system_sgpr_workgroup_info 0
		.amdhsa_system_vgpr_workitem_id 0
		.amdhsa_next_free_vgpr 1
		.amdhsa_next_free_sgpr 0
		.amdhsa_accum_offset 4
		.amdhsa_reserve_vcc 0
		.amdhsa_float_round_mode_32 0
		.amdhsa_float_round_mode_16_64 0
		.amdhsa_float_denorm_mode_32 3
		.amdhsa_float_denorm_mode_16_64 3
		.amdhsa_dx10_clamp 1
		.amdhsa_ieee_mode 1
		.amdhsa_fp16_overflow 0
		.amdhsa_tg_split 0
		.amdhsa_exception_fp_ieee_invalid_op 0
		.amdhsa_exception_fp_denorm_src 0
		.amdhsa_exception_fp_ieee_div_zero 0
		.amdhsa_exception_fp_ieee_overflow 0
		.amdhsa_exception_fp_ieee_underflow 0
		.amdhsa_exception_fp_ieee_inexact 0
		.amdhsa_exception_int_div_zero 0
	.end_amdhsa_kernel
	.section	.text._ZN7rocprim17ROCPRIM_400000_NS6detail17trampoline_kernelINS0_14default_configENS1_25partition_config_selectorILNS1_17partition_subalgoE8ElNS0_10empty_typeEbEEZZNS1_14partition_implILS5_8ELb0ES3_jPlPS6_PKS6_NS0_5tupleIJS9_S6_EEENSD_IJSA_SA_EEENS0_18inequality_wrapperIZN2at6native12_GLOBAL__N_124unique_dim_cuda_templateIN3c104HalfEEESt5tupleIJNSH_6TensorESO_SO_EERKSO_lbbbEUlllE0_EEPmJS6_EEE10hipError_tPvRmT3_T4_T5_T6_T7_T9_mT8_P12ihipStream_tbDpT10_ENKUlT_T0_E_clISt17integral_constantIbLb0EES1E_EEDaS19_S1A_EUlS19_E_NS1_11comp_targetILNS1_3genE8ELNS1_11target_archE1030ELNS1_3gpuE2ELNS1_3repE0EEENS1_30default_config_static_selectorELNS0_4arch9wavefront6targetE1EEEvT1_,"axG",@progbits,_ZN7rocprim17ROCPRIM_400000_NS6detail17trampoline_kernelINS0_14default_configENS1_25partition_config_selectorILNS1_17partition_subalgoE8ElNS0_10empty_typeEbEEZZNS1_14partition_implILS5_8ELb0ES3_jPlPS6_PKS6_NS0_5tupleIJS9_S6_EEENSD_IJSA_SA_EEENS0_18inequality_wrapperIZN2at6native12_GLOBAL__N_124unique_dim_cuda_templateIN3c104HalfEEESt5tupleIJNSH_6TensorESO_SO_EERKSO_lbbbEUlllE0_EEPmJS6_EEE10hipError_tPvRmT3_T4_T5_T6_T7_T9_mT8_P12ihipStream_tbDpT10_ENKUlT_T0_E_clISt17integral_constantIbLb0EES1E_EEDaS19_S1A_EUlS19_E_NS1_11comp_targetILNS1_3genE8ELNS1_11target_archE1030ELNS1_3gpuE2ELNS1_3repE0EEENS1_30default_config_static_selectorELNS0_4arch9wavefront6targetE1EEEvT1_,comdat
.Lfunc_end1312:
	.size	_ZN7rocprim17ROCPRIM_400000_NS6detail17trampoline_kernelINS0_14default_configENS1_25partition_config_selectorILNS1_17partition_subalgoE8ElNS0_10empty_typeEbEEZZNS1_14partition_implILS5_8ELb0ES3_jPlPS6_PKS6_NS0_5tupleIJS9_S6_EEENSD_IJSA_SA_EEENS0_18inequality_wrapperIZN2at6native12_GLOBAL__N_124unique_dim_cuda_templateIN3c104HalfEEESt5tupleIJNSH_6TensorESO_SO_EERKSO_lbbbEUlllE0_EEPmJS6_EEE10hipError_tPvRmT3_T4_T5_T6_T7_T9_mT8_P12ihipStream_tbDpT10_ENKUlT_T0_E_clISt17integral_constantIbLb0EES1E_EEDaS19_S1A_EUlS19_E_NS1_11comp_targetILNS1_3genE8ELNS1_11target_archE1030ELNS1_3gpuE2ELNS1_3repE0EEENS1_30default_config_static_selectorELNS0_4arch9wavefront6targetE1EEEvT1_, .Lfunc_end1312-_ZN7rocprim17ROCPRIM_400000_NS6detail17trampoline_kernelINS0_14default_configENS1_25partition_config_selectorILNS1_17partition_subalgoE8ElNS0_10empty_typeEbEEZZNS1_14partition_implILS5_8ELb0ES3_jPlPS6_PKS6_NS0_5tupleIJS9_S6_EEENSD_IJSA_SA_EEENS0_18inequality_wrapperIZN2at6native12_GLOBAL__N_124unique_dim_cuda_templateIN3c104HalfEEESt5tupleIJNSH_6TensorESO_SO_EERKSO_lbbbEUlllE0_EEPmJS6_EEE10hipError_tPvRmT3_T4_T5_T6_T7_T9_mT8_P12ihipStream_tbDpT10_ENKUlT_T0_E_clISt17integral_constantIbLb0EES1E_EEDaS19_S1A_EUlS19_E_NS1_11comp_targetILNS1_3genE8ELNS1_11target_archE1030ELNS1_3gpuE2ELNS1_3repE0EEENS1_30default_config_static_selectorELNS0_4arch9wavefront6targetE1EEEvT1_
                                        ; -- End function
	.section	.AMDGPU.csdata,"",@progbits
; Kernel info:
; codeLenInByte = 0
; NumSgprs: 6
; NumVgprs: 0
; NumAgprs: 0
; TotalNumVgprs: 0
; ScratchSize: 0
; MemoryBound: 0
; FloatMode: 240
; IeeeMode: 1
; LDSByteSize: 0 bytes/workgroup (compile time only)
; SGPRBlocks: 0
; VGPRBlocks: 0
; NumSGPRsForWavesPerEU: 6
; NumVGPRsForWavesPerEU: 1
; AccumOffset: 4
; Occupancy: 8
; WaveLimiterHint : 0
; COMPUTE_PGM_RSRC2:SCRATCH_EN: 0
; COMPUTE_PGM_RSRC2:USER_SGPR: 2
; COMPUTE_PGM_RSRC2:TRAP_HANDLER: 0
; COMPUTE_PGM_RSRC2:TGID_X_EN: 1
; COMPUTE_PGM_RSRC2:TGID_Y_EN: 0
; COMPUTE_PGM_RSRC2:TGID_Z_EN: 0
; COMPUTE_PGM_RSRC2:TIDIG_COMP_CNT: 0
; COMPUTE_PGM_RSRC3_GFX90A:ACCUM_OFFSET: 0
; COMPUTE_PGM_RSRC3_GFX90A:TG_SPLIT: 0
	.section	.text._ZN7rocprim17ROCPRIM_400000_NS6detail17trampoline_kernelINS0_14default_configENS1_25partition_config_selectorILNS1_17partition_subalgoE8ElNS0_10empty_typeEbEEZZNS1_14partition_implILS5_8ELb0ES3_jPlPS6_PKS6_NS0_5tupleIJS9_S6_EEENSD_IJSA_SA_EEENS0_18inequality_wrapperIZN2at6native12_GLOBAL__N_124unique_dim_cuda_templateIN3c104HalfEEESt5tupleIJNSH_6TensorESO_SO_EERKSO_lbbbEUlllE0_EEPmJS6_EEE10hipError_tPvRmT3_T4_T5_T6_T7_T9_mT8_P12ihipStream_tbDpT10_ENKUlT_T0_E_clISt17integral_constantIbLb1EES1E_EEDaS19_S1A_EUlS19_E_NS1_11comp_targetILNS1_3genE0ELNS1_11target_archE4294967295ELNS1_3gpuE0ELNS1_3repE0EEENS1_30default_config_static_selectorELNS0_4arch9wavefront6targetE1EEEvT1_,"axG",@progbits,_ZN7rocprim17ROCPRIM_400000_NS6detail17trampoline_kernelINS0_14default_configENS1_25partition_config_selectorILNS1_17partition_subalgoE8ElNS0_10empty_typeEbEEZZNS1_14partition_implILS5_8ELb0ES3_jPlPS6_PKS6_NS0_5tupleIJS9_S6_EEENSD_IJSA_SA_EEENS0_18inequality_wrapperIZN2at6native12_GLOBAL__N_124unique_dim_cuda_templateIN3c104HalfEEESt5tupleIJNSH_6TensorESO_SO_EERKSO_lbbbEUlllE0_EEPmJS6_EEE10hipError_tPvRmT3_T4_T5_T6_T7_T9_mT8_P12ihipStream_tbDpT10_ENKUlT_T0_E_clISt17integral_constantIbLb1EES1E_EEDaS19_S1A_EUlS19_E_NS1_11comp_targetILNS1_3genE0ELNS1_11target_archE4294967295ELNS1_3gpuE0ELNS1_3repE0EEENS1_30default_config_static_selectorELNS0_4arch9wavefront6targetE1EEEvT1_,comdat
	.globl	_ZN7rocprim17ROCPRIM_400000_NS6detail17trampoline_kernelINS0_14default_configENS1_25partition_config_selectorILNS1_17partition_subalgoE8ElNS0_10empty_typeEbEEZZNS1_14partition_implILS5_8ELb0ES3_jPlPS6_PKS6_NS0_5tupleIJS9_S6_EEENSD_IJSA_SA_EEENS0_18inequality_wrapperIZN2at6native12_GLOBAL__N_124unique_dim_cuda_templateIN3c104HalfEEESt5tupleIJNSH_6TensorESO_SO_EERKSO_lbbbEUlllE0_EEPmJS6_EEE10hipError_tPvRmT3_T4_T5_T6_T7_T9_mT8_P12ihipStream_tbDpT10_ENKUlT_T0_E_clISt17integral_constantIbLb1EES1E_EEDaS19_S1A_EUlS19_E_NS1_11comp_targetILNS1_3genE0ELNS1_11target_archE4294967295ELNS1_3gpuE0ELNS1_3repE0EEENS1_30default_config_static_selectorELNS0_4arch9wavefront6targetE1EEEvT1_ ; -- Begin function _ZN7rocprim17ROCPRIM_400000_NS6detail17trampoline_kernelINS0_14default_configENS1_25partition_config_selectorILNS1_17partition_subalgoE8ElNS0_10empty_typeEbEEZZNS1_14partition_implILS5_8ELb0ES3_jPlPS6_PKS6_NS0_5tupleIJS9_S6_EEENSD_IJSA_SA_EEENS0_18inequality_wrapperIZN2at6native12_GLOBAL__N_124unique_dim_cuda_templateIN3c104HalfEEESt5tupleIJNSH_6TensorESO_SO_EERKSO_lbbbEUlllE0_EEPmJS6_EEE10hipError_tPvRmT3_T4_T5_T6_T7_T9_mT8_P12ihipStream_tbDpT10_ENKUlT_T0_E_clISt17integral_constantIbLb1EES1E_EEDaS19_S1A_EUlS19_E_NS1_11comp_targetILNS1_3genE0ELNS1_11target_archE4294967295ELNS1_3gpuE0ELNS1_3repE0EEENS1_30default_config_static_selectorELNS0_4arch9wavefront6targetE1EEEvT1_
	.p2align	8
	.type	_ZN7rocprim17ROCPRIM_400000_NS6detail17trampoline_kernelINS0_14default_configENS1_25partition_config_selectorILNS1_17partition_subalgoE8ElNS0_10empty_typeEbEEZZNS1_14partition_implILS5_8ELb0ES3_jPlPS6_PKS6_NS0_5tupleIJS9_S6_EEENSD_IJSA_SA_EEENS0_18inequality_wrapperIZN2at6native12_GLOBAL__N_124unique_dim_cuda_templateIN3c104HalfEEESt5tupleIJNSH_6TensorESO_SO_EERKSO_lbbbEUlllE0_EEPmJS6_EEE10hipError_tPvRmT3_T4_T5_T6_T7_T9_mT8_P12ihipStream_tbDpT10_ENKUlT_T0_E_clISt17integral_constantIbLb1EES1E_EEDaS19_S1A_EUlS19_E_NS1_11comp_targetILNS1_3genE0ELNS1_11target_archE4294967295ELNS1_3gpuE0ELNS1_3repE0EEENS1_30default_config_static_selectorELNS0_4arch9wavefront6targetE1EEEvT1_,@function
_ZN7rocprim17ROCPRIM_400000_NS6detail17trampoline_kernelINS0_14default_configENS1_25partition_config_selectorILNS1_17partition_subalgoE8ElNS0_10empty_typeEbEEZZNS1_14partition_implILS5_8ELb0ES3_jPlPS6_PKS6_NS0_5tupleIJS9_S6_EEENSD_IJSA_SA_EEENS0_18inequality_wrapperIZN2at6native12_GLOBAL__N_124unique_dim_cuda_templateIN3c104HalfEEESt5tupleIJNSH_6TensorESO_SO_EERKSO_lbbbEUlllE0_EEPmJS6_EEE10hipError_tPvRmT3_T4_T5_T6_T7_T9_mT8_P12ihipStream_tbDpT10_ENKUlT_T0_E_clISt17integral_constantIbLb1EES1E_EEDaS19_S1A_EUlS19_E_NS1_11comp_targetILNS1_3genE0ELNS1_11target_archE4294967295ELNS1_3gpuE0ELNS1_3repE0EEENS1_30default_config_static_selectorELNS0_4arch9wavefront6targetE1EEEvT1_: ; @_ZN7rocprim17ROCPRIM_400000_NS6detail17trampoline_kernelINS0_14default_configENS1_25partition_config_selectorILNS1_17partition_subalgoE8ElNS0_10empty_typeEbEEZZNS1_14partition_implILS5_8ELb0ES3_jPlPS6_PKS6_NS0_5tupleIJS9_S6_EEENSD_IJSA_SA_EEENS0_18inequality_wrapperIZN2at6native12_GLOBAL__N_124unique_dim_cuda_templateIN3c104HalfEEESt5tupleIJNSH_6TensorESO_SO_EERKSO_lbbbEUlllE0_EEPmJS6_EEE10hipError_tPvRmT3_T4_T5_T6_T7_T9_mT8_P12ihipStream_tbDpT10_ENKUlT_T0_E_clISt17integral_constantIbLb1EES1E_EEDaS19_S1A_EUlS19_E_NS1_11comp_targetILNS1_3genE0ELNS1_11target_archE4294967295ELNS1_3gpuE0ELNS1_3repE0EEENS1_30default_config_static_selectorELNS0_4arch9wavefront6targetE1EEEvT1_
; %bb.0:
	.section	.rodata,"a",@progbits
	.p2align	6, 0x0
	.amdhsa_kernel _ZN7rocprim17ROCPRIM_400000_NS6detail17trampoline_kernelINS0_14default_configENS1_25partition_config_selectorILNS1_17partition_subalgoE8ElNS0_10empty_typeEbEEZZNS1_14partition_implILS5_8ELb0ES3_jPlPS6_PKS6_NS0_5tupleIJS9_S6_EEENSD_IJSA_SA_EEENS0_18inequality_wrapperIZN2at6native12_GLOBAL__N_124unique_dim_cuda_templateIN3c104HalfEEESt5tupleIJNSH_6TensorESO_SO_EERKSO_lbbbEUlllE0_EEPmJS6_EEE10hipError_tPvRmT3_T4_T5_T6_T7_T9_mT8_P12ihipStream_tbDpT10_ENKUlT_T0_E_clISt17integral_constantIbLb1EES1E_EEDaS19_S1A_EUlS19_E_NS1_11comp_targetILNS1_3genE0ELNS1_11target_archE4294967295ELNS1_3gpuE0ELNS1_3repE0EEENS1_30default_config_static_selectorELNS0_4arch9wavefront6targetE1EEEvT1_
		.amdhsa_group_segment_fixed_size 0
		.amdhsa_private_segment_fixed_size 0
		.amdhsa_kernarg_size 136
		.amdhsa_user_sgpr_count 2
		.amdhsa_user_sgpr_dispatch_ptr 0
		.amdhsa_user_sgpr_queue_ptr 0
		.amdhsa_user_sgpr_kernarg_segment_ptr 1
		.amdhsa_user_sgpr_dispatch_id 0
		.amdhsa_user_sgpr_kernarg_preload_length 0
		.amdhsa_user_sgpr_kernarg_preload_offset 0
		.amdhsa_user_sgpr_private_segment_size 0
		.amdhsa_uses_dynamic_stack 0
		.amdhsa_enable_private_segment 0
		.amdhsa_system_sgpr_workgroup_id_x 1
		.amdhsa_system_sgpr_workgroup_id_y 0
		.amdhsa_system_sgpr_workgroup_id_z 0
		.amdhsa_system_sgpr_workgroup_info 0
		.amdhsa_system_vgpr_workitem_id 0
		.amdhsa_next_free_vgpr 1
		.amdhsa_next_free_sgpr 0
		.amdhsa_accum_offset 4
		.amdhsa_reserve_vcc 0
		.amdhsa_float_round_mode_32 0
		.amdhsa_float_round_mode_16_64 0
		.amdhsa_float_denorm_mode_32 3
		.amdhsa_float_denorm_mode_16_64 3
		.amdhsa_dx10_clamp 1
		.amdhsa_ieee_mode 1
		.amdhsa_fp16_overflow 0
		.amdhsa_tg_split 0
		.amdhsa_exception_fp_ieee_invalid_op 0
		.amdhsa_exception_fp_denorm_src 0
		.amdhsa_exception_fp_ieee_div_zero 0
		.amdhsa_exception_fp_ieee_overflow 0
		.amdhsa_exception_fp_ieee_underflow 0
		.amdhsa_exception_fp_ieee_inexact 0
		.amdhsa_exception_int_div_zero 0
	.end_amdhsa_kernel
	.section	.text._ZN7rocprim17ROCPRIM_400000_NS6detail17trampoline_kernelINS0_14default_configENS1_25partition_config_selectorILNS1_17partition_subalgoE8ElNS0_10empty_typeEbEEZZNS1_14partition_implILS5_8ELb0ES3_jPlPS6_PKS6_NS0_5tupleIJS9_S6_EEENSD_IJSA_SA_EEENS0_18inequality_wrapperIZN2at6native12_GLOBAL__N_124unique_dim_cuda_templateIN3c104HalfEEESt5tupleIJNSH_6TensorESO_SO_EERKSO_lbbbEUlllE0_EEPmJS6_EEE10hipError_tPvRmT3_T4_T5_T6_T7_T9_mT8_P12ihipStream_tbDpT10_ENKUlT_T0_E_clISt17integral_constantIbLb1EES1E_EEDaS19_S1A_EUlS19_E_NS1_11comp_targetILNS1_3genE0ELNS1_11target_archE4294967295ELNS1_3gpuE0ELNS1_3repE0EEENS1_30default_config_static_selectorELNS0_4arch9wavefront6targetE1EEEvT1_,"axG",@progbits,_ZN7rocprim17ROCPRIM_400000_NS6detail17trampoline_kernelINS0_14default_configENS1_25partition_config_selectorILNS1_17partition_subalgoE8ElNS0_10empty_typeEbEEZZNS1_14partition_implILS5_8ELb0ES3_jPlPS6_PKS6_NS0_5tupleIJS9_S6_EEENSD_IJSA_SA_EEENS0_18inequality_wrapperIZN2at6native12_GLOBAL__N_124unique_dim_cuda_templateIN3c104HalfEEESt5tupleIJNSH_6TensorESO_SO_EERKSO_lbbbEUlllE0_EEPmJS6_EEE10hipError_tPvRmT3_T4_T5_T6_T7_T9_mT8_P12ihipStream_tbDpT10_ENKUlT_T0_E_clISt17integral_constantIbLb1EES1E_EEDaS19_S1A_EUlS19_E_NS1_11comp_targetILNS1_3genE0ELNS1_11target_archE4294967295ELNS1_3gpuE0ELNS1_3repE0EEENS1_30default_config_static_selectorELNS0_4arch9wavefront6targetE1EEEvT1_,comdat
.Lfunc_end1313:
	.size	_ZN7rocprim17ROCPRIM_400000_NS6detail17trampoline_kernelINS0_14default_configENS1_25partition_config_selectorILNS1_17partition_subalgoE8ElNS0_10empty_typeEbEEZZNS1_14partition_implILS5_8ELb0ES3_jPlPS6_PKS6_NS0_5tupleIJS9_S6_EEENSD_IJSA_SA_EEENS0_18inequality_wrapperIZN2at6native12_GLOBAL__N_124unique_dim_cuda_templateIN3c104HalfEEESt5tupleIJNSH_6TensorESO_SO_EERKSO_lbbbEUlllE0_EEPmJS6_EEE10hipError_tPvRmT3_T4_T5_T6_T7_T9_mT8_P12ihipStream_tbDpT10_ENKUlT_T0_E_clISt17integral_constantIbLb1EES1E_EEDaS19_S1A_EUlS19_E_NS1_11comp_targetILNS1_3genE0ELNS1_11target_archE4294967295ELNS1_3gpuE0ELNS1_3repE0EEENS1_30default_config_static_selectorELNS0_4arch9wavefront6targetE1EEEvT1_, .Lfunc_end1313-_ZN7rocprim17ROCPRIM_400000_NS6detail17trampoline_kernelINS0_14default_configENS1_25partition_config_selectorILNS1_17partition_subalgoE8ElNS0_10empty_typeEbEEZZNS1_14partition_implILS5_8ELb0ES3_jPlPS6_PKS6_NS0_5tupleIJS9_S6_EEENSD_IJSA_SA_EEENS0_18inequality_wrapperIZN2at6native12_GLOBAL__N_124unique_dim_cuda_templateIN3c104HalfEEESt5tupleIJNSH_6TensorESO_SO_EERKSO_lbbbEUlllE0_EEPmJS6_EEE10hipError_tPvRmT3_T4_T5_T6_T7_T9_mT8_P12ihipStream_tbDpT10_ENKUlT_T0_E_clISt17integral_constantIbLb1EES1E_EEDaS19_S1A_EUlS19_E_NS1_11comp_targetILNS1_3genE0ELNS1_11target_archE4294967295ELNS1_3gpuE0ELNS1_3repE0EEENS1_30default_config_static_selectorELNS0_4arch9wavefront6targetE1EEEvT1_
                                        ; -- End function
	.section	.AMDGPU.csdata,"",@progbits
; Kernel info:
; codeLenInByte = 0
; NumSgprs: 6
; NumVgprs: 0
; NumAgprs: 0
; TotalNumVgprs: 0
; ScratchSize: 0
; MemoryBound: 0
; FloatMode: 240
; IeeeMode: 1
; LDSByteSize: 0 bytes/workgroup (compile time only)
; SGPRBlocks: 0
; VGPRBlocks: 0
; NumSGPRsForWavesPerEU: 6
; NumVGPRsForWavesPerEU: 1
; AccumOffset: 4
; Occupancy: 8
; WaveLimiterHint : 0
; COMPUTE_PGM_RSRC2:SCRATCH_EN: 0
; COMPUTE_PGM_RSRC2:USER_SGPR: 2
; COMPUTE_PGM_RSRC2:TRAP_HANDLER: 0
; COMPUTE_PGM_RSRC2:TGID_X_EN: 1
; COMPUTE_PGM_RSRC2:TGID_Y_EN: 0
; COMPUTE_PGM_RSRC2:TGID_Z_EN: 0
; COMPUTE_PGM_RSRC2:TIDIG_COMP_CNT: 0
; COMPUTE_PGM_RSRC3_GFX90A:ACCUM_OFFSET: 0
; COMPUTE_PGM_RSRC3_GFX90A:TG_SPLIT: 0
	.section	.text._ZN7rocprim17ROCPRIM_400000_NS6detail17trampoline_kernelINS0_14default_configENS1_25partition_config_selectorILNS1_17partition_subalgoE8ElNS0_10empty_typeEbEEZZNS1_14partition_implILS5_8ELb0ES3_jPlPS6_PKS6_NS0_5tupleIJS9_S6_EEENSD_IJSA_SA_EEENS0_18inequality_wrapperIZN2at6native12_GLOBAL__N_124unique_dim_cuda_templateIN3c104HalfEEESt5tupleIJNSH_6TensorESO_SO_EERKSO_lbbbEUlllE0_EEPmJS6_EEE10hipError_tPvRmT3_T4_T5_T6_T7_T9_mT8_P12ihipStream_tbDpT10_ENKUlT_T0_E_clISt17integral_constantIbLb1EES1E_EEDaS19_S1A_EUlS19_E_NS1_11comp_targetILNS1_3genE5ELNS1_11target_archE942ELNS1_3gpuE9ELNS1_3repE0EEENS1_30default_config_static_selectorELNS0_4arch9wavefront6targetE1EEEvT1_,"axG",@progbits,_ZN7rocprim17ROCPRIM_400000_NS6detail17trampoline_kernelINS0_14default_configENS1_25partition_config_selectorILNS1_17partition_subalgoE8ElNS0_10empty_typeEbEEZZNS1_14partition_implILS5_8ELb0ES3_jPlPS6_PKS6_NS0_5tupleIJS9_S6_EEENSD_IJSA_SA_EEENS0_18inequality_wrapperIZN2at6native12_GLOBAL__N_124unique_dim_cuda_templateIN3c104HalfEEESt5tupleIJNSH_6TensorESO_SO_EERKSO_lbbbEUlllE0_EEPmJS6_EEE10hipError_tPvRmT3_T4_T5_T6_T7_T9_mT8_P12ihipStream_tbDpT10_ENKUlT_T0_E_clISt17integral_constantIbLb1EES1E_EEDaS19_S1A_EUlS19_E_NS1_11comp_targetILNS1_3genE5ELNS1_11target_archE942ELNS1_3gpuE9ELNS1_3repE0EEENS1_30default_config_static_selectorELNS0_4arch9wavefront6targetE1EEEvT1_,comdat
	.globl	_ZN7rocprim17ROCPRIM_400000_NS6detail17trampoline_kernelINS0_14default_configENS1_25partition_config_selectorILNS1_17partition_subalgoE8ElNS0_10empty_typeEbEEZZNS1_14partition_implILS5_8ELb0ES3_jPlPS6_PKS6_NS0_5tupleIJS9_S6_EEENSD_IJSA_SA_EEENS0_18inequality_wrapperIZN2at6native12_GLOBAL__N_124unique_dim_cuda_templateIN3c104HalfEEESt5tupleIJNSH_6TensorESO_SO_EERKSO_lbbbEUlllE0_EEPmJS6_EEE10hipError_tPvRmT3_T4_T5_T6_T7_T9_mT8_P12ihipStream_tbDpT10_ENKUlT_T0_E_clISt17integral_constantIbLb1EES1E_EEDaS19_S1A_EUlS19_E_NS1_11comp_targetILNS1_3genE5ELNS1_11target_archE942ELNS1_3gpuE9ELNS1_3repE0EEENS1_30default_config_static_selectorELNS0_4arch9wavefront6targetE1EEEvT1_ ; -- Begin function _ZN7rocprim17ROCPRIM_400000_NS6detail17trampoline_kernelINS0_14default_configENS1_25partition_config_selectorILNS1_17partition_subalgoE8ElNS0_10empty_typeEbEEZZNS1_14partition_implILS5_8ELb0ES3_jPlPS6_PKS6_NS0_5tupleIJS9_S6_EEENSD_IJSA_SA_EEENS0_18inequality_wrapperIZN2at6native12_GLOBAL__N_124unique_dim_cuda_templateIN3c104HalfEEESt5tupleIJNSH_6TensorESO_SO_EERKSO_lbbbEUlllE0_EEPmJS6_EEE10hipError_tPvRmT3_T4_T5_T6_T7_T9_mT8_P12ihipStream_tbDpT10_ENKUlT_T0_E_clISt17integral_constantIbLb1EES1E_EEDaS19_S1A_EUlS19_E_NS1_11comp_targetILNS1_3genE5ELNS1_11target_archE942ELNS1_3gpuE9ELNS1_3repE0EEENS1_30default_config_static_selectorELNS0_4arch9wavefront6targetE1EEEvT1_
	.p2align	8
	.type	_ZN7rocprim17ROCPRIM_400000_NS6detail17trampoline_kernelINS0_14default_configENS1_25partition_config_selectorILNS1_17partition_subalgoE8ElNS0_10empty_typeEbEEZZNS1_14partition_implILS5_8ELb0ES3_jPlPS6_PKS6_NS0_5tupleIJS9_S6_EEENSD_IJSA_SA_EEENS0_18inequality_wrapperIZN2at6native12_GLOBAL__N_124unique_dim_cuda_templateIN3c104HalfEEESt5tupleIJNSH_6TensorESO_SO_EERKSO_lbbbEUlllE0_EEPmJS6_EEE10hipError_tPvRmT3_T4_T5_T6_T7_T9_mT8_P12ihipStream_tbDpT10_ENKUlT_T0_E_clISt17integral_constantIbLb1EES1E_EEDaS19_S1A_EUlS19_E_NS1_11comp_targetILNS1_3genE5ELNS1_11target_archE942ELNS1_3gpuE9ELNS1_3repE0EEENS1_30default_config_static_selectorELNS0_4arch9wavefront6targetE1EEEvT1_,@function
_ZN7rocprim17ROCPRIM_400000_NS6detail17trampoline_kernelINS0_14default_configENS1_25partition_config_selectorILNS1_17partition_subalgoE8ElNS0_10empty_typeEbEEZZNS1_14partition_implILS5_8ELb0ES3_jPlPS6_PKS6_NS0_5tupleIJS9_S6_EEENSD_IJSA_SA_EEENS0_18inequality_wrapperIZN2at6native12_GLOBAL__N_124unique_dim_cuda_templateIN3c104HalfEEESt5tupleIJNSH_6TensorESO_SO_EERKSO_lbbbEUlllE0_EEPmJS6_EEE10hipError_tPvRmT3_T4_T5_T6_T7_T9_mT8_P12ihipStream_tbDpT10_ENKUlT_T0_E_clISt17integral_constantIbLb1EES1E_EEDaS19_S1A_EUlS19_E_NS1_11comp_targetILNS1_3genE5ELNS1_11target_archE942ELNS1_3gpuE9ELNS1_3repE0EEENS1_30default_config_static_selectorELNS0_4arch9wavefront6targetE1EEEvT1_: ; @_ZN7rocprim17ROCPRIM_400000_NS6detail17trampoline_kernelINS0_14default_configENS1_25partition_config_selectorILNS1_17partition_subalgoE8ElNS0_10empty_typeEbEEZZNS1_14partition_implILS5_8ELb0ES3_jPlPS6_PKS6_NS0_5tupleIJS9_S6_EEENSD_IJSA_SA_EEENS0_18inequality_wrapperIZN2at6native12_GLOBAL__N_124unique_dim_cuda_templateIN3c104HalfEEESt5tupleIJNSH_6TensorESO_SO_EERKSO_lbbbEUlllE0_EEPmJS6_EEE10hipError_tPvRmT3_T4_T5_T6_T7_T9_mT8_P12ihipStream_tbDpT10_ENKUlT_T0_E_clISt17integral_constantIbLb1EES1E_EEDaS19_S1A_EUlS19_E_NS1_11comp_targetILNS1_3genE5ELNS1_11target_archE942ELNS1_3gpuE9ELNS1_3repE0EEENS1_30default_config_static_selectorELNS0_4arch9wavefront6targetE1EEEvT1_
; %bb.0:
	s_load_dwordx2 s[34:35], s[0:1], 0x28
	s_load_dwordx8 s[20:27], s[0:1], 0x40
	s_load_dwordx4 s[28:31], s[0:1], 0x60
	v_cmp_ne_u32_e64 s[2:3], 0, v0
	v_cmp_eq_u32_e64 s[18:19], 0, v0
	s_and_saveexec_b64 s[4:5], s[18:19]
	s_cbranch_execz .LBB1314_4
; %bb.1:
	s_mov_b64 s[8:9], exec
	v_mbcnt_lo_u32_b32 v1, s8, 0
	v_mbcnt_hi_u32_b32 v1, s9, v1
	v_cmp_eq_u32_e32 vcc, 0, v1
                                        ; implicit-def: $vgpr2
	s_and_saveexec_b64 s[6:7], vcc
	s_cbranch_execz .LBB1314_3
; %bb.2:
	s_load_dwordx2 s[10:11], s[0:1], 0x78
	s_bcnt1_i32_b64 s8, s[8:9]
	v_mov_b32_e32 v2, 0
	v_mov_b32_e32 v3, s8
	s_waitcnt lgkmcnt(0)
	global_atomic_add v2, v2, v3, s[10:11] sc0
.LBB1314_3:
	s_or_b64 exec, exec, s[6:7]
	s_waitcnt vmcnt(0)
	v_readfirstlane_b32 s6, v2
	v_mov_b32_e32 v2, 0
	s_nop 0
	v_add_u32_e32 v1, s6, v1
	ds_write_b32 v2, v1
.LBB1314_4:
	s_or_b64 exec, exec, s[4:5]
	v_mov_b32_e32 v3, 0
	s_load_dwordx4 s[4:7], s[0:1], 0x8
	s_load_dword s10, s[0:1], 0x70
	s_waitcnt lgkmcnt(0)
	s_barrier
	ds_read_b32 v1, v3
	s_waitcnt lgkmcnt(0)
	s_barrier
	global_load_dwordx2 v[4:5], v3, s[22:23]
	s_lshl_b64 s[0:1], s[6:7], 3
	s_mul_i32 s12, s10, 0xe00
	s_add_u32 s0, s4, s0
	s_addc_u32 s1, s5, s1
	s_add_i32 s4, s12, s6
	s_add_i32 s10, s10, -1
	s_sub_i32 s52, s24, s4
	s_add_u32 s4, s6, s12
	s_movk_i32 s11, 0xe00
	s_addc_u32 s5, s7, 0
	v_readfirstlane_b32 s33, v1
	v_mov_b32_e32 v6, s24
	v_mov_b32_e32 v7, s25
	v_mul_lo_u32 v2, v1, s11
	s_cmp_eq_u32 s33, s10
	v_cmp_ge_u64_e32 vcc, s[4:5], v[6:7]
	v_lshlrev_b64 v[6:7], 3, v[2:3]
	s_cselect_b64 s[24:25], -1, 0
	v_lshl_add_u64 v[18:19], s[0:1], 0, v[6:7]
	s_and_b64 s[0:1], vcc, s[24:25]
	s_xor_b64 s[36:37], s[0:1], -1
	s_mov_b64 s[8:9], -1
	s_and_b64 vcc, exec, s[36:37]
	s_waitcnt vmcnt(0)
	v_readfirstlane_b32 s22, v4
	v_readfirstlane_b32 s23, v5
	s_cbranch_vccz .LBB1314_6
; %bb.5:
	v_lshlrev_b32_e32 v2, 3, v0
	v_lshl_add_u64 v[4:5], v[18:19], 0, v[2:3]
	v_add_co_u32_e32 v8, vcc, 0x1000, v4
	v_readfirstlane_b32 s4, v18
	s_nop 0
	v_addc_co_u32_e32 v9, vcc, 0, v5, vcc
	v_add_co_u32_e32 v10, vcc, 0x2000, v4
	v_readfirstlane_b32 s5, v19
	s_nop 0
	v_addc_co_u32_e32 v11, vcc, 0, v5, vcc
	v_add_co_u32_e32 v12, vcc, 0x3000, v4
	s_mov_b64 s[8:9], 0
	s_nop 0
	v_addc_co_u32_e32 v13, vcc, 0, v5, vcc
	v_add_co_u32_e32 v14, vcc, 0x4000, v4
	global_load_dwordx2 v[6:7], v2, s[4:5]
	s_nop 0
	v_addc_co_u32_e32 v15, vcc, 0, v5, vcc
	global_load_dwordx2 v[16:17], v[8:9], off
	global_load_dwordx2 v[20:21], v[10:11], off
	;; [unrolled: 1-line block ×4, first 2 shown]
	v_add_co_u32_e32 v8, vcc, 0x5000, v4
	s_nop 1
	v_addc_co_u32_e32 v9, vcc, 0, v5, vcc
	v_add_co_u32_e32 v4, vcc, 0x6000, v4
	global_load_dwordx2 v[8:9], v[8:9], off
	s_nop 0
	v_addc_co_u32_e32 v5, vcc, 0, v5, vcc
	global_load_dwordx2 v[4:5], v[4:5], off
	s_waitcnt vmcnt(5)
	ds_write2st64_b64 v2, v[6:7], v[16:17] offset1:8
	s_waitcnt vmcnt(3)
	ds_write2st64_b64 v2, v[20:21], v[22:23] offset0:16 offset1:24
	s_waitcnt vmcnt(1)
	ds_write2st64_b64 v2, v[24:25], v[8:9] offset0:32 offset1:40
	s_waitcnt vmcnt(0)
	ds_write_b64 v2, v[4:5] offset:24576
	s_waitcnt lgkmcnt(0)
	s_barrier
.LBB1314_6:
	s_andn2_b64 vcc, exec, s[8:9]
	s_addk_i32 s52, 0xe00
	s_cbranch_vccnz .LBB1314_22
; %bb.7:
	v_cmp_gt_u32_e32 vcc, s52, v0
                                        ; implicit-def: $vgpr2_vgpr3_vgpr4_vgpr5_vgpr6_vgpr7_vgpr8_vgpr9_vgpr10_vgpr11_vgpr12_vgpr13_vgpr14_vgpr15_vgpr16_vgpr17
	s_and_saveexec_b64 s[4:5], vcc
	s_cbranch_execz .LBB1314_9
; %bb.8:
	v_lshlrev_b32_e32 v1, 3, v0
	v_readfirstlane_b32 s8, v18
	v_readfirstlane_b32 s9, v19
	s_nop 4
	global_load_dwordx2 v[2:3], v1, s[8:9]
.LBB1314_9:
	s_or_b64 exec, exec, s[4:5]
	v_or_b32_e32 v1, 0x200, v0
	v_cmp_gt_u32_e32 vcc, s52, v1
	s_and_saveexec_b64 s[4:5], vcc
	s_cbranch_execz .LBB1314_11
; %bb.10:
	v_lshlrev_b32_e32 v1, 3, v1
	v_readfirstlane_b32 s8, v18
	v_readfirstlane_b32 s9, v19
	s_nop 4
	global_load_dwordx2 v[4:5], v1, s[8:9]
.LBB1314_11:
	s_or_b64 exec, exec, s[4:5]
	v_or_b32_e32 v1, 0x400, v0
	v_cmp_gt_u32_e32 vcc, s52, v1
	;; [unrolled: 12-line block ×6, first 2 shown]
	s_and_saveexec_b64 s[4:5], vcc
	s_cbranch_execz .LBB1314_21
; %bb.20:
	v_lshlrev_b32_e32 v1, 3, v1
	v_readfirstlane_b32 s8, v18
	v_readfirstlane_b32 s9, v19
	s_nop 4
	global_load_dwordx2 v[14:15], v1, s[8:9]
.LBB1314_21:
	s_or_b64 exec, exec, s[4:5]
	v_lshlrev_b32_e32 v1, 3, v0
	s_waitcnt vmcnt(0)
	ds_write2st64_b64 v1, v[2:3], v[4:5] offset1:8
	ds_write2st64_b64 v1, v[6:7], v[8:9] offset0:16 offset1:24
	ds_write2st64_b64 v1, v[10:11], v[12:13] offset0:32 offset1:40
	ds_write_b64 v1, v[14:15] offset:24576
	s_waitcnt lgkmcnt(0)
	s_barrier
.LBB1314_22:
	v_mul_u32_u24_e32 v1, 7, v0
	v_lshlrev_b32_e32 v32, 3, v1
	ds_read2_b64 v[10:13], v32 offset1:1
	ds_read2_b64 v[6:9], v32 offset0:2 offset1:3
	ds_read2_b64 v[2:5], v32 offset0:4 offset1:5
	ds_read_b64 v[14:15], v32 offset:48
	s_cmp_lg_u32 s33, 0
	s_cselect_b64 s[16:17], -1, 0
	s_cmp_lg_u64 s[6:7], 0
	s_cselect_b64 s[4:5], -1, 0
	s_or_b64 s[4:5], s[4:5], s[16:17]
	v_mad_u32_u24 v27, v0, 7, 1
	v_mad_u32_u24 v26, v0, 7, 2
	;; [unrolled: 1-line block ×6, first 2 shown]
	s_mov_b64 s[8:9], 0
	s_and_b64 vcc, exec, s[4:5]
	v_cmp_gt_i64_e64 s[4:5], s[26:27], 0
	s_waitcnt lgkmcnt(0)
	s_barrier
	s_cbranch_vccz .LBB1314_31
; %bb.23:
	global_load_dwordx2 v[16:17], v[18:19], off offset:-8
	v_cndmask_b32_e64 v18, 0, 1, s[4:5]
	v_lshlrev_b32_e32 v33, 3, v0
	s_mov_b64 s[6:7], 0
	s_and_b64 vcc, exec, s[36:37]
	v_cmp_ne_u32_e64 s[4:5], 1, v18
	ds_write_b64 v33, v[14:15]
	s_cbranch_vccz .LBB1314_33
; %bb.24:
	v_mul_lo_u32 v20, v5, s26
	v_mul_lo_u32 v21, v4, s27
	v_mad_u64_u32 v[18:19], s[8:9], v4, s26, 0
	v_add3_u32 v19, v19, v21, v20
	s_and_b64 vcc, exec, s[4:5]
	v_lshl_add_u64 v[18:19], v[18:19], 1, s[28:29]
	s_cbranch_vccnz .LBB1314_36
; %bb.25:
	v_mul_lo_u32 v22, v15, s26
	v_mul_lo_u32 v23, v14, s27
	v_mad_u64_u32 v[20:21], s[6:7], v14, s26, 0
	v_add3_u32 v21, v21, v23, v22
	v_lshl_add_u64 v[20:21], v[20:21], 1, s[28:29]
	global_load_ushort v22, v[18:19], off
	global_load_ushort v23, v[20:21], off
	s_mov_b64 s[6:7], -1
	s_waitcnt vmcnt(0)
	v_cmp_eq_f16_e32 vcc, v22, v23
	s_and_saveexec_b64 s[8:9], vcc
	s_cbranch_execz .LBB1314_35
; %bb.26:
	s_add_u32 s6, s26, -1
	v_lshl_add_u64 v[20:21], v[20:21], 0, 2
	v_lshl_add_u64 v[22:23], v[18:19], 0, 2
	s_addc_u32 s7, s27, -1
	s_mov_b64 s[10:11], 0
	s_mov_b64 s[14:15], 0
                                        ; implicit-def: $sgpr12_sgpr13
	s_branch .LBB1314_29
.LBB1314_27:                            ;   in Loop: Header=BB1314_29 Depth=1
	global_load_ushort v24, v[22:23], off
	global_load_ushort v25, v[20:21], off
	s_add_u32 s14, s14, 1
	s_addc_u32 s15, s15, 0
	s_andn2_b64 s[12:13], s[12:13], exec
	v_lshl_add_u64 v[20:21], v[20:21], 0, 2
	v_lshl_add_u64 v[22:23], v[22:23], 0, 2
	s_waitcnt vmcnt(0)
	v_cmp_neq_f16_e32 vcc, v24, v25
	s_and_b64 s[38:39], vcc, exec
	s_or_b64 s[12:13], s[12:13], s[38:39]
.LBB1314_28:                            ;   in Loop: Header=BB1314_29 Depth=1
	s_and_b64 s[38:39], exec, s[12:13]
	s_or_b64 s[10:11], s[38:39], s[10:11]
	v_mov_b64_e32 v[24:25], s[14:15]
	s_andn2_b64 exec, exec, s[10:11]
	s_cbranch_execz .LBB1314_34
.LBB1314_29:                            ; =>This Inner Loop Header: Depth=1
	s_or_b64 s[12:13], s[12:13], exec
	s_cmp_eq_u64 s[6:7], s[14:15]
	s_cbranch_scc0 .LBB1314_27
; %bb.30:                               ;   in Loop: Header=BB1314_29 Depth=1
                                        ; implicit-def: $vgpr20_vgpr21
                                        ; implicit-def: $vgpr22_vgpr23
	s_mov_b64 s[14:15], s[26:27]
	s_branch .LBB1314_28
.LBB1314_31:
                                        ; implicit-def: $sgpr12_sgpr13
                                        ; implicit-def: $vgpr35
                                        ; implicit-def: $vgpr34
                                        ; implicit-def: $vgpr25
                                        ; implicit-def: $vgpr20
	s_branch .LBB1314_174
.LBB1314_32:
                                        ; implicit-def: $vgpr16_vgpr17
	s_branch .LBB1314_322
.LBB1314_33:
                                        ; implicit-def: $sgpr12_sgpr13
                                        ; implicit-def: $vgpr35
                                        ; implicit-def: $vgpr34
                                        ; implicit-def: $vgpr25
                                        ; implicit-def: $vgpr20
	s_cbranch_execnz .LBB1314_93
	s_branch .LBB1314_173
.LBB1314_34:
	s_or_b64 exec, exec, s[10:11]
	v_cmp_gt_i64_e32 vcc, s[26:27], v[24:25]
	s_orn2_b64 s[6:7], vcc, exec
.LBB1314_35:
	s_or_b64 exec, exec, s[8:9]
.LBB1314_36:
	v_mul_lo_u32 v22, v3, s26
	v_mul_lo_u32 v23, v2, s27
	v_mad_u64_u32 v[20:21], s[8:9], v2, s26, 0
	v_add3_u32 v21, v21, v23, v22
	s_mov_b64 s[8:9], 0
	s_and_b64 vcc, exec, s[4:5]
	v_lshl_add_u64 v[20:21], v[20:21], 1, s[28:29]
	s_mov_b64 s[10:11], 0
	s_cbranch_vccnz .LBB1314_45
; %bb.37:
	global_load_ushort v22, v[20:21], off
	global_load_ushort v23, v[18:19], off
	s_mov_b64 s[10:11], -1
	s_waitcnt vmcnt(0)
	v_cmp_eq_f16_e32 vcc, v22, v23
	s_and_saveexec_b64 s[12:13], vcc
	s_cbranch_execz .LBB1314_44
; %bb.38:
	s_add_u32 s10, s26, -1
	v_lshl_add_u64 v[18:19], v[18:19], 0, 2
	v_lshl_add_u64 v[22:23], v[20:21], 0, 2
	s_addc_u32 s11, s27, -1
	s_mov_b64 s[14:15], 0
	s_mov_b64 s[40:41], 0
                                        ; implicit-def: $sgpr38_sgpr39
	s_branch .LBB1314_41
.LBB1314_39:                            ;   in Loop: Header=BB1314_41 Depth=1
	global_load_ushort v24, v[22:23], off
	global_load_ushort v25, v[18:19], off
	s_add_u32 s40, s40, 1
	s_addc_u32 s41, s41, 0
	s_andn2_b64 s[38:39], s[38:39], exec
	v_lshl_add_u64 v[18:19], v[18:19], 0, 2
	v_lshl_add_u64 v[22:23], v[22:23], 0, 2
	s_waitcnt vmcnt(0)
	v_cmp_neq_f16_e32 vcc, v24, v25
	s_and_b64 s[42:43], vcc, exec
	s_or_b64 s[38:39], s[38:39], s[42:43]
.LBB1314_40:                            ;   in Loop: Header=BB1314_41 Depth=1
	s_and_b64 s[42:43], exec, s[38:39]
	s_or_b64 s[14:15], s[42:43], s[14:15]
	v_mov_b64_e32 v[24:25], s[40:41]
	s_andn2_b64 exec, exec, s[14:15]
	s_cbranch_execz .LBB1314_43
.LBB1314_41:                            ; =>This Inner Loop Header: Depth=1
	s_or_b64 s[38:39], s[38:39], exec
	s_cmp_eq_u64 s[10:11], s[40:41]
	s_cbranch_scc0 .LBB1314_39
; %bb.42:                               ;   in Loop: Header=BB1314_41 Depth=1
                                        ; implicit-def: $vgpr18_vgpr19
                                        ; implicit-def: $vgpr22_vgpr23
	s_mov_b64 s[40:41], s[26:27]
	s_branch .LBB1314_40
.LBB1314_43:
	s_or_b64 exec, exec, s[14:15]
	v_cmp_gt_i64_e32 vcc, s[26:27], v[24:25]
	s_orn2_b64 s[10:11], vcc, exec
.LBB1314_44:
	s_or_b64 exec, exec, s[12:13]
.LBB1314_45:
	v_mul_lo_u32 v22, v9, s26
	v_mul_lo_u32 v23, v8, s27
	v_mad_u64_u32 v[18:19], s[12:13], v8, s26, 0
	v_add3_u32 v19, v19, v23, v22
	s_and_b64 vcc, exec, s[4:5]
	v_lshl_add_u64 v[18:19], v[18:19], 1, s[28:29]
	s_cbranch_vccnz .LBB1314_54
; %bb.46:
	global_load_ushort v22, v[18:19], off
	global_load_ushort v23, v[20:21], off
	s_mov_b64 s[8:9], -1
	s_waitcnt vmcnt(0)
	v_cmp_eq_f16_e32 vcc, v22, v23
	s_and_saveexec_b64 s[12:13], vcc
	s_cbranch_execz .LBB1314_53
; %bb.47:
	s_add_u32 s8, s26, -1
	v_lshl_add_u64 v[20:21], v[20:21], 0, 2
	v_lshl_add_u64 v[22:23], v[18:19], 0, 2
	s_addc_u32 s9, s27, -1
	s_mov_b64 s[14:15], 0
	s_mov_b64 s[40:41], 0
                                        ; implicit-def: $sgpr38_sgpr39
	s_branch .LBB1314_50
.LBB1314_48:                            ;   in Loop: Header=BB1314_50 Depth=1
	global_load_ushort v24, v[22:23], off
	global_load_ushort v25, v[20:21], off
	s_add_u32 s40, s40, 1
	s_addc_u32 s41, s41, 0
	s_andn2_b64 s[38:39], s[38:39], exec
	v_lshl_add_u64 v[20:21], v[20:21], 0, 2
	v_lshl_add_u64 v[22:23], v[22:23], 0, 2
	s_waitcnt vmcnt(0)
	v_cmp_neq_f16_e32 vcc, v24, v25
	s_and_b64 s[42:43], vcc, exec
	s_or_b64 s[38:39], s[38:39], s[42:43]
.LBB1314_49:                            ;   in Loop: Header=BB1314_50 Depth=1
	s_and_b64 s[42:43], exec, s[38:39]
	s_or_b64 s[14:15], s[42:43], s[14:15]
	v_mov_b64_e32 v[24:25], s[40:41]
	s_andn2_b64 exec, exec, s[14:15]
	s_cbranch_execz .LBB1314_52
.LBB1314_50:                            ; =>This Inner Loop Header: Depth=1
	s_or_b64 s[38:39], s[38:39], exec
	s_cmp_eq_u64 s[8:9], s[40:41]
	s_cbranch_scc0 .LBB1314_48
; %bb.51:                               ;   in Loop: Header=BB1314_50 Depth=1
                                        ; implicit-def: $vgpr20_vgpr21
                                        ; implicit-def: $vgpr22_vgpr23
	s_mov_b64 s[40:41], s[26:27]
	s_branch .LBB1314_49
.LBB1314_52:
	s_or_b64 exec, exec, s[14:15]
	v_cmp_gt_i64_e32 vcc, s[26:27], v[24:25]
	s_orn2_b64 s[8:9], vcc, exec
.LBB1314_53:
	s_or_b64 exec, exec, s[12:13]
.LBB1314_54:
	v_mul_lo_u32 v22, v7, s26
	v_mul_lo_u32 v23, v6, s27
	v_mad_u64_u32 v[20:21], s[12:13], v6, s26, 0
	v_add3_u32 v21, v21, v23, v22
	s_mov_b64 s[12:13], 0
	s_and_b64 vcc, exec, s[4:5]
	v_lshl_add_u64 v[22:23], v[20:21], 1, s[28:29]
	s_mov_b64 s[14:15], 0
	s_cbranch_vccnz .LBB1314_63
; %bb.55:
	global_load_ushort v20, v[22:23], off
	global_load_ushort v21, v[18:19], off
	s_mov_b64 s[14:15], -1
	s_waitcnt vmcnt(0)
	v_cmp_eq_f16_e32 vcc, v20, v21
	s_and_saveexec_b64 s[38:39], vcc
	s_cbranch_execz .LBB1314_62
; %bb.56:
	s_add_u32 s14, s26, -1
	v_lshl_add_u64 v[18:19], v[18:19], 0, 2
	v_lshl_add_u64 v[20:21], v[22:23], 0, 2
	s_addc_u32 s15, s27, -1
	s_mov_b64 s[40:41], 0
	s_mov_b64 s[44:45], 0
                                        ; implicit-def: $sgpr42_sgpr43
	s_branch .LBB1314_59
.LBB1314_57:                            ;   in Loop: Header=BB1314_59 Depth=1
	global_load_ushort v24, v[20:21], off
	global_load_ushort v25, v[18:19], off
	s_add_u32 s44, s44, 1
	s_addc_u32 s45, s45, 0
	s_andn2_b64 s[42:43], s[42:43], exec
	v_lshl_add_u64 v[18:19], v[18:19], 0, 2
	v_lshl_add_u64 v[20:21], v[20:21], 0, 2
	s_waitcnt vmcnt(0)
	v_cmp_neq_f16_e32 vcc, v24, v25
	s_and_b64 s[46:47], vcc, exec
	s_or_b64 s[42:43], s[42:43], s[46:47]
.LBB1314_58:                            ;   in Loop: Header=BB1314_59 Depth=1
	s_and_b64 s[46:47], exec, s[42:43]
	s_or_b64 s[40:41], s[46:47], s[40:41]
	v_mov_b64_e32 v[24:25], s[44:45]
	s_andn2_b64 exec, exec, s[40:41]
	s_cbranch_execz .LBB1314_61
.LBB1314_59:                            ; =>This Inner Loop Header: Depth=1
	s_or_b64 s[42:43], s[42:43], exec
	s_cmp_eq_u64 s[14:15], s[44:45]
	s_cbranch_scc0 .LBB1314_57
; %bb.60:                               ;   in Loop: Header=BB1314_59 Depth=1
                                        ; implicit-def: $vgpr18_vgpr19
                                        ; implicit-def: $vgpr20_vgpr21
	s_mov_b64 s[44:45], s[26:27]
	s_branch .LBB1314_58
.LBB1314_61:
	s_or_b64 exec, exec, s[40:41]
	v_cmp_gt_i64_e32 vcc, s[26:27], v[24:25]
	s_orn2_b64 s[14:15], vcc, exec
.LBB1314_62:
	s_or_b64 exec, exec, s[38:39]
.LBB1314_63:
	v_mul_lo_u32 v20, v13, s26
	v_mul_lo_u32 v21, v12, s27
	v_mad_u64_u32 v[18:19], s[38:39], v12, s26, 0
	v_add3_u32 v19, v19, v21, v20
	s_and_b64 vcc, exec, s[4:5]
	v_lshl_add_u64 v[20:21], v[18:19], 1, s[28:29]
	s_cbranch_vccnz .LBB1314_72
; %bb.64:
	global_load_ushort v18, v[20:21], off
	global_load_ushort v19, v[22:23], off
	s_mov_b64 s[12:13], -1
	s_waitcnt vmcnt(0)
	v_cmp_eq_f16_e32 vcc, v18, v19
	s_and_saveexec_b64 s[38:39], vcc
	s_cbranch_execz .LBB1314_71
; %bb.65:
	s_add_u32 s12, s26, -1
	v_lshl_add_u64 v[18:19], v[22:23], 0, 2
	v_lshl_add_u64 v[22:23], v[20:21], 0, 2
	s_addc_u32 s13, s27, -1
	s_mov_b64 s[40:41], 0
	s_mov_b64 s[44:45], 0
                                        ; implicit-def: $sgpr42_sgpr43
	s_branch .LBB1314_68
.LBB1314_66:                            ;   in Loop: Header=BB1314_68 Depth=1
	global_load_ushort v24, v[22:23], off
	global_load_ushort v25, v[18:19], off
	s_add_u32 s44, s44, 1
	s_addc_u32 s45, s45, 0
	s_andn2_b64 s[42:43], s[42:43], exec
	v_lshl_add_u64 v[18:19], v[18:19], 0, 2
	v_lshl_add_u64 v[22:23], v[22:23], 0, 2
	s_waitcnt vmcnt(0)
	v_cmp_neq_f16_e32 vcc, v24, v25
	s_and_b64 s[46:47], vcc, exec
	s_or_b64 s[42:43], s[42:43], s[46:47]
.LBB1314_67:                            ;   in Loop: Header=BB1314_68 Depth=1
	s_and_b64 s[46:47], exec, s[42:43]
	s_or_b64 s[40:41], s[46:47], s[40:41]
	v_mov_b64_e32 v[24:25], s[44:45]
	s_andn2_b64 exec, exec, s[40:41]
	s_cbranch_execz .LBB1314_70
.LBB1314_68:                            ; =>This Inner Loop Header: Depth=1
	s_or_b64 s[42:43], s[42:43], exec
	s_cmp_eq_u64 s[12:13], s[44:45]
	s_cbranch_scc0 .LBB1314_66
; %bb.69:                               ;   in Loop: Header=BB1314_68 Depth=1
                                        ; implicit-def: $vgpr18_vgpr19
                                        ; implicit-def: $vgpr22_vgpr23
	s_mov_b64 s[44:45], s[26:27]
	s_branch .LBB1314_67
.LBB1314_70:
	s_or_b64 exec, exec, s[40:41]
	v_cmp_gt_i64_e32 vcc, s[26:27], v[24:25]
	s_orn2_b64 s[12:13], vcc, exec
.LBB1314_71:
	s_or_b64 exec, exec, s[38:39]
.LBB1314_72:
	v_mul_lo_u32 v22, v11, s26
	v_mul_lo_u32 v23, v10, s27
	v_mad_u64_u32 v[18:19], s[38:39], v10, s26, 0
	v_add3_u32 v19, v19, v23, v22
	s_mov_b64 s[40:41], 0
	s_and_b64 vcc, exec, s[4:5]
	v_lshl_add_u64 v[18:19], v[18:19], 1, s[28:29]
	s_cbranch_vccnz .LBB1314_81
; %bb.73:
	global_load_ushort v22, v[18:19], off
	global_load_ushort v23, v[20:21], off
	s_mov_b64 s[40:41], -1
	s_waitcnt vmcnt(0)
	v_cmp_eq_f16_e32 vcc, v22, v23
	s_and_saveexec_b64 s[38:39], vcc
	s_cbranch_execz .LBB1314_80
; %bb.74:
	s_add_u32 s40, s26, -1
	v_lshl_add_u64 v[20:21], v[20:21], 0, 2
	v_lshl_add_u64 v[22:23], v[18:19], 0, 2
	s_addc_u32 s41, s27, -1
	s_mov_b64 s[42:43], 0
	s_mov_b64 s[46:47], 0
                                        ; implicit-def: $sgpr44_sgpr45
	s_branch .LBB1314_77
.LBB1314_75:                            ;   in Loop: Header=BB1314_77 Depth=1
	global_load_ushort v24, v[22:23], off
	global_load_ushort v25, v[20:21], off
	s_add_u32 s46, s46, 1
	s_addc_u32 s47, s47, 0
	s_andn2_b64 s[44:45], s[44:45], exec
	v_lshl_add_u64 v[20:21], v[20:21], 0, 2
	v_lshl_add_u64 v[22:23], v[22:23], 0, 2
	s_waitcnt vmcnt(0)
	v_cmp_neq_f16_e32 vcc, v24, v25
	s_and_b64 s[48:49], vcc, exec
	s_or_b64 s[44:45], s[44:45], s[48:49]
.LBB1314_76:                            ;   in Loop: Header=BB1314_77 Depth=1
	s_and_b64 s[48:49], exec, s[44:45]
	s_or_b64 s[42:43], s[48:49], s[42:43]
	v_mov_b64_e32 v[24:25], s[46:47]
	s_andn2_b64 exec, exec, s[42:43]
	s_cbranch_execz .LBB1314_79
.LBB1314_77:                            ; =>This Inner Loop Header: Depth=1
	s_or_b64 s[44:45], s[44:45], exec
	s_cmp_eq_u64 s[40:41], s[46:47]
	s_cbranch_scc0 .LBB1314_75
; %bb.78:                               ;   in Loop: Header=BB1314_77 Depth=1
                                        ; implicit-def: $vgpr20_vgpr21
                                        ; implicit-def: $vgpr22_vgpr23
	s_mov_b64 s[46:47], s[26:27]
	s_branch .LBB1314_76
.LBB1314_79:
	s_or_b64 exec, exec, s[42:43]
	v_cmp_gt_i64_e32 vcc, s[26:27], v[24:25]
	s_orn2_b64 s[40:41], vcc, exec
.LBB1314_80:
	s_or_b64 exec, exec, s[38:39]
.LBB1314_81:
	s_waitcnt vmcnt(0)
	v_mov_b64_e32 v[20:21], v[16:17]
	s_waitcnt lgkmcnt(0)
	s_barrier
	s_and_saveexec_b64 s[38:39], s[2:3]
	s_cbranch_execz .LBB1314_83
; %bb.82:
	v_add_u32_e32 v20, -8, v33
	ds_read_b64 v[20:21], v20
.LBB1314_83:
	s_or_b64 exec, exec, s[38:39]
	v_cndmask_b32_e64 v23, 0, 1, s[14:15]
	v_cndmask_b32_e64 v22, 0, 1, s[12:13]
	;; [unrolled: 1-line block ×3, first 2 shown]
	v_lshlrev_b16_e32 v23, 8, v23
	v_lshlrev_b16_e32 v24, 8, v24
	v_or_b32_sdwa v36, v22, v23 dst_sel:WORD_1 dst_unused:UNUSED_PAD src0_sel:DWORD src1_sel:DWORD
	s_mov_b64 s[14:15], 0
	s_and_b64 vcc, exec, s[4:5]
	s_mov_b64 s[12:13], 0
	s_cbranch_vccnz .LBB1314_92
; %bb.84:
	s_waitcnt lgkmcnt(0)
	v_mul_lo_u32 v22, v21, s26
	v_mul_lo_u32 v23, v20, s27
	v_mad_u64_u32 v[20:21], s[12:13], v20, s26, 0
	v_add3_u32 v21, v21, v23, v22
	v_lshl_add_u64 v[20:21], v[20:21], 1, s[28:29]
	global_load_ushort v22, v[20:21], off
	global_load_ushort v23, v[18:19], off
	s_mov_b64 s[12:13], -1
	s_waitcnt vmcnt(0)
	v_cmp_eq_f16_e32 vcc, v22, v23
	s_and_saveexec_b64 s[38:39], vcc
	s_cbranch_execz .LBB1314_91
; %bb.85:
	s_add_u32 s12, s26, -1
	v_lshl_add_u64 v[18:19], v[18:19], 0, 2
	v_lshl_add_u64 v[20:21], v[20:21], 0, 2
	s_addc_u32 s13, s27, -1
	s_mov_b64 s[40:41], 0
	s_mov_b64 s[44:45], 0
                                        ; implicit-def: $sgpr42_sgpr43
	s_branch .LBB1314_88
.LBB1314_86:                            ;   in Loop: Header=BB1314_88 Depth=1
	global_load_ushort v22, v[20:21], off
	global_load_ushort v23, v[18:19], off
	s_add_u32 s44, s44, 1
	s_addc_u32 s45, s45, 0
	s_andn2_b64 s[42:43], s[42:43], exec
	v_lshl_add_u64 v[18:19], v[18:19], 0, 2
	v_lshl_add_u64 v[20:21], v[20:21], 0, 2
	s_waitcnt vmcnt(0)
	v_cmp_neq_f16_e32 vcc, v22, v23
	s_and_b64 s[46:47], vcc, exec
	s_or_b64 s[42:43], s[42:43], s[46:47]
.LBB1314_87:                            ;   in Loop: Header=BB1314_88 Depth=1
	s_and_b64 s[46:47], exec, s[42:43]
	s_or_b64 s[40:41], s[46:47], s[40:41]
	v_mov_b64_e32 v[22:23], s[44:45]
	s_andn2_b64 exec, exec, s[40:41]
	s_cbranch_execz .LBB1314_90
.LBB1314_88:                            ; =>This Inner Loop Header: Depth=1
	s_or_b64 s[42:43], s[42:43], exec
	s_cmp_eq_u64 s[12:13], s[44:45]
	s_cbranch_scc0 .LBB1314_86
; %bb.89:                               ;   in Loop: Header=BB1314_88 Depth=1
                                        ; implicit-def: $vgpr18_vgpr19
                                        ; implicit-def: $vgpr20_vgpr21
	s_mov_b64 s[44:45], s[26:27]
	s_branch .LBB1314_87
.LBB1314_90:
	s_or_b64 exec, exec, s[40:41]
	v_cmp_gt_i64_e32 vcc, s[26:27], v[22:23]
	s_orn2_b64 s[12:13], vcc, exec
.LBB1314_91:
	s_or_b64 exec, exec, s[38:39]
.LBB1314_92:
	v_cndmask_b32_e64 v25, 0, 1, s[8:9]
	v_cndmask_b32_e64 v34, 0, 1, s[10:11]
	v_cndmask_b32_e64 v35, 0, 1, s[6:7]
	s_waitcnt lgkmcnt(0)
	v_or_b32_e32 v20, v24, v36
	s_and_b64 vcc, exec, s[14:15]
	s_cbranch_vccz .LBB1314_173
.LBB1314_93:
	v_cmp_gt_u32_e32 vcc, s52, v29
	s_mov_b64 s[8:9], 0
	s_mov_b64 s[6:7], 0
	s_and_saveexec_b64 s[10:11], vcc
	s_cbranch_execz .LBB1314_104
; %bb.94:
	s_and_b64 vcc, exec, s[4:5]
	s_mov_b64 s[12:13], 0
	s_cbranch_vccnz .LBB1314_103
; %bb.95:
	v_mul_lo_u32 v20, v5, s26
	v_mul_lo_u32 v21, v4, s27
	v_mad_u64_u32 v[18:19], s[6:7], v4, s26, 0
	v_add3_u32 v19, v19, v21, v20
	v_mul_lo_u32 v20, v15, s26
	v_mul_lo_u32 v21, v14, s27
	v_mad_u64_u32 v[22:23], s[6:7], v14, s26, 0
	v_add3_u32 v23, v23, v21, v20
	v_lshl_add_u64 v[20:21], v[18:19], 1, s[28:29]
	v_lshl_add_u64 v[18:19], v[22:23], 1, s[28:29]
	global_load_ushort v22, v[20:21], off
	global_load_ushort v23, v[18:19], off
	s_mov_b64 s[12:13], -1
	s_waitcnt vmcnt(0)
	v_cmp_eq_f16_e32 vcc, v22, v23
	s_and_saveexec_b64 s[6:7], vcc
	s_cbranch_execz .LBB1314_102
; %bb.96:
	s_add_u32 s12, s26, -1
	v_lshl_add_u64 v[18:19], v[18:19], 0, 2
	v_lshl_add_u64 v[20:21], v[20:21], 0, 2
	s_addc_u32 s13, s27, -1
	s_mov_b64 s[14:15], 0
	s_mov_b64 s[40:41], 0
                                        ; implicit-def: $sgpr38_sgpr39
	s_branch .LBB1314_99
.LBB1314_97:                            ;   in Loop: Header=BB1314_99 Depth=1
	global_load_ushort v22, v[20:21], off
	global_load_ushort v23, v[18:19], off
	s_add_u32 s40, s40, 1
	s_addc_u32 s41, s41, 0
	s_andn2_b64 s[38:39], s[38:39], exec
	v_lshl_add_u64 v[18:19], v[18:19], 0, 2
	v_lshl_add_u64 v[20:21], v[20:21], 0, 2
	s_waitcnt vmcnt(0)
	v_cmp_neq_f16_e32 vcc, v22, v23
	s_and_b64 s[42:43], vcc, exec
	s_or_b64 s[38:39], s[38:39], s[42:43]
.LBB1314_98:                            ;   in Loop: Header=BB1314_99 Depth=1
	s_and_b64 s[42:43], exec, s[38:39]
	s_or_b64 s[14:15], s[42:43], s[14:15]
	v_mov_b64_e32 v[22:23], s[40:41]
	s_andn2_b64 exec, exec, s[14:15]
	s_cbranch_execz .LBB1314_101
.LBB1314_99:                            ; =>This Inner Loop Header: Depth=1
	s_or_b64 s[38:39], s[38:39], exec
	s_cmp_eq_u64 s[12:13], s[40:41]
	s_cbranch_scc0 .LBB1314_97
; %bb.100:                              ;   in Loop: Header=BB1314_99 Depth=1
                                        ; implicit-def: $vgpr18_vgpr19
                                        ; implicit-def: $vgpr20_vgpr21
	s_mov_b64 s[40:41], s[26:27]
	s_branch .LBB1314_98
.LBB1314_101:
	s_or_b64 exec, exec, s[14:15]
	v_cmp_gt_i64_e32 vcc, s[26:27], v[22:23]
	s_orn2_b64 s[12:13], vcc, exec
.LBB1314_102:
	s_or_b64 exec, exec, s[6:7]
.LBB1314_103:
	s_and_b64 s[6:7], s[12:13], exec
.LBB1314_104:
	s_or_b64 exec, exec, s[10:11]
	v_cmp_gt_u32_e32 vcc, s52, v31
	s_and_saveexec_b64 s[10:11], vcc
	s_cbranch_execz .LBB1314_115
; %bb.105:
	s_and_b64 vcc, exec, s[4:5]
	s_mov_b64 s[12:13], 0
	s_cbranch_vccnz .LBB1314_114
; %bb.106:
	v_mul_lo_u32 v20, v3, s26
	v_mul_lo_u32 v21, v2, s27
	v_mad_u64_u32 v[18:19], s[8:9], v2, s26, 0
	v_add3_u32 v19, v19, v21, v20
	v_mul_lo_u32 v20, v5, s26
	v_mul_lo_u32 v21, v4, s27
	v_mad_u64_u32 v[22:23], s[8:9], v4, s26, 0
	v_add3_u32 v23, v23, v21, v20
	v_lshl_add_u64 v[20:21], v[18:19], 1, s[28:29]
	v_lshl_add_u64 v[18:19], v[22:23], 1, s[28:29]
	global_load_ushort v22, v[20:21], off
	global_load_ushort v23, v[18:19], off
	s_mov_b64 s[12:13], -1
	s_waitcnt vmcnt(0)
	v_cmp_eq_f16_e32 vcc, v22, v23
	s_and_saveexec_b64 s[8:9], vcc
	s_cbranch_execz .LBB1314_113
; %bb.107:
	s_add_u32 s12, s26, -1
	v_lshl_add_u64 v[18:19], v[18:19], 0, 2
	v_lshl_add_u64 v[20:21], v[20:21], 0, 2
	s_addc_u32 s13, s27, -1
	s_mov_b64 s[14:15], 0
	s_mov_b64 s[40:41], 0
                                        ; implicit-def: $sgpr38_sgpr39
	s_branch .LBB1314_110
.LBB1314_108:                           ;   in Loop: Header=BB1314_110 Depth=1
	global_load_ushort v22, v[20:21], off
	global_load_ushort v23, v[18:19], off
	s_add_u32 s40, s40, 1
	s_addc_u32 s41, s41, 0
	s_andn2_b64 s[38:39], s[38:39], exec
	v_lshl_add_u64 v[18:19], v[18:19], 0, 2
	v_lshl_add_u64 v[20:21], v[20:21], 0, 2
	s_waitcnt vmcnt(0)
	v_cmp_neq_f16_e32 vcc, v22, v23
	s_and_b64 s[42:43], vcc, exec
	s_or_b64 s[38:39], s[38:39], s[42:43]
.LBB1314_109:                           ;   in Loop: Header=BB1314_110 Depth=1
	s_and_b64 s[42:43], exec, s[38:39]
	s_or_b64 s[14:15], s[42:43], s[14:15]
	v_mov_b64_e32 v[22:23], s[40:41]
	s_andn2_b64 exec, exec, s[14:15]
	s_cbranch_execz .LBB1314_112
.LBB1314_110:                           ; =>This Inner Loop Header: Depth=1
	s_or_b64 s[38:39], s[38:39], exec
	s_cmp_eq_u64 s[12:13], s[40:41]
	s_cbranch_scc0 .LBB1314_108
; %bb.111:                              ;   in Loop: Header=BB1314_110 Depth=1
                                        ; implicit-def: $vgpr18_vgpr19
                                        ; implicit-def: $vgpr20_vgpr21
	s_mov_b64 s[40:41], s[26:27]
	s_branch .LBB1314_109
.LBB1314_112:
	s_or_b64 exec, exec, s[14:15]
	v_cmp_gt_i64_e32 vcc, s[26:27], v[22:23]
	s_orn2_b64 s[12:13], vcc, exec
.LBB1314_113:
	s_or_b64 exec, exec, s[8:9]
.LBB1314_114:
	s_and_b64 s[8:9], s[12:13], exec
.LBB1314_115:
	s_or_b64 exec, exec, s[10:11]
	v_cmp_gt_u32_e32 vcc, s52, v28
	s_mov_b64 s[12:13], 0
	s_mov_b64 s[10:11], 0
	s_and_saveexec_b64 s[14:15], vcc
	s_cbranch_execz .LBB1314_126
; %bb.116:
	s_and_b64 vcc, exec, s[4:5]
	s_mov_b64 s[38:39], 0
	s_cbranch_vccnz .LBB1314_125
; %bb.117:
	v_mul_lo_u32 v20, v9, s26
	v_mul_lo_u32 v21, v8, s27
	v_mad_u64_u32 v[18:19], s[10:11], v8, s26, 0
	v_add3_u32 v19, v19, v21, v20
	v_mul_lo_u32 v20, v3, s26
	v_mul_lo_u32 v21, v2, s27
	v_mad_u64_u32 v[22:23], s[10:11], v2, s26, 0
	v_add3_u32 v23, v23, v21, v20
	v_lshl_add_u64 v[20:21], v[18:19], 1, s[28:29]
	v_lshl_add_u64 v[18:19], v[22:23], 1, s[28:29]
	global_load_ushort v22, v[20:21], off
	global_load_ushort v23, v[18:19], off
	s_mov_b64 s[38:39], -1
	s_waitcnt vmcnt(0)
	v_cmp_eq_f16_e32 vcc, v22, v23
	s_and_saveexec_b64 s[10:11], vcc
	s_cbranch_execz .LBB1314_124
; %bb.118:
	s_add_u32 s38, s26, -1
	v_lshl_add_u64 v[18:19], v[18:19], 0, 2
	v_lshl_add_u64 v[20:21], v[20:21], 0, 2
	s_addc_u32 s39, s27, -1
	s_mov_b64 s[40:41], 0
	s_mov_b64 s[44:45], 0
                                        ; implicit-def: $sgpr42_sgpr43
	s_branch .LBB1314_121
.LBB1314_119:                           ;   in Loop: Header=BB1314_121 Depth=1
	global_load_ushort v22, v[20:21], off
	global_load_ushort v23, v[18:19], off
	s_add_u32 s44, s44, 1
	s_addc_u32 s45, s45, 0
	s_andn2_b64 s[42:43], s[42:43], exec
	v_lshl_add_u64 v[18:19], v[18:19], 0, 2
	v_lshl_add_u64 v[20:21], v[20:21], 0, 2
	s_waitcnt vmcnt(0)
	v_cmp_neq_f16_e32 vcc, v22, v23
	s_and_b64 s[46:47], vcc, exec
	s_or_b64 s[42:43], s[42:43], s[46:47]
.LBB1314_120:                           ;   in Loop: Header=BB1314_121 Depth=1
	s_and_b64 s[46:47], exec, s[42:43]
	s_or_b64 s[40:41], s[46:47], s[40:41]
	v_mov_b64_e32 v[22:23], s[44:45]
	s_andn2_b64 exec, exec, s[40:41]
	s_cbranch_execz .LBB1314_123
.LBB1314_121:                           ; =>This Inner Loop Header: Depth=1
	s_or_b64 s[42:43], s[42:43], exec
	s_cmp_eq_u64 s[38:39], s[44:45]
	s_cbranch_scc0 .LBB1314_119
; %bb.122:                              ;   in Loop: Header=BB1314_121 Depth=1
                                        ; implicit-def: $vgpr18_vgpr19
                                        ; implicit-def: $vgpr20_vgpr21
	s_mov_b64 s[44:45], s[26:27]
	s_branch .LBB1314_120
.LBB1314_123:
	s_or_b64 exec, exec, s[40:41]
	v_cmp_gt_i64_e32 vcc, s[26:27], v[22:23]
	s_orn2_b64 s[38:39], vcc, exec
.LBB1314_124:
	s_or_b64 exec, exec, s[10:11]
.LBB1314_125:
	s_and_b64 s[10:11], s[38:39], exec
.LBB1314_126:
	s_or_b64 exec, exec, s[14:15]
	v_cmp_gt_u32_e32 vcc, s52, v30
	s_and_saveexec_b64 s[14:15], vcc
	s_cbranch_execz .LBB1314_137
; %bb.127:
	s_and_b64 vcc, exec, s[4:5]
	s_mov_b64 s[38:39], 0
	s_cbranch_vccnz .LBB1314_136
; %bb.128:
	v_mul_lo_u32 v20, v7, s26
	v_mul_lo_u32 v21, v6, s27
	v_mad_u64_u32 v[18:19], s[12:13], v6, s26, 0
	v_add3_u32 v19, v19, v21, v20
	v_mul_lo_u32 v20, v9, s26
	v_mul_lo_u32 v21, v8, s27
	v_mad_u64_u32 v[22:23], s[12:13], v8, s26, 0
	v_add3_u32 v23, v23, v21, v20
	v_lshl_add_u64 v[20:21], v[18:19], 1, s[28:29]
	v_lshl_add_u64 v[18:19], v[22:23], 1, s[28:29]
	global_load_ushort v22, v[20:21], off
	global_load_ushort v23, v[18:19], off
	s_mov_b64 s[38:39], -1
	s_waitcnt vmcnt(0)
	v_cmp_eq_f16_e32 vcc, v22, v23
	s_and_saveexec_b64 s[12:13], vcc
	s_cbranch_execz .LBB1314_135
; %bb.129:
	s_add_u32 s38, s26, -1
	v_lshl_add_u64 v[18:19], v[18:19], 0, 2
	v_lshl_add_u64 v[20:21], v[20:21], 0, 2
	s_addc_u32 s39, s27, -1
	s_mov_b64 s[40:41], 0
	s_mov_b64 s[44:45], 0
                                        ; implicit-def: $sgpr42_sgpr43
	s_branch .LBB1314_132
.LBB1314_130:                           ;   in Loop: Header=BB1314_132 Depth=1
	global_load_ushort v22, v[20:21], off
	global_load_ushort v23, v[18:19], off
	s_add_u32 s44, s44, 1
	s_addc_u32 s45, s45, 0
	s_andn2_b64 s[42:43], s[42:43], exec
	v_lshl_add_u64 v[18:19], v[18:19], 0, 2
	v_lshl_add_u64 v[20:21], v[20:21], 0, 2
	s_waitcnt vmcnt(0)
	v_cmp_neq_f16_e32 vcc, v22, v23
	s_and_b64 s[46:47], vcc, exec
	s_or_b64 s[42:43], s[42:43], s[46:47]
.LBB1314_131:                           ;   in Loop: Header=BB1314_132 Depth=1
	s_and_b64 s[46:47], exec, s[42:43]
	s_or_b64 s[40:41], s[46:47], s[40:41]
	v_mov_b64_e32 v[22:23], s[44:45]
	s_andn2_b64 exec, exec, s[40:41]
	s_cbranch_execz .LBB1314_134
.LBB1314_132:                           ; =>This Inner Loop Header: Depth=1
	s_or_b64 s[42:43], s[42:43], exec
	s_cmp_eq_u64 s[38:39], s[44:45]
	s_cbranch_scc0 .LBB1314_130
; %bb.133:                              ;   in Loop: Header=BB1314_132 Depth=1
                                        ; implicit-def: $vgpr18_vgpr19
                                        ; implicit-def: $vgpr20_vgpr21
	s_mov_b64 s[44:45], s[26:27]
	s_branch .LBB1314_131
.LBB1314_134:
	s_or_b64 exec, exec, s[40:41]
	v_cmp_gt_i64_e32 vcc, s[26:27], v[22:23]
	s_orn2_b64 s[38:39], vcc, exec
.LBB1314_135:
	s_or_b64 exec, exec, s[12:13]
.LBB1314_136:
	s_and_b64 s[12:13], s[38:39], exec
.LBB1314_137:
	s_or_b64 exec, exec, s[14:15]
	v_cmp_gt_u32_e32 vcc, s52, v26
	s_mov_b64 s[14:15], 0
	s_mov_b64 s[38:39], 0
	s_and_saveexec_b64 s[40:41], vcc
	s_cbranch_execz .LBB1314_148
; %bb.138:
	s_and_b64 vcc, exec, s[4:5]
	s_mov_b64 s[42:43], 0
	s_cbranch_vccnz .LBB1314_147
; %bb.139:
	v_mul_lo_u32 v20, v13, s26
	v_mul_lo_u32 v21, v12, s27
	v_mad_u64_u32 v[18:19], s[38:39], v12, s26, 0
	v_add3_u32 v19, v19, v21, v20
	v_mul_lo_u32 v20, v7, s26
	v_mul_lo_u32 v21, v6, s27
	v_mad_u64_u32 v[22:23], s[38:39], v6, s26, 0
	v_add3_u32 v23, v23, v21, v20
	v_lshl_add_u64 v[20:21], v[18:19], 1, s[28:29]
	v_lshl_add_u64 v[18:19], v[22:23], 1, s[28:29]
	global_load_ushort v22, v[20:21], off
	global_load_ushort v23, v[18:19], off
	s_mov_b64 s[42:43], -1
	s_waitcnt vmcnt(0)
	v_cmp_eq_f16_e32 vcc, v22, v23
	s_and_saveexec_b64 s[38:39], vcc
	s_cbranch_execz .LBB1314_146
; %bb.140:
	s_add_u32 s42, s26, -1
	v_lshl_add_u64 v[18:19], v[18:19], 0, 2
	v_lshl_add_u64 v[20:21], v[20:21], 0, 2
	s_addc_u32 s43, s27, -1
	s_mov_b64 s[44:45], 0
	s_mov_b64 s[48:49], 0
                                        ; implicit-def: $sgpr46_sgpr47
	s_branch .LBB1314_143
.LBB1314_141:                           ;   in Loop: Header=BB1314_143 Depth=1
	global_load_ushort v22, v[20:21], off
	global_load_ushort v23, v[18:19], off
	s_add_u32 s48, s48, 1
	s_addc_u32 s49, s49, 0
	s_andn2_b64 s[46:47], s[46:47], exec
	v_lshl_add_u64 v[18:19], v[18:19], 0, 2
	v_lshl_add_u64 v[20:21], v[20:21], 0, 2
	s_waitcnt vmcnt(0)
	v_cmp_neq_f16_e32 vcc, v22, v23
	s_and_b64 s[50:51], vcc, exec
	s_or_b64 s[46:47], s[46:47], s[50:51]
.LBB1314_142:                           ;   in Loop: Header=BB1314_143 Depth=1
	s_and_b64 s[50:51], exec, s[46:47]
	s_or_b64 s[44:45], s[50:51], s[44:45]
	v_mov_b64_e32 v[22:23], s[48:49]
	s_andn2_b64 exec, exec, s[44:45]
	s_cbranch_execz .LBB1314_145
.LBB1314_143:                           ; =>This Inner Loop Header: Depth=1
	s_or_b64 s[46:47], s[46:47], exec
	s_cmp_eq_u64 s[42:43], s[48:49]
	s_cbranch_scc0 .LBB1314_141
; %bb.144:                              ;   in Loop: Header=BB1314_143 Depth=1
                                        ; implicit-def: $vgpr18_vgpr19
                                        ; implicit-def: $vgpr20_vgpr21
	s_mov_b64 s[48:49], s[26:27]
	s_branch .LBB1314_142
.LBB1314_145:
	s_or_b64 exec, exec, s[44:45]
	v_cmp_gt_i64_e32 vcc, s[26:27], v[22:23]
	s_orn2_b64 s[42:43], vcc, exec
.LBB1314_146:
	s_or_b64 exec, exec, s[38:39]
.LBB1314_147:
	s_and_b64 s[38:39], s[42:43], exec
.LBB1314_148:
	s_or_b64 exec, exec, s[40:41]
	v_cmp_gt_u32_e32 vcc, s52, v27
	s_and_saveexec_b64 s[40:41], vcc
	s_cbranch_execz .LBB1314_159
; %bb.149:
	s_and_b64 vcc, exec, s[4:5]
	s_mov_b64 s[42:43], 0
	s_cbranch_vccnz .LBB1314_158
; %bb.150:
	v_mul_lo_u32 v20, v11, s26
	v_mul_lo_u32 v21, v10, s27
	v_mad_u64_u32 v[18:19], s[14:15], v10, s26, 0
	v_add3_u32 v19, v19, v21, v20
	v_mul_lo_u32 v20, v13, s26
	v_mul_lo_u32 v21, v12, s27
	v_mad_u64_u32 v[22:23], s[14:15], v12, s26, 0
	v_add3_u32 v23, v23, v21, v20
	v_lshl_add_u64 v[20:21], v[18:19], 1, s[28:29]
	v_lshl_add_u64 v[18:19], v[22:23], 1, s[28:29]
	global_load_ushort v22, v[20:21], off
	global_load_ushort v23, v[18:19], off
	s_mov_b64 s[42:43], -1
	s_waitcnt vmcnt(0)
	v_cmp_eq_f16_e32 vcc, v22, v23
	s_and_saveexec_b64 s[14:15], vcc
	s_cbranch_execz .LBB1314_157
; %bb.151:
	s_add_u32 s42, s26, -1
	v_lshl_add_u64 v[18:19], v[18:19], 0, 2
	v_lshl_add_u64 v[20:21], v[20:21], 0, 2
	s_addc_u32 s43, s27, -1
	s_mov_b64 s[44:45], 0
	s_mov_b64 s[48:49], 0
                                        ; implicit-def: $sgpr46_sgpr47
	s_branch .LBB1314_154
.LBB1314_152:                           ;   in Loop: Header=BB1314_154 Depth=1
	global_load_ushort v22, v[20:21], off
	global_load_ushort v23, v[18:19], off
	s_add_u32 s48, s48, 1
	s_addc_u32 s49, s49, 0
	s_andn2_b64 s[46:47], s[46:47], exec
	v_lshl_add_u64 v[18:19], v[18:19], 0, 2
	v_lshl_add_u64 v[20:21], v[20:21], 0, 2
	s_waitcnt vmcnt(0)
	v_cmp_neq_f16_e32 vcc, v22, v23
	s_and_b64 s[50:51], vcc, exec
	s_or_b64 s[46:47], s[46:47], s[50:51]
.LBB1314_153:                           ;   in Loop: Header=BB1314_154 Depth=1
	s_and_b64 s[50:51], exec, s[46:47]
	s_or_b64 s[44:45], s[50:51], s[44:45]
	v_mov_b64_e32 v[22:23], s[48:49]
	s_andn2_b64 exec, exec, s[44:45]
	s_cbranch_execz .LBB1314_156
.LBB1314_154:                           ; =>This Inner Loop Header: Depth=1
	s_or_b64 s[46:47], s[46:47], exec
	s_cmp_eq_u64 s[42:43], s[48:49]
	s_cbranch_scc0 .LBB1314_152
; %bb.155:                              ;   in Loop: Header=BB1314_154 Depth=1
                                        ; implicit-def: $vgpr18_vgpr19
                                        ; implicit-def: $vgpr20_vgpr21
	s_mov_b64 s[48:49], s[26:27]
	s_branch .LBB1314_153
.LBB1314_156:
	s_or_b64 exec, exec, s[44:45]
	v_cmp_gt_i64_e32 vcc, s[26:27], v[22:23]
	s_orn2_b64 s[42:43], vcc, exec
.LBB1314_157:
	s_or_b64 exec, exec, s[14:15]
.LBB1314_158:
	s_and_b64 s[14:15], s[42:43], exec
.LBB1314_159:
	s_or_b64 exec, exec, s[40:41]
	s_waitcnt lgkmcnt(0)
	s_barrier
	s_and_saveexec_b64 s[40:41], s[2:3]
	s_cbranch_execz .LBB1314_161
; %bb.160:
	s_waitcnt vmcnt(0)
	v_add_u32_e32 v16, -8, v33
	ds_read_b64 v[16:17], v16
.LBB1314_161:
	s_or_b64 exec, exec, s[40:41]
	v_cndmask_b32_e64 v19, 0, 1, s[12:13]
	v_cndmask_b32_e64 v18, 0, 1, s[38:39]
	;; [unrolled: 1-line block ×3, first 2 shown]
	v_lshlrev_b16_e32 v19, 8, v19
	v_cmp_gt_u32_e32 vcc, s52, v1
	v_lshlrev_b16_e32 v22, 8, v20
	v_or_b32_sdwa v23, v18, v19 dst_sel:WORD_1 dst_unused:UNUSED_PAD src0_sel:DWORD src1_sel:DWORD
	s_mov_b64 s[12:13], 0
	s_and_saveexec_b64 s[14:15], vcc
	s_cbranch_execz .LBB1314_172
; %bb.162:
	s_and_b64 vcc, exec, s[4:5]
	s_cbranch_vccnz .LBB1314_171
; %bb.163:
	s_waitcnt vmcnt(0) lgkmcnt(0)
	v_mul_lo_u32 v18, v17, s26
	v_mul_lo_u32 v19, v16, s27
	v_mad_u64_u32 v[16:17], s[4:5], v16, s26, 0
	v_add3_u32 v17, v17, v19, v18
	v_mul_lo_u32 v18, v11, s26
	v_mul_lo_u32 v19, v10, s27
	v_mad_u64_u32 v[20:21], s[4:5], v10, s26, 0
	v_add3_u32 v21, v21, v19, v18
	v_lshl_add_u64 v[18:19], v[16:17], 1, s[28:29]
	v_lshl_add_u64 v[16:17], v[20:21], 1, s[28:29]
	global_load_ushort v20, v[18:19], off
	global_load_ushort v21, v[16:17], off
	s_mov_b64 s[12:13], -1
	s_waitcnt vmcnt(0)
	v_cmp_eq_f16_e32 vcc, v20, v21
	s_and_saveexec_b64 s[4:5], vcc
	s_cbranch_execz .LBB1314_170
; %bb.164:
	s_add_u32 s12, s26, -1
	v_lshl_add_u64 v[16:17], v[16:17], 0, 2
	v_lshl_add_u64 v[18:19], v[18:19], 0, 2
	s_addc_u32 s13, s27, -1
	s_mov_b64 s[38:39], 0
	s_mov_b64 s[42:43], 0
                                        ; implicit-def: $sgpr40_sgpr41
	s_branch .LBB1314_167
.LBB1314_165:                           ;   in Loop: Header=BB1314_167 Depth=1
	global_load_ushort v20, v[18:19], off
	global_load_ushort v21, v[16:17], off
	s_add_u32 s42, s42, 1
	s_addc_u32 s43, s43, 0
	s_andn2_b64 s[40:41], s[40:41], exec
	v_lshl_add_u64 v[16:17], v[16:17], 0, 2
	v_lshl_add_u64 v[18:19], v[18:19], 0, 2
	s_waitcnt vmcnt(0)
	v_cmp_neq_f16_e32 vcc, v20, v21
	s_and_b64 s[44:45], vcc, exec
	s_or_b64 s[40:41], s[40:41], s[44:45]
.LBB1314_166:                           ;   in Loop: Header=BB1314_167 Depth=1
	s_and_b64 s[44:45], exec, s[40:41]
	s_or_b64 s[38:39], s[44:45], s[38:39]
	v_mov_b64_e32 v[20:21], s[42:43]
	s_andn2_b64 exec, exec, s[38:39]
	s_cbranch_execz .LBB1314_169
.LBB1314_167:                           ; =>This Inner Loop Header: Depth=1
	s_or_b64 s[40:41], s[40:41], exec
	s_cmp_eq_u64 s[12:13], s[42:43]
	s_cbranch_scc0 .LBB1314_165
; %bb.168:                              ;   in Loop: Header=BB1314_167 Depth=1
                                        ; implicit-def: $vgpr16_vgpr17
                                        ; implicit-def: $vgpr18_vgpr19
	s_mov_b64 s[42:43], s[26:27]
	s_branch .LBB1314_166
.LBB1314_169:
	s_or_b64 exec, exec, s[38:39]
	v_cmp_gt_i64_e32 vcc, s[26:27], v[20:21]
	s_orn2_b64 s[12:13], vcc, exec
.LBB1314_170:
	s_or_b64 exec, exec, s[4:5]
.LBB1314_171:
	s_and_b64 s[12:13], s[12:13], exec
.LBB1314_172:
	s_or_b64 exec, exec, s[14:15]
	v_cndmask_b32_e64 v25, 0, 1, s[10:11]
	v_cndmask_b32_e64 v34, 0, 1, s[8:9]
	;; [unrolled: 1-line block ×3, first 2 shown]
	v_or_b32_e32 v20, v22, v23
.LBB1314_173:
	s_mov_b64 s[8:9], -1
	s_cbranch_execnz .LBB1314_32
.LBB1314_174:
	s_movk_i32 s4, 0xffd0
	v_mad_i32_i24 v24, v0, s4, v32
	s_mov_b64 s[10:11], 0
	v_cmp_gt_i64_e64 s[6:7], s[26:27], 0
	s_and_b64 vcc, exec, s[36:37]
	ds_write_b64 v24, v[14:15]
	s_cbranch_vccz .LBB1314_182
; %bb.175:
	v_mul_lo_u32 v18, v5, s26
	v_mul_lo_u32 v19, v4, s27
	s_waitcnt vmcnt(0) lgkmcnt(1)
	v_mad_u64_u32 v[16:17], s[4:5], v4, s26, 0
	v_add3_u32 v17, v17, v19, v18
	v_cndmask_b32_e64 v18, 0, 1, s[6:7]
	v_cmp_ne_u32_e64 s[4:5], 1, v18
	s_andn2_b64 vcc, exec, s[6:7]
	v_lshl_add_u64 v[16:17], v[16:17], 1, s[28:29]
	s_cbranch_vccnz .LBB1314_185
; %bb.176:
	v_mul_lo_u32 v20, v15, s26
	v_mul_lo_u32 v21, v14, s27
	v_mad_u64_u32 v[18:19], s[10:11], v14, s26, 0
	v_add3_u32 v19, v19, v21, v20
	v_lshl_add_u64 v[18:19], v[18:19], 1, s[28:29]
	global_load_ushort v20, v[16:17], off
	global_load_ushort v21, v[18:19], off
	s_mov_b64 s[10:11], -1
	s_waitcnt vmcnt(0)
	v_cmp_eq_f16_e32 vcc, v20, v21
	s_and_saveexec_b64 s[12:13], vcc
	s_cbranch_execz .LBB1314_184
; %bb.177:
	s_add_u32 s10, s26, -1
	v_lshl_add_u64 v[18:19], v[18:19], 0, 2
	v_lshl_add_u64 v[20:21], v[16:17], 0, 2
	s_addc_u32 s11, s27, -1
	s_mov_b64 s[14:15], 0
	s_mov_b64 s[40:41], 0
                                        ; implicit-def: $sgpr38_sgpr39
	s_branch .LBB1314_180
.LBB1314_178:                           ;   in Loop: Header=BB1314_180 Depth=1
	global_load_ushort v22, v[20:21], off
	global_load_ushort v23, v[18:19], off
	s_add_u32 s40, s40, 1
	s_addc_u32 s41, s41, 0
	s_andn2_b64 s[38:39], s[38:39], exec
	v_lshl_add_u64 v[18:19], v[18:19], 0, 2
	v_lshl_add_u64 v[20:21], v[20:21], 0, 2
	s_waitcnt vmcnt(0)
	v_cmp_neq_f16_e32 vcc, v22, v23
	s_and_b64 s[42:43], vcc, exec
	s_or_b64 s[38:39], s[38:39], s[42:43]
.LBB1314_179:                           ;   in Loop: Header=BB1314_180 Depth=1
	s_and_b64 s[42:43], exec, s[38:39]
	s_or_b64 s[14:15], s[42:43], s[14:15]
	v_mov_b64_e32 v[22:23], s[40:41]
	s_andn2_b64 exec, exec, s[14:15]
	s_cbranch_execz .LBB1314_183
.LBB1314_180:                           ; =>This Inner Loop Header: Depth=1
	s_or_b64 s[38:39], s[38:39], exec
	s_cmp_eq_u64 s[10:11], s[40:41]
	s_cbranch_scc0 .LBB1314_178
; %bb.181:                              ;   in Loop: Header=BB1314_180 Depth=1
                                        ; implicit-def: $vgpr18_vgpr19
                                        ; implicit-def: $vgpr20_vgpr21
	s_mov_b64 s[40:41], s[26:27]
	s_branch .LBB1314_179
.LBB1314_182:
                                        ; implicit-def: $sgpr12_sgpr13
                                        ; implicit-def: $vgpr35
                                        ; implicit-def: $vgpr34
                                        ; implicit-def: $vgpr25
                                        ; implicit-def: $vgpr20
                                        ; implicit-def: $vgpr16_vgpr17
	s_cbranch_execnz .LBB1314_242
	s_branch .LBB1314_322
.LBB1314_183:
	s_or_b64 exec, exec, s[14:15]
	v_cmp_gt_i64_e32 vcc, s[26:27], v[22:23]
	s_orn2_b64 s[10:11], vcc, exec
.LBB1314_184:
	s_or_b64 exec, exec, s[12:13]
.LBB1314_185:
	v_mul_lo_u32 v20, v3, s26
	v_mul_lo_u32 v21, v2, s27
	v_mad_u64_u32 v[18:19], s[12:13], v2, s26, 0
	v_add3_u32 v19, v19, v21, v20
	s_mov_b64 s[12:13], 0
	s_and_b64 vcc, exec, s[4:5]
	v_lshl_add_u64 v[18:19], v[18:19], 1, s[28:29]
	s_mov_b64 s[14:15], 0
	s_cbranch_vccnz .LBB1314_194
; %bb.186:
	global_load_ushort v20, v[18:19], off
	global_load_ushort v21, v[16:17], off
	s_mov_b64 s[14:15], -1
	s_waitcnt vmcnt(0)
	v_cmp_eq_f16_e32 vcc, v20, v21
	s_and_saveexec_b64 s[38:39], vcc
	s_cbranch_execz .LBB1314_193
; %bb.187:
	s_add_u32 s14, s26, -1
	v_lshl_add_u64 v[16:17], v[16:17], 0, 2
	v_lshl_add_u64 v[20:21], v[18:19], 0, 2
	s_addc_u32 s15, s27, -1
	s_mov_b64 s[40:41], 0
	s_mov_b64 s[44:45], 0
                                        ; implicit-def: $sgpr42_sgpr43
	s_branch .LBB1314_190
.LBB1314_188:                           ;   in Loop: Header=BB1314_190 Depth=1
	global_load_ushort v22, v[20:21], off
	global_load_ushort v23, v[16:17], off
	s_add_u32 s44, s44, 1
	s_addc_u32 s45, s45, 0
	s_andn2_b64 s[42:43], s[42:43], exec
	v_lshl_add_u64 v[16:17], v[16:17], 0, 2
	v_lshl_add_u64 v[20:21], v[20:21], 0, 2
	s_waitcnt vmcnt(0)
	v_cmp_neq_f16_e32 vcc, v22, v23
	s_and_b64 s[46:47], vcc, exec
	s_or_b64 s[42:43], s[42:43], s[46:47]
.LBB1314_189:                           ;   in Loop: Header=BB1314_190 Depth=1
	s_and_b64 s[46:47], exec, s[42:43]
	s_or_b64 s[40:41], s[46:47], s[40:41]
	v_mov_b64_e32 v[22:23], s[44:45]
	s_andn2_b64 exec, exec, s[40:41]
	s_cbranch_execz .LBB1314_192
.LBB1314_190:                           ; =>This Inner Loop Header: Depth=1
	s_or_b64 s[42:43], s[42:43], exec
	s_cmp_eq_u64 s[14:15], s[44:45]
	s_cbranch_scc0 .LBB1314_188
; %bb.191:                              ;   in Loop: Header=BB1314_190 Depth=1
                                        ; implicit-def: $vgpr16_vgpr17
                                        ; implicit-def: $vgpr20_vgpr21
	s_mov_b64 s[44:45], s[26:27]
	s_branch .LBB1314_189
.LBB1314_192:
	s_or_b64 exec, exec, s[40:41]
	v_cmp_gt_i64_e32 vcc, s[26:27], v[22:23]
	s_orn2_b64 s[14:15], vcc, exec
.LBB1314_193:
	s_or_b64 exec, exec, s[38:39]
.LBB1314_194:
	v_mul_lo_u32 v20, v9, s26
	v_mul_lo_u32 v21, v8, s27
	v_mad_u64_u32 v[16:17], s[38:39], v8, s26, 0
	v_add3_u32 v17, v17, v21, v20
	s_and_b64 vcc, exec, s[4:5]
	v_lshl_add_u64 v[16:17], v[16:17], 1, s[28:29]
	s_cbranch_vccnz .LBB1314_203
; %bb.195:
	global_load_ushort v20, v[16:17], off
	global_load_ushort v21, v[18:19], off
	s_mov_b64 s[12:13], -1
	s_waitcnt vmcnt(0)
	v_cmp_eq_f16_e32 vcc, v20, v21
	s_and_saveexec_b64 s[38:39], vcc
	s_cbranch_execz .LBB1314_202
; %bb.196:
	s_add_u32 s12, s26, -1
	v_lshl_add_u64 v[18:19], v[18:19], 0, 2
	v_lshl_add_u64 v[20:21], v[16:17], 0, 2
	s_addc_u32 s13, s27, -1
	s_mov_b64 s[40:41], 0
	s_mov_b64 s[44:45], 0
                                        ; implicit-def: $sgpr42_sgpr43
	s_branch .LBB1314_199
.LBB1314_197:                           ;   in Loop: Header=BB1314_199 Depth=1
	global_load_ushort v22, v[20:21], off
	global_load_ushort v23, v[18:19], off
	s_add_u32 s44, s44, 1
	s_addc_u32 s45, s45, 0
	s_andn2_b64 s[42:43], s[42:43], exec
	v_lshl_add_u64 v[18:19], v[18:19], 0, 2
	v_lshl_add_u64 v[20:21], v[20:21], 0, 2
	s_waitcnt vmcnt(0)
	v_cmp_neq_f16_e32 vcc, v22, v23
	s_and_b64 s[46:47], vcc, exec
	s_or_b64 s[42:43], s[42:43], s[46:47]
.LBB1314_198:                           ;   in Loop: Header=BB1314_199 Depth=1
	s_and_b64 s[46:47], exec, s[42:43]
	s_or_b64 s[40:41], s[46:47], s[40:41]
	v_mov_b64_e32 v[22:23], s[44:45]
	s_andn2_b64 exec, exec, s[40:41]
	s_cbranch_execz .LBB1314_201
.LBB1314_199:                           ; =>This Inner Loop Header: Depth=1
	s_or_b64 s[42:43], s[42:43], exec
	s_cmp_eq_u64 s[12:13], s[44:45]
	s_cbranch_scc0 .LBB1314_197
; %bb.200:                              ;   in Loop: Header=BB1314_199 Depth=1
                                        ; implicit-def: $vgpr18_vgpr19
                                        ; implicit-def: $vgpr20_vgpr21
	s_mov_b64 s[44:45], s[26:27]
	s_branch .LBB1314_198
.LBB1314_201:
	s_or_b64 exec, exec, s[40:41]
	v_cmp_gt_i64_e32 vcc, s[26:27], v[22:23]
	s_orn2_b64 s[12:13], vcc, exec
.LBB1314_202:
	s_or_b64 exec, exec, s[38:39]
.LBB1314_203:
	v_mul_lo_u32 v20, v7, s26
	v_mul_lo_u32 v21, v6, s27
	v_mad_u64_u32 v[18:19], s[38:39], v6, s26, 0
	v_add3_u32 v19, v19, v21, v20
	s_mov_b64 s[38:39], 0
	s_and_b64 vcc, exec, s[4:5]
	v_lshl_add_u64 v[18:19], v[18:19], 1, s[28:29]
	s_mov_b64 s[40:41], 0
	s_cbranch_vccnz .LBB1314_212
; %bb.204:
	global_load_ushort v20, v[18:19], off
	global_load_ushort v21, v[16:17], off
	s_mov_b64 s[40:41], -1
	s_waitcnt vmcnt(0)
	v_cmp_eq_f16_e32 vcc, v20, v21
	s_and_saveexec_b64 s[42:43], vcc
	s_cbranch_execz .LBB1314_211
; %bb.205:
	s_add_u32 s40, s26, -1
	v_lshl_add_u64 v[16:17], v[16:17], 0, 2
	v_lshl_add_u64 v[20:21], v[18:19], 0, 2
	s_addc_u32 s41, s27, -1
	s_mov_b64 s[44:45], 0
	s_mov_b64 s[48:49], 0
                                        ; implicit-def: $sgpr46_sgpr47
	s_branch .LBB1314_208
.LBB1314_206:                           ;   in Loop: Header=BB1314_208 Depth=1
	global_load_ushort v22, v[20:21], off
	global_load_ushort v23, v[16:17], off
	s_add_u32 s48, s48, 1
	s_addc_u32 s49, s49, 0
	s_andn2_b64 s[46:47], s[46:47], exec
	v_lshl_add_u64 v[16:17], v[16:17], 0, 2
	v_lshl_add_u64 v[20:21], v[20:21], 0, 2
	s_waitcnt vmcnt(0)
	v_cmp_neq_f16_e32 vcc, v22, v23
	s_and_b64 s[50:51], vcc, exec
	s_or_b64 s[46:47], s[46:47], s[50:51]
.LBB1314_207:                           ;   in Loop: Header=BB1314_208 Depth=1
	s_and_b64 s[50:51], exec, s[46:47]
	s_or_b64 s[44:45], s[50:51], s[44:45]
	v_mov_b64_e32 v[22:23], s[48:49]
	s_andn2_b64 exec, exec, s[44:45]
	s_cbranch_execz .LBB1314_210
.LBB1314_208:                           ; =>This Inner Loop Header: Depth=1
	s_or_b64 s[46:47], s[46:47], exec
	s_cmp_eq_u64 s[40:41], s[48:49]
	s_cbranch_scc0 .LBB1314_206
; %bb.209:                              ;   in Loop: Header=BB1314_208 Depth=1
                                        ; implicit-def: $vgpr16_vgpr17
                                        ; implicit-def: $vgpr20_vgpr21
	s_mov_b64 s[48:49], s[26:27]
	s_branch .LBB1314_207
.LBB1314_210:
	s_or_b64 exec, exec, s[44:45]
	v_cmp_gt_i64_e32 vcc, s[26:27], v[22:23]
	s_orn2_b64 s[40:41], vcc, exec
.LBB1314_211:
	s_or_b64 exec, exec, s[42:43]
.LBB1314_212:
	v_mul_lo_u32 v20, v13, s26
	v_mul_lo_u32 v21, v12, s27
	v_mad_u64_u32 v[16:17], s[42:43], v12, s26, 0
	v_add3_u32 v17, v17, v21, v20
	s_and_b64 vcc, exec, s[4:5]
	v_lshl_add_u64 v[16:17], v[16:17], 1, s[28:29]
	s_cbranch_vccnz .LBB1314_221
; %bb.213:
	global_load_ushort v20, v[16:17], off
	global_load_ushort v21, v[18:19], off
	s_mov_b64 s[38:39], -1
	s_waitcnt vmcnt(0)
	v_cmp_eq_f16_e32 vcc, v20, v21
	s_and_saveexec_b64 s[42:43], vcc
	s_cbranch_execz .LBB1314_220
; %bb.214:
	s_add_u32 s38, s26, -1
	v_lshl_add_u64 v[18:19], v[18:19], 0, 2
	v_lshl_add_u64 v[20:21], v[16:17], 0, 2
	s_addc_u32 s39, s27, -1
	s_mov_b64 s[44:45], 0
	s_mov_b64 s[48:49], 0
                                        ; implicit-def: $sgpr46_sgpr47
	s_branch .LBB1314_217
.LBB1314_215:                           ;   in Loop: Header=BB1314_217 Depth=1
	global_load_ushort v22, v[20:21], off
	global_load_ushort v23, v[18:19], off
	s_add_u32 s48, s48, 1
	s_addc_u32 s49, s49, 0
	s_andn2_b64 s[46:47], s[46:47], exec
	v_lshl_add_u64 v[18:19], v[18:19], 0, 2
	v_lshl_add_u64 v[20:21], v[20:21], 0, 2
	s_waitcnt vmcnt(0)
	v_cmp_neq_f16_e32 vcc, v22, v23
	s_and_b64 s[50:51], vcc, exec
	s_or_b64 s[46:47], s[46:47], s[50:51]
.LBB1314_216:                           ;   in Loop: Header=BB1314_217 Depth=1
	s_and_b64 s[50:51], exec, s[46:47]
	s_or_b64 s[44:45], s[50:51], s[44:45]
	v_mov_b64_e32 v[22:23], s[48:49]
	s_andn2_b64 exec, exec, s[44:45]
	s_cbranch_execz .LBB1314_219
.LBB1314_217:                           ; =>This Inner Loop Header: Depth=1
	s_or_b64 s[46:47], s[46:47], exec
	s_cmp_eq_u64 s[38:39], s[48:49]
	s_cbranch_scc0 .LBB1314_215
; %bb.218:                              ;   in Loop: Header=BB1314_217 Depth=1
                                        ; implicit-def: $vgpr18_vgpr19
                                        ; implicit-def: $vgpr20_vgpr21
	s_mov_b64 s[48:49], s[26:27]
	s_branch .LBB1314_216
.LBB1314_219:
	s_or_b64 exec, exec, s[44:45]
	v_cmp_gt_i64_e32 vcc, s[26:27], v[22:23]
	s_orn2_b64 s[38:39], vcc, exec
.LBB1314_220:
	s_or_b64 exec, exec, s[42:43]
.LBB1314_221:
	v_mul_lo_u32 v20, v11, s26
	v_mul_lo_u32 v21, v10, s27
	v_mad_u64_u32 v[18:19], s[42:43], v10, s26, 0
	v_add3_u32 v19, v19, v21, v20
	s_and_b64 vcc, exec, s[4:5]
	s_mov_b64 s[44:45], 0
	s_cbranch_vccnz .LBB1314_230
; %bb.222:
	v_lshl_add_u64 v[20:21], v[18:19], 1, s[28:29]
	global_load_ushort v22, v[20:21], off
	global_load_ushort v23, v[16:17], off
	s_mov_b64 s[44:45], -1
	s_waitcnt vmcnt(0)
	v_cmp_eq_f16_e32 vcc, v22, v23
	s_and_saveexec_b64 s[42:43], vcc
	s_cbranch_execz .LBB1314_229
; %bb.223:
	s_add_u32 s44, s26, -1
	v_lshl_add_u64 v[16:17], v[16:17], 0, 2
	v_lshl_add_u64 v[20:21], v[20:21], 0, 2
	s_addc_u32 s45, s27, -1
	s_mov_b64 s[46:47], 0
	s_mov_b64 s[50:51], 0
                                        ; implicit-def: $sgpr48_sgpr49
	s_branch .LBB1314_226
.LBB1314_224:                           ;   in Loop: Header=BB1314_226 Depth=1
	global_load_ushort v22, v[20:21], off
	global_load_ushort v23, v[16:17], off
	s_add_u32 s50, s50, 1
	s_addc_u32 s51, s51, 0
	s_andn2_b64 s[48:49], s[48:49], exec
	v_lshl_add_u64 v[16:17], v[16:17], 0, 2
	v_lshl_add_u64 v[20:21], v[20:21], 0, 2
	s_waitcnt vmcnt(0)
	v_cmp_neq_f16_e32 vcc, v22, v23
	s_and_b64 s[54:55], vcc, exec
	s_or_b64 s[48:49], s[48:49], s[54:55]
.LBB1314_225:                           ;   in Loop: Header=BB1314_226 Depth=1
	s_and_b64 s[54:55], exec, s[48:49]
	s_or_b64 s[46:47], s[54:55], s[46:47]
	v_mov_b64_e32 v[22:23], s[50:51]
	s_andn2_b64 exec, exec, s[46:47]
	s_cbranch_execz .LBB1314_228
.LBB1314_226:                           ; =>This Inner Loop Header: Depth=1
	s_or_b64 s[48:49], s[48:49], exec
	s_cmp_eq_u64 s[44:45], s[50:51]
	s_cbranch_scc0 .LBB1314_224
; %bb.227:                              ;   in Loop: Header=BB1314_226 Depth=1
                                        ; implicit-def: $vgpr16_vgpr17
                                        ; implicit-def: $vgpr20_vgpr21
	s_mov_b64 s[50:51], s[26:27]
	s_branch .LBB1314_225
.LBB1314_228:
	s_or_b64 exec, exec, s[46:47]
	v_cmp_gt_i64_e32 vcc, s[26:27], v[22:23]
	s_orn2_b64 s[44:45], vcc, exec
.LBB1314_229:
	s_or_b64 exec, exec, s[42:43]
.LBB1314_230:
	v_cndmask_b32_e64 v17, 0, 1, s[40:41]
	v_cndmask_b32_e64 v16, 0, 1, s[38:39]
	;; [unrolled: 1-line block ×3, first 2 shown]
	v_lshlrev_b16_e32 v17, 8, v17
	v_cndmask_b32_e64 v25, 0, 1, s[12:13]
	v_cndmask_b32_e64 v20, 0, 1, s[44:45]
	v_or_b32_sdwa v16, v16, v17 dst_sel:WORD_1 dst_unused:UNUSED_PAD src0_sel:DWORD src1_sel:DWORD
	v_lshlrev_b16_e32 v17, 8, v34
	v_lshlrev_b16_e32 v20, 8, v20
	v_or_b32_e32 v17, v25, v17
	v_or_b32_e32 v20, 1, v20
	v_and_b32_e32 v17, 0xffff, v17
	v_cndmask_b32_e64 v35, 0, 1, s[10:11]
	v_or_b32_sdwa v16, v20, v16 dst_sel:DWORD dst_unused:UNUSED_PAD src0_sel:WORD_0 src1_sel:DWORD
	v_lshl_or_b32 v17, v35, 16, v17
	s_waitcnt lgkmcnt(0)
	s_barrier
	s_waitcnt lgkmcnt(0)
                                        ; implicit-def: $sgpr12_sgpr13
                                        ; implicit-def: $vgpr20
	s_and_saveexec_b64 s[10:11], s[2:3]
	s_xor_b64 s[10:11], exec, s[10:11]
	s_cbranch_execz .LBB1314_241
; %bb.231:
	s_mov_b32 s42, 0x3020104
	s_and_b64 vcc, exec, s[4:5]
	s_mov_b64 s[12:13], 0
	s_cbranch_vccnz .LBB1314_240
; %bb.232:
	v_add_u32_e32 v17, -8, v24
	ds_read_b64 v[20:21], v17
	v_lshl_add_u64 v[18:19], v[18:19], 1, s[28:29]
	s_mov_b64 s[12:13], -1
	s_waitcnt lgkmcnt(0)
	v_mul_lo_u32 v17, v21, s26
	v_mul_lo_u32 v22, v20, s27
	v_mad_u64_u32 v[20:21], s[4:5], v20, s26, 0
	v_add3_u32 v21, v21, v22, v17
	v_lshl_add_u64 v[20:21], v[20:21], 1, s[28:29]
	global_load_ushort v17, v[20:21], off
	global_load_ushort v22, v[18:19], off
	s_waitcnt vmcnt(0)
	v_cmp_eq_f16_e32 vcc, v17, v22
	s_and_saveexec_b64 s[4:5], vcc
	s_cbranch_execz .LBB1314_239
; %bb.233:
	s_add_u32 s12, s26, -1
	v_lshl_add_u64 v[18:19], v[18:19], 0, 2
	v_lshl_add_u64 v[20:21], v[20:21], 0, 2
	s_addc_u32 s13, s27, -1
	s_mov_b64 s[14:15], 0
	s_mov_b64 s[40:41], 0
                                        ; implicit-def: $sgpr38_sgpr39
	s_branch .LBB1314_236
.LBB1314_234:                           ;   in Loop: Header=BB1314_236 Depth=1
	global_load_ushort v17, v[20:21], off
	global_load_ushort v22, v[18:19], off
	s_add_u32 s40, s40, 1
	s_addc_u32 s41, s41, 0
	s_andn2_b64 s[38:39], s[38:39], exec
	v_lshl_add_u64 v[18:19], v[18:19], 0, 2
	v_lshl_add_u64 v[20:21], v[20:21], 0, 2
	s_waitcnt vmcnt(0)
	v_cmp_neq_f16_e32 vcc, v17, v22
	s_and_b64 s[44:45], vcc, exec
	s_or_b64 s[38:39], s[38:39], s[44:45]
.LBB1314_235:                           ;   in Loop: Header=BB1314_236 Depth=1
	s_and_b64 s[44:45], exec, s[38:39]
	s_or_b64 s[14:15], s[44:45], s[14:15]
	v_mov_b64_e32 v[22:23], s[40:41]
	s_andn2_b64 exec, exec, s[14:15]
	s_cbranch_execz .LBB1314_238
.LBB1314_236:                           ; =>This Inner Loop Header: Depth=1
	s_or_b64 s[38:39], s[38:39], exec
	s_cmp_eq_u64 s[12:13], s[40:41]
	s_cbranch_scc0 .LBB1314_234
; %bb.237:                              ;   in Loop: Header=BB1314_236 Depth=1
                                        ; implicit-def: $vgpr18_vgpr19
                                        ; implicit-def: $vgpr20_vgpr21
	s_mov_b64 s[40:41], s[26:27]
	s_branch .LBB1314_235
.LBB1314_238:
	s_or_b64 exec, exec, s[14:15]
	v_cmp_gt_i64_e32 vcc, s[26:27], v[22:23]
	s_orn2_b64 s[12:13], vcc, exec
.LBB1314_239:
	s_or_b64 exec, exec, s[4:5]
.LBB1314_240:
	v_perm_b32 v20, v16, v16, s42
	s_and_b64 s[12:13], s[12:13], exec
	s_or_b64 s[8:9], s[8:9], exec
                                        ; implicit-def: $vgpr16_vgpr17
.LBB1314_241:
	s_or_b64 exec, exec, s[10:11]
	s_branch .LBB1314_322
.LBB1314_242:
	v_cmp_gt_u32_e32 vcc, s52, v29
	s_mov_b64 s[10:11], 0
	s_mov_b64 s[4:5], 0
	s_and_saveexec_b64 s[12:13], vcc
	s_cbranch_execz .LBB1314_253
; %bb.243:
	s_andn2_b64 vcc, exec, s[6:7]
	s_mov_b64 s[14:15], 0
	s_cbranch_vccnz .LBB1314_252
; %bb.244:
	v_mul_lo_u32 v18, v5, s26
	v_mul_lo_u32 v19, v4, s27
	s_waitcnt vmcnt(0) lgkmcnt(1)
	v_mad_u64_u32 v[16:17], s[4:5], v4, s26, 0
	v_add3_u32 v17, v17, v19, v18
	v_mul_lo_u32 v18, v15, s26
	v_mul_lo_u32 v19, v14, s27
	v_mad_u64_u32 v[20:21], s[4:5], v14, s26, 0
	v_add3_u32 v21, v21, v19, v18
	v_lshl_add_u64 v[18:19], v[16:17], 1, s[28:29]
	v_lshl_add_u64 v[16:17], v[20:21], 1, s[28:29]
	global_load_ushort v20, v[18:19], off
	global_load_ushort v21, v[16:17], off
	s_mov_b64 s[14:15], -1
	s_waitcnt vmcnt(0)
	v_cmp_eq_f16_e32 vcc, v20, v21
	s_and_saveexec_b64 s[4:5], vcc
	s_cbranch_execz .LBB1314_251
; %bb.245:
	s_add_u32 s14, s26, -1
	v_lshl_add_u64 v[16:17], v[16:17], 0, 2
	v_lshl_add_u64 v[18:19], v[18:19], 0, 2
	s_addc_u32 s15, s27, -1
	s_mov_b64 s[38:39], 0
	s_mov_b64 s[42:43], 0
                                        ; implicit-def: $sgpr40_sgpr41
	s_branch .LBB1314_248
.LBB1314_246:                           ;   in Loop: Header=BB1314_248 Depth=1
	global_load_ushort v20, v[18:19], off
	global_load_ushort v21, v[16:17], off
	s_add_u32 s42, s42, 1
	s_addc_u32 s43, s43, 0
	s_andn2_b64 s[40:41], s[40:41], exec
	v_lshl_add_u64 v[16:17], v[16:17], 0, 2
	v_lshl_add_u64 v[18:19], v[18:19], 0, 2
	s_waitcnt vmcnt(0)
	v_cmp_neq_f16_e32 vcc, v20, v21
	s_and_b64 s[44:45], vcc, exec
	s_or_b64 s[40:41], s[40:41], s[44:45]
.LBB1314_247:                           ;   in Loop: Header=BB1314_248 Depth=1
	s_and_b64 s[44:45], exec, s[40:41]
	s_or_b64 s[38:39], s[44:45], s[38:39]
	v_mov_b64_e32 v[20:21], s[42:43]
	s_andn2_b64 exec, exec, s[38:39]
	s_cbranch_execz .LBB1314_250
.LBB1314_248:                           ; =>This Inner Loop Header: Depth=1
	s_or_b64 s[40:41], s[40:41], exec
	s_cmp_eq_u64 s[14:15], s[42:43]
	s_cbranch_scc0 .LBB1314_246
; %bb.249:                              ;   in Loop: Header=BB1314_248 Depth=1
                                        ; implicit-def: $vgpr16_vgpr17
                                        ; implicit-def: $vgpr18_vgpr19
	s_mov_b64 s[42:43], s[26:27]
	s_branch .LBB1314_247
.LBB1314_250:
	s_or_b64 exec, exec, s[38:39]
	v_cmp_gt_i64_e32 vcc, s[26:27], v[20:21]
	s_orn2_b64 s[14:15], vcc, exec
.LBB1314_251:
	s_or_b64 exec, exec, s[4:5]
.LBB1314_252:
	s_and_b64 s[4:5], s[14:15], exec
.LBB1314_253:
	s_or_b64 exec, exec, s[12:13]
	v_cmp_gt_u32_e32 vcc, s52, v31
	s_and_saveexec_b64 s[12:13], vcc
	s_cbranch_execz .LBB1314_264
; %bb.254:
	s_andn2_b64 vcc, exec, s[6:7]
	s_mov_b64 s[14:15], 0
	s_cbranch_vccnz .LBB1314_263
; %bb.255:
	v_mul_lo_u32 v18, v3, s26
	v_mul_lo_u32 v19, v2, s27
	s_waitcnt vmcnt(0) lgkmcnt(1)
	v_mad_u64_u32 v[16:17], s[10:11], v2, s26, 0
	v_add3_u32 v17, v17, v19, v18
	v_mul_lo_u32 v18, v5, s26
	v_mul_lo_u32 v19, v4, s27
	v_mad_u64_u32 v[20:21], s[10:11], v4, s26, 0
	v_add3_u32 v21, v21, v19, v18
	v_lshl_add_u64 v[18:19], v[16:17], 1, s[28:29]
	v_lshl_add_u64 v[16:17], v[20:21], 1, s[28:29]
	global_load_ushort v20, v[18:19], off
	global_load_ushort v21, v[16:17], off
	s_mov_b64 s[14:15], -1
	s_waitcnt vmcnt(0)
	v_cmp_eq_f16_e32 vcc, v20, v21
	s_and_saveexec_b64 s[10:11], vcc
	s_cbranch_execz .LBB1314_262
; %bb.256:
	s_add_u32 s14, s26, -1
	v_lshl_add_u64 v[16:17], v[16:17], 0, 2
	v_lshl_add_u64 v[18:19], v[18:19], 0, 2
	s_addc_u32 s15, s27, -1
	s_mov_b64 s[38:39], 0
	s_mov_b64 s[42:43], 0
                                        ; implicit-def: $sgpr40_sgpr41
	s_branch .LBB1314_259
.LBB1314_257:                           ;   in Loop: Header=BB1314_259 Depth=1
	global_load_ushort v20, v[18:19], off
	global_load_ushort v21, v[16:17], off
	s_add_u32 s42, s42, 1
	s_addc_u32 s43, s43, 0
	s_andn2_b64 s[40:41], s[40:41], exec
	v_lshl_add_u64 v[16:17], v[16:17], 0, 2
	v_lshl_add_u64 v[18:19], v[18:19], 0, 2
	s_waitcnt vmcnt(0)
	v_cmp_neq_f16_e32 vcc, v20, v21
	s_and_b64 s[44:45], vcc, exec
	s_or_b64 s[40:41], s[40:41], s[44:45]
.LBB1314_258:                           ;   in Loop: Header=BB1314_259 Depth=1
	s_and_b64 s[44:45], exec, s[40:41]
	s_or_b64 s[38:39], s[44:45], s[38:39]
	v_mov_b64_e32 v[20:21], s[42:43]
	s_andn2_b64 exec, exec, s[38:39]
	s_cbranch_execz .LBB1314_261
.LBB1314_259:                           ; =>This Inner Loop Header: Depth=1
	s_or_b64 s[40:41], s[40:41], exec
	s_cmp_eq_u64 s[14:15], s[42:43]
	s_cbranch_scc0 .LBB1314_257
; %bb.260:                              ;   in Loop: Header=BB1314_259 Depth=1
                                        ; implicit-def: $vgpr16_vgpr17
                                        ; implicit-def: $vgpr18_vgpr19
	s_mov_b64 s[42:43], s[26:27]
	s_branch .LBB1314_258
.LBB1314_261:
	s_or_b64 exec, exec, s[38:39]
	v_cmp_gt_i64_e32 vcc, s[26:27], v[20:21]
	s_orn2_b64 s[14:15], vcc, exec
.LBB1314_262:
	s_or_b64 exec, exec, s[10:11]
.LBB1314_263:
	s_and_b64 s[10:11], s[14:15], exec
.LBB1314_264:
	s_or_b64 exec, exec, s[12:13]
	v_cmp_gt_u32_e32 vcc, s52, v28
	s_mov_b64 s[14:15], 0
	s_mov_b64 s[12:13], 0
	s_and_saveexec_b64 s[38:39], vcc
	s_cbranch_execz .LBB1314_275
; %bb.265:
	s_andn2_b64 vcc, exec, s[6:7]
	s_mov_b64 s[40:41], 0
	s_cbranch_vccnz .LBB1314_274
; %bb.266:
	v_mul_lo_u32 v18, v9, s26
	v_mul_lo_u32 v19, v8, s27
	s_waitcnt vmcnt(0) lgkmcnt(1)
	v_mad_u64_u32 v[16:17], s[12:13], v8, s26, 0
	v_add3_u32 v17, v17, v19, v18
	v_mul_lo_u32 v18, v3, s26
	v_mul_lo_u32 v19, v2, s27
	v_mad_u64_u32 v[20:21], s[12:13], v2, s26, 0
	v_add3_u32 v21, v21, v19, v18
	v_lshl_add_u64 v[18:19], v[16:17], 1, s[28:29]
	v_lshl_add_u64 v[16:17], v[20:21], 1, s[28:29]
	global_load_ushort v20, v[18:19], off
	global_load_ushort v21, v[16:17], off
	s_mov_b64 s[40:41], -1
	s_waitcnt vmcnt(0)
	v_cmp_eq_f16_e32 vcc, v20, v21
	s_and_saveexec_b64 s[12:13], vcc
	s_cbranch_execz .LBB1314_273
; %bb.267:
	s_add_u32 s40, s26, -1
	v_lshl_add_u64 v[16:17], v[16:17], 0, 2
	v_lshl_add_u64 v[18:19], v[18:19], 0, 2
	s_addc_u32 s41, s27, -1
	s_mov_b64 s[42:43], 0
	s_mov_b64 s[46:47], 0
                                        ; implicit-def: $sgpr44_sgpr45
	s_branch .LBB1314_270
.LBB1314_268:                           ;   in Loop: Header=BB1314_270 Depth=1
	global_load_ushort v20, v[18:19], off
	global_load_ushort v21, v[16:17], off
	s_add_u32 s46, s46, 1
	s_addc_u32 s47, s47, 0
	s_andn2_b64 s[44:45], s[44:45], exec
	v_lshl_add_u64 v[16:17], v[16:17], 0, 2
	v_lshl_add_u64 v[18:19], v[18:19], 0, 2
	s_waitcnt vmcnt(0)
	v_cmp_neq_f16_e32 vcc, v20, v21
	s_and_b64 s[48:49], vcc, exec
	s_or_b64 s[44:45], s[44:45], s[48:49]
.LBB1314_269:                           ;   in Loop: Header=BB1314_270 Depth=1
	s_and_b64 s[48:49], exec, s[44:45]
	s_or_b64 s[42:43], s[48:49], s[42:43]
	v_mov_b64_e32 v[20:21], s[46:47]
	s_andn2_b64 exec, exec, s[42:43]
	s_cbranch_execz .LBB1314_272
.LBB1314_270:                           ; =>This Inner Loop Header: Depth=1
	s_or_b64 s[44:45], s[44:45], exec
	s_cmp_eq_u64 s[40:41], s[46:47]
	s_cbranch_scc0 .LBB1314_268
; %bb.271:                              ;   in Loop: Header=BB1314_270 Depth=1
                                        ; implicit-def: $vgpr16_vgpr17
                                        ; implicit-def: $vgpr18_vgpr19
	s_mov_b64 s[46:47], s[26:27]
	s_branch .LBB1314_269
.LBB1314_272:
	s_or_b64 exec, exec, s[42:43]
	v_cmp_gt_i64_e32 vcc, s[26:27], v[20:21]
	s_orn2_b64 s[40:41], vcc, exec
.LBB1314_273:
	s_or_b64 exec, exec, s[12:13]
.LBB1314_274:
	s_and_b64 s[12:13], s[40:41], exec
.LBB1314_275:
	s_or_b64 exec, exec, s[38:39]
	v_cmp_gt_u32_e32 vcc, s52, v30
	s_and_saveexec_b64 s[38:39], vcc
	s_cbranch_execz .LBB1314_286
; %bb.276:
	s_andn2_b64 vcc, exec, s[6:7]
	s_mov_b64 s[40:41], 0
	s_cbranch_vccnz .LBB1314_285
; %bb.277:
	v_mul_lo_u32 v18, v7, s26
	v_mul_lo_u32 v19, v6, s27
	s_waitcnt vmcnt(0) lgkmcnt(1)
	v_mad_u64_u32 v[16:17], s[14:15], v6, s26, 0
	v_add3_u32 v17, v17, v19, v18
	v_mul_lo_u32 v18, v9, s26
	v_mul_lo_u32 v19, v8, s27
	v_mad_u64_u32 v[20:21], s[14:15], v8, s26, 0
	v_add3_u32 v21, v21, v19, v18
	v_lshl_add_u64 v[18:19], v[16:17], 1, s[28:29]
	v_lshl_add_u64 v[16:17], v[20:21], 1, s[28:29]
	global_load_ushort v20, v[18:19], off
	global_load_ushort v21, v[16:17], off
	s_mov_b64 s[40:41], -1
	s_waitcnt vmcnt(0)
	v_cmp_eq_f16_e32 vcc, v20, v21
	s_and_saveexec_b64 s[14:15], vcc
	s_cbranch_execz .LBB1314_284
; %bb.278:
	s_add_u32 s40, s26, -1
	v_lshl_add_u64 v[16:17], v[16:17], 0, 2
	v_lshl_add_u64 v[18:19], v[18:19], 0, 2
	s_addc_u32 s41, s27, -1
	s_mov_b64 s[42:43], 0
	s_mov_b64 s[46:47], 0
                                        ; implicit-def: $sgpr44_sgpr45
	s_branch .LBB1314_281
.LBB1314_279:                           ;   in Loop: Header=BB1314_281 Depth=1
	global_load_ushort v20, v[18:19], off
	global_load_ushort v21, v[16:17], off
	s_add_u32 s46, s46, 1
	s_addc_u32 s47, s47, 0
	s_andn2_b64 s[44:45], s[44:45], exec
	v_lshl_add_u64 v[16:17], v[16:17], 0, 2
	v_lshl_add_u64 v[18:19], v[18:19], 0, 2
	s_waitcnt vmcnt(0)
	v_cmp_neq_f16_e32 vcc, v20, v21
	s_and_b64 s[48:49], vcc, exec
	s_or_b64 s[44:45], s[44:45], s[48:49]
.LBB1314_280:                           ;   in Loop: Header=BB1314_281 Depth=1
	s_and_b64 s[48:49], exec, s[44:45]
	s_or_b64 s[42:43], s[48:49], s[42:43]
	v_mov_b64_e32 v[20:21], s[46:47]
	s_andn2_b64 exec, exec, s[42:43]
	s_cbranch_execz .LBB1314_283
.LBB1314_281:                           ; =>This Inner Loop Header: Depth=1
	s_or_b64 s[44:45], s[44:45], exec
	s_cmp_eq_u64 s[40:41], s[46:47]
	s_cbranch_scc0 .LBB1314_279
; %bb.282:                              ;   in Loop: Header=BB1314_281 Depth=1
                                        ; implicit-def: $vgpr16_vgpr17
                                        ; implicit-def: $vgpr18_vgpr19
	s_mov_b64 s[46:47], s[26:27]
	s_branch .LBB1314_280
.LBB1314_283:
	s_or_b64 exec, exec, s[42:43]
	v_cmp_gt_i64_e32 vcc, s[26:27], v[20:21]
	s_orn2_b64 s[40:41], vcc, exec
.LBB1314_284:
	s_or_b64 exec, exec, s[14:15]
.LBB1314_285:
	s_and_b64 s[14:15], s[40:41], exec
.LBB1314_286:
	s_or_b64 exec, exec, s[38:39]
	v_cmp_gt_u32_e32 vcc, s52, v26
	s_mov_b64 s[38:39], 0
	s_mov_b64 s[40:41], 0
	s_and_saveexec_b64 s[42:43], vcc
	s_cbranch_execz .LBB1314_297
; %bb.287:
	s_andn2_b64 vcc, exec, s[6:7]
	s_mov_b64 s[44:45], 0
	s_cbranch_vccnz .LBB1314_296
; %bb.288:
	v_mul_lo_u32 v18, v13, s26
	v_mul_lo_u32 v19, v12, s27
	s_waitcnt vmcnt(0) lgkmcnt(1)
	v_mad_u64_u32 v[16:17], s[40:41], v12, s26, 0
	v_add3_u32 v17, v17, v19, v18
	v_mul_lo_u32 v18, v7, s26
	v_mul_lo_u32 v19, v6, s27
	v_mad_u64_u32 v[20:21], s[40:41], v6, s26, 0
	v_add3_u32 v21, v21, v19, v18
	v_lshl_add_u64 v[18:19], v[16:17], 1, s[28:29]
	v_lshl_add_u64 v[16:17], v[20:21], 1, s[28:29]
	global_load_ushort v20, v[18:19], off
	global_load_ushort v21, v[16:17], off
	s_mov_b64 s[44:45], -1
	s_waitcnt vmcnt(0)
	v_cmp_eq_f16_e32 vcc, v20, v21
	s_and_saveexec_b64 s[40:41], vcc
	s_cbranch_execz .LBB1314_295
; %bb.289:
	s_add_u32 s44, s26, -1
	v_lshl_add_u64 v[16:17], v[16:17], 0, 2
	v_lshl_add_u64 v[18:19], v[18:19], 0, 2
	s_addc_u32 s45, s27, -1
	s_mov_b64 s[46:47], 0
	s_mov_b64 s[50:51], 0
                                        ; implicit-def: $sgpr48_sgpr49
	s_branch .LBB1314_292
.LBB1314_290:                           ;   in Loop: Header=BB1314_292 Depth=1
	global_load_ushort v20, v[18:19], off
	global_load_ushort v21, v[16:17], off
	s_add_u32 s50, s50, 1
	s_addc_u32 s51, s51, 0
	s_andn2_b64 s[48:49], s[48:49], exec
	v_lshl_add_u64 v[16:17], v[16:17], 0, 2
	v_lshl_add_u64 v[18:19], v[18:19], 0, 2
	s_waitcnt vmcnt(0)
	v_cmp_neq_f16_e32 vcc, v20, v21
	s_and_b64 s[54:55], vcc, exec
	s_or_b64 s[48:49], s[48:49], s[54:55]
.LBB1314_291:                           ;   in Loop: Header=BB1314_292 Depth=1
	s_and_b64 s[54:55], exec, s[48:49]
	s_or_b64 s[46:47], s[54:55], s[46:47]
	v_mov_b64_e32 v[20:21], s[50:51]
	s_andn2_b64 exec, exec, s[46:47]
	s_cbranch_execz .LBB1314_294
.LBB1314_292:                           ; =>This Inner Loop Header: Depth=1
	s_or_b64 s[48:49], s[48:49], exec
	s_cmp_eq_u64 s[44:45], s[50:51]
	s_cbranch_scc0 .LBB1314_290
; %bb.293:                              ;   in Loop: Header=BB1314_292 Depth=1
                                        ; implicit-def: $vgpr16_vgpr17
                                        ; implicit-def: $vgpr18_vgpr19
	s_mov_b64 s[50:51], s[26:27]
	s_branch .LBB1314_291
.LBB1314_294:
	s_or_b64 exec, exec, s[46:47]
	v_cmp_gt_i64_e32 vcc, s[26:27], v[20:21]
	s_orn2_b64 s[44:45], vcc, exec
.LBB1314_295:
	s_or_b64 exec, exec, s[40:41]
.LBB1314_296:
	s_and_b64 s[40:41], s[44:45], exec
.LBB1314_297:
	s_or_b64 exec, exec, s[42:43]
	v_cmp_gt_u32_e32 vcc, s52, v27
	s_and_saveexec_b64 s[42:43], vcc
	s_cbranch_execz .LBB1314_308
; %bb.298:
	s_andn2_b64 vcc, exec, s[6:7]
	s_mov_b64 s[44:45], 0
	s_cbranch_vccnz .LBB1314_307
; %bb.299:
	v_mul_lo_u32 v18, v11, s26
	v_mul_lo_u32 v19, v10, s27
	s_waitcnt vmcnt(0) lgkmcnt(1)
	v_mad_u64_u32 v[16:17], s[38:39], v10, s26, 0
	v_add3_u32 v17, v17, v19, v18
	v_mul_lo_u32 v18, v13, s26
	v_mul_lo_u32 v19, v12, s27
	v_mad_u64_u32 v[20:21], s[38:39], v12, s26, 0
	v_add3_u32 v21, v21, v19, v18
	v_lshl_add_u64 v[18:19], v[16:17], 1, s[28:29]
	v_lshl_add_u64 v[16:17], v[20:21], 1, s[28:29]
	global_load_ushort v20, v[18:19], off
	global_load_ushort v21, v[16:17], off
	s_mov_b64 s[44:45], -1
	s_waitcnt vmcnt(0)
	v_cmp_eq_f16_e32 vcc, v20, v21
	s_and_saveexec_b64 s[38:39], vcc
	s_cbranch_execz .LBB1314_306
; %bb.300:
	s_add_u32 s44, s26, -1
	v_lshl_add_u64 v[16:17], v[16:17], 0, 2
	v_lshl_add_u64 v[18:19], v[18:19], 0, 2
	s_addc_u32 s45, s27, -1
	s_mov_b64 s[46:47], 0
	s_mov_b64 s[50:51], 0
                                        ; implicit-def: $sgpr48_sgpr49
	s_branch .LBB1314_303
.LBB1314_301:                           ;   in Loop: Header=BB1314_303 Depth=1
	global_load_ushort v20, v[18:19], off
	global_load_ushort v21, v[16:17], off
	s_add_u32 s50, s50, 1
	s_addc_u32 s51, s51, 0
	s_andn2_b64 s[48:49], s[48:49], exec
	v_lshl_add_u64 v[16:17], v[16:17], 0, 2
	v_lshl_add_u64 v[18:19], v[18:19], 0, 2
	s_waitcnt vmcnt(0)
	v_cmp_neq_f16_e32 vcc, v20, v21
	s_and_b64 s[54:55], vcc, exec
	s_or_b64 s[48:49], s[48:49], s[54:55]
.LBB1314_302:                           ;   in Loop: Header=BB1314_303 Depth=1
	s_and_b64 s[54:55], exec, s[48:49]
	s_or_b64 s[46:47], s[54:55], s[46:47]
	v_mov_b64_e32 v[20:21], s[50:51]
	s_andn2_b64 exec, exec, s[46:47]
	s_cbranch_execz .LBB1314_305
.LBB1314_303:                           ; =>This Inner Loop Header: Depth=1
	s_or_b64 s[48:49], s[48:49], exec
	s_cmp_eq_u64 s[44:45], s[50:51]
	s_cbranch_scc0 .LBB1314_301
; %bb.304:                              ;   in Loop: Header=BB1314_303 Depth=1
                                        ; implicit-def: $vgpr16_vgpr17
                                        ; implicit-def: $vgpr18_vgpr19
	s_mov_b64 s[50:51], s[26:27]
	s_branch .LBB1314_302
.LBB1314_305:
	s_or_b64 exec, exec, s[46:47]
	v_cmp_gt_i64_e32 vcc, s[26:27], v[20:21]
	s_orn2_b64 s[44:45], vcc, exec
.LBB1314_306:
	s_or_b64 exec, exec, s[38:39]
.LBB1314_307:
	s_and_b64 s[38:39], s[44:45], exec
.LBB1314_308:
	s_or_b64 exec, exec, s[42:43]
	s_waitcnt vmcnt(0) lgkmcnt(1)
	v_cndmask_b32_e64 v17, 0, 1, s[14:15]
	v_cndmask_b32_e64 v16, 0, 1, s[40:41]
	;; [unrolled: 1-line block ×3, first 2 shown]
	v_lshlrev_b16_e32 v17, 8, v17
	v_cndmask_b32_e64 v25, 0, 1, s[12:13]
	v_cndmask_b32_e64 v18, 0, 1, s[38:39]
	v_or_b32_sdwa v16, v16, v17 dst_sel:WORD_1 dst_unused:UNUSED_PAD src0_sel:DWORD src1_sel:DWORD
	v_lshlrev_b16_e32 v17, 8, v34
	v_lshlrev_b16_e32 v18, 8, v18
	v_or_b32_e32 v17, v25, v17
	v_or_b32_e32 v18, 1, v18
	v_and_b32_e32 v17, 0xffff, v17
	v_cndmask_b32_e64 v35, 0, 1, s[4:5]
	v_or_b32_sdwa v16, v18, v16 dst_sel:DWORD dst_unused:UNUSED_PAD src0_sel:WORD_0 src1_sel:DWORD
	v_lshl_or_b32 v17, v35, 16, v17
	s_waitcnt lgkmcnt(0)
	s_barrier
	s_waitcnt lgkmcnt(0)
                                        ; implicit-def: $sgpr12_sgpr13
                                        ; implicit-def: $vgpr20
	s_and_saveexec_b64 s[4:5], s[2:3]
	s_cbranch_execz .LBB1314_321
; %bb.309:
	v_cmp_gt_u32_e32 vcc, s52, v1
	s_mov_b32 s38, 0x3020104
	s_mov_b64 s[10:11], 0
	s_and_saveexec_b64 s[2:3], vcc
	s_cbranch_execz .LBB1314_320
; %bb.310:
	s_andn2_b64 vcc, exec, s[6:7]
	s_cbranch_vccnz .LBB1314_319
; %bb.311:
	v_add_u32_e32 v17, -8, v24
	ds_read_b64 v[18:19], v17
	v_mul_lo_u32 v17, v11, s26
	v_mad_u64_u32 v[22:23], s[6:7], v10, s26, 0
	s_mov_b64 s[10:11], -1
	s_waitcnt lgkmcnt(0)
	v_mul_lo_u32 v20, v19, s26
	v_mul_lo_u32 v21, v18, s27
	v_mad_u64_u32 v[18:19], s[6:7], v18, s26, 0
	v_add3_u32 v19, v19, v21, v20
	v_mul_lo_u32 v20, v10, s27
	v_add3_u32 v23, v23, v20, v17
	v_lshl_add_u64 v[20:21], v[18:19], 1, s[28:29]
	v_lshl_add_u64 v[18:19], v[22:23], 1, s[28:29]
	global_load_ushort v17, v[20:21], off
	global_load_ushort v22, v[18:19], off
	s_waitcnt vmcnt(0)
	v_cmp_eq_f16_e32 vcc, v17, v22
	s_and_saveexec_b64 s[6:7], vcc
	s_cbranch_execz .LBB1314_318
; %bb.312:
	s_add_u32 s10, s26, -1
	v_lshl_add_u64 v[18:19], v[18:19], 0, 2
	v_lshl_add_u64 v[20:21], v[20:21], 0, 2
	s_addc_u32 s11, s27, -1
	s_mov_b64 s[12:13], 0
	s_mov_b64 s[28:29], 0
                                        ; implicit-def: $sgpr14_sgpr15
	s_branch .LBB1314_315
.LBB1314_313:                           ;   in Loop: Header=BB1314_315 Depth=1
	global_load_ushort v17, v[20:21], off
	global_load_ushort v22, v[18:19], off
	s_add_u32 s28, s28, 1
	s_addc_u32 s29, s29, 0
	s_andn2_b64 s[14:15], s[14:15], exec
	v_lshl_add_u64 v[18:19], v[18:19], 0, 2
	v_lshl_add_u64 v[20:21], v[20:21], 0, 2
	s_waitcnt vmcnt(0)
	v_cmp_neq_f16_e32 vcc, v17, v22
	s_and_b64 s[40:41], vcc, exec
	s_or_b64 s[14:15], s[14:15], s[40:41]
.LBB1314_314:                           ;   in Loop: Header=BB1314_315 Depth=1
	s_and_b64 s[40:41], exec, s[14:15]
	s_or_b64 s[12:13], s[40:41], s[12:13]
	v_mov_b64_e32 v[22:23], s[28:29]
	s_andn2_b64 exec, exec, s[12:13]
	s_cbranch_execz .LBB1314_317
.LBB1314_315:                           ; =>This Inner Loop Header: Depth=1
	s_or_b64 s[14:15], s[14:15], exec
	s_cmp_eq_u64 s[10:11], s[28:29]
	s_cbranch_scc0 .LBB1314_313
; %bb.316:                              ;   in Loop: Header=BB1314_315 Depth=1
                                        ; implicit-def: $vgpr18_vgpr19
                                        ; implicit-def: $vgpr20_vgpr21
	s_mov_b64 s[28:29], s[26:27]
	s_branch .LBB1314_314
.LBB1314_317:
	s_or_b64 exec, exec, s[12:13]
	v_cmp_gt_i64_e32 vcc, s[26:27], v[22:23]
	s_orn2_b64 s[10:11], vcc, exec
.LBB1314_318:
	s_or_b64 exec, exec, s[6:7]
.LBB1314_319:
	s_and_b64 s[10:11], s[10:11], exec
.LBB1314_320:
	s_or_b64 exec, exec, s[2:3]
	v_perm_b32 v20, v16, v16, s38
	s_and_b64 s[12:13], s[10:11], exec
	s_or_b64 s[8:9], s[8:9], exec
                                        ; implicit-def: $vgpr16_vgpr17
.LBB1314_321:
	s_or_b64 exec, exec, s[4:5]
.LBB1314_322:
	s_and_saveexec_b64 s[2:3], s[8:9]
	s_cbranch_execz .LBB1314_324
; %bb.323:
	s_waitcnt vmcnt(0) lgkmcnt(0)
	v_lshlrev_b16_e32 v17, 8, v34
	v_and_b32_e32 v18, 0xff, v35
	v_or_b32_sdwa v17, v25, v17 dst_sel:DWORD dst_unused:UNUSED_PAD src0_sel:BYTE_0 src1_sel:DWORD
	v_lshlrev_b32_e32 v18, 16, v18
	s_movk_i32 s4, 0xff
	v_or_b32_sdwa v17, v17, v18 dst_sel:DWORD dst_unused:UNUSED_PAD src0_sel:WORD_0 src1_sel:DWORD
	v_lshrrev_b32_e32 v18, 24, v20
	v_lshlrev_b16_e32 v18, 8, v18
	v_and_b32_sdwa v19, v20, s4 dst_sel:DWORD dst_unused:UNUSED_PAD src0_sel:WORD_1 src1_sel:DWORD
	v_or_b32_sdwa v18, v19, v18 dst_sel:WORD_1 dst_unused:UNUSED_PAD src0_sel:DWORD src1_sel:DWORD
	v_mov_b32_e32 v19, 8
	v_cndmask_b32_e64 v16, 0, 1, s[12:13]
	v_lshrrev_b32_sdwa v19, v19, v20 dst_sel:BYTE_1 dst_unused:UNUSED_PAD src0_sel:DWORD src1_sel:DWORD
	s_nop 0
	v_or_b32_e32 v16, v16, v19
	v_or_b32_sdwa v16, v16, v18 dst_sel:DWORD dst_unused:UNUSED_PAD src0_sel:WORD_0 src1_sel:DWORD
.LBB1314_324:
	s_or_b64 exec, exec, s[2:3]
	s_andn2_b64 vcc, exec, s[0:1]
	s_cbranch_vccnz .LBB1314_326
; %bb.325:
	s_waitcnt vmcnt(0) lgkmcnt(0)
	v_and_b32_e32 v18, 0xffff0000, v16
	v_cmp_gt_u32_e32 vcc, s52, v1
	s_mov_b32 s0, 0x40c0100
	s_nop 0
	v_cndmask_b32_e32 v1, v18, v16, vcc
	v_and_b32_e32 v1, 0xffff00ff, v1
	v_cmp_gt_u32_e32 vcc, s52, v27
	s_nop 1
	v_cndmask_b32_e32 v1, v1, v16, vcc
	v_lshrrev_b32_e32 v18, 24, v1
	v_perm_b32 v1, v18, v1, s0
	v_cmp_gt_u32_e32 vcc, s52, v26
	v_and_b32_e32 v18, 0xffffff00, v17
	s_nop 0
	v_cndmask_b32_e32 v1, v1, v16, vcc
	v_and_b32_e32 v1, 0xffffff, v1
	v_cmp_gt_u32_e32 vcc, s52, v30
	s_nop 1
	v_cndmask_b32_e32 v1, v1, v16, vcc
	v_cmp_gt_u32_e32 vcc, s52, v28
	s_nop 1
	v_cndmask_b32_e32 v18, v18, v17, vcc
	v_and_b32_e32 v18, 0xffff00ff, v18
	v_cndmask_b32_e32 v1, v1, v16, vcc
	v_cmp_gt_u32_e32 vcc, s52, v31
	s_nop 1
	v_cndmask_b32_e32 v18, v18, v17, vcc
	v_lshrrev_b32_e32 v19, 24, v18
	v_cndmask_b32_e32 v1, v1, v16, vcc
	v_perm_b32 v18, v19, v18, s0
	v_cmp_gt_u32_e32 vcc, s52, v29
	s_mov_b32 s0, 0x3020104
	s_nop 0
	v_cndmask_b32_e32 v1, v1, v16, vcc
	v_cndmask_b32_e32 v16, v18, v17, vcc
	v_mov_b32_e32 v17, 8
	v_lshrrev_b32_sdwa v17, v17, v16 dst_sel:BYTE_1 dst_unused:UNUSED_PAD src0_sel:DWORD src1_sel:DWORD
	s_nop 0
	v_or_b32_sdwa v17, v16, v17 dst_sel:DWORD dst_unused:UNUSED_PAD src0_sel:BYTE_0 src1_sel:DWORD
	v_and_b32_e32 v17, 0xffff, v17
	v_bfe_u32 v16, v16, 16, 8
	v_lshl_or_b32 v17, v16, 16, v17
	v_perm_b32 v16, v1, v1, s0
.LBB1314_326:
	s_waitcnt vmcnt(0) lgkmcnt(0)
	v_and_b32_e32 v1, 0xff, v16
	v_bfe_u32 v29, v16, 8, 8
	v_bfe_u32 v31, v16, 16, 8
	v_alignbit_b32 v18, v17, v16, 24
	v_and_b32_e32 v33, 0xff, v18
	v_and_b32_e32 v35, 0xff, v17
	v_add3_u32 v19, v29, v1, v31
	v_bfe_u32 v36, v17, 8, 8
	v_bfe_u32 v18, v17, 16, 8
	v_add3_u32 v19, v19, v33, v35
	v_add3_u32 v39, v19, v36, v18
	v_mbcnt_lo_u32_b32 v18, -1, 0
	v_mbcnt_hi_u32_b32 v37, -1, v18
	v_and_b32_e32 v18, 15, v37
	v_cmp_eq_u32_e64 s[14:15], 0, v18
	v_cmp_lt_u32_e64 s[12:13], 1, v18
	v_cmp_lt_u32_e64 s[10:11], 3, v18
	;; [unrolled: 1-line block ×3, first 2 shown]
	v_and_b32_e32 v18, 16, v37
	v_cmp_eq_u32_e64 s[6:7], 0, v18
	v_or_b32_e32 v18, 63, v0
	v_cmp_lt_u32_e64 s[2:3], 31, v37
	v_lshrrev_b32_e32 v38, 6, v0
	v_cmp_eq_u32_e64 s[4:5], v18, v0
	s_and_b64 vcc, exec, s[16:17]
	s_barrier
	s_cbranch_vccz .LBB1314_357
; %bb.327:
	v_mov_b32_dpp v18, v39 row_shr:1 row_mask:0xf bank_mask:0xf
	v_cndmask_b32_e64 v18, v18, 0, s[14:15]
	v_add_u32_e32 v18, v18, v39
	s_nop 1
	v_mov_b32_dpp v19, v18 row_shr:2 row_mask:0xf bank_mask:0xf
	v_cndmask_b32_e64 v19, 0, v19, s[12:13]
	v_add_u32_e32 v18, v18, v19
	s_nop 1
	v_mov_b32_dpp v19, v18 row_shr:4 row_mask:0xf bank_mask:0xf
	v_cndmask_b32_e64 v19, 0, v19, s[10:11]
	v_add_u32_e32 v18, v18, v19
	s_nop 1
	v_mov_b32_dpp v19, v18 row_shr:8 row_mask:0xf bank_mask:0xf
	v_cndmask_b32_e64 v19, 0, v19, s[8:9]
	v_add_u32_e32 v18, v18, v19
	s_nop 1
	v_mov_b32_dpp v19, v18 row_bcast:15 row_mask:0xf bank_mask:0xf
	v_cndmask_b32_e64 v19, v19, 0, s[6:7]
	v_add_u32_e32 v18, v18, v19
	s_nop 1
	v_mov_b32_dpp v19, v18 row_bcast:31 row_mask:0xf bank_mask:0xf
	v_cndmask_b32_e64 v19, 0, v19, s[2:3]
	v_add_u32_e32 v18, v18, v19
	s_and_saveexec_b64 s[0:1], s[4:5]
	s_cbranch_execz .LBB1314_329
; %bb.328:
	v_lshlrev_b32_e32 v19, 2, v38
	ds_write_b32 v19, v18
.LBB1314_329:
	s_or_b64 exec, exec, s[0:1]
	v_cmp_gt_u32_e32 vcc, 8, v0
	s_waitcnt lgkmcnt(0)
	s_barrier
	s_and_saveexec_b64 s[0:1], vcc
	s_cbranch_execz .LBB1314_331
; %bb.330:
	v_lshlrev_b32_e32 v19, 2, v0
	ds_read_b32 v20, v19
	v_and_b32_e32 v21, 7, v37
	v_cmp_ne_u32_e32 vcc, 0, v21
	s_waitcnt lgkmcnt(0)
	v_mov_b32_dpp v22, v20 row_shr:1 row_mask:0xf bank_mask:0xf
	v_cndmask_b32_e32 v22, 0, v22, vcc
	v_add_u32_e32 v20, v22, v20
	v_cmp_lt_u32_e32 vcc, 1, v21
	s_nop 0
	v_mov_b32_dpp v22, v20 row_shr:2 row_mask:0xf bank_mask:0xf
	v_cndmask_b32_e32 v22, 0, v22, vcc
	v_add_u32_e32 v20, v20, v22
	v_cmp_lt_u32_e32 vcc, 3, v21
	s_nop 0
	v_mov_b32_dpp v22, v20 row_shr:4 row_mask:0xf bank_mask:0xf
	v_cndmask_b32_e32 v21, 0, v22, vcc
	v_add_u32_e32 v20, v20, v21
	ds_write_b32 v19, v20
.LBB1314_331:
	s_or_b64 exec, exec, s[0:1]
	v_cmp_gt_u32_e32 vcc, 64, v0
	v_cmp_lt_u32_e64 s[0:1], 63, v0
	s_waitcnt lgkmcnt(0)
	s_barrier
	s_waitcnt lgkmcnt(0)
                                        ; implicit-def: $vgpr28
	s_and_saveexec_b64 s[16:17], s[0:1]
	s_cbranch_execz .LBB1314_333
; %bb.332:
	v_lshl_add_u32 v19, v38, 2, -4
	ds_read_b32 v28, v19
	s_waitcnt lgkmcnt(0)
	v_add_u32_e32 v18, v28, v18
.LBB1314_333:
	s_or_b64 exec, exec, s[16:17]
	v_add_u32_e32 v19, -1, v37
	v_and_b32_e32 v20, 64, v37
	v_cmp_lt_i32_e64 s[0:1], v19, v20
	v_cmp_eq_u32_e64 s[16:17], 0, v37
	s_nop 0
	v_cndmask_b32_e64 v19, v19, v37, s[0:1]
	v_lshlrev_b32_e32 v19, 2, v19
	ds_bpermute_b32 v30, v19, v18
	s_and_saveexec_b64 s[0:1], vcc
	s_cbranch_execz .LBB1314_356
; %bb.334:
	v_mov_b32_e32 v27, 0
	ds_read_b32 v18, v27 offset:28
	s_and_saveexec_b64 s[26:27], s[16:17]
	s_cbranch_execz .LBB1314_336
; %bb.335:
	s_add_i32 s28, s33, 64
	s_mov_b32 s29, 0
	s_lshl_b64 s[28:29], s[28:29], 3
	s_add_u32 s28, s30, s28
	v_mov_b32_e32 v19, 1
	s_addc_u32 s29, s31, s29
	s_waitcnt lgkmcnt(0)
	global_store_dwordx2 v27, v[18:19], s[28:29] sc1
.LBB1314_336:
	s_or_b64 exec, exec, s[26:27]
	v_xad_u32 v20, v37, -1, s33
	v_add_u32_e32 v26, 64, v20
	v_lshl_add_u64 v[22:23], v[26:27], 3, s[30:31]
	global_load_dwordx2 v[24:25], v[22:23], off sc1
	s_waitcnt vmcnt(0)
	v_cmp_eq_u16_sdwa s[28:29], v25, v27 src0_sel:BYTE_0 src1_sel:DWORD
	s_and_saveexec_b64 s[26:27], s[28:29]
	s_cbranch_execz .LBB1314_342
; %bb.337:
	s_mov_b32 s38, 1
	s_mov_b64 s[28:29], 0
	v_mov_b32_e32 v19, 0
.LBB1314_338:                           ; =>This Loop Header: Depth=1
                                        ;     Child Loop BB1314_339 Depth 2
	s_max_u32 s39, s38, 1
.LBB1314_339:                           ;   Parent Loop BB1314_338 Depth=1
                                        ; =>  This Inner Loop Header: Depth=2
	s_add_i32 s39, s39, -1
	s_cmp_eq_u32 s39, 0
	s_sleep 1
	s_cbranch_scc0 .LBB1314_339
; %bb.340:                              ;   in Loop: Header=BB1314_338 Depth=1
	global_load_dwordx2 v[24:25], v[22:23], off sc1
	s_cmp_lt_u32 s38, 32
	s_cselect_b64 s[40:41], -1, 0
	s_cmp_lg_u64 s[40:41], 0
	s_addc_u32 s38, s38, 0
	s_waitcnt vmcnt(0)
	v_cmp_ne_u16_sdwa s[40:41], v25, v19 src0_sel:BYTE_0 src1_sel:DWORD
	s_or_b64 s[28:29], s[40:41], s[28:29]
	s_andn2_b64 exec, exec, s[28:29]
	s_cbranch_execnz .LBB1314_338
; %bb.341:
	s_or_b64 exec, exec, s[28:29]
.LBB1314_342:
	s_or_b64 exec, exec, s[26:27]
	v_and_b32_e32 v32, 63, v37
	v_mov_b32_e32 v19, 2
	v_cmp_ne_u32_e32 vcc, 63, v32
	v_cmp_eq_u16_sdwa s[26:27], v25, v19 src0_sel:BYTE_0 src1_sel:DWORD
	v_lshlrev_b64 v[22:23], v37, -1
	v_addc_co_u32_e32 v27, vcc, 0, v37, vcc
	v_and_b32_e32 v21, s27, v23
	v_lshlrev_b32_e32 v34, 2, v27
	v_or_b32_e32 v21, 0x80000000, v21
	ds_bpermute_b32 v27, v34, v24
	v_and_b32_e32 v26, s26, v22
	v_ffbl_b32_e32 v21, v21
	v_add_u32_e32 v21, 32, v21
	v_ffbl_b32_e32 v26, v26
	v_min_u32_e32 v21, v26, v21
	v_cmp_lt_u32_e32 vcc, v32, v21
	v_add_u32_e32 v41, 2, v32
	v_add_u32_e32 v43, 4, v32
	s_waitcnt lgkmcnt(0)
	v_cndmask_b32_e32 v26, 0, v27, vcc
	v_cmp_gt_u32_e32 vcc, 62, v32
	v_add_u32_e32 v24, v26, v24
	v_add_u32_e32 v45, 8, v32
	v_cndmask_b32_e64 v26, 0, 1, vcc
	v_lshlrev_b32_e32 v26, 1, v26
	v_add_lshl_u32 v40, v26, v37, 2
	ds_bpermute_b32 v26, v40, v24
	v_cmp_le_u32_e32 vcc, v41, v21
	v_add_u32_e32 v48, 16, v32
	v_add_u32_e32 v50, 32, v32
	s_waitcnt lgkmcnt(0)
	v_cndmask_b32_e32 v26, 0, v26, vcc
	v_cmp_gt_u32_e32 vcc, 60, v32
	v_add_u32_e32 v24, v24, v26
	s_nop 0
	v_cndmask_b32_e64 v26, 0, 1, vcc
	v_lshlrev_b32_e32 v26, 2, v26
	v_add_lshl_u32 v42, v26, v37, 2
	ds_bpermute_b32 v26, v42, v24
	v_cmp_le_u32_e32 vcc, v43, v21
	s_waitcnt lgkmcnt(0)
	s_nop 0
	v_cndmask_b32_e32 v26, 0, v26, vcc
	v_cmp_gt_u32_e32 vcc, 56, v32
	v_add_u32_e32 v24, v24, v26
	s_nop 0
	v_cndmask_b32_e64 v26, 0, 1, vcc
	v_lshlrev_b32_e32 v26, 3, v26
	v_add_lshl_u32 v44, v26, v37, 2
	ds_bpermute_b32 v26, v44, v24
	v_cmp_le_u32_e32 vcc, v45, v21
	s_waitcnt lgkmcnt(0)
	s_nop 0
	;; [unrolled: 11-line block ×4, first 2 shown]
	v_cndmask_b32_e32 v21, 0, v26, vcc
	v_add_u32_e32 v24, v24, v21
	v_mov_b32_e32 v21, 0
	s_branch .LBB1314_344
.LBB1314_343:                           ;   in Loop: Header=BB1314_344 Depth=1
	s_or_b64 exec, exec, s[26:27]
	v_cmp_eq_u16_sdwa s[26:27], v25, v19 src0_sel:BYTE_0 src1_sel:DWORD
	ds_bpermute_b32 v51, v34, v24
	v_subrev_u32_e32 v20, 64, v20
	v_and_b32_e32 v26, s27, v23
	v_or_b32_e32 v26, 0x80000000, v26
	v_and_b32_e32 v27, s26, v22
	v_ffbl_b32_e32 v26, v26
	v_add_u32_e32 v26, 32, v26
	v_ffbl_b32_e32 v27, v27
	v_min_u32_e32 v26, v27, v26
	v_cmp_lt_u32_e32 vcc, v32, v26
	s_waitcnt lgkmcnt(0)
	s_nop 0
	v_cndmask_b32_e32 v27, 0, v51, vcc
	v_add_u32_e32 v24, v27, v24
	ds_bpermute_b32 v27, v40, v24
	v_cmp_le_u32_e32 vcc, v41, v26
	s_waitcnt lgkmcnt(0)
	s_nop 0
	v_cndmask_b32_e32 v27, 0, v27, vcc
	v_add_u32_e32 v24, v24, v27
	ds_bpermute_b32 v27, v42, v24
	v_cmp_le_u32_e32 vcc, v43, v26
	;; [unrolled: 6-line block ×5, first 2 shown]
	s_waitcnt lgkmcnt(0)
	s_nop 0
	v_cndmask_b32_e32 v26, 0, v27, vcc
	v_add3_u32 v24, v26, v46, v24
.LBB1314_344:                           ; =>This Loop Header: Depth=1
                                        ;     Child Loop BB1314_347 Depth 2
                                        ;       Child Loop BB1314_348 Depth 3
	v_cmp_ne_u16_sdwa s[26:27], v25, v19 src0_sel:BYTE_0 src1_sel:DWORD
	v_mov_b32_e32 v46, v24
	s_nop 0
	v_cndmask_b32_e64 v25, 0, 1, s[26:27]
	;;#ASMSTART
	;;#ASMEND
	s_nop 0
	v_cmp_ne_u32_e32 vcc, 0, v25
	s_cmp_lg_u64 vcc, exec
	s_cbranch_scc1 .LBB1314_351
; %bb.345:                              ;   in Loop: Header=BB1314_344 Depth=1
	v_lshl_add_u64 v[26:27], v[20:21], 3, s[30:31]
	global_load_dwordx2 v[24:25], v[26:27], off sc1
	s_waitcnt vmcnt(0)
	v_cmp_eq_u16_sdwa s[28:29], v25, v21 src0_sel:BYTE_0 src1_sel:DWORD
	s_and_saveexec_b64 s[26:27], s[28:29]
	s_cbranch_execz .LBB1314_343
; %bb.346:                              ;   in Loop: Header=BB1314_344 Depth=1
	s_mov_b32 s38, 1
	s_mov_b64 s[28:29], 0
.LBB1314_347:                           ;   Parent Loop BB1314_344 Depth=1
                                        ; =>  This Loop Header: Depth=2
                                        ;       Child Loop BB1314_348 Depth 3
	s_max_u32 s39, s38, 1
.LBB1314_348:                           ;   Parent Loop BB1314_344 Depth=1
                                        ;     Parent Loop BB1314_347 Depth=2
                                        ; =>    This Inner Loop Header: Depth=3
	s_add_i32 s39, s39, -1
	s_cmp_eq_u32 s39, 0
	s_sleep 1
	s_cbranch_scc0 .LBB1314_348
; %bb.349:                              ;   in Loop: Header=BB1314_347 Depth=2
	global_load_dwordx2 v[24:25], v[26:27], off sc1
	s_cmp_lt_u32 s38, 32
	s_cselect_b64 s[40:41], -1, 0
	s_cmp_lg_u64 s[40:41], 0
	s_addc_u32 s38, s38, 0
	s_waitcnt vmcnt(0)
	v_cmp_ne_u16_sdwa s[40:41], v25, v21 src0_sel:BYTE_0 src1_sel:DWORD
	s_or_b64 s[28:29], s[40:41], s[28:29]
	s_andn2_b64 exec, exec, s[28:29]
	s_cbranch_execnz .LBB1314_347
; %bb.350:                              ;   in Loop: Header=BB1314_344 Depth=1
	s_or_b64 exec, exec, s[28:29]
	s_branch .LBB1314_343
.LBB1314_351:                           ;   in Loop: Header=BB1314_344 Depth=1
                                        ; implicit-def: $vgpr24
                                        ; implicit-def: $vgpr25
	s_cbranch_execz .LBB1314_344
; %bb.352:
	s_and_saveexec_b64 s[26:27], s[16:17]
	s_cbranch_execz .LBB1314_354
; %bb.353:
	s_add_i32 s28, s33, 64
	s_mov_b32 s29, 0
	s_lshl_b64 s[28:29], s[28:29], 3
	s_add_u32 s28, s30, s28
	v_add_u32_e32 v20, v46, v18
	v_mov_b32_e32 v21, 2
	s_addc_u32 s29, s31, s29
	v_mov_b32_e32 v19, 0
	global_store_dwordx2 v19, v[20:21], s[28:29] sc1
	s_movk_i32 s28, 0x7000
	v_add_u32_e64 v19, s28, 0
	ds_write2_b32 v19, v18, v46 offset1:2
.LBB1314_354:
	s_or_b64 exec, exec, s[26:27]
	s_and_b64 exec, exec, s[18:19]
	s_cbranch_execz .LBB1314_356
; %bb.355:
	v_mov_b32_e32 v18, 0
	ds_write_b32 v18, v46 offset:28
.LBB1314_356:
	s_or_b64 exec, exec, s[0:1]
	v_mov_b32_e32 v18, 0
	s_waitcnt lgkmcnt(0)
	s_barrier
	ds_read_b32 v18, v18 offset:28
	v_cndmask_b32_e64 v19, v30, v28, s[16:17]
	v_cndmask_b32_e64 v19, v19, 0, s[18:19]
	s_movk_i32 s0, 0x7000
	s_waitcnt lgkmcnt(0)
	v_add_u32_e32 v34, v18, v19
	v_add_u32_e32 v32, v34, v1
	v_add_u32_e64 v18, s0, 0
	v_add_u32_e32 v30, v32, v29
	s_barrier
	ds_read2_b32 v[18:19], v18 offset1:2
	v_add_u32_e32 v28, v30, v31
	v_add_u32_e32 v26, v28, v33
	;; [unrolled: 1-line block ×4, first 2 shown]
	v_lshrrev_b64 v[20:21], 24, v[16:17]
	s_branch .LBB1314_367
.LBB1314_357:
                                        ; implicit-def: $vgpr22
                                        ; implicit-def: $vgpr24
                                        ; implicit-def: $vgpr26
                                        ; implicit-def: $vgpr28
                                        ; implicit-def: $vgpr30
                                        ; implicit-def: $vgpr32
                                        ; implicit-def: $vgpr34
                                        ; implicit-def: $vgpr19
	v_lshrrev_b64 v[20:21], 24, v[16:17]
	s_cbranch_execz .LBB1314_367
; %bb.358:
	s_waitcnt lgkmcnt(0)
	v_mov_b32_dpp v18, v39 row_shr:1 row_mask:0xf bank_mask:0xf
	v_cndmask_b32_e64 v18, v18, 0, s[14:15]
	v_add_u32_e32 v18, v18, v39
	s_nop 1
	v_mov_b32_dpp v19, v18 row_shr:2 row_mask:0xf bank_mask:0xf
	v_cndmask_b32_e64 v19, 0, v19, s[12:13]
	v_add_u32_e32 v18, v18, v19
	s_nop 1
	;; [unrolled: 4-line block ×4, first 2 shown]
	v_mov_b32_dpp v19, v18 row_bcast:15 row_mask:0xf bank_mask:0xf
	v_cndmask_b32_e64 v19, v19, 0, s[6:7]
	v_add_u32_e32 v18, v18, v19
	s_nop 1
	v_mov_b32_dpp v19, v18 row_bcast:31 row_mask:0xf bank_mask:0xf
	v_cndmask_b32_e64 v19, 0, v19, s[2:3]
	v_add_u32_e32 v18, v18, v19
	s_and_saveexec_b64 s[0:1], s[4:5]
	s_cbranch_execz .LBB1314_360
; %bb.359:
	v_lshlrev_b32_e32 v19, 2, v38
	ds_write_b32 v19, v18
.LBB1314_360:
	s_or_b64 exec, exec, s[0:1]
	v_cmp_gt_u32_e32 vcc, 8, v0
	s_waitcnt lgkmcnt(0)
	s_barrier
	s_and_saveexec_b64 s[0:1], vcc
	s_cbranch_execz .LBB1314_362
; %bb.361:
	v_lshlrev_b32_e32 v19, 2, v0
	ds_read_b32 v21, v19
	v_and_b32_e32 v22, 7, v37
	v_cmp_ne_u32_e32 vcc, 0, v22
	s_waitcnt lgkmcnt(0)
	v_mov_b32_dpp v23, v21 row_shr:1 row_mask:0xf bank_mask:0xf
	v_cndmask_b32_e32 v23, 0, v23, vcc
	v_add_u32_e32 v21, v23, v21
	v_cmp_lt_u32_e32 vcc, 1, v22
	s_nop 0
	v_mov_b32_dpp v23, v21 row_shr:2 row_mask:0xf bank_mask:0xf
	v_cndmask_b32_e32 v23, 0, v23, vcc
	v_add_u32_e32 v21, v21, v23
	v_cmp_lt_u32_e32 vcc, 3, v22
	s_nop 0
	v_mov_b32_dpp v23, v21 row_shr:4 row_mask:0xf bank_mask:0xf
	v_cndmask_b32_e32 v22, 0, v23, vcc
	v_add_u32_e32 v21, v21, v22
	ds_write_b32 v19, v21
.LBB1314_362:
	s_or_b64 exec, exec, s[0:1]
	v_cmp_lt_u32_e32 vcc, 63, v0
	v_mov_b32_e32 v19, 0
	v_mov_b32_e32 v21, 0
	s_waitcnt lgkmcnt(0)
	s_barrier
	s_and_saveexec_b64 s[0:1], vcc
	s_cbranch_execz .LBB1314_364
; %bb.363:
	v_lshl_add_u32 v21, v38, 2, -4
	ds_read_b32 v21, v21
.LBB1314_364:
	s_or_b64 exec, exec, s[0:1]
	v_add_u32_e32 v22, -1, v37
	v_and_b32_e32 v23, 64, v37
	v_cmp_lt_i32_e32 vcc, v22, v23
	s_waitcnt lgkmcnt(0)
	v_add_u32_e32 v18, v21, v18
	v_cndmask_b32_e32 v22, v22, v37, vcc
	v_lshlrev_b32_e32 v22, 2, v22
	ds_bpermute_b32 v22, v22, v18
	ds_read_b32 v18, v19 offset:28
	s_and_saveexec_b64 s[0:1], s[18:19]
	s_cbranch_execz .LBB1314_366
; %bb.365:
	v_mov_b32_e32 v23, 0
	v_mov_b32_e32 v19, 2
	s_waitcnt lgkmcnt(0)
	global_store_dwordx2 v23, v[18:19], s[30:31] offset:512 sc1
.LBB1314_366:
	s_or_b64 exec, exec, s[0:1]
	v_cmp_eq_u32_e32 vcc, 0, v37
	v_mov_b32_e32 v19, 0
	s_waitcnt lgkmcnt(0)
	v_cndmask_b32_e32 v21, v22, v21, vcc
	v_cndmask_b32_e64 v34, v21, 0, s[18:19]
	v_add_u32_e32 v32, v34, v1
	v_add_u32_e32 v30, v32, v29
	;; [unrolled: 1-line block ×6, first 2 shown]
	s_barrier
.LBB1314_367:
	s_movk_i32 s0, 0x201
	s_waitcnt lgkmcnt(0)
	v_cmp_gt_u32_e32 vcc, s0, v18
	v_lshrrev_b32_e32 v21, 8, v16
	v_lshrrev_b32_e32 v1, 8, v17
	s_mov_b64 s[0:1], -1
	s_cbranch_vccnz .LBB1314_371
; %bb.368:
	s_and_b64 vcc, exec, s[0:1]
	s_cbranch_vccnz .LBB1314_393
.LBB1314_369:
	s_and_b64 s[0:1], s[18:19], s[24:25]
	s_and_saveexec_b64 s[2:3], s[0:1]
	s_cbranch_execnz .LBB1314_411
.LBB1314_370:
	s_endpgm
.LBB1314_371:
	v_add_u32_e32 v23, v19, v18
	v_cmp_lt_u32_e32 vcc, v34, v23
	s_or_b64 s[2:3], s[36:37], vcc
	s_and_saveexec_b64 s[0:1], s[2:3]
	s_cbranch_execz .LBB1314_374
; %bb.372:
	v_and_b32_e32 v25, 1, v16
	v_cmp_eq_u32_e32 vcc, 1, v25
	s_and_b64 exec, exec, vcc
	s_cbranch_execz .LBB1314_374
; %bb.373:
	s_lshl_b64 s[2:3], s[22:23], 3
	s_add_u32 s2, s34, s2
	s_addc_u32 s3, s35, s3
	v_mov_b32_e32 v35, 0
	v_lshl_add_u64 v[36:37], v[34:35], 3, s[2:3]
	global_store_dwordx2 v[36:37], v[10:11], off
.LBB1314_374:
	s_or_b64 exec, exec, s[0:1]
	v_cmp_lt_u32_e32 vcc, v32, v23
	s_or_b64 s[2:3], s[36:37], vcc
	s_and_saveexec_b64 s[0:1], s[2:3]
	s_cbranch_execz .LBB1314_377
; %bb.375:
	v_and_b32_e32 v25, 1, v21
	v_cmp_eq_u32_e32 vcc, 1, v25
	s_and_b64 exec, exec, vcc
	s_cbranch_execz .LBB1314_377
; %bb.376:
	s_lshl_b64 s[2:3], s[22:23], 3
	s_add_u32 s2, s34, s2
	s_addc_u32 s3, s35, s3
	v_mov_b32_e32 v33, 0
	v_lshl_add_u64 v[36:37], v[32:33], 3, s[2:3]
	global_store_dwordx2 v[36:37], v[12:13], off
.LBB1314_377:
	s_or_b64 exec, exec, s[0:1]
	v_cmp_lt_u32_e32 vcc, v30, v23
	s_or_b64 s[2:3], s[36:37], vcc
	s_and_saveexec_b64 s[0:1], s[2:3]
	s_cbranch_execz .LBB1314_380
; %bb.378:
	v_mov_b32_e32 v25, 1
	v_and_b32_sdwa v25, v25, v16 dst_sel:DWORD dst_unused:UNUSED_PAD src0_sel:DWORD src1_sel:WORD_1
	v_cmp_eq_u32_e32 vcc, 1, v25
	s_and_b64 exec, exec, vcc
	s_cbranch_execz .LBB1314_380
; %bb.379:
	s_lshl_b64 s[2:3], s[22:23], 3
	s_add_u32 s2, s34, s2
	s_addc_u32 s3, s35, s3
	v_mov_b32_e32 v31, 0
	v_lshl_add_u64 v[36:37], v[30:31], 3, s[2:3]
	global_store_dwordx2 v[36:37], v[6:7], off
.LBB1314_380:
	s_or_b64 exec, exec, s[0:1]
	v_cmp_lt_u32_e32 vcc, v28, v23
	s_or_b64 s[2:3], s[36:37], vcc
	s_and_saveexec_b64 s[0:1], s[2:3]
	s_cbranch_execz .LBB1314_383
; %bb.381:
	v_and_b32_e32 v25, 1, v20
	v_cmp_eq_u32_e32 vcc, 1, v25
	s_and_b64 exec, exec, vcc
	s_cbranch_execz .LBB1314_383
; %bb.382:
	s_lshl_b64 s[2:3], s[22:23], 3
	s_add_u32 s2, s34, s2
	s_addc_u32 s3, s35, s3
	v_mov_b32_e32 v29, 0
	v_lshl_add_u64 v[36:37], v[28:29], 3, s[2:3]
	global_store_dwordx2 v[36:37], v[8:9], off
.LBB1314_383:
	s_or_b64 exec, exec, s[0:1]
	v_cmp_lt_u32_e32 vcc, v26, v23
	s_or_b64 s[2:3], s[36:37], vcc
	s_and_saveexec_b64 s[0:1], s[2:3]
	s_cbranch_execz .LBB1314_386
; %bb.384:
	v_and_b32_e32 v25, 1, v17
	v_cmp_eq_u32_e32 vcc, 1, v25
	s_and_b64 exec, exec, vcc
	s_cbranch_execz .LBB1314_386
; %bb.385:
	s_lshl_b64 s[2:3], s[22:23], 3
	s_add_u32 s2, s34, s2
	s_addc_u32 s3, s35, s3
	v_mov_b32_e32 v27, 0
	v_lshl_add_u64 v[36:37], v[26:27], 3, s[2:3]
	global_store_dwordx2 v[36:37], v[2:3], off
.LBB1314_386:
	;; [unrolled: 18-line block ×3, first 2 shown]
	s_or_b64 exec, exec, s[0:1]
	v_cmp_lt_u32_e32 vcc, v22, v23
	s_or_b64 s[2:3], s[36:37], vcc
	s_and_saveexec_b64 s[0:1], s[2:3]
	s_cbranch_execz .LBB1314_392
; %bb.390:
	v_mov_b32_e32 v23, 1
	v_and_b32_sdwa v23, v23, v17 dst_sel:DWORD dst_unused:UNUSED_PAD src0_sel:DWORD src1_sel:WORD_1
	v_cmp_eq_u32_e32 vcc, 1, v23
	s_and_b64 exec, exec, vcc
	s_cbranch_execz .LBB1314_392
; %bb.391:
	s_lshl_b64 s[2:3], s[22:23], 3
	s_add_u32 s2, s34, s2
	s_addc_u32 s3, s35, s3
	v_mov_b32_e32 v23, 0
	v_lshl_add_u64 v[36:37], v[22:23], 3, s[2:3]
	global_store_dwordx2 v[36:37], v[14:15], off
.LBB1314_392:
	s_or_b64 exec, exec, s[0:1]
	s_branch .LBB1314_369
.LBB1314_393:
	v_and_b32_e32 v23, 1, v16
	v_cmp_eq_u32_e32 vcc, 1, v23
	s_and_saveexec_b64 s[0:1], vcc
	s_cbranch_execz .LBB1314_395
; %bb.394:
	v_sub_u32_e32 v23, v34, v19
	v_lshlrev_b32_e32 v23, 3, v23
	ds_write_b64 v23, v[10:11]
.LBB1314_395:
	s_or_b64 exec, exec, s[0:1]
	v_and_b32_e32 v10, 1, v21
	v_cmp_eq_u32_e32 vcc, 1, v10
	s_and_saveexec_b64 s[0:1], vcc
	s_cbranch_execz .LBB1314_397
; %bb.396:
	v_sub_u32_e32 v10, v32, v19
	v_lshlrev_b32_e32 v10, 3, v10
	ds_write_b64 v10, v[12:13]
.LBB1314_397:
	s_or_b64 exec, exec, s[0:1]
	v_mov_b32_e32 v10, 1
	v_and_b32_sdwa v10, v10, v16 dst_sel:DWORD dst_unused:UNUSED_PAD src0_sel:DWORD src1_sel:WORD_1
	v_cmp_eq_u32_e32 vcc, 1, v10
	s_and_saveexec_b64 s[0:1], vcc
	s_cbranch_execz .LBB1314_399
; %bb.398:
	v_sub_u32_e32 v10, v30, v19
	v_lshlrev_b32_e32 v10, 3, v10
	ds_write_b64 v10, v[6:7]
.LBB1314_399:
	s_or_b64 exec, exec, s[0:1]
	v_and_b32_e32 v6, 1, v20
	v_cmp_eq_u32_e32 vcc, 1, v6
	s_and_saveexec_b64 s[0:1], vcc
	s_cbranch_execz .LBB1314_401
; %bb.400:
	v_sub_u32_e32 v6, v28, v19
	v_lshlrev_b32_e32 v6, 3, v6
	ds_write_b64 v6, v[8:9]
.LBB1314_401:
	s_or_b64 exec, exec, s[0:1]
	v_and_b32_e32 v6, 1, v17
	;; [unrolled: 10-line block ×3, first 2 shown]
	v_cmp_eq_u32_e32 vcc, 1, v1
	s_and_saveexec_b64 s[0:1], vcc
	s_cbranch_execz .LBB1314_405
; %bb.404:
	v_sub_u32_e32 v1, v24, v19
	v_lshlrev_b32_e32 v1, 3, v1
	ds_write_b64 v1, v[4:5]
.LBB1314_405:
	s_or_b64 exec, exec, s[0:1]
	v_mov_b32_e32 v1, 1
	v_and_b32_sdwa v1, v1, v17 dst_sel:DWORD dst_unused:UNUSED_PAD src0_sel:DWORD src1_sel:WORD_1
	v_cmp_eq_u32_e32 vcc, 1, v1
	s_and_saveexec_b64 s[0:1], vcc
	s_cbranch_execz .LBB1314_407
; %bb.406:
	v_sub_u32_e32 v1, v22, v19
	v_lshlrev_b32_e32 v1, 3, v1
	ds_write_b64 v1, v[14:15]
.LBB1314_407:
	s_or_b64 exec, exec, s[0:1]
	v_cmp_lt_u32_e32 vcc, v0, v18
	s_waitcnt lgkmcnt(0)
	s_barrier
	s_and_saveexec_b64 s[0:1], vcc
	s_cbranch_execz .LBB1314_410
; %bb.408:
	v_mov_b32_e32 v5, 0
	v_mov_b32_e32 v4, v19
	s_lshl_b64 s[2:3], s[22:23], 3
	v_lshlrev_b64 v[6:7], 3, v[4:5]
	v_lshl_add_u64 v[6:7], s[2:3], 0, v[6:7]
	v_lshlrev_b32_e32 v2, 3, v0
	v_mov_b32_e32 v3, v5
	v_lshl_add_u64 v[4:5], s[34:35], 0, v[6:7]
	v_lshl_add_u64 v[4:5], v[4:5], 0, v[2:3]
	s_mov_b64 s[2:3], 0
	s_mov_b64 s[4:5], 0x1000
.LBB1314_409:                           ; =>This Inner Loop Header: Depth=1
	ds_read_b64 v[6:7], v2
	v_add_u32_e32 v0, 0x200, v0
	v_cmp_ge_u32_e32 vcc, v0, v18
	v_add_u32_e32 v2, 0x1000, v2
	s_or_b64 s[2:3], vcc, s[2:3]
	s_waitcnt lgkmcnt(0)
	global_store_dwordx2 v[4:5], v[6:7], off
	v_lshl_add_u64 v[4:5], v[4:5], 0, s[4:5]
	s_andn2_b64 exec, exec, s[2:3]
	s_cbranch_execnz .LBB1314_409
.LBB1314_410:
	s_or_b64 exec, exec, s[0:1]
	s_and_b64 s[0:1], s[18:19], s[24:25]
	s_and_saveexec_b64 s[2:3], s[0:1]
	s_cbranch_execz .LBB1314_370
.LBB1314_411:
	v_mov_b32_e32 v1, 0
	v_mov_b32_e32 v0, v18
	v_lshl_add_u64 v[2:3], s[22:23], 0, v[0:1]
	v_mov_b32_e32 v0, v19
	v_lshl_add_u64 v[2:3], v[2:3], 0, v[0:1]
	global_store_dwordx2 v1, v[2:3], s[20:21]
	s_endpgm
	.section	.rodata,"a",@progbits
	.p2align	6, 0x0
	.amdhsa_kernel _ZN7rocprim17ROCPRIM_400000_NS6detail17trampoline_kernelINS0_14default_configENS1_25partition_config_selectorILNS1_17partition_subalgoE8ElNS0_10empty_typeEbEEZZNS1_14partition_implILS5_8ELb0ES3_jPlPS6_PKS6_NS0_5tupleIJS9_S6_EEENSD_IJSA_SA_EEENS0_18inequality_wrapperIZN2at6native12_GLOBAL__N_124unique_dim_cuda_templateIN3c104HalfEEESt5tupleIJNSH_6TensorESO_SO_EERKSO_lbbbEUlllE0_EEPmJS6_EEE10hipError_tPvRmT3_T4_T5_T6_T7_T9_mT8_P12ihipStream_tbDpT10_ENKUlT_T0_E_clISt17integral_constantIbLb1EES1E_EEDaS19_S1A_EUlS19_E_NS1_11comp_targetILNS1_3genE5ELNS1_11target_archE942ELNS1_3gpuE9ELNS1_3repE0EEENS1_30default_config_static_selectorELNS0_4arch9wavefront6targetE1EEEvT1_
		.amdhsa_group_segment_fixed_size 28684
		.amdhsa_private_segment_fixed_size 0
		.amdhsa_kernarg_size 136
		.amdhsa_user_sgpr_count 2
		.amdhsa_user_sgpr_dispatch_ptr 0
		.amdhsa_user_sgpr_queue_ptr 0
		.amdhsa_user_sgpr_kernarg_segment_ptr 1
		.amdhsa_user_sgpr_dispatch_id 0
		.amdhsa_user_sgpr_kernarg_preload_length 0
		.amdhsa_user_sgpr_kernarg_preload_offset 0
		.amdhsa_user_sgpr_private_segment_size 0
		.amdhsa_uses_dynamic_stack 0
		.amdhsa_enable_private_segment 0
		.amdhsa_system_sgpr_workgroup_id_x 1
		.amdhsa_system_sgpr_workgroup_id_y 0
		.amdhsa_system_sgpr_workgroup_id_z 0
		.amdhsa_system_sgpr_workgroup_info 0
		.amdhsa_system_vgpr_workitem_id 0
		.amdhsa_next_free_vgpr 52
		.amdhsa_next_free_sgpr 56
		.amdhsa_accum_offset 52
		.amdhsa_reserve_vcc 1
		.amdhsa_float_round_mode_32 0
		.amdhsa_float_round_mode_16_64 0
		.amdhsa_float_denorm_mode_32 3
		.amdhsa_float_denorm_mode_16_64 3
		.amdhsa_dx10_clamp 1
		.amdhsa_ieee_mode 1
		.amdhsa_fp16_overflow 0
		.amdhsa_tg_split 0
		.amdhsa_exception_fp_ieee_invalid_op 0
		.amdhsa_exception_fp_denorm_src 0
		.amdhsa_exception_fp_ieee_div_zero 0
		.amdhsa_exception_fp_ieee_overflow 0
		.amdhsa_exception_fp_ieee_underflow 0
		.amdhsa_exception_fp_ieee_inexact 0
		.amdhsa_exception_int_div_zero 0
	.end_amdhsa_kernel
	.section	.text._ZN7rocprim17ROCPRIM_400000_NS6detail17trampoline_kernelINS0_14default_configENS1_25partition_config_selectorILNS1_17partition_subalgoE8ElNS0_10empty_typeEbEEZZNS1_14partition_implILS5_8ELb0ES3_jPlPS6_PKS6_NS0_5tupleIJS9_S6_EEENSD_IJSA_SA_EEENS0_18inequality_wrapperIZN2at6native12_GLOBAL__N_124unique_dim_cuda_templateIN3c104HalfEEESt5tupleIJNSH_6TensorESO_SO_EERKSO_lbbbEUlllE0_EEPmJS6_EEE10hipError_tPvRmT3_T4_T5_T6_T7_T9_mT8_P12ihipStream_tbDpT10_ENKUlT_T0_E_clISt17integral_constantIbLb1EES1E_EEDaS19_S1A_EUlS19_E_NS1_11comp_targetILNS1_3genE5ELNS1_11target_archE942ELNS1_3gpuE9ELNS1_3repE0EEENS1_30default_config_static_selectorELNS0_4arch9wavefront6targetE1EEEvT1_,"axG",@progbits,_ZN7rocprim17ROCPRIM_400000_NS6detail17trampoline_kernelINS0_14default_configENS1_25partition_config_selectorILNS1_17partition_subalgoE8ElNS0_10empty_typeEbEEZZNS1_14partition_implILS5_8ELb0ES3_jPlPS6_PKS6_NS0_5tupleIJS9_S6_EEENSD_IJSA_SA_EEENS0_18inequality_wrapperIZN2at6native12_GLOBAL__N_124unique_dim_cuda_templateIN3c104HalfEEESt5tupleIJNSH_6TensorESO_SO_EERKSO_lbbbEUlllE0_EEPmJS6_EEE10hipError_tPvRmT3_T4_T5_T6_T7_T9_mT8_P12ihipStream_tbDpT10_ENKUlT_T0_E_clISt17integral_constantIbLb1EES1E_EEDaS19_S1A_EUlS19_E_NS1_11comp_targetILNS1_3genE5ELNS1_11target_archE942ELNS1_3gpuE9ELNS1_3repE0EEENS1_30default_config_static_selectorELNS0_4arch9wavefront6targetE1EEEvT1_,comdat
.Lfunc_end1314:
	.size	_ZN7rocprim17ROCPRIM_400000_NS6detail17trampoline_kernelINS0_14default_configENS1_25partition_config_selectorILNS1_17partition_subalgoE8ElNS0_10empty_typeEbEEZZNS1_14partition_implILS5_8ELb0ES3_jPlPS6_PKS6_NS0_5tupleIJS9_S6_EEENSD_IJSA_SA_EEENS0_18inequality_wrapperIZN2at6native12_GLOBAL__N_124unique_dim_cuda_templateIN3c104HalfEEESt5tupleIJNSH_6TensorESO_SO_EERKSO_lbbbEUlllE0_EEPmJS6_EEE10hipError_tPvRmT3_T4_T5_T6_T7_T9_mT8_P12ihipStream_tbDpT10_ENKUlT_T0_E_clISt17integral_constantIbLb1EES1E_EEDaS19_S1A_EUlS19_E_NS1_11comp_targetILNS1_3genE5ELNS1_11target_archE942ELNS1_3gpuE9ELNS1_3repE0EEENS1_30default_config_static_selectorELNS0_4arch9wavefront6targetE1EEEvT1_, .Lfunc_end1314-_ZN7rocprim17ROCPRIM_400000_NS6detail17trampoline_kernelINS0_14default_configENS1_25partition_config_selectorILNS1_17partition_subalgoE8ElNS0_10empty_typeEbEEZZNS1_14partition_implILS5_8ELb0ES3_jPlPS6_PKS6_NS0_5tupleIJS9_S6_EEENSD_IJSA_SA_EEENS0_18inequality_wrapperIZN2at6native12_GLOBAL__N_124unique_dim_cuda_templateIN3c104HalfEEESt5tupleIJNSH_6TensorESO_SO_EERKSO_lbbbEUlllE0_EEPmJS6_EEE10hipError_tPvRmT3_T4_T5_T6_T7_T9_mT8_P12ihipStream_tbDpT10_ENKUlT_T0_E_clISt17integral_constantIbLb1EES1E_EEDaS19_S1A_EUlS19_E_NS1_11comp_targetILNS1_3genE5ELNS1_11target_archE942ELNS1_3gpuE9ELNS1_3repE0EEENS1_30default_config_static_selectorELNS0_4arch9wavefront6targetE1EEEvT1_
                                        ; -- End function
	.section	.AMDGPU.csdata,"",@progbits
; Kernel info:
; codeLenInByte = 13124
; NumSgprs: 62
; NumVgprs: 52
; NumAgprs: 0
; TotalNumVgprs: 52
; ScratchSize: 0
; MemoryBound: 0
; FloatMode: 240
; IeeeMode: 1
; LDSByteSize: 28684 bytes/workgroup (compile time only)
; SGPRBlocks: 7
; VGPRBlocks: 6
; NumSGPRsForWavesPerEU: 62
; NumVGPRsForWavesPerEU: 52
; AccumOffset: 52
; Occupancy: 4
; WaveLimiterHint : 1
; COMPUTE_PGM_RSRC2:SCRATCH_EN: 0
; COMPUTE_PGM_RSRC2:USER_SGPR: 2
; COMPUTE_PGM_RSRC2:TRAP_HANDLER: 0
; COMPUTE_PGM_RSRC2:TGID_X_EN: 1
; COMPUTE_PGM_RSRC2:TGID_Y_EN: 0
; COMPUTE_PGM_RSRC2:TGID_Z_EN: 0
; COMPUTE_PGM_RSRC2:TIDIG_COMP_CNT: 0
; COMPUTE_PGM_RSRC3_GFX90A:ACCUM_OFFSET: 12
; COMPUTE_PGM_RSRC3_GFX90A:TG_SPLIT: 0
	.section	.text._ZN7rocprim17ROCPRIM_400000_NS6detail17trampoline_kernelINS0_14default_configENS1_25partition_config_selectorILNS1_17partition_subalgoE8ElNS0_10empty_typeEbEEZZNS1_14partition_implILS5_8ELb0ES3_jPlPS6_PKS6_NS0_5tupleIJS9_S6_EEENSD_IJSA_SA_EEENS0_18inequality_wrapperIZN2at6native12_GLOBAL__N_124unique_dim_cuda_templateIN3c104HalfEEESt5tupleIJNSH_6TensorESO_SO_EERKSO_lbbbEUlllE0_EEPmJS6_EEE10hipError_tPvRmT3_T4_T5_T6_T7_T9_mT8_P12ihipStream_tbDpT10_ENKUlT_T0_E_clISt17integral_constantIbLb1EES1E_EEDaS19_S1A_EUlS19_E_NS1_11comp_targetILNS1_3genE4ELNS1_11target_archE910ELNS1_3gpuE8ELNS1_3repE0EEENS1_30default_config_static_selectorELNS0_4arch9wavefront6targetE1EEEvT1_,"axG",@progbits,_ZN7rocprim17ROCPRIM_400000_NS6detail17trampoline_kernelINS0_14default_configENS1_25partition_config_selectorILNS1_17partition_subalgoE8ElNS0_10empty_typeEbEEZZNS1_14partition_implILS5_8ELb0ES3_jPlPS6_PKS6_NS0_5tupleIJS9_S6_EEENSD_IJSA_SA_EEENS0_18inequality_wrapperIZN2at6native12_GLOBAL__N_124unique_dim_cuda_templateIN3c104HalfEEESt5tupleIJNSH_6TensorESO_SO_EERKSO_lbbbEUlllE0_EEPmJS6_EEE10hipError_tPvRmT3_T4_T5_T6_T7_T9_mT8_P12ihipStream_tbDpT10_ENKUlT_T0_E_clISt17integral_constantIbLb1EES1E_EEDaS19_S1A_EUlS19_E_NS1_11comp_targetILNS1_3genE4ELNS1_11target_archE910ELNS1_3gpuE8ELNS1_3repE0EEENS1_30default_config_static_selectorELNS0_4arch9wavefront6targetE1EEEvT1_,comdat
	.globl	_ZN7rocprim17ROCPRIM_400000_NS6detail17trampoline_kernelINS0_14default_configENS1_25partition_config_selectorILNS1_17partition_subalgoE8ElNS0_10empty_typeEbEEZZNS1_14partition_implILS5_8ELb0ES3_jPlPS6_PKS6_NS0_5tupleIJS9_S6_EEENSD_IJSA_SA_EEENS0_18inequality_wrapperIZN2at6native12_GLOBAL__N_124unique_dim_cuda_templateIN3c104HalfEEESt5tupleIJNSH_6TensorESO_SO_EERKSO_lbbbEUlllE0_EEPmJS6_EEE10hipError_tPvRmT3_T4_T5_T6_T7_T9_mT8_P12ihipStream_tbDpT10_ENKUlT_T0_E_clISt17integral_constantIbLb1EES1E_EEDaS19_S1A_EUlS19_E_NS1_11comp_targetILNS1_3genE4ELNS1_11target_archE910ELNS1_3gpuE8ELNS1_3repE0EEENS1_30default_config_static_selectorELNS0_4arch9wavefront6targetE1EEEvT1_ ; -- Begin function _ZN7rocprim17ROCPRIM_400000_NS6detail17trampoline_kernelINS0_14default_configENS1_25partition_config_selectorILNS1_17partition_subalgoE8ElNS0_10empty_typeEbEEZZNS1_14partition_implILS5_8ELb0ES3_jPlPS6_PKS6_NS0_5tupleIJS9_S6_EEENSD_IJSA_SA_EEENS0_18inequality_wrapperIZN2at6native12_GLOBAL__N_124unique_dim_cuda_templateIN3c104HalfEEESt5tupleIJNSH_6TensorESO_SO_EERKSO_lbbbEUlllE0_EEPmJS6_EEE10hipError_tPvRmT3_T4_T5_T6_T7_T9_mT8_P12ihipStream_tbDpT10_ENKUlT_T0_E_clISt17integral_constantIbLb1EES1E_EEDaS19_S1A_EUlS19_E_NS1_11comp_targetILNS1_3genE4ELNS1_11target_archE910ELNS1_3gpuE8ELNS1_3repE0EEENS1_30default_config_static_selectorELNS0_4arch9wavefront6targetE1EEEvT1_
	.p2align	8
	.type	_ZN7rocprim17ROCPRIM_400000_NS6detail17trampoline_kernelINS0_14default_configENS1_25partition_config_selectorILNS1_17partition_subalgoE8ElNS0_10empty_typeEbEEZZNS1_14partition_implILS5_8ELb0ES3_jPlPS6_PKS6_NS0_5tupleIJS9_S6_EEENSD_IJSA_SA_EEENS0_18inequality_wrapperIZN2at6native12_GLOBAL__N_124unique_dim_cuda_templateIN3c104HalfEEESt5tupleIJNSH_6TensorESO_SO_EERKSO_lbbbEUlllE0_EEPmJS6_EEE10hipError_tPvRmT3_T4_T5_T6_T7_T9_mT8_P12ihipStream_tbDpT10_ENKUlT_T0_E_clISt17integral_constantIbLb1EES1E_EEDaS19_S1A_EUlS19_E_NS1_11comp_targetILNS1_3genE4ELNS1_11target_archE910ELNS1_3gpuE8ELNS1_3repE0EEENS1_30default_config_static_selectorELNS0_4arch9wavefront6targetE1EEEvT1_,@function
_ZN7rocprim17ROCPRIM_400000_NS6detail17trampoline_kernelINS0_14default_configENS1_25partition_config_selectorILNS1_17partition_subalgoE8ElNS0_10empty_typeEbEEZZNS1_14partition_implILS5_8ELb0ES3_jPlPS6_PKS6_NS0_5tupleIJS9_S6_EEENSD_IJSA_SA_EEENS0_18inequality_wrapperIZN2at6native12_GLOBAL__N_124unique_dim_cuda_templateIN3c104HalfEEESt5tupleIJNSH_6TensorESO_SO_EERKSO_lbbbEUlllE0_EEPmJS6_EEE10hipError_tPvRmT3_T4_T5_T6_T7_T9_mT8_P12ihipStream_tbDpT10_ENKUlT_T0_E_clISt17integral_constantIbLb1EES1E_EEDaS19_S1A_EUlS19_E_NS1_11comp_targetILNS1_3genE4ELNS1_11target_archE910ELNS1_3gpuE8ELNS1_3repE0EEENS1_30default_config_static_selectorELNS0_4arch9wavefront6targetE1EEEvT1_: ; @_ZN7rocprim17ROCPRIM_400000_NS6detail17trampoline_kernelINS0_14default_configENS1_25partition_config_selectorILNS1_17partition_subalgoE8ElNS0_10empty_typeEbEEZZNS1_14partition_implILS5_8ELb0ES3_jPlPS6_PKS6_NS0_5tupleIJS9_S6_EEENSD_IJSA_SA_EEENS0_18inequality_wrapperIZN2at6native12_GLOBAL__N_124unique_dim_cuda_templateIN3c104HalfEEESt5tupleIJNSH_6TensorESO_SO_EERKSO_lbbbEUlllE0_EEPmJS6_EEE10hipError_tPvRmT3_T4_T5_T6_T7_T9_mT8_P12ihipStream_tbDpT10_ENKUlT_T0_E_clISt17integral_constantIbLb1EES1E_EEDaS19_S1A_EUlS19_E_NS1_11comp_targetILNS1_3genE4ELNS1_11target_archE910ELNS1_3gpuE8ELNS1_3repE0EEENS1_30default_config_static_selectorELNS0_4arch9wavefront6targetE1EEEvT1_
; %bb.0:
	.section	.rodata,"a",@progbits
	.p2align	6, 0x0
	.amdhsa_kernel _ZN7rocprim17ROCPRIM_400000_NS6detail17trampoline_kernelINS0_14default_configENS1_25partition_config_selectorILNS1_17partition_subalgoE8ElNS0_10empty_typeEbEEZZNS1_14partition_implILS5_8ELb0ES3_jPlPS6_PKS6_NS0_5tupleIJS9_S6_EEENSD_IJSA_SA_EEENS0_18inequality_wrapperIZN2at6native12_GLOBAL__N_124unique_dim_cuda_templateIN3c104HalfEEESt5tupleIJNSH_6TensorESO_SO_EERKSO_lbbbEUlllE0_EEPmJS6_EEE10hipError_tPvRmT3_T4_T5_T6_T7_T9_mT8_P12ihipStream_tbDpT10_ENKUlT_T0_E_clISt17integral_constantIbLb1EES1E_EEDaS19_S1A_EUlS19_E_NS1_11comp_targetILNS1_3genE4ELNS1_11target_archE910ELNS1_3gpuE8ELNS1_3repE0EEENS1_30default_config_static_selectorELNS0_4arch9wavefront6targetE1EEEvT1_
		.amdhsa_group_segment_fixed_size 0
		.amdhsa_private_segment_fixed_size 0
		.amdhsa_kernarg_size 136
		.amdhsa_user_sgpr_count 2
		.amdhsa_user_sgpr_dispatch_ptr 0
		.amdhsa_user_sgpr_queue_ptr 0
		.amdhsa_user_sgpr_kernarg_segment_ptr 1
		.amdhsa_user_sgpr_dispatch_id 0
		.amdhsa_user_sgpr_kernarg_preload_length 0
		.amdhsa_user_sgpr_kernarg_preload_offset 0
		.amdhsa_user_sgpr_private_segment_size 0
		.amdhsa_uses_dynamic_stack 0
		.amdhsa_enable_private_segment 0
		.amdhsa_system_sgpr_workgroup_id_x 1
		.amdhsa_system_sgpr_workgroup_id_y 0
		.amdhsa_system_sgpr_workgroup_id_z 0
		.amdhsa_system_sgpr_workgroup_info 0
		.amdhsa_system_vgpr_workitem_id 0
		.amdhsa_next_free_vgpr 1
		.amdhsa_next_free_sgpr 0
		.amdhsa_accum_offset 4
		.amdhsa_reserve_vcc 0
		.amdhsa_float_round_mode_32 0
		.amdhsa_float_round_mode_16_64 0
		.amdhsa_float_denorm_mode_32 3
		.amdhsa_float_denorm_mode_16_64 3
		.amdhsa_dx10_clamp 1
		.amdhsa_ieee_mode 1
		.amdhsa_fp16_overflow 0
		.amdhsa_tg_split 0
		.amdhsa_exception_fp_ieee_invalid_op 0
		.amdhsa_exception_fp_denorm_src 0
		.amdhsa_exception_fp_ieee_div_zero 0
		.amdhsa_exception_fp_ieee_overflow 0
		.amdhsa_exception_fp_ieee_underflow 0
		.amdhsa_exception_fp_ieee_inexact 0
		.amdhsa_exception_int_div_zero 0
	.end_amdhsa_kernel
	.section	.text._ZN7rocprim17ROCPRIM_400000_NS6detail17trampoline_kernelINS0_14default_configENS1_25partition_config_selectorILNS1_17partition_subalgoE8ElNS0_10empty_typeEbEEZZNS1_14partition_implILS5_8ELb0ES3_jPlPS6_PKS6_NS0_5tupleIJS9_S6_EEENSD_IJSA_SA_EEENS0_18inequality_wrapperIZN2at6native12_GLOBAL__N_124unique_dim_cuda_templateIN3c104HalfEEESt5tupleIJNSH_6TensorESO_SO_EERKSO_lbbbEUlllE0_EEPmJS6_EEE10hipError_tPvRmT3_T4_T5_T6_T7_T9_mT8_P12ihipStream_tbDpT10_ENKUlT_T0_E_clISt17integral_constantIbLb1EES1E_EEDaS19_S1A_EUlS19_E_NS1_11comp_targetILNS1_3genE4ELNS1_11target_archE910ELNS1_3gpuE8ELNS1_3repE0EEENS1_30default_config_static_selectorELNS0_4arch9wavefront6targetE1EEEvT1_,"axG",@progbits,_ZN7rocprim17ROCPRIM_400000_NS6detail17trampoline_kernelINS0_14default_configENS1_25partition_config_selectorILNS1_17partition_subalgoE8ElNS0_10empty_typeEbEEZZNS1_14partition_implILS5_8ELb0ES3_jPlPS6_PKS6_NS0_5tupleIJS9_S6_EEENSD_IJSA_SA_EEENS0_18inequality_wrapperIZN2at6native12_GLOBAL__N_124unique_dim_cuda_templateIN3c104HalfEEESt5tupleIJNSH_6TensorESO_SO_EERKSO_lbbbEUlllE0_EEPmJS6_EEE10hipError_tPvRmT3_T4_T5_T6_T7_T9_mT8_P12ihipStream_tbDpT10_ENKUlT_T0_E_clISt17integral_constantIbLb1EES1E_EEDaS19_S1A_EUlS19_E_NS1_11comp_targetILNS1_3genE4ELNS1_11target_archE910ELNS1_3gpuE8ELNS1_3repE0EEENS1_30default_config_static_selectorELNS0_4arch9wavefront6targetE1EEEvT1_,comdat
.Lfunc_end1315:
	.size	_ZN7rocprim17ROCPRIM_400000_NS6detail17trampoline_kernelINS0_14default_configENS1_25partition_config_selectorILNS1_17partition_subalgoE8ElNS0_10empty_typeEbEEZZNS1_14partition_implILS5_8ELb0ES3_jPlPS6_PKS6_NS0_5tupleIJS9_S6_EEENSD_IJSA_SA_EEENS0_18inequality_wrapperIZN2at6native12_GLOBAL__N_124unique_dim_cuda_templateIN3c104HalfEEESt5tupleIJNSH_6TensorESO_SO_EERKSO_lbbbEUlllE0_EEPmJS6_EEE10hipError_tPvRmT3_T4_T5_T6_T7_T9_mT8_P12ihipStream_tbDpT10_ENKUlT_T0_E_clISt17integral_constantIbLb1EES1E_EEDaS19_S1A_EUlS19_E_NS1_11comp_targetILNS1_3genE4ELNS1_11target_archE910ELNS1_3gpuE8ELNS1_3repE0EEENS1_30default_config_static_selectorELNS0_4arch9wavefront6targetE1EEEvT1_, .Lfunc_end1315-_ZN7rocprim17ROCPRIM_400000_NS6detail17trampoline_kernelINS0_14default_configENS1_25partition_config_selectorILNS1_17partition_subalgoE8ElNS0_10empty_typeEbEEZZNS1_14partition_implILS5_8ELb0ES3_jPlPS6_PKS6_NS0_5tupleIJS9_S6_EEENSD_IJSA_SA_EEENS0_18inequality_wrapperIZN2at6native12_GLOBAL__N_124unique_dim_cuda_templateIN3c104HalfEEESt5tupleIJNSH_6TensorESO_SO_EERKSO_lbbbEUlllE0_EEPmJS6_EEE10hipError_tPvRmT3_T4_T5_T6_T7_T9_mT8_P12ihipStream_tbDpT10_ENKUlT_T0_E_clISt17integral_constantIbLb1EES1E_EEDaS19_S1A_EUlS19_E_NS1_11comp_targetILNS1_3genE4ELNS1_11target_archE910ELNS1_3gpuE8ELNS1_3repE0EEENS1_30default_config_static_selectorELNS0_4arch9wavefront6targetE1EEEvT1_
                                        ; -- End function
	.section	.AMDGPU.csdata,"",@progbits
; Kernel info:
; codeLenInByte = 0
; NumSgprs: 6
; NumVgprs: 0
; NumAgprs: 0
; TotalNumVgprs: 0
; ScratchSize: 0
; MemoryBound: 0
; FloatMode: 240
; IeeeMode: 1
; LDSByteSize: 0 bytes/workgroup (compile time only)
; SGPRBlocks: 0
; VGPRBlocks: 0
; NumSGPRsForWavesPerEU: 6
; NumVGPRsForWavesPerEU: 1
; AccumOffset: 4
; Occupancy: 8
; WaveLimiterHint : 0
; COMPUTE_PGM_RSRC2:SCRATCH_EN: 0
; COMPUTE_PGM_RSRC2:USER_SGPR: 2
; COMPUTE_PGM_RSRC2:TRAP_HANDLER: 0
; COMPUTE_PGM_RSRC2:TGID_X_EN: 1
; COMPUTE_PGM_RSRC2:TGID_Y_EN: 0
; COMPUTE_PGM_RSRC2:TGID_Z_EN: 0
; COMPUTE_PGM_RSRC2:TIDIG_COMP_CNT: 0
; COMPUTE_PGM_RSRC3_GFX90A:ACCUM_OFFSET: 0
; COMPUTE_PGM_RSRC3_GFX90A:TG_SPLIT: 0
	.section	.text._ZN7rocprim17ROCPRIM_400000_NS6detail17trampoline_kernelINS0_14default_configENS1_25partition_config_selectorILNS1_17partition_subalgoE8ElNS0_10empty_typeEbEEZZNS1_14partition_implILS5_8ELb0ES3_jPlPS6_PKS6_NS0_5tupleIJS9_S6_EEENSD_IJSA_SA_EEENS0_18inequality_wrapperIZN2at6native12_GLOBAL__N_124unique_dim_cuda_templateIN3c104HalfEEESt5tupleIJNSH_6TensorESO_SO_EERKSO_lbbbEUlllE0_EEPmJS6_EEE10hipError_tPvRmT3_T4_T5_T6_T7_T9_mT8_P12ihipStream_tbDpT10_ENKUlT_T0_E_clISt17integral_constantIbLb1EES1E_EEDaS19_S1A_EUlS19_E_NS1_11comp_targetILNS1_3genE3ELNS1_11target_archE908ELNS1_3gpuE7ELNS1_3repE0EEENS1_30default_config_static_selectorELNS0_4arch9wavefront6targetE1EEEvT1_,"axG",@progbits,_ZN7rocprim17ROCPRIM_400000_NS6detail17trampoline_kernelINS0_14default_configENS1_25partition_config_selectorILNS1_17partition_subalgoE8ElNS0_10empty_typeEbEEZZNS1_14partition_implILS5_8ELb0ES3_jPlPS6_PKS6_NS0_5tupleIJS9_S6_EEENSD_IJSA_SA_EEENS0_18inequality_wrapperIZN2at6native12_GLOBAL__N_124unique_dim_cuda_templateIN3c104HalfEEESt5tupleIJNSH_6TensorESO_SO_EERKSO_lbbbEUlllE0_EEPmJS6_EEE10hipError_tPvRmT3_T4_T5_T6_T7_T9_mT8_P12ihipStream_tbDpT10_ENKUlT_T0_E_clISt17integral_constantIbLb1EES1E_EEDaS19_S1A_EUlS19_E_NS1_11comp_targetILNS1_3genE3ELNS1_11target_archE908ELNS1_3gpuE7ELNS1_3repE0EEENS1_30default_config_static_selectorELNS0_4arch9wavefront6targetE1EEEvT1_,comdat
	.globl	_ZN7rocprim17ROCPRIM_400000_NS6detail17trampoline_kernelINS0_14default_configENS1_25partition_config_selectorILNS1_17partition_subalgoE8ElNS0_10empty_typeEbEEZZNS1_14partition_implILS5_8ELb0ES3_jPlPS6_PKS6_NS0_5tupleIJS9_S6_EEENSD_IJSA_SA_EEENS0_18inequality_wrapperIZN2at6native12_GLOBAL__N_124unique_dim_cuda_templateIN3c104HalfEEESt5tupleIJNSH_6TensorESO_SO_EERKSO_lbbbEUlllE0_EEPmJS6_EEE10hipError_tPvRmT3_T4_T5_T6_T7_T9_mT8_P12ihipStream_tbDpT10_ENKUlT_T0_E_clISt17integral_constantIbLb1EES1E_EEDaS19_S1A_EUlS19_E_NS1_11comp_targetILNS1_3genE3ELNS1_11target_archE908ELNS1_3gpuE7ELNS1_3repE0EEENS1_30default_config_static_selectorELNS0_4arch9wavefront6targetE1EEEvT1_ ; -- Begin function _ZN7rocprim17ROCPRIM_400000_NS6detail17trampoline_kernelINS0_14default_configENS1_25partition_config_selectorILNS1_17partition_subalgoE8ElNS0_10empty_typeEbEEZZNS1_14partition_implILS5_8ELb0ES3_jPlPS6_PKS6_NS0_5tupleIJS9_S6_EEENSD_IJSA_SA_EEENS0_18inequality_wrapperIZN2at6native12_GLOBAL__N_124unique_dim_cuda_templateIN3c104HalfEEESt5tupleIJNSH_6TensorESO_SO_EERKSO_lbbbEUlllE0_EEPmJS6_EEE10hipError_tPvRmT3_T4_T5_T6_T7_T9_mT8_P12ihipStream_tbDpT10_ENKUlT_T0_E_clISt17integral_constantIbLb1EES1E_EEDaS19_S1A_EUlS19_E_NS1_11comp_targetILNS1_3genE3ELNS1_11target_archE908ELNS1_3gpuE7ELNS1_3repE0EEENS1_30default_config_static_selectorELNS0_4arch9wavefront6targetE1EEEvT1_
	.p2align	8
	.type	_ZN7rocprim17ROCPRIM_400000_NS6detail17trampoline_kernelINS0_14default_configENS1_25partition_config_selectorILNS1_17partition_subalgoE8ElNS0_10empty_typeEbEEZZNS1_14partition_implILS5_8ELb0ES3_jPlPS6_PKS6_NS0_5tupleIJS9_S6_EEENSD_IJSA_SA_EEENS0_18inequality_wrapperIZN2at6native12_GLOBAL__N_124unique_dim_cuda_templateIN3c104HalfEEESt5tupleIJNSH_6TensorESO_SO_EERKSO_lbbbEUlllE0_EEPmJS6_EEE10hipError_tPvRmT3_T4_T5_T6_T7_T9_mT8_P12ihipStream_tbDpT10_ENKUlT_T0_E_clISt17integral_constantIbLb1EES1E_EEDaS19_S1A_EUlS19_E_NS1_11comp_targetILNS1_3genE3ELNS1_11target_archE908ELNS1_3gpuE7ELNS1_3repE0EEENS1_30default_config_static_selectorELNS0_4arch9wavefront6targetE1EEEvT1_,@function
_ZN7rocprim17ROCPRIM_400000_NS6detail17trampoline_kernelINS0_14default_configENS1_25partition_config_selectorILNS1_17partition_subalgoE8ElNS0_10empty_typeEbEEZZNS1_14partition_implILS5_8ELb0ES3_jPlPS6_PKS6_NS0_5tupleIJS9_S6_EEENSD_IJSA_SA_EEENS0_18inequality_wrapperIZN2at6native12_GLOBAL__N_124unique_dim_cuda_templateIN3c104HalfEEESt5tupleIJNSH_6TensorESO_SO_EERKSO_lbbbEUlllE0_EEPmJS6_EEE10hipError_tPvRmT3_T4_T5_T6_T7_T9_mT8_P12ihipStream_tbDpT10_ENKUlT_T0_E_clISt17integral_constantIbLb1EES1E_EEDaS19_S1A_EUlS19_E_NS1_11comp_targetILNS1_3genE3ELNS1_11target_archE908ELNS1_3gpuE7ELNS1_3repE0EEENS1_30default_config_static_selectorELNS0_4arch9wavefront6targetE1EEEvT1_: ; @_ZN7rocprim17ROCPRIM_400000_NS6detail17trampoline_kernelINS0_14default_configENS1_25partition_config_selectorILNS1_17partition_subalgoE8ElNS0_10empty_typeEbEEZZNS1_14partition_implILS5_8ELb0ES3_jPlPS6_PKS6_NS0_5tupleIJS9_S6_EEENSD_IJSA_SA_EEENS0_18inequality_wrapperIZN2at6native12_GLOBAL__N_124unique_dim_cuda_templateIN3c104HalfEEESt5tupleIJNSH_6TensorESO_SO_EERKSO_lbbbEUlllE0_EEPmJS6_EEE10hipError_tPvRmT3_T4_T5_T6_T7_T9_mT8_P12ihipStream_tbDpT10_ENKUlT_T0_E_clISt17integral_constantIbLb1EES1E_EEDaS19_S1A_EUlS19_E_NS1_11comp_targetILNS1_3genE3ELNS1_11target_archE908ELNS1_3gpuE7ELNS1_3repE0EEENS1_30default_config_static_selectorELNS0_4arch9wavefront6targetE1EEEvT1_
; %bb.0:
	.section	.rodata,"a",@progbits
	.p2align	6, 0x0
	.amdhsa_kernel _ZN7rocprim17ROCPRIM_400000_NS6detail17trampoline_kernelINS0_14default_configENS1_25partition_config_selectorILNS1_17partition_subalgoE8ElNS0_10empty_typeEbEEZZNS1_14partition_implILS5_8ELb0ES3_jPlPS6_PKS6_NS0_5tupleIJS9_S6_EEENSD_IJSA_SA_EEENS0_18inequality_wrapperIZN2at6native12_GLOBAL__N_124unique_dim_cuda_templateIN3c104HalfEEESt5tupleIJNSH_6TensorESO_SO_EERKSO_lbbbEUlllE0_EEPmJS6_EEE10hipError_tPvRmT3_T4_T5_T6_T7_T9_mT8_P12ihipStream_tbDpT10_ENKUlT_T0_E_clISt17integral_constantIbLb1EES1E_EEDaS19_S1A_EUlS19_E_NS1_11comp_targetILNS1_3genE3ELNS1_11target_archE908ELNS1_3gpuE7ELNS1_3repE0EEENS1_30default_config_static_selectorELNS0_4arch9wavefront6targetE1EEEvT1_
		.amdhsa_group_segment_fixed_size 0
		.amdhsa_private_segment_fixed_size 0
		.amdhsa_kernarg_size 136
		.amdhsa_user_sgpr_count 2
		.amdhsa_user_sgpr_dispatch_ptr 0
		.amdhsa_user_sgpr_queue_ptr 0
		.amdhsa_user_sgpr_kernarg_segment_ptr 1
		.amdhsa_user_sgpr_dispatch_id 0
		.amdhsa_user_sgpr_kernarg_preload_length 0
		.amdhsa_user_sgpr_kernarg_preload_offset 0
		.amdhsa_user_sgpr_private_segment_size 0
		.amdhsa_uses_dynamic_stack 0
		.amdhsa_enable_private_segment 0
		.amdhsa_system_sgpr_workgroup_id_x 1
		.amdhsa_system_sgpr_workgroup_id_y 0
		.amdhsa_system_sgpr_workgroup_id_z 0
		.amdhsa_system_sgpr_workgroup_info 0
		.amdhsa_system_vgpr_workitem_id 0
		.amdhsa_next_free_vgpr 1
		.amdhsa_next_free_sgpr 0
		.amdhsa_accum_offset 4
		.amdhsa_reserve_vcc 0
		.amdhsa_float_round_mode_32 0
		.amdhsa_float_round_mode_16_64 0
		.amdhsa_float_denorm_mode_32 3
		.amdhsa_float_denorm_mode_16_64 3
		.amdhsa_dx10_clamp 1
		.amdhsa_ieee_mode 1
		.amdhsa_fp16_overflow 0
		.amdhsa_tg_split 0
		.amdhsa_exception_fp_ieee_invalid_op 0
		.amdhsa_exception_fp_denorm_src 0
		.amdhsa_exception_fp_ieee_div_zero 0
		.amdhsa_exception_fp_ieee_overflow 0
		.amdhsa_exception_fp_ieee_underflow 0
		.amdhsa_exception_fp_ieee_inexact 0
		.amdhsa_exception_int_div_zero 0
	.end_amdhsa_kernel
	.section	.text._ZN7rocprim17ROCPRIM_400000_NS6detail17trampoline_kernelINS0_14default_configENS1_25partition_config_selectorILNS1_17partition_subalgoE8ElNS0_10empty_typeEbEEZZNS1_14partition_implILS5_8ELb0ES3_jPlPS6_PKS6_NS0_5tupleIJS9_S6_EEENSD_IJSA_SA_EEENS0_18inequality_wrapperIZN2at6native12_GLOBAL__N_124unique_dim_cuda_templateIN3c104HalfEEESt5tupleIJNSH_6TensorESO_SO_EERKSO_lbbbEUlllE0_EEPmJS6_EEE10hipError_tPvRmT3_T4_T5_T6_T7_T9_mT8_P12ihipStream_tbDpT10_ENKUlT_T0_E_clISt17integral_constantIbLb1EES1E_EEDaS19_S1A_EUlS19_E_NS1_11comp_targetILNS1_3genE3ELNS1_11target_archE908ELNS1_3gpuE7ELNS1_3repE0EEENS1_30default_config_static_selectorELNS0_4arch9wavefront6targetE1EEEvT1_,"axG",@progbits,_ZN7rocprim17ROCPRIM_400000_NS6detail17trampoline_kernelINS0_14default_configENS1_25partition_config_selectorILNS1_17partition_subalgoE8ElNS0_10empty_typeEbEEZZNS1_14partition_implILS5_8ELb0ES3_jPlPS6_PKS6_NS0_5tupleIJS9_S6_EEENSD_IJSA_SA_EEENS0_18inequality_wrapperIZN2at6native12_GLOBAL__N_124unique_dim_cuda_templateIN3c104HalfEEESt5tupleIJNSH_6TensorESO_SO_EERKSO_lbbbEUlllE0_EEPmJS6_EEE10hipError_tPvRmT3_T4_T5_T6_T7_T9_mT8_P12ihipStream_tbDpT10_ENKUlT_T0_E_clISt17integral_constantIbLb1EES1E_EEDaS19_S1A_EUlS19_E_NS1_11comp_targetILNS1_3genE3ELNS1_11target_archE908ELNS1_3gpuE7ELNS1_3repE0EEENS1_30default_config_static_selectorELNS0_4arch9wavefront6targetE1EEEvT1_,comdat
.Lfunc_end1316:
	.size	_ZN7rocprim17ROCPRIM_400000_NS6detail17trampoline_kernelINS0_14default_configENS1_25partition_config_selectorILNS1_17partition_subalgoE8ElNS0_10empty_typeEbEEZZNS1_14partition_implILS5_8ELb0ES3_jPlPS6_PKS6_NS0_5tupleIJS9_S6_EEENSD_IJSA_SA_EEENS0_18inequality_wrapperIZN2at6native12_GLOBAL__N_124unique_dim_cuda_templateIN3c104HalfEEESt5tupleIJNSH_6TensorESO_SO_EERKSO_lbbbEUlllE0_EEPmJS6_EEE10hipError_tPvRmT3_T4_T5_T6_T7_T9_mT8_P12ihipStream_tbDpT10_ENKUlT_T0_E_clISt17integral_constantIbLb1EES1E_EEDaS19_S1A_EUlS19_E_NS1_11comp_targetILNS1_3genE3ELNS1_11target_archE908ELNS1_3gpuE7ELNS1_3repE0EEENS1_30default_config_static_selectorELNS0_4arch9wavefront6targetE1EEEvT1_, .Lfunc_end1316-_ZN7rocprim17ROCPRIM_400000_NS6detail17trampoline_kernelINS0_14default_configENS1_25partition_config_selectorILNS1_17partition_subalgoE8ElNS0_10empty_typeEbEEZZNS1_14partition_implILS5_8ELb0ES3_jPlPS6_PKS6_NS0_5tupleIJS9_S6_EEENSD_IJSA_SA_EEENS0_18inequality_wrapperIZN2at6native12_GLOBAL__N_124unique_dim_cuda_templateIN3c104HalfEEESt5tupleIJNSH_6TensorESO_SO_EERKSO_lbbbEUlllE0_EEPmJS6_EEE10hipError_tPvRmT3_T4_T5_T6_T7_T9_mT8_P12ihipStream_tbDpT10_ENKUlT_T0_E_clISt17integral_constantIbLb1EES1E_EEDaS19_S1A_EUlS19_E_NS1_11comp_targetILNS1_3genE3ELNS1_11target_archE908ELNS1_3gpuE7ELNS1_3repE0EEENS1_30default_config_static_selectorELNS0_4arch9wavefront6targetE1EEEvT1_
                                        ; -- End function
	.section	.AMDGPU.csdata,"",@progbits
; Kernel info:
; codeLenInByte = 0
; NumSgprs: 6
; NumVgprs: 0
; NumAgprs: 0
; TotalNumVgprs: 0
; ScratchSize: 0
; MemoryBound: 0
; FloatMode: 240
; IeeeMode: 1
; LDSByteSize: 0 bytes/workgroup (compile time only)
; SGPRBlocks: 0
; VGPRBlocks: 0
; NumSGPRsForWavesPerEU: 6
; NumVGPRsForWavesPerEU: 1
; AccumOffset: 4
; Occupancy: 8
; WaveLimiterHint : 0
; COMPUTE_PGM_RSRC2:SCRATCH_EN: 0
; COMPUTE_PGM_RSRC2:USER_SGPR: 2
; COMPUTE_PGM_RSRC2:TRAP_HANDLER: 0
; COMPUTE_PGM_RSRC2:TGID_X_EN: 1
; COMPUTE_PGM_RSRC2:TGID_Y_EN: 0
; COMPUTE_PGM_RSRC2:TGID_Z_EN: 0
; COMPUTE_PGM_RSRC2:TIDIG_COMP_CNT: 0
; COMPUTE_PGM_RSRC3_GFX90A:ACCUM_OFFSET: 0
; COMPUTE_PGM_RSRC3_GFX90A:TG_SPLIT: 0
	.section	.text._ZN7rocprim17ROCPRIM_400000_NS6detail17trampoline_kernelINS0_14default_configENS1_25partition_config_selectorILNS1_17partition_subalgoE8ElNS0_10empty_typeEbEEZZNS1_14partition_implILS5_8ELb0ES3_jPlPS6_PKS6_NS0_5tupleIJS9_S6_EEENSD_IJSA_SA_EEENS0_18inequality_wrapperIZN2at6native12_GLOBAL__N_124unique_dim_cuda_templateIN3c104HalfEEESt5tupleIJNSH_6TensorESO_SO_EERKSO_lbbbEUlllE0_EEPmJS6_EEE10hipError_tPvRmT3_T4_T5_T6_T7_T9_mT8_P12ihipStream_tbDpT10_ENKUlT_T0_E_clISt17integral_constantIbLb1EES1E_EEDaS19_S1A_EUlS19_E_NS1_11comp_targetILNS1_3genE2ELNS1_11target_archE906ELNS1_3gpuE6ELNS1_3repE0EEENS1_30default_config_static_selectorELNS0_4arch9wavefront6targetE1EEEvT1_,"axG",@progbits,_ZN7rocprim17ROCPRIM_400000_NS6detail17trampoline_kernelINS0_14default_configENS1_25partition_config_selectorILNS1_17partition_subalgoE8ElNS0_10empty_typeEbEEZZNS1_14partition_implILS5_8ELb0ES3_jPlPS6_PKS6_NS0_5tupleIJS9_S6_EEENSD_IJSA_SA_EEENS0_18inequality_wrapperIZN2at6native12_GLOBAL__N_124unique_dim_cuda_templateIN3c104HalfEEESt5tupleIJNSH_6TensorESO_SO_EERKSO_lbbbEUlllE0_EEPmJS6_EEE10hipError_tPvRmT3_T4_T5_T6_T7_T9_mT8_P12ihipStream_tbDpT10_ENKUlT_T0_E_clISt17integral_constantIbLb1EES1E_EEDaS19_S1A_EUlS19_E_NS1_11comp_targetILNS1_3genE2ELNS1_11target_archE906ELNS1_3gpuE6ELNS1_3repE0EEENS1_30default_config_static_selectorELNS0_4arch9wavefront6targetE1EEEvT1_,comdat
	.globl	_ZN7rocprim17ROCPRIM_400000_NS6detail17trampoline_kernelINS0_14default_configENS1_25partition_config_selectorILNS1_17partition_subalgoE8ElNS0_10empty_typeEbEEZZNS1_14partition_implILS5_8ELb0ES3_jPlPS6_PKS6_NS0_5tupleIJS9_S6_EEENSD_IJSA_SA_EEENS0_18inequality_wrapperIZN2at6native12_GLOBAL__N_124unique_dim_cuda_templateIN3c104HalfEEESt5tupleIJNSH_6TensorESO_SO_EERKSO_lbbbEUlllE0_EEPmJS6_EEE10hipError_tPvRmT3_T4_T5_T6_T7_T9_mT8_P12ihipStream_tbDpT10_ENKUlT_T0_E_clISt17integral_constantIbLb1EES1E_EEDaS19_S1A_EUlS19_E_NS1_11comp_targetILNS1_3genE2ELNS1_11target_archE906ELNS1_3gpuE6ELNS1_3repE0EEENS1_30default_config_static_selectorELNS0_4arch9wavefront6targetE1EEEvT1_ ; -- Begin function _ZN7rocprim17ROCPRIM_400000_NS6detail17trampoline_kernelINS0_14default_configENS1_25partition_config_selectorILNS1_17partition_subalgoE8ElNS0_10empty_typeEbEEZZNS1_14partition_implILS5_8ELb0ES3_jPlPS6_PKS6_NS0_5tupleIJS9_S6_EEENSD_IJSA_SA_EEENS0_18inequality_wrapperIZN2at6native12_GLOBAL__N_124unique_dim_cuda_templateIN3c104HalfEEESt5tupleIJNSH_6TensorESO_SO_EERKSO_lbbbEUlllE0_EEPmJS6_EEE10hipError_tPvRmT3_T4_T5_T6_T7_T9_mT8_P12ihipStream_tbDpT10_ENKUlT_T0_E_clISt17integral_constantIbLb1EES1E_EEDaS19_S1A_EUlS19_E_NS1_11comp_targetILNS1_3genE2ELNS1_11target_archE906ELNS1_3gpuE6ELNS1_3repE0EEENS1_30default_config_static_selectorELNS0_4arch9wavefront6targetE1EEEvT1_
	.p2align	8
	.type	_ZN7rocprim17ROCPRIM_400000_NS6detail17trampoline_kernelINS0_14default_configENS1_25partition_config_selectorILNS1_17partition_subalgoE8ElNS0_10empty_typeEbEEZZNS1_14partition_implILS5_8ELb0ES3_jPlPS6_PKS6_NS0_5tupleIJS9_S6_EEENSD_IJSA_SA_EEENS0_18inequality_wrapperIZN2at6native12_GLOBAL__N_124unique_dim_cuda_templateIN3c104HalfEEESt5tupleIJNSH_6TensorESO_SO_EERKSO_lbbbEUlllE0_EEPmJS6_EEE10hipError_tPvRmT3_T4_T5_T6_T7_T9_mT8_P12ihipStream_tbDpT10_ENKUlT_T0_E_clISt17integral_constantIbLb1EES1E_EEDaS19_S1A_EUlS19_E_NS1_11comp_targetILNS1_3genE2ELNS1_11target_archE906ELNS1_3gpuE6ELNS1_3repE0EEENS1_30default_config_static_selectorELNS0_4arch9wavefront6targetE1EEEvT1_,@function
_ZN7rocprim17ROCPRIM_400000_NS6detail17trampoline_kernelINS0_14default_configENS1_25partition_config_selectorILNS1_17partition_subalgoE8ElNS0_10empty_typeEbEEZZNS1_14partition_implILS5_8ELb0ES3_jPlPS6_PKS6_NS0_5tupleIJS9_S6_EEENSD_IJSA_SA_EEENS0_18inequality_wrapperIZN2at6native12_GLOBAL__N_124unique_dim_cuda_templateIN3c104HalfEEESt5tupleIJNSH_6TensorESO_SO_EERKSO_lbbbEUlllE0_EEPmJS6_EEE10hipError_tPvRmT3_T4_T5_T6_T7_T9_mT8_P12ihipStream_tbDpT10_ENKUlT_T0_E_clISt17integral_constantIbLb1EES1E_EEDaS19_S1A_EUlS19_E_NS1_11comp_targetILNS1_3genE2ELNS1_11target_archE906ELNS1_3gpuE6ELNS1_3repE0EEENS1_30default_config_static_selectorELNS0_4arch9wavefront6targetE1EEEvT1_: ; @_ZN7rocprim17ROCPRIM_400000_NS6detail17trampoline_kernelINS0_14default_configENS1_25partition_config_selectorILNS1_17partition_subalgoE8ElNS0_10empty_typeEbEEZZNS1_14partition_implILS5_8ELb0ES3_jPlPS6_PKS6_NS0_5tupleIJS9_S6_EEENSD_IJSA_SA_EEENS0_18inequality_wrapperIZN2at6native12_GLOBAL__N_124unique_dim_cuda_templateIN3c104HalfEEESt5tupleIJNSH_6TensorESO_SO_EERKSO_lbbbEUlllE0_EEPmJS6_EEE10hipError_tPvRmT3_T4_T5_T6_T7_T9_mT8_P12ihipStream_tbDpT10_ENKUlT_T0_E_clISt17integral_constantIbLb1EES1E_EEDaS19_S1A_EUlS19_E_NS1_11comp_targetILNS1_3genE2ELNS1_11target_archE906ELNS1_3gpuE6ELNS1_3repE0EEENS1_30default_config_static_selectorELNS0_4arch9wavefront6targetE1EEEvT1_
; %bb.0:
	.section	.rodata,"a",@progbits
	.p2align	6, 0x0
	.amdhsa_kernel _ZN7rocprim17ROCPRIM_400000_NS6detail17trampoline_kernelINS0_14default_configENS1_25partition_config_selectorILNS1_17partition_subalgoE8ElNS0_10empty_typeEbEEZZNS1_14partition_implILS5_8ELb0ES3_jPlPS6_PKS6_NS0_5tupleIJS9_S6_EEENSD_IJSA_SA_EEENS0_18inequality_wrapperIZN2at6native12_GLOBAL__N_124unique_dim_cuda_templateIN3c104HalfEEESt5tupleIJNSH_6TensorESO_SO_EERKSO_lbbbEUlllE0_EEPmJS6_EEE10hipError_tPvRmT3_T4_T5_T6_T7_T9_mT8_P12ihipStream_tbDpT10_ENKUlT_T0_E_clISt17integral_constantIbLb1EES1E_EEDaS19_S1A_EUlS19_E_NS1_11comp_targetILNS1_3genE2ELNS1_11target_archE906ELNS1_3gpuE6ELNS1_3repE0EEENS1_30default_config_static_selectorELNS0_4arch9wavefront6targetE1EEEvT1_
		.amdhsa_group_segment_fixed_size 0
		.amdhsa_private_segment_fixed_size 0
		.amdhsa_kernarg_size 136
		.amdhsa_user_sgpr_count 2
		.amdhsa_user_sgpr_dispatch_ptr 0
		.amdhsa_user_sgpr_queue_ptr 0
		.amdhsa_user_sgpr_kernarg_segment_ptr 1
		.amdhsa_user_sgpr_dispatch_id 0
		.amdhsa_user_sgpr_kernarg_preload_length 0
		.amdhsa_user_sgpr_kernarg_preload_offset 0
		.amdhsa_user_sgpr_private_segment_size 0
		.amdhsa_uses_dynamic_stack 0
		.amdhsa_enable_private_segment 0
		.amdhsa_system_sgpr_workgroup_id_x 1
		.amdhsa_system_sgpr_workgroup_id_y 0
		.amdhsa_system_sgpr_workgroup_id_z 0
		.amdhsa_system_sgpr_workgroup_info 0
		.amdhsa_system_vgpr_workitem_id 0
		.amdhsa_next_free_vgpr 1
		.amdhsa_next_free_sgpr 0
		.amdhsa_accum_offset 4
		.amdhsa_reserve_vcc 0
		.amdhsa_float_round_mode_32 0
		.amdhsa_float_round_mode_16_64 0
		.amdhsa_float_denorm_mode_32 3
		.amdhsa_float_denorm_mode_16_64 3
		.amdhsa_dx10_clamp 1
		.amdhsa_ieee_mode 1
		.amdhsa_fp16_overflow 0
		.amdhsa_tg_split 0
		.amdhsa_exception_fp_ieee_invalid_op 0
		.amdhsa_exception_fp_denorm_src 0
		.amdhsa_exception_fp_ieee_div_zero 0
		.amdhsa_exception_fp_ieee_overflow 0
		.amdhsa_exception_fp_ieee_underflow 0
		.amdhsa_exception_fp_ieee_inexact 0
		.amdhsa_exception_int_div_zero 0
	.end_amdhsa_kernel
	.section	.text._ZN7rocprim17ROCPRIM_400000_NS6detail17trampoline_kernelINS0_14default_configENS1_25partition_config_selectorILNS1_17partition_subalgoE8ElNS0_10empty_typeEbEEZZNS1_14partition_implILS5_8ELb0ES3_jPlPS6_PKS6_NS0_5tupleIJS9_S6_EEENSD_IJSA_SA_EEENS0_18inequality_wrapperIZN2at6native12_GLOBAL__N_124unique_dim_cuda_templateIN3c104HalfEEESt5tupleIJNSH_6TensorESO_SO_EERKSO_lbbbEUlllE0_EEPmJS6_EEE10hipError_tPvRmT3_T4_T5_T6_T7_T9_mT8_P12ihipStream_tbDpT10_ENKUlT_T0_E_clISt17integral_constantIbLb1EES1E_EEDaS19_S1A_EUlS19_E_NS1_11comp_targetILNS1_3genE2ELNS1_11target_archE906ELNS1_3gpuE6ELNS1_3repE0EEENS1_30default_config_static_selectorELNS0_4arch9wavefront6targetE1EEEvT1_,"axG",@progbits,_ZN7rocprim17ROCPRIM_400000_NS6detail17trampoline_kernelINS0_14default_configENS1_25partition_config_selectorILNS1_17partition_subalgoE8ElNS0_10empty_typeEbEEZZNS1_14partition_implILS5_8ELb0ES3_jPlPS6_PKS6_NS0_5tupleIJS9_S6_EEENSD_IJSA_SA_EEENS0_18inequality_wrapperIZN2at6native12_GLOBAL__N_124unique_dim_cuda_templateIN3c104HalfEEESt5tupleIJNSH_6TensorESO_SO_EERKSO_lbbbEUlllE0_EEPmJS6_EEE10hipError_tPvRmT3_T4_T5_T6_T7_T9_mT8_P12ihipStream_tbDpT10_ENKUlT_T0_E_clISt17integral_constantIbLb1EES1E_EEDaS19_S1A_EUlS19_E_NS1_11comp_targetILNS1_3genE2ELNS1_11target_archE906ELNS1_3gpuE6ELNS1_3repE0EEENS1_30default_config_static_selectorELNS0_4arch9wavefront6targetE1EEEvT1_,comdat
.Lfunc_end1317:
	.size	_ZN7rocprim17ROCPRIM_400000_NS6detail17trampoline_kernelINS0_14default_configENS1_25partition_config_selectorILNS1_17partition_subalgoE8ElNS0_10empty_typeEbEEZZNS1_14partition_implILS5_8ELb0ES3_jPlPS6_PKS6_NS0_5tupleIJS9_S6_EEENSD_IJSA_SA_EEENS0_18inequality_wrapperIZN2at6native12_GLOBAL__N_124unique_dim_cuda_templateIN3c104HalfEEESt5tupleIJNSH_6TensorESO_SO_EERKSO_lbbbEUlllE0_EEPmJS6_EEE10hipError_tPvRmT3_T4_T5_T6_T7_T9_mT8_P12ihipStream_tbDpT10_ENKUlT_T0_E_clISt17integral_constantIbLb1EES1E_EEDaS19_S1A_EUlS19_E_NS1_11comp_targetILNS1_3genE2ELNS1_11target_archE906ELNS1_3gpuE6ELNS1_3repE0EEENS1_30default_config_static_selectorELNS0_4arch9wavefront6targetE1EEEvT1_, .Lfunc_end1317-_ZN7rocprim17ROCPRIM_400000_NS6detail17trampoline_kernelINS0_14default_configENS1_25partition_config_selectorILNS1_17partition_subalgoE8ElNS0_10empty_typeEbEEZZNS1_14partition_implILS5_8ELb0ES3_jPlPS6_PKS6_NS0_5tupleIJS9_S6_EEENSD_IJSA_SA_EEENS0_18inequality_wrapperIZN2at6native12_GLOBAL__N_124unique_dim_cuda_templateIN3c104HalfEEESt5tupleIJNSH_6TensorESO_SO_EERKSO_lbbbEUlllE0_EEPmJS6_EEE10hipError_tPvRmT3_T4_T5_T6_T7_T9_mT8_P12ihipStream_tbDpT10_ENKUlT_T0_E_clISt17integral_constantIbLb1EES1E_EEDaS19_S1A_EUlS19_E_NS1_11comp_targetILNS1_3genE2ELNS1_11target_archE906ELNS1_3gpuE6ELNS1_3repE0EEENS1_30default_config_static_selectorELNS0_4arch9wavefront6targetE1EEEvT1_
                                        ; -- End function
	.section	.AMDGPU.csdata,"",@progbits
; Kernel info:
; codeLenInByte = 0
; NumSgprs: 6
; NumVgprs: 0
; NumAgprs: 0
; TotalNumVgprs: 0
; ScratchSize: 0
; MemoryBound: 0
; FloatMode: 240
; IeeeMode: 1
; LDSByteSize: 0 bytes/workgroup (compile time only)
; SGPRBlocks: 0
; VGPRBlocks: 0
; NumSGPRsForWavesPerEU: 6
; NumVGPRsForWavesPerEU: 1
; AccumOffset: 4
; Occupancy: 8
; WaveLimiterHint : 0
; COMPUTE_PGM_RSRC2:SCRATCH_EN: 0
; COMPUTE_PGM_RSRC2:USER_SGPR: 2
; COMPUTE_PGM_RSRC2:TRAP_HANDLER: 0
; COMPUTE_PGM_RSRC2:TGID_X_EN: 1
; COMPUTE_PGM_RSRC2:TGID_Y_EN: 0
; COMPUTE_PGM_RSRC2:TGID_Z_EN: 0
; COMPUTE_PGM_RSRC2:TIDIG_COMP_CNT: 0
; COMPUTE_PGM_RSRC3_GFX90A:ACCUM_OFFSET: 0
; COMPUTE_PGM_RSRC3_GFX90A:TG_SPLIT: 0
	.section	.text._ZN7rocprim17ROCPRIM_400000_NS6detail17trampoline_kernelINS0_14default_configENS1_25partition_config_selectorILNS1_17partition_subalgoE8ElNS0_10empty_typeEbEEZZNS1_14partition_implILS5_8ELb0ES3_jPlPS6_PKS6_NS0_5tupleIJS9_S6_EEENSD_IJSA_SA_EEENS0_18inequality_wrapperIZN2at6native12_GLOBAL__N_124unique_dim_cuda_templateIN3c104HalfEEESt5tupleIJNSH_6TensorESO_SO_EERKSO_lbbbEUlllE0_EEPmJS6_EEE10hipError_tPvRmT3_T4_T5_T6_T7_T9_mT8_P12ihipStream_tbDpT10_ENKUlT_T0_E_clISt17integral_constantIbLb1EES1E_EEDaS19_S1A_EUlS19_E_NS1_11comp_targetILNS1_3genE10ELNS1_11target_archE1200ELNS1_3gpuE4ELNS1_3repE0EEENS1_30default_config_static_selectorELNS0_4arch9wavefront6targetE1EEEvT1_,"axG",@progbits,_ZN7rocprim17ROCPRIM_400000_NS6detail17trampoline_kernelINS0_14default_configENS1_25partition_config_selectorILNS1_17partition_subalgoE8ElNS0_10empty_typeEbEEZZNS1_14partition_implILS5_8ELb0ES3_jPlPS6_PKS6_NS0_5tupleIJS9_S6_EEENSD_IJSA_SA_EEENS0_18inequality_wrapperIZN2at6native12_GLOBAL__N_124unique_dim_cuda_templateIN3c104HalfEEESt5tupleIJNSH_6TensorESO_SO_EERKSO_lbbbEUlllE0_EEPmJS6_EEE10hipError_tPvRmT3_T4_T5_T6_T7_T9_mT8_P12ihipStream_tbDpT10_ENKUlT_T0_E_clISt17integral_constantIbLb1EES1E_EEDaS19_S1A_EUlS19_E_NS1_11comp_targetILNS1_3genE10ELNS1_11target_archE1200ELNS1_3gpuE4ELNS1_3repE0EEENS1_30default_config_static_selectorELNS0_4arch9wavefront6targetE1EEEvT1_,comdat
	.globl	_ZN7rocprim17ROCPRIM_400000_NS6detail17trampoline_kernelINS0_14default_configENS1_25partition_config_selectorILNS1_17partition_subalgoE8ElNS0_10empty_typeEbEEZZNS1_14partition_implILS5_8ELb0ES3_jPlPS6_PKS6_NS0_5tupleIJS9_S6_EEENSD_IJSA_SA_EEENS0_18inequality_wrapperIZN2at6native12_GLOBAL__N_124unique_dim_cuda_templateIN3c104HalfEEESt5tupleIJNSH_6TensorESO_SO_EERKSO_lbbbEUlllE0_EEPmJS6_EEE10hipError_tPvRmT3_T4_T5_T6_T7_T9_mT8_P12ihipStream_tbDpT10_ENKUlT_T0_E_clISt17integral_constantIbLb1EES1E_EEDaS19_S1A_EUlS19_E_NS1_11comp_targetILNS1_3genE10ELNS1_11target_archE1200ELNS1_3gpuE4ELNS1_3repE0EEENS1_30default_config_static_selectorELNS0_4arch9wavefront6targetE1EEEvT1_ ; -- Begin function _ZN7rocprim17ROCPRIM_400000_NS6detail17trampoline_kernelINS0_14default_configENS1_25partition_config_selectorILNS1_17partition_subalgoE8ElNS0_10empty_typeEbEEZZNS1_14partition_implILS5_8ELb0ES3_jPlPS6_PKS6_NS0_5tupleIJS9_S6_EEENSD_IJSA_SA_EEENS0_18inequality_wrapperIZN2at6native12_GLOBAL__N_124unique_dim_cuda_templateIN3c104HalfEEESt5tupleIJNSH_6TensorESO_SO_EERKSO_lbbbEUlllE0_EEPmJS6_EEE10hipError_tPvRmT3_T4_T5_T6_T7_T9_mT8_P12ihipStream_tbDpT10_ENKUlT_T0_E_clISt17integral_constantIbLb1EES1E_EEDaS19_S1A_EUlS19_E_NS1_11comp_targetILNS1_3genE10ELNS1_11target_archE1200ELNS1_3gpuE4ELNS1_3repE0EEENS1_30default_config_static_selectorELNS0_4arch9wavefront6targetE1EEEvT1_
	.p2align	8
	.type	_ZN7rocprim17ROCPRIM_400000_NS6detail17trampoline_kernelINS0_14default_configENS1_25partition_config_selectorILNS1_17partition_subalgoE8ElNS0_10empty_typeEbEEZZNS1_14partition_implILS5_8ELb0ES3_jPlPS6_PKS6_NS0_5tupleIJS9_S6_EEENSD_IJSA_SA_EEENS0_18inequality_wrapperIZN2at6native12_GLOBAL__N_124unique_dim_cuda_templateIN3c104HalfEEESt5tupleIJNSH_6TensorESO_SO_EERKSO_lbbbEUlllE0_EEPmJS6_EEE10hipError_tPvRmT3_T4_T5_T6_T7_T9_mT8_P12ihipStream_tbDpT10_ENKUlT_T0_E_clISt17integral_constantIbLb1EES1E_EEDaS19_S1A_EUlS19_E_NS1_11comp_targetILNS1_3genE10ELNS1_11target_archE1200ELNS1_3gpuE4ELNS1_3repE0EEENS1_30default_config_static_selectorELNS0_4arch9wavefront6targetE1EEEvT1_,@function
_ZN7rocprim17ROCPRIM_400000_NS6detail17trampoline_kernelINS0_14default_configENS1_25partition_config_selectorILNS1_17partition_subalgoE8ElNS0_10empty_typeEbEEZZNS1_14partition_implILS5_8ELb0ES3_jPlPS6_PKS6_NS0_5tupleIJS9_S6_EEENSD_IJSA_SA_EEENS0_18inequality_wrapperIZN2at6native12_GLOBAL__N_124unique_dim_cuda_templateIN3c104HalfEEESt5tupleIJNSH_6TensorESO_SO_EERKSO_lbbbEUlllE0_EEPmJS6_EEE10hipError_tPvRmT3_T4_T5_T6_T7_T9_mT8_P12ihipStream_tbDpT10_ENKUlT_T0_E_clISt17integral_constantIbLb1EES1E_EEDaS19_S1A_EUlS19_E_NS1_11comp_targetILNS1_3genE10ELNS1_11target_archE1200ELNS1_3gpuE4ELNS1_3repE0EEENS1_30default_config_static_selectorELNS0_4arch9wavefront6targetE1EEEvT1_: ; @_ZN7rocprim17ROCPRIM_400000_NS6detail17trampoline_kernelINS0_14default_configENS1_25partition_config_selectorILNS1_17partition_subalgoE8ElNS0_10empty_typeEbEEZZNS1_14partition_implILS5_8ELb0ES3_jPlPS6_PKS6_NS0_5tupleIJS9_S6_EEENSD_IJSA_SA_EEENS0_18inequality_wrapperIZN2at6native12_GLOBAL__N_124unique_dim_cuda_templateIN3c104HalfEEESt5tupleIJNSH_6TensorESO_SO_EERKSO_lbbbEUlllE0_EEPmJS6_EEE10hipError_tPvRmT3_T4_T5_T6_T7_T9_mT8_P12ihipStream_tbDpT10_ENKUlT_T0_E_clISt17integral_constantIbLb1EES1E_EEDaS19_S1A_EUlS19_E_NS1_11comp_targetILNS1_3genE10ELNS1_11target_archE1200ELNS1_3gpuE4ELNS1_3repE0EEENS1_30default_config_static_selectorELNS0_4arch9wavefront6targetE1EEEvT1_
; %bb.0:
	.section	.rodata,"a",@progbits
	.p2align	6, 0x0
	.amdhsa_kernel _ZN7rocprim17ROCPRIM_400000_NS6detail17trampoline_kernelINS0_14default_configENS1_25partition_config_selectorILNS1_17partition_subalgoE8ElNS0_10empty_typeEbEEZZNS1_14partition_implILS5_8ELb0ES3_jPlPS6_PKS6_NS0_5tupleIJS9_S6_EEENSD_IJSA_SA_EEENS0_18inequality_wrapperIZN2at6native12_GLOBAL__N_124unique_dim_cuda_templateIN3c104HalfEEESt5tupleIJNSH_6TensorESO_SO_EERKSO_lbbbEUlllE0_EEPmJS6_EEE10hipError_tPvRmT3_T4_T5_T6_T7_T9_mT8_P12ihipStream_tbDpT10_ENKUlT_T0_E_clISt17integral_constantIbLb1EES1E_EEDaS19_S1A_EUlS19_E_NS1_11comp_targetILNS1_3genE10ELNS1_11target_archE1200ELNS1_3gpuE4ELNS1_3repE0EEENS1_30default_config_static_selectorELNS0_4arch9wavefront6targetE1EEEvT1_
		.amdhsa_group_segment_fixed_size 0
		.amdhsa_private_segment_fixed_size 0
		.amdhsa_kernarg_size 136
		.amdhsa_user_sgpr_count 2
		.amdhsa_user_sgpr_dispatch_ptr 0
		.amdhsa_user_sgpr_queue_ptr 0
		.amdhsa_user_sgpr_kernarg_segment_ptr 1
		.amdhsa_user_sgpr_dispatch_id 0
		.amdhsa_user_sgpr_kernarg_preload_length 0
		.amdhsa_user_sgpr_kernarg_preload_offset 0
		.amdhsa_user_sgpr_private_segment_size 0
		.amdhsa_uses_dynamic_stack 0
		.amdhsa_enable_private_segment 0
		.amdhsa_system_sgpr_workgroup_id_x 1
		.amdhsa_system_sgpr_workgroup_id_y 0
		.amdhsa_system_sgpr_workgroup_id_z 0
		.amdhsa_system_sgpr_workgroup_info 0
		.amdhsa_system_vgpr_workitem_id 0
		.amdhsa_next_free_vgpr 1
		.amdhsa_next_free_sgpr 0
		.amdhsa_accum_offset 4
		.amdhsa_reserve_vcc 0
		.amdhsa_float_round_mode_32 0
		.amdhsa_float_round_mode_16_64 0
		.amdhsa_float_denorm_mode_32 3
		.amdhsa_float_denorm_mode_16_64 3
		.amdhsa_dx10_clamp 1
		.amdhsa_ieee_mode 1
		.amdhsa_fp16_overflow 0
		.amdhsa_tg_split 0
		.amdhsa_exception_fp_ieee_invalid_op 0
		.amdhsa_exception_fp_denorm_src 0
		.amdhsa_exception_fp_ieee_div_zero 0
		.amdhsa_exception_fp_ieee_overflow 0
		.amdhsa_exception_fp_ieee_underflow 0
		.amdhsa_exception_fp_ieee_inexact 0
		.amdhsa_exception_int_div_zero 0
	.end_amdhsa_kernel
	.section	.text._ZN7rocprim17ROCPRIM_400000_NS6detail17trampoline_kernelINS0_14default_configENS1_25partition_config_selectorILNS1_17partition_subalgoE8ElNS0_10empty_typeEbEEZZNS1_14partition_implILS5_8ELb0ES3_jPlPS6_PKS6_NS0_5tupleIJS9_S6_EEENSD_IJSA_SA_EEENS0_18inequality_wrapperIZN2at6native12_GLOBAL__N_124unique_dim_cuda_templateIN3c104HalfEEESt5tupleIJNSH_6TensorESO_SO_EERKSO_lbbbEUlllE0_EEPmJS6_EEE10hipError_tPvRmT3_T4_T5_T6_T7_T9_mT8_P12ihipStream_tbDpT10_ENKUlT_T0_E_clISt17integral_constantIbLb1EES1E_EEDaS19_S1A_EUlS19_E_NS1_11comp_targetILNS1_3genE10ELNS1_11target_archE1200ELNS1_3gpuE4ELNS1_3repE0EEENS1_30default_config_static_selectorELNS0_4arch9wavefront6targetE1EEEvT1_,"axG",@progbits,_ZN7rocprim17ROCPRIM_400000_NS6detail17trampoline_kernelINS0_14default_configENS1_25partition_config_selectorILNS1_17partition_subalgoE8ElNS0_10empty_typeEbEEZZNS1_14partition_implILS5_8ELb0ES3_jPlPS6_PKS6_NS0_5tupleIJS9_S6_EEENSD_IJSA_SA_EEENS0_18inequality_wrapperIZN2at6native12_GLOBAL__N_124unique_dim_cuda_templateIN3c104HalfEEESt5tupleIJNSH_6TensorESO_SO_EERKSO_lbbbEUlllE0_EEPmJS6_EEE10hipError_tPvRmT3_T4_T5_T6_T7_T9_mT8_P12ihipStream_tbDpT10_ENKUlT_T0_E_clISt17integral_constantIbLb1EES1E_EEDaS19_S1A_EUlS19_E_NS1_11comp_targetILNS1_3genE10ELNS1_11target_archE1200ELNS1_3gpuE4ELNS1_3repE0EEENS1_30default_config_static_selectorELNS0_4arch9wavefront6targetE1EEEvT1_,comdat
.Lfunc_end1318:
	.size	_ZN7rocprim17ROCPRIM_400000_NS6detail17trampoline_kernelINS0_14default_configENS1_25partition_config_selectorILNS1_17partition_subalgoE8ElNS0_10empty_typeEbEEZZNS1_14partition_implILS5_8ELb0ES3_jPlPS6_PKS6_NS0_5tupleIJS9_S6_EEENSD_IJSA_SA_EEENS0_18inequality_wrapperIZN2at6native12_GLOBAL__N_124unique_dim_cuda_templateIN3c104HalfEEESt5tupleIJNSH_6TensorESO_SO_EERKSO_lbbbEUlllE0_EEPmJS6_EEE10hipError_tPvRmT3_T4_T5_T6_T7_T9_mT8_P12ihipStream_tbDpT10_ENKUlT_T0_E_clISt17integral_constantIbLb1EES1E_EEDaS19_S1A_EUlS19_E_NS1_11comp_targetILNS1_3genE10ELNS1_11target_archE1200ELNS1_3gpuE4ELNS1_3repE0EEENS1_30default_config_static_selectorELNS0_4arch9wavefront6targetE1EEEvT1_, .Lfunc_end1318-_ZN7rocprim17ROCPRIM_400000_NS6detail17trampoline_kernelINS0_14default_configENS1_25partition_config_selectorILNS1_17partition_subalgoE8ElNS0_10empty_typeEbEEZZNS1_14partition_implILS5_8ELb0ES3_jPlPS6_PKS6_NS0_5tupleIJS9_S6_EEENSD_IJSA_SA_EEENS0_18inequality_wrapperIZN2at6native12_GLOBAL__N_124unique_dim_cuda_templateIN3c104HalfEEESt5tupleIJNSH_6TensorESO_SO_EERKSO_lbbbEUlllE0_EEPmJS6_EEE10hipError_tPvRmT3_T4_T5_T6_T7_T9_mT8_P12ihipStream_tbDpT10_ENKUlT_T0_E_clISt17integral_constantIbLb1EES1E_EEDaS19_S1A_EUlS19_E_NS1_11comp_targetILNS1_3genE10ELNS1_11target_archE1200ELNS1_3gpuE4ELNS1_3repE0EEENS1_30default_config_static_selectorELNS0_4arch9wavefront6targetE1EEEvT1_
                                        ; -- End function
	.section	.AMDGPU.csdata,"",@progbits
; Kernel info:
; codeLenInByte = 0
; NumSgprs: 6
; NumVgprs: 0
; NumAgprs: 0
; TotalNumVgprs: 0
; ScratchSize: 0
; MemoryBound: 0
; FloatMode: 240
; IeeeMode: 1
; LDSByteSize: 0 bytes/workgroup (compile time only)
; SGPRBlocks: 0
; VGPRBlocks: 0
; NumSGPRsForWavesPerEU: 6
; NumVGPRsForWavesPerEU: 1
; AccumOffset: 4
; Occupancy: 8
; WaveLimiterHint : 0
; COMPUTE_PGM_RSRC2:SCRATCH_EN: 0
; COMPUTE_PGM_RSRC2:USER_SGPR: 2
; COMPUTE_PGM_RSRC2:TRAP_HANDLER: 0
; COMPUTE_PGM_RSRC2:TGID_X_EN: 1
; COMPUTE_PGM_RSRC2:TGID_Y_EN: 0
; COMPUTE_PGM_RSRC2:TGID_Z_EN: 0
; COMPUTE_PGM_RSRC2:TIDIG_COMP_CNT: 0
; COMPUTE_PGM_RSRC3_GFX90A:ACCUM_OFFSET: 0
; COMPUTE_PGM_RSRC3_GFX90A:TG_SPLIT: 0
	.section	.text._ZN7rocprim17ROCPRIM_400000_NS6detail17trampoline_kernelINS0_14default_configENS1_25partition_config_selectorILNS1_17partition_subalgoE8ElNS0_10empty_typeEbEEZZNS1_14partition_implILS5_8ELb0ES3_jPlPS6_PKS6_NS0_5tupleIJS9_S6_EEENSD_IJSA_SA_EEENS0_18inequality_wrapperIZN2at6native12_GLOBAL__N_124unique_dim_cuda_templateIN3c104HalfEEESt5tupleIJNSH_6TensorESO_SO_EERKSO_lbbbEUlllE0_EEPmJS6_EEE10hipError_tPvRmT3_T4_T5_T6_T7_T9_mT8_P12ihipStream_tbDpT10_ENKUlT_T0_E_clISt17integral_constantIbLb1EES1E_EEDaS19_S1A_EUlS19_E_NS1_11comp_targetILNS1_3genE9ELNS1_11target_archE1100ELNS1_3gpuE3ELNS1_3repE0EEENS1_30default_config_static_selectorELNS0_4arch9wavefront6targetE1EEEvT1_,"axG",@progbits,_ZN7rocprim17ROCPRIM_400000_NS6detail17trampoline_kernelINS0_14default_configENS1_25partition_config_selectorILNS1_17partition_subalgoE8ElNS0_10empty_typeEbEEZZNS1_14partition_implILS5_8ELb0ES3_jPlPS6_PKS6_NS0_5tupleIJS9_S6_EEENSD_IJSA_SA_EEENS0_18inequality_wrapperIZN2at6native12_GLOBAL__N_124unique_dim_cuda_templateIN3c104HalfEEESt5tupleIJNSH_6TensorESO_SO_EERKSO_lbbbEUlllE0_EEPmJS6_EEE10hipError_tPvRmT3_T4_T5_T6_T7_T9_mT8_P12ihipStream_tbDpT10_ENKUlT_T0_E_clISt17integral_constantIbLb1EES1E_EEDaS19_S1A_EUlS19_E_NS1_11comp_targetILNS1_3genE9ELNS1_11target_archE1100ELNS1_3gpuE3ELNS1_3repE0EEENS1_30default_config_static_selectorELNS0_4arch9wavefront6targetE1EEEvT1_,comdat
	.globl	_ZN7rocprim17ROCPRIM_400000_NS6detail17trampoline_kernelINS0_14default_configENS1_25partition_config_selectorILNS1_17partition_subalgoE8ElNS0_10empty_typeEbEEZZNS1_14partition_implILS5_8ELb0ES3_jPlPS6_PKS6_NS0_5tupleIJS9_S6_EEENSD_IJSA_SA_EEENS0_18inequality_wrapperIZN2at6native12_GLOBAL__N_124unique_dim_cuda_templateIN3c104HalfEEESt5tupleIJNSH_6TensorESO_SO_EERKSO_lbbbEUlllE0_EEPmJS6_EEE10hipError_tPvRmT3_T4_T5_T6_T7_T9_mT8_P12ihipStream_tbDpT10_ENKUlT_T0_E_clISt17integral_constantIbLb1EES1E_EEDaS19_S1A_EUlS19_E_NS1_11comp_targetILNS1_3genE9ELNS1_11target_archE1100ELNS1_3gpuE3ELNS1_3repE0EEENS1_30default_config_static_selectorELNS0_4arch9wavefront6targetE1EEEvT1_ ; -- Begin function _ZN7rocprim17ROCPRIM_400000_NS6detail17trampoline_kernelINS0_14default_configENS1_25partition_config_selectorILNS1_17partition_subalgoE8ElNS0_10empty_typeEbEEZZNS1_14partition_implILS5_8ELb0ES3_jPlPS6_PKS6_NS0_5tupleIJS9_S6_EEENSD_IJSA_SA_EEENS0_18inequality_wrapperIZN2at6native12_GLOBAL__N_124unique_dim_cuda_templateIN3c104HalfEEESt5tupleIJNSH_6TensorESO_SO_EERKSO_lbbbEUlllE0_EEPmJS6_EEE10hipError_tPvRmT3_T4_T5_T6_T7_T9_mT8_P12ihipStream_tbDpT10_ENKUlT_T0_E_clISt17integral_constantIbLb1EES1E_EEDaS19_S1A_EUlS19_E_NS1_11comp_targetILNS1_3genE9ELNS1_11target_archE1100ELNS1_3gpuE3ELNS1_3repE0EEENS1_30default_config_static_selectorELNS0_4arch9wavefront6targetE1EEEvT1_
	.p2align	8
	.type	_ZN7rocprim17ROCPRIM_400000_NS6detail17trampoline_kernelINS0_14default_configENS1_25partition_config_selectorILNS1_17partition_subalgoE8ElNS0_10empty_typeEbEEZZNS1_14partition_implILS5_8ELb0ES3_jPlPS6_PKS6_NS0_5tupleIJS9_S6_EEENSD_IJSA_SA_EEENS0_18inequality_wrapperIZN2at6native12_GLOBAL__N_124unique_dim_cuda_templateIN3c104HalfEEESt5tupleIJNSH_6TensorESO_SO_EERKSO_lbbbEUlllE0_EEPmJS6_EEE10hipError_tPvRmT3_T4_T5_T6_T7_T9_mT8_P12ihipStream_tbDpT10_ENKUlT_T0_E_clISt17integral_constantIbLb1EES1E_EEDaS19_S1A_EUlS19_E_NS1_11comp_targetILNS1_3genE9ELNS1_11target_archE1100ELNS1_3gpuE3ELNS1_3repE0EEENS1_30default_config_static_selectorELNS0_4arch9wavefront6targetE1EEEvT1_,@function
_ZN7rocprim17ROCPRIM_400000_NS6detail17trampoline_kernelINS0_14default_configENS1_25partition_config_selectorILNS1_17partition_subalgoE8ElNS0_10empty_typeEbEEZZNS1_14partition_implILS5_8ELb0ES3_jPlPS6_PKS6_NS0_5tupleIJS9_S6_EEENSD_IJSA_SA_EEENS0_18inequality_wrapperIZN2at6native12_GLOBAL__N_124unique_dim_cuda_templateIN3c104HalfEEESt5tupleIJNSH_6TensorESO_SO_EERKSO_lbbbEUlllE0_EEPmJS6_EEE10hipError_tPvRmT3_T4_T5_T6_T7_T9_mT8_P12ihipStream_tbDpT10_ENKUlT_T0_E_clISt17integral_constantIbLb1EES1E_EEDaS19_S1A_EUlS19_E_NS1_11comp_targetILNS1_3genE9ELNS1_11target_archE1100ELNS1_3gpuE3ELNS1_3repE0EEENS1_30default_config_static_selectorELNS0_4arch9wavefront6targetE1EEEvT1_: ; @_ZN7rocprim17ROCPRIM_400000_NS6detail17trampoline_kernelINS0_14default_configENS1_25partition_config_selectorILNS1_17partition_subalgoE8ElNS0_10empty_typeEbEEZZNS1_14partition_implILS5_8ELb0ES3_jPlPS6_PKS6_NS0_5tupleIJS9_S6_EEENSD_IJSA_SA_EEENS0_18inequality_wrapperIZN2at6native12_GLOBAL__N_124unique_dim_cuda_templateIN3c104HalfEEESt5tupleIJNSH_6TensorESO_SO_EERKSO_lbbbEUlllE0_EEPmJS6_EEE10hipError_tPvRmT3_T4_T5_T6_T7_T9_mT8_P12ihipStream_tbDpT10_ENKUlT_T0_E_clISt17integral_constantIbLb1EES1E_EEDaS19_S1A_EUlS19_E_NS1_11comp_targetILNS1_3genE9ELNS1_11target_archE1100ELNS1_3gpuE3ELNS1_3repE0EEENS1_30default_config_static_selectorELNS0_4arch9wavefront6targetE1EEEvT1_
; %bb.0:
	.section	.rodata,"a",@progbits
	.p2align	6, 0x0
	.amdhsa_kernel _ZN7rocprim17ROCPRIM_400000_NS6detail17trampoline_kernelINS0_14default_configENS1_25partition_config_selectorILNS1_17partition_subalgoE8ElNS0_10empty_typeEbEEZZNS1_14partition_implILS5_8ELb0ES3_jPlPS6_PKS6_NS0_5tupleIJS9_S6_EEENSD_IJSA_SA_EEENS0_18inequality_wrapperIZN2at6native12_GLOBAL__N_124unique_dim_cuda_templateIN3c104HalfEEESt5tupleIJNSH_6TensorESO_SO_EERKSO_lbbbEUlllE0_EEPmJS6_EEE10hipError_tPvRmT3_T4_T5_T6_T7_T9_mT8_P12ihipStream_tbDpT10_ENKUlT_T0_E_clISt17integral_constantIbLb1EES1E_EEDaS19_S1A_EUlS19_E_NS1_11comp_targetILNS1_3genE9ELNS1_11target_archE1100ELNS1_3gpuE3ELNS1_3repE0EEENS1_30default_config_static_selectorELNS0_4arch9wavefront6targetE1EEEvT1_
		.amdhsa_group_segment_fixed_size 0
		.amdhsa_private_segment_fixed_size 0
		.amdhsa_kernarg_size 136
		.amdhsa_user_sgpr_count 2
		.amdhsa_user_sgpr_dispatch_ptr 0
		.amdhsa_user_sgpr_queue_ptr 0
		.amdhsa_user_sgpr_kernarg_segment_ptr 1
		.amdhsa_user_sgpr_dispatch_id 0
		.amdhsa_user_sgpr_kernarg_preload_length 0
		.amdhsa_user_sgpr_kernarg_preload_offset 0
		.amdhsa_user_sgpr_private_segment_size 0
		.amdhsa_uses_dynamic_stack 0
		.amdhsa_enable_private_segment 0
		.amdhsa_system_sgpr_workgroup_id_x 1
		.amdhsa_system_sgpr_workgroup_id_y 0
		.amdhsa_system_sgpr_workgroup_id_z 0
		.amdhsa_system_sgpr_workgroup_info 0
		.amdhsa_system_vgpr_workitem_id 0
		.amdhsa_next_free_vgpr 1
		.amdhsa_next_free_sgpr 0
		.amdhsa_accum_offset 4
		.amdhsa_reserve_vcc 0
		.amdhsa_float_round_mode_32 0
		.amdhsa_float_round_mode_16_64 0
		.amdhsa_float_denorm_mode_32 3
		.amdhsa_float_denorm_mode_16_64 3
		.amdhsa_dx10_clamp 1
		.amdhsa_ieee_mode 1
		.amdhsa_fp16_overflow 0
		.amdhsa_tg_split 0
		.amdhsa_exception_fp_ieee_invalid_op 0
		.amdhsa_exception_fp_denorm_src 0
		.amdhsa_exception_fp_ieee_div_zero 0
		.amdhsa_exception_fp_ieee_overflow 0
		.amdhsa_exception_fp_ieee_underflow 0
		.amdhsa_exception_fp_ieee_inexact 0
		.amdhsa_exception_int_div_zero 0
	.end_amdhsa_kernel
	.section	.text._ZN7rocprim17ROCPRIM_400000_NS6detail17trampoline_kernelINS0_14default_configENS1_25partition_config_selectorILNS1_17partition_subalgoE8ElNS0_10empty_typeEbEEZZNS1_14partition_implILS5_8ELb0ES3_jPlPS6_PKS6_NS0_5tupleIJS9_S6_EEENSD_IJSA_SA_EEENS0_18inequality_wrapperIZN2at6native12_GLOBAL__N_124unique_dim_cuda_templateIN3c104HalfEEESt5tupleIJNSH_6TensorESO_SO_EERKSO_lbbbEUlllE0_EEPmJS6_EEE10hipError_tPvRmT3_T4_T5_T6_T7_T9_mT8_P12ihipStream_tbDpT10_ENKUlT_T0_E_clISt17integral_constantIbLb1EES1E_EEDaS19_S1A_EUlS19_E_NS1_11comp_targetILNS1_3genE9ELNS1_11target_archE1100ELNS1_3gpuE3ELNS1_3repE0EEENS1_30default_config_static_selectorELNS0_4arch9wavefront6targetE1EEEvT1_,"axG",@progbits,_ZN7rocprim17ROCPRIM_400000_NS6detail17trampoline_kernelINS0_14default_configENS1_25partition_config_selectorILNS1_17partition_subalgoE8ElNS0_10empty_typeEbEEZZNS1_14partition_implILS5_8ELb0ES3_jPlPS6_PKS6_NS0_5tupleIJS9_S6_EEENSD_IJSA_SA_EEENS0_18inequality_wrapperIZN2at6native12_GLOBAL__N_124unique_dim_cuda_templateIN3c104HalfEEESt5tupleIJNSH_6TensorESO_SO_EERKSO_lbbbEUlllE0_EEPmJS6_EEE10hipError_tPvRmT3_T4_T5_T6_T7_T9_mT8_P12ihipStream_tbDpT10_ENKUlT_T0_E_clISt17integral_constantIbLb1EES1E_EEDaS19_S1A_EUlS19_E_NS1_11comp_targetILNS1_3genE9ELNS1_11target_archE1100ELNS1_3gpuE3ELNS1_3repE0EEENS1_30default_config_static_selectorELNS0_4arch9wavefront6targetE1EEEvT1_,comdat
.Lfunc_end1319:
	.size	_ZN7rocprim17ROCPRIM_400000_NS6detail17trampoline_kernelINS0_14default_configENS1_25partition_config_selectorILNS1_17partition_subalgoE8ElNS0_10empty_typeEbEEZZNS1_14partition_implILS5_8ELb0ES3_jPlPS6_PKS6_NS0_5tupleIJS9_S6_EEENSD_IJSA_SA_EEENS0_18inequality_wrapperIZN2at6native12_GLOBAL__N_124unique_dim_cuda_templateIN3c104HalfEEESt5tupleIJNSH_6TensorESO_SO_EERKSO_lbbbEUlllE0_EEPmJS6_EEE10hipError_tPvRmT3_T4_T5_T6_T7_T9_mT8_P12ihipStream_tbDpT10_ENKUlT_T0_E_clISt17integral_constantIbLb1EES1E_EEDaS19_S1A_EUlS19_E_NS1_11comp_targetILNS1_3genE9ELNS1_11target_archE1100ELNS1_3gpuE3ELNS1_3repE0EEENS1_30default_config_static_selectorELNS0_4arch9wavefront6targetE1EEEvT1_, .Lfunc_end1319-_ZN7rocprim17ROCPRIM_400000_NS6detail17trampoline_kernelINS0_14default_configENS1_25partition_config_selectorILNS1_17partition_subalgoE8ElNS0_10empty_typeEbEEZZNS1_14partition_implILS5_8ELb0ES3_jPlPS6_PKS6_NS0_5tupleIJS9_S6_EEENSD_IJSA_SA_EEENS0_18inequality_wrapperIZN2at6native12_GLOBAL__N_124unique_dim_cuda_templateIN3c104HalfEEESt5tupleIJNSH_6TensorESO_SO_EERKSO_lbbbEUlllE0_EEPmJS6_EEE10hipError_tPvRmT3_T4_T5_T6_T7_T9_mT8_P12ihipStream_tbDpT10_ENKUlT_T0_E_clISt17integral_constantIbLb1EES1E_EEDaS19_S1A_EUlS19_E_NS1_11comp_targetILNS1_3genE9ELNS1_11target_archE1100ELNS1_3gpuE3ELNS1_3repE0EEENS1_30default_config_static_selectorELNS0_4arch9wavefront6targetE1EEEvT1_
                                        ; -- End function
	.section	.AMDGPU.csdata,"",@progbits
; Kernel info:
; codeLenInByte = 0
; NumSgprs: 6
; NumVgprs: 0
; NumAgprs: 0
; TotalNumVgprs: 0
; ScratchSize: 0
; MemoryBound: 0
; FloatMode: 240
; IeeeMode: 1
; LDSByteSize: 0 bytes/workgroup (compile time only)
; SGPRBlocks: 0
; VGPRBlocks: 0
; NumSGPRsForWavesPerEU: 6
; NumVGPRsForWavesPerEU: 1
; AccumOffset: 4
; Occupancy: 8
; WaveLimiterHint : 0
; COMPUTE_PGM_RSRC2:SCRATCH_EN: 0
; COMPUTE_PGM_RSRC2:USER_SGPR: 2
; COMPUTE_PGM_RSRC2:TRAP_HANDLER: 0
; COMPUTE_PGM_RSRC2:TGID_X_EN: 1
; COMPUTE_PGM_RSRC2:TGID_Y_EN: 0
; COMPUTE_PGM_RSRC2:TGID_Z_EN: 0
; COMPUTE_PGM_RSRC2:TIDIG_COMP_CNT: 0
; COMPUTE_PGM_RSRC3_GFX90A:ACCUM_OFFSET: 0
; COMPUTE_PGM_RSRC3_GFX90A:TG_SPLIT: 0
	.section	.text._ZN7rocprim17ROCPRIM_400000_NS6detail17trampoline_kernelINS0_14default_configENS1_25partition_config_selectorILNS1_17partition_subalgoE8ElNS0_10empty_typeEbEEZZNS1_14partition_implILS5_8ELb0ES3_jPlPS6_PKS6_NS0_5tupleIJS9_S6_EEENSD_IJSA_SA_EEENS0_18inequality_wrapperIZN2at6native12_GLOBAL__N_124unique_dim_cuda_templateIN3c104HalfEEESt5tupleIJNSH_6TensorESO_SO_EERKSO_lbbbEUlllE0_EEPmJS6_EEE10hipError_tPvRmT3_T4_T5_T6_T7_T9_mT8_P12ihipStream_tbDpT10_ENKUlT_T0_E_clISt17integral_constantIbLb1EES1E_EEDaS19_S1A_EUlS19_E_NS1_11comp_targetILNS1_3genE8ELNS1_11target_archE1030ELNS1_3gpuE2ELNS1_3repE0EEENS1_30default_config_static_selectorELNS0_4arch9wavefront6targetE1EEEvT1_,"axG",@progbits,_ZN7rocprim17ROCPRIM_400000_NS6detail17trampoline_kernelINS0_14default_configENS1_25partition_config_selectorILNS1_17partition_subalgoE8ElNS0_10empty_typeEbEEZZNS1_14partition_implILS5_8ELb0ES3_jPlPS6_PKS6_NS0_5tupleIJS9_S6_EEENSD_IJSA_SA_EEENS0_18inequality_wrapperIZN2at6native12_GLOBAL__N_124unique_dim_cuda_templateIN3c104HalfEEESt5tupleIJNSH_6TensorESO_SO_EERKSO_lbbbEUlllE0_EEPmJS6_EEE10hipError_tPvRmT3_T4_T5_T6_T7_T9_mT8_P12ihipStream_tbDpT10_ENKUlT_T0_E_clISt17integral_constantIbLb1EES1E_EEDaS19_S1A_EUlS19_E_NS1_11comp_targetILNS1_3genE8ELNS1_11target_archE1030ELNS1_3gpuE2ELNS1_3repE0EEENS1_30default_config_static_selectorELNS0_4arch9wavefront6targetE1EEEvT1_,comdat
	.globl	_ZN7rocprim17ROCPRIM_400000_NS6detail17trampoline_kernelINS0_14default_configENS1_25partition_config_selectorILNS1_17partition_subalgoE8ElNS0_10empty_typeEbEEZZNS1_14partition_implILS5_8ELb0ES3_jPlPS6_PKS6_NS0_5tupleIJS9_S6_EEENSD_IJSA_SA_EEENS0_18inequality_wrapperIZN2at6native12_GLOBAL__N_124unique_dim_cuda_templateIN3c104HalfEEESt5tupleIJNSH_6TensorESO_SO_EERKSO_lbbbEUlllE0_EEPmJS6_EEE10hipError_tPvRmT3_T4_T5_T6_T7_T9_mT8_P12ihipStream_tbDpT10_ENKUlT_T0_E_clISt17integral_constantIbLb1EES1E_EEDaS19_S1A_EUlS19_E_NS1_11comp_targetILNS1_3genE8ELNS1_11target_archE1030ELNS1_3gpuE2ELNS1_3repE0EEENS1_30default_config_static_selectorELNS0_4arch9wavefront6targetE1EEEvT1_ ; -- Begin function _ZN7rocprim17ROCPRIM_400000_NS6detail17trampoline_kernelINS0_14default_configENS1_25partition_config_selectorILNS1_17partition_subalgoE8ElNS0_10empty_typeEbEEZZNS1_14partition_implILS5_8ELb0ES3_jPlPS6_PKS6_NS0_5tupleIJS9_S6_EEENSD_IJSA_SA_EEENS0_18inequality_wrapperIZN2at6native12_GLOBAL__N_124unique_dim_cuda_templateIN3c104HalfEEESt5tupleIJNSH_6TensorESO_SO_EERKSO_lbbbEUlllE0_EEPmJS6_EEE10hipError_tPvRmT3_T4_T5_T6_T7_T9_mT8_P12ihipStream_tbDpT10_ENKUlT_T0_E_clISt17integral_constantIbLb1EES1E_EEDaS19_S1A_EUlS19_E_NS1_11comp_targetILNS1_3genE8ELNS1_11target_archE1030ELNS1_3gpuE2ELNS1_3repE0EEENS1_30default_config_static_selectorELNS0_4arch9wavefront6targetE1EEEvT1_
	.p2align	8
	.type	_ZN7rocprim17ROCPRIM_400000_NS6detail17trampoline_kernelINS0_14default_configENS1_25partition_config_selectorILNS1_17partition_subalgoE8ElNS0_10empty_typeEbEEZZNS1_14partition_implILS5_8ELb0ES3_jPlPS6_PKS6_NS0_5tupleIJS9_S6_EEENSD_IJSA_SA_EEENS0_18inequality_wrapperIZN2at6native12_GLOBAL__N_124unique_dim_cuda_templateIN3c104HalfEEESt5tupleIJNSH_6TensorESO_SO_EERKSO_lbbbEUlllE0_EEPmJS6_EEE10hipError_tPvRmT3_T4_T5_T6_T7_T9_mT8_P12ihipStream_tbDpT10_ENKUlT_T0_E_clISt17integral_constantIbLb1EES1E_EEDaS19_S1A_EUlS19_E_NS1_11comp_targetILNS1_3genE8ELNS1_11target_archE1030ELNS1_3gpuE2ELNS1_3repE0EEENS1_30default_config_static_selectorELNS0_4arch9wavefront6targetE1EEEvT1_,@function
_ZN7rocprim17ROCPRIM_400000_NS6detail17trampoline_kernelINS0_14default_configENS1_25partition_config_selectorILNS1_17partition_subalgoE8ElNS0_10empty_typeEbEEZZNS1_14partition_implILS5_8ELb0ES3_jPlPS6_PKS6_NS0_5tupleIJS9_S6_EEENSD_IJSA_SA_EEENS0_18inequality_wrapperIZN2at6native12_GLOBAL__N_124unique_dim_cuda_templateIN3c104HalfEEESt5tupleIJNSH_6TensorESO_SO_EERKSO_lbbbEUlllE0_EEPmJS6_EEE10hipError_tPvRmT3_T4_T5_T6_T7_T9_mT8_P12ihipStream_tbDpT10_ENKUlT_T0_E_clISt17integral_constantIbLb1EES1E_EEDaS19_S1A_EUlS19_E_NS1_11comp_targetILNS1_3genE8ELNS1_11target_archE1030ELNS1_3gpuE2ELNS1_3repE0EEENS1_30default_config_static_selectorELNS0_4arch9wavefront6targetE1EEEvT1_: ; @_ZN7rocprim17ROCPRIM_400000_NS6detail17trampoline_kernelINS0_14default_configENS1_25partition_config_selectorILNS1_17partition_subalgoE8ElNS0_10empty_typeEbEEZZNS1_14partition_implILS5_8ELb0ES3_jPlPS6_PKS6_NS0_5tupleIJS9_S6_EEENSD_IJSA_SA_EEENS0_18inequality_wrapperIZN2at6native12_GLOBAL__N_124unique_dim_cuda_templateIN3c104HalfEEESt5tupleIJNSH_6TensorESO_SO_EERKSO_lbbbEUlllE0_EEPmJS6_EEE10hipError_tPvRmT3_T4_T5_T6_T7_T9_mT8_P12ihipStream_tbDpT10_ENKUlT_T0_E_clISt17integral_constantIbLb1EES1E_EEDaS19_S1A_EUlS19_E_NS1_11comp_targetILNS1_3genE8ELNS1_11target_archE1030ELNS1_3gpuE2ELNS1_3repE0EEENS1_30default_config_static_selectorELNS0_4arch9wavefront6targetE1EEEvT1_
; %bb.0:
	.section	.rodata,"a",@progbits
	.p2align	6, 0x0
	.amdhsa_kernel _ZN7rocprim17ROCPRIM_400000_NS6detail17trampoline_kernelINS0_14default_configENS1_25partition_config_selectorILNS1_17partition_subalgoE8ElNS0_10empty_typeEbEEZZNS1_14partition_implILS5_8ELb0ES3_jPlPS6_PKS6_NS0_5tupleIJS9_S6_EEENSD_IJSA_SA_EEENS0_18inequality_wrapperIZN2at6native12_GLOBAL__N_124unique_dim_cuda_templateIN3c104HalfEEESt5tupleIJNSH_6TensorESO_SO_EERKSO_lbbbEUlllE0_EEPmJS6_EEE10hipError_tPvRmT3_T4_T5_T6_T7_T9_mT8_P12ihipStream_tbDpT10_ENKUlT_T0_E_clISt17integral_constantIbLb1EES1E_EEDaS19_S1A_EUlS19_E_NS1_11comp_targetILNS1_3genE8ELNS1_11target_archE1030ELNS1_3gpuE2ELNS1_3repE0EEENS1_30default_config_static_selectorELNS0_4arch9wavefront6targetE1EEEvT1_
		.amdhsa_group_segment_fixed_size 0
		.amdhsa_private_segment_fixed_size 0
		.amdhsa_kernarg_size 136
		.amdhsa_user_sgpr_count 2
		.amdhsa_user_sgpr_dispatch_ptr 0
		.amdhsa_user_sgpr_queue_ptr 0
		.amdhsa_user_sgpr_kernarg_segment_ptr 1
		.amdhsa_user_sgpr_dispatch_id 0
		.amdhsa_user_sgpr_kernarg_preload_length 0
		.amdhsa_user_sgpr_kernarg_preload_offset 0
		.amdhsa_user_sgpr_private_segment_size 0
		.amdhsa_uses_dynamic_stack 0
		.amdhsa_enable_private_segment 0
		.amdhsa_system_sgpr_workgroup_id_x 1
		.amdhsa_system_sgpr_workgroup_id_y 0
		.amdhsa_system_sgpr_workgroup_id_z 0
		.amdhsa_system_sgpr_workgroup_info 0
		.amdhsa_system_vgpr_workitem_id 0
		.amdhsa_next_free_vgpr 1
		.amdhsa_next_free_sgpr 0
		.amdhsa_accum_offset 4
		.amdhsa_reserve_vcc 0
		.amdhsa_float_round_mode_32 0
		.amdhsa_float_round_mode_16_64 0
		.amdhsa_float_denorm_mode_32 3
		.amdhsa_float_denorm_mode_16_64 3
		.amdhsa_dx10_clamp 1
		.amdhsa_ieee_mode 1
		.amdhsa_fp16_overflow 0
		.amdhsa_tg_split 0
		.amdhsa_exception_fp_ieee_invalid_op 0
		.amdhsa_exception_fp_denorm_src 0
		.amdhsa_exception_fp_ieee_div_zero 0
		.amdhsa_exception_fp_ieee_overflow 0
		.amdhsa_exception_fp_ieee_underflow 0
		.amdhsa_exception_fp_ieee_inexact 0
		.amdhsa_exception_int_div_zero 0
	.end_amdhsa_kernel
	.section	.text._ZN7rocprim17ROCPRIM_400000_NS6detail17trampoline_kernelINS0_14default_configENS1_25partition_config_selectorILNS1_17partition_subalgoE8ElNS0_10empty_typeEbEEZZNS1_14partition_implILS5_8ELb0ES3_jPlPS6_PKS6_NS0_5tupleIJS9_S6_EEENSD_IJSA_SA_EEENS0_18inequality_wrapperIZN2at6native12_GLOBAL__N_124unique_dim_cuda_templateIN3c104HalfEEESt5tupleIJNSH_6TensorESO_SO_EERKSO_lbbbEUlllE0_EEPmJS6_EEE10hipError_tPvRmT3_T4_T5_T6_T7_T9_mT8_P12ihipStream_tbDpT10_ENKUlT_T0_E_clISt17integral_constantIbLb1EES1E_EEDaS19_S1A_EUlS19_E_NS1_11comp_targetILNS1_3genE8ELNS1_11target_archE1030ELNS1_3gpuE2ELNS1_3repE0EEENS1_30default_config_static_selectorELNS0_4arch9wavefront6targetE1EEEvT1_,"axG",@progbits,_ZN7rocprim17ROCPRIM_400000_NS6detail17trampoline_kernelINS0_14default_configENS1_25partition_config_selectorILNS1_17partition_subalgoE8ElNS0_10empty_typeEbEEZZNS1_14partition_implILS5_8ELb0ES3_jPlPS6_PKS6_NS0_5tupleIJS9_S6_EEENSD_IJSA_SA_EEENS0_18inequality_wrapperIZN2at6native12_GLOBAL__N_124unique_dim_cuda_templateIN3c104HalfEEESt5tupleIJNSH_6TensorESO_SO_EERKSO_lbbbEUlllE0_EEPmJS6_EEE10hipError_tPvRmT3_T4_T5_T6_T7_T9_mT8_P12ihipStream_tbDpT10_ENKUlT_T0_E_clISt17integral_constantIbLb1EES1E_EEDaS19_S1A_EUlS19_E_NS1_11comp_targetILNS1_3genE8ELNS1_11target_archE1030ELNS1_3gpuE2ELNS1_3repE0EEENS1_30default_config_static_selectorELNS0_4arch9wavefront6targetE1EEEvT1_,comdat
.Lfunc_end1320:
	.size	_ZN7rocprim17ROCPRIM_400000_NS6detail17trampoline_kernelINS0_14default_configENS1_25partition_config_selectorILNS1_17partition_subalgoE8ElNS0_10empty_typeEbEEZZNS1_14partition_implILS5_8ELb0ES3_jPlPS6_PKS6_NS0_5tupleIJS9_S6_EEENSD_IJSA_SA_EEENS0_18inequality_wrapperIZN2at6native12_GLOBAL__N_124unique_dim_cuda_templateIN3c104HalfEEESt5tupleIJNSH_6TensorESO_SO_EERKSO_lbbbEUlllE0_EEPmJS6_EEE10hipError_tPvRmT3_T4_T5_T6_T7_T9_mT8_P12ihipStream_tbDpT10_ENKUlT_T0_E_clISt17integral_constantIbLb1EES1E_EEDaS19_S1A_EUlS19_E_NS1_11comp_targetILNS1_3genE8ELNS1_11target_archE1030ELNS1_3gpuE2ELNS1_3repE0EEENS1_30default_config_static_selectorELNS0_4arch9wavefront6targetE1EEEvT1_, .Lfunc_end1320-_ZN7rocprim17ROCPRIM_400000_NS6detail17trampoline_kernelINS0_14default_configENS1_25partition_config_selectorILNS1_17partition_subalgoE8ElNS0_10empty_typeEbEEZZNS1_14partition_implILS5_8ELb0ES3_jPlPS6_PKS6_NS0_5tupleIJS9_S6_EEENSD_IJSA_SA_EEENS0_18inequality_wrapperIZN2at6native12_GLOBAL__N_124unique_dim_cuda_templateIN3c104HalfEEESt5tupleIJNSH_6TensorESO_SO_EERKSO_lbbbEUlllE0_EEPmJS6_EEE10hipError_tPvRmT3_T4_T5_T6_T7_T9_mT8_P12ihipStream_tbDpT10_ENKUlT_T0_E_clISt17integral_constantIbLb1EES1E_EEDaS19_S1A_EUlS19_E_NS1_11comp_targetILNS1_3genE8ELNS1_11target_archE1030ELNS1_3gpuE2ELNS1_3repE0EEENS1_30default_config_static_selectorELNS0_4arch9wavefront6targetE1EEEvT1_
                                        ; -- End function
	.section	.AMDGPU.csdata,"",@progbits
; Kernel info:
; codeLenInByte = 0
; NumSgprs: 6
; NumVgprs: 0
; NumAgprs: 0
; TotalNumVgprs: 0
; ScratchSize: 0
; MemoryBound: 0
; FloatMode: 240
; IeeeMode: 1
; LDSByteSize: 0 bytes/workgroup (compile time only)
; SGPRBlocks: 0
; VGPRBlocks: 0
; NumSGPRsForWavesPerEU: 6
; NumVGPRsForWavesPerEU: 1
; AccumOffset: 4
; Occupancy: 8
; WaveLimiterHint : 0
; COMPUTE_PGM_RSRC2:SCRATCH_EN: 0
; COMPUTE_PGM_RSRC2:USER_SGPR: 2
; COMPUTE_PGM_RSRC2:TRAP_HANDLER: 0
; COMPUTE_PGM_RSRC2:TGID_X_EN: 1
; COMPUTE_PGM_RSRC2:TGID_Y_EN: 0
; COMPUTE_PGM_RSRC2:TGID_Z_EN: 0
; COMPUTE_PGM_RSRC2:TIDIG_COMP_CNT: 0
; COMPUTE_PGM_RSRC3_GFX90A:ACCUM_OFFSET: 0
; COMPUTE_PGM_RSRC3_GFX90A:TG_SPLIT: 0
	.section	.text._ZN7rocprim17ROCPRIM_400000_NS6detail17trampoline_kernelINS0_14default_configENS1_25partition_config_selectorILNS1_17partition_subalgoE8ElNS0_10empty_typeEbEEZZNS1_14partition_implILS5_8ELb0ES3_jPlPS6_PKS6_NS0_5tupleIJS9_S6_EEENSD_IJSA_SA_EEENS0_18inequality_wrapperIZN2at6native12_GLOBAL__N_124unique_dim_cuda_templateIN3c104HalfEEESt5tupleIJNSH_6TensorESO_SO_EERKSO_lbbbEUlllE0_EEPmJS6_EEE10hipError_tPvRmT3_T4_T5_T6_T7_T9_mT8_P12ihipStream_tbDpT10_ENKUlT_T0_E_clISt17integral_constantIbLb1EES1D_IbLb0EEEEDaS19_S1A_EUlS19_E_NS1_11comp_targetILNS1_3genE0ELNS1_11target_archE4294967295ELNS1_3gpuE0ELNS1_3repE0EEENS1_30default_config_static_selectorELNS0_4arch9wavefront6targetE1EEEvT1_,"axG",@progbits,_ZN7rocprim17ROCPRIM_400000_NS6detail17trampoline_kernelINS0_14default_configENS1_25partition_config_selectorILNS1_17partition_subalgoE8ElNS0_10empty_typeEbEEZZNS1_14partition_implILS5_8ELb0ES3_jPlPS6_PKS6_NS0_5tupleIJS9_S6_EEENSD_IJSA_SA_EEENS0_18inequality_wrapperIZN2at6native12_GLOBAL__N_124unique_dim_cuda_templateIN3c104HalfEEESt5tupleIJNSH_6TensorESO_SO_EERKSO_lbbbEUlllE0_EEPmJS6_EEE10hipError_tPvRmT3_T4_T5_T6_T7_T9_mT8_P12ihipStream_tbDpT10_ENKUlT_T0_E_clISt17integral_constantIbLb1EES1D_IbLb0EEEEDaS19_S1A_EUlS19_E_NS1_11comp_targetILNS1_3genE0ELNS1_11target_archE4294967295ELNS1_3gpuE0ELNS1_3repE0EEENS1_30default_config_static_selectorELNS0_4arch9wavefront6targetE1EEEvT1_,comdat
	.globl	_ZN7rocprim17ROCPRIM_400000_NS6detail17trampoline_kernelINS0_14default_configENS1_25partition_config_selectorILNS1_17partition_subalgoE8ElNS0_10empty_typeEbEEZZNS1_14partition_implILS5_8ELb0ES3_jPlPS6_PKS6_NS0_5tupleIJS9_S6_EEENSD_IJSA_SA_EEENS0_18inequality_wrapperIZN2at6native12_GLOBAL__N_124unique_dim_cuda_templateIN3c104HalfEEESt5tupleIJNSH_6TensorESO_SO_EERKSO_lbbbEUlllE0_EEPmJS6_EEE10hipError_tPvRmT3_T4_T5_T6_T7_T9_mT8_P12ihipStream_tbDpT10_ENKUlT_T0_E_clISt17integral_constantIbLb1EES1D_IbLb0EEEEDaS19_S1A_EUlS19_E_NS1_11comp_targetILNS1_3genE0ELNS1_11target_archE4294967295ELNS1_3gpuE0ELNS1_3repE0EEENS1_30default_config_static_selectorELNS0_4arch9wavefront6targetE1EEEvT1_ ; -- Begin function _ZN7rocprim17ROCPRIM_400000_NS6detail17trampoline_kernelINS0_14default_configENS1_25partition_config_selectorILNS1_17partition_subalgoE8ElNS0_10empty_typeEbEEZZNS1_14partition_implILS5_8ELb0ES3_jPlPS6_PKS6_NS0_5tupleIJS9_S6_EEENSD_IJSA_SA_EEENS0_18inequality_wrapperIZN2at6native12_GLOBAL__N_124unique_dim_cuda_templateIN3c104HalfEEESt5tupleIJNSH_6TensorESO_SO_EERKSO_lbbbEUlllE0_EEPmJS6_EEE10hipError_tPvRmT3_T4_T5_T6_T7_T9_mT8_P12ihipStream_tbDpT10_ENKUlT_T0_E_clISt17integral_constantIbLb1EES1D_IbLb0EEEEDaS19_S1A_EUlS19_E_NS1_11comp_targetILNS1_3genE0ELNS1_11target_archE4294967295ELNS1_3gpuE0ELNS1_3repE0EEENS1_30default_config_static_selectorELNS0_4arch9wavefront6targetE1EEEvT1_
	.p2align	8
	.type	_ZN7rocprim17ROCPRIM_400000_NS6detail17trampoline_kernelINS0_14default_configENS1_25partition_config_selectorILNS1_17partition_subalgoE8ElNS0_10empty_typeEbEEZZNS1_14partition_implILS5_8ELb0ES3_jPlPS6_PKS6_NS0_5tupleIJS9_S6_EEENSD_IJSA_SA_EEENS0_18inequality_wrapperIZN2at6native12_GLOBAL__N_124unique_dim_cuda_templateIN3c104HalfEEESt5tupleIJNSH_6TensorESO_SO_EERKSO_lbbbEUlllE0_EEPmJS6_EEE10hipError_tPvRmT3_T4_T5_T6_T7_T9_mT8_P12ihipStream_tbDpT10_ENKUlT_T0_E_clISt17integral_constantIbLb1EES1D_IbLb0EEEEDaS19_S1A_EUlS19_E_NS1_11comp_targetILNS1_3genE0ELNS1_11target_archE4294967295ELNS1_3gpuE0ELNS1_3repE0EEENS1_30default_config_static_selectorELNS0_4arch9wavefront6targetE1EEEvT1_,@function
_ZN7rocprim17ROCPRIM_400000_NS6detail17trampoline_kernelINS0_14default_configENS1_25partition_config_selectorILNS1_17partition_subalgoE8ElNS0_10empty_typeEbEEZZNS1_14partition_implILS5_8ELb0ES3_jPlPS6_PKS6_NS0_5tupleIJS9_S6_EEENSD_IJSA_SA_EEENS0_18inequality_wrapperIZN2at6native12_GLOBAL__N_124unique_dim_cuda_templateIN3c104HalfEEESt5tupleIJNSH_6TensorESO_SO_EERKSO_lbbbEUlllE0_EEPmJS6_EEE10hipError_tPvRmT3_T4_T5_T6_T7_T9_mT8_P12ihipStream_tbDpT10_ENKUlT_T0_E_clISt17integral_constantIbLb1EES1D_IbLb0EEEEDaS19_S1A_EUlS19_E_NS1_11comp_targetILNS1_3genE0ELNS1_11target_archE4294967295ELNS1_3gpuE0ELNS1_3repE0EEENS1_30default_config_static_selectorELNS0_4arch9wavefront6targetE1EEEvT1_: ; @_ZN7rocprim17ROCPRIM_400000_NS6detail17trampoline_kernelINS0_14default_configENS1_25partition_config_selectorILNS1_17partition_subalgoE8ElNS0_10empty_typeEbEEZZNS1_14partition_implILS5_8ELb0ES3_jPlPS6_PKS6_NS0_5tupleIJS9_S6_EEENSD_IJSA_SA_EEENS0_18inequality_wrapperIZN2at6native12_GLOBAL__N_124unique_dim_cuda_templateIN3c104HalfEEESt5tupleIJNSH_6TensorESO_SO_EERKSO_lbbbEUlllE0_EEPmJS6_EEE10hipError_tPvRmT3_T4_T5_T6_T7_T9_mT8_P12ihipStream_tbDpT10_ENKUlT_T0_E_clISt17integral_constantIbLb1EES1D_IbLb0EEEEDaS19_S1A_EUlS19_E_NS1_11comp_targetILNS1_3genE0ELNS1_11target_archE4294967295ELNS1_3gpuE0ELNS1_3repE0EEENS1_30default_config_static_selectorELNS0_4arch9wavefront6targetE1EEEvT1_
; %bb.0:
	.section	.rodata,"a",@progbits
	.p2align	6, 0x0
	.amdhsa_kernel _ZN7rocprim17ROCPRIM_400000_NS6detail17trampoline_kernelINS0_14default_configENS1_25partition_config_selectorILNS1_17partition_subalgoE8ElNS0_10empty_typeEbEEZZNS1_14partition_implILS5_8ELb0ES3_jPlPS6_PKS6_NS0_5tupleIJS9_S6_EEENSD_IJSA_SA_EEENS0_18inequality_wrapperIZN2at6native12_GLOBAL__N_124unique_dim_cuda_templateIN3c104HalfEEESt5tupleIJNSH_6TensorESO_SO_EERKSO_lbbbEUlllE0_EEPmJS6_EEE10hipError_tPvRmT3_T4_T5_T6_T7_T9_mT8_P12ihipStream_tbDpT10_ENKUlT_T0_E_clISt17integral_constantIbLb1EES1D_IbLb0EEEEDaS19_S1A_EUlS19_E_NS1_11comp_targetILNS1_3genE0ELNS1_11target_archE4294967295ELNS1_3gpuE0ELNS1_3repE0EEENS1_30default_config_static_selectorELNS0_4arch9wavefront6targetE1EEEvT1_
		.amdhsa_group_segment_fixed_size 0
		.amdhsa_private_segment_fixed_size 0
		.amdhsa_kernarg_size 120
		.amdhsa_user_sgpr_count 2
		.amdhsa_user_sgpr_dispatch_ptr 0
		.amdhsa_user_sgpr_queue_ptr 0
		.amdhsa_user_sgpr_kernarg_segment_ptr 1
		.amdhsa_user_sgpr_dispatch_id 0
		.amdhsa_user_sgpr_kernarg_preload_length 0
		.amdhsa_user_sgpr_kernarg_preload_offset 0
		.amdhsa_user_sgpr_private_segment_size 0
		.amdhsa_uses_dynamic_stack 0
		.amdhsa_enable_private_segment 0
		.amdhsa_system_sgpr_workgroup_id_x 1
		.amdhsa_system_sgpr_workgroup_id_y 0
		.amdhsa_system_sgpr_workgroup_id_z 0
		.amdhsa_system_sgpr_workgroup_info 0
		.amdhsa_system_vgpr_workitem_id 0
		.amdhsa_next_free_vgpr 1
		.amdhsa_next_free_sgpr 0
		.amdhsa_accum_offset 4
		.amdhsa_reserve_vcc 0
		.amdhsa_float_round_mode_32 0
		.amdhsa_float_round_mode_16_64 0
		.amdhsa_float_denorm_mode_32 3
		.amdhsa_float_denorm_mode_16_64 3
		.amdhsa_dx10_clamp 1
		.amdhsa_ieee_mode 1
		.amdhsa_fp16_overflow 0
		.amdhsa_tg_split 0
		.amdhsa_exception_fp_ieee_invalid_op 0
		.amdhsa_exception_fp_denorm_src 0
		.amdhsa_exception_fp_ieee_div_zero 0
		.amdhsa_exception_fp_ieee_overflow 0
		.amdhsa_exception_fp_ieee_underflow 0
		.amdhsa_exception_fp_ieee_inexact 0
		.amdhsa_exception_int_div_zero 0
	.end_amdhsa_kernel
	.section	.text._ZN7rocprim17ROCPRIM_400000_NS6detail17trampoline_kernelINS0_14default_configENS1_25partition_config_selectorILNS1_17partition_subalgoE8ElNS0_10empty_typeEbEEZZNS1_14partition_implILS5_8ELb0ES3_jPlPS6_PKS6_NS0_5tupleIJS9_S6_EEENSD_IJSA_SA_EEENS0_18inequality_wrapperIZN2at6native12_GLOBAL__N_124unique_dim_cuda_templateIN3c104HalfEEESt5tupleIJNSH_6TensorESO_SO_EERKSO_lbbbEUlllE0_EEPmJS6_EEE10hipError_tPvRmT3_T4_T5_T6_T7_T9_mT8_P12ihipStream_tbDpT10_ENKUlT_T0_E_clISt17integral_constantIbLb1EES1D_IbLb0EEEEDaS19_S1A_EUlS19_E_NS1_11comp_targetILNS1_3genE0ELNS1_11target_archE4294967295ELNS1_3gpuE0ELNS1_3repE0EEENS1_30default_config_static_selectorELNS0_4arch9wavefront6targetE1EEEvT1_,"axG",@progbits,_ZN7rocprim17ROCPRIM_400000_NS6detail17trampoline_kernelINS0_14default_configENS1_25partition_config_selectorILNS1_17partition_subalgoE8ElNS0_10empty_typeEbEEZZNS1_14partition_implILS5_8ELb0ES3_jPlPS6_PKS6_NS0_5tupleIJS9_S6_EEENSD_IJSA_SA_EEENS0_18inequality_wrapperIZN2at6native12_GLOBAL__N_124unique_dim_cuda_templateIN3c104HalfEEESt5tupleIJNSH_6TensorESO_SO_EERKSO_lbbbEUlllE0_EEPmJS6_EEE10hipError_tPvRmT3_T4_T5_T6_T7_T9_mT8_P12ihipStream_tbDpT10_ENKUlT_T0_E_clISt17integral_constantIbLb1EES1D_IbLb0EEEEDaS19_S1A_EUlS19_E_NS1_11comp_targetILNS1_3genE0ELNS1_11target_archE4294967295ELNS1_3gpuE0ELNS1_3repE0EEENS1_30default_config_static_selectorELNS0_4arch9wavefront6targetE1EEEvT1_,comdat
.Lfunc_end1321:
	.size	_ZN7rocprim17ROCPRIM_400000_NS6detail17trampoline_kernelINS0_14default_configENS1_25partition_config_selectorILNS1_17partition_subalgoE8ElNS0_10empty_typeEbEEZZNS1_14partition_implILS5_8ELb0ES3_jPlPS6_PKS6_NS0_5tupleIJS9_S6_EEENSD_IJSA_SA_EEENS0_18inequality_wrapperIZN2at6native12_GLOBAL__N_124unique_dim_cuda_templateIN3c104HalfEEESt5tupleIJNSH_6TensorESO_SO_EERKSO_lbbbEUlllE0_EEPmJS6_EEE10hipError_tPvRmT3_T4_T5_T6_T7_T9_mT8_P12ihipStream_tbDpT10_ENKUlT_T0_E_clISt17integral_constantIbLb1EES1D_IbLb0EEEEDaS19_S1A_EUlS19_E_NS1_11comp_targetILNS1_3genE0ELNS1_11target_archE4294967295ELNS1_3gpuE0ELNS1_3repE0EEENS1_30default_config_static_selectorELNS0_4arch9wavefront6targetE1EEEvT1_, .Lfunc_end1321-_ZN7rocprim17ROCPRIM_400000_NS6detail17trampoline_kernelINS0_14default_configENS1_25partition_config_selectorILNS1_17partition_subalgoE8ElNS0_10empty_typeEbEEZZNS1_14partition_implILS5_8ELb0ES3_jPlPS6_PKS6_NS0_5tupleIJS9_S6_EEENSD_IJSA_SA_EEENS0_18inequality_wrapperIZN2at6native12_GLOBAL__N_124unique_dim_cuda_templateIN3c104HalfEEESt5tupleIJNSH_6TensorESO_SO_EERKSO_lbbbEUlllE0_EEPmJS6_EEE10hipError_tPvRmT3_T4_T5_T6_T7_T9_mT8_P12ihipStream_tbDpT10_ENKUlT_T0_E_clISt17integral_constantIbLb1EES1D_IbLb0EEEEDaS19_S1A_EUlS19_E_NS1_11comp_targetILNS1_3genE0ELNS1_11target_archE4294967295ELNS1_3gpuE0ELNS1_3repE0EEENS1_30default_config_static_selectorELNS0_4arch9wavefront6targetE1EEEvT1_
                                        ; -- End function
	.section	.AMDGPU.csdata,"",@progbits
; Kernel info:
; codeLenInByte = 0
; NumSgprs: 6
; NumVgprs: 0
; NumAgprs: 0
; TotalNumVgprs: 0
; ScratchSize: 0
; MemoryBound: 0
; FloatMode: 240
; IeeeMode: 1
; LDSByteSize: 0 bytes/workgroup (compile time only)
; SGPRBlocks: 0
; VGPRBlocks: 0
; NumSGPRsForWavesPerEU: 6
; NumVGPRsForWavesPerEU: 1
; AccumOffset: 4
; Occupancy: 8
; WaveLimiterHint : 0
; COMPUTE_PGM_RSRC2:SCRATCH_EN: 0
; COMPUTE_PGM_RSRC2:USER_SGPR: 2
; COMPUTE_PGM_RSRC2:TRAP_HANDLER: 0
; COMPUTE_PGM_RSRC2:TGID_X_EN: 1
; COMPUTE_PGM_RSRC2:TGID_Y_EN: 0
; COMPUTE_PGM_RSRC2:TGID_Z_EN: 0
; COMPUTE_PGM_RSRC2:TIDIG_COMP_CNT: 0
; COMPUTE_PGM_RSRC3_GFX90A:ACCUM_OFFSET: 0
; COMPUTE_PGM_RSRC3_GFX90A:TG_SPLIT: 0
	.section	.text._ZN7rocprim17ROCPRIM_400000_NS6detail17trampoline_kernelINS0_14default_configENS1_25partition_config_selectorILNS1_17partition_subalgoE8ElNS0_10empty_typeEbEEZZNS1_14partition_implILS5_8ELb0ES3_jPlPS6_PKS6_NS0_5tupleIJS9_S6_EEENSD_IJSA_SA_EEENS0_18inequality_wrapperIZN2at6native12_GLOBAL__N_124unique_dim_cuda_templateIN3c104HalfEEESt5tupleIJNSH_6TensorESO_SO_EERKSO_lbbbEUlllE0_EEPmJS6_EEE10hipError_tPvRmT3_T4_T5_T6_T7_T9_mT8_P12ihipStream_tbDpT10_ENKUlT_T0_E_clISt17integral_constantIbLb1EES1D_IbLb0EEEEDaS19_S1A_EUlS19_E_NS1_11comp_targetILNS1_3genE5ELNS1_11target_archE942ELNS1_3gpuE9ELNS1_3repE0EEENS1_30default_config_static_selectorELNS0_4arch9wavefront6targetE1EEEvT1_,"axG",@progbits,_ZN7rocprim17ROCPRIM_400000_NS6detail17trampoline_kernelINS0_14default_configENS1_25partition_config_selectorILNS1_17partition_subalgoE8ElNS0_10empty_typeEbEEZZNS1_14partition_implILS5_8ELb0ES3_jPlPS6_PKS6_NS0_5tupleIJS9_S6_EEENSD_IJSA_SA_EEENS0_18inequality_wrapperIZN2at6native12_GLOBAL__N_124unique_dim_cuda_templateIN3c104HalfEEESt5tupleIJNSH_6TensorESO_SO_EERKSO_lbbbEUlllE0_EEPmJS6_EEE10hipError_tPvRmT3_T4_T5_T6_T7_T9_mT8_P12ihipStream_tbDpT10_ENKUlT_T0_E_clISt17integral_constantIbLb1EES1D_IbLb0EEEEDaS19_S1A_EUlS19_E_NS1_11comp_targetILNS1_3genE5ELNS1_11target_archE942ELNS1_3gpuE9ELNS1_3repE0EEENS1_30default_config_static_selectorELNS0_4arch9wavefront6targetE1EEEvT1_,comdat
	.globl	_ZN7rocprim17ROCPRIM_400000_NS6detail17trampoline_kernelINS0_14default_configENS1_25partition_config_selectorILNS1_17partition_subalgoE8ElNS0_10empty_typeEbEEZZNS1_14partition_implILS5_8ELb0ES3_jPlPS6_PKS6_NS0_5tupleIJS9_S6_EEENSD_IJSA_SA_EEENS0_18inequality_wrapperIZN2at6native12_GLOBAL__N_124unique_dim_cuda_templateIN3c104HalfEEESt5tupleIJNSH_6TensorESO_SO_EERKSO_lbbbEUlllE0_EEPmJS6_EEE10hipError_tPvRmT3_T4_T5_T6_T7_T9_mT8_P12ihipStream_tbDpT10_ENKUlT_T0_E_clISt17integral_constantIbLb1EES1D_IbLb0EEEEDaS19_S1A_EUlS19_E_NS1_11comp_targetILNS1_3genE5ELNS1_11target_archE942ELNS1_3gpuE9ELNS1_3repE0EEENS1_30default_config_static_selectorELNS0_4arch9wavefront6targetE1EEEvT1_ ; -- Begin function _ZN7rocprim17ROCPRIM_400000_NS6detail17trampoline_kernelINS0_14default_configENS1_25partition_config_selectorILNS1_17partition_subalgoE8ElNS0_10empty_typeEbEEZZNS1_14partition_implILS5_8ELb0ES3_jPlPS6_PKS6_NS0_5tupleIJS9_S6_EEENSD_IJSA_SA_EEENS0_18inequality_wrapperIZN2at6native12_GLOBAL__N_124unique_dim_cuda_templateIN3c104HalfEEESt5tupleIJNSH_6TensorESO_SO_EERKSO_lbbbEUlllE0_EEPmJS6_EEE10hipError_tPvRmT3_T4_T5_T6_T7_T9_mT8_P12ihipStream_tbDpT10_ENKUlT_T0_E_clISt17integral_constantIbLb1EES1D_IbLb0EEEEDaS19_S1A_EUlS19_E_NS1_11comp_targetILNS1_3genE5ELNS1_11target_archE942ELNS1_3gpuE9ELNS1_3repE0EEENS1_30default_config_static_selectorELNS0_4arch9wavefront6targetE1EEEvT1_
	.p2align	8
	.type	_ZN7rocprim17ROCPRIM_400000_NS6detail17trampoline_kernelINS0_14default_configENS1_25partition_config_selectorILNS1_17partition_subalgoE8ElNS0_10empty_typeEbEEZZNS1_14partition_implILS5_8ELb0ES3_jPlPS6_PKS6_NS0_5tupleIJS9_S6_EEENSD_IJSA_SA_EEENS0_18inequality_wrapperIZN2at6native12_GLOBAL__N_124unique_dim_cuda_templateIN3c104HalfEEESt5tupleIJNSH_6TensorESO_SO_EERKSO_lbbbEUlllE0_EEPmJS6_EEE10hipError_tPvRmT3_T4_T5_T6_T7_T9_mT8_P12ihipStream_tbDpT10_ENKUlT_T0_E_clISt17integral_constantIbLb1EES1D_IbLb0EEEEDaS19_S1A_EUlS19_E_NS1_11comp_targetILNS1_3genE5ELNS1_11target_archE942ELNS1_3gpuE9ELNS1_3repE0EEENS1_30default_config_static_selectorELNS0_4arch9wavefront6targetE1EEEvT1_,@function
_ZN7rocprim17ROCPRIM_400000_NS6detail17trampoline_kernelINS0_14default_configENS1_25partition_config_selectorILNS1_17partition_subalgoE8ElNS0_10empty_typeEbEEZZNS1_14partition_implILS5_8ELb0ES3_jPlPS6_PKS6_NS0_5tupleIJS9_S6_EEENSD_IJSA_SA_EEENS0_18inequality_wrapperIZN2at6native12_GLOBAL__N_124unique_dim_cuda_templateIN3c104HalfEEESt5tupleIJNSH_6TensorESO_SO_EERKSO_lbbbEUlllE0_EEPmJS6_EEE10hipError_tPvRmT3_T4_T5_T6_T7_T9_mT8_P12ihipStream_tbDpT10_ENKUlT_T0_E_clISt17integral_constantIbLb1EES1D_IbLb0EEEEDaS19_S1A_EUlS19_E_NS1_11comp_targetILNS1_3genE5ELNS1_11target_archE942ELNS1_3gpuE9ELNS1_3repE0EEENS1_30default_config_static_selectorELNS0_4arch9wavefront6targetE1EEEvT1_: ; @_ZN7rocprim17ROCPRIM_400000_NS6detail17trampoline_kernelINS0_14default_configENS1_25partition_config_selectorILNS1_17partition_subalgoE8ElNS0_10empty_typeEbEEZZNS1_14partition_implILS5_8ELb0ES3_jPlPS6_PKS6_NS0_5tupleIJS9_S6_EEENSD_IJSA_SA_EEENS0_18inequality_wrapperIZN2at6native12_GLOBAL__N_124unique_dim_cuda_templateIN3c104HalfEEESt5tupleIJNSH_6TensorESO_SO_EERKSO_lbbbEUlllE0_EEPmJS6_EEE10hipError_tPvRmT3_T4_T5_T6_T7_T9_mT8_P12ihipStream_tbDpT10_ENKUlT_T0_E_clISt17integral_constantIbLb1EES1D_IbLb0EEEEDaS19_S1A_EUlS19_E_NS1_11comp_targetILNS1_3genE5ELNS1_11target_archE942ELNS1_3gpuE9ELNS1_3repE0EEENS1_30default_config_static_selectorELNS0_4arch9wavefront6targetE1EEEvT1_
; %bb.0:
	s_load_dwordx8 s[20:27], s[0:1], 0x40
	s_load_dwordx4 s[4:7], s[0:1], 0x8
	s_load_dwordx4 s[28:31], s[0:1], 0x60
	s_load_dword s3, s[0:1], 0x70
	s_waitcnt lgkmcnt(0)
	v_mov_b32_e32 v2, s24
	s_lshl_b64 s[8:9], s[6:7], 3
	s_add_u32 s12, s4, s8
	s_mul_i32 s8, s3, 0xe00
	s_addc_u32 s13, s5, s9
	s_add_i32 s10, s3, -1
	s_add_i32 s3, s8, s6
	s_sub_i32 s3, s24, s3
	s_add_u32 s8, s6, s8
	s_addc_u32 s9, s7, 0
	v_mov_b32_e32 v3, s25
	s_cmp_eq_u32 s2, s10
	s_load_dwordx2 s[22:23], s[22:23], 0x0
	v_cmp_ge_u64_e32 vcc, s[8:9], v[2:3]
	s_cselect_b64 s[24:25], -1, 0
	s_mul_i32 s4, s2, 0xe00
	s_mov_b32 s5, 0
	s_and_b64 s[8:9], s[24:25], vcc
	s_xor_b64 s[34:35], s[8:9], -1
	s_lshl_b64 s[4:5], s[4:5], 3
	s_add_u32 s4, s12, s4
	s_mov_b64 s[10:11], -1
	s_addc_u32 s5, s13, s5
	s_and_b64 vcc, exec, s[34:35]
	s_cbranch_vccz .LBB1322_2
; %bb.1:
	v_lshlrev_b32_e32 v2, 3, v0
	v_mov_b32_e32 v3, 0
	v_lshl_add_u64 v[4:5], s[4:5], 0, v[2:3]
	v_add_co_u32_e32 v8, vcc, 0x1000, v4
	global_load_dwordx2 v[6:7], v2, s[4:5]
	s_nop 0
	v_addc_co_u32_e32 v9, vcc, 0, v5, vcc
	v_add_co_u32_e32 v10, vcc, 0x2000, v4
	s_mov_b64 s[10:11], 0
	s_nop 0
	v_addc_co_u32_e32 v11, vcc, 0, v5, vcc
	v_add_co_u32_e32 v12, vcc, 0x3000, v4
	s_nop 1
	v_addc_co_u32_e32 v13, vcc, 0, v5, vcc
	v_add_co_u32_e32 v14, vcc, 0x4000, v4
	s_nop 1
	v_addc_co_u32_e32 v15, vcc, 0, v5, vcc
	global_load_dwordx2 v[16:17], v[8:9], off
	global_load_dwordx2 v[18:19], v[10:11], off
	;; [unrolled: 1-line block ×4, first 2 shown]
	v_add_co_u32_e32 v8, vcc, 0x5000, v4
	s_nop 1
	v_addc_co_u32_e32 v9, vcc, 0, v5, vcc
	v_add_co_u32_e32 v4, vcc, 0x6000, v4
	global_load_dwordx2 v[8:9], v[8:9], off
	s_nop 0
	v_addc_co_u32_e32 v5, vcc, 0, v5, vcc
	global_load_dwordx2 v[4:5], v[4:5], off
	s_waitcnt vmcnt(5)
	ds_write2st64_b64 v2, v[6:7], v[16:17] offset1:8
	s_waitcnt vmcnt(3)
	ds_write2st64_b64 v2, v[18:19], v[20:21] offset0:16 offset1:24
	s_waitcnt vmcnt(1)
	ds_write2st64_b64 v2, v[22:23], v[8:9] offset0:32 offset1:40
	s_waitcnt vmcnt(0)
	ds_write_b64 v2, v[4:5] offset:24576
	s_waitcnt lgkmcnt(0)
	s_barrier
.LBB1322_2:
	s_andn2_b64 vcc, exec, s[10:11]
	s_addk_i32 s3, 0xe00
	s_cbranch_vccnz .LBB1322_18
; %bb.3:
	v_cmp_gt_u32_e32 vcc, s3, v0
                                        ; implicit-def: $vgpr2_vgpr3_vgpr4_vgpr5_vgpr6_vgpr7_vgpr8_vgpr9_vgpr10_vgpr11_vgpr12_vgpr13_vgpr14_vgpr15_vgpr16_vgpr17
	s_and_saveexec_b64 s[10:11], vcc
	s_cbranch_execz .LBB1322_5
; %bb.4:
	v_lshlrev_b32_e32 v1, 3, v0
	global_load_dwordx2 v[2:3], v1, s[4:5]
.LBB1322_5:
	s_or_b64 exec, exec, s[10:11]
	v_or_b32_e32 v1, 0x200, v0
	v_cmp_gt_u32_e32 vcc, s3, v1
	s_and_saveexec_b64 s[10:11], vcc
	s_cbranch_execz .LBB1322_7
; %bb.6:
	v_lshlrev_b32_e32 v1, 3, v1
	global_load_dwordx2 v[4:5], v1, s[4:5]
.LBB1322_7:
	s_or_b64 exec, exec, s[10:11]
	v_or_b32_e32 v1, 0x400, v0
	v_cmp_gt_u32_e32 vcc, s3, v1
	;; [unrolled: 9-line block ×6, first 2 shown]
	s_and_saveexec_b64 s[10:11], vcc
	s_cbranch_execz .LBB1322_17
; %bb.16:
	v_lshlrev_b32_e32 v1, 3, v1
	global_load_dwordx2 v[14:15], v1, s[4:5]
.LBB1322_17:
	s_or_b64 exec, exec, s[10:11]
	v_lshlrev_b32_e32 v1, 3, v0
	s_waitcnt vmcnt(0)
	ds_write2st64_b64 v1, v[2:3], v[4:5] offset1:8
	ds_write2st64_b64 v1, v[6:7], v[8:9] offset0:16 offset1:24
	ds_write2st64_b64 v1, v[10:11], v[12:13] offset0:32 offset1:40
	ds_write_b64 v1, v[14:15] offset:24576
	s_waitcnt lgkmcnt(0)
	s_barrier
.LBB1322_18:
	v_mul_u32_u24_e32 v1, 7, v0
	v_lshlrev_b32_e32 v30, 3, v1
	s_waitcnt lgkmcnt(0)
	ds_read2_b64 v[10:13], v30 offset1:1
	ds_read2_b64 v[6:9], v30 offset0:2 offset1:3
	ds_read2_b64 v[2:5], v30 offset0:4 offset1:5
	ds_read_b64 v[14:15], v30 offset:48
	s_cmp_lg_u32 s2, 0
	s_cselect_b64 s[16:17], -1, 0
	s_cmp_lg_u64 s[6:7], 0
	s_cselect_b64 s[6:7], -1, 0
	s_or_b64 s[6:7], s[16:17], s[6:7]
	v_mad_u32_u24 v25, v0, 7, 1
	v_mad_u32_u24 v24, v0, 7, 2
	;; [unrolled: 1-line block ×6, first 2 shown]
	s_mov_b64 s[10:11], 0
	s_and_b64 vcc, exec, s[6:7]
	v_cmp_gt_i64_e64 s[12:13], s[26:27], 0
	s_waitcnt lgkmcnt(0)
	s_barrier
	s_cbranch_vccz .LBB1322_27
; %bb.19:
	s_add_u32 s4, s4, -8
	s_addc_u32 s5, s5, -1
	s_load_dwordx2 s[6:7], s[4:5], 0x0
	v_cndmask_b32_e64 v16, 0, 1, s[12:13]
	v_lshlrev_b32_e32 v31, 3, v0
	s_and_b64 vcc, exec, s[34:35]
	v_cmp_ne_u32_e64 s[4:5], 1, v16
	ds_write_b64 v31, v[14:15]
	s_cbranch_vccz .LBB1322_29
; %bb.20:
	v_mul_lo_u32 v18, v5, s26
	v_mul_lo_u32 v19, v4, s27
	v_mad_u64_u32 v[16:17], s[12:13], v4, s26, 0
	v_add3_u32 v17, v17, v19, v18
	s_and_b64 vcc, exec, s[4:5]
	v_lshl_add_u64 v[16:17], v[16:17], 1, s[28:29]
	s_cbranch_vccnz .LBB1322_32
; %bb.21:
	v_mul_lo_u32 v20, v15, s26
	v_mul_lo_u32 v21, v14, s27
	v_mad_u64_u32 v[18:19], s[10:11], v14, s26, 0
	v_add3_u32 v19, v19, v21, v20
	v_lshl_add_u64 v[18:19], v[18:19], 1, s[28:29]
	global_load_ushort v20, v[16:17], off
	global_load_ushort v21, v[18:19], off
	s_mov_b64 s[10:11], -1
	s_waitcnt vmcnt(0)
	v_cmp_eq_f16_e32 vcc, v20, v21
	s_and_saveexec_b64 s[12:13], vcc
	s_cbranch_execz .LBB1322_31
; %bb.22:
	s_add_u32 s10, s26, -1
	v_lshl_add_u64 v[18:19], v[18:19], 0, 2
	v_lshl_add_u64 v[20:21], v[16:17], 0, 2
	s_addc_u32 s11, s27, -1
	s_mov_b64 s[14:15], 0
	s_mov_b64 s[36:37], 0
                                        ; implicit-def: $sgpr18_sgpr19
	s_branch .LBB1322_25
.LBB1322_23:                            ;   in Loop: Header=BB1322_25 Depth=1
	global_load_ushort v22, v[20:21], off
	global_load_ushort v23, v[18:19], off
	s_add_u32 s36, s36, 1
	s_addc_u32 s37, s37, 0
	s_andn2_b64 s[18:19], s[18:19], exec
	v_lshl_add_u64 v[18:19], v[18:19], 0, 2
	v_lshl_add_u64 v[20:21], v[20:21], 0, 2
	s_waitcnt vmcnt(0)
	v_cmp_neq_f16_e32 vcc, v22, v23
	s_and_b64 s[38:39], vcc, exec
	s_or_b64 s[18:19], s[18:19], s[38:39]
.LBB1322_24:                            ;   in Loop: Header=BB1322_25 Depth=1
	s_and_b64 s[38:39], exec, s[18:19]
	s_or_b64 s[14:15], s[38:39], s[14:15]
	v_mov_b64_e32 v[22:23], s[36:37]
	s_andn2_b64 exec, exec, s[14:15]
	s_cbranch_execz .LBB1322_30
.LBB1322_25:                            ; =>This Inner Loop Header: Depth=1
	s_or_b64 s[18:19], s[18:19], exec
	s_cmp_eq_u64 s[10:11], s[36:37]
	s_cbranch_scc0 .LBB1322_23
; %bb.26:                               ;   in Loop: Header=BB1322_25 Depth=1
                                        ; implicit-def: $vgpr18_vgpr19
                                        ; implicit-def: $vgpr20_vgpr21
	s_mov_b64 s[36:37], s[26:27]
	s_branch .LBB1322_24
.LBB1322_27:
                                        ; implicit-def: $sgpr18_sgpr19
                                        ; implicit-def: $vgpr34
                                        ; implicit-def: $vgpr33
                                        ; implicit-def: $vgpr32
                                        ; implicit-def: $vgpr20
	s_branch .LBB1322_170
.LBB1322_28:
                                        ; implicit-def: $vgpr16_vgpr17
	s_branch .LBB1322_318
.LBB1322_29:
                                        ; implicit-def: $sgpr18_sgpr19
                                        ; implicit-def: $vgpr34
                                        ; implicit-def: $vgpr33
                                        ; implicit-def: $vgpr32
                                        ; implicit-def: $vgpr20
	s_cbranch_execnz .LBB1322_89
	s_branch .LBB1322_169
.LBB1322_30:
	s_or_b64 exec, exec, s[14:15]
	v_cmp_gt_i64_e32 vcc, s[26:27], v[22:23]
	s_orn2_b64 s[10:11], vcc, exec
.LBB1322_31:
	s_or_b64 exec, exec, s[12:13]
.LBB1322_32:
	v_mul_lo_u32 v20, v3, s26
	v_mul_lo_u32 v21, v2, s27
	v_mad_u64_u32 v[18:19], s[12:13], v2, s26, 0
	v_add3_u32 v19, v19, v21, v20
	s_mov_b64 s[12:13], 0
	s_and_b64 vcc, exec, s[4:5]
	v_lshl_add_u64 v[18:19], v[18:19], 1, s[28:29]
	s_mov_b64 s[14:15], 0
	s_cbranch_vccnz .LBB1322_41
; %bb.33:
	global_load_ushort v20, v[18:19], off
	global_load_ushort v21, v[16:17], off
	s_mov_b64 s[14:15], -1
	s_waitcnt vmcnt(0)
	v_cmp_eq_f16_e32 vcc, v20, v21
	s_and_saveexec_b64 s[18:19], vcc
	s_cbranch_execz .LBB1322_40
; %bb.34:
	s_add_u32 s14, s26, -1
	v_lshl_add_u64 v[16:17], v[16:17], 0, 2
	v_lshl_add_u64 v[20:21], v[18:19], 0, 2
	s_addc_u32 s15, s27, -1
	s_mov_b64 s[36:37], 0
	s_mov_b64 s[40:41], 0
                                        ; implicit-def: $sgpr38_sgpr39
	s_branch .LBB1322_37
.LBB1322_35:                            ;   in Loop: Header=BB1322_37 Depth=1
	global_load_ushort v22, v[20:21], off
	global_load_ushort v23, v[16:17], off
	s_add_u32 s40, s40, 1
	s_addc_u32 s41, s41, 0
	s_andn2_b64 s[38:39], s[38:39], exec
	v_lshl_add_u64 v[16:17], v[16:17], 0, 2
	v_lshl_add_u64 v[20:21], v[20:21], 0, 2
	s_waitcnt vmcnt(0)
	v_cmp_neq_f16_e32 vcc, v22, v23
	s_and_b64 s[42:43], vcc, exec
	s_or_b64 s[38:39], s[38:39], s[42:43]
.LBB1322_36:                            ;   in Loop: Header=BB1322_37 Depth=1
	s_and_b64 s[42:43], exec, s[38:39]
	s_or_b64 s[36:37], s[42:43], s[36:37]
	v_mov_b64_e32 v[22:23], s[40:41]
	s_andn2_b64 exec, exec, s[36:37]
	s_cbranch_execz .LBB1322_39
.LBB1322_37:                            ; =>This Inner Loop Header: Depth=1
	s_or_b64 s[38:39], s[38:39], exec
	s_cmp_eq_u64 s[14:15], s[40:41]
	s_cbranch_scc0 .LBB1322_35
; %bb.38:                               ;   in Loop: Header=BB1322_37 Depth=1
                                        ; implicit-def: $vgpr16_vgpr17
                                        ; implicit-def: $vgpr20_vgpr21
	s_mov_b64 s[40:41], s[26:27]
	s_branch .LBB1322_36
.LBB1322_39:
	s_or_b64 exec, exec, s[36:37]
	v_cmp_gt_i64_e32 vcc, s[26:27], v[22:23]
	s_orn2_b64 s[14:15], vcc, exec
.LBB1322_40:
	s_or_b64 exec, exec, s[18:19]
.LBB1322_41:
	v_mul_lo_u32 v20, v9, s26
	v_mul_lo_u32 v21, v8, s27
	v_mad_u64_u32 v[16:17], s[18:19], v8, s26, 0
	v_add3_u32 v17, v17, v21, v20
	s_and_b64 vcc, exec, s[4:5]
	v_lshl_add_u64 v[16:17], v[16:17], 1, s[28:29]
	s_cbranch_vccnz .LBB1322_50
; %bb.42:
	global_load_ushort v20, v[16:17], off
	global_load_ushort v21, v[18:19], off
	s_mov_b64 s[12:13], -1
	s_waitcnt vmcnt(0)
	v_cmp_eq_f16_e32 vcc, v20, v21
	s_and_saveexec_b64 s[18:19], vcc
	s_cbranch_execz .LBB1322_49
; %bb.43:
	s_add_u32 s12, s26, -1
	v_lshl_add_u64 v[18:19], v[18:19], 0, 2
	v_lshl_add_u64 v[20:21], v[16:17], 0, 2
	s_addc_u32 s13, s27, -1
	s_mov_b64 s[36:37], 0
	s_mov_b64 s[40:41], 0
                                        ; implicit-def: $sgpr38_sgpr39
	s_branch .LBB1322_46
.LBB1322_44:                            ;   in Loop: Header=BB1322_46 Depth=1
	global_load_ushort v22, v[20:21], off
	global_load_ushort v23, v[18:19], off
	s_add_u32 s40, s40, 1
	s_addc_u32 s41, s41, 0
	s_andn2_b64 s[38:39], s[38:39], exec
	v_lshl_add_u64 v[18:19], v[18:19], 0, 2
	v_lshl_add_u64 v[20:21], v[20:21], 0, 2
	s_waitcnt vmcnt(0)
	v_cmp_neq_f16_e32 vcc, v22, v23
	s_and_b64 s[42:43], vcc, exec
	s_or_b64 s[38:39], s[38:39], s[42:43]
.LBB1322_45:                            ;   in Loop: Header=BB1322_46 Depth=1
	s_and_b64 s[42:43], exec, s[38:39]
	s_or_b64 s[36:37], s[42:43], s[36:37]
	v_mov_b64_e32 v[22:23], s[40:41]
	s_andn2_b64 exec, exec, s[36:37]
	s_cbranch_execz .LBB1322_48
.LBB1322_46:                            ; =>This Inner Loop Header: Depth=1
	s_or_b64 s[38:39], s[38:39], exec
	s_cmp_eq_u64 s[12:13], s[40:41]
	s_cbranch_scc0 .LBB1322_44
; %bb.47:                               ;   in Loop: Header=BB1322_46 Depth=1
                                        ; implicit-def: $vgpr18_vgpr19
                                        ; implicit-def: $vgpr20_vgpr21
	s_mov_b64 s[40:41], s[26:27]
	s_branch .LBB1322_45
.LBB1322_48:
	s_or_b64 exec, exec, s[36:37]
	v_cmp_gt_i64_e32 vcc, s[26:27], v[22:23]
	s_orn2_b64 s[12:13], vcc, exec
.LBB1322_49:
	s_or_b64 exec, exec, s[18:19]
.LBB1322_50:
	v_mul_lo_u32 v20, v7, s26
	v_mul_lo_u32 v21, v6, s27
	v_mad_u64_u32 v[18:19], s[18:19], v6, s26, 0
	v_add3_u32 v19, v19, v21, v20
	s_mov_b64 s[18:19], 0
	s_and_b64 vcc, exec, s[4:5]
	v_lshl_add_u64 v[20:21], v[18:19], 1, s[28:29]
	s_mov_b64 s[36:37], 0
	s_cbranch_vccnz .LBB1322_59
; %bb.51:
	global_load_ushort v18, v[20:21], off
	global_load_ushort v19, v[16:17], off
	s_mov_b64 s[36:37], -1
	s_waitcnt vmcnt(0)
	v_cmp_eq_f16_e32 vcc, v18, v19
	s_and_saveexec_b64 s[38:39], vcc
	s_cbranch_execz .LBB1322_58
; %bb.52:
	s_add_u32 s36, s26, -1
	v_lshl_add_u64 v[16:17], v[16:17], 0, 2
	v_lshl_add_u64 v[18:19], v[20:21], 0, 2
	s_addc_u32 s37, s27, -1
	s_mov_b64 s[40:41], 0
	s_mov_b64 s[44:45], 0
                                        ; implicit-def: $sgpr42_sgpr43
	s_branch .LBB1322_55
.LBB1322_53:                            ;   in Loop: Header=BB1322_55 Depth=1
	global_load_ushort v22, v[18:19], off
	global_load_ushort v23, v[16:17], off
	s_add_u32 s44, s44, 1
	s_addc_u32 s45, s45, 0
	s_andn2_b64 s[42:43], s[42:43], exec
	v_lshl_add_u64 v[16:17], v[16:17], 0, 2
	v_lshl_add_u64 v[18:19], v[18:19], 0, 2
	s_waitcnt vmcnt(0)
	v_cmp_neq_f16_e32 vcc, v22, v23
	s_and_b64 s[46:47], vcc, exec
	s_or_b64 s[42:43], s[42:43], s[46:47]
.LBB1322_54:                            ;   in Loop: Header=BB1322_55 Depth=1
	s_and_b64 s[46:47], exec, s[42:43]
	s_or_b64 s[40:41], s[46:47], s[40:41]
	v_mov_b64_e32 v[22:23], s[44:45]
	s_andn2_b64 exec, exec, s[40:41]
	s_cbranch_execz .LBB1322_57
.LBB1322_55:                            ; =>This Inner Loop Header: Depth=1
	s_or_b64 s[42:43], s[42:43], exec
	s_cmp_eq_u64 s[36:37], s[44:45]
	s_cbranch_scc0 .LBB1322_53
; %bb.56:                               ;   in Loop: Header=BB1322_55 Depth=1
                                        ; implicit-def: $vgpr16_vgpr17
                                        ; implicit-def: $vgpr18_vgpr19
	s_mov_b64 s[44:45], s[26:27]
	s_branch .LBB1322_54
.LBB1322_57:
	s_or_b64 exec, exec, s[40:41]
	v_cmp_gt_i64_e32 vcc, s[26:27], v[22:23]
	s_orn2_b64 s[36:37], vcc, exec
.LBB1322_58:
	s_or_b64 exec, exec, s[38:39]
.LBB1322_59:
	v_mul_lo_u32 v18, v13, s26
	v_mul_lo_u32 v19, v12, s27
	v_mad_u64_u32 v[16:17], s[38:39], v12, s26, 0
	v_add3_u32 v17, v17, v19, v18
	s_and_b64 vcc, exec, s[4:5]
	v_lshl_add_u64 v[18:19], v[16:17], 1, s[28:29]
	s_cbranch_vccnz .LBB1322_68
; %bb.60:
	global_load_ushort v16, v[18:19], off
	global_load_ushort v17, v[20:21], off
	s_mov_b64 s[18:19], -1
	s_waitcnt vmcnt(0)
	v_cmp_eq_f16_e32 vcc, v16, v17
	s_and_saveexec_b64 s[38:39], vcc
	s_cbranch_execz .LBB1322_67
; %bb.61:
	s_add_u32 s18, s26, -1
	v_lshl_add_u64 v[16:17], v[20:21], 0, 2
	v_lshl_add_u64 v[20:21], v[18:19], 0, 2
	s_addc_u32 s19, s27, -1
	s_mov_b64 s[40:41], 0
	s_mov_b64 s[44:45], 0
                                        ; implicit-def: $sgpr42_sgpr43
	s_branch .LBB1322_64
.LBB1322_62:                            ;   in Loop: Header=BB1322_64 Depth=1
	global_load_ushort v22, v[20:21], off
	global_load_ushort v23, v[16:17], off
	s_add_u32 s44, s44, 1
	s_addc_u32 s45, s45, 0
	s_andn2_b64 s[42:43], s[42:43], exec
	v_lshl_add_u64 v[16:17], v[16:17], 0, 2
	v_lshl_add_u64 v[20:21], v[20:21], 0, 2
	s_waitcnt vmcnt(0)
	v_cmp_neq_f16_e32 vcc, v22, v23
	s_and_b64 s[46:47], vcc, exec
	s_or_b64 s[42:43], s[42:43], s[46:47]
.LBB1322_63:                            ;   in Loop: Header=BB1322_64 Depth=1
	s_and_b64 s[46:47], exec, s[42:43]
	s_or_b64 s[40:41], s[46:47], s[40:41]
	v_mov_b64_e32 v[22:23], s[44:45]
	s_andn2_b64 exec, exec, s[40:41]
	s_cbranch_execz .LBB1322_66
.LBB1322_64:                            ; =>This Inner Loop Header: Depth=1
	s_or_b64 s[42:43], s[42:43], exec
	s_cmp_eq_u64 s[18:19], s[44:45]
	s_cbranch_scc0 .LBB1322_62
; %bb.65:                               ;   in Loop: Header=BB1322_64 Depth=1
                                        ; implicit-def: $vgpr16_vgpr17
                                        ; implicit-def: $vgpr20_vgpr21
	s_mov_b64 s[44:45], s[26:27]
	s_branch .LBB1322_63
.LBB1322_66:
	s_or_b64 exec, exec, s[40:41]
	v_cmp_gt_i64_e32 vcc, s[26:27], v[22:23]
	s_orn2_b64 s[18:19], vcc, exec
.LBB1322_67:
	s_or_b64 exec, exec, s[38:39]
.LBB1322_68:
	v_mul_lo_u32 v20, v11, s26
	v_mul_lo_u32 v21, v10, s27
	v_mad_u64_u32 v[16:17], s[38:39], v10, s26, 0
	v_add3_u32 v17, v17, v21, v20
	s_mov_b64 s[40:41], 0
	s_and_b64 vcc, exec, s[4:5]
	v_lshl_add_u64 v[16:17], v[16:17], 1, s[28:29]
	s_cbranch_vccnz .LBB1322_77
; %bb.69:
	global_load_ushort v20, v[16:17], off
	global_load_ushort v21, v[18:19], off
	s_mov_b64 s[40:41], -1
	s_waitcnt vmcnt(0)
	v_cmp_eq_f16_e32 vcc, v20, v21
	s_and_saveexec_b64 s[38:39], vcc
	s_cbranch_execz .LBB1322_76
; %bb.70:
	s_add_u32 s40, s26, -1
	v_lshl_add_u64 v[18:19], v[18:19], 0, 2
	v_lshl_add_u64 v[20:21], v[16:17], 0, 2
	s_addc_u32 s41, s27, -1
	s_mov_b64 s[42:43], 0
	s_mov_b64 s[46:47], 0
                                        ; implicit-def: $sgpr44_sgpr45
	s_branch .LBB1322_73
.LBB1322_71:                            ;   in Loop: Header=BB1322_73 Depth=1
	global_load_ushort v22, v[20:21], off
	global_load_ushort v23, v[18:19], off
	s_add_u32 s46, s46, 1
	s_addc_u32 s47, s47, 0
	s_andn2_b64 s[44:45], s[44:45], exec
	v_lshl_add_u64 v[18:19], v[18:19], 0, 2
	v_lshl_add_u64 v[20:21], v[20:21], 0, 2
	s_waitcnt vmcnt(0)
	v_cmp_neq_f16_e32 vcc, v22, v23
	s_and_b64 s[48:49], vcc, exec
	s_or_b64 s[44:45], s[44:45], s[48:49]
.LBB1322_72:                            ;   in Loop: Header=BB1322_73 Depth=1
	s_and_b64 s[48:49], exec, s[44:45]
	s_or_b64 s[42:43], s[48:49], s[42:43]
	v_mov_b64_e32 v[22:23], s[46:47]
	s_andn2_b64 exec, exec, s[42:43]
	s_cbranch_execz .LBB1322_75
.LBB1322_73:                            ; =>This Inner Loop Header: Depth=1
	s_or_b64 s[44:45], s[44:45], exec
	s_cmp_eq_u64 s[40:41], s[46:47]
	s_cbranch_scc0 .LBB1322_71
; %bb.74:                               ;   in Loop: Header=BB1322_73 Depth=1
                                        ; implicit-def: $vgpr18_vgpr19
                                        ; implicit-def: $vgpr20_vgpr21
	s_mov_b64 s[46:47], s[26:27]
	s_branch .LBB1322_72
.LBB1322_75:
	s_or_b64 exec, exec, s[42:43]
	v_cmp_gt_i64_e32 vcc, s[26:27], v[22:23]
	s_orn2_b64 s[40:41], vcc, exec
.LBB1322_76:
	s_or_b64 exec, exec, s[38:39]
.LBB1322_77:
	v_cmp_ne_u32_e32 vcc, 0, v0
	s_waitcnt lgkmcnt(0)
	v_mov_b64_e32 v[18:19], s[6:7]
	s_barrier
	s_and_saveexec_b64 s[38:39], vcc
	s_cbranch_execz .LBB1322_79
; %bb.78:
	v_add_u32_e32 v18, -8, v31
	ds_read_b64 v[18:19], v18
.LBB1322_79:
	s_or_b64 exec, exec, s[38:39]
	v_cndmask_b32_e64 v21, 0, 1, s[36:37]
	v_cndmask_b32_e64 v20, 0, 1, s[18:19]
	v_cndmask_b32_e64 v22, 0, 1, s[40:41]
	v_lshlrev_b16_e32 v21, 8, v21
	v_lshlrev_b16_e32 v22, 8, v22
	v_or_b32_sdwa v23, v20, v21 dst_sel:WORD_1 dst_unused:UNUSED_PAD src0_sel:DWORD src1_sel:DWORD
	s_mov_b64 s[36:37], 0
	s_and_b64 vcc, exec, s[4:5]
	s_mov_b64 s[18:19], 0
	s_cbranch_vccnz .LBB1322_88
; %bb.80:
	s_waitcnt lgkmcnt(0)
	v_mul_lo_u32 v20, v19, s26
	v_mul_lo_u32 v21, v18, s27
	v_mad_u64_u32 v[18:19], s[18:19], v18, s26, 0
	v_add3_u32 v19, v19, v21, v20
	v_lshl_add_u64 v[18:19], v[18:19], 1, s[28:29]
	global_load_ushort v20, v[18:19], off
	global_load_ushort v21, v[16:17], off
	s_mov_b64 s[18:19], -1
	s_waitcnt vmcnt(0)
	v_cmp_eq_f16_e32 vcc, v20, v21
	s_and_saveexec_b64 s[38:39], vcc
	s_cbranch_execz .LBB1322_87
; %bb.81:
	s_add_u32 s18, s26, -1
	v_lshl_add_u64 v[16:17], v[16:17], 0, 2
	v_lshl_add_u64 v[18:19], v[18:19], 0, 2
	s_addc_u32 s19, s27, -1
	s_mov_b64 s[40:41], 0
	s_mov_b64 s[44:45], 0
                                        ; implicit-def: $sgpr42_sgpr43
	s_branch .LBB1322_84
.LBB1322_82:                            ;   in Loop: Header=BB1322_84 Depth=1
	global_load_ushort v20, v[18:19], off
	global_load_ushort v21, v[16:17], off
	s_add_u32 s44, s44, 1
	s_addc_u32 s45, s45, 0
	s_andn2_b64 s[42:43], s[42:43], exec
	v_lshl_add_u64 v[16:17], v[16:17], 0, 2
	v_lshl_add_u64 v[18:19], v[18:19], 0, 2
	s_waitcnt vmcnt(0)
	v_cmp_neq_f16_e32 vcc, v20, v21
	s_and_b64 s[46:47], vcc, exec
	s_or_b64 s[42:43], s[42:43], s[46:47]
.LBB1322_83:                            ;   in Loop: Header=BB1322_84 Depth=1
	s_and_b64 s[46:47], exec, s[42:43]
	s_or_b64 s[40:41], s[46:47], s[40:41]
	v_mov_b64_e32 v[20:21], s[44:45]
	s_andn2_b64 exec, exec, s[40:41]
	s_cbranch_execz .LBB1322_86
.LBB1322_84:                            ; =>This Inner Loop Header: Depth=1
	s_or_b64 s[42:43], s[42:43], exec
	s_cmp_eq_u64 s[18:19], s[44:45]
	s_cbranch_scc0 .LBB1322_82
; %bb.85:                               ;   in Loop: Header=BB1322_84 Depth=1
                                        ; implicit-def: $vgpr16_vgpr17
                                        ; implicit-def: $vgpr18_vgpr19
	s_mov_b64 s[44:45], s[26:27]
	s_branch .LBB1322_83
.LBB1322_86:
	s_or_b64 exec, exec, s[40:41]
	v_cmp_gt_i64_e32 vcc, s[26:27], v[20:21]
	s_orn2_b64 s[18:19], vcc, exec
.LBB1322_87:
	s_or_b64 exec, exec, s[38:39]
.LBB1322_88:
	v_cndmask_b32_e64 v32, 0, 1, s[12:13]
	v_cndmask_b32_e64 v33, 0, 1, s[14:15]
	;; [unrolled: 1-line block ×3, first 2 shown]
	v_or_b32_e32 v20, v22, v23
	s_and_b64 vcc, exec, s[36:37]
	s_cbranch_vccz .LBB1322_169
.LBB1322_89:
	v_cmp_gt_u32_e32 vcc, s3, v27
	s_mov_b64 s[12:13], 0
	s_mov_b64 s[10:11], 0
	s_and_saveexec_b64 s[14:15], vcc
	s_cbranch_execz .LBB1322_100
; %bb.90:
	s_and_b64 vcc, exec, s[4:5]
	s_mov_b64 s[18:19], 0
	s_cbranch_vccnz .LBB1322_99
; %bb.91:
	s_waitcnt lgkmcnt(0)
	v_mul_lo_u32 v18, v5, s26
	v_mul_lo_u32 v19, v4, s27
	v_mad_u64_u32 v[16:17], s[10:11], v4, s26, 0
	v_add3_u32 v17, v17, v19, v18
	v_mul_lo_u32 v18, v15, s26
	v_mul_lo_u32 v19, v14, s27
	v_mad_u64_u32 v[20:21], s[10:11], v14, s26, 0
	v_add3_u32 v21, v21, v19, v18
	v_lshl_add_u64 v[18:19], v[16:17], 1, s[28:29]
	v_lshl_add_u64 v[16:17], v[20:21], 1, s[28:29]
	global_load_ushort v20, v[18:19], off
	global_load_ushort v21, v[16:17], off
	s_mov_b64 s[18:19], -1
	s_waitcnt vmcnt(0)
	v_cmp_eq_f16_e32 vcc, v20, v21
	s_and_saveexec_b64 s[10:11], vcc
	s_cbranch_execz .LBB1322_98
; %bb.92:
	s_add_u32 s18, s26, -1
	v_lshl_add_u64 v[16:17], v[16:17], 0, 2
	v_lshl_add_u64 v[18:19], v[18:19], 0, 2
	s_addc_u32 s19, s27, -1
	s_mov_b64 s[36:37], 0
	s_mov_b64 s[40:41], 0
                                        ; implicit-def: $sgpr38_sgpr39
	s_branch .LBB1322_95
.LBB1322_93:                            ;   in Loop: Header=BB1322_95 Depth=1
	global_load_ushort v20, v[18:19], off
	global_load_ushort v21, v[16:17], off
	s_add_u32 s40, s40, 1
	s_addc_u32 s41, s41, 0
	s_andn2_b64 s[38:39], s[38:39], exec
	v_lshl_add_u64 v[16:17], v[16:17], 0, 2
	v_lshl_add_u64 v[18:19], v[18:19], 0, 2
	s_waitcnt vmcnt(0)
	v_cmp_neq_f16_e32 vcc, v20, v21
	s_and_b64 s[42:43], vcc, exec
	s_or_b64 s[38:39], s[38:39], s[42:43]
.LBB1322_94:                            ;   in Loop: Header=BB1322_95 Depth=1
	s_and_b64 s[42:43], exec, s[38:39]
	s_or_b64 s[36:37], s[42:43], s[36:37]
	v_mov_b64_e32 v[20:21], s[40:41]
	s_andn2_b64 exec, exec, s[36:37]
	s_cbranch_execz .LBB1322_97
.LBB1322_95:                            ; =>This Inner Loop Header: Depth=1
	s_or_b64 s[38:39], s[38:39], exec
	s_cmp_eq_u64 s[18:19], s[40:41]
	s_cbranch_scc0 .LBB1322_93
; %bb.96:                               ;   in Loop: Header=BB1322_95 Depth=1
                                        ; implicit-def: $vgpr16_vgpr17
                                        ; implicit-def: $vgpr18_vgpr19
	s_mov_b64 s[40:41], s[26:27]
	s_branch .LBB1322_94
.LBB1322_97:
	s_or_b64 exec, exec, s[36:37]
	v_cmp_gt_i64_e32 vcc, s[26:27], v[20:21]
	s_orn2_b64 s[18:19], vcc, exec
.LBB1322_98:
	s_or_b64 exec, exec, s[10:11]
.LBB1322_99:
	s_and_b64 s[10:11], s[18:19], exec
.LBB1322_100:
	s_or_b64 exec, exec, s[14:15]
	v_cmp_gt_u32_e32 vcc, s3, v29
	s_and_saveexec_b64 s[14:15], vcc
	s_cbranch_execz .LBB1322_111
; %bb.101:
	s_and_b64 vcc, exec, s[4:5]
	s_mov_b64 s[18:19], 0
	s_cbranch_vccnz .LBB1322_110
; %bb.102:
	s_waitcnt lgkmcnt(0)
	v_mul_lo_u32 v18, v3, s26
	v_mul_lo_u32 v19, v2, s27
	v_mad_u64_u32 v[16:17], s[12:13], v2, s26, 0
	v_add3_u32 v17, v17, v19, v18
	v_mul_lo_u32 v18, v5, s26
	v_mul_lo_u32 v19, v4, s27
	v_mad_u64_u32 v[20:21], s[12:13], v4, s26, 0
	v_add3_u32 v21, v21, v19, v18
	v_lshl_add_u64 v[18:19], v[16:17], 1, s[28:29]
	v_lshl_add_u64 v[16:17], v[20:21], 1, s[28:29]
	global_load_ushort v20, v[18:19], off
	global_load_ushort v21, v[16:17], off
	s_mov_b64 s[18:19], -1
	s_waitcnt vmcnt(0)
	v_cmp_eq_f16_e32 vcc, v20, v21
	s_and_saveexec_b64 s[12:13], vcc
	s_cbranch_execz .LBB1322_109
; %bb.103:
	s_add_u32 s18, s26, -1
	v_lshl_add_u64 v[16:17], v[16:17], 0, 2
	v_lshl_add_u64 v[18:19], v[18:19], 0, 2
	s_addc_u32 s19, s27, -1
	s_mov_b64 s[36:37], 0
	s_mov_b64 s[40:41], 0
                                        ; implicit-def: $sgpr38_sgpr39
	s_branch .LBB1322_106
.LBB1322_104:                           ;   in Loop: Header=BB1322_106 Depth=1
	global_load_ushort v20, v[18:19], off
	global_load_ushort v21, v[16:17], off
	s_add_u32 s40, s40, 1
	s_addc_u32 s41, s41, 0
	s_andn2_b64 s[38:39], s[38:39], exec
	v_lshl_add_u64 v[16:17], v[16:17], 0, 2
	v_lshl_add_u64 v[18:19], v[18:19], 0, 2
	s_waitcnt vmcnt(0)
	v_cmp_neq_f16_e32 vcc, v20, v21
	s_and_b64 s[42:43], vcc, exec
	s_or_b64 s[38:39], s[38:39], s[42:43]
.LBB1322_105:                           ;   in Loop: Header=BB1322_106 Depth=1
	s_and_b64 s[42:43], exec, s[38:39]
	s_or_b64 s[36:37], s[42:43], s[36:37]
	v_mov_b64_e32 v[20:21], s[40:41]
	s_andn2_b64 exec, exec, s[36:37]
	s_cbranch_execz .LBB1322_108
.LBB1322_106:                           ; =>This Inner Loop Header: Depth=1
	s_or_b64 s[38:39], s[38:39], exec
	s_cmp_eq_u64 s[18:19], s[40:41]
	s_cbranch_scc0 .LBB1322_104
; %bb.107:                              ;   in Loop: Header=BB1322_106 Depth=1
                                        ; implicit-def: $vgpr16_vgpr17
                                        ; implicit-def: $vgpr18_vgpr19
	s_mov_b64 s[40:41], s[26:27]
	s_branch .LBB1322_105
.LBB1322_108:
	s_or_b64 exec, exec, s[36:37]
	v_cmp_gt_i64_e32 vcc, s[26:27], v[20:21]
	s_orn2_b64 s[18:19], vcc, exec
.LBB1322_109:
	s_or_b64 exec, exec, s[12:13]
.LBB1322_110:
	s_and_b64 s[12:13], s[18:19], exec
.LBB1322_111:
	s_or_b64 exec, exec, s[14:15]
	v_cmp_gt_u32_e32 vcc, s3, v26
	s_mov_b64 s[18:19], 0
	s_mov_b64 s[14:15], 0
	s_and_saveexec_b64 s[36:37], vcc
	s_cbranch_execz .LBB1322_122
; %bb.112:
	s_and_b64 vcc, exec, s[4:5]
	s_mov_b64 s[38:39], 0
	s_cbranch_vccnz .LBB1322_121
; %bb.113:
	s_waitcnt lgkmcnt(0)
	v_mul_lo_u32 v18, v9, s26
	v_mul_lo_u32 v19, v8, s27
	v_mad_u64_u32 v[16:17], s[14:15], v8, s26, 0
	v_add3_u32 v17, v17, v19, v18
	v_mul_lo_u32 v18, v3, s26
	v_mul_lo_u32 v19, v2, s27
	v_mad_u64_u32 v[20:21], s[14:15], v2, s26, 0
	v_add3_u32 v21, v21, v19, v18
	v_lshl_add_u64 v[18:19], v[16:17], 1, s[28:29]
	v_lshl_add_u64 v[16:17], v[20:21], 1, s[28:29]
	global_load_ushort v20, v[18:19], off
	global_load_ushort v21, v[16:17], off
	s_mov_b64 s[38:39], -1
	s_waitcnt vmcnt(0)
	v_cmp_eq_f16_e32 vcc, v20, v21
	s_and_saveexec_b64 s[14:15], vcc
	s_cbranch_execz .LBB1322_120
; %bb.114:
	s_add_u32 s38, s26, -1
	v_lshl_add_u64 v[16:17], v[16:17], 0, 2
	v_lshl_add_u64 v[18:19], v[18:19], 0, 2
	s_addc_u32 s39, s27, -1
	s_mov_b64 s[40:41], 0
	s_mov_b64 s[44:45], 0
                                        ; implicit-def: $sgpr42_sgpr43
	s_branch .LBB1322_117
.LBB1322_115:                           ;   in Loop: Header=BB1322_117 Depth=1
	global_load_ushort v20, v[18:19], off
	global_load_ushort v21, v[16:17], off
	s_add_u32 s44, s44, 1
	s_addc_u32 s45, s45, 0
	s_andn2_b64 s[42:43], s[42:43], exec
	v_lshl_add_u64 v[16:17], v[16:17], 0, 2
	v_lshl_add_u64 v[18:19], v[18:19], 0, 2
	s_waitcnt vmcnt(0)
	v_cmp_neq_f16_e32 vcc, v20, v21
	s_and_b64 s[46:47], vcc, exec
	s_or_b64 s[42:43], s[42:43], s[46:47]
.LBB1322_116:                           ;   in Loop: Header=BB1322_117 Depth=1
	s_and_b64 s[46:47], exec, s[42:43]
	s_or_b64 s[40:41], s[46:47], s[40:41]
	v_mov_b64_e32 v[20:21], s[44:45]
	s_andn2_b64 exec, exec, s[40:41]
	s_cbranch_execz .LBB1322_119
.LBB1322_117:                           ; =>This Inner Loop Header: Depth=1
	s_or_b64 s[42:43], s[42:43], exec
	s_cmp_eq_u64 s[38:39], s[44:45]
	s_cbranch_scc0 .LBB1322_115
; %bb.118:                              ;   in Loop: Header=BB1322_117 Depth=1
                                        ; implicit-def: $vgpr16_vgpr17
                                        ; implicit-def: $vgpr18_vgpr19
	s_mov_b64 s[44:45], s[26:27]
	s_branch .LBB1322_116
.LBB1322_119:
	s_or_b64 exec, exec, s[40:41]
	v_cmp_gt_i64_e32 vcc, s[26:27], v[20:21]
	s_orn2_b64 s[38:39], vcc, exec
.LBB1322_120:
	s_or_b64 exec, exec, s[14:15]
.LBB1322_121:
	s_and_b64 s[14:15], s[38:39], exec
.LBB1322_122:
	s_or_b64 exec, exec, s[36:37]
	v_cmp_gt_u32_e32 vcc, s3, v28
	s_and_saveexec_b64 s[36:37], vcc
	s_cbranch_execz .LBB1322_133
; %bb.123:
	s_and_b64 vcc, exec, s[4:5]
	s_mov_b64 s[38:39], 0
	s_cbranch_vccnz .LBB1322_132
; %bb.124:
	s_waitcnt lgkmcnt(0)
	v_mul_lo_u32 v18, v7, s26
	v_mul_lo_u32 v19, v6, s27
	v_mad_u64_u32 v[16:17], s[18:19], v6, s26, 0
	v_add3_u32 v17, v17, v19, v18
	v_mul_lo_u32 v18, v9, s26
	v_mul_lo_u32 v19, v8, s27
	v_mad_u64_u32 v[20:21], s[18:19], v8, s26, 0
	v_add3_u32 v21, v21, v19, v18
	v_lshl_add_u64 v[18:19], v[16:17], 1, s[28:29]
	v_lshl_add_u64 v[16:17], v[20:21], 1, s[28:29]
	global_load_ushort v20, v[18:19], off
	global_load_ushort v21, v[16:17], off
	s_mov_b64 s[38:39], -1
	s_waitcnt vmcnt(0)
	v_cmp_eq_f16_e32 vcc, v20, v21
	s_and_saveexec_b64 s[18:19], vcc
	s_cbranch_execz .LBB1322_131
; %bb.125:
	s_add_u32 s38, s26, -1
	v_lshl_add_u64 v[16:17], v[16:17], 0, 2
	v_lshl_add_u64 v[18:19], v[18:19], 0, 2
	s_addc_u32 s39, s27, -1
	s_mov_b64 s[40:41], 0
	s_mov_b64 s[44:45], 0
                                        ; implicit-def: $sgpr42_sgpr43
	s_branch .LBB1322_128
.LBB1322_126:                           ;   in Loop: Header=BB1322_128 Depth=1
	global_load_ushort v20, v[18:19], off
	global_load_ushort v21, v[16:17], off
	s_add_u32 s44, s44, 1
	s_addc_u32 s45, s45, 0
	s_andn2_b64 s[42:43], s[42:43], exec
	v_lshl_add_u64 v[16:17], v[16:17], 0, 2
	v_lshl_add_u64 v[18:19], v[18:19], 0, 2
	s_waitcnt vmcnt(0)
	v_cmp_neq_f16_e32 vcc, v20, v21
	s_and_b64 s[46:47], vcc, exec
	s_or_b64 s[42:43], s[42:43], s[46:47]
.LBB1322_127:                           ;   in Loop: Header=BB1322_128 Depth=1
	s_and_b64 s[46:47], exec, s[42:43]
	s_or_b64 s[40:41], s[46:47], s[40:41]
	v_mov_b64_e32 v[20:21], s[44:45]
	s_andn2_b64 exec, exec, s[40:41]
	s_cbranch_execz .LBB1322_130
.LBB1322_128:                           ; =>This Inner Loop Header: Depth=1
	s_or_b64 s[42:43], s[42:43], exec
	s_cmp_eq_u64 s[38:39], s[44:45]
	s_cbranch_scc0 .LBB1322_126
; %bb.129:                              ;   in Loop: Header=BB1322_128 Depth=1
                                        ; implicit-def: $vgpr16_vgpr17
                                        ; implicit-def: $vgpr18_vgpr19
	s_mov_b64 s[44:45], s[26:27]
	s_branch .LBB1322_127
.LBB1322_130:
	s_or_b64 exec, exec, s[40:41]
	v_cmp_gt_i64_e32 vcc, s[26:27], v[20:21]
	s_orn2_b64 s[38:39], vcc, exec
.LBB1322_131:
	s_or_b64 exec, exec, s[18:19]
.LBB1322_132:
	s_and_b64 s[18:19], s[38:39], exec
.LBB1322_133:
	s_or_b64 exec, exec, s[36:37]
	v_cmp_gt_u32_e32 vcc, s3, v24
	s_mov_b64 s[36:37], 0
	s_mov_b64 s[38:39], 0
	s_and_saveexec_b64 s[40:41], vcc
	s_cbranch_execz .LBB1322_144
; %bb.134:
	s_and_b64 vcc, exec, s[4:5]
	s_mov_b64 s[42:43], 0
	s_cbranch_vccnz .LBB1322_143
; %bb.135:
	s_waitcnt lgkmcnt(0)
	v_mul_lo_u32 v18, v13, s26
	v_mul_lo_u32 v19, v12, s27
	v_mad_u64_u32 v[16:17], s[38:39], v12, s26, 0
	v_add3_u32 v17, v17, v19, v18
	v_mul_lo_u32 v18, v7, s26
	v_mul_lo_u32 v19, v6, s27
	v_mad_u64_u32 v[20:21], s[38:39], v6, s26, 0
	v_add3_u32 v21, v21, v19, v18
	v_lshl_add_u64 v[18:19], v[16:17], 1, s[28:29]
	v_lshl_add_u64 v[16:17], v[20:21], 1, s[28:29]
	global_load_ushort v20, v[18:19], off
	global_load_ushort v21, v[16:17], off
	s_mov_b64 s[42:43], -1
	s_waitcnt vmcnt(0)
	v_cmp_eq_f16_e32 vcc, v20, v21
	s_and_saveexec_b64 s[38:39], vcc
	s_cbranch_execz .LBB1322_142
; %bb.136:
	s_add_u32 s42, s26, -1
	v_lshl_add_u64 v[16:17], v[16:17], 0, 2
	v_lshl_add_u64 v[18:19], v[18:19], 0, 2
	s_addc_u32 s43, s27, -1
	s_mov_b64 s[44:45], 0
	s_mov_b64 s[48:49], 0
                                        ; implicit-def: $sgpr46_sgpr47
	s_branch .LBB1322_139
.LBB1322_137:                           ;   in Loop: Header=BB1322_139 Depth=1
	global_load_ushort v20, v[18:19], off
	global_load_ushort v21, v[16:17], off
	s_add_u32 s48, s48, 1
	s_addc_u32 s49, s49, 0
	s_andn2_b64 s[46:47], s[46:47], exec
	v_lshl_add_u64 v[16:17], v[16:17], 0, 2
	v_lshl_add_u64 v[18:19], v[18:19], 0, 2
	s_waitcnt vmcnt(0)
	v_cmp_neq_f16_e32 vcc, v20, v21
	s_and_b64 s[50:51], vcc, exec
	s_or_b64 s[46:47], s[46:47], s[50:51]
.LBB1322_138:                           ;   in Loop: Header=BB1322_139 Depth=1
	s_and_b64 s[50:51], exec, s[46:47]
	s_or_b64 s[44:45], s[50:51], s[44:45]
	v_mov_b64_e32 v[20:21], s[48:49]
	s_andn2_b64 exec, exec, s[44:45]
	s_cbranch_execz .LBB1322_141
.LBB1322_139:                           ; =>This Inner Loop Header: Depth=1
	s_or_b64 s[46:47], s[46:47], exec
	s_cmp_eq_u64 s[42:43], s[48:49]
	s_cbranch_scc0 .LBB1322_137
; %bb.140:                              ;   in Loop: Header=BB1322_139 Depth=1
                                        ; implicit-def: $vgpr16_vgpr17
                                        ; implicit-def: $vgpr18_vgpr19
	s_mov_b64 s[48:49], s[26:27]
	s_branch .LBB1322_138
.LBB1322_141:
	s_or_b64 exec, exec, s[44:45]
	v_cmp_gt_i64_e32 vcc, s[26:27], v[20:21]
	s_orn2_b64 s[42:43], vcc, exec
.LBB1322_142:
	s_or_b64 exec, exec, s[38:39]
.LBB1322_143:
	s_and_b64 s[38:39], s[42:43], exec
.LBB1322_144:
	s_or_b64 exec, exec, s[40:41]
	v_cmp_gt_u32_e32 vcc, s3, v25
	s_and_saveexec_b64 s[40:41], vcc
	s_cbranch_execz .LBB1322_155
; %bb.145:
	s_and_b64 vcc, exec, s[4:5]
	s_mov_b64 s[42:43], 0
	s_cbranch_vccnz .LBB1322_154
; %bb.146:
	s_waitcnt lgkmcnt(0)
	v_mul_lo_u32 v18, v11, s26
	v_mul_lo_u32 v19, v10, s27
	v_mad_u64_u32 v[16:17], s[36:37], v10, s26, 0
	v_add3_u32 v17, v17, v19, v18
	v_mul_lo_u32 v18, v13, s26
	v_mul_lo_u32 v19, v12, s27
	v_mad_u64_u32 v[20:21], s[36:37], v12, s26, 0
	v_add3_u32 v21, v21, v19, v18
	v_lshl_add_u64 v[18:19], v[16:17], 1, s[28:29]
	v_lshl_add_u64 v[16:17], v[20:21], 1, s[28:29]
	global_load_ushort v20, v[18:19], off
	global_load_ushort v21, v[16:17], off
	s_mov_b64 s[42:43], -1
	s_waitcnt vmcnt(0)
	v_cmp_eq_f16_e32 vcc, v20, v21
	s_and_saveexec_b64 s[36:37], vcc
	s_cbranch_execz .LBB1322_153
; %bb.147:
	s_add_u32 s42, s26, -1
	v_lshl_add_u64 v[16:17], v[16:17], 0, 2
	v_lshl_add_u64 v[18:19], v[18:19], 0, 2
	s_addc_u32 s43, s27, -1
	s_mov_b64 s[44:45], 0
	s_mov_b64 s[48:49], 0
                                        ; implicit-def: $sgpr46_sgpr47
	s_branch .LBB1322_150
.LBB1322_148:                           ;   in Loop: Header=BB1322_150 Depth=1
	global_load_ushort v20, v[18:19], off
	global_load_ushort v21, v[16:17], off
	s_add_u32 s48, s48, 1
	s_addc_u32 s49, s49, 0
	s_andn2_b64 s[46:47], s[46:47], exec
	v_lshl_add_u64 v[16:17], v[16:17], 0, 2
	v_lshl_add_u64 v[18:19], v[18:19], 0, 2
	s_waitcnt vmcnt(0)
	v_cmp_neq_f16_e32 vcc, v20, v21
	s_and_b64 s[50:51], vcc, exec
	s_or_b64 s[46:47], s[46:47], s[50:51]
.LBB1322_149:                           ;   in Loop: Header=BB1322_150 Depth=1
	s_and_b64 s[50:51], exec, s[46:47]
	s_or_b64 s[44:45], s[50:51], s[44:45]
	v_mov_b64_e32 v[20:21], s[48:49]
	s_andn2_b64 exec, exec, s[44:45]
	s_cbranch_execz .LBB1322_152
.LBB1322_150:                           ; =>This Inner Loop Header: Depth=1
	s_or_b64 s[46:47], s[46:47], exec
	s_cmp_eq_u64 s[42:43], s[48:49]
	s_cbranch_scc0 .LBB1322_148
; %bb.151:                              ;   in Loop: Header=BB1322_150 Depth=1
                                        ; implicit-def: $vgpr16_vgpr17
                                        ; implicit-def: $vgpr18_vgpr19
	s_mov_b64 s[48:49], s[26:27]
	s_branch .LBB1322_149
.LBB1322_152:
	s_or_b64 exec, exec, s[44:45]
	v_cmp_gt_i64_e32 vcc, s[26:27], v[20:21]
	s_orn2_b64 s[42:43], vcc, exec
.LBB1322_153:
	s_or_b64 exec, exec, s[36:37]
.LBB1322_154:
	s_and_b64 s[36:37], s[42:43], exec
.LBB1322_155:
	s_or_b64 exec, exec, s[40:41]
	v_cmp_ne_u32_e32 vcc, 0, v0
	s_waitcnt lgkmcnt(0)
	v_mov_b64_e32 v[16:17], s[6:7]
	s_barrier
	s_and_saveexec_b64 s[6:7], vcc
	s_cbranch_execz .LBB1322_157
; %bb.156:
	v_add_u32_e32 v16, -8, v31
	ds_read_b64 v[16:17], v16
.LBB1322_157:
	s_or_b64 exec, exec, s[6:7]
	v_cndmask_b32_e64 v19, 0, 1, s[18:19]
	v_cndmask_b32_e64 v18, 0, 1, s[38:39]
	;; [unrolled: 1-line block ×3, first 2 shown]
	v_lshlrev_b16_e32 v19, 8, v19
	v_cmp_gt_u32_e32 vcc, s3, v1
	v_lshlrev_b16_e32 v22, 8, v20
	v_or_b32_sdwa v23, v18, v19 dst_sel:WORD_1 dst_unused:UNUSED_PAD src0_sel:DWORD src1_sel:DWORD
	s_mov_b64 s[18:19], 0
	s_and_saveexec_b64 s[6:7], vcc
	s_cbranch_execz .LBB1322_168
; %bb.158:
	s_and_b64 vcc, exec, s[4:5]
	s_cbranch_vccnz .LBB1322_167
; %bb.159:
	s_waitcnt lgkmcnt(0)
	v_mul_lo_u32 v18, v17, s26
	v_mul_lo_u32 v19, v16, s27
	v_mad_u64_u32 v[16:17], s[4:5], v16, s26, 0
	v_add3_u32 v17, v17, v19, v18
	v_mul_lo_u32 v18, v11, s26
	v_mul_lo_u32 v19, v10, s27
	v_mad_u64_u32 v[20:21], s[4:5], v10, s26, 0
	v_add3_u32 v21, v21, v19, v18
	v_lshl_add_u64 v[18:19], v[16:17], 1, s[28:29]
	v_lshl_add_u64 v[16:17], v[20:21], 1, s[28:29]
	global_load_ushort v20, v[18:19], off
	global_load_ushort v21, v[16:17], off
	s_mov_b64 s[18:19], -1
	s_waitcnt vmcnt(0)
	v_cmp_eq_f16_e32 vcc, v20, v21
	s_and_saveexec_b64 s[4:5], vcc
	s_cbranch_execz .LBB1322_166
; %bb.160:
	s_add_u32 s18, s26, -1
	v_lshl_add_u64 v[16:17], v[16:17], 0, 2
	v_lshl_add_u64 v[18:19], v[18:19], 0, 2
	s_addc_u32 s19, s27, -1
	s_mov_b64 s[36:37], 0
	s_mov_b64 s[40:41], 0
                                        ; implicit-def: $sgpr38_sgpr39
	s_branch .LBB1322_163
.LBB1322_161:                           ;   in Loop: Header=BB1322_163 Depth=1
	global_load_ushort v20, v[18:19], off
	global_load_ushort v21, v[16:17], off
	s_add_u32 s40, s40, 1
	s_addc_u32 s41, s41, 0
	s_andn2_b64 s[38:39], s[38:39], exec
	v_lshl_add_u64 v[16:17], v[16:17], 0, 2
	v_lshl_add_u64 v[18:19], v[18:19], 0, 2
	s_waitcnt vmcnt(0)
	v_cmp_neq_f16_e32 vcc, v20, v21
	s_and_b64 s[42:43], vcc, exec
	s_or_b64 s[38:39], s[38:39], s[42:43]
.LBB1322_162:                           ;   in Loop: Header=BB1322_163 Depth=1
	s_and_b64 s[42:43], exec, s[38:39]
	s_or_b64 s[36:37], s[42:43], s[36:37]
	v_mov_b64_e32 v[20:21], s[40:41]
	s_andn2_b64 exec, exec, s[36:37]
	s_cbranch_execz .LBB1322_165
.LBB1322_163:                           ; =>This Inner Loop Header: Depth=1
	s_or_b64 s[38:39], s[38:39], exec
	s_cmp_eq_u64 s[18:19], s[40:41]
	s_cbranch_scc0 .LBB1322_161
; %bb.164:                              ;   in Loop: Header=BB1322_163 Depth=1
                                        ; implicit-def: $vgpr16_vgpr17
                                        ; implicit-def: $vgpr18_vgpr19
	s_mov_b64 s[40:41], s[26:27]
	s_branch .LBB1322_162
.LBB1322_165:
	s_or_b64 exec, exec, s[36:37]
	v_cmp_gt_i64_e32 vcc, s[26:27], v[20:21]
	s_orn2_b64 s[18:19], vcc, exec
.LBB1322_166:
	s_or_b64 exec, exec, s[4:5]
.LBB1322_167:
	s_and_b64 s[18:19], s[18:19], exec
.LBB1322_168:
	s_or_b64 exec, exec, s[6:7]
	v_cndmask_b32_e64 v32, 0, 1, s[14:15]
	v_cndmask_b32_e64 v33, 0, 1, s[12:13]
	;; [unrolled: 1-line block ×3, first 2 shown]
	v_or_b32_e32 v20, v22, v23
.LBB1322_169:
	s_mov_b64 s[10:11], -1
	s_cbranch_execnz .LBB1322_28
.LBB1322_170:
	s_movk_i32 s4, 0xffd0
	v_mad_i32_i24 v30, v0, s4, v30
	s_mov_b64 s[12:13], 0
	s_waitcnt lgkmcnt(0)
	v_cmp_gt_i64_e64 s[6:7], s[26:27], 0
	s_and_b64 vcc, exec, s[34:35]
	ds_write_b64 v30, v[14:15]
	s_cbranch_vccz .LBB1322_178
; %bb.171:
	v_mul_lo_u32 v18, v5, s26
	v_mul_lo_u32 v19, v4, s27
	v_mad_u64_u32 v[16:17], s[4:5], v4, s26, 0
	v_add3_u32 v17, v17, v19, v18
	v_cndmask_b32_e64 v18, 0, 1, s[6:7]
	v_cmp_ne_u32_e64 s[4:5], 1, v18
	s_andn2_b64 vcc, exec, s[6:7]
	v_lshl_add_u64 v[16:17], v[16:17], 1, s[28:29]
	s_cbranch_vccnz .LBB1322_181
; %bb.172:
	v_mul_lo_u32 v20, v15, s26
	v_mul_lo_u32 v21, v14, s27
	v_mad_u64_u32 v[18:19], s[12:13], v14, s26, 0
	v_add3_u32 v19, v19, v21, v20
	v_lshl_add_u64 v[18:19], v[18:19], 1, s[28:29]
	global_load_ushort v20, v[16:17], off
	global_load_ushort v21, v[18:19], off
	s_mov_b64 s[12:13], -1
	s_waitcnt vmcnt(0)
	v_cmp_eq_f16_e32 vcc, v20, v21
	s_and_saveexec_b64 s[14:15], vcc
	s_cbranch_execz .LBB1322_180
; %bb.173:
	s_add_u32 s12, s26, -1
	v_lshl_add_u64 v[18:19], v[18:19], 0, 2
	v_lshl_add_u64 v[20:21], v[16:17], 0, 2
	s_addc_u32 s13, s27, -1
	s_mov_b64 s[18:19], 0
	s_mov_b64 s[38:39], 0
                                        ; implicit-def: $sgpr36_sgpr37
	s_branch .LBB1322_176
.LBB1322_174:                           ;   in Loop: Header=BB1322_176 Depth=1
	global_load_ushort v22, v[20:21], off
	global_load_ushort v23, v[18:19], off
	s_add_u32 s38, s38, 1
	s_addc_u32 s39, s39, 0
	s_andn2_b64 s[36:37], s[36:37], exec
	v_lshl_add_u64 v[18:19], v[18:19], 0, 2
	v_lshl_add_u64 v[20:21], v[20:21], 0, 2
	s_waitcnt vmcnt(0)
	v_cmp_neq_f16_e32 vcc, v22, v23
	s_and_b64 s[40:41], vcc, exec
	s_or_b64 s[36:37], s[36:37], s[40:41]
.LBB1322_175:                           ;   in Loop: Header=BB1322_176 Depth=1
	s_and_b64 s[40:41], exec, s[36:37]
	s_or_b64 s[18:19], s[40:41], s[18:19]
	v_mov_b64_e32 v[22:23], s[38:39]
	s_andn2_b64 exec, exec, s[18:19]
	s_cbranch_execz .LBB1322_179
.LBB1322_176:                           ; =>This Inner Loop Header: Depth=1
	s_or_b64 s[36:37], s[36:37], exec
	s_cmp_eq_u64 s[12:13], s[38:39]
	s_cbranch_scc0 .LBB1322_174
; %bb.177:                              ;   in Loop: Header=BB1322_176 Depth=1
                                        ; implicit-def: $vgpr18_vgpr19
                                        ; implicit-def: $vgpr20_vgpr21
	s_mov_b64 s[38:39], s[26:27]
	s_branch .LBB1322_175
.LBB1322_178:
                                        ; implicit-def: $sgpr18_sgpr19
                                        ; implicit-def: $vgpr34
                                        ; implicit-def: $vgpr33
                                        ; implicit-def: $vgpr32
                                        ; implicit-def: $vgpr20
                                        ; implicit-def: $vgpr16_vgpr17
	s_cbranch_execnz .LBB1322_238
	s_branch .LBB1322_318
.LBB1322_179:
	s_or_b64 exec, exec, s[18:19]
	v_cmp_gt_i64_e32 vcc, s[26:27], v[22:23]
	s_orn2_b64 s[12:13], vcc, exec
.LBB1322_180:
	s_or_b64 exec, exec, s[14:15]
.LBB1322_181:
	v_mul_lo_u32 v20, v3, s26
	v_mul_lo_u32 v21, v2, s27
	v_mad_u64_u32 v[18:19], s[14:15], v2, s26, 0
	v_add3_u32 v19, v19, v21, v20
	s_mov_b64 s[14:15], 0
	s_and_b64 vcc, exec, s[4:5]
	v_lshl_add_u64 v[18:19], v[18:19], 1, s[28:29]
	s_mov_b64 s[18:19], 0
	s_cbranch_vccnz .LBB1322_190
; %bb.182:
	global_load_ushort v20, v[18:19], off
	global_load_ushort v21, v[16:17], off
	s_mov_b64 s[18:19], -1
	s_waitcnt vmcnt(0)
	v_cmp_eq_f16_e32 vcc, v20, v21
	s_and_saveexec_b64 s[36:37], vcc
	s_cbranch_execz .LBB1322_189
; %bb.183:
	s_add_u32 s18, s26, -1
	v_lshl_add_u64 v[16:17], v[16:17], 0, 2
	v_lshl_add_u64 v[20:21], v[18:19], 0, 2
	s_addc_u32 s19, s27, -1
	s_mov_b64 s[38:39], 0
	s_mov_b64 s[42:43], 0
                                        ; implicit-def: $sgpr40_sgpr41
	s_branch .LBB1322_186
.LBB1322_184:                           ;   in Loop: Header=BB1322_186 Depth=1
	global_load_ushort v22, v[20:21], off
	global_load_ushort v23, v[16:17], off
	s_add_u32 s42, s42, 1
	s_addc_u32 s43, s43, 0
	s_andn2_b64 s[40:41], s[40:41], exec
	v_lshl_add_u64 v[16:17], v[16:17], 0, 2
	v_lshl_add_u64 v[20:21], v[20:21], 0, 2
	s_waitcnt vmcnt(0)
	v_cmp_neq_f16_e32 vcc, v22, v23
	s_and_b64 s[44:45], vcc, exec
	s_or_b64 s[40:41], s[40:41], s[44:45]
.LBB1322_185:                           ;   in Loop: Header=BB1322_186 Depth=1
	s_and_b64 s[44:45], exec, s[40:41]
	s_or_b64 s[38:39], s[44:45], s[38:39]
	v_mov_b64_e32 v[22:23], s[42:43]
	s_andn2_b64 exec, exec, s[38:39]
	s_cbranch_execz .LBB1322_188
.LBB1322_186:                           ; =>This Inner Loop Header: Depth=1
	s_or_b64 s[40:41], s[40:41], exec
	s_cmp_eq_u64 s[18:19], s[42:43]
	s_cbranch_scc0 .LBB1322_184
; %bb.187:                              ;   in Loop: Header=BB1322_186 Depth=1
                                        ; implicit-def: $vgpr16_vgpr17
                                        ; implicit-def: $vgpr20_vgpr21
	s_mov_b64 s[42:43], s[26:27]
	s_branch .LBB1322_185
.LBB1322_188:
	s_or_b64 exec, exec, s[38:39]
	v_cmp_gt_i64_e32 vcc, s[26:27], v[22:23]
	s_orn2_b64 s[18:19], vcc, exec
.LBB1322_189:
	s_or_b64 exec, exec, s[36:37]
.LBB1322_190:
	v_mul_lo_u32 v20, v9, s26
	v_mul_lo_u32 v21, v8, s27
	v_mad_u64_u32 v[16:17], s[36:37], v8, s26, 0
	v_add3_u32 v17, v17, v21, v20
	s_and_b64 vcc, exec, s[4:5]
	v_lshl_add_u64 v[16:17], v[16:17], 1, s[28:29]
	s_cbranch_vccnz .LBB1322_199
; %bb.191:
	global_load_ushort v20, v[16:17], off
	global_load_ushort v21, v[18:19], off
	s_mov_b64 s[14:15], -1
	s_waitcnt vmcnt(0)
	v_cmp_eq_f16_e32 vcc, v20, v21
	s_and_saveexec_b64 s[36:37], vcc
	s_cbranch_execz .LBB1322_198
; %bb.192:
	s_add_u32 s14, s26, -1
	v_lshl_add_u64 v[18:19], v[18:19], 0, 2
	v_lshl_add_u64 v[20:21], v[16:17], 0, 2
	s_addc_u32 s15, s27, -1
	s_mov_b64 s[38:39], 0
	s_mov_b64 s[42:43], 0
                                        ; implicit-def: $sgpr40_sgpr41
	s_branch .LBB1322_195
.LBB1322_193:                           ;   in Loop: Header=BB1322_195 Depth=1
	global_load_ushort v22, v[20:21], off
	global_load_ushort v23, v[18:19], off
	s_add_u32 s42, s42, 1
	s_addc_u32 s43, s43, 0
	s_andn2_b64 s[40:41], s[40:41], exec
	v_lshl_add_u64 v[18:19], v[18:19], 0, 2
	v_lshl_add_u64 v[20:21], v[20:21], 0, 2
	s_waitcnt vmcnt(0)
	v_cmp_neq_f16_e32 vcc, v22, v23
	s_and_b64 s[44:45], vcc, exec
	s_or_b64 s[40:41], s[40:41], s[44:45]
.LBB1322_194:                           ;   in Loop: Header=BB1322_195 Depth=1
	s_and_b64 s[44:45], exec, s[40:41]
	s_or_b64 s[38:39], s[44:45], s[38:39]
	v_mov_b64_e32 v[22:23], s[42:43]
	s_andn2_b64 exec, exec, s[38:39]
	s_cbranch_execz .LBB1322_197
.LBB1322_195:                           ; =>This Inner Loop Header: Depth=1
	s_or_b64 s[40:41], s[40:41], exec
	s_cmp_eq_u64 s[14:15], s[42:43]
	s_cbranch_scc0 .LBB1322_193
; %bb.196:                              ;   in Loop: Header=BB1322_195 Depth=1
                                        ; implicit-def: $vgpr18_vgpr19
                                        ; implicit-def: $vgpr20_vgpr21
	s_mov_b64 s[42:43], s[26:27]
	s_branch .LBB1322_194
.LBB1322_197:
	s_or_b64 exec, exec, s[38:39]
	v_cmp_gt_i64_e32 vcc, s[26:27], v[22:23]
	s_orn2_b64 s[14:15], vcc, exec
.LBB1322_198:
	s_or_b64 exec, exec, s[36:37]
.LBB1322_199:
	v_mul_lo_u32 v20, v7, s26
	v_mul_lo_u32 v21, v6, s27
	v_mad_u64_u32 v[18:19], s[36:37], v6, s26, 0
	v_add3_u32 v19, v19, v21, v20
	s_mov_b64 s[36:37], 0
	s_and_b64 vcc, exec, s[4:5]
	v_lshl_add_u64 v[18:19], v[18:19], 1, s[28:29]
	s_mov_b64 s[38:39], 0
	s_cbranch_vccnz .LBB1322_208
; %bb.200:
	global_load_ushort v20, v[18:19], off
	global_load_ushort v21, v[16:17], off
	s_mov_b64 s[38:39], -1
	s_waitcnt vmcnt(0)
	v_cmp_eq_f16_e32 vcc, v20, v21
	s_and_saveexec_b64 s[40:41], vcc
	s_cbranch_execz .LBB1322_207
; %bb.201:
	s_add_u32 s38, s26, -1
	v_lshl_add_u64 v[16:17], v[16:17], 0, 2
	v_lshl_add_u64 v[20:21], v[18:19], 0, 2
	s_addc_u32 s39, s27, -1
	s_mov_b64 s[42:43], 0
	s_mov_b64 s[46:47], 0
                                        ; implicit-def: $sgpr44_sgpr45
	s_branch .LBB1322_204
.LBB1322_202:                           ;   in Loop: Header=BB1322_204 Depth=1
	global_load_ushort v22, v[20:21], off
	global_load_ushort v23, v[16:17], off
	s_add_u32 s46, s46, 1
	s_addc_u32 s47, s47, 0
	s_andn2_b64 s[44:45], s[44:45], exec
	v_lshl_add_u64 v[16:17], v[16:17], 0, 2
	v_lshl_add_u64 v[20:21], v[20:21], 0, 2
	s_waitcnt vmcnt(0)
	v_cmp_neq_f16_e32 vcc, v22, v23
	s_and_b64 s[48:49], vcc, exec
	s_or_b64 s[44:45], s[44:45], s[48:49]
.LBB1322_203:                           ;   in Loop: Header=BB1322_204 Depth=1
	s_and_b64 s[48:49], exec, s[44:45]
	s_or_b64 s[42:43], s[48:49], s[42:43]
	v_mov_b64_e32 v[22:23], s[46:47]
	s_andn2_b64 exec, exec, s[42:43]
	s_cbranch_execz .LBB1322_206
.LBB1322_204:                           ; =>This Inner Loop Header: Depth=1
	s_or_b64 s[44:45], s[44:45], exec
	s_cmp_eq_u64 s[38:39], s[46:47]
	s_cbranch_scc0 .LBB1322_202
; %bb.205:                              ;   in Loop: Header=BB1322_204 Depth=1
                                        ; implicit-def: $vgpr16_vgpr17
                                        ; implicit-def: $vgpr20_vgpr21
	s_mov_b64 s[46:47], s[26:27]
	s_branch .LBB1322_203
.LBB1322_206:
	s_or_b64 exec, exec, s[42:43]
	v_cmp_gt_i64_e32 vcc, s[26:27], v[22:23]
	s_orn2_b64 s[38:39], vcc, exec
.LBB1322_207:
	s_or_b64 exec, exec, s[40:41]
.LBB1322_208:
	v_mul_lo_u32 v20, v13, s26
	v_mul_lo_u32 v21, v12, s27
	v_mad_u64_u32 v[16:17], s[40:41], v12, s26, 0
	v_add3_u32 v17, v17, v21, v20
	s_and_b64 vcc, exec, s[4:5]
	v_lshl_add_u64 v[16:17], v[16:17], 1, s[28:29]
	s_cbranch_vccnz .LBB1322_217
; %bb.209:
	global_load_ushort v20, v[16:17], off
	global_load_ushort v21, v[18:19], off
	s_mov_b64 s[36:37], -1
	s_waitcnt vmcnt(0)
	v_cmp_eq_f16_e32 vcc, v20, v21
	s_and_saveexec_b64 s[40:41], vcc
	s_cbranch_execz .LBB1322_216
; %bb.210:
	s_add_u32 s36, s26, -1
	v_lshl_add_u64 v[18:19], v[18:19], 0, 2
	v_lshl_add_u64 v[20:21], v[16:17], 0, 2
	s_addc_u32 s37, s27, -1
	s_mov_b64 s[42:43], 0
	s_mov_b64 s[46:47], 0
                                        ; implicit-def: $sgpr44_sgpr45
	s_branch .LBB1322_213
.LBB1322_211:                           ;   in Loop: Header=BB1322_213 Depth=1
	global_load_ushort v22, v[20:21], off
	global_load_ushort v23, v[18:19], off
	s_add_u32 s46, s46, 1
	s_addc_u32 s47, s47, 0
	s_andn2_b64 s[44:45], s[44:45], exec
	v_lshl_add_u64 v[18:19], v[18:19], 0, 2
	v_lshl_add_u64 v[20:21], v[20:21], 0, 2
	s_waitcnt vmcnt(0)
	v_cmp_neq_f16_e32 vcc, v22, v23
	s_and_b64 s[48:49], vcc, exec
	s_or_b64 s[44:45], s[44:45], s[48:49]
.LBB1322_212:                           ;   in Loop: Header=BB1322_213 Depth=1
	s_and_b64 s[48:49], exec, s[44:45]
	s_or_b64 s[42:43], s[48:49], s[42:43]
	v_mov_b64_e32 v[22:23], s[46:47]
	s_andn2_b64 exec, exec, s[42:43]
	s_cbranch_execz .LBB1322_215
.LBB1322_213:                           ; =>This Inner Loop Header: Depth=1
	s_or_b64 s[44:45], s[44:45], exec
	s_cmp_eq_u64 s[36:37], s[46:47]
	s_cbranch_scc0 .LBB1322_211
; %bb.214:                              ;   in Loop: Header=BB1322_213 Depth=1
                                        ; implicit-def: $vgpr18_vgpr19
                                        ; implicit-def: $vgpr20_vgpr21
	s_mov_b64 s[46:47], s[26:27]
	s_branch .LBB1322_212
.LBB1322_215:
	s_or_b64 exec, exec, s[42:43]
	v_cmp_gt_i64_e32 vcc, s[26:27], v[22:23]
	s_orn2_b64 s[36:37], vcc, exec
.LBB1322_216:
	s_or_b64 exec, exec, s[40:41]
.LBB1322_217:
	v_mul_lo_u32 v20, v11, s26
	v_mul_lo_u32 v21, v10, s27
	v_mad_u64_u32 v[18:19], s[40:41], v10, s26, 0
	v_add3_u32 v19, v19, v21, v20
	s_and_b64 vcc, exec, s[4:5]
	s_mov_b64 s[42:43], 0
	s_cbranch_vccnz .LBB1322_226
; %bb.218:
	v_lshl_add_u64 v[20:21], v[18:19], 1, s[28:29]
	global_load_ushort v22, v[20:21], off
	global_load_ushort v23, v[16:17], off
	s_mov_b64 s[42:43], -1
	s_waitcnt vmcnt(0)
	v_cmp_eq_f16_e32 vcc, v22, v23
	s_and_saveexec_b64 s[40:41], vcc
	s_cbranch_execz .LBB1322_225
; %bb.219:
	s_add_u32 s42, s26, -1
	v_lshl_add_u64 v[16:17], v[16:17], 0, 2
	v_lshl_add_u64 v[20:21], v[20:21], 0, 2
	s_addc_u32 s43, s27, -1
	s_mov_b64 s[44:45], 0
	s_mov_b64 s[48:49], 0
                                        ; implicit-def: $sgpr46_sgpr47
	s_branch .LBB1322_222
.LBB1322_220:                           ;   in Loop: Header=BB1322_222 Depth=1
	global_load_ushort v22, v[20:21], off
	global_load_ushort v23, v[16:17], off
	s_add_u32 s48, s48, 1
	s_addc_u32 s49, s49, 0
	s_andn2_b64 s[46:47], s[46:47], exec
	v_lshl_add_u64 v[16:17], v[16:17], 0, 2
	v_lshl_add_u64 v[20:21], v[20:21], 0, 2
	s_waitcnt vmcnt(0)
	v_cmp_neq_f16_e32 vcc, v22, v23
	s_and_b64 s[50:51], vcc, exec
	s_or_b64 s[46:47], s[46:47], s[50:51]
.LBB1322_221:                           ;   in Loop: Header=BB1322_222 Depth=1
	s_and_b64 s[50:51], exec, s[46:47]
	s_or_b64 s[44:45], s[50:51], s[44:45]
	v_mov_b64_e32 v[22:23], s[48:49]
	s_andn2_b64 exec, exec, s[44:45]
	s_cbranch_execz .LBB1322_224
.LBB1322_222:                           ; =>This Inner Loop Header: Depth=1
	s_or_b64 s[46:47], s[46:47], exec
	s_cmp_eq_u64 s[42:43], s[48:49]
	s_cbranch_scc0 .LBB1322_220
; %bb.223:                              ;   in Loop: Header=BB1322_222 Depth=1
                                        ; implicit-def: $vgpr16_vgpr17
                                        ; implicit-def: $vgpr20_vgpr21
	s_mov_b64 s[48:49], s[26:27]
	s_branch .LBB1322_221
.LBB1322_224:
	s_or_b64 exec, exec, s[44:45]
	v_cmp_gt_i64_e32 vcc, s[26:27], v[22:23]
	s_orn2_b64 s[42:43], vcc, exec
.LBB1322_225:
	s_or_b64 exec, exec, s[40:41]
.LBB1322_226:
	v_cndmask_b32_e64 v17, 0, 1, s[38:39]
	v_cndmask_b32_e64 v16, 0, 1, s[36:37]
	;; [unrolled: 1-line block ×3, first 2 shown]
	v_lshlrev_b16_e32 v17, 8, v17
	v_cndmask_b32_e64 v32, 0, 1, s[14:15]
	v_cndmask_b32_e64 v20, 0, 1, s[42:43]
	v_or_b32_sdwa v16, v16, v17 dst_sel:WORD_1 dst_unused:UNUSED_PAD src0_sel:DWORD src1_sel:DWORD
	v_lshlrev_b16_e32 v17, 8, v33
	v_lshlrev_b16_e32 v20, 8, v20
	v_or_b32_e32 v17, v32, v17
	v_or_b32_e32 v20, 1, v20
	v_and_b32_e32 v17, 0xffff, v17
	v_cndmask_b32_e64 v34, 0, 1, s[12:13]
	v_or_b32_sdwa v16, v20, v16 dst_sel:DWORD dst_unused:UNUSED_PAD src0_sel:WORD_0 src1_sel:DWORD
	v_lshl_or_b32 v17, v34, 16, v17
	v_cmp_ne_u32_e32 vcc, 0, v0
	s_waitcnt lgkmcnt(0)
	s_barrier
	s_waitcnt lgkmcnt(0)
                                        ; implicit-def: $sgpr18_sgpr19
                                        ; implicit-def: $vgpr20
	s_and_saveexec_b64 s[12:13], vcc
	s_xor_b64 s[12:13], exec, s[12:13]
	s_cbranch_execz .LBB1322_237
; %bb.227:
	s_mov_b32 s33, 0x3020104
	s_and_b64 vcc, exec, s[4:5]
	s_mov_b64 s[14:15], 0
	s_cbranch_vccnz .LBB1322_236
; %bb.228:
	v_add_u32_e32 v17, -8, v30
	ds_read_b64 v[20:21], v17
	v_lshl_add_u64 v[18:19], v[18:19], 1, s[28:29]
	s_mov_b64 s[14:15], -1
	s_waitcnt lgkmcnt(0)
	v_mul_lo_u32 v17, v21, s26
	v_mul_lo_u32 v22, v20, s27
	v_mad_u64_u32 v[20:21], s[4:5], v20, s26, 0
	v_add3_u32 v21, v21, v22, v17
	v_lshl_add_u64 v[20:21], v[20:21], 1, s[28:29]
	global_load_ushort v17, v[20:21], off
	global_load_ushort v22, v[18:19], off
	s_waitcnt vmcnt(0)
	v_cmp_eq_f16_e32 vcc, v17, v22
	s_and_saveexec_b64 s[4:5], vcc
	s_cbranch_execz .LBB1322_235
; %bb.229:
	s_add_u32 s14, s26, -1
	v_lshl_add_u64 v[18:19], v[18:19], 0, 2
	v_lshl_add_u64 v[20:21], v[20:21], 0, 2
	s_addc_u32 s15, s27, -1
	s_mov_b64 s[18:19], 0
	s_mov_b64 s[38:39], 0
                                        ; implicit-def: $sgpr36_sgpr37
	s_branch .LBB1322_232
.LBB1322_230:                           ;   in Loop: Header=BB1322_232 Depth=1
	global_load_ushort v17, v[20:21], off
	global_load_ushort v22, v[18:19], off
	s_add_u32 s38, s38, 1
	s_addc_u32 s39, s39, 0
	s_andn2_b64 s[36:37], s[36:37], exec
	v_lshl_add_u64 v[18:19], v[18:19], 0, 2
	v_lshl_add_u64 v[20:21], v[20:21], 0, 2
	s_waitcnt vmcnt(0)
	v_cmp_neq_f16_e32 vcc, v17, v22
	s_and_b64 s[40:41], vcc, exec
	s_or_b64 s[36:37], s[36:37], s[40:41]
.LBB1322_231:                           ;   in Loop: Header=BB1322_232 Depth=1
	s_and_b64 s[40:41], exec, s[36:37]
	s_or_b64 s[18:19], s[40:41], s[18:19]
	v_mov_b64_e32 v[22:23], s[38:39]
	s_andn2_b64 exec, exec, s[18:19]
	s_cbranch_execz .LBB1322_234
.LBB1322_232:                           ; =>This Inner Loop Header: Depth=1
	s_or_b64 s[36:37], s[36:37], exec
	s_cmp_eq_u64 s[14:15], s[38:39]
	s_cbranch_scc0 .LBB1322_230
; %bb.233:                              ;   in Loop: Header=BB1322_232 Depth=1
                                        ; implicit-def: $vgpr18_vgpr19
                                        ; implicit-def: $vgpr20_vgpr21
	s_mov_b64 s[38:39], s[26:27]
	s_branch .LBB1322_231
.LBB1322_234:
	s_or_b64 exec, exec, s[18:19]
	v_cmp_gt_i64_e32 vcc, s[26:27], v[22:23]
	s_orn2_b64 s[14:15], vcc, exec
.LBB1322_235:
	s_or_b64 exec, exec, s[4:5]
.LBB1322_236:
	v_perm_b32 v20, v16, v16, s33
	s_and_b64 s[18:19], s[14:15], exec
	s_or_b64 s[10:11], s[10:11], exec
                                        ; implicit-def: $vgpr16_vgpr17
.LBB1322_237:
	s_or_b64 exec, exec, s[12:13]
	s_branch .LBB1322_318
.LBB1322_238:
	v_cmp_gt_u32_e32 vcc, s3, v27
	s_mov_b64 s[12:13], 0
	s_mov_b64 s[4:5], 0
	s_and_saveexec_b64 s[14:15], vcc
	s_cbranch_execz .LBB1322_249
; %bb.239:
	s_andn2_b64 vcc, exec, s[6:7]
	s_mov_b64 s[18:19], 0
	s_cbranch_vccnz .LBB1322_248
; %bb.240:
	v_mul_lo_u32 v18, v5, s26
	v_mul_lo_u32 v19, v4, s27
	v_mad_u64_u32 v[16:17], s[4:5], v4, s26, 0
	v_add3_u32 v17, v17, v19, v18
	v_mul_lo_u32 v18, v15, s26
	v_mul_lo_u32 v19, v14, s27
	v_mad_u64_u32 v[20:21], s[4:5], v14, s26, 0
	v_add3_u32 v21, v21, v19, v18
	v_lshl_add_u64 v[18:19], v[16:17], 1, s[28:29]
	v_lshl_add_u64 v[16:17], v[20:21], 1, s[28:29]
	global_load_ushort v20, v[18:19], off
	global_load_ushort v21, v[16:17], off
	s_mov_b64 s[18:19], -1
	s_waitcnt vmcnt(0)
	v_cmp_eq_f16_e32 vcc, v20, v21
	s_and_saveexec_b64 s[4:5], vcc
	s_cbranch_execz .LBB1322_247
; %bb.241:
	s_add_u32 s18, s26, -1
	v_lshl_add_u64 v[16:17], v[16:17], 0, 2
	v_lshl_add_u64 v[18:19], v[18:19], 0, 2
	s_addc_u32 s19, s27, -1
	s_mov_b64 s[36:37], 0
	s_mov_b64 s[40:41], 0
                                        ; implicit-def: $sgpr38_sgpr39
	s_branch .LBB1322_244
.LBB1322_242:                           ;   in Loop: Header=BB1322_244 Depth=1
	global_load_ushort v20, v[18:19], off
	global_load_ushort v21, v[16:17], off
	s_add_u32 s40, s40, 1
	s_addc_u32 s41, s41, 0
	s_andn2_b64 s[38:39], s[38:39], exec
	v_lshl_add_u64 v[16:17], v[16:17], 0, 2
	v_lshl_add_u64 v[18:19], v[18:19], 0, 2
	s_waitcnt vmcnt(0)
	v_cmp_neq_f16_e32 vcc, v20, v21
	s_and_b64 s[42:43], vcc, exec
	s_or_b64 s[38:39], s[38:39], s[42:43]
.LBB1322_243:                           ;   in Loop: Header=BB1322_244 Depth=1
	s_and_b64 s[42:43], exec, s[38:39]
	s_or_b64 s[36:37], s[42:43], s[36:37]
	v_mov_b64_e32 v[20:21], s[40:41]
	s_andn2_b64 exec, exec, s[36:37]
	s_cbranch_execz .LBB1322_246
.LBB1322_244:                           ; =>This Inner Loop Header: Depth=1
	s_or_b64 s[38:39], s[38:39], exec
	s_cmp_eq_u64 s[18:19], s[40:41]
	s_cbranch_scc0 .LBB1322_242
; %bb.245:                              ;   in Loop: Header=BB1322_244 Depth=1
                                        ; implicit-def: $vgpr16_vgpr17
                                        ; implicit-def: $vgpr18_vgpr19
	s_mov_b64 s[40:41], s[26:27]
	s_branch .LBB1322_243
.LBB1322_246:
	s_or_b64 exec, exec, s[36:37]
	v_cmp_gt_i64_e32 vcc, s[26:27], v[20:21]
	s_orn2_b64 s[18:19], vcc, exec
.LBB1322_247:
	s_or_b64 exec, exec, s[4:5]
.LBB1322_248:
	s_and_b64 s[4:5], s[18:19], exec
.LBB1322_249:
	s_or_b64 exec, exec, s[14:15]
	v_cmp_gt_u32_e32 vcc, s3, v29
	s_and_saveexec_b64 s[14:15], vcc
	s_cbranch_execz .LBB1322_260
; %bb.250:
	s_andn2_b64 vcc, exec, s[6:7]
	s_mov_b64 s[18:19], 0
	s_cbranch_vccnz .LBB1322_259
; %bb.251:
	v_mul_lo_u32 v18, v3, s26
	v_mul_lo_u32 v19, v2, s27
	v_mad_u64_u32 v[16:17], s[12:13], v2, s26, 0
	v_add3_u32 v17, v17, v19, v18
	v_mul_lo_u32 v18, v5, s26
	v_mul_lo_u32 v19, v4, s27
	v_mad_u64_u32 v[20:21], s[12:13], v4, s26, 0
	v_add3_u32 v21, v21, v19, v18
	v_lshl_add_u64 v[18:19], v[16:17], 1, s[28:29]
	v_lshl_add_u64 v[16:17], v[20:21], 1, s[28:29]
	global_load_ushort v20, v[18:19], off
	global_load_ushort v21, v[16:17], off
	s_mov_b64 s[18:19], -1
	s_waitcnt vmcnt(0)
	v_cmp_eq_f16_e32 vcc, v20, v21
	s_and_saveexec_b64 s[12:13], vcc
	s_cbranch_execz .LBB1322_258
; %bb.252:
	s_add_u32 s18, s26, -1
	v_lshl_add_u64 v[16:17], v[16:17], 0, 2
	v_lshl_add_u64 v[18:19], v[18:19], 0, 2
	s_addc_u32 s19, s27, -1
	s_mov_b64 s[36:37], 0
	s_mov_b64 s[40:41], 0
                                        ; implicit-def: $sgpr38_sgpr39
	s_branch .LBB1322_255
.LBB1322_253:                           ;   in Loop: Header=BB1322_255 Depth=1
	global_load_ushort v20, v[18:19], off
	global_load_ushort v21, v[16:17], off
	s_add_u32 s40, s40, 1
	s_addc_u32 s41, s41, 0
	s_andn2_b64 s[38:39], s[38:39], exec
	v_lshl_add_u64 v[16:17], v[16:17], 0, 2
	v_lshl_add_u64 v[18:19], v[18:19], 0, 2
	s_waitcnt vmcnt(0)
	v_cmp_neq_f16_e32 vcc, v20, v21
	s_and_b64 s[42:43], vcc, exec
	s_or_b64 s[38:39], s[38:39], s[42:43]
.LBB1322_254:                           ;   in Loop: Header=BB1322_255 Depth=1
	s_and_b64 s[42:43], exec, s[38:39]
	s_or_b64 s[36:37], s[42:43], s[36:37]
	v_mov_b64_e32 v[20:21], s[40:41]
	s_andn2_b64 exec, exec, s[36:37]
	s_cbranch_execz .LBB1322_257
.LBB1322_255:                           ; =>This Inner Loop Header: Depth=1
	s_or_b64 s[38:39], s[38:39], exec
	s_cmp_eq_u64 s[18:19], s[40:41]
	s_cbranch_scc0 .LBB1322_253
; %bb.256:                              ;   in Loop: Header=BB1322_255 Depth=1
                                        ; implicit-def: $vgpr16_vgpr17
                                        ; implicit-def: $vgpr18_vgpr19
	s_mov_b64 s[40:41], s[26:27]
	s_branch .LBB1322_254
.LBB1322_257:
	s_or_b64 exec, exec, s[36:37]
	v_cmp_gt_i64_e32 vcc, s[26:27], v[20:21]
	s_orn2_b64 s[18:19], vcc, exec
.LBB1322_258:
	s_or_b64 exec, exec, s[12:13]
.LBB1322_259:
	s_and_b64 s[12:13], s[18:19], exec
.LBB1322_260:
	s_or_b64 exec, exec, s[14:15]
	v_cmp_gt_u32_e32 vcc, s3, v26
	s_mov_b64 s[18:19], 0
	s_mov_b64 s[14:15], 0
	s_and_saveexec_b64 s[36:37], vcc
	s_cbranch_execz .LBB1322_271
; %bb.261:
	s_andn2_b64 vcc, exec, s[6:7]
	s_mov_b64 s[38:39], 0
	s_cbranch_vccnz .LBB1322_270
; %bb.262:
	v_mul_lo_u32 v18, v9, s26
	v_mul_lo_u32 v19, v8, s27
	v_mad_u64_u32 v[16:17], s[14:15], v8, s26, 0
	v_add3_u32 v17, v17, v19, v18
	v_mul_lo_u32 v18, v3, s26
	v_mul_lo_u32 v19, v2, s27
	v_mad_u64_u32 v[20:21], s[14:15], v2, s26, 0
	v_add3_u32 v21, v21, v19, v18
	v_lshl_add_u64 v[18:19], v[16:17], 1, s[28:29]
	v_lshl_add_u64 v[16:17], v[20:21], 1, s[28:29]
	global_load_ushort v20, v[18:19], off
	global_load_ushort v21, v[16:17], off
	s_mov_b64 s[38:39], -1
	s_waitcnt vmcnt(0)
	v_cmp_eq_f16_e32 vcc, v20, v21
	s_and_saveexec_b64 s[14:15], vcc
	s_cbranch_execz .LBB1322_269
; %bb.263:
	s_add_u32 s38, s26, -1
	v_lshl_add_u64 v[16:17], v[16:17], 0, 2
	v_lshl_add_u64 v[18:19], v[18:19], 0, 2
	s_addc_u32 s39, s27, -1
	s_mov_b64 s[40:41], 0
	s_mov_b64 s[44:45], 0
                                        ; implicit-def: $sgpr42_sgpr43
	s_branch .LBB1322_266
.LBB1322_264:                           ;   in Loop: Header=BB1322_266 Depth=1
	global_load_ushort v20, v[18:19], off
	global_load_ushort v21, v[16:17], off
	s_add_u32 s44, s44, 1
	s_addc_u32 s45, s45, 0
	s_andn2_b64 s[42:43], s[42:43], exec
	v_lshl_add_u64 v[16:17], v[16:17], 0, 2
	v_lshl_add_u64 v[18:19], v[18:19], 0, 2
	s_waitcnt vmcnt(0)
	v_cmp_neq_f16_e32 vcc, v20, v21
	s_and_b64 s[46:47], vcc, exec
	s_or_b64 s[42:43], s[42:43], s[46:47]
.LBB1322_265:                           ;   in Loop: Header=BB1322_266 Depth=1
	s_and_b64 s[46:47], exec, s[42:43]
	s_or_b64 s[40:41], s[46:47], s[40:41]
	v_mov_b64_e32 v[20:21], s[44:45]
	s_andn2_b64 exec, exec, s[40:41]
	s_cbranch_execz .LBB1322_268
.LBB1322_266:                           ; =>This Inner Loop Header: Depth=1
	s_or_b64 s[42:43], s[42:43], exec
	s_cmp_eq_u64 s[38:39], s[44:45]
	s_cbranch_scc0 .LBB1322_264
; %bb.267:                              ;   in Loop: Header=BB1322_266 Depth=1
                                        ; implicit-def: $vgpr16_vgpr17
                                        ; implicit-def: $vgpr18_vgpr19
	s_mov_b64 s[44:45], s[26:27]
	s_branch .LBB1322_265
.LBB1322_268:
	s_or_b64 exec, exec, s[40:41]
	v_cmp_gt_i64_e32 vcc, s[26:27], v[20:21]
	s_orn2_b64 s[38:39], vcc, exec
.LBB1322_269:
	s_or_b64 exec, exec, s[14:15]
.LBB1322_270:
	s_and_b64 s[14:15], s[38:39], exec
.LBB1322_271:
	s_or_b64 exec, exec, s[36:37]
	v_cmp_gt_u32_e32 vcc, s3, v28
	s_and_saveexec_b64 s[36:37], vcc
	s_cbranch_execz .LBB1322_282
; %bb.272:
	s_andn2_b64 vcc, exec, s[6:7]
	s_mov_b64 s[38:39], 0
	s_cbranch_vccnz .LBB1322_281
; %bb.273:
	v_mul_lo_u32 v18, v7, s26
	v_mul_lo_u32 v19, v6, s27
	v_mad_u64_u32 v[16:17], s[18:19], v6, s26, 0
	v_add3_u32 v17, v17, v19, v18
	v_mul_lo_u32 v18, v9, s26
	v_mul_lo_u32 v19, v8, s27
	v_mad_u64_u32 v[20:21], s[18:19], v8, s26, 0
	v_add3_u32 v21, v21, v19, v18
	v_lshl_add_u64 v[18:19], v[16:17], 1, s[28:29]
	v_lshl_add_u64 v[16:17], v[20:21], 1, s[28:29]
	global_load_ushort v20, v[18:19], off
	global_load_ushort v21, v[16:17], off
	s_mov_b64 s[38:39], -1
	s_waitcnt vmcnt(0)
	v_cmp_eq_f16_e32 vcc, v20, v21
	s_and_saveexec_b64 s[18:19], vcc
	s_cbranch_execz .LBB1322_280
; %bb.274:
	s_add_u32 s38, s26, -1
	v_lshl_add_u64 v[16:17], v[16:17], 0, 2
	v_lshl_add_u64 v[18:19], v[18:19], 0, 2
	s_addc_u32 s39, s27, -1
	s_mov_b64 s[40:41], 0
	s_mov_b64 s[44:45], 0
                                        ; implicit-def: $sgpr42_sgpr43
	s_branch .LBB1322_277
.LBB1322_275:                           ;   in Loop: Header=BB1322_277 Depth=1
	global_load_ushort v20, v[18:19], off
	global_load_ushort v21, v[16:17], off
	s_add_u32 s44, s44, 1
	s_addc_u32 s45, s45, 0
	s_andn2_b64 s[42:43], s[42:43], exec
	v_lshl_add_u64 v[16:17], v[16:17], 0, 2
	v_lshl_add_u64 v[18:19], v[18:19], 0, 2
	s_waitcnt vmcnt(0)
	v_cmp_neq_f16_e32 vcc, v20, v21
	s_and_b64 s[46:47], vcc, exec
	s_or_b64 s[42:43], s[42:43], s[46:47]
.LBB1322_276:                           ;   in Loop: Header=BB1322_277 Depth=1
	s_and_b64 s[46:47], exec, s[42:43]
	s_or_b64 s[40:41], s[46:47], s[40:41]
	v_mov_b64_e32 v[20:21], s[44:45]
	s_andn2_b64 exec, exec, s[40:41]
	s_cbranch_execz .LBB1322_279
.LBB1322_277:                           ; =>This Inner Loop Header: Depth=1
	s_or_b64 s[42:43], s[42:43], exec
	s_cmp_eq_u64 s[38:39], s[44:45]
	s_cbranch_scc0 .LBB1322_275
; %bb.278:                              ;   in Loop: Header=BB1322_277 Depth=1
                                        ; implicit-def: $vgpr16_vgpr17
                                        ; implicit-def: $vgpr18_vgpr19
	s_mov_b64 s[44:45], s[26:27]
	s_branch .LBB1322_276
.LBB1322_279:
	s_or_b64 exec, exec, s[40:41]
	v_cmp_gt_i64_e32 vcc, s[26:27], v[20:21]
	s_orn2_b64 s[38:39], vcc, exec
.LBB1322_280:
	s_or_b64 exec, exec, s[18:19]
.LBB1322_281:
	s_and_b64 s[18:19], s[38:39], exec
.LBB1322_282:
	s_or_b64 exec, exec, s[36:37]
	v_cmp_gt_u32_e32 vcc, s3, v24
	s_mov_b64 s[36:37], 0
	s_mov_b64 s[38:39], 0
	s_and_saveexec_b64 s[40:41], vcc
	s_cbranch_execz .LBB1322_293
; %bb.283:
	s_andn2_b64 vcc, exec, s[6:7]
	s_mov_b64 s[42:43], 0
	s_cbranch_vccnz .LBB1322_292
; %bb.284:
	v_mul_lo_u32 v18, v13, s26
	v_mul_lo_u32 v19, v12, s27
	v_mad_u64_u32 v[16:17], s[38:39], v12, s26, 0
	v_add3_u32 v17, v17, v19, v18
	v_mul_lo_u32 v18, v7, s26
	v_mul_lo_u32 v19, v6, s27
	v_mad_u64_u32 v[20:21], s[38:39], v6, s26, 0
	v_add3_u32 v21, v21, v19, v18
	v_lshl_add_u64 v[18:19], v[16:17], 1, s[28:29]
	v_lshl_add_u64 v[16:17], v[20:21], 1, s[28:29]
	global_load_ushort v20, v[18:19], off
	global_load_ushort v21, v[16:17], off
	s_mov_b64 s[42:43], -1
	s_waitcnt vmcnt(0)
	v_cmp_eq_f16_e32 vcc, v20, v21
	s_and_saveexec_b64 s[38:39], vcc
	s_cbranch_execz .LBB1322_291
; %bb.285:
	s_add_u32 s42, s26, -1
	v_lshl_add_u64 v[16:17], v[16:17], 0, 2
	v_lshl_add_u64 v[18:19], v[18:19], 0, 2
	s_addc_u32 s43, s27, -1
	s_mov_b64 s[44:45], 0
	s_mov_b64 s[48:49], 0
                                        ; implicit-def: $sgpr46_sgpr47
	s_branch .LBB1322_288
.LBB1322_286:                           ;   in Loop: Header=BB1322_288 Depth=1
	global_load_ushort v20, v[18:19], off
	global_load_ushort v21, v[16:17], off
	s_add_u32 s48, s48, 1
	s_addc_u32 s49, s49, 0
	s_andn2_b64 s[46:47], s[46:47], exec
	v_lshl_add_u64 v[16:17], v[16:17], 0, 2
	v_lshl_add_u64 v[18:19], v[18:19], 0, 2
	s_waitcnt vmcnt(0)
	v_cmp_neq_f16_e32 vcc, v20, v21
	s_and_b64 s[50:51], vcc, exec
	s_or_b64 s[46:47], s[46:47], s[50:51]
.LBB1322_287:                           ;   in Loop: Header=BB1322_288 Depth=1
	s_and_b64 s[50:51], exec, s[46:47]
	s_or_b64 s[44:45], s[50:51], s[44:45]
	v_mov_b64_e32 v[20:21], s[48:49]
	s_andn2_b64 exec, exec, s[44:45]
	s_cbranch_execz .LBB1322_290
.LBB1322_288:                           ; =>This Inner Loop Header: Depth=1
	s_or_b64 s[46:47], s[46:47], exec
	s_cmp_eq_u64 s[42:43], s[48:49]
	s_cbranch_scc0 .LBB1322_286
; %bb.289:                              ;   in Loop: Header=BB1322_288 Depth=1
                                        ; implicit-def: $vgpr16_vgpr17
                                        ; implicit-def: $vgpr18_vgpr19
	s_mov_b64 s[48:49], s[26:27]
	s_branch .LBB1322_287
.LBB1322_290:
	s_or_b64 exec, exec, s[44:45]
	v_cmp_gt_i64_e32 vcc, s[26:27], v[20:21]
	s_orn2_b64 s[42:43], vcc, exec
.LBB1322_291:
	s_or_b64 exec, exec, s[38:39]
.LBB1322_292:
	s_and_b64 s[38:39], s[42:43], exec
.LBB1322_293:
	s_or_b64 exec, exec, s[40:41]
	v_cmp_gt_u32_e32 vcc, s3, v25
	s_and_saveexec_b64 s[40:41], vcc
	s_cbranch_execz .LBB1322_304
; %bb.294:
	s_andn2_b64 vcc, exec, s[6:7]
	s_mov_b64 s[42:43], 0
	s_cbranch_vccnz .LBB1322_303
; %bb.295:
	v_mul_lo_u32 v18, v11, s26
	v_mul_lo_u32 v19, v10, s27
	v_mad_u64_u32 v[16:17], s[36:37], v10, s26, 0
	v_add3_u32 v17, v17, v19, v18
	v_mul_lo_u32 v18, v13, s26
	v_mul_lo_u32 v19, v12, s27
	v_mad_u64_u32 v[20:21], s[36:37], v12, s26, 0
	v_add3_u32 v21, v21, v19, v18
	v_lshl_add_u64 v[18:19], v[16:17], 1, s[28:29]
	v_lshl_add_u64 v[16:17], v[20:21], 1, s[28:29]
	global_load_ushort v20, v[18:19], off
	global_load_ushort v21, v[16:17], off
	s_mov_b64 s[42:43], -1
	s_waitcnt vmcnt(0)
	v_cmp_eq_f16_e32 vcc, v20, v21
	s_and_saveexec_b64 s[36:37], vcc
	s_cbranch_execz .LBB1322_302
; %bb.296:
	s_add_u32 s42, s26, -1
	v_lshl_add_u64 v[16:17], v[16:17], 0, 2
	v_lshl_add_u64 v[18:19], v[18:19], 0, 2
	s_addc_u32 s43, s27, -1
	s_mov_b64 s[44:45], 0
	s_mov_b64 s[48:49], 0
                                        ; implicit-def: $sgpr46_sgpr47
	s_branch .LBB1322_299
.LBB1322_297:                           ;   in Loop: Header=BB1322_299 Depth=1
	global_load_ushort v20, v[18:19], off
	global_load_ushort v21, v[16:17], off
	s_add_u32 s48, s48, 1
	s_addc_u32 s49, s49, 0
	s_andn2_b64 s[46:47], s[46:47], exec
	v_lshl_add_u64 v[16:17], v[16:17], 0, 2
	v_lshl_add_u64 v[18:19], v[18:19], 0, 2
	s_waitcnt vmcnt(0)
	v_cmp_neq_f16_e32 vcc, v20, v21
	s_and_b64 s[50:51], vcc, exec
	s_or_b64 s[46:47], s[46:47], s[50:51]
.LBB1322_298:                           ;   in Loop: Header=BB1322_299 Depth=1
	s_and_b64 s[50:51], exec, s[46:47]
	s_or_b64 s[44:45], s[50:51], s[44:45]
	v_mov_b64_e32 v[20:21], s[48:49]
	s_andn2_b64 exec, exec, s[44:45]
	s_cbranch_execz .LBB1322_301
.LBB1322_299:                           ; =>This Inner Loop Header: Depth=1
	s_or_b64 s[46:47], s[46:47], exec
	s_cmp_eq_u64 s[42:43], s[48:49]
	s_cbranch_scc0 .LBB1322_297
; %bb.300:                              ;   in Loop: Header=BB1322_299 Depth=1
                                        ; implicit-def: $vgpr16_vgpr17
                                        ; implicit-def: $vgpr18_vgpr19
	s_mov_b64 s[48:49], s[26:27]
	s_branch .LBB1322_298
.LBB1322_301:
	s_or_b64 exec, exec, s[44:45]
	v_cmp_gt_i64_e32 vcc, s[26:27], v[20:21]
	s_orn2_b64 s[42:43], vcc, exec
.LBB1322_302:
	s_or_b64 exec, exec, s[36:37]
.LBB1322_303:
	s_and_b64 s[36:37], s[42:43], exec
.LBB1322_304:
	s_or_b64 exec, exec, s[40:41]
	v_cndmask_b32_e64 v17, 0, 1, s[18:19]
	v_cndmask_b32_e64 v16, 0, 1, s[38:39]
	;; [unrolled: 1-line block ×3, first 2 shown]
	v_lshlrev_b16_e32 v17, 8, v17
	v_cndmask_b32_e64 v32, 0, 1, s[14:15]
	v_cndmask_b32_e64 v18, 0, 1, s[36:37]
	v_or_b32_sdwa v16, v16, v17 dst_sel:WORD_1 dst_unused:UNUSED_PAD src0_sel:DWORD src1_sel:DWORD
	v_lshlrev_b16_e32 v17, 8, v33
	v_lshlrev_b16_e32 v18, 8, v18
	v_or_b32_e32 v17, v32, v17
	v_or_b32_e32 v18, 1, v18
	v_and_b32_e32 v17, 0xffff, v17
	v_cndmask_b32_e64 v34, 0, 1, s[4:5]
	v_or_b32_sdwa v16, v18, v16 dst_sel:DWORD dst_unused:UNUSED_PAD src0_sel:WORD_0 src1_sel:DWORD
	v_lshl_or_b32 v17, v34, 16, v17
	v_cmp_ne_u32_e32 vcc, 0, v0
	s_waitcnt lgkmcnt(0)
	s_barrier
	s_waitcnt lgkmcnt(0)
                                        ; implicit-def: $sgpr18_sgpr19
                                        ; implicit-def: $vgpr20
	s_and_saveexec_b64 s[4:5], vcc
	s_cbranch_execz .LBB1322_317
; %bb.305:
	v_cmp_gt_u32_e32 vcc, s3, v1
	s_mov_b32 s33, 0x3020104
	s_mov_b64 s[14:15], 0
	s_and_saveexec_b64 s[12:13], vcc
	s_cbranch_execz .LBB1322_316
; %bb.306:
	s_andn2_b64 vcc, exec, s[6:7]
	s_cbranch_vccnz .LBB1322_315
; %bb.307:
	v_add_u32_e32 v17, -8, v30
	ds_read_b64 v[18:19], v17
	v_mul_lo_u32 v17, v11, s26
	v_mad_u64_u32 v[22:23], s[6:7], v10, s26, 0
	s_mov_b64 s[14:15], -1
	s_waitcnt lgkmcnt(0)
	v_mul_lo_u32 v20, v19, s26
	v_mul_lo_u32 v21, v18, s27
	v_mad_u64_u32 v[18:19], s[6:7], v18, s26, 0
	v_add3_u32 v19, v19, v21, v20
	v_mul_lo_u32 v20, v10, s27
	v_add3_u32 v23, v23, v20, v17
	v_lshl_add_u64 v[20:21], v[18:19], 1, s[28:29]
	v_lshl_add_u64 v[18:19], v[22:23], 1, s[28:29]
	global_load_ushort v17, v[20:21], off
	global_load_ushort v22, v[18:19], off
	s_waitcnt vmcnt(0)
	v_cmp_eq_f16_e32 vcc, v17, v22
	s_and_saveexec_b64 s[6:7], vcc
	s_cbranch_execz .LBB1322_314
; %bb.308:
	s_add_u32 s14, s26, -1
	v_lshl_add_u64 v[18:19], v[18:19], 0, 2
	v_lshl_add_u64 v[20:21], v[20:21], 0, 2
	s_addc_u32 s15, s27, -1
	s_mov_b64 s[18:19], 0
	s_mov_b64 s[36:37], 0
                                        ; implicit-def: $sgpr28_sgpr29
	s_branch .LBB1322_311
.LBB1322_309:                           ;   in Loop: Header=BB1322_311 Depth=1
	global_load_ushort v17, v[20:21], off
	global_load_ushort v22, v[18:19], off
	s_add_u32 s36, s36, 1
	s_addc_u32 s37, s37, 0
	s_andn2_b64 s[28:29], s[28:29], exec
	v_lshl_add_u64 v[18:19], v[18:19], 0, 2
	v_lshl_add_u64 v[20:21], v[20:21], 0, 2
	s_waitcnt vmcnt(0)
	v_cmp_neq_f16_e32 vcc, v17, v22
	s_and_b64 s[38:39], vcc, exec
	s_or_b64 s[28:29], s[28:29], s[38:39]
.LBB1322_310:                           ;   in Loop: Header=BB1322_311 Depth=1
	s_and_b64 s[38:39], exec, s[28:29]
	s_or_b64 s[18:19], s[38:39], s[18:19]
	v_mov_b64_e32 v[22:23], s[36:37]
	s_andn2_b64 exec, exec, s[18:19]
	s_cbranch_execz .LBB1322_313
.LBB1322_311:                           ; =>This Inner Loop Header: Depth=1
	s_or_b64 s[28:29], s[28:29], exec
	s_cmp_eq_u64 s[14:15], s[36:37]
	s_cbranch_scc0 .LBB1322_309
; %bb.312:                              ;   in Loop: Header=BB1322_311 Depth=1
                                        ; implicit-def: $vgpr18_vgpr19
                                        ; implicit-def: $vgpr20_vgpr21
	s_mov_b64 s[36:37], s[26:27]
	s_branch .LBB1322_310
.LBB1322_313:
	s_or_b64 exec, exec, s[18:19]
	v_cmp_gt_i64_e32 vcc, s[26:27], v[22:23]
	s_orn2_b64 s[14:15], vcc, exec
.LBB1322_314:
	s_or_b64 exec, exec, s[6:7]
.LBB1322_315:
	s_and_b64 s[14:15], s[14:15], exec
.LBB1322_316:
	s_or_b64 exec, exec, s[12:13]
	v_perm_b32 v20, v16, v16, s33
	s_and_b64 s[18:19], s[14:15], exec
	s_or_b64 s[10:11], s[10:11], exec
                                        ; implicit-def: $vgpr16_vgpr17
.LBB1322_317:
	s_or_b64 exec, exec, s[4:5]
.LBB1322_318:
	s_and_saveexec_b64 s[4:5], s[10:11]
	s_cbranch_execz .LBB1322_320
; %bb.319:
	s_waitcnt lgkmcnt(0)
	v_lshlrev_b16_e32 v17, 8, v33
	v_and_b32_e32 v18, 0xff, v34
	v_or_b32_sdwa v17, v32, v17 dst_sel:DWORD dst_unused:UNUSED_PAD src0_sel:BYTE_0 src1_sel:DWORD
	v_lshlrev_b32_e32 v18, 16, v18
	s_movk_i32 s6, 0xff
	v_or_b32_sdwa v17, v17, v18 dst_sel:DWORD dst_unused:UNUSED_PAD src0_sel:WORD_0 src1_sel:DWORD
	v_lshrrev_b32_e32 v18, 24, v20
	v_lshlrev_b16_e32 v18, 8, v18
	v_and_b32_sdwa v19, v20, s6 dst_sel:DWORD dst_unused:UNUSED_PAD src0_sel:WORD_1 src1_sel:DWORD
	v_or_b32_sdwa v18, v19, v18 dst_sel:WORD_1 dst_unused:UNUSED_PAD src0_sel:DWORD src1_sel:DWORD
	v_mov_b32_e32 v19, 8
	v_cndmask_b32_e64 v16, 0, 1, s[18:19]
	v_lshrrev_b32_sdwa v19, v19, v20 dst_sel:BYTE_1 dst_unused:UNUSED_PAD src0_sel:DWORD src1_sel:DWORD
	s_nop 0
	v_or_b32_e32 v16, v16, v19
	v_or_b32_sdwa v16, v16, v18 dst_sel:DWORD dst_unused:UNUSED_PAD src0_sel:WORD_0 src1_sel:DWORD
.LBB1322_320:
	s_or_b64 exec, exec, s[4:5]
	s_andn2_b64 vcc, exec, s[8:9]
	s_cbranch_vccnz .LBB1322_322
; %bb.321:
	s_waitcnt lgkmcnt(0)
	v_and_b32_e32 v18, 0xffff0000, v16
	v_cmp_gt_u32_e32 vcc, s3, v1
	s_mov_b32 s4, 0x40c0100
	s_nop 0
	v_cndmask_b32_e32 v1, v18, v16, vcc
	v_and_b32_e32 v1, 0xffff00ff, v1
	v_cmp_gt_u32_e32 vcc, s3, v25
	s_nop 1
	v_cndmask_b32_e32 v1, v1, v16, vcc
	v_lshrrev_b32_e32 v18, 24, v1
	v_perm_b32 v1, v18, v1, s4
	v_cmp_gt_u32_e32 vcc, s3, v24
	v_and_b32_e32 v18, 0xffffff00, v17
	s_nop 0
	v_cndmask_b32_e32 v1, v1, v16, vcc
	v_and_b32_e32 v1, 0xffffff, v1
	v_cmp_gt_u32_e32 vcc, s3, v28
	s_nop 1
	v_cndmask_b32_e32 v1, v1, v16, vcc
	v_cmp_gt_u32_e32 vcc, s3, v26
	s_nop 1
	v_cndmask_b32_e32 v18, v18, v17, vcc
	v_and_b32_e32 v18, 0xffff00ff, v18
	v_cndmask_b32_e32 v1, v1, v16, vcc
	v_cmp_gt_u32_e32 vcc, s3, v29
	s_nop 1
	v_cndmask_b32_e32 v18, v18, v17, vcc
	v_lshrrev_b32_e32 v19, 24, v18
	v_cndmask_b32_e32 v1, v1, v16, vcc
	v_perm_b32 v18, v19, v18, s4
	v_cmp_gt_u32_e32 vcc, s3, v27
	s_mov_b32 s3, 0x3020104
	s_nop 0
	v_cndmask_b32_e32 v1, v1, v16, vcc
	v_cndmask_b32_e32 v16, v18, v17, vcc
	v_mov_b32_e32 v17, 8
	v_lshrrev_b32_sdwa v17, v17, v16 dst_sel:BYTE_1 dst_unused:UNUSED_PAD src0_sel:DWORD src1_sel:DWORD
	s_nop 0
	v_or_b32_sdwa v17, v16, v17 dst_sel:DWORD dst_unused:UNUSED_PAD src0_sel:BYTE_0 src1_sel:DWORD
	v_and_b32_e32 v17, 0xffff, v17
	v_bfe_u32 v16, v16, 16, 8
	v_lshl_or_b32 v17, v16, 16, v17
	v_perm_b32 v16, v1, v1, s3
.LBB1322_322:
	s_waitcnt lgkmcnt(0)
	v_and_b32_e32 v1, 0xff, v16
	v_bfe_u32 v29, v16, 8, 8
	v_bfe_u32 v31, v16, 16, 8
	v_alignbit_b32 v18, v17, v16, 24
	v_and_b32_e32 v33, 0xff, v18
	v_and_b32_e32 v35, 0xff, v17
	v_add3_u32 v19, v29, v1, v31
	v_bfe_u32 v36, v17, 8, 8
	v_bfe_u32 v18, v17, 16, 8
	v_add3_u32 v19, v19, v33, v35
	v_add3_u32 v39, v19, v36, v18
	v_mbcnt_lo_u32_b32 v18, -1, 0
	v_mbcnt_hi_u32_b32 v37, -1, v18
	v_and_b32_e32 v18, 15, v37
	v_cmp_eq_u32_e64 s[14:15], 0, v18
	v_cmp_lt_u32_e64 s[12:13], 1, v18
	v_cmp_lt_u32_e64 s[10:11], 3, v18
	;; [unrolled: 1-line block ×3, first 2 shown]
	v_and_b32_e32 v18, 16, v37
	v_cmp_eq_u32_e64 s[6:7], 0, v18
	v_or_b32_e32 v18, 63, v0
	v_cmp_lt_u32_e64 s[18:19], 31, v37
	v_lshrrev_b32_e32 v38, 6, v0
	v_cmp_eq_u32_e64 s[4:5], v18, v0
	s_and_b64 vcc, exec, s[16:17]
	s_barrier
	s_cbranch_vccz .LBB1322_353
; %bb.323:
	v_mov_b32_dpp v18, v39 row_shr:1 row_mask:0xf bank_mask:0xf
	v_cndmask_b32_e64 v18, v18, 0, s[14:15]
	v_add_u32_e32 v18, v18, v39
	s_nop 1
	v_mov_b32_dpp v19, v18 row_shr:2 row_mask:0xf bank_mask:0xf
	v_cndmask_b32_e64 v19, 0, v19, s[12:13]
	v_add_u32_e32 v18, v18, v19
	s_nop 1
	;; [unrolled: 4-line block ×4, first 2 shown]
	v_mov_b32_dpp v19, v18 row_bcast:15 row_mask:0xf bank_mask:0xf
	v_cndmask_b32_e64 v19, v19, 0, s[6:7]
	v_add_u32_e32 v18, v18, v19
	s_nop 1
	v_mov_b32_dpp v19, v18 row_bcast:31 row_mask:0xf bank_mask:0xf
	v_cndmask_b32_e64 v19, 0, v19, s[18:19]
	v_add_u32_e32 v18, v18, v19
	s_and_saveexec_b64 s[16:17], s[4:5]
	s_cbranch_execz .LBB1322_325
; %bb.324:
	v_lshlrev_b32_e32 v19, 2, v38
	ds_write_b32 v19, v18
.LBB1322_325:
	s_or_b64 exec, exec, s[16:17]
	v_cmp_gt_u32_e32 vcc, 8, v0
	s_waitcnt lgkmcnt(0)
	s_barrier
	s_and_saveexec_b64 s[16:17], vcc
	s_cbranch_execz .LBB1322_327
; %bb.326:
	v_lshlrev_b32_e32 v19, 2, v0
	ds_read_b32 v20, v19
	v_and_b32_e32 v21, 7, v37
	v_cmp_ne_u32_e32 vcc, 0, v21
	s_waitcnt lgkmcnt(0)
	v_mov_b32_dpp v22, v20 row_shr:1 row_mask:0xf bank_mask:0xf
	v_cndmask_b32_e32 v22, 0, v22, vcc
	v_add_u32_e32 v20, v22, v20
	v_cmp_lt_u32_e32 vcc, 1, v21
	s_nop 0
	v_mov_b32_dpp v22, v20 row_shr:2 row_mask:0xf bank_mask:0xf
	v_cndmask_b32_e32 v22, 0, v22, vcc
	v_add_u32_e32 v20, v20, v22
	v_cmp_lt_u32_e32 vcc, 3, v21
	s_nop 0
	v_mov_b32_dpp v22, v20 row_shr:4 row_mask:0xf bank_mask:0xf
	v_cndmask_b32_e32 v21, 0, v22, vcc
	v_add_u32_e32 v20, v20, v21
	ds_write_b32 v19, v20
.LBB1322_327:
	s_or_b64 exec, exec, s[16:17]
	v_cmp_gt_u32_e32 vcc, 64, v0
	v_cmp_lt_u32_e64 s[16:17], 63, v0
	s_waitcnt lgkmcnt(0)
	s_barrier
	s_waitcnt lgkmcnt(0)
                                        ; implicit-def: $vgpr28
	s_and_saveexec_b64 s[26:27], s[16:17]
	s_cbranch_execz .LBB1322_329
; %bb.328:
	v_lshl_add_u32 v19, v38, 2, -4
	ds_read_b32 v28, v19
	s_waitcnt lgkmcnt(0)
	v_add_u32_e32 v18, v28, v18
.LBB1322_329:
	s_or_b64 exec, exec, s[26:27]
	v_add_u32_e32 v19, -1, v37
	v_and_b32_e32 v20, 64, v37
	v_cmp_lt_i32_e64 s[16:17], v19, v20
	s_nop 1
	v_cndmask_b32_e64 v19, v19, v37, s[16:17]
	v_lshlrev_b32_e32 v19, 2, v19
	ds_bpermute_b32 v30, v19, v18
	v_cmp_eq_u32_e64 s[16:17], 0, v37
	s_and_saveexec_b64 s[26:27], vcc
	s_cbranch_execz .LBB1322_352
; %bb.330:
	v_mov_b32_e32 v27, 0
	ds_read_b32 v18, v27 offset:28
	s_and_saveexec_b64 s[28:29], s[16:17]
	s_cbranch_execz .LBB1322_332
; %bb.331:
	s_add_i32 s36, s2, 64
	s_mov_b32 s37, 0
	s_lshl_b64 s[36:37], s[36:37], 3
	s_add_u32 s36, s30, s36
	v_mov_b32_e32 v19, 1
	s_addc_u32 s37, s31, s37
	s_waitcnt lgkmcnt(0)
	global_store_dwordx2 v27, v[18:19], s[36:37] sc1
.LBB1322_332:
	s_or_b64 exec, exec, s[28:29]
	v_xad_u32 v20, v37, -1, s2
	v_add_u32_e32 v26, 64, v20
	v_lshl_add_u64 v[22:23], v[26:27], 3, s[30:31]
	global_load_dwordx2 v[24:25], v[22:23], off sc1
	s_waitcnt vmcnt(0)
	v_cmp_eq_u16_sdwa s[36:37], v25, v27 src0_sel:BYTE_0 src1_sel:DWORD
	s_and_saveexec_b64 s[28:29], s[36:37]
	s_cbranch_execz .LBB1322_338
; %bb.333:
	s_mov_b32 s3, 1
	s_mov_b64 s[36:37], 0
	v_mov_b32_e32 v19, 0
.LBB1322_334:                           ; =>This Loop Header: Depth=1
                                        ;     Child Loop BB1322_335 Depth 2
	s_max_u32 s33, s3, 1
.LBB1322_335:                           ;   Parent Loop BB1322_334 Depth=1
                                        ; =>  This Inner Loop Header: Depth=2
	s_add_i32 s33, s33, -1
	s_cmp_eq_u32 s33, 0
	s_sleep 1
	s_cbranch_scc0 .LBB1322_335
; %bb.336:                              ;   in Loop: Header=BB1322_334 Depth=1
	global_load_dwordx2 v[24:25], v[22:23], off sc1
	s_cmp_lt_u32 s3, 32
	s_cselect_b64 s[38:39], -1, 0
	s_cmp_lg_u64 s[38:39], 0
	s_addc_u32 s3, s3, 0
	s_waitcnt vmcnt(0)
	v_cmp_ne_u16_sdwa s[38:39], v25, v19 src0_sel:BYTE_0 src1_sel:DWORD
	s_or_b64 s[36:37], s[38:39], s[36:37]
	s_andn2_b64 exec, exec, s[36:37]
	s_cbranch_execnz .LBB1322_334
; %bb.337:
	s_or_b64 exec, exec, s[36:37]
.LBB1322_338:
	s_or_b64 exec, exec, s[28:29]
	v_and_b32_e32 v32, 63, v37
	v_mov_b32_e32 v19, 2
	v_cmp_ne_u32_e32 vcc, 63, v32
	v_cmp_eq_u16_sdwa s[28:29], v25, v19 src0_sel:BYTE_0 src1_sel:DWORD
	v_lshlrev_b64 v[22:23], v37, -1
	v_addc_co_u32_e32 v27, vcc, 0, v37, vcc
	v_and_b32_e32 v21, s29, v23
	v_lshlrev_b32_e32 v34, 2, v27
	v_or_b32_e32 v21, 0x80000000, v21
	ds_bpermute_b32 v27, v34, v24
	v_and_b32_e32 v26, s28, v22
	v_ffbl_b32_e32 v21, v21
	v_add_u32_e32 v21, 32, v21
	v_ffbl_b32_e32 v26, v26
	v_min_u32_e32 v21, v26, v21
	v_cmp_lt_u32_e32 vcc, v32, v21
	v_add_u32_e32 v41, 2, v32
	v_add_u32_e32 v43, 4, v32
	s_waitcnt lgkmcnt(0)
	v_cndmask_b32_e32 v26, 0, v27, vcc
	v_cmp_gt_u32_e32 vcc, 62, v32
	v_add_u32_e32 v24, v26, v24
	v_add_u32_e32 v45, 8, v32
	v_cndmask_b32_e64 v26, 0, 1, vcc
	v_lshlrev_b32_e32 v26, 1, v26
	v_add_lshl_u32 v40, v26, v37, 2
	ds_bpermute_b32 v26, v40, v24
	v_cmp_le_u32_e32 vcc, v41, v21
	v_add_u32_e32 v48, 16, v32
	v_add_u32_e32 v50, 32, v32
	s_waitcnt lgkmcnt(0)
	v_cndmask_b32_e32 v26, 0, v26, vcc
	v_cmp_gt_u32_e32 vcc, 60, v32
	v_add_u32_e32 v24, v24, v26
	s_nop 0
	v_cndmask_b32_e64 v26, 0, 1, vcc
	v_lshlrev_b32_e32 v26, 2, v26
	v_add_lshl_u32 v42, v26, v37, 2
	ds_bpermute_b32 v26, v42, v24
	v_cmp_le_u32_e32 vcc, v43, v21
	s_waitcnt lgkmcnt(0)
	s_nop 0
	v_cndmask_b32_e32 v26, 0, v26, vcc
	v_cmp_gt_u32_e32 vcc, 56, v32
	v_add_u32_e32 v24, v24, v26
	s_nop 0
	v_cndmask_b32_e64 v26, 0, 1, vcc
	v_lshlrev_b32_e32 v26, 3, v26
	v_add_lshl_u32 v44, v26, v37, 2
	ds_bpermute_b32 v26, v44, v24
	v_cmp_le_u32_e32 vcc, v45, v21
	s_waitcnt lgkmcnt(0)
	s_nop 0
	;; [unrolled: 11-line block ×4, first 2 shown]
	v_cndmask_b32_e32 v21, 0, v26, vcc
	v_add_u32_e32 v24, v24, v21
	v_mov_b32_e32 v21, 0
	s_branch .LBB1322_340
.LBB1322_339:                           ;   in Loop: Header=BB1322_340 Depth=1
	s_or_b64 exec, exec, s[28:29]
	v_cmp_eq_u16_sdwa s[28:29], v25, v19 src0_sel:BYTE_0 src1_sel:DWORD
	ds_bpermute_b32 v51, v34, v24
	v_subrev_u32_e32 v20, 64, v20
	v_and_b32_e32 v26, s29, v23
	v_or_b32_e32 v26, 0x80000000, v26
	v_and_b32_e32 v27, s28, v22
	v_ffbl_b32_e32 v26, v26
	v_add_u32_e32 v26, 32, v26
	v_ffbl_b32_e32 v27, v27
	v_min_u32_e32 v26, v27, v26
	v_cmp_lt_u32_e32 vcc, v32, v26
	s_waitcnt lgkmcnt(0)
	s_nop 0
	v_cndmask_b32_e32 v27, 0, v51, vcc
	v_add_u32_e32 v24, v27, v24
	ds_bpermute_b32 v27, v40, v24
	v_cmp_le_u32_e32 vcc, v41, v26
	s_waitcnt lgkmcnt(0)
	s_nop 0
	v_cndmask_b32_e32 v27, 0, v27, vcc
	v_add_u32_e32 v24, v24, v27
	ds_bpermute_b32 v27, v42, v24
	v_cmp_le_u32_e32 vcc, v43, v26
	;; [unrolled: 6-line block ×5, first 2 shown]
	s_waitcnt lgkmcnt(0)
	s_nop 0
	v_cndmask_b32_e32 v26, 0, v27, vcc
	v_add3_u32 v24, v26, v46, v24
.LBB1322_340:                           ; =>This Loop Header: Depth=1
                                        ;     Child Loop BB1322_343 Depth 2
                                        ;       Child Loop BB1322_344 Depth 3
	v_cmp_ne_u16_sdwa s[28:29], v25, v19 src0_sel:BYTE_0 src1_sel:DWORD
	v_mov_b32_e32 v46, v24
	s_nop 0
	v_cndmask_b32_e64 v25, 0, 1, s[28:29]
	;;#ASMSTART
	;;#ASMEND
	s_nop 0
	v_cmp_ne_u32_e32 vcc, 0, v25
	s_cmp_lg_u64 vcc, exec
	s_cbranch_scc1 .LBB1322_347
; %bb.341:                              ;   in Loop: Header=BB1322_340 Depth=1
	v_lshl_add_u64 v[26:27], v[20:21], 3, s[30:31]
	global_load_dwordx2 v[24:25], v[26:27], off sc1
	s_waitcnt vmcnt(0)
	v_cmp_eq_u16_sdwa s[36:37], v25, v21 src0_sel:BYTE_0 src1_sel:DWORD
	s_and_saveexec_b64 s[28:29], s[36:37]
	s_cbranch_execz .LBB1322_339
; %bb.342:                              ;   in Loop: Header=BB1322_340 Depth=1
	s_mov_b32 s3, 1
	s_mov_b64 s[36:37], 0
.LBB1322_343:                           ;   Parent Loop BB1322_340 Depth=1
                                        ; =>  This Loop Header: Depth=2
                                        ;       Child Loop BB1322_344 Depth 3
	s_max_u32 s33, s3, 1
.LBB1322_344:                           ;   Parent Loop BB1322_340 Depth=1
                                        ;     Parent Loop BB1322_343 Depth=2
                                        ; =>    This Inner Loop Header: Depth=3
	s_add_i32 s33, s33, -1
	s_cmp_eq_u32 s33, 0
	s_sleep 1
	s_cbranch_scc0 .LBB1322_344
; %bb.345:                              ;   in Loop: Header=BB1322_343 Depth=2
	global_load_dwordx2 v[24:25], v[26:27], off sc1
	s_cmp_lt_u32 s3, 32
	s_cselect_b64 s[38:39], -1, 0
	s_cmp_lg_u64 s[38:39], 0
	s_addc_u32 s3, s3, 0
	s_waitcnt vmcnt(0)
	v_cmp_ne_u16_sdwa s[38:39], v25, v21 src0_sel:BYTE_0 src1_sel:DWORD
	s_or_b64 s[36:37], s[38:39], s[36:37]
	s_andn2_b64 exec, exec, s[36:37]
	s_cbranch_execnz .LBB1322_343
; %bb.346:                              ;   in Loop: Header=BB1322_340 Depth=1
	s_or_b64 exec, exec, s[36:37]
	s_branch .LBB1322_339
.LBB1322_347:                           ;   in Loop: Header=BB1322_340 Depth=1
                                        ; implicit-def: $vgpr24
                                        ; implicit-def: $vgpr25
	s_cbranch_execz .LBB1322_340
; %bb.348:
	s_and_saveexec_b64 s[28:29], s[16:17]
	s_cbranch_execz .LBB1322_350
; %bb.349:
	s_add_i32 s2, s2, 64
	s_mov_b32 s3, 0
	s_lshl_b64 s[2:3], s[2:3], 3
	s_add_u32 s2, s30, s2
	v_add_u32_e32 v20, v46, v18
	v_mov_b32_e32 v21, 2
	s_addc_u32 s3, s31, s3
	v_mov_b32_e32 v19, 0
	global_store_dwordx2 v19, v[20:21], s[2:3] sc1
	s_movk_i32 s2, 0x7000
	v_add_u32_e64 v19, s2, 0
	ds_write2_b32 v19, v18, v46 offset1:2
.LBB1322_350:
	s_or_b64 exec, exec, s[28:29]
	v_cmp_eq_u32_e32 vcc, 0, v0
	s_and_b64 exec, exec, vcc
	s_cbranch_execz .LBB1322_352
; %bb.351:
	v_mov_b32_e32 v18, 0
	ds_write_b32 v18, v46 offset:28
.LBB1322_352:
	s_or_b64 exec, exec, s[26:27]
	v_mov_b32_e32 v18, 0
	s_waitcnt lgkmcnt(0)
	s_barrier
	ds_read_b32 v18, v18 offset:28
	v_cndmask_b32_e64 v19, v30, v28, s[16:17]
	v_cmp_ne_u32_e32 vcc, 0, v0
	s_movk_i32 s2, 0x7000
	s_waitcnt lgkmcnt(0)
	v_cndmask_b32_e32 v19, 0, v19, vcc
	v_add_u32_e32 v34, v18, v19
	v_add_u32_e32 v32, v34, v1
	v_add_u32_e64 v18, s2, 0
	v_add_u32_e32 v30, v32, v29
	s_barrier
	ds_read2_b32 v[18:19], v18 offset1:2
	v_add_u32_e32 v28, v30, v31
	v_add_u32_e32 v26, v28, v33
	;; [unrolled: 1-line block ×4, first 2 shown]
	s_load_dwordx2 s[2:3], s[0:1], 0x28
	v_lshrrev_b64 v[20:21], 24, v[16:17]
	s_branch .LBB1322_363
.LBB1322_353:
                                        ; implicit-def: $vgpr22
                                        ; implicit-def: $vgpr24
                                        ; implicit-def: $vgpr26
                                        ; implicit-def: $vgpr28
                                        ; implicit-def: $vgpr30
                                        ; implicit-def: $vgpr32
                                        ; implicit-def: $vgpr34
                                        ; implicit-def: $vgpr19
	s_load_dwordx2 s[2:3], s[0:1], 0x28
	v_lshrrev_b64 v[20:21], 24, v[16:17]
	s_cbranch_execz .LBB1322_363
; %bb.354:
	s_waitcnt lgkmcnt(0)
	v_mov_b32_dpp v18, v39 row_shr:1 row_mask:0xf bank_mask:0xf
	v_cndmask_b32_e64 v18, v18, 0, s[14:15]
	v_add_u32_e32 v18, v18, v39
	s_nop 1
	v_mov_b32_dpp v19, v18 row_shr:2 row_mask:0xf bank_mask:0xf
	v_cndmask_b32_e64 v19, 0, v19, s[12:13]
	v_add_u32_e32 v18, v18, v19
	s_nop 1
	;; [unrolled: 4-line block ×4, first 2 shown]
	v_mov_b32_dpp v19, v18 row_bcast:15 row_mask:0xf bank_mask:0xf
	v_cndmask_b32_e64 v19, v19, 0, s[6:7]
	v_add_u32_e32 v18, v18, v19
	s_nop 1
	v_mov_b32_dpp v19, v18 row_bcast:31 row_mask:0xf bank_mask:0xf
	v_cndmask_b32_e64 v19, 0, v19, s[18:19]
	v_add_u32_e32 v18, v18, v19
	s_and_saveexec_b64 s[0:1], s[4:5]
	s_cbranch_execz .LBB1322_356
; %bb.355:
	v_lshlrev_b32_e32 v19, 2, v38
	ds_write_b32 v19, v18
.LBB1322_356:
	s_or_b64 exec, exec, s[0:1]
	v_cmp_gt_u32_e32 vcc, 8, v0
	s_waitcnt lgkmcnt(0)
	s_barrier
	s_and_saveexec_b64 s[0:1], vcc
	s_cbranch_execz .LBB1322_358
; %bb.357:
	v_lshlrev_b32_e32 v19, 2, v0
	ds_read_b32 v21, v19
	v_and_b32_e32 v22, 7, v37
	v_cmp_ne_u32_e32 vcc, 0, v22
	s_waitcnt lgkmcnt(0)
	v_mov_b32_dpp v23, v21 row_shr:1 row_mask:0xf bank_mask:0xf
	v_cndmask_b32_e32 v23, 0, v23, vcc
	v_add_u32_e32 v21, v23, v21
	v_cmp_lt_u32_e32 vcc, 1, v22
	s_nop 0
	v_mov_b32_dpp v23, v21 row_shr:2 row_mask:0xf bank_mask:0xf
	v_cndmask_b32_e32 v23, 0, v23, vcc
	v_add_u32_e32 v21, v21, v23
	v_cmp_lt_u32_e32 vcc, 3, v22
	s_nop 0
	v_mov_b32_dpp v23, v21 row_shr:4 row_mask:0xf bank_mask:0xf
	v_cndmask_b32_e32 v22, 0, v23, vcc
	v_add_u32_e32 v21, v21, v22
	ds_write_b32 v19, v21
.LBB1322_358:
	s_or_b64 exec, exec, s[0:1]
	v_cmp_lt_u32_e32 vcc, 63, v0
	v_mov_b32_e32 v19, 0
	v_mov_b32_e32 v21, 0
	s_waitcnt lgkmcnt(0)
	s_barrier
	s_and_saveexec_b64 s[0:1], vcc
	s_cbranch_execz .LBB1322_360
; %bb.359:
	v_lshl_add_u32 v21, v38, 2, -4
	ds_read_b32 v21, v21
.LBB1322_360:
	s_or_b64 exec, exec, s[0:1]
	v_add_u32_e32 v22, -1, v37
	v_and_b32_e32 v23, 64, v37
	v_cmp_lt_i32_e32 vcc, v22, v23
	s_waitcnt lgkmcnt(0)
	v_add_u32_e32 v18, v21, v18
	v_cndmask_b32_e32 v22, v22, v37, vcc
	v_lshlrev_b32_e32 v22, 2, v22
	ds_bpermute_b32 v22, v22, v18
	ds_read_b32 v18, v19 offset:28
	v_cmp_eq_u32_e32 vcc, 0, v0
	s_and_saveexec_b64 s[0:1], vcc
	s_cbranch_execz .LBB1322_362
; %bb.361:
	v_mov_b32_e32 v23, 0
	v_mov_b32_e32 v19, 2
	s_waitcnt lgkmcnt(0)
	global_store_dwordx2 v23, v[18:19], s[30:31] offset:512 sc1
.LBB1322_362:
	s_or_b64 exec, exec, s[0:1]
	v_cmp_eq_u32_e64 s[0:1], 0, v37
	v_mov_b32_e32 v19, 0
	s_waitcnt lgkmcnt(0)
	v_cndmask_b32_e64 v21, v22, v21, s[0:1]
	v_cndmask_b32_e64 v34, v21, 0, vcc
	v_add_u32_e32 v32, v34, v1
	v_add_u32_e32 v30, v32, v29
	;; [unrolled: 1-line block ×6, first 2 shown]
	s_barrier
.LBB1322_363:
	s_movk_i32 s0, 0x201
	s_waitcnt lgkmcnt(0)
	v_cmp_gt_u32_e32 vcc, s0, v18
	v_lshrrev_b32_e32 v21, 8, v16
	v_lshrrev_b32_e32 v1, 8, v17
	s_mov_b64 s[0:1], -1
	s_cbranch_vccnz .LBB1322_367
; %bb.364:
	s_and_b64 vcc, exec, s[0:1]
	s_cbranch_vccnz .LBB1322_389
.LBB1322_365:
	v_cmp_eq_u32_e32 vcc, 0, v0
	s_and_b64 s[0:1], vcc, s[24:25]
	s_and_saveexec_b64 s[2:3], s[0:1]
	s_cbranch_execnz .LBB1322_407
.LBB1322_366:
	s_endpgm
.LBB1322_367:
	v_add_u32_e32 v23, v19, v18
	v_cmp_lt_u32_e32 vcc, v34, v23
	s_or_b64 s[4:5], s[34:35], vcc
	s_and_saveexec_b64 s[0:1], s[4:5]
	s_cbranch_execz .LBB1322_370
; %bb.368:
	v_and_b32_e32 v25, 1, v16
	v_cmp_eq_u32_e32 vcc, 1, v25
	s_and_b64 exec, exec, vcc
	s_cbranch_execz .LBB1322_370
; %bb.369:
	s_lshl_b64 s[4:5], s[22:23], 3
	s_add_u32 s4, s2, s4
	s_addc_u32 s5, s3, s5
	v_mov_b32_e32 v35, 0
	v_lshl_add_u64 v[36:37], v[34:35], 3, s[4:5]
	global_store_dwordx2 v[36:37], v[10:11], off
.LBB1322_370:
	s_or_b64 exec, exec, s[0:1]
	v_cmp_lt_u32_e32 vcc, v32, v23
	s_or_b64 s[4:5], s[34:35], vcc
	s_and_saveexec_b64 s[0:1], s[4:5]
	s_cbranch_execz .LBB1322_373
; %bb.371:
	v_and_b32_e32 v25, 1, v21
	v_cmp_eq_u32_e32 vcc, 1, v25
	s_and_b64 exec, exec, vcc
	s_cbranch_execz .LBB1322_373
; %bb.372:
	s_lshl_b64 s[4:5], s[22:23], 3
	s_add_u32 s4, s2, s4
	s_addc_u32 s5, s3, s5
	v_mov_b32_e32 v33, 0
	v_lshl_add_u64 v[36:37], v[32:33], 3, s[4:5]
	global_store_dwordx2 v[36:37], v[12:13], off
.LBB1322_373:
	s_or_b64 exec, exec, s[0:1]
	v_cmp_lt_u32_e32 vcc, v30, v23
	s_or_b64 s[4:5], s[34:35], vcc
	s_and_saveexec_b64 s[0:1], s[4:5]
	s_cbranch_execz .LBB1322_376
; %bb.374:
	v_mov_b32_e32 v25, 1
	v_and_b32_sdwa v25, v25, v16 dst_sel:DWORD dst_unused:UNUSED_PAD src0_sel:DWORD src1_sel:WORD_1
	v_cmp_eq_u32_e32 vcc, 1, v25
	s_and_b64 exec, exec, vcc
	s_cbranch_execz .LBB1322_376
; %bb.375:
	s_lshl_b64 s[4:5], s[22:23], 3
	s_add_u32 s4, s2, s4
	s_addc_u32 s5, s3, s5
	v_mov_b32_e32 v31, 0
	v_lshl_add_u64 v[36:37], v[30:31], 3, s[4:5]
	global_store_dwordx2 v[36:37], v[6:7], off
.LBB1322_376:
	s_or_b64 exec, exec, s[0:1]
	v_cmp_lt_u32_e32 vcc, v28, v23
	s_or_b64 s[4:5], s[34:35], vcc
	s_and_saveexec_b64 s[0:1], s[4:5]
	s_cbranch_execz .LBB1322_379
; %bb.377:
	v_and_b32_e32 v25, 1, v20
	v_cmp_eq_u32_e32 vcc, 1, v25
	s_and_b64 exec, exec, vcc
	s_cbranch_execz .LBB1322_379
; %bb.378:
	s_lshl_b64 s[4:5], s[22:23], 3
	s_add_u32 s4, s2, s4
	s_addc_u32 s5, s3, s5
	v_mov_b32_e32 v29, 0
	v_lshl_add_u64 v[36:37], v[28:29], 3, s[4:5]
	global_store_dwordx2 v[36:37], v[8:9], off
.LBB1322_379:
	s_or_b64 exec, exec, s[0:1]
	v_cmp_lt_u32_e32 vcc, v26, v23
	s_or_b64 s[4:5], s[34:35], vcc
	s_and_saveexec_b64 s[0:1], s[4:5]
	s_cbranch_execz .LBB1322_382
; %bb.380:
	v_and_b32_e32 v25, 1, v17
	v_cmp_eq_u32_e32 vcc, 1, v25
	s_and_b64 exec, exec, vcc
	s_cbranch_execz .LBB1322_382
; %bb.381:
	s_lshl_b64 s[4:5], s[22:23], 3
	s_add_u32 s4, s2, s4
	s_addc_u32 s5, s3, s5
	v_mov_b32_e32 v27, 0
	v_lshl_add_u64 v[36:37], v[26:27], 3, s[4:5]
	global_store_dwordx2 v[36:37], v[2:3], off
.LBB1322_382:
	;; [unrolled: 18-line block ×3, first 2 shown]
	s_or_b64 exec, exec, s[0:1]
	v_cmp_lt_u32_e32 vcc, v22, v23
	s_or_b64 s[4:5], s[34:35], vcc
	s_and_saveexec_b64 s[0:1], s[4:5]
	s_cbranch_execz .LBB1322_388
; %bb.386:
	v_mov_b32_e32 v23, 1
	v_and_b32_sdwa v23, v23, v17 dst_sel:DWORD dst_unused:UNUSED_PAD src0_sel:DWORD src1_sel:WORD_1
	v_cmp_eq_u32_e32 vcc, 1, v23
	s_and_b64 exec, exec, vcc
	s_cbranch_execz .LBB1322_388
; %bb.387:
	s_lshl_b64 s[4:5], s[22:23], 3
	s_add_u32 s4, s2, s4
	s_addc_u32 s5, s3, s5
	v_mov_b32_e32 v23, 0
	v_lshl_add_u64 v[36:37], v[22:23], 3, s[4:5]
	global_store_dwordx2 v[36:37], v[14:15], off
.LBB1322_388:
	s_or_b64 exec, exec, s[0:1]
	s_branch .LBB1322_365
.LBB1322_389:
	v_and_b32_e32 v23, 1, v16
	v_cmp_eq_u32_e32 vcc, 1, v23
	s_and_saveexec_b64 s[0:1], vcc
	s_cbranch_execz .LBB1322_391
; %bb.390:
	v_sub_u32_e32 v23, v34, v19
	v_lshlrev_b32_e32 v23, 3, v23
	ds_write_b64 v23, v[10:11]
.LBB1322_391:
	s_or_b64 exec, exec, s[0:1]
	v_and_b32_e32 v10, 1, v21
	v_cmp_eq_u32_e32 vcc, 1, v10
	s_and_saveexec_b64 s[0:1], vcc
	s_cbranch_execz .LBB1322_393
; %bb.392:
	v_sub_u32_e32 v10, v32, v19
	v_lshlrev_b32_e32 v10, 3, v10
	ds_write_b64 v10, v[12:13]
.LBB1322_393:
	s_or_b64 exec, exec, s[0:1]
	v_mov_b32_e32 v10, 1
	v_and_b32_sdwa v10, v10, v16 dst_sel:DWORD dst_unused:UNUSED_PAD src0_sel:DWORD src1_sel:WORD_1
	v_cmp_eq_u32_e32 vcc, 1, v10
	s_and_saveexec_b64 s[0:1], vcc
	s_cbranch_execz .LBB1322_395
; %bb.394:
	v_sub_u32_e32 v10, v30, v19
	v_lshlrev_b32_e32 v10, 3, v10
	ds_write_b64 v10, v[6:7]
.LBB1322_395:
	s_or_b64 exec, exec, s[0:1]
	v_and_b32_e32 v6, 1, v20
	v_cmp_eq_u32_e32 vcc, 1, v6
	s_and_saveexec_b64 s[0:1], vcc
	s_cbranch_execz .LBB1322_397
; %bb.396:
	v_sub_u32_e32 v6, v28, v19
	v_lshlrev_b32_e32 v6, 3, v6
	ds_write_b64 v6, v[8:9]
.LBB1322_397:
	s_or_b64 exec, exec, s[0:1]
	v_and_b32_e32 v6, 1, v17
	;; [unrolled: 10-line block ×3, first 2 shown]
	v_cmp_eq_u32_e32 vcc, 1, v1
	s_and_saveexec_b64 s[0:1], vcc
	s_cbranch_execz .LBB1322_401
; %bb.400:
	v_sub_u32_e32 v1, v24, v19
	v_lshlrev_b32_e32 v1, 3, v1
	ds_write_b64 v1, v[4:5]
.LBB1322_401:
	s_or_b64 exec, exec, s[0:1]
	v_mov_b32_e32 v1, 1
	v_and_b32_sdwa v1, v1, v17 dst_sel:DWORD dst_unused:UNUSED_PAD src0_sel:DWORD src1_sel:WORD_1
	v_cmp_eq_u32_e32 vcc, 1, v1
	s_and_saveexec_b64 s[0:1], vcc
	s_cbranch_execz .LBB1322_403
; %bb.402:
	v_sub_u32_e32 v1, v22, v19
	v_lshlrev_b32_e32 v1, 3, v1
	ds_write_b64 v1, v[14:15]
.LBB1322_403:
	s_or_b64 exec, exec, s[0:1]
	v_cmp_lt_u32_e32 vcc, v0, v18
	s_waitcnt lgkmcnt(0)
	s_barrier
	s_and_saveexec_b64 s[0:1], vcc
	s_cbranch_execz .LBB1322_406
; %bb.404:
	v_mov_b32_e32 v5, 0
	v_mov_b32_e32 v4, v19
	s_lshl_b64 s[4:5], s[22:23], 3
	v_lshlrev_b64 v[6:7], 3, v[4:5]
	v_lshl_add_u64 v[6:7], s[4:5], 0, v[6:7]
	v_lshlrev_b32_e32 v2, 3, v0
	v_mov_b32_e32 v3, v5
	v_lshl_add_u64 v[4:5], s[2:3], 0, v[6:7]
	v_lshl_add_u64 v[4:5], v[4:5], 0, v[2:3]
	s_mov_b64 s[2:3], 0
	s_mov_b64 s[4:5], 0x1000
	v_mov_b32_e32 v1, v0
.LBB1322_405:                           ; =>This Inner Loop Header: Depth=1
	ds_read_b64 v[6:7], v2
	v_add_u32_e32 v1, 0x200, v1
	v_cmp_ge_u32_e32 vcc, v1, v18
	v_add_u32_e32 v2, 0x1000, v2
	s_or_b64 s[2:3], vcc, s[2:3]
	s_waitcnt lgkmcnt(0)
	global_store_dwordx2 v[4:5], v[6:7], off
	v_lshl_add_u64 v[4:5], v[4:5], 0, s[4:5]
	s_andn2_b64 exec, exec, s[2:3]
	s_cbranch_execnz .LBB1322_405
.LBB1322_406:
	s_or_b64 exec, exec, s[0:1]
	v_cmp_eq_u32_e32 vcc, 0, v0
	s_and_b64 s[0:1], vcc, s[24:25]
	s_and_saveexec_b64 s[2:3], s[0:1]
	s_cbranch_execz .LBB1322_366
.LBB1322_407:
	v_mov_b32_e32 v1, 0
	v_mov_b32_e32 v0, v18
	v_lshl_add_u64 v[2:3], s[22:23], 0, v[0:1]
	v_mov_b32_e32 v0, v19
	v_lshl_add_u64 v[2:3], v[2:3], 0, v[0:1]
	global_store_dwordx2 v1, v[2:3], s[20:21]
	s_endpgm
	.section	.rodata,"a",@progbits
	.p2align	6, 0x0
	.amdhsa_kernel _ZN7rocprim17ROCPRIM_400000_NS6detail17trampoline_kernelINS0_14default_configENS1_25partition_config_selectorILNS1_17partition_subalgoE8ElNS0_10empty_typeEbEEZZNS1_14partition_implILS5_8ELb0ES3_jPlPS6_PKS6_NS0_5tupleIJS9_S6_EEENSD_IJSA_SA_EEENS0_18inequality_wrapperIZN2at6native12_GLOBAL__N_124unique_dim_cuda_templateIN3c104HalfEEESt5tupleIJNSH_6TensorESO_SO_EERKSO_lbbbEUlllE0_EEPmJS6_EEE10hipError_tPvRmT3_T4_T5_T6_T7_T9_mT8_P12ihipStream_tbDpT10_ENKUlT_T0_E_clISt17integral_constantIbLb1EES1D_IbLb0EEEEDaS19_S1A_EUlS19_E_NS1_11comp_targetILNS1_3genE5ELNS1_11target_archE942ELNS1_3gpuE9ELNS1_3repE0EEENS1_30default_config_static_selectorELNS0_4arch9wavefront6targetE1EEEvT1_
		.amdhsa_group_segment_fixed_size 28684
		.amdhsa_private_segment_fixed_size 0
		.amdhsa_kernarg_size 120
		.amdhsa_user_sgpr_count 2
		.amdhsa_user_sgpr_dispatch_ptr 0
		.amdhsa_user_sgpr_queue_ptr 0
		.amdhsa_user_sgpr_kernarg_segment_ptr 1
		.amdhsa_user_sgpr_dispatch_id 0
		.amdhsa_user_sgpr_kernarg_preload_length 0
		.amdhsa_user_sgpr_kernarg_preload_offset 0
		.amdhsa_user_sgpr_private_segment_size 0
		.amdhsa_uses_dynamic_stack 0
		.amdhsa_enable_private_segment 0
		.amdhsa_system_sgpr_workgroup_id_x 1
		.amdhsa_system_sgpr_workgroup_id_y 0
		.amdhsa_system_sgpr_workgroup_id_z 0
		.amdhsa_system_sgpr_workgroup_info 0
		.amdhsa_system_vgpr_workitem_id 0
		.amdhsa_next_free_vgpr 52
		.amdhsa_next_free_sgpr 52
		.amdhsa_accum_offset 52
		.amdhsa_reserve_vcc 1
		.amdhsa_float_round_mode_32 0
		.amdhsa_float_round_mode_16_64 0
		.amdhsa_float_denorm_mode_32 3
		.amdhsa_float_denorm_mode_16_64 3
		.amdhsa_dx10_clamp 1
		.amdhsa_ieee_mode 1
		.amdhsa_fp16_overflow 0
		.amdhsa_tg_split 0
		.amdhsa_exception_fp_ieee_invalid_op 0
		.amdhsa_exception_fp_denorm_src 0
		.amdhsa_exception_fp_ieee_div_zero 0
		.amdhsa_exception_fp_ieee_overflow 0
		.amdhsa_exception_fp_ieee_underflow 0
		.amdhsa_exception_fp_ieee_inexact 0
		.amdhsa_exception_int_div_zero 0
	.end_amdhsa_kernel
	.section	.text._ZN7rocprim17ROCPRIM_400000_NS6detail17trampoline_kernelINS0_14default_configENS1_25partition_config_selectorILNS1_17partition_subalgoE8ElNS0_10empty_typeEbEEZZNS1_14partition_implILS5_8ELb0ES3_jPlPS6_PKS6_NS0_5tupleIJS9_S6_EEENSD_IJSA_SA_EEENS0_18inequality_wrapperIZN2at6native12_GLOBAL__N_124unique_dim_cuda_templateIN3c104HalfEEESt5tupleIJNSH_6TensorESO_SO_EERKSO_lbbbEUlllE0_EEPmJS6_EEE10hipError_tPvRmT3_T4_T5_T6_T7_T9_mT8_P12ihipStream_tbDpT10_ENKUlT_T0_E_clISt17integral_constantIbLb1EES1D_IbLb0EEEEDaS19_S1A_EUlS19_E_NS1_11comp_targetILNS1_3genE5ELNS1_11target_archE942ELNS1_3gpuE9ELNS1_3repE0EEENS1_30default_config_static_selectorELNS0_4arch9wavefront6targetE1EEEvT1_,"axG",@progbits,_ZN7rocprim17ROCPRIM_400000_NS6detail17trampoline_kernelINS0_14default_configENS1_25partition_config_selectorILNS1_17partition_subalgoE8ElNS0_10empty_typeEbEEZZNS1_14partition_implILS5_8ELb0ES3_jPlPS6_PKS6_NS0_5tupleIJS9_S6_EEENSD_IJSA_SA_EEENS0_18inequality_wrapperIZN2at6native12_GLOBAL__N_124unique_dim_cuda_templateIN3c104HalfEEESt5tupleIJNSH_6TensorESO_SO_EERKSO_lbbbEUlllE0_EEPmJS6_EEE10hipError_tPvRmT3_T4_T5_T6_T7_T9_mT8_P12ihipStream_tbDpT10_ENKUlT_T0_E_clISt17integral_constantIbLb1EES1D_IbLb0EEEEDaS19_S1A_EUlS19_E_NS1_11comp_targetILNS1_3genE5ELNS1_11target_archE942ELNS1_3gpuE9ELNS1_3repE0EEENS1_30default_config_static_selectorELNS0_4arch9wavefront6targetE1EEEvT1_,comdat
.Lfunc_end1322:
	.size	_ZN7rocprim17ROCPRIM_400000_NS6detail17trampoline_kernelINS0_14default_configENS1_25partition_config_selectorILNS1_17partition_subalgoE8ElNS0_10empty_typeEbEEZZNS1_14partition_implILS5_8ELb0ES3_jPlPS6_PKS6_NS0_5tupleIJS9_S6_EEENSD_IJSA_SA_EEENS0_18inequality_wrapperIZN2at6native12_GLOBAL__N_124unique_dim_cuda_templateIN3c104HalfEEESt5tupleIJNSH_6TensorESO_SO_EERKSO_lbbbEUlllE0_EEPmJS6_EEE10hipError_tPvRmT3_T4_T5_T6_T7_T9_mT8_P12ihipStream_tbDpT10_ENKUlT_T0_E_clISt17integral_constantIbLb1EES1D_IbLb0EEEEDaS19_S1A_EUlS19_E_NS1_11comp_targetILNS1_3genE5ELNS1_11target_archE942ELNS1_3gpuE9ELNS1_3repE0EEENS1_30default_config_static_selectorELNS0_4arch9wavefront6targetE1EEEvT1_, .Lfunc_end1322-_ZN7rocprim17ROCPRIM_400000_NS6detail17trampoline_kernelINS0_14default_configENS1_25partition_config_selectorILNS1_17partition_subalgoE8ElNS0_10empty_typeEbEEZZNS1_14partition_implILS5_8ELb0ES3_jPlPS6_PKS6_NS0_5tupleIJS9_S6_EEENSD_IJSA_SA_EEENS0_18inequality_wrapperIZN2at6native12_GLOBAL__N_124unique_dim_cuda_templateIN3c104HalfEEESt5tupleIJNSH_6TensorESO_SO_EERKSO_lbbbEUlllE0_EEPmJS6_EEE10hipError_tPvRmT3_T4_T5_T6_T7_T9_mT8_P12ihipStream_tbDpT10_ENKUlT_T0_E_clISt17integral_constantIbLb1EES1D_IbLb0EEEEDaS19_S1A_EUlS19_E_NS1_11comp_targetILNS1_3genE5ELNS1_11target_archE942ELNS1_3gpuE9ELNS1_3repE0EEENS1_30default_config_static_selectorELNS0_4arch9wavefront6targetE1EEEvT1_
                                        ; -- End function
	.section	.AMDGPU.csdata,"",@progbits
; Kernel info:
; codeLenInByte = 12916
; NumSgprs: 58
; NumVgprs: 52
; NumAgprs: 0
; TotalNumVgprs: 52
; ScratchSize: 0
; MemoryBound: 0
; FloatMode: 240
; IeeeMode: 1
; LDSByteSize: 28684 bytes/workgroup (compile time only)
; SGPRBlocks: 7
; VGPRBlocks: 6
; NumSGPRsForWavesPerEU: 58
; NumVGPRsForWavesPerEU: 52
; AccumOffset: 52
; Occupancy: 4
; WaveLimiterHint : 1
; COMPUTE_PGM_RSRC2:SCRATCH_EN: 0
; COMPUTE_PGM_RSRC2:USER_SGPR: 2
; COMPUTE_PGM_RSRC2:TRAP_HANDLER: 0
; COMPUTE_PGM_RSRC2:TGID_X_EN: 1
; COMPUTE_PGM_RSRC2:TGID_Y_EN: 0
; COMPUTE_PGM_RSRC2:TGID_Z_EN: 0
; COMPUTE_PGM_RSRC2:TIDIG_COMP_CNT: 0
; COMPUTE_PGM_RSRC3_GFX90A:ACCUM_OFFSET: 12
; COMPUTE_PGM_RSRC3_GFX90A:TG_SPLIT: 0
	.section	.text._ZN7rocprim17ROCPRIM_400000_NS6detail17trampoline_kernelINS0_14default_configENS1_25partition_config_selectorILNS1_17partition_subalgoE8ElNS0_10empty_typeEbEEZZNS1_14partition_implILS5_8ELb0ES3_jPlPS6_PKS6_NS0_5tupleIJS9_S6_EEENSD_IJSA_SA_EEENS0_18inequality_wrapperIZN2at6native12_GLOBAL__N_124unique_dim_cuda_templateIN3c104HalfEEESt5tupleIJNSH_6TensorESO_SO_EERKSO_lbbbEUlllE0_EEPmJS6_EEE10hipError_tPvRmT3_T4_T5_T6_T7_T9_mT8_P12ihipStream_tbDpT10_ENKUlT_T0_E_clISt17integral_constantIbLb1EES1D_IbLb0EEEEDaS19_S1A_EUlS19_E_NS1_11comp_targetILNS1_3genE4ELNS1_11target_archE910ELNS1_3gpuE8ELNS1_3repE0EEENS1_30default_config_static_selectorELNS0_4arch9wavefront6targetE1EEEvT1_,"axG",@progbits,_ZN7rocprim17ROCPRIM_400000_NS6detail17trampoline_kernelINS0_14default_configENS1_25partition_config_selectorILNS1_17partition_subalgoE8ElNS0_10empty_typeEbEEZZNS1_14partition_implILS5_8ELb0ES3_jPlPS6_PKS6_NS0_5tupleIJS9_S6_EEENSD_IJSA_SA_EEENS0_18inequality_wrapperIZN2at6native12_GLOBAL__N_124unique_dim_cuda_templateIN3c104HalfEEESt5tupleIJNSH_6TensorESO_SO_EERKSO_lbbbEUlllE0_EEPmJS6_EEE10hipError_tPvRmT3_T4_T5_T6_T7_T9_mT8_P12ihipStream_tbDpT10_ENKUlT_T0_E_clISt17integral_constantIbLb1EES1D_IbLb0EEEEDaS19_S1A_EUlS19_E_NS1_11comp_targetILNS1_3genE4ELNS1_11target_archE910ELNS1_3gpuE8ELNS1_3repE0EEENS1_30default_config_static_selectorELNS0_4arch9wavefront6targetE1EEEvT1_,comdat
	.globl	_ZN7rocprim17ROCPRIM_400000_NS6detail17trampoline_kernelINS0_14default_configENS1_25partition_config_selectorILNS1_17partition_subalgoE8ElNS0_10empty_typeEbEEZZNS1_14partition_implILS5_8ELb0ES3_jPlPS6_PKS6_NS0_5tupleIJS9_S6_EEENSD_IJSA_SA_EEENS0_18inequality_wrapperIZN2at6native12_GLOBAL__N_124unique_dim_cuda_templateIN3c104HalfEEESt5tupleIJNSH_6TensorESO_SO_EERKSO_lbbbEUlllE0_EEPmJS6_EEE10hipError_tPvRmT3_T4_T5_T6_T7_T9_mT8_P12ihipStream_tbDpT10_ENKUlT_T0_E_clISt17integral_constantIbLb1EES1D_IbLb0EEEEDaS19_S1A_EUlS19_E_NS1_11comp_targetILNS1_3genE4ELNS1_11target_archE910ELNS1_3gpuE8ELNS1_3repE0EEENS1_30default_config_static_selectorELNS0_4arch9wavefront6targetE1EEEvT1_ ; -- Begin function _ZN7rocprim17ROCPRIM_400000_NS6detail17trampoline_kernelINS0_14default_configENS1_25partition_config_selectorILNS1_17partition_subalgoE8ElNS0_10empty_typeEbEEZZNS1_14partition_implILS5_8ELb0ES3_jPlPS6_PKS6_NS0_5tupleIJS9_S6_EEENSD_IJSA_SA_EEENS0_18inequality_wrapperIZN2at6native12_GLOBAL__N_124unique_dim_cuda_templateIN3c104HalfEEESt5tupleIJNSH_6TensorESO_SO_EERKSO_lbbbEUlllE0_EEPmJS6_EEE10hipError_tPvRmT3_T4_T5_T6_T7_T9_mT8_P12ihipStream_tbDpT10_ENKUlT_T0_E_clISt17integral_constantIbLb1EES1D_IbLb0EEEEDaS19_S1A_EUlS19_E_NS1_11comp_targetILNS1_3genE4ELNS1_11target_archE910ELNS1_3gpuE8ELNS1_3repE0EEENS1_30default_config_static_selectorELNS0_4arch9wavefront6targetE1EEEvT1_
	.p2align	8
	.type	_ZN7rocprim17ROCPRIM_400000_NS6detail17trampoline_kernelINS0_14default_configENS1_25partition_config_selectorILNS1_17partition_subalgoE8ElNS0_10empty_typeEbEEZZNS1_14partition_implILS5_8ELb0ES3_jPlPS6_PKS6_NS0_5tupleIJS9_S6_EEENSD_IJSA_SA_EEENS0_18inequality_wrapperIZN2at6native12_GLOBAL__N_124unique_dim_cuda_templateIN3c104HalfEEESt5tupleIJNSH_6TensorESO_SO_EERKSO_lbbbEUlllE0_EEPmJS6_EEE10hipError_tPvRmT3_T4_T5_T6_T7_T9_mT8_P12ihipStream_tbDpT10_ENKUlT_T0_E_clISt17integral_constantIbLb1EES1D_IbLb0EEEEDaS19_S1A_EUlS19_E_NS1_11comp_targetILNS1_3genE4ELNS1_11target_archE910ELNS1_3gpuE8ELNS1_3repE0EEENS1_30default_config_static_selectorELNS0_4arch9wavefront6targetE1EEEvT1_,@function
_ZN7rocprim17ROCPRIM_400000_NS6detail17trampoline_kernelINS0_14default_configENS1_25partition_config_selectorILNS1_17partition_subalgoE8ElNS0_10empty_typeEbEEZZNS1_14partition_implILS5_8ELb0ES3_jPlPS6_PKS6_NS0_5tupleIJS9_S6_EEENSD_IJSA_SA_EEENS0_18inequality_wrapperIZN2at6native12_GLOBAL__N_124unique_dim_cuda_templateIN3c104HalfEEESt5tupleIJNSH_6TensorESO_SO_EERKSO_lbbbEUlllE0_EEPmJS6_EEE10hipError_tPvRmT3_T4_T5_T6_T7_T9_mT8_P12ihipStream_tbDpT10_ENKUlT_T0_E_clISt17integral_constantIbLb1EES1D_IbLb0EEEEDaS19_S1A_EUlS19_E_NS1_11comp_targetILNS1_3genE4ELNS1_11target_archE910ELNS1_3gpuE8ELNS1_3repE0EEENS1_30default_config_static_selectorELNS0_4arch9wavefront6targetE1EEEvT1_: ; @_ZN7rocprim17ROCPRIM_400000_NS6detail17trampoline_kernelINS0_14default_configENS1_25partition_config_selectorILNS1_17partition_subalgoE8ElNS0_10empty_typeEbEEZZNS1_14partition_implILS5_8ELb0ES3_jPlPS6_PKS6_NS0_5tupleIJS9_S6_EEENSD_IJSA_SA_EEENS0_18inequality_wrapperIZN2at6native12_GLOBAL__N_124unique_dim_cuda_templateIN3c104HalfEEESt5tupleIJNSH_6TensorESO_SO_EERKSO_lbbbEUlllE0_EEPmJS6_EEE10hipError_tPvRmT3_T4_T5_T6_T7_T9_mT8_P12ihipStream_tbDpT10_ENKUlT_T0_E_clISt17integral_constantIbLb1EES1D_IbLb0EEEEDaS19_S1A_EUlS19_E_NS1_11comp_targetILNS1_3genE4ELNS1_11target_archE910ELNS1_3gpuE8ELNS1_3repE0EEENS1_30default_config_static_selectorELNS0_4arch9wavefront6targetE1EEEvT1_
; %bb.0:
	.section	.rodata,"a",@progbits
	.p2align	6, 0x0
	.amdhsa_kernel _ZN7rocprim17ROCPRIM_400000_NS6detail17trampoline_kernelINS0_14default_configENS1_25partition_config_selectorILNS1_17partition_subalgoE8ElNS0_10empty_typeEbEEZZNS1_14partition_implILS5_8ELb0ES3_jPlPS6_PKS6_NS0_5tupleIJS9_S6_EEENSD_IJSA_SA_EEENS0_18inequality_wrapperIZN2at6native12_GLOBAL__N_124unique_dim_cuda_templateIN3c104HalfEEESt5tupleIJNSH_6TensorESO_SO_EERKSO_lbbbEUlllE0_EEPmJS6_EEE10hipError_tPvRmT3_T4_T5_T6_T7_T9_mT8_P12ihipStream_tbDpT10_ENKUlT_T0_E_clISt17integral_constantIbLb1EES1D_IbLb0EEEEDaS19_S1A_EUlS19_E_NS1_11comp_targetILNS1_3genE4ELNS1_11target_archE910ELNS1_3gpuE8ELNS1_3repE0EEENS1_30default_config_static_selectorELNS0_4arch9wavefront6targetE1EEEvT1_
		.amdhsa_group_segment_fixed_size 0
		.amdhsa_private_segment_fixed_size 0
		.amdhsa_kernarg_size 120
		.amdhsa_user_sgpr_count 2
		.amdhsa_user_sgpr_dispatch_ptr 0
		.amdhsa_user_sgpr_queue_ptr 0
		.amdhsa_user_sgpr_kernarg_segment_ptr 1
		.amdhsa_user_sgpr_dispatch_id 0
		.amdhsa_user_sgpr_kernarg_preload_length 0
		.amdhsa_user_sgpr_kernarg_preload_offset 0
		.amdhsa_user_sgpr_private_segment_size 0
		.amdhsa_uses_dynamic_stack 0
		.amdhsa_enable_private_segment 0
		.amdhsa_system_sgpr_workgroup_id_x 1
		.amdhsa_system_sgpr_workgroup_id_y 0
		.amdhsa_system_sgpr_workgroup_id_z 0
		.amdhsa_system_sgpr_workgroup_info 0
		.amdhsa_system_vgpr_workitem_id 0
		.amdhsa_next_free_vgpr 1
		.amdhsa_next_free_sgpr 0
		.amdhsa_accum_offset 4
		.amdhsa_reserve_vcc 0
		.amdhsa_float_round_mode_32 0
		.amdhsa_float_round_mode_16_64 0
		.amdhsa_float_denorm_mode_32 3
		.amdhsa_float_denorm_mode_16_64 3
		.amdhsa_dx10_clamp 1
		.amdhsa_ieee_mode 1
		.amdhsa_fp16_overflow 0
		.amdhsa_tg_split 0
		.amdhsa_exception_fp_ieee_invalid_op 0
		.amdhsa_exception_fp_denorm_src 0
		.amdhsa_exception_fp_ieee_div_zero 0
		.amdhsa_exception_fp_ieee_overflow 0
		.amdhsa_exception_fp_ieee_underflow 0
		.amdhsa_exception_fp_ieee_inexact 0
		.amdhsa_exception_int_div_zero 0
	.end_amdhsa_kernel
	.section	.text._ZN7rocprim17ROCPRIM_400000_NS6detail17trampoline_kernelINS0_14default_configENS1_25partition_config_selectorILNS1_17partition_subalgoE8ElNS0_10empty_typeEbEEZZNS1_14partition_implILS5_8ELb0ES3_jPlPS6_PKS6_NS0_5tupleIJS9_S6_EEENSD_IJSA_SA_EEENS0_18inequality_wrapperIZN2at6native12_GLOBAL__N_124unique_dim_cuda_templateIN3c104HalfEEESt5tupleIJNSH_6TensorESO_SO_EERKSO_lbbbEUlllE0_EEPmJS6_EEE10hipError_tPvRmT3_T4_T5_T6_T7_T9_mT8_P12ihipStream_tbDpT10_ENKUlT_T0_E_clISt17integral_constantIbLb1EES1D_IbLb0EEEEDaS19_S1A_EUlS19_E_NS1_11comp_targetILNS1_3genE4ELNS1_11target_archE910ELNS1_3gpuE8ELNS1_3repE0EEENS1_30default_config_static_selectorELNS0_4arch9wavefront6targetE1EEEvT1_,"axG",@progbits,_ZN7rocprim17ROCPRIM_400000_NS6detail17trampoline_kernelINS0_14default_configENS1_25partition_config_selectorILNS1_17partition_subalgoE8ElNS0_10empty_typeEbEEZZNS1_14partition_implILS5_8ELb0ES3_jPlPS6_PKS6_NS0_5tupleIJS9_S6_EEENSD_IJSA_SA_EEENS0_18inequality_wrapperIZN2at6native12_GLOBAL__N_124unique_dim_cuda_templateIN3c104HalfEEESt5tupleIJNSH_6TensorESO_SO_EERKSO_lbbbEUlllE0_EEPmJS6_EEE10hipError_tPvRmT3_T4_T5_T6_T7_T9_mT8_P12ihipStream_tbDpT10_ENKUlT_T0_E_clISt17integral_constantIbLb1EES1D_IbLb0EEEEDaS19_S1A_EUlS19_E_NS1_11comp_targetILNS1_3genE4ELNS1_11target_archE910ELNS1_3gpuE8ELNS1_3repE0EEENS1_30default_config_static_selectorELNS0_4arch9wavefront6targetE1EEEvT1_,comdat
.Lfunc_end1323:
	.size	_ZN7rocprim17ROCPRIM_400000_NS6detail17trampoline_kernelINS0_14default_configENS1_25partition_config_selectorILNS1_17partition_subalgoE8ElNS0_10empty_typeEbEEZZNS1_14partition_implILS5_8ELb0ES3_jPlPS6_PKS6_NS0_5tupleIJS9_S6_EEENSD_IJSA_SA_EEENS0_18inequality_wrapperIZN2at6native12_GLOBAL__N_124unique_dim_cuda_templateIN3c104HalfEEESt5tupleIJNSH_6TensorESO_SO_EERKSO_lbbbEUlllE0_EEPmJS6_EEE10hipError_tPvRmT3_T4_T5_T6_T7_T9_mT8_P12ihipStream_tbDpT10_ENKUlT_T0_E_clISt17integral_constantIbLb1EES1D_IbLb0EEEEDaS19_S1A_EUlS19_E_NS1_11comp_targetILNS1_3genE4ELNS1_11target_archE910ELNS1_3gpuE8ELNS1_3repE0EEENS1_30default_config_static_selectorELNS0_4arch9wavefront6targetE1EEEvT1_, .Lfunc_end1323-_ZN7rocprim17ROCPRIM_400000_NS6detail17trampoline_kernelINS0_14default_configENS1_25partition_config_selectorILNS1_17partition_subalgoE8ElNS0_10empty_typeEbEEZZNS1_14partition_implILS5_8ELb0ES3_jPlPS6_PKS6_NS0_5tupleIJS9_S6_EEENSD_IJSA_SA_EEENS0_18inequality_wrapperIZN2at6native12_GLOBAL__N_124unique_dim_cuda_templateIN3c104HalfEEESt5tupleIJNSH_6TensorESO_SO_EERKSO_lbbbEUlllE0_EEPmJS6_EEE10hipError_tPvRmT3_T4_T5_T6_T7_T9_mT8_P12ihipStream_tbDpT10_ENKUlT_T0_E_clISt17integral_constantIbLb1EES1D_IbLb0EEEEDaS19_S1A_EUlS19_E_NS1_11comp_targetILNS1_3genE4ELNS1_11target_archE910ELNS1_3gpuE8ELNS1_3repE0EEENS1_30default_config_static_selectorELNS0_4arch9wavefront6targetE1EEEvT1_
                                        ; -- End function
	.section	.AMDGPU.csdata,"",@progbits
; Kernel info:
; codeLenInByte = 0
; NumSgprs: 6
; NumVgprs: 0
; NumAgprs: 0
; TotalNumVgprs: 0
; ScratchSize: 0
; MemoryBound: 0
; FloatMode: 240
; IeeeMode: 1
; LDSByteSize: 0 bytes/workgroup (compile time only)
; SGPRBlocks: 0
; VGPRBlocks: 0
; NumSGPRsForWavesPerEU: 6
; NumVGPRsForWavesPerEU: 1
; AccumOffset: 4
; Occupancy: 8
; WaveLimiterHint : 0
; COMPUTE_PGM_RSRC2:SCRATCH_EN: 0
; COMPUTE_PGM_RSRC2:USER_SGPR: 2
; COMPUTE_PGM_RSRC2:TRAP_HANDLER: 0
; COMPUTE_PGM_RSRC2:TGID_X_EN: 1
; COMPUTE_PGM_RSRC2:TGID_Y_EN: 0
; COMPUTE_PGM_RSRC2:TGID_Z_EN: 0
; COMPUTE_PGM_RSRC2:TIDIG_COMP_CNT: 0
; COMPUTE_PGM_RSRC3_GFX90A:ACCUM_OFFSET: 0
; COMPUTE_PGM_RSRC3_GFX90A:TG_SPLIT: 0
	.section	.text._ZN7rocprim17ROCPRIM_400000_NS6detail17trampoline_kernelINS0_14default_configENS1_25partition_config_selectorILNS1_17partition_subalgoE8ElNS0_10empty_typeEbEEZZNS1_14partition_implILS5_8ELb0ES3_jPlPS6_PKS6_NS0_5tupleIJS9_S6_EEENSD_IJSA_SA_EEENS0_18inequality_wrapperIZN2at6native12_GLOBAL__N_124unique_dim_cuda_templateIN3c104HalfEEESt5tupleIJNSH_6TensorESO_SO_EERKSO_lbbbEUlllE0_EEPmJS6_EEE10hipError_tPvRmT3_T4_T5_T6_T7_T9_mT8_P12ihipStream_tbDpT10_ENKUlT_T0_E_clISt17integral_constantIbLb1EES1D_IbLb0EEEEDaS19_S1A_EUlS19_E_NS1_11comp_targetILNS1_3genE3ELNS1_11target_archE908ELNS1_3gpuE7ELNS1_3repE0EEENS1_30default_config_static_selectorELNS0_4arch9wavefront6targetE1EEEvT1_,"axG",@progbits,_ZN7rocprim17ROCPRIM_400000_NS6detail17trampoline_kernelINS0_14default_configENS1_25partition_config_selectorILNS1_17partition_subalgoE8ElNS0_10empty_typeEbEEZZNS1_14partition_implILS5_8ELb0ES3_jPlPS6_PKS6_NS0_5tupleIJS9_S6_EEENSD_IJSA_SA_EEENS0_18inequality_wrapperIZN2at6native12_GLOBAL__N_124unique_dim_cuda_templateIN3c104HalfEEESt5tupleIJNSH_6TensorESO_SO_EERKSO_lbbbEUlllE0_EEPmJS6_EEE10hipError_tPvRmT3_T4_T5_T6_T7_T9_mT8_P12ihipStream_tbDpT10_ENKUlT_T0_E_clISt17integral_constantIbLb1EES1D_IbLb0EEEEDaS19_S1A_EUlS19_E_NS1_11comp_targetILNS1_3genE3ELNS1_11target_archE908ELNS1_3gpuE7ELNS1_3repE0EEENS1_30default_config_static_selectorELNS0_4arch9wavefront6targetE1EEEvT1_,comdat
	.globl	_ZN7rocprim17ROCPRIM_400000_NS6detail17trampoline_kernelINS0_14default_configENS1_25partition_config_selectorILNS1_17partition_subalgoE8ElNS0_10empty_typeEbEEZZNS1_14partition_implILS5_8ELb0ES3_jPlPS6_PKS6_NS0_5tupleIJS9_S6_EEENSD_IJSA_SA_EEENS0_18inequality_wrapperIZN2at6native12_GLOBAL__N_124unique_dim_cuda_templateIN3c104HalfEEESt5tupleIJNSH_6TensorESO_SO_EERKSO_lbbbEUlllE0_EEPmJS6_EEE10hipError_tPvRmT3_T4_T5_T6_T7_T9_mT8_P12ihipStream_tbDpT10_ENKUlT_T0_E_clISt17integral_constantIbLb1EES1D_IbLb0EEEEDaS19_S1A_EUlS19_E_NS1_11comp_targetILNS1_3genE3ELNS1_11target_archE908ELNS1_3gpuE7ELNS1_3repE0EEENS1_30default_config_static_selectorELNS0_4arch9wavefront6targetE1EEEvT1_ ; -- Begin function _ZN7rocprim17ROCPRIM_400000_NS6detail17trampoline_kernelINS0_14default_configENS1_25partition_config_selectorILNS1_17partition_subalgoE8ElNS0_10empty_typeEbEEZZNS1_14partition_implILS5_8ELb0ES3_jPlPS6_PKS6_NS0_5tupleIJS9_S6_EEENSD_IJSA_SA_EEENS0_18inequality_wrapperIZN2at6native12_GLOBAL__N_124unique_dim_cuda_templateIN3c104HalfEEESt5tupleIJNSH_6TensorESO_SO_EERKSO_lbbbEUlllE0_EEPmJS6_EEE10hipError_tPvRmT3_T4_T5_T6_T7_T9_mT8_P12ihipStream_tbDpT10_ENKUlT_T0_E_clISt17integral_constantIbLb1EES1D_IbLb0EEEEDaS19_S1A_EUlS19_E_NS1_11comp_targetILNS1_3genE3ELNS1_11target_archE908ELNS1_3gpuE7ELNS1_3repE0EEENS1_30default_config_static_selectorELNS0_4arch9wavefront6targetE1EEEvT1_
	.p2align	8
	.type	_ZN7rocprim17ROCPRIM_400000_NS6detail17trampoline_kernelINS0_14default_configENS1_25partition_config_selectorILNS1_17partition_subalgoE8ElNS0_10empty_typeEbEEZZNS1_14partition_implILS5_8ELb0ES3_jPlPS6_PKS6_NS0_5tupleIJS9_S6_EEENSD_IJSA_SA_EEENS0_18inequality_wrapperIZN2at6native12_GLOBAL__N_124unique_dim_cuda_templateIN3c104HalfEEESt5tupleIJNSH_6TensorESO_SO_EERKSO_lbbbEUlllE0_EEPmJS6_EEE10hipError_tPvRmT3_T4_T5_T6_T7_T9_mT8_P12ihipStream_tbDpT10_ENKUlT_T0_E_clISt17integral_constantIbLb1EES1D_IbLb0EEEEDaS19_S1A_EUlS19_E_NS1_11comp_targetILNS1_3genE3ELNS1_11target_archE908ELNS1_3gpuE7ELNS1_3repE0EEENS1_30default_config_static_selectorELNS0_4arch9wavefront6targetE1EEEvT1_,@function
_ZN7rocprim17ROCPRIM_400000_NS6detail17trampoline_kernelINS0_14default_configENS1_25partition_config_selectorILNS1_17partition_subalgoE8ElNS0_10empty_typeEbEEZZNS1_14partition_implILS5_8ELb0ES3_jPlPS6_PKS6_NS0_5tupleIJS9_S6_EEENSD_IJSA_SA_EEENS0_18inequality_wrapperIZN2at6native12_GLOBAL__N_124unique_dim_cuda_templateIN3c104HalfEEESt5tupleIJNSH_6TensorESO_SO_EERKSO_lbbbEUlllE0_EEPmJS6_EEE10hipError_tPvRmT3_T4_T5_T6_T7_T9_mT8_P12ihipStream_tbDpT10_ENKUlT_T0_E_clISt17integral_constantIbLb1EES1D_IbLb0EEEEDaS19_S1A_EUlS19_E_NS1_11comp_targetILNS1_3genE3ELNS1_11target_archE908ELNS1_3gpuE7ELNS1_3repE0EEENS1_30default_config_static_selectorELNS0_4arch9wavefront6targetE1EEEvT1_: ; @_ZN7rocprim17ROCPRIM_400000_NS6detail17trampoline_kernelINS0_14default_configENS1_25partition_config_selectorILNS1_17partition_subalgoE8ElNS0_10empty_typeEbEEZZNS1_14partition_implILS5_8ELb0ES3_jPlPS6_PKS6_NS0_5tupleIJS9_S6_EEENSD_IJSA_SA_EEENS0_18inequality_wrapperIZN2at6native12_GLOBAL__N_124unique_dim_cuda_templateIN3c104HalfEEESt5tupleIJNSH_6TensorESO_SO_EERKSO_lbbbEUlllE0_EEPmJS6_EEE10hipError_tPvRmT3_T4_T5_T6_T7_T9_mT8_P12ihipStream_tbDpT10_ENKUlT_T0_E_clISt17integral_constantIbLb1EES1D_IbLb0EEEEDaS19_S1A_EUlS19_E_NS1_11comp_targetILNS1_3genE3ELNS1_11target_archE908ELNS1_3gpuE7ELNS1_3repE0EEENS1_30default_config_static_selectorELNS0_4arch9wavefront6targetE1EEEvT1_
; %bb.0:
	.section	.rodata,"a",@progbits
	.p2align	6, 0x0
	.amdhsa_kernel _ZN7rocprim17ROCPRIM_400000_NS6detail17trampoline_kernelINS0_14default_configENS1_25partition_config_selectorILNS1_17partition_subalgoE8ElNS0_10empty_typeEbEEZZNS1_14partition_implILS5_8ELb0ES3_jPlPS6_PKS6_NS0_5tupleIJS9_S6_EEENSD_IJSA_SA_EEENS0_18inequality_wrapperIZN2at6native12_GLOBAL__N_124unique_dim_cuda_templateIN3c104HalfEEESt5tupleIJNSH_6TensorESO_SO_EERKSO_lbbbEUlllE0_EEPmJS6_EEE10hipError_tPvRmT3_T4_T5_T6_T7_T9_mT8_P12ihipStream_tbDpT10_ENKUlT_T0_E_clISt17integral_constantIbLb1EES1D_IbLb0EEEEDaS19_S1A_EUlS19_E_NS1_11comp_targetILNS1_3genE3ELNS1_11target_archE908ELNS1_3gpuE7ELNS1_3repE0EEENS1_30default_config_static_selectorELNS0_4arch9wavefront6targetE1EEEvT1_
		.amdhsa_group_segment_fixed_size 0
		.amdhsa_private_segment_fixed_size 0
		.amdhsa_kernarg_size 120
		.amdhsa_user_sgpr_count 2
		.amdhsa_user_sgpr_dispatch_ptr 0
		.amdhsa_user_sgpr_queue_ptr 0
		.amdhsa_user_sgpr_kernarg_segment_ptr 1
		.amdhsa_user_sgpr_dispatch_id 0
		.amdhsa_user_sgpr_kernarg_preload_length 0
		.amdhsa_user_sgpr_kernarg_preload_offset 0
		.amdhsa_user_sgpr_private_segment_size 0
		.amdhsa_uses_dynamic_stack 0
		.amdhsa_enable_private_segment 0
		.amdhsa_system_sgpr_workgroup_id_x 1
		.amdhsa_system_sgpr_workgroup_id_y 0
		.amdhsa_system_sgpr_workgroup_id_z 0
		.amdhsa_system_sgpr_workgroup_info 0
		.amdhsa_system_vgpr_workitem_id 0
		.amdhsa_next_free_vgpr 1
		.amdhsa_next_free_sgpr 0
		.amdhsa_accum_offset 4
		.amdhsa_reserve_vcc 0
		.amdhsa_float_round_mode_32 0
		.amdhsa_float_round_mode_16_64 0
		.amdhsa_float_denorm_mode_32 3
		.amdhsa_float_denorm_mode_16_64 3
		.amdhsa_dx10_clamp 1
		.amdhsa_ieee_mode 1
		.amdhsa_fp16_overflow 0
		.amdhsa_tg_split 0
		.amdhsa_exception_fp_ieee_invalid_op 0
		.amdhsa_exception_fp_denorm_src 0
		.amdhsa_exception_fp_ieee_div_zero 0
		.amdhsa_exception_fp_ieee_overflow 0
		.amdhsa_exception_fp_ieee_underflow 0
		.amdhsa_exception_fp_ieee_inexact 0
		.amdhsa_exception_int_div_zero 0
	.end_amdhsa_kernel
	.section	.text._ZN7rocprim17ROCPRIM_400000_NS6detail17trampoline_kernelINS0_14default_configENS1_25partition_config_selectorILNS1_17partition_subalgoE8ElNS0_10empty_typeEbEEZZNS1_14partition_implILS5_8ELb0ES3_jPlPS6_PKS6_NS0_5tupleIJS9_S6_EEENSD_IJSA_SA_EEENS0_18inequality_wrapperIZN2at6native12_GLOBAL__N_124unique_dim_cuda_templateIN3c104HalfEEESt5tupleIJNSH_6TensorESO_SO_EERKSO_lbbbEUlllE0_EEPmJS6_EEE10hipError_tPvRmT3_T4_T5_T6_T7_T9_mT8_P12ihipStream_tbDpT10_ENKUlT_T0_E_clISt17integral_constantIbLb1EES1D_IbLb0EEEEDaS19_S1A_EUlS19_E_NS1_11comp_targetILNS1_3genE3ELNS1_11target_archE908ELNS1_3gpuE7ELNS1_3repE0EEENS1_30default_config_static_selectorELNS0_4arch9wavefront6targetE1EEEvT1_,"axG",@progbits,_ZN7rocprim17ROCPRIM_400000_NS6detail17trampoline_kernelINS0_14default_configENS1_25partition_config_selectorILNS1_17partition_subalgoE8ElNS0_10empty_typeEbEEZZNS1_14partition_implILS5_8ELb0ES3_jPlPS6_PKS6_NS0_5tupleIJS9_S6_EEENSD_IJSA_SA_EEENS0_18inequality_wrapperIZN2at6native12_GLOBAL__N_124unique_dim_cuda_templateIN3c104HalfEEESt5tupleIJNSH_6TensorESO_SO_EERKSO_lbbbEUlllE0_EEPmJS6_EEE10hipError_tPvRmT3_T4_T5_T6_T7_T9_mT8_P12ihipStream_tbDpT10_ENKUlT_T0_E_clISt17integral_constantIbLb1EES1D_IbLb0EEEEDaS19_S1A_EUlS19_E_NS1_11comp_targetILNS1_3genE3ELNS1_11target_archE908ELNS1_3gpuE7ELNS1_3repE0EEENS1_30default_config_static_selectorELNS0_4arch9wavefront6targetE1EEEvT1_,comdat
.Lfunc_end1324:
	.size	_ZN7rocprim17ROCPRIM_400000_NS6detail17trampoline_kernelINS0_14default_configENS1_25partition_config_selectorILNS1_17partition_subalgoE8ElNS0_10empty_typeEbEEZZNS1_14partition_implILS5_8ELb0ES3_jPlPS6_PKS6_NS0_5tupleIJS9_S6_EEENSD_IJSA_SA_EEENS0_18inequality_wrapperIZN2at6native12_GLOBAL__N_124unique_dim_cuda_templateIN3c104HalfEEESt5tupleIJNSH_6TensorESO_SO_EERKSO_lbbbEUlllE0_EEPmJS6_EEE10hipError_tPvRmT3_T4_T5_T6_T7_T9_mT8_P12ihipStream_tbDpT10_ENKUlT_T0_E_clISt17integral_constantIbLb1EES1D_IbLb0EEEEDaS19_S1A_EUlS19_E_NS1_11comp_targetILNS1_3genE3ELNS1_11target_archE908ELNS1_3gpuE7ELNS1_3repE0EEENS1_30default_config_static_selectorELNS0_4arch9wavefront6targetE1EEEvT1_, .Lfunc_end1324-_ZN7rocprim17ROCPRIM_400000_NS6detail17trampoline_kernelINS0_14default_configENS1_25partition_config_selectorILNS1_17partition_subalgoE8ElNS0_10empty_typeEbEEZZNS1_14partition_implILS5_8ELb0ES3_jPlPS6_PKS6_NS0_5tupleIJS9_S6_EEENSD_IJSA_SA_EEENS0_18inequality_wrapperIZN2at6native12_GLOBAL__N_124unique_dim_cuda_templateIN3c104HalfEEESt5tupleIJNSH_6TensorESO_SO_EERKSO_lbbbEUlllE0_EEPmJS6_EEE10hipError_tPvRmT3_T4_T5_T6_T7_T9_mT8_P12ihipStream_tbDpT10_ENKUlT_T0_E_clISt17integral_constantIbLb1EES1D_IbLb0EEEEDaS19_S1A_EUlS19_E_NS1_11comp_targetILNS1_3genE3ELNS1_11target_archE908ELNS1_3gpuE7ELNS1_3repE0EEENS1_30default_config_static_selectorELNS0_4arch9wavefront6targetE1EEEvT1_
                                        ; -- End function
	.section	.AMDGPU.csdata,"",@progbits
; Kernel info:
; codeLenInByte = 0
; NumSgprs: 6
; NumVgprs: 0
; NumAgprs: 0
; TotalNumVgprs: 0
; ScratchSize: 0
; MemoryBound: 0
; FloatMode: 240
; IeeeMode: 1
; LDSByteSize: 0 bytes/workgroup (compile time only)
; SGPRBlocks: 0
; VGPRBlocks: 0
; NumSGPRsForWavesPerEU: 6
; NumVGPRsForWavesPerEU: 1
; AccumOffset: 4
; Occupancy: 8
; WaveLimiterHint : 0
; COMPUTE_PGM_RSRC2:SCRATCH_EN: 0
; COMPUTE_PGM_RSRC2:USER_SGPR: 2
; COMPUTE_PGM_RSRC2:TRAP_HANDLER: 0
; COMPUTE_PGM_RSRC2:TGID_X_EN: 1
; COMPUTE_PGM_RSRC2:TGID_Y_EN: 0
; COMPUTE_PGM_RSRC2:TGID_Z_EN: 0
; COMPUTE_PGM_RSRC2:TIDIG_COMP_CNT: 0
; COMPUTE_PGM_RSRC3_GFX90A:ACCUM_OFFSET: 0
; COMPUTE_PGM_RSRC3_GFX90A:TG_SPLIT: 0
	.section	.text._ZN7rocprim17ROCPRIM_400000_NS6detail17trampoline_kernelINS0_14default_configENS1_25partition_config_selectorILNS1_17partition_subalgoE8ElNS0_10empty_typeEbEEZZNS1_14partition_implILS5_8ELb0ES3_jPlPS6_PKS6_NS0_5tupleIJS9_S6_EEENSD_IJSA_SA_EEENS0_18inequality_wrapperIZN2at6native12_GLOBAL__N_124unique_dim_cuda_templateIN3c104HalfEEESt5tupleIJNSH_6TensorESO_SO_EERKSO_lbbbEUlllE0_EEPmJS6_EEE10hipError_tPvRmT3_T4_T5_T6_T7_T9_mT8_P12ihipStream_tbDpT10_ENKUlT_T0_E_clISt17integral_constantIbLb1EES1D_IbLb0EEEEDaS19_S1A_EUlS19_E_NS1_11comp_targetILNS1_3genE2ELNS1_11target_archE906ELNS1_3gpuE6ELNS1_3repE0EEENS1_30default_config_static_selectorELNS0_4arch9wavefront6targetE1EEEvT1_,"axG",@progbits,_ZN7rocprim17ROCPRIM_400000_NS6detail17trampoline_kernelINS0_14default_configENS1_25partition_config_selectorILNS1_17partition_subalgoE8ElNS0_10empty_typeEbEEZZNS1_14partition_implILS5_8ELb0ES3_jPlPS6_PKS6_NS0_5tupleIJS9_S6_EEENSD_IJSA_SA_EEENS0_18inequality_wrapperIZN2at6native12_GLOBAL__N_124unique_dim_cuda_templateIN3c104HalfEEESt5tupleIJNSH_6TensorESO_SO_EERKSO_lbbbEUlllE0_EEPmJS6_EEE10hipError_tPvRmT3_T4_T5_T6_T7_T9_mT8_P12ihipStream_tbDpT10_ENKUlT_T0_E_clISt17integral_constantIbLb1EES1D_IbLb0EEEEDaS19_S1A_EUlS19_E_NS1_11comp_targetILNS1_3genE2ELNS1_11target_archE906ELNS1_3gpuE6ELNS1_3repE0EEENS1_30default_config_static_selectorELNS0_4arch9wavefront6targetE1EEEvT1_,comdat
	.globl	_ZN7rocprim17ROCPRIM_400000_NS6detail17trampoline_kernelINS0_14default_configENS1_25partition_config_selectorILNS1_17partition_subalgoE8ElNS0_10empty_typeEbEEZZNS1_14partition_implILS5_8ELb0ES3_jPlPS6_PKS6_NS0_5tupleIJS9_S6_EEENSD_IJSA_SA_EEENS0_18inequality_wrapperIZN2at6native12_GLOBAL__N_124unique_dim_cuda_templateIN3c104HalfEEESt5tupleIJNSH_6TensorESO_SO_EERKSO_lbbbEUlllE0_EEPmJS6_EEE10hipError_tPvRmT3_T4_T5_T6_T7_T9_mT8_P12ihipStream_tbDpT10_ENKUlT_T0_E_clISt17integral_constantIbLb1EES1D_IbLb0EEEEDaS19_S1A_EUlS19_E_NS1_11comp_targetILNS1_3genE2ELNS1_11target_archE906ELNS1_3gpuE6ELNS1_3repE0EEENS1_30default_config_static_selectorELNS0_4arch9wavefront6targetE1EEEvT1_ ; -- Begin function _ZN7rocprim17ROCPRIM_400000_NS6detail17trampoline_kernelINS0_14default_configENS1_25partition_config_selectorILNS1_17partition_subalgoE8ElNS0_10empty_typeEbEEZZNS1_14partition_implILS5_8ELb0ES3_jPlPS6_PKS6_NS0_5tupleIJS9_S6_EEENSD_IJSA_SA_EEENS0_18inequality_wrapperIZN2at6native12_GLOBAL__N_124unique_dim_cuda_templateIN3c104HalfEEESt5tupleIJNSH_6TensorESO_SO_EERKSO_lbbbEUlllE0_EEPmJS6_EEE10hipError_tPvRmT3_T4_T5_T6_T7_T9_mT8_P12ihipStream_tbDpT10_ENKUlT_T0_E_clISt17integral_constantIbLb1EES1D_IbLb0EEEEDaS19_S1A_EUlS19_E_NS1_11comp_targetILNS1_3genE2ELNS1_11target_archE906ELNS1_3gpuE6ELNS1_3repE0EEENS1_30default_config_static_selectorELNS0_4arch9wavefront6targetE1EEEvT1_
	.p2align	8
	.type	_ZN7rocprim17ROCPRIM_400000_NS6detail17trampoline_kernelINS0_14default_configENS1_25partition_config_selectorILNS1_17partition_subalgoE8ElNS0_10empty_typeEbEEZZNS1_14partition_implILS5_8ELb0ES3_jPlPS6_PKS6_NS0_5tupleIJS9_S6_EEENSD_IJSA_SA_EEENS0_18inequality_wrapperIZN2at6native12_GLOBAL__N_124unique_dim_cuda_templateIN3c104HalfEEESt5tupleIJNSH_6TensorESO_SO_EERKSO_lbbbEUlllE0_EEPmJS6_EEE10hipError_tPvRmT3_T4_T5_T6_T7_T9_mT8_P12ihipStream_tbDpT10_ENKUlT_T0_E_clISt17integral_constantIbLb1EES1D_IbLb0EEEEDaS19_S1A_EUlS19_E_NS1_11comp_targetILNS1_3genE2ELNS1_11target_archE906ELNS1_3gpuE6ELNS1_3repE0EEENS1_30default_config_static_selectorELNS0_4arch9wavefront6targetE1EEEvT1_,@function
_ZN7rocprim17ROCPRIM_400000_NS6detail17trampoline_kernelINS0_14default_configENS1_25partition_config_selectorILNS1_17partition_subalgoE8ElNS0_10empty_typeEbEEZZNS1_14partition_implILS5_8ELb0ES3_jPlPS6_PKS6_NS0_5tupleIJS9_S6_EEENSD_IJSA_SA_EEENS0_18inequality_wrapperIZN2at6native12_GLOBAL__N_124unique_dim_cuda_templateIN3c104HalfEEESt5tupleIJNSH_6TensorESO_SO_EERKSO_lbbbEUlllE0_EEPmJS6_EEE10hipError_tPvRmT3_T4_T5_T6_T7_T9_mT8_P12ihipStream_tbDpT10_ENKUlT_T0_E_clISt17integral_constantIbLb1EES1D_IbLb0EEEEDaS19_S1A_EUlS19_E_NS1_11comp_targetILNS1_3genE2ELNS1_11target_archE906ELNS1_3gpuE6ELNS1_3repE0EEENS1_30default_config_static_selectorELNS0_4arch9wavefront6targetE1EEEvT1_: ; @_ZN7rocprim17ROCPRIM_400000_NS6detail17trampoline_kernelINS0_14default_configENS1_25partition_config_selectorILNS1_17partition_subalgoE8ElNS0_10empty_typeEbEEZZNS1_14partition_implILS5_8ELb0ES3_jPlPS6_PKS6_NS0_5tupleIJS9_S6_EEENSD_IJSA_SA_EEENS0_18inequality_wrapperIZN2at6native12_GLOBAL__N_124unique_dim_cuda_templateIN3c104HalfEEESt5tupleIJNSH_6TensorESO_SO_EERKSO_lbbbEUlllE0_EEPmJS6_EEE10hipError_tPvRmT3_T4_T5_T6_T7_T9_mT8_P12ihipStream_tbDpT10_ENKUlT_T0_E_clISt17integral_constantIbLb1EES1D_IbLb0EEEEDaS19_S1A_EUlS19_E_NS1_11comp_targetILNS1_3genE2ELNS1_11target_archE906ELNS1_3gpuE6ELNS1_3repE0EEENS1_30default_config_static_selectorELNS0_4arch9wavefront6targetE1EEEvT1_
; %bb.0:
	.section	.rodata,"a",@progbits
	.p2align	6, 0x0
	.amdhsa_kernel _ZN7rocprim17ROCPRIM_400000_NS6detail17trampoline_kernelINS0_14default_configENS1_25partition_config_selectorILNS1_17partition_subalgoE8ElNS0_10empty_typeEbEEZZNS1_14partition_implILS5_8ELb0ES3_jPlPS6_PKS6_NS0_5tupleIJS9_S6_EEENSD_IJSA_SA_EEENS0_18inequality_wrapperIZN2at6native12_GLOBAL__N_124unique_dim_cuda_templateIN3c104HalfEEESt5tupleIJNSH_6TensorESO_SO_EERKSO_lbbbEUlllE0_EEPmJS6_EEE10hipError_tPvRmT3_T4_T5_T6_T7_T9_mT8_P12ihipStream_tbDpT10_ENKUlT_T0_E_clISt17integral_constantIbLb1EES1D_IbLb0EEEEDaS19_S1A_EUlS19_E_NS1_11comp_targetILNS1_3genE2ELNS1_11target_archE906ELNS1_3gpuE6ELNS1_3repE0EEENS1_30default_config_static_selectorELNS0_4arch9wavefront6targetE1EEEvT1_
		.amdhsa_group_segment_fixed_size 0
		.amdhsa_private_segment_fixed_size 0
		.amdhsa_kernarg_size 120
		.amdhsa_user_sgpr_count 2
		.amdhsa_user_sgpr_dispatch_ptr 0
		.amdhsa_user_sgpr_queue_ptr 0
		.amdhsa_user_sgpr_kernarg_segment_ptr 1
		.amdhsa_user_sgpr_dispatch_id 0
		.amdhsa_user_sgpr_kernarg_preload_length 0
		.amdhsa_user_sgpr_kernarg_preload_offset 0
		.amdhsa_user_sgpr_private_segment_size 0
		.amdhsa_uses_dynamic_stack 0
		.amdhsa_enable_private_segment 0
		.amdhsa_system_sgpr_workgroup_id_x 1
		.amdhsa_system_sgpr_workgroup_id_y 0
		.amdhsa_system_sgpr_workgroup_id_z 0
		.amdhsa_system_sgpr_workgroup_info 0
		.amdhsa_system_vgpr_workitem_id 0
		.amdhsa_next_free_vgpr 1
		.amdhsa_next_free_sgpr 0
		.amdhsa_accum_offset 4
		.amdhsa_reserve_vcc 0
		.amdhsa_float_round_mode_32 0
		.amdhsa_float_round_mode_16_64 0
		.amdhsa_float_denorm_mode_32 3
		.amdhsa_float_denorm_mode_16_64 3
		.amdhsa_dx10_clamp 1
		.amdhsa_ieee_mode 1
		.amdhsa_fp16_overflow 0
		.amdhsa_tg_split 0
		.amdhsa_exception_fp_ieee_invalid_op 0
		.amdhsa_exception_fp_denorm_src 0
		.amdhsa_exception_fp_ieee_div_zero 0
		.amdhsa_exception_fp_ieee_overflow 0
		.amdhsa_exception_fp_ieee_underflow 0
		.amdhsa_exception_fp_ieee_inexact 0
		.amdhsa_exception_int_div_zero 0
	.end_amdhsa_kernel
	.section	.text._ZN7rocprim17ROCPRIM_400000_NS6detail17trampoline_kernelINS0_14default_configENS1_25partition_config_selectorILNS1_17partition_subalgoE8ElNS0_10empty_typeEbEEZZNS1_14partition_implILS5_8ELb0ES3_jPlPS6_PKS6_NS0_5tupleIJS9_S6_EEENSD_IJSA_SA_EEENS0_18inequality_wrapperIZN2at6native12_GLOBAL__N_124unique_dim_cuda_templateIN3c104HalfEEESt5tupleIJNSH_6TensorESO_SO_EERKSO_lbbbEUlllE0_EEPmJS6_EEE10hipError_tPvRmT3_T4_T5_T6_T7_T9_mT8_P12ihipStream_tbDpT10_ENKUlT_T0_E_clISt17integral_constantIbLb1EES1D_IbLb0EEEEDaS19_S1A_EUlS19_E_NS1_11comp_targetILNS1_3genE2ELNS1_11target_archE906ELNS1_3gpuE6ELNS1_3repE0EEENS1_30default_config_static_selectorELNS0_4arch9wavefront6targetE1EEEvT1_,"axG",@progbits,_ZN7rocprim17ROCPRIM_400000_NS6detail17trampoline_kernelINS0_14default_configENS1_25partition_config_selectorILNS1_17partition_subalgoE8ElNS0_10empty_typeEbEEZZNS1_14partition_implILS5_8ELb0ES3_jPlPS6_PKS6_NS0_5tupleIJS9_S6_EEENSD_IJSA_SA_EEENS0_18inequality_wrapperIZN2at6native12_GLOBAL__N_124unique_dim_cuda_templateIN3c104HalfEEESt5tupleIJNSH_6TensorESO_SO_EERKSO_lbbbEUlllE0_EEPmJS6_EEE10hipError_tPvRmT3_T4_T5_T6_T7_T9_mT8_P12ihipStream_tbDpT10_ENKUlT_T0_E_clISt17integral_constantIbLb1EES1D_IbLb0EEEEDaS19_S1A_EUlS19_E_NS1_11comp_targetILNS1_3genE2ELNS1_11target_archE906ELNS1_3gpuE6ELNS1_3repE0EEENS1_30default_config_static_selectorELNS0_4arch9wavefront6targetE1EEEvT1_,comdat
.Lfunc_end1325:
	.size	_ZN7rocprim17ROCPRIM_400000_NS6detail17trampoline_kernelINS0_14default_configENS1_25partition_config_selectorILNS1_17partition_subalgoE8ElNS0_10empty_typeEbEEZZNS1_14partition_implILS5_8ELb0ES3_jPlPS6_PKS6_NS0_5tupleIJS9_S6_EEENSD_IJSA_SA_EEENS0_18inequality_wrapperIZN2at6native12_GLOBAL__N_124unique_dim_cuda_templateIN3c104HalfEEESt5tupleIJNSH_6TensorESO_SO_EERKSO_lbbbEUlllE0_EEPmJS6_EEE10hipError_tPvRmT3_T4_T5_T6_T7_T9_mT8_P12ihipStream_tbDpT10_ENKUlT_T0_E_clISt17integral_constantIbLb1EES1D_IbLb0EEEEDaS19_S1A_EUlS19_E_NS1_11comp_targetILNS1_3genE2ELNS1_11target_archE906ELNS1_3gpuE6ELNS1_3repE0EEENS1_30default_config_static_selectorELNS0_4arch9wavefront6targetE1EEEvT1_, .Lfunc_end1325-_ZN7rocprim17ROCPRIM_400000_NS6detail17trampoline_kernelINS0_14default_configENS1_25partition_config_selectorILNS1_17partition_subalgoE8ElNS0_10empty_typeEbEEZZNS1_14partition_implILS5_8ELb0ES3_jPlPS6_PKS6_NS0_5tupleIJS9_S6_EEENSD_IJSA_SA_EEENS0_18inequality_wrapperIZN2at6native12_GLOBAL__N_124unique_dim_cuda_templateIN3c104HalfEEESt5tupleIJNSH_6TensorESO_SO_EERKSO_lbbbEUlllE0_EEPmJS6_EEE10hipError_tPvRmT3_T4_T5_T6_T7_T9_mT8_P12ihipStream_tbDpT10_ENKUlT_T0_E_clISt17integral_constantIbLb1EES1D_IbLb0EEEEDaS19_S1A_EUlS19_E_NS1_11comp_targetILNS1_3genE2ELNS1_11target_archE906ELNS1_3gpuE6ELNS1_3repE0EEENS1_30default_config_static_selectorELNS0_4arch9wavefront6targetE1EEEvT1_
                                        ; -- End function
	.section	.AMDGPU.csdata,"",@progbits
; Kernel info:
; codeLenInByte = 0
; NumSgprs: 6
; NumVgprs: 0
; NumAgprs: 0
; TotalNumVgprs: 0
; ScratchSize: 0
; MemoryBound: 0
; FloatMode: 240
; IeeeMode: 1
; LDSByteSize: 0 bytes/workgroup (compile time only)
; SGPRBlocks: 0
; VGPRBlocks: 0
; NumSGPRsForWavesPerEU: 6
; NumVGPRsForWavesPerEU: 1
; AccumOffset: 4
; Occupancy: 8
; WaveLimiterHint : 0
; COMPUTE_PGM_RSRC2:SCRATCH_EN: 0
; COMPUTE_PGM_RSRC2:USER_SGPR: 2
; COMPUTE_PGM_RSRC2:TRAP_HANDLER: 0
; COMPUTE_PGM_RSRC2:TGID_X_EN: 1
; COMPUTE_PGM_RSRC2:TGID_Y_EN: 0
; COMPUTE_PGM_RSRC2:TGID_Z_EN: 0
; COMPUTE_PGM_RSRC2:TIDIG_COMP_CNT: 0
; COMPUTE_PGM_RSRC3_GFX90A:ACCUM_OFFSET: 0
; COMPUTE_PGM_RSRC3_GFX90A:TG_SPLIT: 0
	.section	.text._ZN7rocprim17ROCPRIM_400000_NS6detail17trampoline_kernelINS0_14default_configENS1_25partition_config_selectorILNS1_17partition_subalgoE8ElNS0_10empty_typeEbEEZZNS1_14partition_implILS5_8ELb0ES3_jPlPS6_PKS6_NS0_5tupleIJS9_S6_EEENSD_IJSA_SA_EEENS0_18inequality_wrapperIZN2at6native12_GLOBAL__N_124unique_dim_cuda_templateIN3c104HalfEEESt5tupleIJNSH_6TensorESO_SO_EERKSO_lbbbEUlllE0_EEPmJS6_EEE10hipError_tPvRmT3_T4_T5_T6_T7_T9_mT8_P12ihipStream_tbDpT10_ENKUlT_T0_E_clISt17integral_constantIbLb1EES1D_IbLb0EEEEDaS19_S1A_EUlS19_E_NS1_11comp_targetILNS1_3genE10ELNS1_11target_archE1200ELNS1_3gpuE4ELNS1_3repE0EEENS1_30default_config_static_selectorELNS0_4arch9wavefront6targetE1EEEvT1_,"axG",@progbits,_ZN7rocprim17ROCPRIM_400000_NS6detail17trampoline_kernelINS0_14default_configENS1_25partition_config_selectorILNS1_17partition_subalgoE8ElNS0_10empty_typeEbEEZZNS1_14partition_implILS5_8ELb0ES3_jPlPS6_PKS6_NS0_5tupleIJS9_S6_EEENSD_IJSA_SA_EEENS0_18inequality_wrapperIZN2at6native12_GLOBAL__N_124unique_dim_cuda_templateIN3c104HalfEEESt5tupleIJNSH_6TensorESO_SO_EERKSO_lbbbEUlllE0_EEPmJS6_EEE10hipError_tPvRmT3_T4_T5_T6_T7_T9_mT8_P12ihipStream_tbDpT10_ENKUlT_T0_E_clISt17integral_constantIbLb1EES1D_IbLb0EEEEDaS19_S1A_EUlS19_E_NS1_11comp_targetILNS1_3genE10ELNS1_11target_archE1200ELNS1_3gpuE4ELNS1_3repE0EEENS1_30default_config_static_selectorELNS0_4arch9wavefront6targetE1EEEvT1_,comdat
	.globl	_ZN7rocprim17ROCPRIM_400000_NS6detail17trampoline_kernelINS0_14default_configENS1_25partition_config_selectorILNS1_17partition_subalgoE8ElNS0_10empty_typeEbEEZZNS1_14partition_implILS5_8ELb0ES3_jPlPS6_PKS6_NS0_5tupleIJS9_S6_EEENSD_IJSA_SA_EEENS0_18inequality_wrapperIZN2at6native12_GLOBAL__N_124unique_dim_cuda_templateIN3c104HalfEEESt5tupleIJNSH_6TensorESO_SO_EERKSO_lbbbEUlllE0_EEPmJS6_EEE10hipError_tPvRmT3_T4_T5_T6_T7_T9_mT8_P12ihipStream_tbDpT10_ENKUlT_T0_E_clISt17integral_constantIbLb1EES1D_IbLb0EEEEDaS19_S1A_EUlS19_E_NS1_11comp_targetILNS1_3genE10ELNS1_11target_archE1200ELNS1_3gpuE4ELNS1_3repE0EEENS1_30default_config_static_selectorELNS0_4arch9wavefront6targetE1EEEvT1_ ; -- Begin function _ZN7rocprim17ROCPRIM_400000_NS6detail17trampoline_kernelINS0_14default_configENS1_25partition_config_selectorILNS1_17partition_subalgoE8ElNS0_10empty_typeEbEEZZNS1_14partition_implILS5_8ELb0ES3_jPlPS6_PKS6_NS0_5tupleIJS9_S6_EEENSD_IJSA_SA_EEENS0_18inequality_wrapperIZN2at6native12_GLOBAL__N_124unique_dim_cuda_templateIN3c104HalfEEESt5tupleIJNSH_6TensorESO_SO_EERKSO_lbbbEUlllE0_EEPmJS6_EEE10hipError_tPvRmT3_T4_T5_T6_T7_T9_mT8_P12ihipStream_tbDpT10_ENKUlT_T0_E_clISt17integral_constantIbLb1EES1D_IbLb0EEEEDaS19_S1A_EUlS19_E_NS1_11comp_targetILNS1_3genE10ELNS1_11target_archE1200ELNS1_3gpuE4ELNS1_3repE0EEENS1_30default_config_static_selectorELNS0_4arch9wavefront6targetE1EEEvT1_
	.p2align	8
	.type	_ZN7rocprim17ROCPRIM_400000_NS6detail17trampoline_kernelINS0_14default_configENS1_25partition_config_selectorILNS1_17partition_subalgoE8ElNS0_10empty_typeEbEEZZNS1_14partition_implILS5_8ELb0ES3_jPlPS6_PKS6_NS0_5tupleIJS9_S6_EEENSD_IJSA_SA_EEENS0_18inequality_wrapperIZN2at6native12_GLOBAL__N_124unique_dim_cuda_templateIN3c104HalfEEESt5tupleIJNSH_6TensorESO_SO_EERKSO_lbbbEUlllE0_EEPmJS6_EEE10hipError_tPvRmT3_T4_T5_T6_T7_T9_mT8_P12ihipStream_tbDpT10_ENKUlT_T0_E_clISt17integral_constantIbLb1EES1D_IbLb0EEEEDaS19_S1A_EUlS19_E_NS1_11comp_targetILNS1_3genE10ELNS1_11target_archE1200ELNS1_3gpuE4ELNS1_3repE0EEENS1_30default_config_static_selectorELNS0_4arch9wavefront6targetE1EEEvT1_,@function
_ZN7rocprim17ROCPRIM_400000_NS6detail17trampoline_kernelINS0_14default_configENS1_25partition_config_selectorILNS1_17partition_subalgoE8ElNS0_10empty_typeEbEEZZNS1_14partition_implILS5_8ELb0ES3_jPlPS6_PKS6_NS0_5tupleIJS9_S6_EEENSD_IJSA_SA_EEENS0_18inequality_wrapperIZN2at6native12_GLOBAL__N_124unique_dim_cuda_templateIN3c104HalfEEESt5tupleIJNSH_6TensorESO_SO_EERKSO_lbbbEUlllE0_EEPmJS6_EEE10hipError_tPvRmT3_T4_T5_T6_T7_T9_mT8_P12ihipStream_tbDpT10_ENKUlT_T0_E_clISt17integral_constantIbLb1EES1D_IbLb0EEEEDaS19_S1A_EUlS19_E_NS1_11comp_targetILNS1_3genE10ELNS1_11target_archE1200ELNS1_3gpuE4ELNS1_3repE0EEENS1_30default_config_static_selectorELNS0_4arch9wavefront6targetE1EEEvT1_: ; @_ZN7rocprim17ROCPRIM_400000_NS6detail17trampoline_kernelINS0_14default_configENS1_25partition_config_selectorILNS1_17partition_subalgoE8ElNS0_10empty_typeEbEEZZNS1_14partition_implILS5_8ELb0ES3_jPlPS6_PKS6_NS0_5tupleIJS9_S6_EEENSD_IJSA_SA_EEENS0_18inequality_wrapperIZN2at6native12_GLOBAL__N_124unique_dim_cuda_templateIN3c104HalfEEESt5tupleIJNSH_6TensorESO_SO_EERKSO_lbbbEUlllE0_EEPmJS6_EEE10hipError_tPvRmT3_T4_T5_T6_T7_T9_mT8_P12ihipStream_tbDpT10_ENKUlT_T0_E_clISt17integral_constantIbLb1EES1D_IbLb0EEEEDaS19_S1A_EUlS19_E_NS1_11comp_targetILNS1_3genE10ELNS1_11target_archE1200ELNS1_3gpuE4ELNS1_3repE0EEENS1_30default_config_static_selectorELNS0_4arch9wavefront6targetE1EEEvT1_
; %bb.0:
	.section	.rodata,"a",@progbits
	.p2align	6, 0x0
	.amdhsa_kernel _ZN7rocprim17ROCPRIM_400000_NS6detail17trampoline_kernelINS0_14default_configENS1_25partition_config_selectorILNS1_17partition_subalgoE8ElNS0_10empty_typeEbEEZZNS1_14partition_implILS5_8ELb0ES3_jPlPS6_PKS6_NS0_5tupleIJS9_S6_EEENSD_IJSA_SA_EEENS0_18inequality_wrapperIZN2at6native12_GLOBAL__N_124unique_dim_cuda_templateIN3c104HalfEEESt5tupleIJNSH_6TensorESO_SO_EERKSO_lbbbEUlllE0_EEPmJS6_EEE10hipError_tPvRmT3_T4_T5_T6_T7_T9_mT8_P12ihipStream_tbDpT10_ENKUlT_T0_E_clISt17integral_constantIbLb1EES1D_IbLb0EEEEDaS19_S1A_EUlS19_E_NS1_11comp_targetILNS1_3genE10ELNS1_11target_archE1200ELNS1_3gpuE4ELNS1_3repE0EEENS1_30default_config_static_selectorELNS0_4arch9wavefront6targetE1EEEvT1_
		.amdhsa_group_segment_fixed_size 0
		.amdhsa_private_segment_fixed_size 0
		.amdhsa_kernarg_size 120
		.amdhsa_user_sgpr_count 2
		.amdhsa_user_sgpr_dispatch_ptr 0
		.amdhsa_user_sgpr_queue_ptr 0
		.amdhsa_user_sgpr_kernarg_segment_ptr 1
		.amdhsa_user_sgpr_dispatch_id 0
		.amdhsa_user_sgpr_kernarg_preload_length 0
		.amdhsa_user_sgpr_kernarg_preload_offset 0
		.amdhsa_user_sgpr_private_segment_size 0
		.amdhsa_uses_dynamic_stack 0
		.amdhsa_enable_private_segment 0
		.amdhsa_system_sgpr_workgroup_id_x 1
		.amdhsa_system_sgpr_workgroup_id_y 0
		.amdhsa_system_sgpr_workgroup_id_z 0
		.amdhsa_system_sgpr_workgroup_info 0
		.amdhsa_system_vgpr_workitem_id 0
		.amdhsa_next_free_vgpr 1
		.amdhsa_next_free_sgpr 0
		.amdhsa_accum_offset 4
		.amdhsa_reserve_vcc 0
		.amdhsa_float_round_mode_32 0
		.amdhsa_float_round_mode_16_64 0
		.amdhsa_float_denorm_mode_32 3
		.amdhsa_float_denorm_mode_16_64 3
		.amdhsa_dx10_clamp 1
		.amdhsa_ieee_mode 1
		.amdhsa_fp16_overflow 0
		.amdhsa_tg_split 0
		.amdhsa_exception_fp_ieee_invalid_op 0
		.amdhsa_exception_fp_denorm_src 0
		.amdhsa_exception_fp_ieee_div_zero 0
		.amdhsa_exception_fp_ieee_overflow 0
		.amdhsa_exception_fp_ieee_underflow 0
		.amdhsa_exception_fp_ieee_inexact 0
		.amdhsa_exception_int_div_zero 0
	.end_amdhsa_kernel
	.section	.text._ZN7rocprim17ROCPRIM_400000_NS6detail17trampoline_kernelINS0_14default_configENS1_25partition_config_selectorILNS1_17partition_subalgoE8ElNS0_10empty_typeEbEEZZNS1_14partition_implILS5_8ELb0ES3_jPlPS6_PKS6_NS0_5tupleIJS9_S6_EEENSD_IJSA_SA_EEENS0_18inequality_wrapperIZN2at6native12_GLOBAL__N_124unique_dim_cuda_templateIN3c104HalfEEESt5tupleIJNSH_6TensorESO_SO_EERKSO_lbbbEUlllE0_EEPmJS6_EEE10hipError_tPvRmT3_T4_T5_T6_T7_T9_mT8_P12ihipStream_tbDpT10_ENKUlT_T0_E_clISt17integral_constantIbLb1EES1D_IbLb0EEEEDaS19_S1A_EUlS19_E_NS1_11comp_targetILNS1_3genE10ELNS1_11target_archE1200ELNS1_3gpuE4ELNS1_3repE0EEENS1_30default_config_static_selectorELNS0_4arch9wavefront6targetE1EEEvT1_,"axG",@progbits,_ZN7rocprim17ROCPRIM_400000_NS6detail17trampoline_kernelINS0_14default_configENS1_25partition_config_selectorILNS1_17partition_subalgoE8ElNS0_10empty_typeEbEEZZNS1_14partition_implILS5_8ELb0ES3_jPlPS6_PKS6_NS0_5tupleIJS9_S6_EEENSD_IJSA_SA_EEENS0_18inequality_wrapperIZN2at6native12_GLOBAL__N_124unique_dim_cuda_templateIN3c104HalfEEESt5tupleIJNSH_6TensorESO_SO_EERKSO_lbbbEUlllE0_EEPmJS6_EEE10hipError_tPvRmT3_T4_T5_T6_T7_T9_mT8_P12ihipStream_tbDpT10_ENKUlT_T0_E_clISt17integral_constantIbLb1EES1D_IbLb0EEEEDaS19_S1A_EUlS19_E_NS1_11comp_targetILNS1_3genE10ELNS1_11target_archE1200ELNS1_3gpuE4ELNS1_3repE0EEENS1_30default_config_static_selectorELNS0_4arch9wavefront6targetE1EEEvT1_,comdat
.Lfunc_end1326:
	.size	_ZN7rocprim17ROCPRIM_400000_NS6detail17trampoline_kernelINS0_14default_configENS1_25partition_config_selectorILNS1_17partition_subalgoE8ElNS0_10empty_typeEbEEZZNS1_14partition_implILS5_8ELb0ES3_jPlPS6_PKS6_NS0_5tupleIJS9_S6_EEENSD_IJSA_SA_EEENS0_18inequality_wrapperIZN2at6native12_GLOBAL__N_124unique_dim_cuda_templateIN3c104HalfEEESt5tupleIJNSH_6TensorESO_SO_EERKSO_lbbbEUlllE0_EEPmJS6_EEE10hipError_tPvRmT3_T4_T5_T6_T7_T9_mT8_P12ihipStream_tbDpT10_ENKUlT_T0_E_clISt17integral_constantIbLb1EES1D_IbLb0EEEEDaS19_S1A_EUlS19_E_NS1_11comp_targetILNS1_3genE10ELNS1_11target_archE1200ELNS1_3gpuE4ELNS1_3repE0EEENS1_30default_config_static_selectorELNS0_4arch9wavefront6targetE1EEEvT1_, .Lfunc_end1326-_ZN7rocprim17ROCPRIM_400000_NS6detail17trampoline_kernelINS0_14default_configENS1_25partition_config_selectorILNS1_17partition_subalgoE8ElNS0_10empty_typeEbEEZZNS1_14partition_implILS5_8ELb0ES3_jPlPS6_PKS6_NS0_5tupleIJS9_S6_EEENSD_IJSA_SA_EEENS0_18inequality_wrapperIZN2at6native12_GLOBAL__N_124unique_dim_cuda_templateIN3c104HalfEEESt5tupleIJNSH_6TensorESO_SO_EERKSO_lbbbEUlllE0_EEPmJS6_EEE10hipError_tPvRmT3_T4_T5_T6_T7_T9_mT8_P12ihipStream_tbDpT10_ENKUlT_T0_E_clISt17integral_constantIbLb1EES1D_IbLb0EEEEDaS19_S1A_EUlS19_E_NS1_11comp_targetILNS1_3genE10ELNS1_11target_archE1200ELNS1_3gpuE4ELNS1_3repE0EEENS1_30default_config_static_selectorELNS0_4arch9wavefront6targetE1EEEvT1_
                                        ; -- End function
	.section	.AMDGPU.csdata,"",@progbits
; Kernel info:
; codeLenInByte = 0
; NumSgprs: 6
; NumVgprs: 0
; NumAgprs: 0
; TotalNumVgprs: 0
; ScratchSize: 0
; MemoryBound: 0
; FloatMode: 240
; IeeeMode: 1
; LDSByteSize: 0 bytes/workgroup (compile time only)
; SGPRBlocks: 0
; VGPRBlocks: 0
; NumSGPRsForWavesPerEU: 6
; NumVGPRsForWavesPerEU: 1
; AccumOffset: 4
; Occupancy: 8
; WaveLimiterHint : 0
; COMPUTE_PGM_RSRC2:SCRATCH_EN: 0
; COMPUTE_PGM_RSRC2:USER_SGPR: 2
; COMPUTE_PGM_RSRC2:TRAP_HANDLER: 0
; COMPUTE_PGM_RSRC2:TGID_X_EN: 1
; COMPUTE_PGM_RSRC2:TGID_Y_EN: 0
; COMPUTE_PGM_RSRC2:TGID_Z_EN: 0
; COMPUTE_PGM_RSRC2:TIDIG_COMP_CNT: 0
; COMPUTE_PGM_RSRC3_GFX90A:ACCUM_OFFSET: 0
; COMPUTE_PGM_RSRC3_GFX90A:TG_SPLIT: 0
	.section	.text._ZN7rocprim17ROCPRIM_400000_NS6detail17trampoline_kernelINS0_14default_configENS1_25partition_config_selectorILNS1_17partition_subalgoE8ElNS0_10empty_typeEbEEZZNS1_14partition_implILS5_8ELb0ES3_jPlPS6_PKS6_NS0_5tupleIJS9_S6_EEENSD_IJSA_SA_EEENS0_18inequality_wrapperIZN2at6native12_GLOBAL__N_124unique_dim_cuda_templateIN3c104HalfEEESt5tupleIJNSH_6TensorESO_SO_EERKSO_lbbbEUlllE0_EEPmJS6_EEE10hipError_tPvRmT3_T4_T5_T6_T7_T9_mT8_P12ihipStream_tbDpT10_ENKUlT_T0_E_clISt17integral_constantIbLb1EES1D_IbLb0EEEEDaS19_S1A_EUlS19_E_NS1_11comp_targetILNS1_3genE9ELNS1_11target_archE1100ELNS1_3gpuE3ELNS1_3repE0EEENS1_30default_config_static_selectorELNS0_4arch9wavefront6targetE1EEEvT1_,"axG",@progbits,_ZN7rocprim17ROCPRIM_400000_NS6detail17trampoline_kernelINS0_14default_configENS1_25partition_config_selectorILNS1_17partition_subalgoE8ElNS0_10empty_typeEbEEZZNS1_14partition_implILS5_8ELb0ES3_jPlPS6_PKS6_NS0_5tupleIJS9_S6_EEENSD_IJSA_SA_EEENS0_18inequality_wrapperIZN2at6native12_GLOBAL__N_124unique_dim_cuda_templateIN3c104HalfEEESt5tupleIJNSH_6TensorESO_SO_EERKSO_lbbbEUlllE0_EEPmJS6_EEE10hipError_tPvRmT3_T4_T5_T6_T7_T9_mT8_P12ihipStream_tbDpT10_ENKUlT_T0_E_clISt17integral_constantIbLb1EES1D_IbLb0EEEEDaS19_S1A_EUlS19_E_NS1_11comp_targetILNS1_3genE9ELNS1_11target_archE1100ELNS1_3gpuE3ELNS1_3repE0EEENS1_30default_config_static_selectorELNS0_4arch9wavefront6targetE1EEEvT1_,comdat
	.globl	_ZN7rocprim17ROCPRIM_400000_NS6detail17trampoline_kernelINS0_14default_configENS1_25partition_config_selectorILNS1_17partition_subalgoE8ElNS0_10empty_typeEbEEZZNS1_14partition_implILS5_8ELb0ES3_jPlPS6_PKS6_NS0_5tupleIJS9_S6_EEENSD_IJSA_SA_EEENS0_18inequality_wrapperIZN2at6native12_GLOBAL__N_124unique_dim_cuda_templateIN3c104HalfEEESt5tupleIJNSH_6TensorESO_SO_EERKSO_lbbbEUlllE0_EEPmJS6_EEE10hipError_tPvRmT3_T4_T5_T6_T7_T9_mT8_P12ihipStream_tbDpT10_ENKUlT_T0_E_clISt17integral_constantIbLb1EES1D_IbLb0EEEEDaS19_S1A_EUlS19_E_NS1_11comp_targetILNS1_3genE9ELNS1_11target_archE1100ELNS1_3gpuE3ELNS1_3repE0EEENS1_30default_config_static_selectorELNS0_4arch9wavefront6targetE1EEEvT1_ ; -- Begin function _ZN7rocprim17ROCPRIM_400000_NS6detail17trampoline_kernelINS0_14default_configENS1_25partition_config_selectorILNS1_17partition_subalgoE8ElNS0_10empty_typeEbEEZZNS1_14partition_implILS5_8ELb0ES3_jPlPS6_PKS6_NS0_5tupleIJS9_S6_EEENSD_IJSA_SA_EEENS0_18inequality_wrapperIZN2at6native12_GLOBAL__N_124unique_dim_cuda_templateIN3c104HalfEEESt5tupleIJNSH_6TensorESO_SO_EERKSO_lbbbEUlllE0_EEPmJS6_EEE10hipError_tPvRmT3_T4_T5_T6_T7_T9_mT8_P12ihipStream_tbDpT10_ENKUlT_T0_E_clISt17integral_constantIbLb1EES1D_IbLb0EEEEDaS19_S1A_EUlS19_E_NS1_11comp_targetILNS1_3genE9ELNS1_11target_archE1100ELNS1_3gpuE3ELNS1_3repE0EEENS1_30default_config_static_selectorELNS0_4arch9wavefront6targetE1EEEvT1_
	.p2align	8
	.type	_ZN7rocprim17ROCPRIM_400000_NS6detail17trampoline_kernelINS0_14default_configENS1_25partition_config_selectorILNS1_17partition_subalgoE8ElNS0_10empty_typeEbEEZZNS1_14partition_implILS5_8ELb0ES3_jPlPS6_PKS6_NS0_5tupleIJS9_S6_EEENSD_IJSA_SA_EEENS0_18inequality_wrapperIZN2at6native12_GLOBAL__N_124unique_dim_cuda_templateIN3c104HalfEEESt5tupleIJNSH_6TensorESO_SO_EERKSO_lbbbEUlllE0_EEPmJS6_EEE10hipError_tPvRmT3_T4_T5_T6_T7_T9_mT8_P12ihipStream_tbDpT10_ENKUlT_T0_E_clISt17integral_constantIbLb1EES1D_IbLb0EEEEDaS19_S1A_EUlS19_E_NS1_11comp_targetILNS1_3genE9ELNS1_11target_archE1100ELNS1_3gpuE3ELNS1_3repE0EEENS1_30default_config_static_selectorELNS0_4arch9wavefront6targetE1EEEvT1_,@function
_ZN7rocprim17ROCPRIM_400000_NS6detail17trampoline_kernelINS0_14default_configENS1_25partition_config_selectorILNS1_17partition_subalgoE8ElNS0_10empty_typeEbEEZZNS1_14partition_implILS5_8ELb0ES3_jPlPS6_PKS6_NS0_5tupleIJS9_S6_EEENSD_IJSA_SA_EEENS0_18inequality_wrapperIZN2at6native12_GLOBAL__N_124unique_dim_cuda_templateIN3c104HalfEEESt5tupleIJNSH_6TensorESO_SO_EERKSO_lbbbEUlllE0_EEPmJS6_EEE10hipError_tPvRmT3_T4_T5_T6_T7_T9_mT8_P12ihipStream_tbDpT10_ENKUlT_T0_E_clISt17integral_constantIbLb1EES1D_IbLb0EEEEDaS19_S1A_EUlS19_E_NS1_11comp_targetILNS1_3genE9ELNS1_11target_archE1100ELNS1_3gpuE3ELNS1_3repE0EEENS1_30default_config_static_selectorELNS0_4arch9wavefront6targetE1EEEvT1_: ; @_ZN7rocprim17ROCPRIM_400000_NS6detail17trampoline_kernelINS0_14default_configENS1_25partition_config_selectorILNS1_17partition_subalgoE8ElNS0_10empty_typeEbEEZZNS1_14partition_implILS5_8ELb0ES3_jPlPS6_PKS6_NS0_5tupleIJS9_S6_EEENSD_IJSA_SA_EEENS0_18inequality_wrapperIZN2at6native12_GLOBAL__N_124unique_dim_cuda_templateIN3c104HalfEEESt5tupleIJNSH_6TensorESO_SO_EERKSO_lbbbEUlllE0_EEPmJS6_EEE10hipError_tPvRmT3_T4_T5_T6_T7_T9_mT8_P12ihipStream_tbDpT10_ENKUlT_T0_E_clISt17integral_constantIbLb1EES1D_IbLb0EEEEDaS19_S1A_EUlS19_E_NS1_11comp_targetILNS1_3genE9ELNS1_11target_archE1100ELNS1_3gpuE3ELNS1_3repE0EEENS1_30default_config_static_selectorELNS0_4arch9wavefront6targetE1EEEvT1_
; %bb.0:
	.section	.rodata,"a",@progbits
	.p2align	6, 0x0
	.amdhsa_kernel _ZN7rocprim17ROCPRIM_400000_NS6detail17trampoline_kernelINS0_14default_configENS1_25partition_config_selectorILNS1_17partition_subalgoE8ElNS0_10empty_typeEbEEZZNS1_14partition_implILS5_8ELb0ES3_jPlPS6_PKS6_NS0_5tupleIJS9_S6_EEENSD_IJSA_SA_EEENS0_18inequality_wrapperIZN2at6native12_GLOBAL__N_124unique_dim_cuda_templateIN3c104HalfEEESt5tupleIJNSH_6TensorESO_SO_EERKSO_lbbbEUlllE0_EEPmJS6_EEE10hipError_tPvRmT3_T4_T5_T6_T7_T9_mT8_P12ihipStream_tbDpT10_ENKUlT_T0_E_clISt17integral_constantIbLb1EES1D_IbLb0EEEEDaS19_S1A_EUlS19_E_NS1_11comp_targetILNS1_3genE9ELNS1_11target_archE1100ELNS1_3gpuE3ELNS1_3repE0EEENS1_30default_config_static_selectorELNS0_4arch9wavefront6targetE1EEEvT1_
		.amdhsa_group_segment_fixed_size 0
		.amdhsa_private_segment_fixed_size 0
		.amdhsa_kernarg_size 120
		.amdhsa_user_sgpr_count 2
		.amdhsa_user_sgpr_dispatch_ptr 0
		.amdhsa_user_sgpr_queue_ptr 0
		.amdhsa_user_sgpr_kernarg_segment_ptr 1
		.amdhsa_user_sgpr_dispatch_id 0
		.amdhsa_user_sgpr_kernarg_preload_length 0
		.amdhsa_user_sgpr_kernarg_preload_offset 0
		.amdhsa_user_sgpr_private_segment_size 0
		.amdhsa_uses_dynamic_stack 0
		.amdhsa_enable_private_segment 0
		.amdhsa_system_sgpr_workgroup_id_x 1
		.amdhsa_system_sgpr_workgroup_id_y 0
		.amdhsa_system_sgpr_workgroup_id_z 0
		.amdhsa_system_sgpr_workgroup_info 0
		.amdhsa_system_vgpr_workitem_id 0
		.amdhsa_next_free_vgpr 1
		.amdhsa_next_free_sgpr 0
		.amdhsa_accum_offset 4
		.amdhsa_reserve_vcc 0
		.amdhsa_float_round_mode_32 0
		.amdhsa_float_round_mode_16_64 0
		.amdhsa_float_denorm_mode_32 3
		.amdhsa_float_denorm_mode_16_64 3
		.amdhsa_dx10_clamp 1
		.amdhsa_ieee_mode 1
		.amdhsa_fp16_overflow 0
		.amdhsa_tg_split 0
		.amdhsa_exception_fp_ieee_invalid_op 0
		.amdhsa_exception_fp_denorm_src 0
		.amdhsa_exception_fp_ieee_div_zero 0
		.amdhsa_exception_fp_ieee_overflow 0
		.amdhsa_exception_fp_ieee_underflow 0
		.amdhsa_exception_fp_ieee_inexact 0
		.amdhsa_exception_int_div_zero 0
	.end_amdhsa_kernel
	.section	.text._ZN7rocprim17ROCPRIM_400000_NS6detail17trampoline_kernelINS0_14default_configENS1_25partition_config_selectorILNS1_17partition_subalgoE8ElNS0_10empty_typeEbEEZZNS1_14partition_implILS5_8ELb0ES3_jPlPS6_PKS6_NS0_5tupleIJS9_S6_EEENSD_IJSA_SA_EEENS0_18inequality_wrapperIZN2at6native12_GLOBAL__N_124unique_dim_cuda_templateIN3c104HalfEEESt5tupleIJNSH_6TensorESO_SO_EERKSO_lbbbEUlllE0_EEPmJS6_EEE10hipError_tPvRmT3_T4_T5_T6_T7_T9_mT8_P12ihipStream_tbDpT10_ENKUlT_T0_E_clISt17integral_constantIbLb1EES1D_IbLb0EEEEDaS19_S1A_EUlS19_E_NS1_11comp_targetILNS1_3genE9ELNS1_11target_archE1100ELNS1_3gpuE3ELNS1_3repE0EEENS1_30default_config_static_selectorELNS0_4arch9wavefront6targetE1EEEvT1_,"axG",@progbits,_ZN7rocprim17ROCPRIM_400000_NS6detail17trampoline_kernelINS0_14default_configENS1_25partition_config_selectorILNS1_17partition_subalgoE8ElNS0_10empty_typeEbEEZZNS1_14partition_implILS5_8ELb0ES3_jPlPS6_PKS6_NS0_5tupleIJS9_S6_EEENSD_IJSA_SA_EEENS0_18inequality_wrapperIZN2at6native12_GLOBAL__N_124unique_dim_cuda_templateIN3c104HalfEEESt5tupleIJNSH_6TensorESO_SO_EERKSO_lbbbEUlllE0_EEPmJS6_EEE10hipError_tPvRmT3_T4_T5_T6_T7_T9_mT8_P12ihipStream_tbDpT10_ENKUlT_T0_E_clISt17integral_constantIbLb1EES1D_IbLb0EEEEDaS19_S1A_EUlS19_E_NS1_11comp_targetILNS1_3genE9ELNS1_11target_archE1100ELNS1_3gpuE3ELNS1_3repE0EEENS1_30default_config_static_selectorELNS0_4arch9wavefront6targetE1EEEvT1_,comdat
.Lfunc_end1327:
	.size	_ZN7rocprim17ROCPRIM_400000_NS6detail17trampoline_kernelINS0_14default_configENS1_25partition_config_selectorILNS1_17partition_subalgoE8ElNS0_10empty_typeEbEEZZNS1_14partition_implILS5_8ELb0ES3_jPlPS6_PKS6_NS0_5tupleIJS9_S6_EEENSD_IJSA_SA_EEENS0_18inequality_wrapperIZN2at6native12_GLOBAL__N_124unique_dim_cuda_templateIN3c104HalfEEESt5tupleIJNSH_6TensorESO_SO_EERKSO_lbbbEUlllE0_EEPmJS6_EEE10hipError_tPvRmT3_T4_T5_T6_T7_T9_mT8_P12ihipStream_tbDpT10_ENKUlT_T0_E_clISt17integral_constantIbLb1EES1D_IbLb0EEEEDaS19_S1A_EUlS19_E_NS1_11comp_targetILNS1_3genE9ELNS1_11target_archE1100ELNS1_3gpuE3ELNS1_3repE0EEENS1_30default_config_static_selectorELNS0_4arch9wavefront6targetE1EEEvT1_, .Lfunc_end1327-_ZN7rocprim17ROCPRIM_400000_NS6detail17trampoline_kernelINS0_14default_configENS1_25partition_config_selectorILNS1_17partition_subalgoE8ElNS0_10empty_typeEbEEZZNS1_14partition_implILS5_8ELb0ES3_jPlPS6_PKS6_NS0_5tupleIJS9_S6_EEENSD_IJSA_SA_EEENS0_18inequality_wrapperIZN2at6native12_GLOBAL__N_124unique_dim_cuda_templateIN3c104HalfEEESt5tupleIJNSH_6TensorESO_SO_EERKSO_lbbbEUlllE0_EEPmJS6_EEE10hipError_tPvRmT3_T4_T5_T6_T7_T9_mT8_P12ihipStream_tbDpT10_ENKUlT_T0_E_clISt17integral_constantIbLb1EES1D_IbLb0EEEEDaS19_S1A_EUlS19_E_NS1_11comp_targetILNS1_3genE9ELNS1_11target_archE1100ELNS1_3gpuE3ELNS1_3repE0EEENS1_30default_config_static_selectorELNS0_4arch9wavefront6targetE1EEEvT1_
                                        ; -- End function
	.section	.AMDGPU.csdata,"",@progbits
; Kernel info:
; codeLenInByte = 0
; NumSgprs: 6
; NumVgprs: 0
; NumAgprs: 0
; TotalNumVgprs: 0
; ScratchSize: 0
; MemoryBound: 0
; FloatMode: 240
; IeeeMode: 1
; LDSByteSize: 0 bytes/workgroup (compile time only)
; SGPRBlocks: 0
; VGPRBlocks: 0
; NumSGPRsForWavesPerEU: 6
; NumVGPRsForWavesPerEU: 1
; AccumOffset: 4
; Occupancy: 8
; WaveLimiterHint : 0
; COMPUTE_PGM_RSRC2:SCRATCH_EN: 0
; COMPUTE_PGM_RSRC2:USER_SGPR: 2
; COMPUTE_PGM_RSRC2:TRAP_HANDLER: 0
; COMPUTE_PGM_RSRC2:TGID_X_EN: 1
; COMPUTE_PGM_RSRC2:TGID_Y_EN: 0
; COMPUTE_PGM_RSRC2:TGID_Z_EN: 0
; COMPUTE_PGM_RSRC2:TIDIG_COMP_CNT: 0
; COMPUTE_PGM_RSRC3_GFX90A:ACCUM_OFFSET: 0
; COMPUTE_PGM_RSRC3_GFX90A:TG_SPLIT: 0
	.section	.text._ZN7rocprim17ROCPRIM_400000_NS6detail17trampoline_kernelINS0_14default_configENS1_25partition_config_selectorILNS1_17partition_subalgoE8ElNS0_10empty_typeEbEEZZNS1_14partition_implILS5_8ELb0ES3_jPlPS6_PKS6_NS0_5tupleIJS9_S6_EEENSD_IJSA_SA_EEENS0_18inequality_wrapperIZN2at6native12_GLOBAL__N_124unique_dim_cuda_templateIN3c104HalfEEESt5tupleIJNSH_6TensorESO_SO_EERKSO_lbbbEUlllE0_EEPmJS6_EEE10hipError_tPvRmT3_T4_T5_T6_T7_T9_mT8_P12ihipStream_tbDpT10_ENKUlT_T0_E_clISt17integral_constantIbLb1EES1D_IbLb0EEEEDaS19_S1A_EUlS19_E_NS1_11comp_targetILNS1_3genE8ELNS1_11target_archE1030ELNS1_3gpuE2ELNS1_3repE0EEENS1_30default_config_static_selectorELNS0_4arch9wavefront6targetE1EEEvT1_,"axG",@progbits,_ZN7rocprim17ROCPRIM_400000_NS6detail17trampoline_kernelINS0_14default_configENS1_25partition_config_selectorILNS1_17partition_subalgoE8ElNS0_10empty_typeEbEEZZNS1_14partition_implILS5_8ELb0ES3_jPlPS6_PKS6_NS0_5tupleIJS9_S6_EEENSD_IJSA_SA_EEENS0_18inequality_wrapperIZN2at6native12_GLOBAL__N_124unique_dim_cuda_templateIN3c104HalfEEESt5tupleIJNSH_6TensorESO_SO_EERKSO_lbbbEUlllE0_EEPmJS6_EEE10hipError_tPvRmT3_T4_T5_T6_T7_T9_mT8_P12ihipStream_tbDpT10_ENKUlT_T0_E_clISt17integral_constantIbLb1EES1D_IbLb0EEEEDaS19_S1A_EUlS19_E_NS1_11comp_targetILNS1_3genE8ELNS1_11target_archE1030ELNS1_3gpuE2ELNS1_3repE0EEENS1_30default_config_static_selectorELNS0_4arch9wavefront6targetE1EEEvT1_,comdat
	.globl	_ZN7rocprim17ROCPRIM_400000_NS6detail17trampoline_kernelINS0_14default_configENS1_25partition_config_selectorILNS1_17partition_subalgoE8ElNS0_10empty_typeEbEEZZNS1_14partition_implILS5_8ELb0ES3_jPlPS6_PKS6_NS0_5tupleIJS9_S6_EEENSD_IJSA_SA_EEENS0_18inequality_wrapperIZN2at6native12_GLOBAL__N_124unique_dim_cuda_templateIN3c104HalfEEESt5tupleIJNSH_6TensorESO_SO_EERKSO_lbbbEUlllE0_EEPmJS6_EEE10hipError_tPvRmT3_T4_T5_T6_T7_T9_mT8_P12ihipStream_tbDpT10_ENKUlT_T0_E_clISt17integral_constantIbLb1EES1D_IbLb0EEEEDaS19_S1A_EUlS19_E_NS1_11comp_targetILNS1_3genE8ELNS1_11target_archE1030ELNS1_3gpuE2ELNS1_3repE0EEENS1_30default_config_static_selectorELNS0_4arch9wavefront6targetE1EEEvT1_ ; -- Begin function _ZN7rocprim17ROCPRIM_400000_NS6detail17trampoline_kernelINS0_14default_configENS1_25partition_config_selectorILNS1_17partition_subalgoE8ElNS0_10empty_typeEbEEZZNS1_14partition_implILS5_8ELb0ES3_jPlPS6_PKS6_NS0_5tupleIJS9_S6_EEENSD_IJSA_SA_EEENS0_18inequality_wrapperIZN2at6native12_GLOBAL__N_124unique_dim_cuda_templateIN3c104HalfEEESt5tupleIJNSH_6TensorESO_SO_EERKSO_lbbbEUlllE0_EEPmJS6_EEE10hipError_tPvRmT3_T4_T5_T6_T7_T9_mT8_P12ihipStream_tbDpT10_ENKUlT_T0_E_clISt17integral_constantIbLb1EES1D_IbLb0EEEEDaS19_S1A_EUlS19_E_NS1_11comp_targetILNS1_3genE8ELNS1_11target_archE1030ELNS1_3gpuE2ELNS1_3repE0EEENS1_30default_config_static_selectorELNS0_4arch9wavefront6targetE1EEEvT1_
	.p2align	8
	.type	_ZN7rocprim17ROCPRIM_400000_NS6detail17trampoline_kernelINS0_14default_configENS1_25partition_config_selectorILNS1_17partition_subalgoE8ElNS0_10empty_typeEbEEZZNS1_14partition_implILS5_8ELb0ES3_jPlPS6_PKS6_NS0_5tupleIJS9_S6_EEENSD_IJSA_SA_EEENS0_18inequality_wrapperIZN2at6native12_GLOBAL__N_124unique_dim_cuda_templateIN3c104HalfEEESt5tupleIJNSH_6TensorESO_SO_EERKSO_lbbbEUlllE0_EEPmJS6_EEE10hipError_tPvRmT3_T4_T5_T6_T7_T9_mT8_P12ihipStream_tbDpT10_ENKUlT_T0_E_clISt17integral_constantIbLb1EES1D_IbLb0EEEEDaS19_S1A_EUlS19_E_NS1_11comp_targetILNS1_3genE8ELNS1_11target_archE1030ELNS1_3gpuE2ELNS1_3repE0EEENS1_30default_config_static_selectorELNS0_4arch9wavefront6targetE1EEEvT1_,@function
_ZN7rocprim17ROCPRIM_400000_NS6detail17trampoline_kernelINS0_14default_configENS1_25partition_config_selectorILNS1_17partition_subalgoE8ElNS0_10empty_typeEbEEZZNS1_14partition_implILS5_8ELb0ES3_jPlPS6_PKS6_NS0_5tupleIJS9_S6_EEENSD_IJSA_SA_EEENS0_18inequality_wrapperIZN2at6native12_GLOBAL__N_124unique_dim_cuda_templateIN3c104HalfEEESt5tupleIJNSH_6TensorESO_SO_EERKSO_lbbbEUlllE0_EEPmJS6_EEE10hipError_tPvRmT3_T4_T5_T6_T7_T9_mT8_P12ihipStream_tbDpT10_ENKUlT_T0_E_clISt17integral_constantIbLb1EES1D_IbLb0EEEEDaS19_S1A_EUlS19_E_NS1_11comp_targetILNS1_3genE8ELNS1_11target_archE1030ELNS1_3gpuE2ELNS1_3repE0EEENS1_30default_config_static_selectorELNS0_4arch9wavefront6targetE1EEEvT1_: ; @_ZN7rocprim17ROCPRIM_400000_NS6detail17trampoline_kernelINS0_14default_configENS1_25partition_config_selectorILNS1_17partition_subalgoE8ElNS0_10empty_typeEbEEZZNS1_14partition_implILS5_8ELb0ES3_jPlPS6_PKS6_NS0_5tupleIJS9_S6_EEENSD_IJSA_SA_EEENS0_18inequality_wrapperIZN2at6native12_GLOBAL__N_124unique_dim_cuda_templateIN3c104HalfEEESt5tupleIJNSH_6TensorESO_SO_EERKSO_lbbbEUlllE0_EEPmJS6_EEE10hipError_tPvRmT3_T4_T5_T6_T7_T9_mT8_P12ihipStream_tbDpT10_ENKUlT_T0_E_clISt17integral_constantIbLb1EES1D_IbLb0EEEEDaS19_S1A_EUlS19_E_NS1_11comp_targetILNS1_3genE8ELNS1_11target_archE1030ELNS1_3gpuE2ELNS1_3repE0EEENS1_30default_config_static_selectorELNS0_4arch9wavefront6targetE1EEEvT1_
; %bb.0:
	.section	.rodata,"a",@progbits
	.p2align	6, 0x0
	.amdhsa_kernel _ZN7rocprim17ROCPRIM_400000_NS6detail17trampoline_kernelINS0_14default_configENS1_25partition_config_selectorILNS1_17partition_subalgoE8ElNS0_10empty_typeEbEEZZNS1_14partition_implILS5_8ELb0ES3_jPlPS6_PKS6_NS0_5tupleIJS9_S6_EEENSD_IJSA_SA_EEENS0_18inequality_wrapperIZN2at6native12_GLOBAL__N_124unique_dim_cuda_templateIN3c104HalfEEESt5tupleIJNSH_6TensorESO_SO_EERKSO_lbbbEUlllE0_EEPmJS6_EEE10hipError_tPvRmT3_T4_T5_T6_T7_T9_mT8_P12ihipStream_tbDpT10_ENKUlT_T0_E_clISt17integral_constantIbLb1EES1D_IbLb0EEEEDaS19_S1A_EUlS19_E_NS1_11comp_targetILNS1_3genE8ELNS1_11target_archE1030ELNS1_3gpuE2ELNS1_3repE0EEENS1_30default_config_static_selectorELNS0_4arch9wavefront6targetE1EEEvT1_
		.amdhsa_group_segment_fixed_size 0
		.amdhsa_private_segment_fixed_size 0
		.amdhsa_kernarg_size 120
		.amdhsa_user_sgpr_count 2
		.amdhsa_user_sgpr_dispatch_ptr 0
		.amdhsa_user_sgpr_queue_ptr 0
		.amdhsa_user_sgpr_kernarg_segment_ptr 1
		.amdhsa_user_sgpr_dispatch_id 0
		.amdhsa_user_sgpr_kernarg_preload_length 0
		.amdhsa_user_sgpr_kernarg_preload_offset 0
		.amdhsa_user_sgpr_private_segment_size 0
		.amdhsa_uses_dynamic_stack 0
		.amdhsa_enable_private_segment 0
		.amdhsa_system_sgpr_workgroup_id_x 1
		.amdhsa_system_sgpr_workgroup_id_y 0
		.amdhsa_system_sgpr_workgroup_id_z 0
		.amdhsa_system_sgpr_workgroup_info 0
		.amdhsa_system_vgpr_workitem_id 0
		.amdhsa_next_free_vgpr 1
		.amdhsa_next_free_sgpr 0
		.amdhsa_accum_offset 4
		.amdhsa_reserve_vcc 0
		.amdhsa_float_round_mode_32 0
		.amdhsa_float_round_mode_16_64 0
		.amdhsa_float_denorm_mode_32 3
		.amdhsa_float_denorm_mode_16_64 3
		.amdhsa_dx10_clamp 1
		.amdhsa_ieee_mode 1
		.amdhsa_fp16_overflow 0
		.amdhsa_tg_split 0
		.amdhsa_exception_fp_ieee_invalid_op 0
		.amdhsa_exception_fp_denorm_src 0
		.amdhsa_exception_fp_ieee_div_zero 0
		.amdhsa_exception_fp_ieee_overflow 0
		.amdhsa_exception_fp_ieee_underflow 0
		.amdhsa_exception_fp_ieee_inexact 0
		.amdhsa_exception_int_div_zero 0
	.end_amdhsa_kernel
	.section	.text._ZN7rocprim17ROCPRIM_400000_NS6detail17trampoline_kernelINS0_14default_configENS1_25partition_config_selectorILNS1_17partition_subalgoE8ElNS0_10empty_typeEbEEZZNS1_14partition_implILS5_8ELb0ES3_jPlPS6_PKS6_NS0_5tupleIJS9_S6_EEENSD_IJSA_SA_EEENS0_18inequality_wrapperIZN2at6native12_GLOBAL__N_124unique_dim_cuda_templateIN3c104HalfEEESt5tupleIJNSH_6TensorESO_SO_EERKSO_lbbbEUlllE0_EEPmJS6_EEE10hipError_tPvRmT3_T4_T5_T6_T7_T9_mT8_P12ihipStream_tbDpT10_ENKUlT_T0_E_clISt17integral_constantIbLb1EES1D_IbLb0EEEEDaS19_S1A_EUlS19_E_NS1_11comp_targetILNS1_3genE8ELNS1_11target_archE1030ELNS1_3gpuE2ELNS1_3repE0EEENS1_30default_config_static_selectorELNS0_4arch9wavefront6targetE1EEEvT1_,"axG",@progbits,_ZN7rocprim17ROCPRIM_400000_NS6detail17trampoline_kernelINS0_14default_configENS1_25partition_config_selectorILNS1_17partition_subalgoE8ElNS0_10empty_typeEbEEZZNS1_14partition_implILS5_8ELb0ES3_jPlPS6_PKS6_NS0_5tupleIJS9_S6_EEENSD_IJSA_SA_EEENS0_18inequality_wrapperIZN2at6native12_GLOBAL__N_124unique_dim_cuda_templateIN3c104HalfEEESt5tupleIJNSH_6TensorESO_SO_EERKSO_lbbbEUlllE0_EEPmJS6_EEE10hipError_tPvRmT3_T4_T5_T6_T7_T9_mT8_P12ihipStream_tbDpT10_ENKUlT_T0_E_clISt17integral_constantIbLb1EES1D_IbLb0EEEEDaS19_S1A_EUlS19_E_NS1_11comp_targetILNS1_3genE8ELNS1_11target_archE1030ELNS1_3gpuE2ELNS1_3repE0EEENS1_30default_config_static_selectorELNS0_4arch9wavefront6targetE1EEEvT1_,comdat
.Lfunc_end1328:
	.size	_ZN7rocprim17ROCPRIM_400000_NS6detail17trampoline_kernelINS0_14default_configENS1_25partition_config_selectorILNS1_17partition_subalgoE8ElNS0_10empty_typeEbEEZZNS1_14partition_implILS5_8ELb0ES3_jPlPS6_PKS6_NS0_5tupleIJS9_S6_EEENSD_IJSA_SA_EEENS0_18inequality_wrapperIZN2at6native12_GLOBAL__N_124unique_dim_cuda_templateIN3c104HalfEEESt5tupleIJNSH_6TensorESO_SO_EERKSO_lbbbEUlllE0_EEPmJS6_EEE10hipError_tPvRmT3_T4_T5_T6_T7_T9_mT8_P12ihipStream_tbDpT10_ENKUlT_T0_E_clISt17integral_constantIbLb1EES1D_IbLb0EEEEDaS19_S1A_EUlS19_E_NS1_11comp_targetILNS1_3genE8ELNS1_11target_archE1030ELNS1_3gpuE2ELNS1_3repE0EEENS1_30default_config_static_selectorELNS0_4arch9wavefront6targetE1EEEvT1_, .Lfunc_end1328-_ZN7rocprim17ROCPRIM_400000_NS6detail17trampoline_kernelINS0_14default_configENS1_25partition_config_selectorILNS1_17partition_subalgoE8ElNS0_10empty_typeEbEEZZNS1_14partition_implILS5_8ELb0ES3_jPlPS6_PKS6_NS0_5tupleIJS9_S6_EEENSD_IJSA_SA_EEENS0_18inequality_wrapperIZN2at6native12_GLOBAL__N_124unique_dim_cuda_templateIN3c104HalfEEESt5tupleIJNSH_6TensorESO_SO_EERKSO_lbbbEUlllE0_EEPmJS6_EEE10hipError_tPvRmT3_T4_T5_T6_T7_T9_mT8_P12ihipStream_tbDpT10_ENKUlT_T0_E_clISt17integral_constantIbLb1EES1D_IbLb0EEEEDaS19_S1A_EUlS19_E_NS1_11comp_targetILNS1_3genE8ELNS1_11target_archE1030ELNS1_3gpuE2ELNS1_3repE0EEENS1_30default_config_static_selectorELNS0_4arch9wavefront6targetE1EEEvT1_
                                        ; -- End function
	.section	.AMDGPU.csdata,"",@progbits
; Kernel info:
; codeLenInByte = 0
; NumSgprs: 6
; NumVgprs: 0
; NumAgprs: 0
; TotalNumVgprs: 0
; ScratchSize: 0
; MemoryBound: 0
; FloatMode: 240
; IeeeMode: 1
; LDSByteSize: 0 bytes/workgroup (compile time only)
; SGPRBlocks: 0
; VGPRBlocks: 0
; NumSGPRsForWavesPerEU: 6
; NumVGPRsForWavesPerEU: 1
; AccumOffset: 4
; Occupancy: 8
; WaveLimiterHint : 0
; COMPUTE_PGM_RSRC2:SCRATCH_EN: 0
; COMPUTE_PGM_RSRC2:USER_SGPR: 2
; COMPUTE_PGM_RSRC2:TRAP_HANDLER: 0
; COMPUTE_PGM_RSRC2:TGID_X_EN: 1
; COMPUTE_PGM_RSRC2:TGID_Y_EN: 0
; COMPUTE_PGM_RSRC2:TGID_Z_EN: 0
; COMPUTE_PGM_RSRC2:TIDIG_COMP_CNT: 0
; COMPUTE_PGM_RSRC3_GFX90A:ACCUM_OFFSET: 0
; COMPUTE_PGM_RSRC3_GFX90A:TG_SPLIT: 0
	.section	.text._ZN7rocprim17ROCPRIM_400000_NS6detail17trampoline_kernelINS0_14default_configENS1_25partition_config_selectorILNS1_17partition_subalgoE8ElNS0_10empty_typeEbEEZZNS1_14partition_implILS5_8ELb0ES3_jPlPS6_PKS6_NS0_5tupleIJS9_S6_EEENSD_IJSA_SA_EEENS0_18inequality_wrapperIZN2at6native12_GLOBAL__N_124unique_dim_cuda_templateIN3c104HalfEEESt5tupleIJNSH_6TensorESO_SO_EERKSO_lbbbEUlllE0_EEPmJS6_EEE10hipError_tPvRmT3_T4_T5_T6_T7_T9_mT8_P12ihipStream_tbDpT10_ENKUlT_T0_E_clISt17integral_constantIbLb0EES1D_IbLb1EEEEDaS19_S1A_EUlS19_E_NS1_11comp_targetILNS1_3genE0ELNS1_11target_archE4294967295ELNS1_3gpuE0ELNS1_3repE0EEENS1_30default_config_static_selectorELNS0_4arch9wavefront6targetE1EEEvT1_,"axG",@progbits,_ZN7rocprim17ROCPRIM_400000_NS6detail17trampoline_kernelINS0_14default_configENS1_25partition_config_selectorILNS1_17partition_subalgoE8ElNS0_10empty_typeEbEEZZNS1_14partition_implILS5_8ELb0ES3_jPlPS6_PKS6_NS0_5tupleIJS9_S6_EEENSD_IJSA_SA_EEENS0_18inequality_wrapperIZN2at6native12_GLOBAL__N_124unique_dim_cuda_templateIN3c104HalfEEESt5tupleIJNSH_6TensorESO_SO_EERKSO_lbbbEUlllE0_EEPmJS6_EEE10hipError_tPvRmT3_T4_T5_T6_T7_T9_mT8_P12ihipStream_tbDpT10_ENKUlT_T0_E_clISt17integral_constantIbLb0EES1D_IbLb1EEEEDaS19_S1A_EUlS19_E_NS1_11comp_targetILNS1_3genE0ELNS1_11target_archE4294967295ELNS1_3gpuE0ELNS1_3repE0EEENS1_30default_config_static_selectorELNS0_4arch9wavefront6targetE1EEEvT1_,comdat
	.globl	_ZN7rocprim17ROCPRIM_400000_NS6detail17trampoline_kernelINS0_14default_configENS1_25partition_config_selectorILNS1_17partition_subalgoE8ElNS0_10empty_typeEbEEZZNS1_14partition_implILS5_8ELb0ES3_jPlPS6_PKS6_NS0_5tupleIJS9_S6_EEENSD_IJSA_SA_EEENS0_18inequality_wrapperIZN2at6native12_GLOBAL__N_124unique_dim_cuda_templateIN3c104HalfEEESt5tupleIJNSH_6TensorESO_SO_EERKSO_lbbbEUlllE0_EEPmJS6_EEE10hipError_tPvRmT3_T4_T5_T6_T7_T9_mT8_P12ihipStream_tbDpT10_ENKUlT_T0_E_clISt17integral_constantIbLb0EES1D_IbLb1EEEEDaS19_S1A_EUlS19_E_NS1_11comp_targetILNS1_3genE0ELNS1_11target_archE4294967295ELNS1_3gpuE0ELNS1_3repE0EEENS1_30default_config_static_selectorELNS0_4arch9wavefront6targetE1EEEvT1_ ; -- Begin function _ZN7rocprim17ROCPRIM_400000_NS6detail17trampoline_kernelINS0_14default_configENS1_25partition_config_selectorILNS1_17partition_subalgoE8ElNS0_10empty_typeEbEEZZNS1_14partition_implILS5_8ELb0ES3_jPlPS6_PKS6_NS0_5tupleIJS9_S6_EEENSD_IJSA_SA_EEENS0_18inequality_wrapperIZN2at6native12_GLOBAL__N_124unique_dim_cuda_templateIN3c104HalfEEESt5tupleIJNSH_6TensorESO_SO_EERKSO_lbbbEUlllE0_EEPmJS6_EEE10hipError_tPvRmT3_T4_T5_T6_T7_T9_mT8_P12ihipStream_tbDpT10_ENKUlT_T0_E_clISt17integral_constantIbLb0EES1D_IbLb1EEEEDaS19_S1A_EUlS19_E_NS1_11comp_targetILNS1_3genE0ELNS1_11target_archE4294967295ELNS1_3gpuE0ELNS1_3repE0EEENS1_30default_config_static_selectorELNS0_4arch9wavefront6targetE1EEEvT1_
	.p2align	8
	.type	_ZN7rocprim17ROCPRIM_400000_NS6detail17trampoline_kernelINS0_14default_configENS1_25partition_config_selectorILNS1_17partition_subalgoE8ElNS0_10empty_typeEbEEZZNS1_14partition_implILS5_8ELb0ES3_jPlPS6_PKS6_NS0_5tupleIJS9_S6_EEENSD_IJSA_SA_EEENS0_18inequality_wrapperIZN2at6native12_GLOBAL__N_124unique_dim_cuda_templateIN3c104HalfEEESt5tupleIJNSH_6TensorESO_SO_EERKSO_lbbbEUlllE0_EEPmJS6_EEE10hipError_tPvRmT3_T4_T5_T6_T7_T9_mT8_P12ihipStream_tbDpT10_ENKUlT_T0_E_clISt17integral_constantIbLb0EES1D_IbLb1EEEEDaS19_S1A_EUlS19_E_NS1_11comp_targetILNS1_3genE0ELNS1_11target_archE4294967295ELNS1_3gpuE0ELNS1_3repE0EEENS1_30default_config_static_selectorELNS0_4arch9wavefront6targetE1EEEvT1_,@function
_ZN7rocprim17ROCPRIM_400000_NS6detail17trampoline_kernelINS0_14default_configENS1_25partition_config_selectorILNS1_17partition_subalgoE8ElNS0_10empty_typeEbEEZZNS1_14partition_implILS5_8ELb0ES3_jPlPS6_PKS6_NS0_5tupleIJS9_S6_EEENSD_IJSA_SA_EEENS0_18inequality_wrapperIZN2at6native12_GLOBAL__N_124unique_dim_cuda_templateIN3c104HalfEEESt5tupleIJNSH_6TensorESO_SO_EERKSO_lbbbEUlllE0_EEPmJS6_EEE10hipError_tPvRmT3_T4_T5_T6_T7_T9_mT8_P12ihipStream_tbDpT10_ENKUlT_T0_E_clISt17integral_constantIbLb0EES1D_IbLb1EEEEDaS19_S1A_EUlS19_E_NS1_11comp_targetILNS1_3genE0ELNS1_11target_archE4294967295ELNS1_3gpuE0ELNS1_3repE0EEENS1_30default_config_static_selectorELNS0_4arch9wavefront6targetE1EEEvT1_: ; @_ZN7rocprim17ROCPRIM_400000_NS6detail17trampoline_kernelINS0_14default_configENS1_25partition_config_selectorILNS1_17partition_subalgoE8ElNS0_10empty_typeEbEEZZNS1_14partition_implILS5_8ELb0ES3_jPlPS6_PKS6_NS0_5tupleIJS9_S6_EEENSD_IJSA_SA_EEENS0_18inequality_wrapperIZN2at6native12_GLOBAL__N_124unique_dim_cuda_templateIN3c104HalfEEESt5tupleIJNSH_6TensorESO_SO_EERKSO_lbbbEUlllE0_EEPmJS6_EEE10hipError_tPvRmT3_T4_T5_T6_T7_T9_mT8_P12ihipStream_tbDpT10_ENKUlT_T0_E_clISt17integral_constantIbLb0EES1D_IbLb1EEEEDaS19_S1A_EUlS19_E_NS1_11comp_targetILNS1_3genE0ELNS1_11target_archE4294967295ELNS1_3gpuE0ELNS1_3repE0EEENS1_30default_config_static_selectorELNS0_4arch9wavefront6targetE1EEEvT1_
; %bb.0:
	.section	.rodata,"a",@progbits
	.p2align	6, 0x0
	.amdhsa_kernel _ZN7rocprim17ROCPRIM_400000_NS6detail17trampoline_kernelINS0_14default_configENS1_25partition_config_selectorILNS1_17partition_subalgoE8ElNS0_10empty_typeEbEEZZNS1_14partition_implILS5_8ELb0ES3_jPlPS6_PKS6_NS0_5tupleIJS9_S6_EEENSD_IJSA_SA_EEENS0_18inequality_wrapperIZN2at6native12_GLOBAL__N_124unique_dim_cuda_templateIN3c104HalfEEESt5tupleIJNSH_6TensorESO_SO_EERKSO_lbbbEUlllE0_EEPmJS6_EEE10hipError_tPvRmT3_T4_T5_T6_T7_T9_mT8_P12ihipStream_tbDpT10_ENKUlT_T0_E_clISt17integral_constantIbLb0EES1D_IbLb1EEEEDaS19_S1A_EUlS19_E_NS1_11comp_targetILNS1_3genE0ELNS1_11target_archE4294967295ELNS1_3gpuE0ELNS1_3repE0EEENS1_30default_config_static_selectorELNS0_4arch9wavefront6targetE1EEEvT1_
		.amdhsa_group_segment_fixed_size 0
		.amdhsa_private_segment_fixed_size 0
		.amdhsa_kernarg_size 136
		.amdhsa_user_sgpr_count 2
		.amdhsa_user_sgpr_dispatch_ptr 0
		.amdhsa_user_sgpr_queue_ptr 0
		.amdhsa_user_sgpr_kernarg_segment_ptr 1
		.amdhsa_user_sgpr_dispatch_id 0
		.amdhsa_user_sgpr_kernarg_preload_length 0
		.amdhsa_user_sgpr_kernarg_preload_offset 0
		.amdhsa_user_sgpr_private_segment_size 0
		.amdhsa_uses_dynamic_stack 0
		.amdhsa_enable_private_segment 0
		.amdhsa_system_sgpr_workgroup_id_x 1
		.amdhsa_system_sgpr_workgroup_id_y 0
		.amdhsa_system_sgpr_workgroup_id_z 0
		.amdhsa_system_sgpr_workgroup_info 0
		.amdhsa_system_vgpr_workitem_id 0
		.amdhsa_next_free_vgpr 1
		.amdhsa_next_free_sgpr 0
		.amdhsa_accum_offset 4
		.amdhsa_reserve_vcc 0
		.amdhsa_float_round_mode_32 0
		.amdhsa_float_round_mode_16_64 0
		.amdhsa_float_denorm_mode_32 3
		.amdhsa_float_denorm_mode_16_64 3
		.amdhsa_dx10_clamp 1
		.amdhsa_ieee_mode 1
		.amdhsa_fp16_overflow 0
		.amdhsa_tg_split 0
		.amdhsa_exception_fp_ieee_invalid_op 0
		.amdhsa_exception_fp_denorm_src 0
		.amdhsa_exception_fp_ieee_div_zero 0
		.amdhsa_exception_fp_ieee_overflow 0
		.amdhsa_exception_fp_ieee_underflow 0
		.amdhsa_exception_fp_ieee_inexact 0
		.amdhsa_exception_int_div_zero 0
	.end_amdhsa_kernel
	.section	.text._ZN7rocprim17ROCPRIM_400000_NS6detail17trampoline_kernelINS0_14default_configENS1_25partition_config_selectorILNS1_17partition_subalgoE8ElNS0_10empty_typeEbEEZZNS1_14partition_implILS5_8ELb0ES3_jPlPS6_PKS6_NS0_5tupleIJS9_S6_EEENSD_IJSA_SA_EEENS0_18inequality_wrapperIZN2at6native12_GLOBAL__N_124unique_dim_cuda_templateIN3c104HalfEEESt5tupleIJNSH_6TensorESO_SO_EERKSO_lbbbEUlllE0_EEPmJS6_EEE10hipError_tPvRmT3_T4_T5_T6_T7_T9_mT8_P12ihipStream_tbDpT10_ENKUlT_T0_E_clISt17integral_constantIbLb0EES1D_IbLb1EEEEDaS19_S1A_EUlS19_E_NS1_11comp_targetILNS1_3genE0ELNS1_11target_archE4294967295ELNS1_3gpuE0ELNS1_3repE0EEENS1_30default_config_static_selectorELNS0_4arch9wavefront6targetE1EEEvT1_,"axG",@progbits,_ZN7rocprim17ROCPRIM_400000_NS6detail17trampoline_kernelINS0_14default_configENS1_25partition_config_selectorILNS1_17partition_subalgoE8ElNS0_10empty_typeEbEEZZNS1_14partition_implILS5_8ELb0ES3_jPlPS6_PKS6_NS0_5tupleIJS9_S6_EEENSD_IJSA_SA_EEENS0_18inequality_wrapperIZN2at6native12_GLOBAL__N_124unique_dim_cuda_templateIN3c104HalfEEESt5tupleIJNSH_6TensorESO_SO_EERKSO_lbbbEUlllE0_EEPmJS6_EEE10hipError_tPvRmT3_T4_T5_T6_T7_T9_mT8_P12ihipStream_tbDpT10_ENKUlT_T0_E_clISt17integral_constantIbLb0EES1D_IbLb1EEEEDaS19_S1A_EUlS19_E_NS1_11comp_targetILNS1_3genE0ELNS1_11target_archE4294967295ELNS1_3gpuE0ELNS1_3repE0EEENS1_30default_config_static_selectorELNS0_4arch9wavefront6targetE1EEEvT1_,comdat
.Lfunc_end1329:
	.size	_ZN7rocprim17ROCPRIM_400000_NS6detail17trampoline_kernelINS0_14default_configENS1_25partition_config_selectorILNS1_17partition_subalgoE8ElNS0_10empty_typeEbEEZZNS1_14partition_implILS5_8ELb0ES3_jPlPS6_PKS6_NS0_5tupleIJS9_S6_EEENSD_IJSA_SA_EEENS0_18inequality_wrapperIZN2at6native12_GLOBAL__N_124unique_dim_cuda_templateIN3c104HalfEEESt5tupleIJNSH_6TensorESO_SO_EERKSO_lbbbEUlllE0_EEPmJS6_EEE10hipError_tPvRmT3_T4_T5_T6_T7_T9_mT8_P12ihipStream_tbDpT10_ENKUlT_T0_E_clISt17integral_constantIbLb0EES1D_IbLb1EEEEDaS19_S1A_EUlS19_E_NS1_11comp_targetILNS1_3genE0ELNS1_11target_archE4294967295ELNS1_3gpuE0ELNS1_3repE0EEENS1_30default_config_static_selectorELNS0_4arch9wavefront6targetE1EEEvT1_, .Lfunc_end1329-_ZN7rocprim17ROCPRIM_400000_NS6detail17trampoline_kernelINS0_14default_configENS1_25partition_config_selectorILNS1_17partition_subalgoE8ElNS0_10empty_typeEbEEZZNS1_14partition_implILS5_8ELb0ES3_jPlPS6_PKS6_NS0_5tupleIJS9_S6_EEENSD_IJSA_SA_EEENS0_18inequality_wrapperIZN2at6native12_GLOBAL__N_124unique_dim_cuda_templateIN3c104HalfEEESt5tupleIJNSH_6TensorESO_SO_EERKSO_lbbbEUlllE0_EEPmJS6_EEE10hipError_tPvRmT3_T4_T5_T6_T7_T9_mT8_P12ihipStream_tbDpT10_ENKUlT_T0_E_clISt17integral_constantIbLb0EES1D_IbLb1EEEEDaS19_S1A_EUlS19_E_NS1_11comp_targetILNS1_3genE0ELNS1_11target_archE4294967295ELNS1_3gpuE0ELNS1_3repE0EEENS1_30default_config_static_selectorELNS0_4arch9wavefront6targetE1EEEvT1_
                                        ; -- End function
	.section	.AMDGPU.csdata,"",@progbits
; Kernel info:
; codeLenInByte = 0
; NumSgprs: 6
; NumVgprs: 0
; NumAgprs: 0
; TotalNumVgprs: 0
; ScratchSize: 0
; MemoryBound: 0
; FloatMode: 240
; IeeeMode: 1
; LDSByteSize: 0 bytes/workgroup (compile time only)
; SGPRBlocks: 0
; VGPRBlocks: 0
; NumSGPRsForWavesPerEU: 6
; NumVGPRsForWavesPerEU: 1
; AccumOffset: 4
; Occupancy: 8
; WaveLimiterHint : 0
; COMPUTE_PGM_RSRC2:SCRATCH_EN: 0
; COMPUTE_PGM_RSRC2:USER_SGPR: 2
; COMPUTE_PGM_RSRC2:TRAP_HANDLER: 0
; COMPUTE_PGM_RSRC2:TGID_X_EN: 1
; COMPUTE_PGM_RSRC2:TGID_Y_EN: 0
; COMPUTE_PGM_RSRC2:TGID_Z_EN: 0
; COMPUTE_PGM_RSRC2:TIDIG_COMP_CNT: 0
; COMPUTE_PGM_RSRC3_GFX90A:ACCUM_OFFSET: 0
; COMPUTE_PGM_RSRC3_GFX90A:TG_SPLIT: 0
	.section	.text._ZN7rocprim17ROCPRIM_400000_NS6detail17trampoline_kernelINS0_14default_configENS1_25partition_config_selectorILNS1_17partition_subalgoE8ElNS0_10empty_typeEbEEZZNS1_14partition_implILS5_8ELb0ES3_jPlPS6_PKS6_NS0_5tupleIJS9_S6_EEENSD_IJSA_SA_EEENS0_18inequality_wrapperIZN2at6native12_GLOBAL__N_124unique_dim_cuda_templateIN3c104HalfEEESt5tupleIJNSH_6TensorESO_SO_EERKSO_lbbbEUlllE0_EEPmJS6_EEE10hipError_tPvRmT3_T4_T5_T6_T7_T9_mT8_P12ihipStream_tbDpT10_ENKUlT_T0_E_clISt17integral_constantIbLb0EES1D_IbLb1EEEEDaS19_S1A_EUlS19_E_NS1_11comp_targetILNS1_3genE5ELNS1_11target_archE942ELNS1_3gpuE9ELNS1_3repE0EEENS1_30default_config_static_selectorELNS0_4arch9wavefront6targetE1EEEvT1_,"axG",@progbits,_ZN7rocprim17ROCPRIM_400000_NS6detail17trampoline_kernelINS0_14default_configENS1_25partition_config_selectorILNS1_17partition_subalgoE8ElNS0_10empty_typeEbEEZZNS1_14partition_implILS5_8ELb0ES3_jPlPS6_PKS6_NS0_5tupleIJS9_S6_EEENSD_IJSA_SA_EEENS0_18inequality_wrapperIZN2at6native12_GLOBAL__N_124unique_dim_cuda_templateIN3c104HalfEEESt5tupleIJNSH_6TensorESO_SO_EERKSO_lbbbEUlllE0_EEPmJS6_EEE10hipError_tPvRmT3_T4_T5_T6_T7_T9_mT8_P12ihipStream_tbDpT10_ENKUlT_T0_E_clISt17integral_constantIbLb0EES1D_IbLb1EEEEDaS19_S1A_EUlS19_E_NS1_11comp_targetILNS1_3genE5ELNS1_11target_archE942ELNS1_3gpuE9ELNS1_3repE0EEENS1_30default_config_static_selectorELNS0_4arch9wavefront6targetE1EEEvT1_,comdat
	.globl	_ZN7rocprim17ROCPRIM_400000_NS6detail17trampoline_kernelINS0_14default_configENS1_25partition_config_selectorILNS1_17partition_subalgoE8ElNS0_10empty_typeEbEEZZNS1_14partition_implILS5_8ELb0ES3_jPlPS6_PKS6_NS0_5tupleIJS9_S6_EEENSD_IJSA_SA_EEENS0_18inequality_wrapperIZN2at6native12_GLOBAL__N_124unique_dim_cuda_templateIN3c104HalfEEESt5tupleIJNSH_6TensorESO_SO_EERKSO_lbbbEUlllE0_EEPmJS6_EEE10hipError_tPvRmT3_T4_T5_T6_T7_T9_mT8_P12ihipStream_tbDpT10_ENKUlT_T0_E_clISt17integral_constantIbLb0EES1D_IbLb1EEEEDaS19_S1A_EUlS19_E_NS1_11comp_targetILNS1_3genE5ELNS1_11target_archE942ELNS1_3gpuE9ELNS1_3repE0EEENS1_30default_config_static_selectorELNS0_4arch9wavefront6targetE1EEEvT1_ ; -- Begin function _ZN7rocprim17ROCPRIM_400000_NS6detail17trampoline_kernelINS0_14default_configENS1_25partition_config_selectorILNS1_17partition_subalgoE8ElNS0_10empty_typeEbEEZZNS1_14partition_implILS5_8ELb0ES3_jPlPS6_PKS6_NS0_5tupleIJS9_S6_EEENSD_IJSA_SA_EEENS0_18inequality_wrapperIZN2at6native12_GLOBAL__N_124unique_dim_cuda_templateIN3c104HalfEEESt5tupleIJNSH_6TensorESO_SO_EERKSO_lbbbEUlllE0_EEPmJS6_EEE10hipError_tPvRmT3_T4_T5_T6_T7_T9_mT8_P12ihipStream_tbDpT10_ENKUlT_T0_E_clISt17integral_constantIbLb0EES1D_IbLb1EEEEDaS19_S1A_EUlS19_E_NS1_11comp_targetILNS1_3genE5ELNS1_11target_archE942ELNS1_3gpuE9ELNS1_3repE0EEENS1_30default_config_static_selectorELNS0_4arch9wavefront6targetE1EEEvT1_
	.p2align	8
	.type	_ZN7rocprim17ROCPRIM_400000_NS6detail17trampoline_kernelINS0_14default_configENS1_25partition_config_selectorILNS1_17partition_subalgoE8ElNS0_10empty_typeEbEEZZNS1_14partition_implILS5_8ELb0ES3_jPlPS6_PKS6_NS0_5tupleIJS9_S6_EEENSD_IJSA_SA_EEENS0_18inequality_wrapperIZN2at6native12_GLOBAL__N_124unique_dim_cuda_templateIN3c104HalfEEESt5tupleIJNSH_6TensorESO_SO_EERKSO_lbbbEUlllE0_EEPmJS6_EEE10hipError_tPvRmT3_T4_T5_T6_T7_T9_mT8_P12ihipStream_tbDpT10_ENKUlT_T0_E_clISt17integral_constantIbLb0EES1D_IbLb1EEEEDaS19_S1A_EUlS19_E_NS1_11comp_targetILNS1_3genE5ELNS1_11target_archE942ELNS1_3gpuE9ELNS1_3repE0EEENS1_30default_config_static_selectorELNS0_4arch9wavefront6targetE1EEEvT1_,@function
_ZN7rocprim17ROCPRIM_400000_NS6detail17trampoline_kernelINS0_14default_configENS1_25partition_config_selectorILNS1_17partition_subalgoE8ElNS0_10empty_typeEbEEZZNS1_14partition_implILS5_8ELb0ES3_jPlPS6_PKS6_NS0_5tupleIJS9_S6_EEENSD_IJSA_SA_EEENS0_18inequality_wrapperIZN2at6native12_GLOBAL__N_124unique_dim_cuda_templateIN3c104HalfEEESt5tupleIJNSH_6TensorESO_SO_EERKSO_lbbbEUlllE0_EEPmJS6_EEE10hipError_tPvRmT3_T4_T5_T6_T7_T9_mT8_P12ihipStream_tbDpT10_ENKUlT_T0_E_clISt17integral_constantIbLb0EES1D_IbLb1EEEEDaS19_S1A_EUlS19_E_NS1_11comp_targetILNS1_3genE5ELNS1_11target_archE942ELNS1_3gpuE9ELNS1_3repE0EEENS1_30default_config_static_selectorELNS0_4arch9wavefront6targetE1EEEvT1_: ; @_ZN7rocprim17ROCPRIM_400000_NS6detail17trampoline_kernelINS0_14default_configENS1_25partition_config_selectorILNS1_17partition_subalgoE8ElNS0_10empty_typeEbEEZZNS1_14partition_implILS5_8ELb0ES3_jPlPS6_PKS6_NS0_5tupleIJS9_S6_EEENSD_IJSA_SA_EEENS0_18inequality_wrapperIZN2at6native12_GLOBAL__N_124unique_dim_cuda_templateIN3c104HalfEEESt5tupleIJNSH_6TensorESO_SO_EERKSO_lbbbEUlllE0_EEPmJS6_EEE10hipError_tPvRmT3_T4_T5_T6_T7_T9_mT8_P12ihipStream_tbDpT10_ENKUlT_T0_E_clISt17integral_constantIbLb0EES1D_IbLb1EEEEDaS19_S1A_EUlS19_E_NS1_11comp_targetILNS1_3genE5ELNS1_11target_archE942ELNS1_3gpuE9ELNS1_3repE0EEENS1_30default_config_static_selectorELNS0_4arch9wavefront6targetE1EEEvT1_
; %bb.0:
	s_load_dwordx2 s[34:35], s[0:1], 0x28
	s_load_dwordx8 s[20:27], s[0:1], 0x40
	s_load_dwordx4 s[28:31], s[0:1], 0x60
	v_cmp_ne_u32_e64 s[2:3], 0, v0
	v_cmp_eq_u32_e64 s[18:19], 0, v0
	s_and_saveexec_b64 s[4:5], s[18:19]
	s_cbranch_execz .LBB1330_4
; %bb.1:
	s_mov_b64 s[8:9], exec
	v_mbcnt_lo_u32_b32 v1, s8, 0
	v_mbcnt_hi_u32_b32 v1, s9, v1
	v_cmp_eq_u32_e32 vcc, 0, v1
                                        ; implicit-def: $vgpr2
	s_and_saveexec_b64 s[6:7], vcc
	s_cbranch_execz .LBB1330_3
; %bb.2:
	s_load_dwordx2 s[10:11], s[0:1], 0x78
	s_bcnt1_i32_b64 s8, s[8:9]
	v_mov_b32_e32 v2, 0
	v_mov_b32_e32 v3, s8
	s_waitcnt lgkmcnt(0)
	global_atomic_add v2, v2, v3, s[10:11] sc0
.LBB1330_3:
	s_or_b64 exec, exec, s[6:7]
	s_waitcnt vmcnt(0)
	v_readfirstlane_b32 s6, v2
	v_mov_b32_e32 v2, 0
	s_nop 0
	v_add_u32_e32 v1, s6, v1
	ds_write_b32 v2, v1
.LBB1330_4:
	s_or_b64 exec, exec, s[4:5]
	v_mov_b32_e32 v3, 0
	s_load_dwordx4 s[4:7], s[0:1], 0x8
	s_load_dword s10, s[0:1], 0x70
	s_waitcnt lgkmcnt(0)
	s_barrier
	ds_read_b32 v1, v3
	s_waitcnt lgkmcnt(0)
	s_barrier
	global_load_dwordx2 v[4:5], v3, s[22:23]
	s_lshl_b64 s[0:1], s[6:7], 3
	s_mul_i32 s12, s10, 0xe00
	s_add_u32 s0, s4, s0
	s_addc_u32 s1, s5, s1
	s_add_i32 s4, s12, s6
	s_add_i32 s10, s10, -1
	s_sub_i32 s52, s24, s4
	s_add_u32 s4, s6, s12
	s_movk_i32 s11, 0xe00
	s_addc_u32 s5, s7, 0
	v_readfirstlane_b32 s33, v1
	v_mov_b32_e32 v6, s24
	v_mov_b32_e32 v7, s25
	v_mul_lo_u32 v2, v1, s11
	s_cmp_eq_u32 s33, s10
	v_cmp_ge_u64_e32 vcc, s[4:5], v[6:7]
	v_lshlrev_b64 v[6:7], 3, v[2:3]
	s_cselect_b64 s[24:25], -1, 0
	v_lshl_add_u64 v[18:19], s[0:1], 0, v[6:7]
	s_and_b64 s[0:1], vcc, s[24:25]
	s_xor_b64 s[36:37], s[0:1], -1
	s_mov_b64 s[8:9], -1
	s_and_b64 vcc, exec, s[36:37]
	s_waitcnt vmcnt(0)
	v_readfirstlane_b32 s22, v4
	v_readfirstlane_b32 s23, v5
	s_cbranch_vccz .LBB1330_6
; %bb.5:
	v_lshlrev_b32_e32 v2, 3, v0
	v_lshl_add_u64 v[4:5], v[18:19], 0, v[2:3]
	v_add_co_u32_e32 v8, vcc, 0x1000, v4
	v_readfirstlane_b32 s4, v18
	s_nop 0
	v_addc_co_u32_e32 v9, vcc, 0, v5, vcc
	v_add_co_u32_e32 v10, vcc, 0x2000, v4
	v_readfirstlane_b32 s5, v19
	s_nop 0
	v_addc_co_u32_e32 v11, vcc, 0, v5, vcc
	v_add_co_u32_e32 v12, vcc, 0x3000, v4
	s_mov_b64 s[8:9], 0
	s_nop 0
	v_addc_co_u32_e32 v13, vcc, 0, v5, vcc
	v_add_co_u32_e32 v14, vcc, 0x4000, v4
	global_load_dwordx2 v[6:7], v2, s[4:5]
	s_nop 0
	v_addc_co_u32_e32 v15, vcc, 0, v5, vcc
	global_load_dwordx2 v[16:17], v[8:9], off
	global_load_dwordx2 v[20:21], v[10:11], off
	;; [unrolled: 1-line block ×4, first 2 shown]
	v_add_co_u32_e32 v8, vcc, 0x5000, v4
	s_nop 1
	v_addc_co_u32_e32 v9, vcc, 0, v5, vcc
	v_add_co_u32_e32 v4, vcc, 0x6000, v4
	global_load_dwordx2 v[8:9], v[8:9], off
	s_nop 0
	v_addc_co_u32_e32 v5, vcc, 0, v5, vcc
	global_load_dwordx2 v[4:5], v[4:5], off
	s_waitcnt vmcnt(5)
	ds_write2st64_b64 v2, v[6:7], v[16:17] offset1:8
	s_waitcnt vmcnt(3)
	ds_write2st64_b64 v2, v[20:21], v[22:23] offset0:16 offset1:24
	s_waitcnt vmcnt(1)
	ds_write2st64_b64 v2, v[24:25], v[8:9] offset0:32 offset1:40
	s_waitcnt vmcnt(0)
	ds_write_b64 v2, v[4:5] offset:24576
	s_waitcnt lgkmcnt(0)
	s_barrier
.LBB1330_6:
	s_andn2_b64 vcc, exec, s[8:9]
	s_addk_i32 s52, 0xe00
	s_cbranch_vccnz .LBB1330_22
; %bb.7:
	v_cmp_gt_u32_e32 vcc, s52, v0
                                        ; implicit-def: $vgpr2_vgpr3_vgpr4_vgpr5_vgpr6_vgpr7_vgpr8_vgpr9_vgpr10_vgpr11_vgpr12_vgpr13_vgpr14_vgpr15_vgpr16_vgpr17
	s_and_saveexec_b64 s[4:5], vcc
	s_cbranch_execz .LBB1330_9
; %bb.8:
	v_lshlrev_b32_e32 v1, 3, v0
	v_readfirstlane_b32 s8, v18
	v_readfirstlane_b32 s9, v19
	s_nop 4
	global_load_dwordx2 v[2:3], v1, s[8:9]
.LBB1330_9:
	s_or_b64 exec, exec, s[4:5]
	v_or_b32_e32 v1, 0x200, v0
	v_cmp_gt_u32_e32 vcc, s52, v1
	s_and_saveexec_b64 s[4:5], vcc
	s_cbranch_execz .LBB1330_11
; %bb.10:
	v_lshlrev_b32_e32 v1, 3, v1
	v_readfirstlane_b32 s8, v18
	v_readfirstlane_b32 s9, v19
	s_nop 4
	global_load_dwordx2 v[4:5], v1, s[8:9]
.LBB1330_11:
	s_or_b64 exec, exec, s[4:5]
	v_or_b32_e32 v1, 0x400, v0
	v_cmp_gt_u32_e32 vcc, s52, v1
	;; [unrolled: 12-line block ×6, first 2 shown]
	s_and_saveexec_b64 s[4:5], vcc
	s_cbranch_execz .LBB1330_21
; %bb.20:
	v_lshlrev_b32_e32 v1, 3, v1
	v_readfirstlane_b32 s8, v18
	v_readfirstlane_b32 s9, v19
	s_nop 4
	global_load_dwordx2 v[14:15], v1, s[8:9]
.LBB1330_21:
	s_or_b64 exec, exec, s[4:5]
	v_lshlrev_b32_e32 v1, 3, v0
	s_waitcnt vmcnt(0)
	ds_write2st64_b64 v1, v[2:3], v[4:5] offset1:8
	ds_write2st64_b64 v1, v[6:7], v[8:9] offset0:16 offset1:24
	ds_write2st64_b64 v1, v[10:11], v[12:13] offset0:32 offset1:40
	ds_write_b64 v1, v[14:15] offset:24576
	s_waitcnt lgkmcnt(0)
	s_barrier
.LBB1330_22:
	v_mul_u32_u24_e32 v1, 7, v0
	v_lshlrev_b32_e32 v32, 3, v1
	ds_read2_b64 v[10:13], v32 offset1:1
	ds_read2_b64 v[6:9], v32 offset0:2 offset1:3
	ds_read2_b64 v[2:5], v32 offset0:4 offset1:5
	ds_read_b64 v[14:15], v32 offset:48
	s_cmp_lg_u32 s33, 0
	s_cselect_b64 s[16:17], -1, 0
	s_cmp_lg_u64 s[6:7], 0
	s_cselect_b64 s[4:5], -1, 0
	s_or_b64 s[4:5], s[4:5], s[16:17]
	v_mad_u32_u24 v27, v0, 7, 1
	v_mad_u32_u24 v26, v0, 7, 2
	;; [unrolled: 1-line block ×6, first 2 shown]
	s_mov_b64 s[8:9], 0
	s_and_b64 vcc, exec, s[4:5]
	v_cmp_gt_i64_e64 s[4:5], s[26:27], 0
	s_waitcnt lgkmcnt(0)
	s_barrier
	s_cbranch_vccz .LBB1330_31
; %bb.23:
	global_load_dwordx2 v[16:17], v[18:19], off offset:-8
	v_cndmask_b32_e64 v18, 0, 1, s[4:5]
	v_lshlrev_b32_e32 v33, 3, v0
	s_mov_b64 s[6:7], 0
	s_and_b64 vcc, exec, s[36:37]
	v_cmp_ne_u32_e64 s[4:5], 1, v18
	ds_write_b64 v33, v[14:15]
	s_cbranch_vccz .LBB1330_33
; %bb.24:
	v_mul_lo_u32 v20, v5, s26
	v_mul_lo_u32 v21, v4, s27
	v_mad_u64_u32 v[18:19], s[8:9], v4, s26, 0
	v_add3_u32 v19, v19, v21, v20
	s_and_b64 vcc, exec, s[4:5]
	v_lshl_add_u64 v[18:19], v[18:19], 1, s[28:29]
	s_cbranch_vccnz .LBB1330_36
; %bb.25:
	v_mul_lo_u32 v22, v15, s26
	v_mul_lo_u32 v23, v14, s27
	v_mad_u64_u32 v[20:21], s[6:7], v14, s26, 0
	v_add3_u32 v21, v21, v23, v22
	v_lshl_add_u64 v[20:21], v[20:21], 1, s[28:29]
	global_load_ushort v22, v[18:19], off
	global_load_ushort v23, v[20:21], off
	s_mov_b64 s[6:7], -1
	s_waitcnt vmcnt(0)
	v_cmp_eq_f16_e32 vcc, v22, v23
	s_and_saveexec_b64 s[8:9], vcc
	s_cbranch_execz .LBB1330_35
; %bb.26:
	s_add_u32 s6, s26, -1
	v_lshl_add_u64 v[20:21], v[20:21], 0, 2
	v_lshl_add_u64 v[22:23], v[18:19], 0, 2
	s_addc_u32 s7, s27, -1
	s_mov_b64 s[10:11], 0
	s_mov_b64 s[14:15], 0
                                        ; implicit-def: $sgpr12_sgpr13
	s_branch .LBB1330_29
.LBB1330_27:                            ;   in Loop: Header=BB1330_29 Depth=1
	global_load_ushort v24, v[22:23], off
	global_load_ushort v25, v[20:21], off
	s_add_u32 s14, s14, 1
	s_addc_u32 s15, s15, 0
	s_andn2_b64 s[12:13], s[12:13], exec
	v_lshl_add_u64 v[20:21], v[20:21], 0, 2
	v_lshl_add_u64 v[22:23], v[22:23], 0, 2
	s_waitcnt vmcnt(0)
	v_cmp_neq_f16_e32 vcc, v24, v25
	s_and_b64 s[38:39], vcc, exec
	s_or_b64 s[12:13], s[12:13], s[38:39]
.LBB1330_28:                            ;   in Loop: Header=BB1330_29 Depth=1
	s_and_b64 s[38:39], exec, s[12:13]
	s_or_b64 s[10:11], s[38:39], s[10:11]
	v_mov_b64_e32 v[24:25], s[14:15]
	s_andn2_b64 exec, exec, s[10:11]
	s_cbranch_execz .LBB1330_34
.LBB1330_29:                            ; =>This Inner Loop Header: Depth=1
	s_or_b64 s[12:13], s[12:13], exec
	s_cmp_eq_u64 s[6:7], s[14:15]
	s_cbranch_scc0 .LBB1330_27
; %bb.30:                               ;   in Loop: Header=BB1330_29 Depth=1
                                        ; implicit-def: $vgpr20_vgpr21
                                        ; implicit-def: $vgpr22_vgpr23
	s_mov_b64 s[14:15], s[26:27]
	s_branch .LBB1330_28
.LBB1330_31:
                                        ; implicit-def: $sgpr12_sgpr13
                                        ; implicit-def: $vgpr35
                                        ; implicit-def: $vgpr34
                                        ; implicit-def: $vgpr25
                                        ; implicit-def: $vgpr20
	s_branch .LBB1330_174
.LBB1330_32:
                                        ; implicit-def: $vgpr16_vgpr17
	s_branch .LBB1330_322
.LBB1330_33:
                                        ; implicit-def: $sgpr12_sgpr13
                                        ; implicit-def: $vgpr35
                                        ; implicit-def: $vgpr34
                                        ; implicit-def: $vgpr25
                                        ; implicit-def: $vgpr20
	s_cbranch_execnz .LBB1330_93
	s_branch .LBB1330_173
.LBB1330_34:
	s_or_b64 exec, exec, s[10:11]
	v_cmp_gt_i64_e32 vcc, s[26:27], v[24:25]
	s_orn2_b64 s[6:7], vcc, exec
.LBB1330_35:
	s_or_b64 exec, exec, s[8:9]
.LBB1330_36:
	v_mul_lo_u32 v22, v3, s26
	v_mul_lo_u32 v23, v2, s27
	v_mad_u64_u32 v[20:21], s[8:9], v2, s26, 0
	v_add3_u32 v21, v21, v23, v22
	s_mov_b64 s[8:9], 0
	s_and_b64 vcc, exec, s[4:5]
	v_lshl_add_u64 v[20:21], v[20:21], 1, s[28:29]
	s_mov_b64 s[10:11], 0
	s_cbranch_vccnz .LBB1330_45
; %bb.37:
	global_load_ushort v22, v[20:21], off
	global_load_ushort v23, v[18:19], off
	s_mov_b64 s[10:11], -1
	s_waitcnt vmcnt(0)
	v_cmp_eq_f16_e32 vcc, v22, v23
	s_and_saveexec_b64 s[12:13], vcc
	s_cbranch_execz .LBB1330_44
; %bb.38:
	s_add_u32 s10, s26, -1
	v_lshl_add_u64 v[18:19], v[18:19], 0, 2
	v_lshl_add_u64 v[22:23], v[20:21], 0, 2
	s_addc_u32 s11, s27, -1
	s_mov_b64 s[14:15], 0
	s_mov_b64 s[40:41], 0
                                        ; implicit-def: $sgpr38_sgpr39
	s_branch .LBB1330_41
.LBB1330_39:                            ;   in Loop: Header=BB1330_41 Depth=1
	global_load_ushort v24, v[22:23], off
	global_load_ushort v25, v[18:19], off
	s_add_u32 s40, s40, 1
	s_addc_u32 s41, s41, 0
	s_andn2_b64 s[38:39], s[38:39], exec
	v_lshl_add_u64 v[18:19], v[18:19], 0, 2
	v_lshl_add_u64 v[22:23], v[22:23], 0, 2
	s_waitcnt vmcnt(0)
	v_cmp_neq_f16_e32 vcc, v24, v25
	s_and_b64 s[42:43], vcc, exec
	s_or_b64 s[38:39], s[38:39], s[42:43]
.LBB1330_40:                            ;   in Loop: Header=BB1330_41 Depth=1
	s_and_b64 s[42:43], exec, s[38:39]
	s_or_b64 s[14:15], s[42:43], s[14:15]
	v_mov_b64_e32 v[24:25], s[40:41]
	s_andn2_b64 exec, exec, s[14:15]
	s_cbranch_execz .LBB1330_43
.LBB1330_41:                            ; =>This Inner Loop Header: Depth=1
	s_or_b64 s[38:39], s[38:39], exec
	s_cmp_eq_u64 s[10:11], s[40:41]
	s_cbranch_scc0 .LBB1330_39
; %bb.42:                               ;   in Loop: Header=BB1330_41 Depth=1
                                        ; implicit-def: $vgpr18_vgpr19
                                        ; implicit-def: $vgpr22_vgpr23
	s_mov_b64 s[40:41], s[26:27]
	s_branch .LBB1330_40
.LBB1330_43:
	s_or_b64 exec, exec, s[14:15]
	v_cmp_gt_i64_e32 vcc, s[26:27], v[24:25]
	s_orn2_b64 s[10:11], vcc, exec
.LBB1330_44:
	s_or_b64 exec, exec, s[12:13]
.LBB1330_45:
	v_mul_lo_u32 v22, v9, s26
	v_mul_lo_u32 v23, v8, s27
	v_mad_u64_u32 v[18:19], s[12:13], v8, s26, 0
	v_add3_u32 v19, v19, v23, v22
	s_and_b64 vcc, exec, s[4:5]
	v_lshl_add_u64 v[18:19], v[18:19], 1, s[28:29]
	s_cbranch_vccnz .LBB1330_54
; %bb.46:
	global_load_ushort v22, v[18:19], off
	global_load_ushort v23, v[20:21], off
	s_mov_b64 s[8:9], -1
	s_waitcnt vmcnt(0)
	v_cmp_eq_f16_e32 vcc, v22, v23
	s_and_saveexec_b64 s[12:13], vcc
	s_cbranch_execz .LBB1330_53
; %bb.47:
	s_add_u32 s8, s26, -1
	v_lshl_add_u64 v[20:21], v[20:21], 0, 2
	v_lshl_add_u64 v[22:23], v[18:19], 0, 2
	s_addc_u32 s9, s27, -1
	s_mov_b64 s[14:15], 0
	s_mov_b64 s[40:41], 0
                                        ; implicit-def: $sgpr38_sgpr39
	s_branch .LBB1330_50
.LBB1330_48:                            ;   in Loop: Header=BB1330_50 Depth=1
	global_load_ushort v24, v[22:23], off
	global_load_ushort v25, v[20:21], off
	s_add_u32 s40, s40, 1
	s_addc_u32 s41, s41, 0
	s_andn2_b64 s[38:39], s[38:39], exec
	v_lshl_add_u64 v[20:21], v[20:21], 0, 2
	v_lshl_add_u64 v[22:23], v[22:23], 0, 2
	s_waitcnt vmcnt(0)
	v_cmp_neq_f16_e32 vcc, v24, v25
	s_and_b64 s[42:43], vcc, exec
	s_or_b64 s[38:39], s[38:39], s[42:43]
.LBB1330_49:                            ;   in Loop: Header=BB1330_50 Depth=1
	s_and_b64 s[42:43], exec, s[38:39]
	s_or_b64 s[14:15], s[42:43], s[14:15]
	v_mov_b64_e32 v[24:25], s[40:41]
	s_andn2_b64 exec, exec, s[14:15]
	s_cbranch_execz .LBB1330_52
.LBB1330_50:                            ; =>This Inner Loop Header: Depth=1
	s_or_b64 s[38:39], s[38:39], exec
	s_cmp_eq_u64 s[8:9], s[40:41]
	s_cbranch_scc0 .LBB1330_48
; %bb.51:                               ;   in Loop: Header=BB1330_50 Depth=1
                                        ; implicit-def: $vgpr20_vgpr21
                                        ; implicit-def: $vgpr22_vgpr23
	s_mov_b64 s[40:41], s[26:27]
	s_branch .LBB1330_49
.LBB1330_52:
	s_or_b64 exec, exec, s[14:15]
	v_cmp_gt_i64_e32 vcc, s[26:27], v[24:25]
	s_orn2_b64 s[8:9], vcc, exec
.LBB1330_53:
	s_or_b64 exec, exec, s[12:13]
.LBB1330_54:
	v_mul_lo_u32 v22, v7, s26
	v_mul_lo_u32 v23, v6, s27
	v_mad_u64_u32 v[20:21], s[12:13], v6, s26, 0
	v_add3_u32 v21, v21, v23, v22
	s_mov_b64 s[12:13], 0
	s_and_b64 vcc, exec, s[4:5]
	v_lshl_add_u64 v[22:23], v[20:21], 1, s[28:29]
	s_mov_b64 s[14:15], 0
	s_cbranch_vccnz .LBB1330_63
; %bb.55:
	global_load_ushort v20, v[22:23], off
	global_load_ushort v21, v[18:19], off
	s_mov_b64 s[14:15], -1
	s_waitcnt vmcnt(0)
	v_cmp_eq_f16_e32 vcc, v20, v21
	s_and_saveexec_b64 s[38:39], vcc
	s_cbranch_execz .LBB1330_62
; %bb.56:
	s_add_u32 s14, s26, -1
	v_lshl_add_u64 v[18:19], v[18:19], 0, 2
	v_lshl_add_u64 v[20:21], v[22:23], 0, 2
	s_addc_u32 s15, s27, -1
	s_mov_b64 s[40:41], 0
	s_mov_b64 s[44:45], 0
                                        ; implicit-def: $sgpr42_sgpr43
	s_branch .LBB1330_59
.LBB1330_57:                            ;   in Loop: Header=BB1330_59 Depth=1
	global_load_ushort v24, v[20:21], off
	global_load_ushort v25, v[18:19], off
	s_add_u32 s44, s44, 1
	s_addc_u32 s45, s45, 0
	s_andn2_b64 s[42:43], s[42:43], exec
	v_lshl_add_u64 v[18:19], v[18:19], 0, 2
	v_lshl_add_u64 v[20:21], v[20:21], 0, 2
	s_waitcnt vmcnt(0)
	v_cmp_neq_f16_e32 vcc, v24, v25
	s_and_b64 s[46:47], vcc, exec
	s_or_b64 s[42:43], s[42:43], s[46:47]
.LBB1330_58:                            ;   in Loop: Header=BB1330_59 Depth=1
	s_and_b64 s[46:47], exec, s[42:43]
	s_or_b64 s[40:41], s[46:47], s[40:41]
	v_mov_b64_e32 v[24:25], s[44:45]
	s_andn2_b64 exec, exec, s[40:41]
	s_cbranch_execz .LBB1330_61
.LBB1330_59:                            ; =>This Inner Loop Header: Depth=1
	s_or_b64 s[42:43], s[42:43], exec
	s_cmp_eq_u64 s[14:15], s[44:45]
	s_cbranch_scc0 .LBB1330_57
; %bb.60:                               ;   in Loop: Header=BB1330_59 Depth=1
                                        ; implicit-def: $vgpr18_vgpr19
                                        ; implicit-def: $vgpr20_vgpr21
	s_mov_b64 s[44:45], s[26:27]
	s_branch .LBB1330_58
.LBB1330_61:
	s_or_b64 exec, exec, s[40:41]
	v_cmp_gt_i64_e32 vcc, s[26:27], v[24:25]
	s_orn2_b64 s[14:15], vcc, exec
.LBB1330_62:
	s_or_b64 exec, exec, s[38:39]
.LBB1330_63:
	v_mul_lo_u32 v20, v13, s26
	v_mul_lo_u32 v21, v12, s27
	v_mad_u64_u32 v[18:19], s[38:39], v12, s26, 0
	v_add3_u32 v19, v19, v21, v20
	s_and_b64 vcc, exec, s[4:5]
	v_lshl_add_u64 v[20:21], v[18:19], 1, s[28:29]
	s_cbranch_vccnz .LBB1330_72
; %bb.64:
	global_load_ushort v18, v[20:21], off
	global_load_ushort v19, v[22:23], off
	s_mov_b64 s[12:13], -1
	s_waitcnt vmcnt(0)
	v_cmp_eq_f16_e32 vcc, v18, v19
	s_and_saveexec_b64 s[38:39], vcc
	s_cbranch_execz .LBB1330_71
; %bb.65:
	s_add_u32 s12, s26, -1
	v_lshl_add_u64 v[18:19], v[22:23], 0, 2
	v_lshl_add_u64 v[22:23], v[20:21], 0, 2
	s_addc_u32 s13, s27, -1
	s_mov_b64 s[40:41], 0
	s_mov_b64 s[44:45], 0
                                        ; implicit-def: $sgpr42_sgpr43
	s_branch .LBB1330_68
.LBB1330_66:                            ;   in Loop: Header=BB1330_68 Depth=1
	global_load_ushort v24, v[22:23], off
	global_load_ushort v25, v[18:19], off
	s_add_u32 s44, s44, 1
	s_addc_u32 s45, s45, 0
	s_andn2_b64 s[42:43], s[42:43], exec
	v_lshl_add_u64 v[18:19], v[18:19], 0, 2
	v_lshl_add_u64 v[22:23], v[22:23], 0, 2
	s_waitcnt vmcnt(0)
	v_cmp_neq_f16_e32 vcc, v24, v25
	s_and_b64 s[46:47], vcc, exec
	s_or_b64 s[42:43], s[42:43], s[46:47]
.LBB1330_67:                            ;   in Loop: Header=BB1330_68 Depth=1
	s_and_b64 s[46:47], exec, s[42:43]
	s_or_b64 s[40:41], s[46:47], s[40:41]
	v_mov_b64_e32 v[24:25], s[44:45]
	s_andn2_b64 exec, exec, s[40:41]
	s_cbranch_execz .LBB1330_70
.LBB1330_68:                            ; =>This Inner Loop Header: Depth=1
	s_or_b64 s[42:43], s[42:43], exec
	s_cmp_eq_u64 s[12:13], s[44:45]
	s_cbranch_scc0 .LBB1330_66
; %bb.69:                               ;   in Loop: Header=BB1330_68 Depth=1
                                        ; implicit-def: $vgpr18_vgpr19
                                        ; implicit-def: $vgpr22_vgpr23
	s_mov_b64 s[44:45], s[26:27]
	s_branch .LBB1330_67
.LBB1330_70:
	s_or_b64 exec, exec, s[40:41]
	v_cmp_gt_i64_e32 vcc, s[26:27], v[24:25]
	s_orn2_b64 s[12:13], vcc, exec
.LBB1330_71:
	s_or_b64 exec, exec, s[38:39]
.LBB1330_72:
	v_mul_lo_u32 v22, v11, s26
	v_mul_lo_u32 v23, v10, s27
	v_mad_u64_u32 v[18:19], s[38:39], v10, s26, 0
	v_add3_u32 v19, v19, v23, v22
	s_mov_b64 s[40:41], 0
	s_and_b64 vcc, exec, s[4:5]
	v_lshl_add_u64 v[18:19], v[18:19], 1, s[28:29]
	s_cbranch_vccnz .LBB1330_81
; %bb.73:
	global_load_ushort v22, v[18:19], off
	global_load_ushort v23, v[20:21], off
	s_mov_b64 s[40:41], -1
	s_waitcnt vmcnt(0)
	v_cmp_eq_f16_e32 vcc, v22, v23
	s_and_saveexec_b64 s[38:39], vcc
	s_cbranch_execz .LBB1330_80
; %bb.74:
	s_add_u32 s40, s26, -1
	v_lshl_add_u64 v[20:21], v[20:21], 0, 2
	v_lshl_add_u64 v[22:23], v[18:19], 0, 2
	s_addc_u32 s41, s27, -1
	s_mov_b64 s[42:43], 0
	s_mov_b64 s[46:47], 0
                                        ; implicit-def: $sgpr44_sgpr45
	s_branch .LBB1330_77
.LBB1330_75:                            ;   in Loop: Header=BB1330_77 Depth=1
	global_load_ushort v24, v[22:23], off
	global_load_ushort v25, v[20:21], off
	s_add_u32 s46, s46, 1
	s_addc_u32 s47, s47, 0
	s_andn2_b64 s[44:45], s[44:45], exec
	v_lshl_add_u64 v[20:21], v[20:21], 0, 2
	v_lshl_add_u64 v[22:23], v[22:23], 0, 2
	s_waitcnt vmcnt(0)
	v_cmp_neq_f16_e32 vcc, v24, v25
	s_and_b64 s[48:49], vcc, exec
	s_or_b64 s[44:45], s[44:45], s[48:49]
.LBB1330_76:                            ;   in Loop: Header=BB1330_77 Depth=1
	s_and_b64 s[48:49], exec, s[44:45]
	s_or_b64 s[42:43], s[48:49], s[42:43]
	v_mov_b64_e32 v[24:25], s[46:47]
	s_andn2_b64 exec, exec, s[42:43]
	s_cbranch_execz .LBB1330_79
.LBB1330_77:                            ; =>This Inner Loop Header: Depth=1
	s_or_b64 s[44:45], s[44:45], exec
	s_cmp_eq_u64 s[40:41], s[46:47]
	s_cbranch_scc0 .LBB1330_75
; %bb.78:                               ;   in Loop: Header=BB1330_77 Depth=1
                                        ; implicit-def: $vgpr20_vgpr21
                                        ; implicit-def: $vgpr22_vgpr23
	s_mov_b64 s[46:47], s[26:27]
	s_branch .LBB1330_76
.LBB1330_79:
	s_or_b64 exec, exec, s[42:43]
	v_cmp_gt_i64_e32 vcc, s[26:27], v[24:25]
	s_orn2_b64 s[40:41], vcc, exec
.LBB1330_80:
	s_or_b64 exec, exec, s[38:39]
.LBB1330_81:
	s_waitcnt vmcnt(0)
	v_mov_b64_e32 v[20:21], v[16:17]
	s_waitcnt lgkmcnt(0)
	s_barrier
	s_and_saveexec_b64 s[38:39], s[2:3]
	s_cbranch_execz .LBB1330_83
; %bb.82:
	v_add_u32_e32 v20, -8, v33
	ds_read_b64 v[20:21], v20
.LBB1330_83:
	s_or_b64 exec, exec, s[38:39]
	v_cndmask_b32_e64 v23, 0, 1, s[14:15]
	v_cndmask_b32_e64 v22, 0, 1, s[12:13]
	;; [unrolled: 1-line block ×3, first 2 shown]
	v_lshlrev_b16_e32 v23, 8, v23
	v_lshlrev_b16_e32 v24, 8, v24
	v_or_b32_sdwa v36, v22, v23 dst_sel:WORD_1 dst_unused:UNUSED_PAD src0_sel:DWORD src1_sel:DWORD
	s_mov_b64 s[14:15], 0
	s_and_b64 vcc, exec, s[4:5]
	s_mov_b64 s[12:13], 0
	s_cbranch_vccnz .LBB1330_92
; %bb.84:
	s_waitcnt lgkmcnt(0)
	v_mul_lo_u32 v22, v21, s26
	v_mul_lo_u32 v23, v20, s27
	v_mad_u64_u32 v[20:21], s[12:13], v20, s26, 0
	v_add3_u32 v21, v21, v23, v22
	v_lshl_add_u64 v[20:21], v[20:21], 1, s[28:29]
	global_load_ushort v22, v[20:21], off
	global_load_ushort v23, v[18:19], off
	s_mov_b64 s[12:13], -1
	s_waitcnt vmcnt(0)
	v_cmp_eq_f16_e32 vcc, v22, v23
	s_and_saveexec_b64 s[38:39], vcc
	s_cbranch_execz .LBB1330_91
; %bb.85:
	s_add_u32 s12, s26, -1
	v_lshl_add_u64 v[18:19], v[18:19], 0, 2
	v_lshl_add_u64 v[20:21], v[20:21], 0, 2
	s_addc_u32 s13, s27, -1
	s_mov_b64 s[40:41], 0
	s_mov_b64 s[44:45], 0
                                        ; implicit-def: $sgpr42_sgpr43
	s_branch .LBB1330_88
.LBB1330_86:                            ;   in Loop: Header=BB1330_88 Depth=1
	global_load_ushort v22, v[20:21], off
	global_load_ushort v23, v[18:19], off
	s_add_u32 s44, s44, 1
	s_addc_u32 s45, s45, 0
	s_andn2_b64 s[42:43], s[42:43], exec
	v_lshl_add_u64 v[18:19], v[18:19], 0, 2
	v_lshl_add_u64 v[20:21], v[20:21], 0, 2
	s_waitcnt vmcnt(0)
	v_cmp_neq_f16_e32 vcc, v22, v23
	s_and_b64 s[46:47], vcc, exec
	s_or_b64 s[42:43], s[42:43], s[46:47]
.LBB1330_87:                            ;   in Loop: Header=BB1330_88 Depth=1
	s_and_b64 s[46:47], exec, s[42:43]
	s_or_b64 s[40:41], s[46:47], s[40:41]
	v_mov_b64_e32 v[22:23], s[44:45]
	s_andn2_b64 exec, exec, s[40:41]
	s_cbranch_execz .LBB1330_90
.LBB1330_88:                            ; =>This Inner Loop Header: Depth=1
	s_or_b64 s[42:43], s[42:43], exec
	s_cmp_eq_u64 s[12:13], s[44:45]
	s_cbranch_scc0 .LBB1330_86
; %bb.89:                               ;   in Loop: Header=BB1330_88 Depth=1
                                        ; implicit-def: $vgpr18_vgpr19
                                        ; implicit-def: $vgpr20_vgpr21
	s_mov_b64 s[44:45], s[26:27]
	s_branch .LBB1330_87
.LBB1330_90:
	s_or_b64 exec, exec, s[40:41]
	v_cmp_gt_i64_e32 vcc, s[26:27], v[22:23]
	s_orn2_b64 s[12:13], vcc, exec
.LBB1330_91:
	s_or_b64 exec, exec, s[38:39]
.LBB1330_92:
	v_cndmask_b32_e64 v25, 0, 1, s[8:9]
	v_cndmask_b32_e64 v34, 0, 1, s[10:11]
	;; [unrolled: 1-line block ×3, first 2 shown]
	s_waitcnt lgkmcnt(0)
	v_or_b32_e32 v20, v24, v36
	s_and_b64 vcc, exec, s[14:15]
	s_cbranch_vccz .LBB1330_173
.LBB1330_93:
	v_cmp_gt_u32_e32 vcc, s52, v29
	s_mov_b64 s[8:9], 0
	s_mov_b64 s[6:7], 0
	s_and_saveexec_b64 s[10:11], vcc
	s_cbranch_execz .LBB1330_104
; %bb.94:
	s_and_b64 vcc, exec, s[4:5]
	s_mov_b64 s[12:13], 0
	s_cbranch_vccnz .LBB1330_103
; %bb.95:
	v_mul_lo_u32 v20, v5, s26
	v_mul_lo_u32 v21, v4, s27
	v_mad_u64_u32 v[18:19], s[6:7], v4, s26, 0
	v_add3_u32 v19, v19, v21, v20
	v_mul_lo_u32 v20, v15, s26
	v_mul_lo_u32 v21, v14, s27
	v_mad_u64_u32 v[22:23], s[6:7], v14, s26, 0
	v_add3_u32 v23, v23, v21, v20
	v_lshl_add_u64 v[20:21], v[18:19], 1, s[28:29]
	v_lshl_add_u64 v[18:19], v[22:23], 1, s[28:29]
	global_load_ushort v22, v[20:21], off
	global_load_ushort v23, v[18:19], off
	s_mov_b64 s[12:13], -1
	s_waitcnt vmcnt(0)
	v_cmp_eq_f16_e32 vcc, v22, v23
	s_and_saveexec_b64 s[6:7], vcc
	s_cbranch_execz .LBB1330_102
; %bb.96:
	s_add_u32 s12, s26, -1
	v_lshl_add_u64 v[18:19], v[18:19], 0, 2
	v_lshl_add_u64 v[20:21], v[20:21], 0, 2
	s_addc_u32 s13, s27, -1
	s_mov_b64 s[14:15], 0
	s_mov_b64 s[40:41], 0
                                        ; implicit-def: $sgpr38_sgpr39
	s_branch .LBB1330_99
.LBB1330_97:                            ;   in Loop: Header=BB1330_99 Depth=1
	global_load_ushort v22, v[20:21], off
	global_load_ushort v23, v[18:19], off
	s_add_u32 s40, s40, 1
	s_addc_u32 s41, s41, 0
	s_andn2_b64 s[38:39], s[38:39], exec
	v_lshl_add_u64 v[18:19], v[18:19], 0, 2
	v_lshl_add_u64 v[20:21], v[20:21], 0, 2
	s_waitcnt vmcnt(0)
	v_cmp_neq_f16_e32 vcc, v22, v23
	s_and_b64 s[42:43], vcc, exec
	s_or_b64 s[38:39], s[38:39], s[42:43]
.LBB1330_98:                            ;   in Loop: Header=BB1330_99 Depth=1
	s_and_b64 s[42:43], exec, s[38:39]
	s_or_b64 s[14:15], s[42:43], s[14:15]
	v_mov_b64_e32 v[22:23], s[40:41]
	s_andn2_b64 exec, exec, s[14:15]
	s_cbranch_execz .LBB1330_101
.LBB1330_99:                            ; =>This Inner Loop Header: Depth=1
	s_or_b64 s[38:39], s[38:39], exec
	s_cmp_eq_u64 s[12:13], s[40:41]
	s_cbranch_scc0 .LBB1330_97
; %bb.100:                              ;   in Loop: Header=BB1330_99 Depth=1
                                        ; implicit-def: $vgpr18_vgpr19
                                        ; implicit-def: $vgpr20_vgpr21
	s_mov_b64 s[40:41], s[26:27]
	s_branch .LBB1330_98
.LBB1330_101:
	s_or_b64 exec, exec, s[14:15]
	v_cmp_gt_i64_e32 vcc, s[26:27], v[22:23]
	s_orn2_b64 s[12:13], vcc, exec
.LBB1330_102:
	s_or_b64 exec, exec, s[6:7]
.LBB1330_103:
	s_and_b64 s[6:7], s[12:13], exec
.LBB1330_104:
	s_or_b64 exec, exec, s[10:11]
	v_cmp_gt_u32_e32 vcc, s52, v31
	s_and_saveexec_b64 s[10:11], vcc
	s_cbranch_execz .LBB1330_115
; %bb.105:
	s_and_b64 vcc, exec, s[4:5]
	s_mov_b64 s[12:13], 0
	s_cbranch_vccnz .LBB1330_114
; %bb.106:
	v_mul_lo_u32 v20, v3, s26
	v_mul_lo_u32 v21, v2, s27
	v_mad_u64_u32 v[18:19], s[8:9], v2, s26, 0
	v_add3_u32 v19, v19, v21, v20
	v_mul_lo_u32 v20, v5, s26
	v_mul_lo_u32 v21, v4, s27
	v_mad_u64_u32 v[22:23], s[8:9], v4, s26, 0
	v_add3_u32 v23, v23, v21, v20
	v_lshl_add_u64 v[20:21], v[18:19], 1, s[28:29]
	v_lshl_add_u64 v[18:19], v[22:23], 1, s[28:29]
	global_load_ushort v22, v[20:21], off
	global_load_ushort v23, v[18:19], off
	s_mov_b64 s[12:13], -1
	s_waitcnt vmcnt(0)
	v_cmp_eq_f16_e32 vcc, v22, v23
	s_and_saveexec_b64 s[8:9], vcc
	s_cbranch_execz .LBB1330_113
; %bb.107:
	s_add_u32 s12, s26, -1
	v_lshl_add_u64 v[18:19], v[18:19], 0, 2
	v_lshl_add_u64 v[20:21], v[20:21], 0, 2
	s_addc_u32 s13, s27, -1
	s_mov_b64 s[14:15], 0
	s_mov_b64 s[40:41], 0
                                        ; implicit-def: $sgpr38_sgpr39
	s_branch .LBB1330_110
.LBB1330_108:                           ;   in Loop: Header=BB1330_110 Depth=1
	global_load_ushort v22, v[20:21], off
	global_load_ushort v23, v[18:19], off
	s_add_u32 s40, s40, 1
	s_addc_u32 s41, s41, 0
	s_andn2_b64 s[38:39], s[38:39], exec
	v_lshl_add_u64 v[18:19], v[18:19], 0, 2
	v_lshl_add_u64 v[20:21], v[20:21], 0, 2
	s_waitcnt vmcnt(0)
	v_cmp_neq_f16_e32 vcc, v22, v23
	s_and_b64 s[42:43], vcc, exec
	s_or_b64 s[38:39], s[38:39], s[42:43]
.LBB1330_109:                           ;   in Loop: Header=BB1330_110 Depth=1
	s_and_b64 s[42:43], exec, s[38:39]
	s_or_b64 s[14:15], s[42:43], s[14:15]
	v_mov_b64_e32 v[22:23], s[40:41]
	s_andn2_b64 exec, exec, s[14:15]
	s_cbranch_execz .LBB1330_112
.LBB1330_110:                           ; =>This Inner Loop Header: Depth=1
	s_or_b64 s[38:39], s[38:39], exec
	s_cmp_eq_u64 s[12:13], s[40:41]
	s_cbranch_scc0 .LBB1330_108
; %bb.111:                              ;   in Loop: Header=BB1330_110 Depth=1
                                        ; implicit-def: $vgpr18_vgpr19
                                        ; implicit-def: $vgpr20_vgpr21
	s_mov_b64 s[40:41], s[26:27]
	s_branch .LBB1330_109
.LBB1330_112:
	s_or_b64 exec, exec, s[14:15]
	v_cmp_gt_i64_e32 vcc, s[26:27], v[22:23]
	s_orn2_b64 s[12:13], vcc, exec
.LBB1330_113:
	s_or_b64 exec, exec, s[8:9]
.LBB1330_114:
	s_and_b64 s[8:9], s[12:13], exec
.LBB1330_115:
	s_or_b64 exec, exec, s[10:11]
	v_cmp_gt_u32_e32 vcc, s52, v28
	s_mov_b64 s[12:13], 0
	s_mov_b64 s[10:11], 0
	s_and_saveexec_b64 s[14:15], vcc
	s_cbranch_execz .LBB1330_126
; %bb.116:
	s_and_b64 vcc, exec, s[4:5]
	s_mov_b64 s[38:39], 0
	s_cbranch_vccnz .LBB1330_125
; %bb.117:
	v_mul_lo_u32 v20, v9, s26
	v_mul_lo_u32 v21, v8, s27
	v_mad_u64_u32 v[18:19], s[10:11], v8, s26, 0
	v_add3_u32 v19, v19, v21, v20
	v_mul_lo_u32 v20, v3, s26
	v_mul_lo_u32 v21, v2, s27
	v_mad_u64_u32 v[22:23], s[10:11], v2, s26, 0
	v_add3_u32 v23, v23, v21, v20
	v_lshl_add_u64 v[20:21], v[18:19], 1, s[28:29]
	v_lshl_add_u64 v[18:19], v[22:23], 1, s[28:29]
	global_load_ushort v22, v[20:21], off
	global_load_ushort v23, v[18:19], off
	s_mov_b64 s[38:39], -1
	s_waitcnt vmcnt(0)
	v_cmp_eq_f16_e32 vcc, v22, v23
	s_and_saveexec_b64 s[10:11], vcc
	s_cbranch_execz .LBB1330_124
; %bb.118:
	s_add_u32 s38, s26, -1
	v_lshl_add_u64 v[18:19], v[18:19], 0, 2
	v_lshl_add_u64 v[20:21], v[20:21], 0, 2
	s_addc_u32 s39, s27, -1
	s_mov_b64 s[40:41], 0
	s_mov_b64 s[44:45], 0
                                        ; implicit-def: $sgpr42_sgpr43
	s_branch .LBB1330_121
.LBB1330_119:                           ;   in Loop: Header=BB1330_121 Depth=1
	global_load_ushort v22, v[20:21], off
	global_load_ushort v23, v[18:19], off
	s_add_u32 s44, s44, 1
	s_addc_u32 s45, s45, 0
	s_andn2_b64 s[42:43], s[42:43], exec
	v_lshl_add_u64 v[18:19], v[18:19], 0, 2
	v_lshl_add_u64 v[20:21], v[20:21], 0, 2
	s_waitcnt vmcnt(0)
	v_cmp_neq_f16_e32 vcc, v22, v23
	s_and_b64 s[46:47], vcc, exec
	s_or_b64 s[42:43], s[42:43], s[46:47]
.LBB1330_120:                           ;   in Loop: Header=BB1330_121 Depth=1
	s_and_b64 s[46:47], exec, s[42:43]
	s_or_b64 s[40:41], s[46:47], s[40:41]
	v_mov_b64_e32 v[22:23], s[44:45]
	s_andn2_b64 exec, exec, s[40:41]
	s_cbranch_execz .LBB1330_123
.LBB1330_121:                           ; =>This Inner Loop Header: Depth=1
	s_or_b64 s[42:43], s[42:43], exec
	s_cmp_eq_u64 s[38:39], s[44:45]
	s_cbranch_scc0 .LBB1330_119
; %bb.122:                              ;   in Loop: Header=BB1330_121 Depth=1
                                        ; implicit-def: $vgpr18_vgpr19
                                        ; implicit-def: $vgpr20_vgpr21
	s_mov_b64 s[44:45], s[26:27]
	s_branch .LBB1330_120
.LBB1330_123:
	s_or_b64 exec, exec, s[40:41]
	v_cmp_gt_i64_e32 vcc, s[26:27], v[22:23]
	s_orn2_b64 s[38:39], vcc, exec
.LBB1330_124:
	s_or_b64 exec, exec, s[10:11]
.LBB1330_125:
	s_and_b64 s[10:11], s[38:39], exec
.LBB1330_126:
	s_or_b64 exec, exec, s[14:15]
	v_cmp_gt_u32_e32 vcc, s52, v30
	s_and_saveexec_b64 s[14:15], vcc
	s_cbranch_execz .LBB1330_137
; %bb.127:
	s_and_b64 vcc, exec, s[4:5]
	s_mov_b64 s[38:39], 0
	s_cbranch_vccnz .LBB1330_136
; %bb.128:
	v_mul_lo_u32 v20, v7, s26
	v_mul_lo_u32 v21, v6, s27
	v_mad_u64_u32 v[18:19], s[12:13], v6, s26, 0
	v_add3_u32 v19, v19, v21, v20
	v_mul_lo_u32 v20, v9, s26
	v_mul_lo_u32 v21, v8, s27
	v_mad_u64_u32 v[22:23], s[12:13], v8, s26, 0
	v_add3_u32 v23, v23, v21, v20
	v_lshl_add_u64 v[20:21], v[18:19], 1, s[28:29]
	v_lshl_add_u64 v[18:19], v[22:23], 1, s[28:29]
	global_load_ushort v22, v[20:21], off
	global_load_ushort v23, v[18:19], off
	s_mov_b64 s[38:39], -1
	s_waitcnt vmcnt(0)
	v_cmp_eq_f16_e32 vcc, v22, v23
	s_and_saveexec_b64 s[12:13], vcc
	s_cbranch_execz .LBB1330_135
; %bb.129:
	s_add_u32 s38, s26, -1
	v_lshl_add_u64 v[18:19], v[18:19], 0, 2
	v_lshl_add_u64 v[20:21], v[20:21], 0, 2
	s_addc_u32 s39, s27, -1
	s_mov_b64 s[40:41], 0
	s_mov_b64 s[44:45], 0
                                        ; implicit-def: $sgpr42_sgpr43
	s_branch .LBB1330_132
.LBB1330_130:                           ;   in Loop: Header=BB1330_132 Depth=1
	global_load_ushort v22, v[20:21], off
	global_load_ushort v23, v[18:19], off
	s_add_u32 s44, s44, 1
	s_addc_u32 s45, s45, 0
	s_andn2_b64 s[42:43], s[42:43], exec
	v_lshl_add_u64 v[18:19], v[18:19], 0, 2
	v_lshl_add_u64 v[20:21], v[20:21], 0, 2
	s_waitcnt vmcnt(0)
	v_cmp_neq_f16_e32 vcc, v22, v23
	s_and_b64 s[46:47], vcc, exec
	s_or_b64 s[42:43], s[42:43], s[46:47]
.LBB1330_131:                           ;   in Loop: Header=BB1330_132 Depth=1
	s_and_b64 s[46:47], exec, s[42:43]
	s_or_b64 s[40:41], s[46:47], s[40:41]
	v_mov_b64_e32 v[22:23], s[44:45]
	s_andn2_b64 exec, exec, s[40:41]
	s_cbranch_execz .LBB1330_134
.LBB1330_132:                           ; =>This Inner Loop Header: Depth=1
	s_or_b64 s[42:43], s[42:43], exec
	s_cmp_eq_u64 s[38:39], s[44:45]
	s_cbranch_scc0 .LBB1330_130
; %bb.133:                              ;   in Loop: Header=BB1330_132 Depth=1
                                        ; implicit-def: $vgpr18_vgpr19
                                        ; implicit-def: $vgpr20_vgpr21
	s_mov_b64 s[44:45], s[26:27]
	s_branch .LBB1330_131
.LBB1330_134:
	s_or_b64 exec, exec, s[40:41]
	v_cmp_gt_i64_e32 vcc, s[26:27], v[22:23]
	s_orn2_b64 s[38:39], vcc, exec
.LBB1330_135:
	s_or_b64 exec, exec, s[12:13]
.LBB1330_136:
	s_and_b64 s[12:13], s[38:39], exec
.LBB1330_137:
	s_or_b64 exec, exec, s[14:15]
	v_cmp_gt_u32_e32 vcc, s52, v26
	s_mov_b64 s[14:15], 0
	s_mov_b64 s[38:39], 0
	s_and_saveexec_b64 s[40:41], vcc
	s_cbranch_execz .LBB1330_148
; %bb.138:
	s_and_b64 vcc, exec, s[4:5]
	s_mov_b64 s[42:43], 0
	s_cbranch_vccnz .LBB1330_147
; %bb.139:
	v_mul_lo_u32 v20, v13, s26
	v_mul_lo_u32 v21, v12, s27
	v_mad_u64_u32 v[18:19], s[38:39], v12, s26, 0
	v_add3_u32 v19, v19, v21, v20
	v_mul_lo_u32 v20, v7, s26
	v_mul_lo_u32 v21, v6, s27
	v_mad_u64_u32 v[22:23], s[38:39], v6, s26, 0
	v_add3_u32 v23, v23, v21, v20
	v_lshl_add_u64 v[20:21], v[18:19], 1, s[28:29]
	v_lshl_add_u64 v[18:19], v[22:23], 1, s[28:29]
	global_load_ushort v22, v[20:21], off
	global_load_ushort v23, v[18:19], off
	s_mov_b64 s[42:43], -1
	s_waitcnt vmcnt(0)
	v_cmp_eq_f16_e32 vcc, v22, v23
	s_and_saveexec_b64 s[38:39], vcc
	s_cbranch_execz .LBB1330_146
; %bb.140:
	s_add_u32 s42, s26, -1
	v_lshl_add_u64 v[18:19], v[18:19], 0, 2
	v_lshl_add_u64 v[20:21], v[20:21], 0, 2
	s_addc_u32 s43, s27, -1
	s_mov_b64 s[44:45], 0
	s_mov_b64 s[48:49], 0
                                        ; implicit-def: $sgpr46_sgpr47
	s_branch .LBB1330_143
.LBB1330_141:                           ;   in Loop: Header=BB1330_143 Depth=1
	global_load_ushort v22, v[20:21], off
	global_load_ushort v23, v[18:19], off
	s_add_u32 s48, s48, 1
	s_addc_u32 s49, s49, 0
	s_andn2_b64 s[46:47], s[46:47], exec
	v_lshl_add_u64 v[18:19], v[18:19], 0, 2
	v_lshl_add_u64 v[20:21], v[20:21], 0, 2
	s_waitcnt vmcnt(0)
	v_cmp_neq_f16_e32 vcc, v22, v23
	s_and_b64 s[50:51], vcc, exec
	s_or_b64 s[46:47], s[46:47], s[50:51]
.LBB1330_142:                           ;   in Loop: Header=BB1330_143 Depth=1
	s_and_b64 s[50:51], exec, s[46:47]
	s_or_b64 s[44:45], s[50:51], s[44:45]
	v_mov_b64_e32 v[22:23], s[48:49]
	s_andn2_b64 exec, exec, s[44:45]
	s_cbranch_execz .LBB1330_145
.LBB1330_143:                           ; =>This Inner Loop Header: Depth=1
	s_or_b64 s[46:47], s[46:47], exec
	s_cmp_eq_u64 s[42:43], s[48:49]
	s_cbranch_scc0 .LBB1330_141
; %bb.144:                              ;   in Loop: Header=BB1330_143 Depth=1
                                        ; implicit-def: $vgpr18_vgpr19
                                        ; implicit-def: $vgpr20_vgpr21
	s_mov_b64 s[48:49], s[26:27]
	s_branch .LBB1330_142
.LBB1330_145:
	s_or_b64 exec, exec, s[44:45]
	v_cmp_gt_i64_e32 vcc, s[26:27], v[22:23]
	s_orn2_b64 s[42:43], vcc, exec
.LBB1330_146:
	s_or_b64 exec, exec, s[38:39]
.LBB1330_147:
	s_and_b64 s[38:39], s[42:43], exec
.LBB1330_148:
	s_or_b64 exec, exec, s[40:41]
	v_cmp_gt_u32_e32 vcc, s52, v27
	s_and_saveexec_b64 s[40:41], vcc
	s_cbranch_execz .LBB1330_159
; %bb.149:
	s_and_b64 vcc, exec, s[4:5]
	s_mov_b64 s[42:43], 0
	s_cbranch_vccnz .LBB1330_158
; %bb.150:
	v_mul_lo_u32 v20, v11, s26
	v_mul_lo_u32 v21, v10, s27
	v_mad_u64_u32 v[18:19], s[14:15], v10, s26, 0
	v_add3_u32 v19, v19, v21, v20
	v_mul_lo_u32 v20, v13, s26
	v_mul_lo_u32 v21, v12, s27
	v_mad_u64_u32 v[22:23], s[14:15], v12, s26, 0
	v_add3_u32 v23, v23, v21, v20
	v_lshl_add_u64 v[20:21], v[18:19], 1, s[28:29]
	v_lshl_add_u64 v[18:19], v[22:23], 1, s[28:29]
	global_load_ushort v22, v[20:21], off
	global_load_ushort v23, v[18:19], off
	s_mov_b64 s[42:43], -1
	s_waitcnt vmcnt(0)
	v_cmp_eq_f16_e32 vcc, v22, v23
	s_and_saveexec_b64 s[14:15], vcc
	s_cbranch_execz .LBB1330_157
; %bb.151:
	s_add_u32 s42, s26, -1
	v_lshl_add_u64 v[18:19], v[18:19], 0, 2
	v_lshl_add_u64 v[20:21], v[20:21], 0, 2
	s_addc_u32 s43, s27, -1
	s_mov_b64 s[44:45], 0
	s_mov_b64 s[48:49], 0
                                        ; implicit-def: $sgpr46_sgpr47
	s_branch .LBB1330_154
.LBB1330_152:                           ;   in Loop: Header=BB1330_154 Depth=1
	global_load_ushort v22, v[20:21], off
	global_load_ushort v23, v[18:19], off
	s_add_u32 s48, s48, 1
	s_addc_u32 s49, s49, 0
	s_andn2_b64 s[46:47], s[46:47], exec
	v_lshl_add_u64 v[18:19], v[18:19], 0, 2
	v_lshl_add_u64 v[20:21], v[20:21], 0, 2
	s_waitcnt vmcnt(0)
	v_cmp_neq_f16_e32 vcc, v22, v23
	s_and_b64 s[50:51], vcc, exec
	s_or_b64 s[46:47], s[46:47], s[50:51]
.LBB1330_153:                           ;   in Loop: Header=BB1330_154 Depth=1
	s_and_b64 s[50:51], exec, s[46:47]
	s_or_b64 s[44:45], s[50:51], s[44:45]
	v_mov_b64_e32 v[22:23], s[48:49]
	s_andn2_b64 exec, exec, s[44:45]
	s_cbranch_execz .LBB1330_156
.LBB1330_154:                           ; =>This Inner Loop Header: Depth=1
	s_or_b64 s[46:47], s[46:47], exec
	s_cmp_eq_u64 s[42:43], s[48:49]
	s_cbranch_scc0 .LBB1330_152
; %bb.155:                              ;   in Loop: Header=BB1330_154 Depth=1
                                        ; implicit-def: $vgpr18_vgpr19
                                        ; implicit-def: $vgpr20_vgpr21
	s_mov_b64 s[48:49], s[26:27]
	s_branch .LBB1330_153
.LBB1330_156:
	s_or_b64 exec, exec, s[44:45]
	v_cmp_gt_i64_e32 vcc, s[26:27], v[22:23]
	s_orn2_b64 s[42:43], vcc, exec
.LBB1330_157:
	s_or_b64 exec, exec, s[14:15]
.LBB1330_158:
	s_and_b64 s[14:15], s[42:43], exec
.LBB1330_159:
	s_or_b64 exec, exec, s[40:41]
	s_waitcnt lgkmcnt(0)
	s_barrier
	s_and_saveexec_b64 s[40:41], s[2:3]
	s_cbranch_execz .LBB1330_161
; %bb.160:
	s_waitcnt vmcnt(0)
	v_add_u32_e32 v16, -8, v33
	ds_read_b64 v[16:17], v16
.LBB1330_161:
	s_or_b64 exec, exec, s[40:41]
	v_cndmask_b32_e64 v19, 0, 1, s[12:13]
	v_cndmask_b32_e64 v18, 0, 1, s[38:39]
	;; [unrolled: 1-line block ×3, first 2 shown]
	v_lshlrev_b16_e32 v19, 8, v19
	v_cmp_gt_u32_e32 vcc, s52, v1
	v_lshlrev_b16_e32 v22, 8, v20
	v_or_b32_sdwa v23, v18, v19 dst_sel:WORD_1 dst_unused:UNUSED_PAD src0_sel:DWORD src1_sel:DWORD
	s_mov_b64 s[12:13], 0
	s_and_saveexec_b64 s[14:15], vcc
	s_cbranch_execz .LBB1330_172
; %bb.162:
	s_and_b64 vcc, exec, s[4:5]
	s_cbranch_vccnz .LBB1330_171
; %bb.163:
	s_waitcnt vmcnt(0) lgkmcnt(0)
	v_mul_lo_u32 v18, v17, s26
	v_mul_lo_u32 v19, v16, s27
	v_mad_u64_u32 v[16:17], s[4:5], v16, s26, 0
	v_add3_u32 v17, v17, v19, v18
	v_mul_lo_u32 v18, v11, s26
	v_mul_lo_u32 v19, v10, s27
	v_mad_u64_u32 v[20:21], s[4:5], v10, s26, 0
	v_add3_u32 v21, v21, v19, v18
	v_lshl_add_u64 v[18:19], v[16:17], 1, s[28:29]
	v_lshl_add_u64 v[16:17], v[20:21], 1, s[28:29]
	global_load_ushort v20, v[18:19], off
	global_load_ushort v21, v[16:17], off
	s_mov_b64 s[12:13], -1
	s_waitcnt vmcnt(0)
	v_cmp_eq_f16_e32 vcc, v20, v21
	s_and_saveexec_b64 s[4:5], vcc
	s_cbranch_execz .LBB1330_170
; %bb.164:
	s_add_u32 s12, s26, -1
	v_lshl_add_u64 v[16:17], v[16:17], 0, 2
	v_lshl_add_u64 v[18:19], v[18:19], 0, 2
	s_addc_u32 s13, s27, -1
	s_mov_b64 s[38:39], 0
	s_mov_b64 s[42:43], 0
                                        ; implicit-def: $sgpr40_sgpr41
	s_branch .LBB1330_167
.LBB1330_165:                           ;   in Loop: Header=BB1330_167 Depth=1
	global_load_ushort v20, v[18:19], off
	global_load_ushort v21, v[16:17], off
	s_add_u32 s42, s42, 1
	s_addc_u32 s43, s43, 0
	s_andn2_b64 s[40:41], s[40:41], exec
	v_lshl_add_u64 v[16:17], v[16:17], 0, 2
	v_lshl_add_u64 v[18:19], v[18:19], 0, 2
	s_waitcnt vmcnt(0)
	v_cmp_neq_f16_e32 vcc, v20, v21
	s_and_b64 s[44:45], vcc, exec
	s_or_b64 s[40:41], s[40:41], s[44:45]
.LBB1330_166:                           ;   in Loop: Header=BB1330_167 Depth=1
	s_and_b64 s[44:45], exec, s[40:41]
	s_or_b64 s[38:39], s[44:45], s[38:39]
	v_mov_b64_e32 v[20:21], s[42:43]
	s_andn2_b64 exec, exec, s[38:39]
	s_cbranch_execz .LBB1330_169
.LBB1330_167:                           ; =>This Inner Loop Header: Depth=1
	s_or_b64 s[40:41], s[40:41], exec
	s_cmp_eq_u64 s[12:13], s[42:43]
	s_cbranch_scc0 .LBB1330_165
; %bb.168:                              ;   in Loop: Header=BB1330_167 Depth=1
                                        ; implicit-def: $vgpr16_vgpr17
                                        ; implicit-def: $vgpr18_vgpr19
	s_mov_b64 s[42:43], s[26:27]
	s_branch .LBB1330_166
.LBB1330_169:
	s_or_b64 exec, exec, s[38:39]
	v_cmp_gt_i64_e32 vcc, s[26:27], v[20:21]
	s_orn2_b64 s[12:13], vcc, exec
.LBB1330_170:
	s_or_b64 exec, exec, s[4:5]
.LBB1330_171:
	s_and_b64 s[12:13], s[12:13], exec
.LBB1330_172:
	s_or_b64 exec, exec, s[14:15]
	v_cndmask_b32_e64 v25, 0, 1, s[10:11]
	v_cndmask_b32_e64 v34, 0, 1, s[8:9]
	;; [unrolled: 1-line block ×3, first 2 shown]
	v_or_b32_e32 v20, v22, v23
.LBB1330_173:
	s_mov_b64 s[8:9], -1
	s_cbranch_execnz .LBB1330_32
.LBB1330_174:
	s_movk_i32 s4, 0xffd0
	v_mad_i32_i24 v24, v0, s4, v32
	s_mov_b64 s[10:11], 0
	v_cmp_gt_i64_e64 s[6:7], s[26:27], 0
	s_and_b64 vcc, exec, s[36:37]
	ds_write_b64 v24, v[14:15]
	s_cbranch_vccz .LBB1330_182
; %bb.175:
	v_mul_lo_u32 v18, v5, s26
	v_mul_lo_u32 v19, v4, s27
	s_waitcnt vmcnt(0) lgkmcnt(1)
	v_mad_u64_u32 v[16:17], s[4:5], v4, s26, 0
	v_add3_u32 v17, v17, v19, v18
	v_cndmask_b32_e64 v18, 0, 1, s[6:7]
	v_cmp_ne_u32_e64 s[4:5], 1, v18
	s_andn2_b64 vcc, exec, s[6:7]
	v_lshl_add_u64 v[16:17], v[16:17], 1, s[28:29]
	s_cbranch_vccnz .LBB1330_185
; %bb.176:
	v_mul_lo_u32 v20, v15, s26
	v_mul_lo_u32 v21, v14, s27
	v_mad_u64_u32 v[18:19], s[10:11], v14, s26, 0
	v_add3_u32 v19, v19, v21, v20
	v_lshl_add_u64 v[18:19], v[18:19], 1, s[28:29]
	global_load_ushort v20, v[16:17], off
	global_load_ushort v21, v[18:19], off
	s_mov_b64 s[10:11], -1
	s_waitcnt vmcnt(0)
	v_cmp_eq_f16_e32 vcc, v20, v21
	s_and_saveexec_b64 s[12:13], vcc
	s_cbranch_execz .LBB1330_184
; %bb.177:
	s_add_u32 s10, s26, -1
	v_lshl_add_u64 v[18:19], v[18:19], 0, 2
	v_lshl_add_u64 v[20:21], v[16:17], 0, 2
	s_addc_u32 s11, s27, -1
	s_mov_b64 s[14:15], 0
	s_mov_b64 s[40:41], 0
                                        ; implicit-def: $sgpr38_sgpr39
	s_branch .LBB1330_180
.LBB1330_178:                           ;   in Loop: Header=BB1330_180 Depth=1
	global_load_ushort v22, v[20:21], off
	global_load_ushort v23, v[18:19], off
	s_add_u32 s40, s40, 1
	s_addc_u32 s41, s41, 0
	s_andn2_b64 s[38:39], s[38:39], exec
	v_lshl_add_u64 v[18:19], v[18:19], 0, 2
	v_lshl_add_u64 v[20:21], v[20:21], 0, 2
	s_waitcnt vmcnt(0)
	v_cmp_neq_f16_e32 vcc, v22, v23
	s_and_b64 s[42:43], vcc, exec
	s_or_b64 s[38:39], s[38:39], s[42:43]
.LBB1330_179:                           ;   in Loop: Header=BB1330_180 Depth=1
	s_and_b64 s[42:43], exec, s[38:39]
	s_or_b64 s[14:15], s[42:43], s[14:15]
	v_mov_b64_e32 v[22:23], s[40:41]
	s_andn2_b64 exec, exec, s[14:15]
	s_cbranch_execz .LBB1330_183
.LBB1330_180:                           ; =>This Inner Loop Header: Depth=1
	s_or_b64 s[38:39], s[38:39], exec
	s_cmp_eq_u64 s[10:11], s[40:41]
	s_cbranch_scc0 .LBB1330_178
; %bb.181:                              ;   in Loop: Header=BB1330_180 Depth=1
                                        ; implicit-def: $vgpr18_vgpr19
                                        ; implicit-def: $vgpr20_vgpr21
	s_mov_b64 s[40:41], s[26:27]
	s_branch .LBB1330_179
.LBB1330_182:
                                        ; implicit-def: $sgpr12_sgpr13
                                        ; implicit-def: $vgpr35
                                        ; implicit-def: $vgpr34
                                        ; implicit-def: $vgpr25
                                        ; implicit-def: $vgpr20
                                        ; implicit-def: $vgpr16_vgpr17
	s_cbranch_execnz .LBB1330_242
	s_branch .LBB1330_322
.LBB1330_183:
	s_or_b64 exec, exec, s[14:15]
	v_cmp_gt_i64_e32 vcc, s[26:27], v[22:23]
	s_orn2_b64 s[10:11], vcc, exec
.LBB1330_184:
	s_or_b64 exec, exec, s[12:13]
.LBB1330_185:
	v_mul_lo_u32 v20, v3, s26
	v_mul_lo_u32 v21, v2, s27
	v_mad_u64_u32 v[18:19], s[12:13], v2, s26, 0
	v_add3_u32 v19, v19, v21, v20
	s_mov_b64 s[12:13], 0
	s_and_b64 vcc, exec, s[4:5]
	v_lshl_add_u64 v[18:19], v[18:19], 1, s[28:29]
	s_mov_b64 s[14:15], 0
	s_cbranch_vccnz .LBB1330_194
; %bb.186:
	global_load_ushort v20, v[18:19], off
	global_load_ushort v21, v[16:17], off
	s_mov_b64 s[14:15], -1
	s_waitcnt vmcnt(0)
	v_cmp_eq_f16_e32 vcc, v20, v21
	s_and_saveexec_b64 s[38:39], vcc
	s_cbranch_execz .LBB1330_193
; %bb.187:
	s_add_u32 s14, s26, -1
	v_lshl_add_u64 v[16:17], v[16:17], 0, 2
	v_lshl_add_u64 v[20:21], v[18:19], 0, 2
	s_addc_u32 s15, s27, -1
	s_mov_b64 s[40:41], 0
	s_mov_b64 s[44:45], 0
                                        ; implicit-def: $sgpr42_sgpr43
	s_branch .LBB1330_190
.LBB1330_188:                           ;   in Loop: Header=BB1330_190 Depth=1
	global_load_ushort v22, v[20:21], off
	global_load_ushort v23, v[16:17], off
	s_add_u32 s44, s44, 1
	s_addc_u32 s45, s45, 0
	s_andn2_b64 s[42:43], s[42:43], exec
	v_lshl_add_u64 v[16:17], v[16:17], 0, 2
	v_lshl_add_u64 v[20:21], v[20:21], 0, 2
	s_waitcnt vmcnt(0)
	v_cmp_neq_f16_e32 vcc, v22, v23
	s_and_b64 s[46:47], vcc, exec
	s_or_b64 s[42:43], s[42:43], s[46:47]
.LBB1330_189:                           ;   in Loop: Header=BB1330_190 Depth=1
	s_and_b64 s[46:47], exec, s[42:43]
	s_or_b64 s[40:41], s[46:47], s[40:41]
	v_mov_b64_e32 v[22:23], s[44:45]
	s_andn2_b64 exec, exec, s[40:41]
	s_cbranch_execz .LBB1330_192
.LBB1330_190:                           ; =>This Inner Loop Header: Depth=1
	s_or_b64 s[42:43], s[42:43], exec
	s_cmp_eq_u64 s[14:15], s[44:45]
	s_cbranch_scc0 .LBB1330_188
; %bb.191:                              ;   in Loop: Header=BB1330_190 Depth=1
                                        ; implicit-def: $vgpr16_vgpr17
                                        ; implicit-def: $vgpr20_vgpr21
	s_mov_b64 s[44:45], s[26:27]
	s_branch .LBB1330_189
.LBB1330_192:
	s_or_b64 exec, exec, s[40:41]
	v_cmp_gt_i64_e32 vcc, s[26:27], v[22:23]
	s_orn2_b64 s[14:15], vcc, exec
.LBB1330_193:
	s_or_b64 exec, exec, s[38:39]
.LBB1330_194:
	v_mul_lo_u32 v20, v9, s26
	v_mul_lo_u32 v21, v8, s27
	v_mad_u64_u32 v[16:17], s[38:39], v8, s26, 0
	v_add3_u32 v17, v17, v21, v20
	s_and_b64 vcc, exec, s[4:5]
	v_lshl_add_u64 v[16:17], v[16:17], 1, s[28:29]
	s_cbranch_vccnz .LBB1330_203
; %bb.195:
	global_load_ushort v20, v[16:17], off
	global_load_ushort v21, v[18:19], off
	s_mov_b64 s[12:13], -1
	s_waitcnt vmcnt(0)
	v_cmp_eq_f16_e32 vcc, v20, v21
	s_and_saveexec_b64 s[38:39], vcc
	s_cbranch_execz .LBB1330_202
; %bb.196:
	s_add_u32 s12, s26, -1
	v_lshl_add_u64 v[18:19], v[18:19], 0, 2
	v_lshl_add_u64 v[20:21], v[16:17], 0, 2
	s_addc_u32 s13, s27, -1
	s_mov_b64 s[40:41], 0
	s_mov_b64 s[44:45], 0
                                        ; implicit-def: $sgpr42_sgpr43
	s_branch .LBB1330_199
.LBB1330_197:                           ;   in Loop: Header=BB1330_199 Depth=1
	global_load_ushort v22, v[20:21], off
	global_load_ushort v23, v[18:19], off
	s_add_u32 s44, s44, 1
	s_addc_u32 s45, s45, 0
	s_andn2_b64 s[42:43], s[42:43], exec
	v_lshl_add_u64 v[18:19], v[18:19], 0, 2
	v_lshl_add_u64 v[20:21], v[20:21], 0, 2
	s_waitcnt vmcnt(0)
	v_cmp_neq_f16_e32 vcc, v22, v23
	s_and_b64 s[46:47], vcc, exec
	s_or_b64 s[42:43], s[42:43], s[46:47]
.LBB1330_198:                           ;   in Loop: Header=BB1330_199 Depth=1
	s_and_b64 s[46:47], exec, s[42:43]
	s_or_b64 s[40:41], s[46:47], s[40:41]
	v_mov_b64_e32 v[22:23], s[44:45]
	s_andn2_b64 exec, exec, s[40:41]
	s_cbranch_execz .LBB1330_201
.LBB1330_199:                           ; =>This Inner Loop Header: Depth=1
	s_or_b64 s[42:43], s[42:43], exec
	s_cmp_eq_u64 s[12:13], s[44:45]
	s_cbranch_scc0 .LBB1330_197
; %bb.200:                              ;   in Loop: Header=BB1330_199 Depth=1
                                        ; implicit-def: $vgpr18_vgpr19
                                        ; implicit-def: $vgpr20_vgpr21
	s_mov_b64 s[44:45], s[26:27]
	s_branch .LBB1330_198
.LBB1330_201:
	s_or_b64 exec, exec, s[40:41]
	v_cmp_gt_i64_e32 vcc, s[26:27], v[22:23]
	s_orn2_b64 s[12:13], vcc, exec
.LBB1330_202:
	s_or_b64 exec, exec, s[38:39]
.LBB1330_203:
	v_mul_lo_u32 v20, v7, s26
	v_mul_lo_u32 v21, v6, s27
	v_mad_u64_u32 v[18:19], s[38:39], v6, s26, 0
	v_add3_u32 v19, v19, v21, v20
	s_mov_b64 s[38:39], 0
	s_and_b64 vcc, exec, s[4:5]
	v_lshl_add_u64 v[18:19], v[18:19], 1, s[28:29]
	s_mov_b64 s[40:41], 0
	s_cbranch_vccnz .LBB1330_212
; %bb.204:
	global_load_ushort v20, v[18:19], off
	global_load_ushort v21, v[16:17], off
	s_mov_b64 s[40:41], -1
	s_waitcnt vmcnt(0)
	v_cmp_eq_f16_e32 vcc, v20, v21
	s_and_saveexec_b64 s[42:43], vcc
	s_cbranch_execz .LBB1330_211
; %bb.205:
	s_add_u32 s40, s26, -1
	v_lshl_add_u64 v[16:17], v[16:17], 0, 2
	v_lshl_add_u64 v[20:21], v[18:19], 0, 2
	s_addc_u32 s41, s27, -1
	s_mov_b64 s[44:45], 0
	s_mov_b64 s[48:49], 0
                                        ; implicit-def: $sgpr46_sgpr47
	s_branch .LBB1330_208
.LBB1330_206:                           ;   in Loop: Header=BB1330_208 Depth=1
	global_load_ushort v22, v[20:21], off
	global_load_ushort v23, v[16:17], off
	s_add_u32 s48, s48, 1
	s_addc_u32 s49, s49, 0
	s_andn2_b64 s[46:47], s[46:47], exec
	v_lshl_add_u64 v[16:17], v[16:17], 0, 2
	v_lshl_add_u64 v[20:21], v[20:21], 0, 2
	s_waitcnt vmcnt(0)
	v_cmp_neq_f16_e32 vcc, v22, v23
	s_and_b64 s[50:51], vcc, exec
	s_or_b64 s[46:47], s[46:47], s[50:51]
.LBB1330_207:                           ;   in Loop: Header=BB1330_208 Depth=1
	s_and_b64 s[50:51], exec, s[46:47]
	s_or_b64 s[44:45], s[50:51], s[44:45]
	v_mov_b64_e32 v[22:23], s[48:49]
	s_andn2_b64 exec, exec, s[44:45]
	s_cbranch_execz .LBB1330_210
.LBB1330_208:                           ; =>This Inner Loop Header: Depth=1
	s_or_b64 s[46:47], s[46:47], exec
	s_cmp_eq_u64 s[40:41], s[48:49]
	s_cbranch_scc0 .LBB1330_206
; %bb.209:                              ;   in Loop: Header=BB1330_208 Depth=1
                                        ; implicit-def: $vgpr16_vgpr17
                                        ; implicit-def: $vgpr20_vgpr21
	s_mov_b64 s[48:49], s[26:27]
	s_branch .LBB1330_207
.LBB1330_210:
	s_or_b64 exec, exec, s[44:45]
	v_cmp_gt_i64_e32 vcc, s[26:27], v[22:23]
	s_orn2_b64 s[40:41], vcc, exec
.LBB1330_211:
	s_or_b64 exec, exec, s[42:43]
.LBB1330_212:
	v_mul_lo_u32 v20, v13, s26
	v_mul_lo_u32 v21, v12, s27
	v_mad_u64_u32 v[16:17], s[42:43], v12, s26, 0
	v_add3_u32 v17, v17, v21, v20
	s_and_b64 vcc, exec, s[4:5]
	v_lshl_add_u64 v[16:17], v[16:17], 1, s[28:29]
	s_cbranch_vccnz .LBB1330_221
; %bb.213:
	global_load_ushort v20, v[16:17], off
	global_load_ushort v21, v[18:19], off
	s_mov_b64 s[38:39], -1
	s_waitcnt vmcnt(0)
	v_cmp_eq_f16_e32 vcc, v20, v21
	s_and_saveexec_b64 s[42:43], vcc
	s_cbranch_execz .LBB1330_220
; %bb.214:
	s_add_u32 s38, s26, -1
	v_lshl_add_u64 v[18:19], v[18:19], 0, 2
	v_lshl_add_u64 v[20:21], v[16:17], 0, 2
	s_addc_u32 s39, s27, -1
	s_mov_b64 s[44:45], 0
	s_mov_b64 s[48:49], 0
                                        ; implicit-def: $sgpr46_sgpr47
	s_branch .LBB1330_217
.LBB1330_215:                           ;   in Loop: Header=BB1330_217 Depth=1
	global_load_ushort v22, v[20:21], off
	global_load_ushort v23, v[18:19], off
	s_add_u32 s48, s48, 1
	s_addc_u32 s49, s49, 0
	s_andn2_b64 s[46:47], s[46:47], exec
	v_lshl_add_u64 v[18:19], v[18:19], 0, 2
	v_lshl_add_u64 v[20:21], v[20:21], 0, 2
	s_waitcnt vmcnt(0)
	v_cmp_neq_f16_e32 vcc, v22, v23
	s_and_b64 s[50:51], vcc, exec
	s_or_b64 s[46:47], s[46:47], s[50:51]
.LBB1330_216:                           ;   in Loop: Header=BB1330_217 Depth=1
	s_and_b64 s[50:51], exec, s[46:47]
	s_or_b64 s[44:45], s[50:51], s[44:45]
	v_mov_b64_e32 v[22:23], s[48:49]
	s_andn2_b64 exec, exec, s[44:45]
	s_cbranch_execz .LBB1330_219
.LBB1330_217:                           ; =>This Inner Loop Header: Depth=1
	s_or_b64 s[46:47], s[46:47], exec
	s_cmp_eq_u64 s[38:39], s[48:49]
	s_cbranch_scc0 .LBB1330_215
; %bb.218:                              ;   in Loop: Header=BB1330_217 Depth=1
                                        ; implicit-def: $vgpr18_vgpr19
                                        ; implicit-def: $vgpr20_vgpr21
	s_mov_b64 s[48:49], s[26:27]
	s_branch .LBB1330_216
.LBB1330_219:
	s_or_b64 exec, exec, s[44:45]
	v_cmp_gt_i64_e32 vcc, s[26:27], v[22:23]
	s_orn2_b64 s[38:39], vcc, exec
.LBB1330_220:
	s_or_b64 exec, exec, s[42:43]
.LBB1330_221:
	v_mul_lo_u32 v20, v11, s26
	v_mul_lo_u32 v21, v10, s27
	v_mad_u64_u32 v[18:19], s[42:43], v10, s26, 0
	v_add3_u32 v19, v19, v21, v20
	s_and_b64 vcc, exec, s[4:5]
	s_mov_b64 s[44:45], 0
	s_cbranch_vccnz .LBB1330_230
; %bb.222:
	v_lshl_add_u64 v[20:21], v[18:19], 1, s[28:29]
	global_load_ushort v22, v[20:21], off
	global_load_ushort v23, v[16:17], off
	s_mov_b64 s[44:45], -1
	s_waitcnt vmcnt(0)
	v_cmp_eq_f16_e32 vcc, v22, v23
	s_and_saveexec_b64 s[42:43], vcc
	s_cbranch_execz .LBB1330_229
; %bb.223:
	s_add_u32 s44, s26, -1
	v_lshl_add_u64 v[16:17], v[16:17], 0, 2
	v_lshl_add_u64 v[20:21], v[20:21], 0, 2
	s_addc_u32 s45, s27, -1
	s_mov_b64 s[46:47], 0
	s_mov_b64 s[50:51], 0
                                        ; implicit-def: $sgpr48_sgpr49
	s_branch .LBB1330_226
.LBB1330_224:                           ;   in Loop: Header=BB1330_226 Depth=1
	global_load_ushort v22, v[20:21], off
	global_load_ushort v23, v[16:17], off
	s_add_u32 s50, s50, 1
	s_addc_u32 s51, s51, 0
	s_andn2_b64 s[48:49], s[48:49], exec
	v_lshl_add_u64 v[16:17], v[16:17], 0, 2
	v_lshl_add_u64 v[20:21], v[20:21], 0, 2
	s_waitcnt vmcnt(0)
	v_cmp_neq_f16_e32 vcc, v22, v23
	s_and_b64 s[54:55], vcc, exec
	s_or_b64 s[48:49], s[48:49], s[54:55]
.LBB1330_225:                           ;   in Loop: Header=BB1330_226 Depth=1
	s_and_b64 s[54:55], exec, s[48:49]
	s_or_b64 s[46:47], s[54:55], s[46:47]
	v_mov_b64_e32 v[22:23], s[50:51]
	s_andn2_b64 exec, exec, s[46:47]
	s_cbranch_execz .LBB1330_228
.LBB1330_226:                           ; =>This Inner Loop Header: Depth=1
	s_or_b64 s[48:49], s[48:49], exec
	s_cmp_eq_u64 s[44:45], s[50:51]
	s_cbranch_scc0 .LBB1330_224
; %bb.227:                              ;   in Loop: Header=BB1330_226 Depth=1
                                        ; implicit-def: $vgpr16_vgpr17
                                        ; implicit-def: $vgpr20_vgpr21
	s_mov_b64 s[50:51], s[26:27]
	s_branch .LBB1330_225
.LBB1330_228:
	s_or_b64 exec, exec, s[46:47]
	v_cmp_gt_i64_e32 vcc, s[26:27], v[22:23]
	s_orn2_b64 s[44:45], vcc, exec
.LBB1330_229:
	s_or_b64 exec, exec, s[42:43]
.LBB1330_230:
	v_cndmask_b32_e64 v17, 0, 1, s[40:41]
	v_cndmask_b32_e64 v16, 0, 1, s[38:39]
	;; [unrolled: 1-line block ×3, first 2 shown]
	v_lshlrev_b16_e32 v17, 8, v17
	v_cndmask_b32_e64 v25, 0, 1, s[12:13]
	v_cndmask_b32_e64 v20, 0, 1, s[44:45]
	v_or_b32_sdwa v16, v16, v17 dst_sel:WORD_1 dst_unused:UNUSED_PAD src0_sel:DWORD src1_sel:DWORD
	v_lshlrev_b16_e32 v17, 8, v34
	v_lshlrev_b16_e32 v20, 8, v20
	v_or_b32_e32 v17, v25, v17
	v_or_b32_e32 v20, 1, v20
	v_and_b32_e32 v17, 0xffff, v17
	v_cndmask_b32_e64 v35, 0, 1, s[10:11]
	v_or_b32_sdwa v16, v20, v16 dst_sel:DWORD dst_unused:UNUSED_PAD src0_sel:WORD_0 src1_sel:DWORD
	v_lshl_or_b32 v17, v35, 16, v17
	s_waitcnt lgkmcnt(0)
	s_barrier
	s_waitcnt lgkmcnt(0)
                                        ; implicit-def: $sgpr12_sgpr13
                                        ; implicit-def: $vgpr20
	s_and_saveexec_b64 s[10:11], s[2:3]
	s_xor_b64 s[10:11], exec, s[10:11]
	s_cbranch_execz .LBB1330_241
; %bb.231:
	s_mov_b32 s42, 0x3020104
	s_and_b64 vcc, exec, s[4:5]
	s_mov_b64 s[12:13], 0
	s_cbranch_vccnz .LBB1330_240
; %bb.232:
	v_add_u32_e32 v17, -8, v24
	ds_read_b64 v[20:21], v17
	v_lshl_add_u64 v[18:19], v[18:19], 1, s[28:29]
	s_mov_b64 s[12:13], -1
	s_waitcnt lgkmcnt(0)
	v_mul_lo_u32 v17, v21, s26
	v_mul_lo_u32 v22, v20, s27
	v_mad_u64_u32 v[20:21], s[4:5], v20, s26, 0
	v_add3_u32 v21, v21, v22, v17
	v_lshl_add_u64 v[20:21], v[20:21], 1, s[28:29]
	global_load_ushort v17, v[20:21], off
	global_load_ushort v22, v[18:19], off
	s_waitcnt vmcnt(0)
	v_cmp_eq_f16_e32 vcc, v17, v22
	s_and_saveexec_b64 s[4:5], vcc
	s_cbranch_execz .LBB1330_239
; %bb.233:
	s_add_u32 s12, s26, -1
	v_lshl_add_u64 v[18:19], v[18:19], 0, 2
	v_lshl_add_u64 v[20:21], v[20:21], 0, 2
	s_addc_u32 s13, s27, -1
	s_mov_b64 s[14:15], 0
	s_mov_b64 s[40:41], 0
                                        ; implicit-def: $sgpr38_sgpr39
	s_branch .LBB1330_236
.LBB1330_234:                           ;   in Loop: Header=BB1330_236 Depth=1
	global_load_ushort v17, v[20:21], off
	global_load_ushort v22, v[18:19], off
	s_add_u32 s40, s40, 1
	s_addc_u32 s41, s41, 0
	s_andn2_b64 s[38:39], s[38:39], exec
	v_lshl_add_u64 v[18:19], v[18:19], 0, 2
	v_lshl_add_u64 v[20:21], v[20:21], 0, 2
	s_waitcnt vmcnt(0)
	v_cmp_neq_f16_e32 vcc, v17, v22
	s_and_b64 s[44:45], vcc, exec
	s_or_b64 s[38:39], s[38:39], s[44:45]
.LBB1330_235:                           ;   in Loop: Header=BB1330_236 Depth=1
	s_and_b64 s[44:45], exec, s[38:39]
	s_or_b64 s[14:15], s[44:45], s[14:15]
	v_mov_b64_e32 v[22:23], s[40:41]
	s_andn2_b64 exec, exec, s[14:15]
	s_cbranch_execz .LBB1330_238
.LBB1330_236:                           ; =>This Inner Loop Header: Depth=1
	s_or_b64 s[38:39], s[38:39], exec
	s_cmp_eq_u64 s[12:13], s[40:41]
	s_cbranch_scc0 .LBB1330_234
; %bb.237:                              ;   in Loop: Header=BB1330_236 Depth=1
                                        ; implicit-def: $vgpr18_vgpr19
                                        ; implicit-def: $vgpr20_vgpr21
	s_mov_b64 s[40:41], s[26:27]
	s_branch .LBB1330_235
.LBB1330_238:
	s_or_b64 exec, exec, s[14:15]
	v_cmp_gt_i64_e32 vcc, s[26:27], v[22:23]
	s_orn2_b64 s[12:13], vcc, exec
.LBB1330_239:
	s_or_b64 exec, exec, s[4:5]
.LBB1330_240:
	v_perm_b32 v20, v16, v16, s42
	s_and_b64 s[12:13], s[12:13], exec
	s_or_b64 s[8:9], s[8:9], exec
                                        ; implicit-def: $vgpr16_vgpr17
.LBB1330_241:
	s_or_b64 exec, exec, s[10:11]
	s_branch .LBB1330_322
.LBB1330_242:
	v_cmp_gt_u32_e32 vcc, s52, v29
	s_mov_b64 s[10:11], 0
	s_mov_b64 s[4:5], 0
	s_and_saveexec_b64 s[12:13], vcc
	s_cbranch_execz .LBB1330_253
; %bb.243:
	s_andn2_b64 vcc, exec, s[6:7]
	s_mov_b64 s[14:15], 0
	s_cbranch_vccnz .LBB1330_252
; %bb.244:
	v_mul_lo_u32 v18, v5, s26
	v_mul_lo_u32 v19, v4, s27
	s_waitcnt vmcnt(0) lgkmcnt(1)
	v_mad_u64_u32 v[16:17], s[4:5], v4, s26, 0
	v_add3_u32 v17, v17, v19, v18
	v_mul_lo_u32 v18, v15, s26
	v_mul_lo_u32 v19, v14, s27
	v_mad_u64_u32 v[20:21], s[4:5], v14, s26, 0
	v_add3_u32 v21, v21, v19, v18
	v_lshl_add_u64 v[18:19], v[16:17], 1, s[28:29]
	v_lshl_add_u64 v[16:17], v[20:21], 1, s[28:29]
	global_load_ushort v20, v[18:19], off
	global_load_ushort v21, v[16:17], off
	s_mov_b64 s[14:15], -1
	s_waitcnt vmcnt(0)
	v_cmp_eq_f16_e32 vcc, v20, v21
	s_and_saveexec_b64 s[4:5], vcc
	s_cbranch_execz .LBB1330_251
; %bb.245:
	s_add_u32 s14, s26, -1
	v_lshl_add_u64 v[16:17], v[16:17], 0, 2
	v_lshl_add_u64 v[18:19], v[18:19], 0, 2
	s_addc_u32 s15, s27, -1
	s_mov_b64 s[38:39], 0
	s_mov_b64 s[42:43], 0
                                        ; implicit-def: $sgpr40_sgpr41
	s_branch .LBB1330_248
.LBB1330_246:                           ;   in Loop: Header=BB1330_248 Depth=1
	global_load_ushort v20, v[18:19], off
	global_load_ushort v21, v[16:17], off
	s_add_u32 s42, s42, 1
	s_addc_u32 s43, s43, 0
	s_andn2_b64 s[40:41], s[40:41], exec
	v_lshl_add_u64 v[16:17], v[16:17], 0, 2
	v_lshl_add_u64 v[18:19], v[18:19], 0, 2
	s_waitcnt vmcnt(0)
	v_cmp_neq_f16_e32 vcc, v20, v21
	s_and_b64 s[44:45], vcc, exec
	s_or_b64 s[40:41], s[40:41], s[44:45]
.LBB1330_247:                           ;   in Loop: Header=BB1330_248 Depth=1
	s_and_b64 s[44:45], exec, s[40:41]
	s_or_b64 s[38:39], s[44:45], s[38:39]
	v_mov_b64_e32 v[20:21], s[42:43]
	s_andn2_b64 exec, exec, s[38:39]
	s_cbranch_execz .LBB1330_250
.LBB1330_248:                           ; =>This Inner Loop Header: Depth=1
	s_or_b64 s[40:41], s[40:41], exec
	s_cmp_eq_u64 s[14:15], s[42:43]
	s_cbranch_scc0 .LBB1330_246
; %bb.249:                              ;   in Loop: Header=BB1330_248 Depth=1
                                        ; implicit-def: $vgpr16_vgpr17
                                        ; implicit-def: $vgpr18_vgpr19
	s_mov_b64 s[42:43], s[26:27]
	s_branch .LBB1330_247
.LBB1330_250:
	s_or_b64 exec, exec, s[38:39]
	v_cmp_gt_i64_e32 vcc, s[26:27], v[20:21]
	s_orn2_b64 s[14:15], vcc, exec
.LBB1330_251:
	s_or_b64 exec, exec, s[4:5]
.LBB1330_252:
	s_and_b64 s[4:5], s[14:15], exec
.LBB1330_253:
	s_or_b64 exec, exec, s[12:13]
	v_cmp_gt_u32_e32 vcc, s52, v31
	s_and_saveexec_b64 s[12:13], vcc
	s_cbranch_execz .LBB1330_264
; %bb.254:
	s_andn2_b64 vcc, exec, s[6:7]
	s_mov_b64 s[14:15], 0
	s_cbranch_vccnz .LBB1330_263
; %bb.255:
	v_mul_lo_u32 v18, v3, s26
	v_mul_lo_u32 v19, v2, s27
	s_waitcnt vmcnt(0) lgkmcnt(1)
	v_mad_u64_u32 v[16:17], s[10:11], v2, s26, 0
	v_add3_u32 v17, v17, v19, v18
	v_mul_lo_u32 v18, v5, s26
	v_mul_lo_u32 v19, v4, s27
	v_mad_u64_u32 v[20:21], s[10:11], v4, s26, 0
	v_add3_u32 v21, v21, v19, v18
	v_lshl_add_u64 v[18:19], v[16:17], 1, s[28:29]
	v_lshl_add_u64 v[16:17], v[20:21], 1, s[28:29]
	global_load_ushort v20, v[18:19], off
	global_load_ushort v21, v[16:17], off
	s_mov_b64 s[14:15], -1
	s_waitcnt vmcnt(0)
	v_cmp_eq_f16_e32 vcc, v20, v21
	s_and_saveexec_b64 s[10:11], vcc
	s_cbranch_execz .LBB1330_262
; %bb.256:
	s_add_u32 s14, s26, -1
	v_lshl_add_u64 v[16:17], v[16:17], 0, 2
	v_lshl_add_u64 v[18:19], v[18:19], 0, 2
	s_addc_u32 s15, s27, -1
	s_mov_b64 s[38:39], 0
	s_mov_b64 s[42:43], 0
                                        ; implicit-def: $sgpr40_sgpr41
	s_branch .LBB1330_259
.LBB1330_257:                           ;   in Loop: Header=BB1330_259 Depth=1
	global_load_ushort v20, v[18:19], off
	global_load_ushort v21, v[16:17], off
	s_add_u32 s42, s42, 1
	s_addc_u32 s43, s43, 0
	s_andn2_b64 s[40:41], s[40:41], exec
	v_lshl_add_u64 v[16:17], v[16:17], 0, 2
	v_lshl_add_u64 v[18:19], v[18:19], 0, 2
	s_waitcnt vmcnt(0)
	v_cmp_neq_f16_e32 vcc, v20, v21
	s_and_b64 s[44:45], vcc, exec
	s_or_b64 s[40:41], s[40:41], s[44:45]
.LBB1330_258:                           ;   in Loop: Header=BB1330_259 Depth=1
	s_and_b64 s[44:45], exec, s[40:41]
	s_or_b64 s[38:39], s[44:45], s[38:39]
	v_mov_b64_e32 v[20:21], s[42:43]
	s_andn2_b64 exec, exec, s[38:39]
	s_cbranch_execz .LBB1330_261
.LBB1330_259:                           ; =>This Inner Loop Header: Depth=1
	s_or_b64 s[40:41], s[40:41], exec
	s_cmp_eq_u64 s[14:15], s[42:43]
	s_cbranch_scc0 .LBB1330_257
; %bb.260:                              ;   in Loop: Header=BB1330_259 Depth=1
                                        ; implicit-def: $vgpr16_vgpr17
                                        ; implicit-def: $vgpr18_vgpr19
	s_mov_b64 s[42:43], s[26:27]
	s_branch .LBB1330_258
.LBB1330_261:
	s_or_b64 exec, exec, s[38:39]
	v_cmp_gt_i64_e32 vcc, s[26:27], v[20:21]
	s_orn2_b64 s[14:15], vcc, exec
.LBB1330_262:
	s_or_b64 exec, exec, s[10:11]
.LBB1330_263:
	s_and_b64 s[10:11], s[14:15], exec
.LBB1330_264:
	s_or_b64 exec, exec, s[12:13]
	v_cmp_gt_u32_e32 vcc, s52, v28
	s_mov_b64 s[14:15], 0
	s_mov_b64 s[12:13], 0
	s_and_saveexec_b64 s[38:39], vcc
	s_cbranch_execz .LBB1330_275
; %bb.265:
	s_andn2_b64 vcc, exec, s[6:7]
	s_mov_b64 s[40:41], 0
	s_cbranch_vccnz .LBB1330_274
; %bb.266:
	v_mul_lo_u32 v18, v9, s26
	v_mul_lo_u32 v19, v8, s27
	s_waitcnt vmcnt(0) lgkmcnt(1)
	v_mad_u64_u32 v[16:17], s[12:13], v8, s26, 0
	v_add3_u32 v17, v17, v19, v18
	v_mul_lo_u32 v18, v3, s26
	v_mul_lo_u32 v19, v2, s27
	v_mad_u64_u32 v[20:21], s[12:13], v2, s26, 0
	v_add3_u32 v21, v21, v19, v18
	v_lshl_add_u64 v[18:19], v[16:17], 1, s[28:29]
	v_lshl_add_u64 v[16:17], v[20:21], 1, s[28:29]
	global_load_ushort v20, v[18:19], off
	global_load_ushort v21, v[16:17], off
	s_mov_b64 s[40:41], -1
	s_waitcnt vmcnt(0)
	v_cmp_eq_f16_e32 vcc, v20, v21
	s_and_saveexec_b64 s[12:13], vcc
	s_cbranch_execz .LBB1330_273
; %bb.267:
	s_add_u32 s40, s26, -1
	v_lshl_add_u64 v[16:17], v[16:17], 0, 2
	v_lshl_add_u64 v[18:19], v[18:19], 0, 2
	s_addc_u32 s41, s27, -1
	s_mov_b64 s[42:43], 0
	s_mov_b64 s[46:47], 0
                                        ; implicit-def: $sgpr44_sgpr45
	s_branch .LBB1330_270
.LBB1330_268:                           ;   in Loop: Header=BB1330_270 Depth=1
	global_load_ushort v20, v[18:19], off
	global_load_ushort v21, v[16:17], off
	s_add_u32 s46, s46, 1
	s_addc_u32 s47, s47, 0
	s_andn2_b64 s[44:45], s[44:45], exec
	v_lshl_add_u64 v[16:17], v[16:17], 0, 2
	v_lshl_add_u64 v[18:19], v[18:19], 0, 2
	s_waitcnt vmcnt(0)
	v_cmp_neq_f16_e32 vcc, v20, v21
	s_and_b64 s[48:49], vcc, exec
	s_or_b64 s[44:45], s[44:45], s[48:49]
.LBB1330_269:                           ;   in Loop: Header=BB1330_270 Depth=1
	s_and_b64 s[48:49], exec, s[44:45]
	s_or_b64 s[42:43], s[48:49], s[42:43]
	v_mov_b64_e32 v[20:21], s[46:47]
	s_andn2_b64 exec, exec, s[42:43]
	s_cbranch_execz .LBB1330_272
.LBB1330_270:                           ; =>This Inner Loop Header: Depth=1
	s_or_b64 s[44:45], s[44:45], exec
	s_cmp_eq_u64 s[40:41], s[46:47]
	s_cbranch_scc0 .LBB1330_268
; %bb.271:                              ;   in Loop: Header=BB1330_270 Depth=1
                                        ; implicit-def: $vgpr16_vgpr17
                                        ; implicit-def: $vgpr18_vgpr19
	s_mov_b64 s[46:47], s[26:27]
	s_branch .LBB1330_269
.LBB1330_272:
	s_or_b64 exec, exec, s[42:43]
	v_cmp_gt_i64_e32 vcc, s[26:27], v[20:21]
	s_orn2_b64 s[40:41], vcc, exec
.LBB1330_273:
	s_or_b64 exec, exec, s[12:13]
.LBB1330_274:
	s_and_b64 s[12:13], s[40:41], exec
.LBB1330_275:
	s_or_b64 exec, exec, s[38:39]
	v_cmp_gt_u32_e32 vcc, s52, v30
	s_and_saveexec_b64 s[38:39], vcc
	s_cbranch_execz .LBB1330_286
; %bb.276:
	s_andn2_b64 vcc, exec, s[6:7]
	s_mov_b64 s[40:41], 0
	s_cbranch_vccnz .LBB1330_285
; %bb.277:
	v_mul_lo_u32 v18, v7, s26
	v_mul_lo_u32 v19, v6, s27
	s_waitcnt vmcnt(0) lgkmcnt(1)
	v_mad_u64_u32 v[16:17], s[14:15], v6, s26, 0
	v_add3_u32 v17, v17, v19, v18
	v_mul_lo_u32 v18, v9, s26
	v_mul_lo_u32 v19, v8, s27
	v_mad_u64_u32 v[20:21], s[14:15], v8, s26, 0
	v_add3_u32 v21, v21, v19, v18
	v_lshl_add_u64 v[18:19], v[16:17], 1, s[28:29]
	v_lshl_add_u64 v[16:17], v[20:21], 1, s[28:29]
	global_load_ushort v20, v[18:19], off
	global_load_ushort v21, v[16:17], off
	s_mov_b64 s[40:41], -1
	s_waitcnt vmcnt(0)
	v_cmp_eq_f16_e32 vcc, v20, v21
	s_and_saveexec_b64 s[14:15], vcc
	s_cbranch_execz .LBB1330_284
; %bb.278:
	s_add_u32 s40, s26, -1
	v_lshl_add_u64 v[16:17], v[16:17], 0, 2
	v_lshl_add_u64 v[18:19], v[18:19], 0, 2
	s_addc_u32 s41, s27, -1
	s_mov_b64 s[42:43], 0
	s_mov_b64 s[46:47], 0
                                        ; implicit-def: $sgpr44_sgpr45
	s_branch .LBB1330_281
.LBB1330_279:                           ;   in Loop: Header=BB1330_281 Depth=1
	global_load_ushort v20, v[18:19], off
	global_load_ushort v21, v[16:17], off
	s_add_u32 s46, s46, 1
	s_addc_u32 s47, s47, 0
	s_andn2_b64 s[44:45], s[44:45], exec
	v_lshl_add_u64 v[16:17], v[16:17], 0, 2
	v_lshl_add_u64 v[18:19], v[18:19], 0, 2
	s_waitcnt vmcnt(0)
	v_cmp_neq_f16_e32 vcc, v20, v21
	s_and_b64 s[48:49], vcc, exec
	s_or_b64 s[44:45], s[44:45], s[48:49]
.LBB1330_280:                           ;   in Loop: Header=BB1330_281 Depth=1
	s_and_b64 s[48:49], exec, s[44:45]
	s_or_b64 s[42:43], s[48:49], s[42:43]
	v_mov_b64_e32 v[20:21], s[46:47]
	s_andn2_b64 exec, exec, s[42:43]
	s_cbranch_execz .LBB1330_283
.LBB1330_281:                           ; =>This Inner Loop Header: Depth=1
	s_or_b64 s[44:45], s[44:45], exec
	s_cmp_eq_u64 s[40:41], s[46:47]
	s_cbranch_scc0 .LBB1330_279
; %bb.282:                              ;   in Loop: Header=BB1330_281 Depth=1
                                        ; implicit-def: $vgpr16_vgpr17
                                        ; implicit-def: $vgpr18_vgpr19
	s_mov_b64 s[46:47], s[26:27]
	s_branch .LBB1330_280
.LBB1330_283:
	s_or_b64 exec, exec, s[42:43]
	v_cmp_gt_i64_e32 vcc, s[26:27], v[20:21]
	s_orn2_b64 s[40:41], vcc, exec
.LBB1330_284:
	s_or_b64 exec, exec, s[14:15]
.LBB1330_285:
	s_and_b64 s[14:15], s[40:41], exec
.LBB1330_286:
	s_or_b64 exec, exec, s[38:39]
	v_cmp_gt_u32_e32 vcc, s52, v26
	s_mov_b64 s[38:39], 0
	s_mov_b64 s[40:41], 0
	s_and_saveexec_b64 s[42:43], vcc
	s_cbranch_execz .LBB1330_297
; %bb.287:
	s_andn2_b64 vcc, exec, s[6:7]
	s_mov_b64 s[44:45], 0
	s_cbranch_vccnz .LBB1330_296
; %bb.288:
	v_mul_lo_u32 v18, v13, s26
	v_mul_lo_u32 v19, v12, s27
	s_waitcnt vmcnt(0) lgkmcnt(1)
	v_mad_u64_u32 v[16:17], s[40:41], v12, s26, 0
	v_add3_u32 v17, v17, v19, v18
	v_mul_lo_u32 v18, v7, s26
	v_mul_lo_u32 v19, v6, s27
	v_mad_u64_u32 v[20:21], s[40:41], v6, s26, 0
	v_add3_u32 v21, v21, v19, v18
	v_lshl_add_u64 v[18:19], v[16:17], 1, s[28:29]
	v_lshl_add_u64 v[16:17], v[20:21], 1, s[28:29]
	global_load_ushort v20, v[18:19], off
	global_load_ushort v21, v[16:17], off
	s_mov_b64 s[44:45], -1
	s_waitcnt vmcnt(0)
	v_cmp_eq_f16_e32 vcc, v20, v21
	s_and_saveexec_b64 s[40:41], vcc
	s_cbranch_execz .LBB1330_295
; %bb.289:
	s_add_u32 s44, s26, -1
	v_lshl_add_u64 v[16:17], v[16:17], 0, 2
	v_lshl_add_u64 v[18:19], v[18:19], 0, 2
	s_addc_u32 s45, s27, -1
	s_mov_b64 s[46:47], 0
	s_mov_b64 s[50:51], 0
                                        ; implicit-def: $sgpr48_sgpr49
	s_branch .LBB1330_292
.LBB1330_290:                           ;   in Loop: Header=BB1330_292 Depth=1
	global_load_ushort v20, v[18:19], off
	global_load_ushort v21, v[16:17], off
	s_add_u32 s50, s50, 1
	s_addc_u32 s51, s51, 0
	s_andn2_b64 s[48:49], s[48:49], exec
	v_lshl_add_u64 v[16:17], v[16:17], 0, 2
	v_lshl_add_u64 v[18:19], v[18:19], 0, 2
	s_waitcnt vmcnt(0)
	v_cmp_neq_f16_e32 vcc, v20, v21
	s_and_b64 s[54:55], vcc, exec
	s_or_b64 s[48:49], s[48:49], s[54:55]
.LBB1330_291:                           ;   in Loop: Header=BB1330_292 Depth=1
	s_and_b64 s[54:55], exec, s[48:49]
	s_or_b64 s[46:47], s[54:55], s[46:47]
	v_mov_b64_e32 v[20:21], s[50:51]
	s_andn2_b64 exec, exec, s[46:47]
	s_cbranch_execz .LBB1330_294
.LBB1330_292:                           ; =>This Inner Loop Header: Depth=1
	s_or_b64 s[48:49], s[48:49], exec
	s_cmp_eq_u64 s[44:45], s[50:51]
	s_cbranch_scc0 .LBB1330_290
; %bb.293:                              ;   in Loop: Header=BB1330_292 Depth=1
                                        ; implicit-def: $vgpr16_vgpr17
                                        ; implicit-def: $vgpr18_vgpr19
	s_mov_b64 s[50:51], s[26:27]
	s_branch .LBB1330_291
.LBB1330_294:
	s_or_b64 exec, exec, s[46:47]
	v_cmp_gt_i64_e32 vcc, s[26:27], v[20:21]
	s_orn2_b64 s[44:45], vcc, exec
.LBB1330_295:
	s_or_b64 exec, exec, s[40:41]
.LBB1330_296:
	s_and_b64 s[40:41], s[44:45], exec
.LBB1330_297:
	s_or_b64 exec, exec, s[42:43]
	v_cmp_gt_u32_e32 vcc, s52, v27
	s_and_saveexec_b64 s[42:43], vcc
	s_cbranch_execz .LBB1330_308
; %bb.298:
	s_andn2_b64 vcc, exec, s[6:7]
	s_mov_b64 s[44:45], 0
	s_cbranch_vccnz .LBB1330_307
; %bb.299:
	v_mul_lo_u32 v18, v11, s26
	v_mul_lo_u32 v19, v10, s27
	s_waitcnt vmcnt(0) lgkmcnt(1)
	v_mad_u64_u32 v[16:17], s[38:39], v10, s26, 0
	v_add3_u32 v17, v17, v19, v18
	v_mul_lo_u32 v18, v13, s26
	v_mul_lo_u32 v19, v12, s27
	v_mad_u64_u32 v[20:21], s[38:39], v12, s26, 0
	v_add3_u32 v21, v21, v19, v18
	v_lshl_add_u64 v[18:19], v[16:17], 1, s[28:29]
	v_lshl_add_u64 v[16:17], v[20:21], 1, s[28:29]
	global_load_ushort v20, v[18:19], off
	global_load_ushort v21, v[16:17], off
	s_mov_b64 s[44:45], -1
	s_waitcnt vmcnt(0)
	v_cmp_eq_f16_e32 vcc, v20, v21
	s_and_saveexec_b64 s[38:39], vcc
	s_cbranch_execz .LBB1330_306
; %bb.300:
	s_add_u32 s44, s26, -1
	v_lshl_add_u64 v[16:17], v[16:17], 0, 2
	v_lshl_add_u64 v[18:19], v[18:19], 0, 2
	s_addc_u32 s45, s27, -1
	s_mov_b64 s[46:47], 0
	s_mov_b64 s[50:51], 0
                                        ; implicit-def: $sgpr48_sgpr49
	s_branch .LBB1330_303
.LBB1330_301:                           ;   in Loop: Header=BB1330_303 Depth=1
	global_load_ushort v20, v[18:19], off
	global_load_ushort v21, v[16:17], off
	s_add_u32 s50, s50, 1
	s_addc_u32 s51, s51, 0
	s_andn2_b64 s[48:49], s[48:49], exec
	v_lshl_add_u64 v[16:17], v[16:17], 0, 2
	v_lshl_add_u64 v[18:19], v[18:19], 0, 2
	s_waitcnt vmcnt(0)
	v_cmp_neq_f16_e32 vcc, v20, v21
	s_and_b64 s[54:55], vcc, exec
	s_or_b64 s[48:49], s[48:49], s[54:55]
.LBB1330_302:                           ;   in Loop: Header=BB1330_303 Depth=1
	s_and_b64 s[54:55], exec, s[48:49]
	s_or_b64 s[46:47], s[54:55], s[46:47]
	v_mov_b64_e32 v[20:21], s[50:51]
	s_andn2_b64 exec, exec, s[46:47]
	s_cbranch_execz .LBB1330_305
.LBB1330_303:                           ; =>This Inner Loop Header: Depth=1
	s_or_b64 s[48:49], s[48:49], exec
	s_cmp_eq_u64 s[44:45], s[50:51]
	s_cbranch_scc0 .LBB1330_301
; %bb.304:                              ;   in Loop: Header=BB1330_303 Depth=1
                                        ; implicit-def: $vgpr16_vgpr17
                                        ; implicit-def: $vgpr18_vgpr19
	s_mov_b64 s[50:51], s[26:27]
	s_branch .LBB1330_302
.LBB1330_305:
	s_or_b64 exec, exec, s[46:47]
	v_cmp_gt_i64_e32 vcc, s[26:27], v[20:21]
	s_orn2_b64 s[44:45], vcc, exec
.LBB1330_306:
	s_or_b64 exec, exec, s[38:39]
.LBB1330_307:
	s_and_b64 s[38:39], s[44:45], exec
.LBB1330_308:
	s_or_b64 exec, exec, s[42:43]
	s_waitcnt vmcnt(0) lgkmcnt(1)
	v_cndmask_b32_e64 v17, 0, 1, s[14:15]
	v_cndmask_b32_e64 v16, 0, 1, s[40:41]
	;; [unrolled: 1-line block ×3, first 2 shown]
	v_lshlrev_b16_e32 v17, 8, v17
	v_cndmask_b32_e64 v25, 0, 1, s[12:13]
	v_cndmask_b32_e64 v18, 0, 1, s[38:39]
	v_or_b32_sdwa v16, v16, v17 dst_sel:WORD_1 dst_unused:UNUSED_PAD src0_sel:DWORD src1_sel:DWORD
	v_lshlrev_b16_e32 v17, 8, v34
	v_lshlrev_b16_e32 v18, 8, v18
	v_or_b32_e32 v17, v25, v17
	v_or_b32_e32 v18, 1, v18
	v_and_b32_e32 v17, 0xffff, v17
	v_cndmask_b32_e64 v35, 0, 1, s[4:5]
	v_or_b32_sdwa v16, v18, v16 dst_sel:DWORD dst_unused:UNUSED_PAD src0_sel:WORD_0 src1_sel:DWORD
	v_lshl_or_b32 v17, v35, 16, v17
	s_waitcnt lgkmcnt(0)
	s_barrier
	s_waitcnt lgkmcnt(0)
                                        ; implicit-def: $sgpr12_sgpr13
                                        ; implicit-def: $vgpr20
	s_and_saveexec_b64 s[4:5], s[2:3]
	s_cbranch_execz .LBB1330_321
; %bb.309:
	v_cmp_gt_u32_e32 vcc, s52, v1
	s_mov_b32 s38, 0x3020104
	s_mov_b64 s[10:11], 0
	s_and_saveexec_b64 s[2:3], vcc
	s_cbranch_execz .LBB1330_320
; %bb.310:
	s_andn2_b64 vcc, exec, s[6:7]
	s_cbranch_vccnz .LBB1330_319
; %bb.311:
	v_add_u32_e32 v17, -8, v24
	ds_read_b64 v[18:19], v17
	v_mul_lo_u32 v17, v11, s26
	v_mad_u64_u32 v[22:23], s[6:7], v10, s26, 0
	s_mov_b64 s[10:11], -1
	s_waitcnt lgkmcnt(0)
	v_mul_lo_u32 v20, v19, s26
	v_mul_lo_u32 v21, v18, s27
	v_mad_u64_u32 v[18:19], s[6:7], v18, s26, 0
	v_add3_u32 v19, v19, v21, v20
	v_mul_lo_u32 v20, v10, s27
	v_add3_u32 v23, v23, v20, v17
	v_lshl_add_u64 v[20:21], v[18:19], 1, s[28:29]
	v_lshl_add_u64 v[18:19], v[22:23], 1, s[28:29]
	global_load_ushort v17, v[20:21], off
	global_load_ushort v22, v[18:19], off
	s_waitcnt vmcnt(0)
	v_cmp_eq_f16_e32 vcc, v17, v22
	s_and_saveexec_b64 s[6:7], vcc
	s_cbranch_execz .LBB1330_318
; %bb.312:
	s_add_u32 s10, s26, -1
	v_lshl_add_u64 v[18:19], v[18:19], 0, 2
	v_lshl_add_u64 v[20:21], v[20:21], 0, 2
	s_addc_u32 s11, s27, -1
	s_mov_b64 s[12:13], 0
	s_mov_b64 s[28:29], 0
                                        ; implicit-def: $sgpr14_sgpr15
	s_branch .LBB1330_315
.LBB1330_313:                           ;   in Loop: Header=BB1330_315 Depth=1
	global_load_ushort v17, v[20:21], off
	global_load_ushort v22, v[18:19], off
	s_add_u32 s28, s28, 1
	s_addc_u32 s29, s29, 0
	s_andn2_b64 s[14:15], s[14:15], exec
	v_lshl_add_u64 v[18:19], v[18:19], 0, 2
	v_lshl_add_u64 v[20:21], v[20:21], 0, 2
	s_waitcnt vmcnt(0)
	v_cmp_neq_f16_e32 vcc, v17, v22
	s_and_b64 s[40:41], vcc, exec
	s_or_b64 s[14:15], s[14:15], s[40:41]
.LBB1330_314:                           ;   in Loop: Header=BB1330_315 Depth=1
	s_and_b64 s[40:41], exec, s[14:15]
	s_or_b64 s[12:13], s[40:41], s[12:13]
	v_mov_b64_e32 v[22:23], s[28:29]
	s_andn2_b64 exec, exec, s[12:13]
	s_cbranch_execz .LBB1330_317
.LBB1330_315:                           ; =>This Inner Loop Header: Depth=1
	s_or_b64 s[14:15], s[14:15], exec
	s_cmp_eq_u64 s[10:11], s[28:29]
	s_cbranch_scc0 .LBB1330_313
; %bb.316:                              ;   in Loop: Header=BB1330_315 Depth=1
                                        ; implicit-def: $vgpr18_vgpr19
                                        ; implicit-def: $vgpr20_vgpr21
	s_mov_b64 s[28:29], s[26:27]
	s_branch .LBB1330_314
.LBB1330_317:
	s_or_b64 exec, exec, s[12:13]
	v_cmp_gt_i64_e32 vcc, s[26:27], v[22:23]
	s_orn2_b64 s[10:11], vcc, exec
.LBB1330_318:
	s_or_b64 exec, exec, s[6:7]
.LBB1330_319:
	s_and_b64 s[10:11], s[10:11], exec
.LBB1330_320:
	s_or_b64 exec, exec, s[2:3]
	v_perm_b32 v20, v16, v16, s38
	s_and_b64 s[12:13], s[10:11], exec
	s_or_b64 s[8:9], s[8:9], exec
                                        ; implicit-def: $vgpr16_vgpr17
.LBB1330_321:
	s_or_b64 exec, exec, s[4:5]
.LBB1330_322:
	s_and_saveexec_b64 s[2:3], s[8:9]
	s_cbranch_execz .LBB1330_324
; %bb.323:
	s_waitcnt vmcnt(0) lgkmcnt(0)
	v_lshlrev_b16_e32 v17, 8, v34
	v_and_b32_e32 v18, 0xff, v35
	v_or_b32_sdwa v17, v25, v17 dst_sel:DWORD dst_unused:UNUSED_PAD src0_sel:BYTE_0 src1_sel:DWORD
	v_lshlrev_b32_e32 v18, 16, v18
	s_movk_i32 s4, 0xff
	v_or_b32_sdwa v17, v17, v18 dst_sel:DWORD dst_unused:UNUSED_PAD src0_sel:WORD_0 src1_sel:DWORD
	v_lshrrev_b32_e32 v18, 24, v20
	v_lshlrev_b16_e32 v18, 8, v18
	v_and_b32_sdwa v19, v20, s4 dst_sel:DWORD dst_unused:UNUSED_PAD src0_sel:WORD_1 src1_sel:DWORD
	v_or_b32_sdwa v18, v19, v18 dst_sel:WORD_1 dst_unused:UNUSED_PAD src0_sel:DWORD src1_sel:DWORD
	v_mov_b32_e32 v19, 8
	v_cndmask_b32_e64 v16, 0, 1, s[12:13]
	v_lshrrev_b32_sdwa v19, v19, v20 dst_sel:BYTE_1 dst_unused:UNUSED_PAD src0_sel:DWORD src1_sel:DWORD
	s_nop 0
	v_or_b32_e32 v16, v16, v19
	v_or_b32_sdwa v16, v16, v18 dst_sel:DWORD dst_unused:UNUSED_PAD src0_sel:WORD_0 src1_sel:DWORD
.LBB1330_324:
	s_or_b64 exec, exec, s[2:3]
	s_andn2_b64 vcc, exec, s[0:1]
	s_cbranch_vccnz .LBB1330_326
; %bb.325:
	s_waitcnt vmcnt(0) lgkmcnt(0)
	v_and_b32_e32 v18, 0xffff0000, v16
	v_cmp_gt_u32_e32 vcc, s52, v1
	s_mov_b32 s0, 0x40c0100
	s_nop 0
	v_cndmask_b32_e32 v1, v18, v16, vcc
	v_and_b32_e32 v1, 0xffff00ff, v1
	v_cmp_gt_u32_e32 vcc, s52, v27
	s_nop 1
	v_cndmask_b32_e32 v1, v1, v16, vcc
	v_lshrrev_b32_e32 v18, 24, v1
	v_perm_b32 v1, v18, v1, s0
	v_cmp_gt_u32_e32 vcc, s52, v26
	v_and_b32_e32 v18, 0xffffff00, v17
	s_nop 0
	v_cndmask_b32_e32 v1, v1, v16, vcc
	v_and_b32_e32 v1, 0xffffff, v1
	v_cmp_gt_u32_e32 vcc, s52, v30
	s_nop 1
	v_cndmask_b32_e32 v1, v1, v16, vcc
	v_cmp_gt_u32_e32 vcc, s52, v28
	s_nop 1
	v_cndmask_b32_e32 v18, v18, v17, vcc
	v_and_b32_e32 v18, 0xffff00ff, v18
	v_cndmask_b32_e32 v1, v1, v16, vcc
	v_cmp_gt_u32_e32 vcc, s52, v31
	s_nop 1
	v_cndmask_b32_e32 v18, v18, v17, vcc
	v_lshrrev_b32_e32 v19, 24, v18
	v_cndmask_b32_e32 v1, v1, v16, vcc
	v_perm_b32 v18, v19, v18, s0
	v_cmp_gt_u32_e32 vcc, s52, v29
	s_mov_b32 s0, 0x3020104
	s_nop 0
	v_cndmask_b32_e32 v1, v1, v16, vcc
	v_cndmask_b32_e32 v16, v18, v17, vcc
	v_mov_b32_e32 v17, 8
	v_lshrrev_b32_sdwa v17, v17, v16 dst_sel:BYTE_1 dst_unused:UNUSED_PAD src0_sel:DWORD src1_sel:DWORD
	s_nop 0
	v_or_b32_sdwa v17, v16, v17 dst_sel:DWORD dst_unused:UNUSED_PAD src0_sel:BYTE_0 src1_sel:DWORD
	v_and_b32_e32 v17, 0xffff, v17
	v_bfe_u32 v16, v16, 16, 8
	v_lshl_or_b32 v17, v16, 16, v17
	v_perm_b32 v16, v1, v1, s0
.LBB1330_326:
	s_waitcnt vmcnt(0) lgkmcnt(0)
	v_and_b32_e32 v1, 0xff, v16
	v_bfe_u32 v29, v16, 8, 8
	v_bfe_u32 v31, v16, 16, 8
	v_alignbit_b32 v18, v17, v16, 24
	v_and_b32_e32 v33, 0xff, v18
	v_and_b32_e32 v35, 0xff, v17
	v_add3_u32 v19, v29, v1, v31
	v_bfe_u32 v36, v17, 8, 8
	v_bfe_u32 v18, v17, 16, 8
	v_add3_u32 v19, v19, v33, v35
	v_add3_u32 v39, v19, v36, v18
	v_mbcnt_lo_u32_b32 v18, -1, 0
	v_mbcnt_hi_u32_b32 v37, -1, v18
	v_and_b32_e32 v18, 15, v37
	v_cmp_eq_u32_e64 s[14:15], 0, v18
	v_cmp_lt_u32_e64 s[12:13], 1, v18
	v_cmp_lt_u32_e64 s[10:11], 3, v18
	;; [unrolled: 1-line block ×3, first 2 shown]
	v_and_b32_e32 v18, 16, v37
	v_cmp_eq_u32_e64 s[6:7], 0, v18
	v_or_b32_e32 v18, 63, v0
	v_cmp_lt_u32_e64 s[2:3], 31, v37
	v_lshrrev_b32_e32 v38, 6, v0
	v_cmp_eq_u32_e64 s[4:5], v18, v0
	s_and_b64 vcc, exec, s[16:17]
	s_barrier
	s_cbranch_vccz .LBB1330_353
; %bb.327:
	v_mov_b32_dpp v18, v39 row_shr:1 row_mask:0xf bank_mask:0xf
	v_cndmask_b32_e64 v18, v18, 0, s[14:15]
	v_add_u32_e32 v18, v18, v39
	s_nop 1
	v_mov_b32_dpp v19, v18 row_shr:2 row_mask:0xf bank_mask:0xf
	v_cndmask_b32_e64 v19, 0, v19, s[12:13]
	v_add_u32_e32 v18, v18, v19
	s_nop 1
	;; [unrolled: 4-line block ×4, first 2 shown]
	v_mov_b32_dpp v19, v18 row_bcast:15 row_mask:0xf bank_mask:0xf
	v_cndmask_b32_e64 v19, v19, 0, s[6:7]
	v_add_u32_e32 v18, v18, v19
	s_nop 1
	v_mov_b32_dpp v19, v18 row_bcast:31 row_mask:0xf bank_mask:0xf
	v_cndmask_b32_e64 v19, 0, v19, s[2:3]
	v_add_u32_e32 v18, v18, v19
	s_and_saveexec_b64 s[0:1], s[4:5]
	s_cbranch_execz .LBB1330_329
; %bb.328:
	v_lshlrev_b32_e32 v19, 2, v38
	ds_write_b32 v19, v18
.LBB1330_329:
	s_or_b64 exec, exec, s[0:1]
	v_cmp_gt_u32_e32 vcc, 8, v0
	s_waitcnt lgkmcnt(0)
	s_barrier
	s_and_saveexec_b64 s[0:1], vcc
	s_cbranch_execz .LBB1330_331
; %bb.330:
	v_lshlrev_b32_e32 v19, 2, v0
	ds_read_b32 v20, v19
	v_and_b32_e32 v21, 7, v37
	v_cmp_ne_u32_e32 vcc, 0, v21
	s_waitcnt lgkmcnt(0)
	v_mov_b32_dpp v22, v20 row_shr:1 row_mask:0xf bank_mask:0xf
	v_cndmask_b32_e32 v22, 0, v22, vcc
	v_add_u32_e32 v20, v22, v20
	v_cmp_lt_u32_e32 vcc, 1, v21
	s_nop 0
	v_mov_b32_dpp v22, v20 row_shr:2 row_mask:0xf bank_mask:0xf
	v_cndmask_b32_e32 v22, 0, v22, vcc
	v_add_u32_e32 v20, v20, v22
	v_cmp_lt_u32_e32 vcc, 3, v21
	s_nop 0
	v_mov_b32_dpp v22, v20 row_shr:4 row_mask:0xf bank_mask:0xf
	v_cndmask_b32_e32 v21, 0, v22, vcc
	v_add_u32_e32 v20, v20, v21
	ds_write_b32 v19, v20
.LBB1330_331:
	s_or_b64 exec, exec, s[0:1]
	v_cmp_gt_u32_e32 vcc, 64, v0
	v_cmp_lt_u32_e64 s[0:1], 63, v0
	s_waitcnt lgkmcnt(0)
	s_barrier
	s_waitcnt lgkmcnt(0)
                                        ; implicit-def: $vgpr28
	s_and_saveexec_b64 s[16:17], s[0:1]
	s_cbranch_execz .LBB1330_333
; %bb.332:
	v_lshl_add_u32 v19, v38, 2, -4
	ds_read_b32 v28, v19
	s_waitcnt lgkmcnt(0)
	v_add_u32_e32 v18, v28, v18
.LBB1330_333:
	s_or_b64 exec, exec, s[16:17]
	v_add_u32_e32 v19, -1, v37
	v_and_b32_e32 v20, 64, v37
	v_cmp_lt_i32_e64 s[0:1], v19, v20
	v_cmp_eq_u32_e64 s[16:17], 0, v37
	s_nop 0
	v_cndmask_b32_e64 v19, v19, v37, s[0:1]
	v_lshlrev_b32_e32 v19, 2, v19
	ds_bpermute_b32 v30, v19, v18
	s_and_saveexec_b64 s[0:1], vcc
	s_cbranch_execz .LBB1330_352
; %bb.334:
	v_mov_b32_e32 v25, 0
	ds_read_b32 v18, v25 offset:28
	s_and_saveexec_b64 s[26:27], s[16:17]
	s_cbranch_execz .LBB1330_336
; %bb.335:
	s_add_i32 s28, s33, 64
	s_mov_b32 s29, 0
	s_lshl_b64 s[28:29], s[28:29], 3
	s_add_u32 s28, s30, s28
	v_mov_b32_e32 v19, 1
	s_addc_u32 s29, s31, s29
	s_waitcnt lgkmcnt(0)
	global_store_dwordx2 v25, v[18:19], s[28:29] sc1
.LBB1330_336:
	s_or_b64 exec, exec, s[26:27]
	v_xad_u32 v20, v37, -1, s33
	v_add_u32_e32 v24, 64, v20
	v_lshl_add_u64 v[26:27], v[24:25], 3, s[30:31]
	global_load_dwordx2 v[22:23], v[26:27], off sc1
	s_waitcnt vmcnt(0)
	v_cmp_eq_u16_sdwa s[28:29], v23, v25 src0_sel:BYTE_0 src1_sel:DWORD
	s_and_saveexec_b64 s[26:27], s[28:29]
	s_cbranch_execz .LBB1330_340
; %bb.337:
	s_mov_b64 s[28:29], 0
	v_mov_b32_e32 v19, 0
.LBB1330_338:                           ; =>This Inner Loop Header: Depth=1
	global_load_dwordx2 v[22:23], v[26:27], off sc1
	s_waitcnt vmcnt(0)
	v_cmp_ne_u16_sdwa s[38:39], v23, v19 src0_sel:BYTE_0 src1_sel:DWORD
	s_or_b64 s[28:29], s[38:39], s[28:29]
	s_andn2_b64 exec, exec, s[28:29]
	s_cbranch_execnz .LBB1330_338
; %bb.339:
	s_or_b64 exec, exec, s[28:29]
.LBB1330_340:
	s_or_b64 exec, exec, s[26:27]
	v_and_b32_e32 v32, 63, v37
	v_mov_b32_e32 v19, 2
	v_cmp_ne_u32_e32 vcc, 63, v32
	v_cmp_eq_u16_sdwa s[26:27], v23, v19 src0_sel:BYTE_0 src1_sel:DWORD
	v_lshlrev_b64 v[24:25], v37, -1
	v_addc_co_u32_e32 v27, vcc, 0, v37, vcc
	v_and_b32_e32 v21, s27, v25
	v_lshlrev_b32_e32 v34, 2, v27
	v_or_b32_e32 v21, 0x80000000, v21
	ds_bpermute_b32 v27, v34, v22
	v_and_b32_e32 v26, s26, v24
	v_ffbl_b32_e32 v21, v21
	v_add_u32_e32 v21, 32, v21
	v_ffbl_b32_e32 v26, v26
	v_min_u32_e32 v21, v26, v21
	v_cmp_lt_u32_e32 vcc, v32, v21
	v_add_u32_e32 v41, 2, v32
	v_add_u32_e32 v43, 4, v32
	s_waitcnt lgkmcnt(0)
	v_cndmask_b32_e32 v26, 0, v27, vcc
	v_cmp_gt_u32_e32 vcc, 62, v32
	v_add_u32_e32 v22, v26, v22
	v_add_u32_e32 v45, 8, v32
	v_cndmask_b32_e64 v26, 0, 1, vcc
	v_lshlrev_b32_e32 v26, 1, v26
	v_add_lshl_u32 v40, v26, v37, 2
	ds_bpermute_b32 v26, v40, v22
	v_cmp_le_u32_e32 vcc, v41, v21
	v_add_u32_e32 v48, 16, v32
	v_add_u32_e32 v50, 32, v32
	s_waitcnt lgkmcnt(0)
	v_cndmask_b32_e32 v26, 0, v26, vcc
	v_cmp_gt_u32_e32 vcc, 60, v32
	v_add_u32_e32 v22, v22, v26
	s_nop 0
	v_cndmask_b32_e64 v26, 0, 1, vcc
	v_lshlrev_b32_e32 v26, 2, v26
	v_add_lshl_u32 v42, v26, v37, 2
	ds_bpermute_b32 v26, v42, v22
	v_cmp_le_u32_e32 vcc, v43, v21
	s_waitcnt lgkmcnt(0)
	s_nop 0
	v_cndmask_b32_e32 v26, 0, v26, vcc
	v_cmp_gt_u32_e32 vcc, 56, v32
	v_add_u32_e32 v22, v22, v26
	s_nop 0
	v_cndmask_b32_e64 v26, 0, 1, vcc
	v_lshlrev_b32_e32 v26, 3, v26
	v_add_lshl_u32 v44, v26, v37, 2
	ds_bpermute_b32 v26, v44, v22
	v_cmp_le_u32_e32 vcc, v45, v21
	s_waitcnt lgkmcnt(0)
	s_nop 0
	;; [unrolled: 11-line block ×4, first 2 shown]
	v_cndmask_b32_e32 v21, 0, v26, vcc
	v_add_u32_e32 v22, v22, v21
	v_mov_b32_e32 v21, 0
	s_branch .LBB1330_342
.LBB1330_341:                           ;   in Loop: Header=BB1330_342 Depth=1
	s_or_b64 exec, exec, s[26:27]
	v_cmp_eq_u16_sdwa s[26:27], v23, v19 src0_sel:BYTE_0 src1_sel:DWORD
	ds_bpermute_b32 v51, v34, v22
	v_subrev_u32_e32 v20, 64, v20
	v_and_b32_e32 v26, s27, v25
	v_or_b32_e32 v26, 0x80000000, v26
	v_and_b32_e32 v27, s26, v24
	v_ffbl_b32_e32 v26, v26
	v_add_u32_e32 v26, 32, v26
	v_ffbl_b32_e32 v27, v27
	v_min_u32_e32 v26, v27, v26
	v_cmp_lt_u32_e32 vcc, v32, v26
	s_waitcnt lgkmcnt(0)
	s_nop 0
	v_cndmask_b32_e32 v27, 0, v51, vcc
	v_add_u32_e32 v22, v27, v22
	ds_bpermute_b32 v27, v40, v22
	v_cmp_le_u32_e32 vcc, v41, v26
	s_waitcnt lgkmcnt(0)
	s_nop 0
	v_cndmask_b32_e32 v27, 0, v27, vcc
	v_add_u32_e32 v22, v22, v27
	ds_bpermute_b32 v27, v42, v22
	v_cmp_le_u32_e32 vcc, v43, v26
	;; [unrolled: 6-line block ×5, first 2 shown]
	s_waitcnt lgkmcnt(0)
	s_nop 0
	v_cndmask_b32_e32 v26, 0, v27, vcc
	v_add3_u32 v22, v26, v46, v22
.LBB1330_342:                           ; =>This Loop Header: Depth=1
                                        ;     Child Loop BB1330_345 Depth 2
	v_cmp_ne_u16_sdwa s[26:27], v23, v19 src0_sel:BYTE_0 src1_sel:DWORD
	v_mov_b32_e32 v46, v22
	s_nop 0
	v_cndmask_b32_e64 v23, 0, 1, s[26:27]
	;;#ASMSTART
	;;#ASMEND
	s_nop 0
	v_cmp_ne_u32_e32 vcc, 0, v23
	s_cmp_lg_u64 vcc, exec
	s_cbranch_scc1 .LBB1330_347
; %bb.343:                              ;   in Loop: Header=BB1330_342 Depth=1
	v_lshl_add_u64 v[26:27], v[20:21], 3, s[30:31]
	global_load_dwordx2 v[22:23], v[26:27], off sc1
	s_waitcnt vmcnt(0)
	v_cmp_eq_u16_sdwa s[28:29], v23, v21 src0_sel:BYTE_0 src1_sel:DWORD
	s_and_saveexec_b64 s[26:27], s[28:29]
	s_cbranch_execz .LBB1330_341
; %bb.344:                              ;   in Loop: Header=BB1330_342 Depth=1
	s_mov_b64 s[28:29], 0
.LBB1330_345:                           ;   Parent Loop BB1330_342 Depth=1
                                        ; =>  This Inner Loop Header: Depth=2
	global_load_dwordx2 v[22:23], v[26:27], off sc1
	s_waitcnt vmcnt(0)
	v_cmp_ne_u16_sdwa s[38:39], v23, v21 src0_sel:BYTE_0 src1_sel:DWORD
	s_or_b64 s[28:29], s[38:39], s[28:29]
	s_andn2_b64 exec, exec, s[28:29]
	s_cbranch_execnz .LBB1330_345
; %bb.346:                              ;   in Loop: Header=BB1330_342 Depth=1
	s_or_b64 exec, exec, s[28:29]
	s_branch .LBB1330_341
.LBB1330_347:                           ;   in Loop: Header=BB1330_342 Depth=1
                                        ; implicit-def: $vgpr22
                                        ; implicit-def: $vgpr23
	s_cbranch_execz .LBB1330_342
; %bb.348:
	s_and_saveexec_b64 s[26:27], s[16:17]
	s_cbranch_execz .LBB1330_350
; %bb.349:
	s_add_i32 s28, s33, 64
	s_mov_b32 s29, 0
	s_lshl_b64 s[28:29], s[28:29], 3
	s_add_u32 s28, s30, s28
	v_add_u32_e32 v20, v46, v18
	v_mov_b32_e32 v21, 2
	s_addc_u32 s29, s31, s29
	v_mov_b32_e32 v19, 0
	global_store_dwordx2 v19, v[20:21], s[28:29] sc1
	s_movk_i32 s28, 0x7000
	v_add_u32_e64 v19, s28, 0
	ds_write2_b32 v19, v18, v46 offset1:2
.LBB1330_350:
	s_or_b64 exec, exec, s[26:27]
	s_and_b64 exec, exec, s[18:19]
	s_cbranch_execz .LBB1330_352
; %bb.351:
	v_mov_b32_e32 v18, 0
	ds_write_b32 v18, v46 offset:28
.LBB1330_352:
	s_or_b64 exec, exec, s[0:1]
	v_mov_b32_e32 v18, 0
	s_waitcnt lgkmcnt(0)
	s_barrier
	ds_read_b32 v18, v18 offset:28
	v_cndmask_b32_e64 v19, v30, v28, s[16:17]
	v_cndmask_b32_e64 v19, v19, 0, s[18:19]
	s_movk_i32 s0, 0x7000
	s_waitcnt lgkmcnt(0)
	v_add_u32_e32 v34, v18, v19
	v_add_u32_e32 v32, v34, v1
	v_add_u32_e64 v18, s0, 0
	v_add_u32_e32 v30, v32, v29
	s_barrier
	ds_read2_b32 v[18:19], v18 offset1:2
	v_add_u32_e32 v28, v30, v31
	v_add_u32_e32 v26, v28, v33
	;; [unrolled: 1-line block ×4, first 2 shown]
	v_lshrrev_b64 v[20:21], 24, v[16:17]
	s_branch .LBB1330_363
.LBB1330_353:
                                        ; implicit-def: $vgpr22
                                        ; implicit-def: $vgpr24
                                        ; implicit-def: $vgpr26
                                        ; implicit-def: $vgpr28
                                        ; implicit-def: $vgpr30
                                        ; implicit-def: $vgpr32
                                        ; implicit-def: $vgpr34
                                        ; implicit-def: $vgpr19
	v_lshrrev_b64 v[20:21], 24, v[16:17]
	s_cbranch_execz .LBB1330_363
; %bb.354:
	s_waitcnt lgkmcnt(0)
	v_mov_b32_dpp v18, v39 row_shr:1 row_mask:0xf bank_mask:0xf
	v_cndmask_b32_e64 v18, v18, 0, s[14:15]
	v_add_u32_e32 v18, v18, v39
	s_nop 1
	v_mov_b32_dpp v19, v18 row_shr:2 row_mask:0xf bank_mask:0xf
	v_cndmask_b32_e64 v19, 0, v19, s[12:13]
	v_add_u32_e32 v18, v18, v19
	s_nop 1
	;; [unrolled: 4-line block ×4, first 2 shown]
	v_mov_b32_dpp v19, v18 row_bcast:15 row_mask:0xf bank_mask:0xf
	v_cndmask_b32_e64 v19, v19, 0, s[6:7]
	v_add_u32_e32 v18, v18, v19
	s_nop 1
	v_mov_b32_dpp v19, v18 row_bcast:31 row_mask:0xf bank_mask:0xf
	v_cndmask_b32_e64 v19, 0, v19, s[2:3]
	v_add_u32_e32 v18, v18, v19
	s_and_saveexec_b64 s[0:1], s[4:5]
	s_cbranch_execz .LBB1330_356
; %bb.355:
	v_lshlrev_b32_e32 v19, 2, v38
	ds_write_b32 v19, v18
.LBB1330_356:
	s_or_b64 exec, exec, s[0:1]
	v_cmp_gt_u32_e32 vcc, 8, v0
	s_waitcnt lgkmcnt(0)
	s_barrier
	s_and_saveexec_b64 s[0:1], vcc
	s_cbranch_execz .LBB1330_358
; %bb.357:
	v_lshlrev_b32_e32 v19, 2, v0
	ds_read_b32 v21, v19
	v_and_b32_e32 v22, 7, v37
	v_cmp_ne_u32_e32 vcc, 0, v22
	s_waitcnt lgkmcnt(0)
	v_mov_b32_dpp v23, v21 row_shr:1 row_mask:0xf bank_mask:0xf
	v_cndmask_b32_e32 v23, 0, v23, vcc
	v_add_u32_e32 v21, v23, v21
	v_cmp_lt_u32_e32 vcc, 1, v22
	s_nop 0
	v_mov_b32_dpp v23, v21 row_shr:2 row_mask:0xf bank_mask:0xf
	v_cndmask_b32_e32 v23, 0, v23, vcc
	v_add_u32_e32 v21, v21, v23
	v_cmp_lt_u32_e32 vcc, 3, v22
	s_nop 0
	v_mov_b32_dpp v23, v21 row_shr:4 row_mask:0xf bank_mask:0xf
	v_cndmask_b32_e32 v22, 0, v23, vcc
	v_add_u32_e32 v21, v21, v22
	ds_write_b32 v19, v21
.LBB1330_358:
	s_or_b64 exec, exec, s[0:1]
	v_cmp_lt_u32_e32 vcc, 63, v0
	v_mov_b32_e32 v19, 0
	v_mov_b32_e32 v21, 0
	s_waitcnt lgkmcnt(0)
	s_barrier
	s_and_saveexec_b64 s[0:1], vcc
	s_cbranch_execz .LBB1330_360
; %bb.359:
	v_lshl_add_u32 v21, v38, 2, -4
	ds_read_b32 v21, v21
.LBB1330_360:
	s_or_b64 exec, exec, s[0:1]
	v_add_u32_e32 v22, -1, v37
	v_and_b32_e32 v23, 64, v37
	v_cmp_lt_i32_e32 vcc, v22, v23
	s_waitcnt lgkmcnt(0)
	v_add_u32_e32 v18, v21, v18
	v_cndmask_b32_e32 v22, v22, v37, vcc
	v_lshlrev_b32_e32 v22, 2, v22
	ds_bpermute_b32 v22, v22, v18
	ds_read_b32 v18, v19 offset:28
	s_and_saveexec_b64 s[0:1], s[18:19]
	s_cbranch_execz .LBB1330_362
; %bb.361:
	v_mov_b32_e32 v23, 0
	v_mov_b32_e32 v19, 2
	s_waitcnt lgkmcnt(0)
	global_store_dwordx2 v23, v[18:19], s[30:31] offset:512 sc1
.LBB1330_362:
	s_or_b64 exec, exec, s[0:1]
	v_cmp_eq_u32_e32 vcc, 0, v37
	v_mov_b32_e32 v19, 0
	s_waitcnt lgkmcnt(0)
	v_cndmask_b32_e32 v21, v22, v21, vcc
	v_cndmask_b32_e64 v34, v21, 0, s[18:19]
	v_add_u32_e32 v32, v34, v1
	v_add_u32_e32 v30, v32, v29
	v_add_u32_e32 v28, v30, v31
	v_add_u32_e32 v26, v28, v33
	v_add_u32_e32 v24, v26, v35
	v_add_u32_e32 v22, v24, v36
	s_barrier
.LBB1330_363:
	s_movk_i32 s0, 0x201
	s_waitcnt lgkmcnt(0)
	v_cmp_gt_u32_e32 vcc, s0, v18
	v_lshrrev_b32_e32 v21, 8, v16
	v_lshrrev_b32_e32 v1, 8, v17
	s_mov_b64 s[0:1], -1
	s_cbranch_vccnz .LBB1330_367
; %bb.364:
	s_and_b64 vcc, exec, s[0:1]
	s_cbranch_vccnz .LBB1330_389
.LBB1330_365:
	s_and_b64 s[0:1], s[18:19], s[24:25]
	s_and_saveexec_b64 s[2:3], s[0:1]
	s_cbranch_execnz .LBB1330_407
.LBB1330_366:
	s_endpgm
.LBB1330_367:
	v_add_u32_e32 v23, v19, v18
	v_cmp_lt_u32_e32 vcc, v34, v23
	s_or_b64 s[2:3], s[36:37], vcc
	s_and_saveexec_b64 s[0:1], s[2:3]
	s_cbranch_execz .LBB1330_370
; %bb.368:
	v_and_b32_e32 v25, 1, v16
	v_cmp_eq_u32_e32 vcc, 1, v25
	s_and_b64 exec, exec, vcc
	s_cbranch_execz .LBB1330_370
; %bb.369:
	s_lshl_b64 s[2:3], s[22:23], 3
	s_add_u32 s2, s34, s2
	s_addc_u32 s3, s35, s3
	v_mov_b32_e32 v35, 0
	v_lshl_add_u64 v[36:37], v[34:35], 3, s[2:3]
	global_store_dwordx2 v[36:37], v[10:11], off
.LBB1330_370:
	s_or_b64 exec, exec, s[0:1]
	v_cmp_lt_u32_e32 vcc, v32, v23
	s_or_b64 s[2:3], s[36:37], vcc
	s_and_saveexec_b64 s[0:1], s[2:3]
	s_cbranch_execz .LBB1330_373
; %bb.371:
	v_and_b32_e32 v25, 1, v21
	v_cmp_eq_u32_e32 vcc, 1, v25
	s_and_b64 exec, exec, vcc
	s_cbranch_execz .LBB1330_373
; %bb.372:
	s_lshl_b64 s[2:3], s[22:23], 3
	s_add_u32 s2, s34, s2
	s_addc_u32 s3, s35, s3
	v_mov_b32_e32 v33, 0
	v_lshl_add_u64 v[36:37], v[32:33], 3, s[2:3]
	global_store_dwordx2 v[36:37], v[12:13], off
.LBB1330_373:
	s_or_b64 exec, exec, s[0:1]
	v_cmp_lt_u32_e32 vcc, v30, v23
	s_or_b64 s[2:3], s[36:37], vcc
	s_and_saveexec_b64 s[0:1], s[2:3]
	s_cbranch_execz .LBB1330_376
; %bb.374:
	v_mov_b32_e32 v25, 1
	v_and_b32_sdwa v25, v25, v16 dst_sel:DWORD dst_unused:UNUSED_PAD src0_sel:DWORD src1_sel:WORD_1
	v_cmp_eq_u32_e32 vcc, 1, v25
	s_and_b64 exec, exec, vcc
	s_cbranch_execz .LBB1330_376
; %bb.375:
	s_lshl_b64 s[2:3], s[22:23], 3
	s_add_u32 s2, s34, s2
	s_addc_u32 s3, s35, s3
	v_mov_b32_e32 v31, 0
	v_lshl_add_u64 v[36:37], v[30:31], 3, s[2:3]
	global_store_dwordx2 v[36:37], v[6:7], off
.LBB1330_376:
	s_or_b64 exec, exec, s[0:1]
	v_cmp_lt_u32_e32 vcc, v28, v23
	s_or_b64 s[2:3], s[36:37], vcc
	s_and_saveexec_b64 s[0:1], s[2:3]
	s_cbranch_execz .LBB1330_379
; %bb.377:
	v_and_b32_e32 v25, 1, v20
	v_cmp_eq_u32_e32 vcc, 1, v25
	s_and_b64 exec, exec, vcc
	s_cbranch_execz .LBB1330_379
; %bb.378:
	s_lshl_b64 s[2:3], s[22:23], 3
	s_add_u32 s2, s34, s2
	s_addc_u32 s3, s35, s3
	v_mov_b32_e32 v29, 0
	v_lshl_add_u64 v[36:37], v[28:29], 3, s[2:3]
	global_store_dwordx2 v[36:37], v[8:9], off
.LBB1330_379:
	s_or_b64 exec, exec, s[0:1]
	v_cmp_lt_u32_e32 vcc, v26, v23
	s_or_b64 s[2:3], s[36:37], vcc
	s_and_saveexec_b64 s[0:1], s[2:3]
	s_cbranch_execz .LBB1330_382
; %bb.380:
	v_and_b32_e32 v25, 1, v17
	v_cmp_eq_u32_e32 vcc, 1, v25
	s_and_b64 exec, exec, vcc
	s_cbranch_execz .LBB1330_382
; %bb.381:
	s_lshl_b64 s[2:3], s[22:23], 3
	s_add_u32 s2, s34, s2
	s_addc_u32 s3, s35, s3
	v_mov_b32_e32 v27, 0
	v_lshl_add_u64 v[36:37], v[26:27], 3, s[2:3]
	global_store_dwordx2 v[36:37], v[2:3], off
.LBB1330_382:
	;; [unrolled: 18-line block ×3, first 2 shown]
	s_or_b64 exec, exec, s[0:1]
	v_cmp_lt_u32_e32 vcc, v22, v23
	s_or_b64 s[2:3], s[36:37], vcc
	s_and_saveexec_b64 s[0:1], s[2:3]
	s_cbranch_execz .LBB1330_388
; %bb.386:
	v_mov_b32_e32 v23, 1
	v_and_b32_sdwa v23, v23, v17 dst_sel:DWORD dst_unused:UNUSED_PAD src0_sel:DWORD src1_sel:WORD_1
	v_cmp_eq_u32_e32 vcc, 1, v23
	s_and_b64 exec, exec, vcc
	s_cbranch_execz .LBB1330_388
; %bb.387:
	s_lshl_b64 s[2:3], s[22:23], 3
	s_add_u32 s2, s34, s2
	s_addc_u32 s3, s35, s3
	v_mov_b32_e32 v23, 0
	v_lshl_add_u64 v[36:37], v[22:23], 3, s[2:3]
	global_store_dwordx2 v[36:37], v[14:15], off
.LBB1330_388:
	s_or_b64 exec, exec, s[0:1]
	s_branch .LBB1330_365
.LBB1330_389:
	v_and_b32_e32 v23, 1, v16
	v_cmp_eq_u32_e32 vcc, 1, v23
	s_and_saveexec_b64 s[0:1], vcc
	s_cbranch_execz .LBB1330_391
; %bb.390:
	v_sub_u32_e32 v23, v34, v19
	v_lshlrev_b32_e32 v23, 3, v23
	ds_write_b64 v23, v[10:11]
.LBB1330_391:
	s_or_b64 exec, exec, s[0:1]
	v_and_b32_e32 v10, 1, v21
	v_cmp_eq_u32_e32 vcc, 1, v10
	s_and_saveexec_b64 s[0:1], vcc
	s_cbranch_execz .LBB1330_393
; %bb.392:
	v_sub_u32_e32 v10, v32, v19
	v_lshlrev_b32_e32 v10, 3, v10
	ds_write_b64 v10, v[12:13]
.LBB1330_393:
	s_or_b64 exec, exec, s[0:1]
	v_mov_b32_e32 v10, 1
	v_and_b32_sdwa v10, v10, v16 dst_sel:DWORD dst_unused:UNUSED_PAD src0_sel:DWORD src1_sel:WORD_1
	v_cmp_eq_u32_e32 vcc, 1, v10
	s_and_saveexec_b64 s[0:1], vcc
	s_cbranch_execz .LBB1330_395
; %bb.394:
	v_sub_u32_e32 v10, v30, v19
	v_lshlrev_b32_e32 v10, 3, v10
	ds_write_b64 v10, v[6:7]
.LBB1330_395:
	s_or_b64 exec, exec, s[0:1]
	v_and_b32_e32 v6, 1, v20
	v_cmp_eq_u32_e32 vcc, 1, v6
	s_and_saveexec_b64 s[0:1], vcc
	s_cbranch_execz .LBB1330_397
; %bb.396:
	v_sub_u32_e32 v6, v28, v19
	v_lshlrev_b32_e32 v6, 3, v6
	ds_write_b64 v6, v[8:9]
.LBB1330_397:
	s_or_b64 exec, exec, s[0:1]
	v_and_b32_e32 v6, 1, v17
	v_cmp_eq_u32_e32 vcc, 1, v6
	s_and_saveexec_b64 s[0:1], vcc
	s_cbranch_execz .LBB1330_399
; %bb.398:
	v_sub_u32_e32 v6, v26, v19
	v_lshlrev_b32_e32 v6, 3, v6
	ds_write_b64 v6, v[2:3]
.LBB1330_399:
	s_or_b64 exec, exec, s[0:1]
	v_and_b32_e32 v1, 1, v1
	v_cmp_eq_u32_e32 vcc, 1, v1
	s_and_saveexec_b64 s[0:1], vcc
	s_cbranch_execz .LBB1330_401
; %bb.400:
	v_sub_u32_e32 v1, v24, v19
	v_lshlrev_b32_e32 v1, 3, v1
	ds_write_b64 v1, v[4:5]
.LBB1330_401:
	s_or_b64 exec, exec, s[0:1]
	v_mov_b32_e32 v1, 1
	v_and_b32_sdwa v1, v1, v17 dst_sel:DWORD dst_unused:UNUSED_PAD src0_sel:DWORD src1_sel:WORD_1
	v_cmp_eq_u32_e32 vcc, 1, v1
	s_and_saveexec_b64 s[0:1], vcc
	s_cbranch_execz .LBB1330_403
; %bb.402:
	v_sub_u32_e32 v1, v22, v19
	v_lshlrev_b32_e32 v1, 3, v1
	ds_write_b64 v1, v[14:15]
.LBB1330_403:
	s_or_b64 exec, exec, s[0:1]
	v_cmp_lt_u32_e32 vcc, v0, v18
	s_waitcnt lgkmcnt(0)
	s_barrier
	s_and_saveexec_b64 s[0:1], vcc
	s_cbranch_execz .LBB1330_406
; %bb.404:
	v_mov_b32_e32 v5, 0
	v_mov_b32_e32 v4, v19
	s_lshl_b64 s[2:3], s[22:23], 3
	v_lshlrev_b64 v[6:7], 3, v[4:5]
	v_lshl_add_u64 v[6:7], s[2:3], 0, v[6:7]
	v_lshlrev_b32_e32 v2, 3, v0
	v_mov_b32_e32 v3, v5
	v_lshl_add_u64 v[4:5], s[34:35], 0, v[6:7]
	v_lshl_add_u64 v[4:5], v[4:5], 0, v[2:3]
	s_mov_b64 s[2:3], 0
	s_mov_b64 s[4:5], 0x1000
.LBB1330_405:                           ; =>This Inner Loop Header: Depth=1
	ds_read_b64 v[6:7], v2
	v_add_u32_e32 v0, 0x200, v0
	v_cmp_ge_u32_e32 vcc, v0, v18
	v_add_u32_e32 v2, 0x1000, v2
	s_or_b64 s[2:3], vcc, s[2:3]
	s_waitcnt lgkmcnt(0)
	global_store_dwordx2 v[4:5], v[6:7], off
	v_lshl_add_u64 v[4:5], v[4:5], 0, s[4:5]
	s_andn2_b64 exec, exec, s[2:3]
	s_cbranch_execnz .LBB1330_405
.LBB1330_406:
	s_or_b64 exec, exec, s[0:1]
	s_and_b64 s[0:1], s[18:19], s[24:25]
	s_and_saveexec_b64 s[2:3], s[0:1]
	s_cbranch_execz .LBB1330_366
.LBB1330_407:
	v_mov_b32_e32 v1, 0
	v_mov_b32_e32 v0, v18
	v_lshl_add_u64 v[2:3], s[22:23], 0, v[0:1]
	v_mov_b32_e32 v0, v19
	v_lshl_add_u64 v[2:3], v[2:3], 0, v[0:1]
	global_store_dwordx2 v1, v[2:3], s[20:21]
	s_endpgm
	.section	.rodata,"a",@progbits
	.p2align	6, 0x0
	.amdhsa_kernel _ZN7rocprim17ROCPRIM_400000_NS6detail17trampoline_kernelINS0_14default_configENS1_25partition_config_selectorILNS1_17partition_subalgoE8ElNS0_10empty_typeEbEEZZNS1_14partition_implILS5_8ELb0ES3_jPlPS6_PKS6_NS0_5tupleIJS9_S6_EEENSD_IJSA_SA_EEENS0_18inequality_wrapperIZN2at6native12_GLOBAL__N_124unique_dim_cuda_templateIN3c104HalfEEESt5tupleIJNSH_6TensorESO_SO_EERKSO_lbbbEUlllE0_EEPmJS6_EEE10hipError_tPvRmT3_T4_T5_T6_T7_T9_mT8_P12ihipStream_tbDpT10_ENKUlT_T0_E_clISt17integral_constantIbLb0EES1D_IbLb1EEEEDaS19_S1A_EUlS19_E_NS1_11comp_targetILNS1_3genE5ELNS1_11target_archE942ELNS1_3gpuE9ELNS1_3repE0EEENS1_30default_config_static_selectorELNS0_4arch9wavefront6targetE1EEEvT1_
		.amdhsa_group_segment_fixed_size 28684
		.amdhsa_private_segment_fixed_size 0
		.amdhsa_kernarg_size 136
		.amdhsa_user_sgpr_count 2
		.amdhsa_user_sgpr_dispatch_ptr 0
		.amdhsa_user_sgpr_queue_ptr 0
		.amdhsa_user_sgpr_kernarg_segment_ptr 1
		.amdhsa_user_sgpr_dispatch_id 0
		.amdhsa_user_sgpr_kernarg_preload_length 0
		.amdhsa_user_sgpr_kernarg_preload_offset 0
		.amdhsa_user_sgpr_private_segment_size 0
		.amdhsa_uses_dynamic_stack 0
		.amdhsa_enable_private_segment 0
		.amdhsa_system_sgpr_workgroup_id_x 1
		.amdhsa_system_sgpr_workgroup_id_y 0
		.amdhsa_system_sgpr_workgroup_id_z 0
		.amdhsa_system_sgpr_workgroup_info 0
		.amdhsa_system_vgpr_workitem_id 0
		.amdhsa_next_free_vgpr 52
		.amdhsa_next_free_sgpr 56
		.amdhsa_accum_offset 52
		.amdhsa_reserve_vcc 1
		.amdhsa_float_round_mode_32 0
		.amdhsa_float_round_mode_16_64 0
		.amdhsa_float_denorm_mode_32 3
		.amdhsa_float_denorm_mode_16_64 3
		.amdhsa_dx10_clamp 1
		.amdhsa_ieee_mode 1
		.amdhsa_fp16_overflow 0
		.amdhsa_tg_split 0
		.amdhsa_exception_fp_ieee_invalid_op 0
		.amdhsa_exception_fp_denorm_src 0
		.amdhsa_exception_fp_ieee_div_zero 0
		.amdhsa_exception_fp_ieee_overflow 0
		.amdhsa_exception_fp_ieee_underflow 0
		.amdhsa_exception_fp_ieee_inexact 0
		.amdhsa_exception_int_div_zero 0
	.end_amdhsa_kernel
	.section	.text._ZN7rocprim17ROCPRIM_400000_NS6detail17trampoline_kernelINS0_14default_configENS1_25partition_config_selectorILNS1_17partition_subalgoE8ElNS0_10empty_typeEbEEZZNS1_14partition_implILS5_8ELb0ES3_jPlPS6_PKS6_NS0_5tupleIJS9_S6_EEENSD_IJSA_SA_EEENS0_18inequality_wrapperIZN2at6native12_GLOBAL__N_124unique_dim_cuda_templateIN3c104HalfEEESt5tupleIJNSH_6TensorESO_SO_EERKSO_lbbbEUlllE0_EEPmJS6_EEE10hipError_tPvRmT3_T4_T5_T6_T7_T9_mT8_P12ihipStream_tbDpT10_ENKUlT_T0_E_clISt17integral_constantIbLb0EES1D_IbLb1EEEEDaS19_S1A_EUlS19_E_NS1_11comp_targetILNS1_3genE5ELNS1_11target_archE942ELNS1_3gpuE9ELNS1_3repE0EEENS1_30default_config_static_selectorELNS0_4arch9wavefront6targetE1EEEvT1_,"axG",@progbits,_ZN7rocprim17ROCPRIM_400000_NS6detail17trampoline_kernelINS0_14default_configENS1_25partition_config_selectorILNS1_17partition_subalgoE8ElNS0_10empty_typeEbEEZZNS1_14partition_implILS5_8ELb0ES3_jPlPS6_PKS6_NS0_5tupleIJS9_S6_EEENSD_IJSA_SA_EEENS0_18inequality_wrapperIZN2at6native12_GLOBAL__N_124unique_dim_cuda_templateIN3c104HalfEEESt5tupleIJNSH_6TensorESO_SO_EERKSO_lbbbEUlllE0_EEPmJS6_EEE10hipError_tPvRmT3_T4_T5_T6_T7_T9_mT8_P12ihipStream_tbDpT10_ENKUlT_T0_E_clISt17integral_constantIbLb0EES1D_IbLb1EEEEDaS19_S1A_EUlS19_E_NS1_11comp_targetILNS1_3genE5ELNS1_11target_archE942ELNS1_3gpuE9ELNS1_3repE0EEENS1_30default_config_static_selectorELNS0_4arch9wavefront6targetE1EEEvT1_,comdat
.Lfunc_end1330:
	.size	_ZN7rocprim17ROCPRIM_400000_NS6detail17trampoline_kernelINS0_14default_configENS1_25partition_config_selectorILNS1_17partition_subalgoE8ElNS0_10empty_typeEbEEZZNS1_14partition_implILS5_8ELb0ES3_jPlPS6_PKS6_NS0_5tupleIJS9_S6_EEENSD_IJSA_SA_EEENS0_18inequality_wrapperIZN2at6native12_GLOBAL__N_124unique_dim_cuda_templateIN3c104HalfEEESt5tupleIJNSH_6TensorESO_SO_EERKSO_lbbbEUlllE0_EEPmJS6_EEE10hipError_tPvRmT3_T4_T5_T6_T7_T9_mT8_P12ihipStream_tbDpT10_ENKUlT_T0_E_clISt17integral_constantIbLb0EES1D_IbLb1EEEEDaS19_S1A_EUlS19_E_NS1_11comp_targetILNS1_3genE5ELNS1_11target_archE942ELNS1_3gpuE9ELNS1_3repE0EEENS1_30default_config_static_selectorELNS0_4arch9wavefront6targetE1EEEvT1_, .Lfunc_end1330-_ZN7rocprim17ROCPRIM_400000_NS6detail17trampoline_kernelINS0_14default_configENS1_25partition_config_selectorILNS1_17partition_subalgoE8ElNS0_10empty_typeEbEEZZNS1_14partition_implILS5_8ELb0ES3_jPlPS6_PKS6_NS0_5tupleIJS9_S6_EEENSD_IJSA_SA_EEENS0_18inequality_wrapperIZN2at6native12_GLOBAL__N_124unique_dim_cuda_templateIN3c104HalfEEESt5tupleIJNSH_6TensorESO_SO_EERKSO_lbbbEUlllE0_EEPmJS6_EEE10hipError_tPvRmT3_T4_T5_T6_T7_T9_mT8_P12ihipStream_tbDpT10_ENKUlT_T0_E_clISt17integral_constantIbLb0EES1D_IbLb1EEEEDaS19_S1A_EUlS19_E_NS1_11comp_targetILNS1_3genE5ELNS1_11target_archE942ELNS1_3gpuE9ELNS1_3repE0EEENS1_30default_config_static_selectorELNS0_4arch9wavefront6targetE1EEEvT1_
                                        ; -- End function
	.section	.AMDGPU.csdata,"",@progbits
; Kernel info:
; codeLenInByte = 13044
; NumSgprs: 62
; NumVgprs: 52
; NumAgprs: 0
; TotalNumVgprs: 52
; ScratchSize: 0
; MemoryBound: 0
; FloatMode: 240
; IeeeMode: 1
; LDSByteSize: 28684 bytes/workgroup (compile time only)
; SGPRBlocks: 7
; VGPRBlocks: 6
; NumSGPRsForWavesPerEU: 62
; NumVGPRsForWavesPerEU: 52
; AccumOffset: 52
; Occupancy: 4
; WaveLimiterHint : 1
; COMPUTE_PGM_RSRC2:SCRATCH_EN: 0
; COMPUTE_PGM_RSRC2:USER_SGPR: 2
; COMPUTE_PGM_RSRC2:TRAP_HANDLER: 0
; COMPUTE_PGM_RSRC2:TGID_X_EN: 1
; COMPUTE_PGM_RSRC2:TGID_Y_EN: 0
; COMPUTE_PGM_RSRC2:TGID_Z_EN: 0
; COMPUTE_PGM_RSRC2:TIDIG_COMP_CNT: 0
; COMPUTE_PGM_RSRC3_GFX90A:ACCUM_OFFSET: 12
; COMPUTE_PGM_RSRC3_GFX90A:TG_SPLIT: 0
	.section	.text._ZN7rocprim17ROCPRIM_400000_NS6detail17trampoline_kernelINS0_14default_configENS1_25partition_config_selectorILNS1_17partition_subalgoE8ElNS0_10empty_typeEbEEZZNS1_14partition_implILS5_8ELb0ES3_jPlPS6_PKS6_NS0_5tupleIJS9_S6_EEENSD_IJSA_SA_EEENS0_18inequality_wrapperIZN2at6native12_GLOBAL__N_124unique_dim_cuda_templateIN3c104HalfEEESt5tupleIJNSH_6TensorESO_SO_EERKSO_lbbbEUlllE0_EEPmJS6_EEE10hipError_tPvRmT3_T4_T5_T6_T7_T9_mT8_P12ihipStream_tbDpT10_ENKUlT_T0_E_clISt17integral_constantIbLb0EES1D_IbLb1EEEEDaS19_S1A_EUlS19_E_NS1_11comp_targetILNS1_3genE4ELNS1_11target_archE910ELNS1_3gpuE8ELNS1_3repE0EEENS1_30default_config_static_selectorELNS0_4arch9wavefront6targetE1EEEvT1_,"axG",@progbits,_ZN7rocprim17ROCPRIM_400000_NS6detail17trampoline_kernelINS0_14default_configENS1_25partition_config_selectorILNS1_17partition_subalgoE8ElNS0_10empty_typeEbEEZZNS1_14partition_implILS5_8ELb0ES3_jPlPS6_PKS6_NS0_5tupleIJS9_S6_EEENSD_IJSA_SA_EEENS0_18inequality_wrapperIZN2at6native12_GLOBAL__N_124unique_dim_cuda_templateIN3c104HalfEEESt5tupleIJNSH_6TensorESO_SO_EERKSO_lbbbEUlllE0_EEPmJS6_EEE10hipError_tPvRmT3_T4_T5_T6_T7_T9_mT8_P12ihipStream_tbDpT10_ENKUlT_T0_E_clISt17integral_constantIbLb0EES1D_IbLb1EEEEDaS19_S1A_EUlS19_E_NS1_11comp_targetILNS1_3genE4ELNS1_11target_archE910ELNS1_3gpuE8ELNS1_3repE0EEENS1_30default_config_static_selectorELNS0_4arch9wavefront6targetE1EEEvT1_,comdat
	.globl	_ZN7rocprim17ROCPRIM_400000_NS6detail17trampoline_kernelINS0_14default_configENS1_25partition_config_selectorILNS1_17partition_subalgoE8ElNS0_10empty_typeEbEEZZNS1_14partition_implILS5_8ELb0ES3_jPlPS6_PKS6_NS0_5tupleIJS9_S6_EEENSD_IJSA_SA_EEENS0_18inequality_wrapperIZN2at6native12_GLOBAL__N_124unique_dim_cuda_templateIN3c104HalfEEESt5tupleIJNSH_6TensorESO_SO_EERKSO_lbbbEUlllE0_EEPmJS6_EEE10hipError_tPvRmT3_T4_T5_T6_T7_T9_mT8_P12ihipStream_tbDpT10_ENKUlT_T0_E_clISt17integral_constantIbLb0EES1D_IbLb1EEEEDaS19_S1A_EUlS19_E_NS1_11comp_targetILNS1_3genE4ELNS1_11target_archE910ELNS1_3gpuE8ELNS1_3repE0EEENS1_30default_config_static_selectorELNS0_4arch9wavefront6targetE1EEEvT1_ ; -- Begin function _ZN7rocprim17ROCPRIM_400000_NS6detail17trampoline_kernelINS0_14default_configENS1_25partition_config_selectorILNS1_17partition_subalgoE8ElNS0_10empty_typeEbEEZZNS1_14partition_implILS5_8ELb0ES3_jPlPS6_PKS6_NS0_5tupleIJS9_S6_EEENSD_IJSA_SA_EEENS0_18inequality_wrapperIZN2at6native12_GLOBAL__N_124unique_dim_cuda_templateIN3c104HalfEEESt5tupleIJNSH_6TensorESO_SO_EERKSO_lbbbEUlllE0_EEPmJS6_EEE10hipError_tPvRmT3_T4_T5_T6_T7_T9_mT8_P12ihipStream_tbDpT10_ENKUlT_T0_E_clISt17integral_constantIbLb0EES1D_IbLb1EEEEDaS19_S1A_EUlS19_E_NS1_11comp_targetILNS1_3genE4ELNS1_11target_archE910ELNS1_3gpuE8ELNS1_3repE0EEENS1_30default_config_static_selectorELNS0_4arch9wavefront6targetE1EEEvT1_
	.p2align	8
	.type	_ZN7rocprim17ROCPRIM_400000_NS6detail17trampoline_kernelINS0_14default_configENS1_25partition_config_selectorILNS1_17partition_subalgoE8ElNS0_10empty_typeEbEEZZNS1_14partition_implILS5_8ELb0ES3_jPlPS6_PKS6_NS0_5tupleIJS9_S6_EEENSD_IJSA_SA_EEENS0_18inequality_wrapperIZN2at6native12_GLOBAL__N_124unique_dim_cuda_templateIN3c104HalfEEESt5tupleIJNSH_6TensorESO_SO_EERKSO_lbbbEUlllE0_EEPmJS6_EEE10hipError_tPvRmT3_T4_T5_T6_T7_T9_mT8_P12ihipStream_tbDpT10_ENKUlT_T0_E_clISt17integral_constantIbLb0EES1D_IbLb1EEEEDaS19_S1A_EUlS19_E_NS1_11comp_targetILNS1_3genE4ELNS1_11target_archE910ELNS1_3gpuE8ELNS1_3repE0EEENS1_30default_config_static_selectorELNS0_4arch9wavefront6targetE1EEEvT1_,@function
_ZN7rocprim17ROCPRIM_400000_NS6detail17trampoline_kernelINS0_14default_configENS1_25partition_config_selectorILNS1_17partition_subalgoE8ElNS0_10empty_typeEbEEZZNS1_14partition_implILS5_8ELb0ES3_jPlPS6_PKS6_NS0_5tupleIJS9_S6_EEENSD_IJSA_SA_EEENS0_18inequality_wrapperIZN2at6native12_GLOBAL__N_124unique_dim_cuda_templateIN3c104HalfEEESt5tupleIJNSH_6TensorESO_SO_EERKSO_lbbbEUlllE0_EEPmJS6_EEE10hipError_tPvRmT3_T4_T5_T6_T7_T9_mT8_P12ihipStream_tbDpT10_ENKUlT_T0_E_clISt17integral_constantIbLb0EES1D_IbLb1EEEEDaS19_S1A_EUlS19_E_NS1_11comp_targetILNS1_3genE4ELNS1_11target_archE910ELNS1_3gpuE8ELNS1_3repE0EEENS1_30default_config_static_selectorELNS0_4arch9wavefront6targetE1EEEvT1_: ; @_ZN7rocprim17ROCPRIM_400000_NS6detail17trampoline_kernelINS0_14default_configENS1_25partition_config_selectorILNS1_17partition_subalgoE8ElNS0_10empty_typeEbEEZZNS1_14partition_implILS5_8ELb0ES3_jPlPS6_PKS6_NS0_5tupleIJS9_S6_EEENSD_IJSA_SA_EEENS0_18inequality_wrapperIZN2at6native12_GLOBAL__N_124unique_dim_cuda_templateIN3c104HalfEEESt5tupleIJNSH_6TensorESO_SO_EERKSO_lbbbEUlllE0_EEPmJS6_EEE10hipError_tPvRmT3_T4_T5_T6_T7_T9_mT8_P12ihipStream_tbDpT10_ENKUlT_T0_E_clISt17integral_constantIbLb0EES1D_IbLb1EEEEDaS19_S1A_EUlS19_E_NS1_11comp_targetILNS1_3genE4ELNS1_11target_archE910ELNS1_3gpuE8ELNS1_3repE0EEENS1_30default_config_static_selectorELNS0_4arch9wavefront6targetE1EEEvT1_
; %bb.0:
	.section	.rodata,"a",@progbits
	.p2align	6, 0x0
	.amdhsa_kernel _ZN7rocprim17ROCPRIM_400000_NS6detail17trampoline_kernelINS0_14default_configENS1_25partition_config_selectorILNS1_17partition_subalgoE8ElNS0_10empty_typeEbEEZZNS1_14partition_implILS5_8ELb0ES3_jPlPS6_PKS6_NS0_5tupleIJS9_S6_EEENSD_IJSA_SA_EEENS0_18inequality_wrapperIZN2at6native12_GLOBAL__N_124unique_dim_cuda_templateIN3c104HalfEEESt5tupleIJNSH_6TensorESO_SO_EERKSO_lbbbEUlllE0_EEPmJS6_EEE10hipError_tPvRmT3_T4_T5_T6_T7_T9_mT8_P12ihipStream_tbDpT10_ENKUlT_T0_E_clISt17integral_constantIbLb0EES1D_IbLb1EEEEDaS19_S1A_EUlS19_E_NS1_11comp_targetILNS1_3genE4ELNS1_11target_archE910ELNS1_3gpuE8ELNS1_3repE0EEENS1_30default_config_static_selectorELNS0_4arch9wavefront6targetE1EEEvT1_
		.amdhsa_group_segment_fixed_size 0
		.amdhsa_private_segment_fixed_size 0
		.amdhsa_kernarg_size 136
		.amdhsa_user_sgpr_count 2
		.amdhsa_user_sgpr_dispatch_ptr 0
		.amdhsa_user_sgpr_queue_ptr 0
		.amdhsa_user_sgpr_kernarg_segment_ptr 1
		.amdhsa_user_sgpr_dispatch_id 0
		.amdhsa_user_sgpr_kernarg_preload_length 0
		.amdhsa_user_sgpr_kernarg_preload_offset 0
		.amdhsa_user_sgpr_private_segment_size 0
		.amdhsa_uses_dynamic_stack 0
		.amdhsa_enable_private_segment 0
		.amdhsa_system_sgpr_workgroup_id_x 1
		.amdhsa_system_sgpr_workgroup_id_y 0
		.amdhsa_system_sgpr_workgroup_id_z 0
		.amdhsa_system_sgpr_workgroup_info 0
		.amdhsa_system_vgpr_workitem_id 0
		.amdhsa_next_free_vgpr 1
		.amdhsa_next_free_sgpr 0
		.amdhsa_accum_offset 4
		.amdhsa_reserve_vcc 0
		.amdhsa_float_round_mode_32 0
		.amdhsa_float_round_mode_16_64 0
		.amdhsa_float_denorm_mode_32 3
		.amdhsa_float_denorm_mode_16_64 3
		.amdhsa_dx10_clamp 1
		.amdhsa_ieee_mode 1
		.amdhsa_fp16_overflow 0
		.amdhsa_tg_split 0
		.amdhsa_exception_fp_ieee_invalid_op 0
		.amdhsa_exception_fp_denorm_src 0
		.amdhsa_exception_fp_ieee_div_zero 0
		.amdhsa_exception_fp_ieee_overflow 0
		.amdhsa_exception_fp_ieee_underflow 0
		.amdhsa_exception_fp_ieee_inexact 0
		.amdhsa_exception_int_div_zero 0
	.end_amdhsa_kernel
	.section	.text._ZN7rocprim17ROCPRIM_400000_NS6detail17trampoline_kernelINS0_14default_configENS1_25partition_config_selectorILNS1_17partition_subalgoE8ElNS0_10empty_typeEbEEZZNS1_14partition_implILS5_8ELb0ES3_jPlPS6_PKS6_NS0_5tupleIJS9_S6_EEENSD_IJSA_SA_EEENS0_18inequality_wrapperIZN2at6native12_GLOBAL__N_124unique_dim_cuda_templateIN3c104HalfEEESt5tupleIJNSH_6TensorESO_SO_EERKSO_lbbbEUlllE0_EEPmJS6_EEE10hipError_tPvRmT3_T4_T5_T6_T7_T9_mT8_P12ihipStream_tbDpT10_ENKUlT_T0_E_clISt17integral_constantIbLb0EES1D_IbLb1EEEEDaS19_S1A_EUlS19_E_NS1_11comp_targetILNS1_3genE4ELNS1_11target_archE910ELNS1_3gpuE8ELNS1_3repE0EEENS1_30default_config_static_selectorELNS0_4arch9wavefront6targetE1EEEvT1_,"axG",@progbits,_ZN7rocprim17ROCPRIM_400000_NS6detail17trampoline_kernelINS0_14default_configENS1_25partition_config_selectorILNS1_17partition_subalgoE8ElNS0_10empty_typeEbEEZZNS1_14partition_implILS5_8ELb0ES3_jPlPS6_PKS6_NS0_5tupleIJS9_S6_EEENSD_IJSA_SA_EEENS0_18inequality_wrapperIZN2at6native12_GLOBAL__N_124unique_dim_cuda_templateIN3c104HalfEEESt5tupleIJNSH_6TensorESO_SO_EERKSO_lbbbEUlllE0_EEPmJS6_EEE10hipError_tPvRmT3_T4_T5_T6_T7_T9_mT8_P12ihipStream_tbDpT10_ENKUlT_T0_E_clISt17integral_constantIbLb0EES1D_IbLb1EEEEDaS19_S1A_EUlS19_E_NS1_11comp_targetILNS1_3genE4ELNS1_11target_archE910ELNS1_3gpuE8ELNS1_3repE0EEENS1_30default_config_static_selectorELNS0_4arch9wavefront6targetE1EEEvT1_,comdat
.Lfunc_end1331:
	.size	_ZN7rocprim17ROCPRIM_400000_NS6detail17trampoline_kernelINS0_14default_configENS1_25partition_config_selectorILNS1_17partition_subalgoE8ElNS0_10empty_typeEbEEZZNS1_14partition_implILS5_8ELb0ES3_jPlPS6_PKS6_NS0_5tupleIJS9_S6_EEENSD_IJSA_SA_EEENS0_18inequality_wrapperIZN2at6native12_GLOBAL__N_124unique_dim_cuda_templateIN3c104HalfEEESt5tupleIJNSH_6TensorESO_SO_EERKSO_lbbbEUlllE0_EEPmJS6_EEE10hipError_tPvRmT3_T4_T5_T6_T7_T9_mT8_P12ihipStream_tbDpT10_ENKUlT_T0_E_clISt17integral_constantIbLb0EES1D_IbLb1EEEEDaS19_S1A_EUlS19_E_NS1_11comp_targetILNS1_3genE4ELNS1_11target_archE910ELNS1_3gpuE8ELNS1_3repE0EEENS1_30default_config_static_selectorELNS0_4arch9wavefront6targetE1EEEvT1_, .Lfunc_end1331-_ZN7rocprim17ROCPRIM_400000_NS6detail17trampoline_kernelINS0_14default_configENS1_25partition_config_selectorILNS1_17partition_subalgoE8ElNS0_10empty_typeEbEEZZNS1_14partition_implILS5_8ELb0ES3_jPlPS6_PKS6_NS0_5tupleIJS9_S6_EEENSD_IJSA_SA_EEENS0_18inequality_wrapperIZN2at6native12_GLOBAL__N_124unique_dim_cuda_templateIN3c104HalfEEESt5tupleIJNSH_6TensorESO_SO_EERKSO_lbbbEUlllE0_EEPmJS6_EEE10hipError_tPvRmT3_T4_T5_T6_T7_T9_mT8_P12ihipStream_tbDpT10_ENKUlT_T0_E_clISt17integral_constantIbLb0EES1D_IbLb1EEEEDaS19_S1A_EUlS19_E_NS1_11comp_targetILNS1_3genE4ELNS1_11target_archE910ELNS1_3gpuE8ELNS1_3repE0EEENS1_30default_config_static_selectorELNS0_4arch9wavefront6targetE1EEEvT1_
                                        ; -- End function
	.section	.AMDGPU.csdata,"",@progbits
; Kernel info:
; codeLenInByte = 0
; NumSgprs: 6
; NumVgprs: 0
; NumAgprs: 0
; TotalNumVgprs: 0
; ScratchSize: 0
; MemoryBound: 0
; FloatMode: 240
; IeeeMode: 1
; LDSByteSize: 0 bytes/workgroup (compile time only)
; SGPRBlocks: 0
; VGPRBlocks: 0
; NumSGPRsForWavesPerEU: 6
; NumVGPRsForWavesPerEU: 1
; AccumOffset: 4
; Occupancy: 8
; WaveLimiterHint : 0
; COMPUTE_PGM_RSRC2:SCRATCH_EN: 0
; COMPUTE_PGM_RSRC2:USER_SGPR: 2
; COMPUTE_PGM_RSRC2:TRAP_HANDLER: 0
; COMPUTE_PGM_RSRC2:TGID_X_EN: 1
; COMPUTE_PGM_RSRC2:TGID_Y_EN: 0
; COMPUTE_PGM_RSRC2:TGID_Z_EN: 0
; COMPUTE_PGM_RSRC2:TIDIG_COMP_CNT: 0
; COMPUTE_PGM_RSRC3_GFX90A:ACCUM_OFFSET: 0
; COMPUTE_PGM_RSRC3_GFX90A:TG_SPLIT: 0
	.section	.text._ZN7rocprim17ROCPRIM_400000_NS6detail17trampoline_kernelINS0_14default_configENS1_25partition_config_selectorILNS1_17partition_subalgoE8ElNS0_10empty_typeEbEEZZNS1_14partition_implILS5_8ELb0ES3_jPlPS6_PKS6_NS0_5tupleIJS9_S6_EEENSD_IJSA_SA_EEENS0_18inequality_wrapperIZN2at6native12_GLOBAL__N_124unique_dim_cuda_templateIN3c104HalfEEESt5tupleIJNSH_6TensorESO_SO_EERKSO_lbbbEUlllE0_EEPmJS6_EEE10hipError_tPvRmT3_T4_T5_T6_T7_T9_mT8_P12ihipStream_tbDpT10_ENKUlT_T0_E_clISt17integral_constantIbLb0EES1D_IbLb1EEEEDaS19_S1A_EUlS19_E_NS1_11comp_targetILNS1_3genE3ELNS1_11target_archE908ELNS1_3gpuE7ELNS1_3repE0EEENS1_30default_config_static_selectorELNS0_4arch9wavefront6targetE1EEEvT1_,"axG",@progbits,_ZN7rocprim17ROCPRIM_400000_NS6detail17trampoline_kernelINS0_14default_configENS1_25partition_config_selectorILNS1_17partition_subalgoE8ElNS0_10empty_typeEbEEZZNS1_14partition_implILS5_8ELb0ES3_jPlPS6_PKS6_NS0_5tupleIJS9_S6_EEENSD_IJSA_SA_EEENS0_18inequality_wrapperIZN2at6native12_GLOBAL__N_124unique_dim_cuda_templateIN3c104HalfEEESt5tupleIJNSH_6TensorESO_SO_EERKSO_lbbbEUlllE0_EEPmJS6_EEE10hipError_tPvRmT3_T4_T5_T6_T7_T9_mT8_P12ihipStream_tbDpT10_ENKUlT_T0_E_clISt17integral_constantIbLb0EES1D_IbLb1EEEEDaS19_S1A_EUlS19_E_NS1_11comp_targetILNS1_3genE3ELNS1_11target_archE908ELNS1_3gpuE7ELNS1_3repE0EEENS1_30default_config_static_selectorELNS0_4arch9wavefront6targetE1EEEvT1_,comdat
	.globl	_ZN7rocprim17ROCPRIM_400000_NS6detail17trampoline_kernelINS0_14default_configENS1_25partition_config_selectorILNS1_17partition_subalgoE8ElNS0_10empty_typeEbEEZZNS1_14partition_implILS5_8ELb0ES3_jPlPS6_PKS6_NS0_5tupleIJS9_S6_EEENSD_IJSA_SA_EEENS0_18inequality_wrapperIZN2at6native12_GLOBAL__N_124unique_dim_cuda_templateIN3c104HalfEEESt5tupleIJNSH_6TensorESO_SO_EERKSO_lbbbEUlllE0_EEPmJS6_EEE10hipError_tPvRmT3_T4_T5_T6_T7_T9_mT8_P12ihipStream_tbDpT10_ENKUlT_T0_E_clISt17integral_constantIbLb0EES1D_IbLb1EEEEDaS19_S1A_EUlS19_E_NS1_11comp_targetILNS1_3genE3ELNS1_11target_archE908ELNS1_3gpuE7ELNS1_3repE0EEENS1_30default_config_static_selectorELNS0_4arch9wavefront6targetE1EEEvT1_ ; -- Begin function _ZN7rocprim17ROCPRIM_400000_NS6detail17trampoline_kernelINS0_14default_configENS1_25partition_config_selectorILNS1_17partition_subalgoE8ElNS0_10empty_typeEbEEZZNS1_14partition_implILS5_8ELb0ES3_jPlPS6_PKS6_NS0_5tupleIJS9_S6_EEENSD_IJSA_SA_EEENS0_18inequality_wrapperIZN2at6native12_GLOBAL__N_124unique_dim_cuda_templateIN3c104HalfEEESt5tupleIJNSH_6TensorESO_SO_EERKSO_lbbbEUlllE0_EEPmJS6_EEE10hipError_tPvRmT3_T4_T5_T6_T7_T9_mT8_P12ihipStream_tbDpT10_ENKUlT_T0_E_clISt17integral_constantIbLb0EES1D_IbLb1EEEEDaS19_S1A_EUlS19_E_NS1_11comp_targetILNS1_3genE3ELNS1_11target_archE908ELNS1_3gpuE7ELNS1_3repE0EEENS1_30default_config_static_selectorELNS0_4arch9wavefront6targetE1EEEvT1_
	.p2align	8
	.type	_ZN7rocprim17ROCPRIM_400000_NS6detail17trampoline_kernelINS0_14default_configENS1_25partition_config_selectorILNS1_17partition_subalgoE8ElNS0_10empty_typeEbEEZZNS1_14partition_implILS5_8ELb0ES3_jPlPS6_PKS6_NS0_5tupleIJS9_S6_EEENSD_IJSA_SA_EEENS0_18inequality_wrapperIZN2at6native12_GLOBAL__N_124unique_dim_cuda_templateIN3c104HalfEEESt5tupleIJNSH_6TensorESO_SO_EERKSO_lbbbEUlllE0_EEPmJS6_EEE10hipError_tPvRmT3_T4_T5_T6_T7_T9_mT8_P12ihipStream_tbDpT10_ENKUlT_T0_E_clISt17integral_constantIbLb0EES1D_IbLb1EEEEDaS19_S1A_EUlS19_E_NS1_11comp_targetILNS1_3genE3ELNS1_11target_archE908ELNS1_3gpuE7ELNS1_3repE0EEENS1_30default_config_static_selectorELNS0_4arch9wavefront6targetE1EEEvT1_,@function
_ZN7rocprim17ROCPRIM_400000_NS6detail17trampoline_kernelINS0_14default_configENS1_25partition_config_selectorILNS1_17partition_subalgoE8ElNS0_10empty_typeEbEEZZNS1_14partition_implILS5_8ELb0ES3_jPlPS6_PKS6_NS0_5tupleIJS9_S6_EEENSD_IJSA_SA_EEENS0_18inequality_wrapperIZN2at6native12_GLOBAL__N_124unique_dim_cuda_templateIN3c104HalfEEESt5tupleIJNSH_6TensorESO_SO_EERKSO_lbbbEUlllE0_EEPmJS6_EEE10hipError_tPvRmT3_T4_T5_T6_T7_T9_mT8_P12ihipStream_tbDpT10_ENKUlT_T0_E_clISt17integral_constantIbLb0EES1D_IbLb1EEEEDaS19_S1A_EUlS19_E_NS1_11comp_targetILNS1_3genE3ELNS1_11target_archE908ELNS1_3gpuE7ELNS1_3repE0EEENS1_30default_config_static_selectorELNS0_4arch9wavefront6targetE1EEEvT1_: ; @_ZN7rocprim17ROCPRIM_400000_NS6detail17trampoline_kernelINS0_14default_configENS1_25partition_config_selectorILNS1_17partition_subalgoE8ElNS0_10empty_typeEbEEZZNS1_14partition_implILS5_8ELb0ES3_jPlPS6_PKS6_NS0_5tupleIJS9_S6_EEENSD_IJSA_SA_EEENS0_18inequality_wrapperIZN2at6native12_GLOBAL__N_124unique_dim_cuda_templateIN3c104HalfEEESt5tupleIJNSH_6TensorESO_SO_EERKSO_lbbbEUlllE0_EEPmJS6_EEE10hipError_tPvRmT3_T4_T5_T6_T7_T9_mT8_P12ihipStream_tbDpT10_ENKUlT_T0_E_clISt17integral_constantIbLb0EES1D_IbLb1EEEEDaS19_S1A_EUlS19_E_NS1_11comp_targetILNS1_3genE3ELNS1_11target_archE908ELNS1_3gpuE7ELNS1_3repE0EEENS1_30default_config_static_selectorELNS0_4arch9wavefront6targetE1EEEvT1_
; %bb.0:
	.section	.rodata,"a",@progbits
	.p2align	6, 0x0
	.amdhsa_kernel _ZN7rocprim17ROCPRIM_400000_NS6detail17trampoline_kernelINS0_14default_configENS1_25partition_config_selectorILNS1_17partition_subalgoE8ElNS0_10empty_typeEbEEZZNS1_14partition_implILS5_8ELb0ES3_jPlPS6_PKS6_NS0_5tupleIJS9_S6_EEENSD_IJSA_SA_EEENS0_18inequality_wrapperIZN2at6native12_GLOBAL__N_124unique_dim_cuda_templateIN3c104HalfEEESt5tupleIJNSH_6TensorESO_SO_EERKSO_lbbbEUlllE0_EEPmJS6_EEE10hipError_tPvRmT3_T4_T5_T6_T7_T9_mT8_P12ihipStream_tbDpT10_ENKUlT_T0_E_clISt17integral_constantIbLb0EES1D_IbLb1EEEEDaS19_S1A_EUlS19_E_NS1_11comp_targetILNS1_3genE3ELNS1_11target_archE908ELNS1_3gpuE7ELNS1_3repE0EEENS1_30default_config_static_selectorELNS0_4arch9wavefront6targetE1EEEvT1_
		.amdhsa_group_segment_fixed_size 0
		.amdhsa_private_segment_fixed_size 0
		.amdhsa_kernarg_size 136
		.amdhsa_user_sgpr_count 2
		.amdhsa_user_sgpr_dispatch_ptr 0
		.amdhsa_user_sgpr_queue_ptr 0
		.amdhsa_user_sgpr_kernarg_segment_ptr 1
		.amdhsa_user_sgpr_dispatch_id 0
		.amdhsa_user_sgpr_kernarg_preload_length 0
		.amdhsa_user_sgpr_kernarg_preload_offset 0
		.amdhsa_user_sgpr_private_segment_size 0
		.amdhsa_uses_dynamic_stack 0
		.amdhsa_enable_private_segment 0
		.amdhsa_system_sgpr_workgroup_id_x 1
		.amdhsa_system_sgpr_workgroup_id_y 0
		.amdhsa_system_sgpr_workgroup_id_z 0
		.amdhsa_system_sgpr_workgroup_info 0
		.amdhsa_system_vgpr_workitem_id 0
		.amdhsa_next_free_vgpr 1
		.amdhsa_next_free_sgpr 0
		.amdhsa_accum_offset 4
		.amdhsa_reserve_vcc 0
		.amdhsa_float_round_mode_32 0
		.amdhsa_float_round_mode_16_64 0
		.amdhsa_float_denorm_mode_32 3
		.amdhsa_float_denorm_mode_16_64 3
		.amdhsa_dx10_clamp 1
		.amdhsa_ieee_mode 1
		.amdhsa_fp16_overflow 0
		.amdhsa_tg_split 0
		.amdhsa_exception_fp_ieee_invalid_op 0
		.amdhsa_exception_fp_denorm_src 0
		.amdhsa_exception_fp_ieee_div_zero 0
		.amdhsa_exception_fp_ieee_overflow 0
		.amdhsa_exception_fp_ieee_underflow 0
		.amdhsa_exception_fp_ieee_inexact 0
		.amdhsa_exception_int_div_zero 0
	.end_amdhsa_kernel
	.section	.text._ZN7rocprim17ROCPRIM_400000_NS6detail17trampoline_kernelINS0_14default_configENS1_25partition_config_selectorILNS1_17partition_subalgoE8ElNS0_10empty_typeEbEEZZNS1_14partition_implILS5_8ELb0ES3_jPlPS6_PKS6_NS0_5tupleIJS9_S6_EEENSD_IJSA_SA_EEENS0_18inequality_wrapperIZN2at6native12_GLOBAL__N_124unique_dim_cuda_templateIN3c104HalfEEESt5tupleIJNSH_6TensorESO_SO_EERKSO_lbbbEUlllE0_EEPmJS6_EEE10hipError_tPvRmT3_T4_T5_T6_T7_T9_mT8_P12ihipStream_tbDpT10_ENKUlT_T0_E_clISt17integral_constantIbLb0EES1D_IbLb1EEEEDaS19_S1A_EUlS19_E_NS1_11comp_targetILNS1_3genE3ELNS1_11target_archE908ELNS1_3gpuE7ELNS1_3repE0EEENS1_30default_config_static_selectorELNS0_4arch9wavefront6targetE1EEEvT1_,"axG",@progbits,_ZN7rocprim17ROCPRIM_400000_NS6detail17trampoline_kernelINS0_14default_configENS1_25partition_config_selectorILNS1_17partition_subalgoE8ElNS0_10empty_typeEbEEZZNS1_14partition_implILS5_8ELb0ES3_jPlPS6_PKS6_NS0_5tupleIJS9_S6_EEENSD_IJSA_SA_EEENS0_18inequality_wrapperIZN2at6native12_GLOBAL__N_124unique_dim_cuda_templateIN3c104HalfEEESt5tupleIJNSH_6TensorESO_SO_EERKSO_lbbbEUlllE0_EEPmJS6_EEE10hipError_tPvRmT3_T4_T5_T6_T7_T9_mT8_P12ihipStream_tbDpT10_ENKUlT_T0_E_clISt17integral_constantIbLb0EES1D_IbLb1EEEEDaS19_S1A_EUlS19_E_NS1_11comp_targetILNS1_3genE3ELNS1_11target_archE908ELNS1_3gpuE7ELNS1_3repE0EEENS1_30default_config_static_selectorELNS0_4arch9wavefront6targetE1EEEvT1_,comdat
.Lfunc_end1332:
	.size	_ZN7rocprim17ROCPRIM_400000_NS6detail17trampoline_kernelINS0_14default_configENS1_25partition_config_selectorILNS1_17partition_subalgoE8ElNS0_10empty_typeEbEEZZNS1_14partition_implILS5_8ELb0ES3_jPlPS6_PKS6_NS0_5tupleIJS9_S6_EEENSD_IJSA_SA_EEENS0_18inequality_wrapperIZN2at6native12_GLOBAL__N_124unique_dim_cuda_templateIN3c104HalfEEESt5tupleIJNSH_6TensorESO_SO_EERKSO_lbbbEUlllE0_EEPmJS6_EEE10hipError_tPvRmT3_T4_T5_T6_T7_T9_mT8_P12ihipStream_tbDpT10_ENKUlT_T0_E_clISt17integral_constantIbLb0EES1D_IbLb1EEEEDaS19_S1A_EUlS19_E_NS1_11comp_targetILNS1_3genE3ELNS1_11target_archE908ELNS1_3gpuE7ELNS1_3repE0EEENS1_30default_config_static_selectorELNS0_4arch9wavefront6targetE1EEEvT1_, .Lfunc_end1332-_ZN7rocprim17ROCPRIM_400000_NS6detail17trampoline_kernelINS0_14default_configENS1_25partition_config_selectorILNS1_17partition_subalgoE8ElNS0_10empty_typeEbEEZZNS1_14partition_implILS5_8ELb0ES3_jPlPS6_PKS6_NS0_5tupleIJS9_S6_EEENSD_IJSA_SA_EEENS0_18inequality_wrapperIZN2at6native12_GLOBAL__N_124unique_dim_cuda_templateIN3c104HalfEEESt5tupleIJNSH_6TensorESO_SO_EERKSO_lbbbEUlllE0_EEPmJS6_EEE10hipError_tPvRmT3_T4_T5_T6_T7_T9_mT8_P12ihipStream_tbDpT10_ENKUlT_T0_E_clISt17integral_constantIbLb0EES1D_IbLb1EEEEDaS19_S1A_EUlS19_E_NS1_11comp_targetILNS1_3genE3ELNS1_11target_archE908ELNS1_3gpuE7ELNS1_3repE0EEENS1_30default_config_static_selectorELNS0_4arch9wavefront6targetE1EEEvT1_
                                        ; -- End function
	.section	.AMDGPU.csdata,"",@progbits
; Kernel info:
; codeLenInByte = 0
; NumSgprs: 6
; NumVgprs: 0
; NumAgprs: 0
; TotalNumVgprs: 0
; ScratchSize: 0
; MemoryBound: 0
; FloatMode: 240
; IeeeMode: 1
; LDSByteSize: 0 bytes/workgroup (compile time only)
; SGPRBlocks: 0
; VGPRBlocks: 0
; NumSGPRsForWavesPerEU: 6
; NumVGPRsForWavesPerEU: 1
; AccumOffset: 4
; Occupancy: 8
; WaveLimiterHint : 0
; COMPUTE_PGM_RSRC2:SCRATCH_EN: 0
; COMPUTE_PGM_RSRC2:USER_SGPR: 2
; COMPUTE_PGM_RSRC2:TRAP_HANDLER: 0
; COMPUTE_PGM_RSRC2:TGID_X_EN: 1
; COMPUTE_PGM_RSRC2:TGID_Y_EN: 0
; COMPUTE_PGM_RSRC2:TGID_Z_EN: 0
; COMPUTE_PGM_RSRC2:TIDIG_COMP_CNT: 0
; COMPUTE_PGM_RSRC3_GFX90A:ACCUM_OFFSET: 0
; COMPUTE_PGM_RSRC3_GFX90A:TG_SPLIT: 0
	.section	.text._ZN7rocprim17ROCPRIM_400000_NS6detail17trampoline_kernelINS0_14default_configENS1_25partition_config_selectorILNS1_17partition_subalgoE8ElNS0_10empty_typeEbEEZZNS1_14partition_implILS5_8ELb0ES3_jPlPS6_PKS6_NS0_5tupleIJS9_S6_EEENSD_IJSA_SA_EEENS0_18inequality_wrapperIZN2at6native12_GLOBAL__N_124unique_dim_cuda_templateIN3c104HalfEEESt5tupleIJNSH_6TensorESO_SO_EERKSO_lbbbEUlllE0_EEPmJS6_EEE10hipError_tPvRmT3_T4_T5_T6_T7_T9_mT8_P12ihipStream_tbDpT10_ENKUlT_T0_E_clISt17integral_constantIbLb0EES1D_IbLb1EEEEDaS19_S1A_EUlS19_E_NS1_11comp_targetILNS1_3genE2ELNS1_11target_archE906ELNS1_3gpuE6ELNS1_3repE0EEENS1_30default_config_static_selectorELNS0_4arch9wavefront6targetE1EEEvT1_,"axG",@progbits,_ZN7rocprim17ROCPRIM_400000_NS6detail17trampoline_kernelINS0_14default_configENS1_25partition_config_selectorILNS1_17partition_subalgoE8ElNS0_10empty_typeEbEEZZNS1_14partition_implILS5_8ELb0ES3_jPlPS6_PKS6_NS0_5tupleIJS9_S6_EEENSD_IJSA_SA_EEENS0_18inequality_wrapperIZN2at6native12_GLOBAL__N_124unique_dim_cuda_templateIN3c104HalfEEESt5tupleIJNSH_6TensorESO_SO_EERKSO_lbbbEUlllE0_EEPmJS6_EEE10hipError_tPvRmT3_T4_T5_T6_T7_T9_mT8_P12ihipStream_tbDpT10_ENKUlT_T0_E_clISt17integral_constantIbLb0EES1D_IbLb1EEEEDaS19_S1A_EUlS19_E_NS1_11comp_targetILNS1_3genE2ELNS1_11target_archE906ELNS1_3gpuE6ELNS1_3repE0EEENS1_30default_config_static_selectorELNS0_4arch9wavefront6targetE1EEEvT1_,comdat
	.globl	_ZN7rocprim17ROCPRIM_400000_NS6detail17trampoline_kernelINS0_14default_configENS1_25partition_config_selectorILNS1_17partition_subalgoE8ElNS0_10empty_typeEbEEZZNS1_14partition_implILS5_8ELb0ES3_jPlPS6_PKS6_NS0_5tupleIJS9_S6_EEENSD_IJSA_SA_EEENS0_18inequality_wrapperIZN2at6native12_GLOBAL__N_124unique_dim_cuda_templateIN3c104HalfEEESt5tupleIJNSH_6TensorESO_SO_EERKSO_lbbbEUlllE0_EEPmJS6_EEE10hipError_tPvRmT3_T4_T5_T6_T7_T9_mT8_P12ihipStream_tbDpT10_ENKUlT_T0_E_clISt17integral_constantIbLb0EES1D_IbLb1EEEEDaS19_S1A_EUlS19_E_NS1_11comp_targetILNS1_3genE2ELNS1_11target_archE906ELNS1_3gpuE6ELNS1_3repE0EEENS1_30default_config_static_selectorELNS0_4arch9wavefront6targetE1EEEvT1_ ; -- Begin function _ZN7rocprim17ROCPRIM_400000_NS6detail17trampoline_kernelINS0_14default_configENS1_25partition_config_selectorILNS1_17partition_subalgoE8ElNS0_10empty_typeEbEEZZNS1_14partition_implILS5_8ELb0ES3_jPlPS6_PKS6_NS0_5tupleIJS9_S6_EEENSD_IJSA_SA_EEENS0_18inequality_wrapperIZN2at6native12_GLOBAL__N_124unique_dim_cuda_templateIN3c104HalfEEESt5tupleIJNSH_6TensorESO_SO_EERKSO_lbbbEUlllE0_EEPmJS6_EEE10hipError_tPvRmT3_T4_T5_T6_T7_T9_mT8_P12ihipStream_tbDpT10_ENKUlT_T0_E_clISt17integral_constantIbLb0EES1D_IbLb1EEEEDaS19_S1A_EUlS19_E_NS1_11comp_targetILNS1_3genE2ELNS1_11target_archE906ELNS1_3gpuE6ELNS1_3repE0EEENS1_30default_config_static_selectorELNS0_4arch9wavefront6targetE1EEEvT1_
	.p2align	8
	.type	_ZN7rocprim17ROCPRIM_400000_NS6detail17trampoline_kernelINS0_14default_configENS1_25partition_config_selectorILNS1_17partition_subalgoE8ElNS0_10empty_typeEbEEZZNS1_14partition_implILS5_8ELb0ES3_jPlPS6_PKS6_NS0_5tupleIJS9_S6_EEENSD_IJSA_SA_EEENS0_18inequality_wrapperIZN2at6native12_GLOBAL__N_124unique_dim_cuda_templateIN3c104HalfEEESt5tupleIJNSH_6TensorESO_SO_EERKSO_lbbbEUlllE0_EEPmJS6_EEE10hipError_tPvRmT3_T4_T5_T6_T7_T9_mT8_P12ihipStream_tbDpT10_ENKUlT_T0_E_clISt17integral_constantIbLb0EES1D_IbLb1EEEEDaS19_S1A_EUlS19_E_NS1_11comp_targetILNS1_3genE2ELNS1_11target_archE906ELNS1_3gpuE6ELNS1_3repE0EEENS1_30default_config_static_selectorELNS0_4arch9wavefront6targetE1EEEvT1_,@function
_ZN7rocprim17ROCPRIM_400000_NS6detail17trampoline_kernelINS0_14default_configENS1_25partition_config_selectorILNS1_17partition_subalgoE8ElNS0_10empty_typeEbEEZZNS1_14partition_implILS5_8ELb0ES3_jPlPS6_PKS6_NS0_5tupleIJS9_S6_EEENSD_IJSA_SA_EEENS0_18inequality_wrapperIZN2at6native12_GLOBAL__N_124unique_dim_cuda_templateIN3c104HalfEEESt5tupleIJNSH_6TensorESO_SO_EERKSO_lbbbEUlllE0_EEPmJS6_EEE10hipError_tPvRmT3_T4_T5_T6_T7_T9_mT8_P12ihipStream_tbDpT10_ENKUlT_T0_E_clISt17integral_constantIbLb0EES1D_IbLb1EEEEDaS19_S1A_EUlS19_E_NS1_11comp_targetILNS1_3genE2ELNS1_11target_archE906ELNS1_3gpuE6ELNS1_3repE0EEENS1_30default_config_static_selectorELNS0_4arch9wavefront6targetE1EEEvT1_: ; @_ZN7rocprim17ROCPRIM_400000_NS6detail17trampoline_kernelINS0_14default_configENS1_25partition_config_selectorILNS1_17partition_subalgoE8ElNS0_10empty_typeEbEEZZNS1_14partition_implILS5_8ELb0ES3_jPlPS6_PKS6_NS0_5tupleIJS9_S6_EEENSD_IJSA_SA_EEENS0_18inequality_wrapperIZN2at6native12_GLOBAL__N_124unique_dim_cuda_templateIN3c104HalfEEESt5tupleIJNSH_6TensorESO_SO_EERKSO_lbbbEUlllE0_EEPmJS6_EEE10hipError_tPvRmT3_T4_T5_T6_T7_T9_mT8_P12ihipStream_tbDpT10_ENKUlT_T0_E_clISt17integral_constantIbLb0EES1D_IbLb1EEEEDaS19_S1A_EUlS19_E_NS1_11comp_targetILNS1_3genE2ELNS1_11target_archE906ELNS1_3gpuE6ELNS1_3repE0EEENS1_30default_config_static_selectorELNS0_4arch9wavefront6targetE1EEEvT1_
; %bb.0:
	.section	.rodata,"a",@progbits
	.p2align	6, 0x0
	.amdhsa_kernel _ZN7rocprim17ROCPRIM_400000_NS6detail17trampoline_kernelINS0_14default_configENS1_25partition_config_selectorILNS1_17partition_subalgoE8ElNS0_10empty_typeEbEEZZNS1_14partition_implILS5_8ELb0ES3_jPlPS6_PKS6_NS0_5tupleIJS9_S6_EEENSD_IJSA_SA_EEENS0_18inequality_wrapperIZN2at6native12_GLOBAL__N_124unique_dim_cuda_templateIN3c104HalfEEESt5tupleIJNSH_6TensorESO_SO_EERKSO_lbbbEUlllE0_EEPmJS6_EEE10hipError_tPvRmT3_T4_T5_T6_T7_T9_mT8_P12ihipStream_tbDpT10_ENKUlT_T0_E_clISt17integral_constantIbLb0EES1D_IbLb1EEEEDaS19_S1A_EUlS19_E_NS1_11comp_targetILNS1_3genE2ELNS1_11target_archE906ELNS1_3gpuE6ELNS1_3repE0EEENS1_30default_config_static_selectorELNS0_4arch9wavefront6targetE1EEEvT1_
		.amdhsa_group_segment_fixed_size 0
		.amdhsa_private_segment_fixed_size 0
		.amdhsa_kernarg_size 136
		.amdhsa_user_sgpr_count 2
		.amdhsa_user_sgpr_dispatch_ptr 0
		.amdhsa_user_sgpr_queue_ptr 0
		.amdhsa_user_sgpr_kernarg_segment_ptr 1
		.amdhsa_user_sgpr_dispatch_id 0
		.amdhsa_user_sgpr_kernarg_preload_length 0
		.amdhsa_user_sgpr_kernarg_preload_offset 0
		.amdhsa_user_sgpr_private_segment_size 0
		.amdhsa_uses_dynamic_stack 0
		.amdhsa_enable_private_segment 0
		.amdhsa_system_sgpr_workgroup_id_x 1
		.amdhsa_system_sgpr_workgroup_id_y 0
		.amdhsa_system_sgpr_workgroup_id_z 0
		.amdhsa_system_sgpr_workgroup_info 0
		.amdhsa_system_vgpr_workitem_id 0
		.amdhsa_next_free_vgpr 1
		.amdhsa_next_free_sgpr 0
		.amdhsa_accum_offset 4
		.amdhsa_reserve_vcc 0
		.amdhsa_float_round_mode_32 0
		.amdhsa_float_round_mode_16_64 0
		.amdhsa_float_denorm_mode_32 3
		.amdhsa_float_denorm_mode_16_64 3
		.amdhsa_dx10_clamp 1
		.amdhsa_ieee_mode 1
		.amdhsa_fp16_overflow 0
		.amdhsa_tg_split 0
		.amdhsa_exception_fp_ieee_invalid_op 0
		.amdhsa_exception_fp_denorm_src 0
		.amdhsa_exception_fp_ieee_div_zero 0
		.amdhsa_exception_fp_ieee_overflow 0
		.amdhsa_exception_fp_ieee_underflow 0
		.amdhsa_exception_fp_ieee_inexact 0
		.amdhsa_exception_int_div_zero 0
	.end_amdhsa_kernel
	.section	.text._ZN7rocprim17ROCPRIM_400000_NS6detail17trampoline_kernelINS0_14default_configENS1_25partition_config_selectorILNS1_17partition_subalgoE8ElNS0_10empty_typeEbEEZZNS1_14partition_implILS5_8ELb0ES3_jPlPS6_PKS6_NS0_5tupleIJS9_S6_EEENSD_IJSA_SA_EEENS0_18inequality_wrapperIZN2at6native12_GLOBAL__N_124unique_dim_cuda_templateIN3c104HalfEEESt5tupleIJNSH_6TensorESO_SO_EERKSO_lbbbEUlllE0_EEPmJS6_EEE10hipError_tPvRmT3_T4_T5_T6_T7_T9_mT8_P12ihipStream_tbDpT10_ENKUlT_T0_E_clISt17integral_constantIbLb0EES1D_IbLb1EEEEDaS19_S1A_EUlS19_E_NS1_11comp_targetILNS1_3genE2ELNS1_11target_archE906ELNS1_3gpuE6ELNS1_3repE0EEENS1_30default_config_static_selectorELNS0_4arch9wavefront6targetE1EEEvT1_,"axG",@progbits,_ZN7rocprim17ROCPRIM_400000_NS6detail17trampoline_kernelINS0_14default_configENS1_25partition_config_selectorILNS1_17partition_subalgoE8ElNS0_10empty_typeEbEEZZNS1_14partition_implILS5_8ELb0ES3_jPlPS6_PKS6_NS0_5tupleIJS9_S6_EEENSD_IJSA_SA_EEENS0_18inequality_wrapperIZN2at6native12_GLOBAL__N_124unique_dim_cuda_templateIN3c104HalfEEESt5tupleIJNSH_6TensorESO_SO_EERKSO_lbbbEUlllE0_EEPmJS6_EEE10hipError_tPvRmT3_T4_T5_T6_T7_T9_mT8_P12ihipStream_tbDpT10_ENKUlT_T0_E_clISt17integral_constantIbLb0EES1D_IbLb1EEEEDaS19_S1A_EUlS19_E_NS1_11comp_targetILNS1_3genE2ELNS1_11target_archE906ELNS1_3gpuE6ELNS1_3repE0EEENS1_30default_config_static_selectorELNS0_4arch9wavefront6targetE1EEEvT1_,comdat
.Lfunc_end1333:
	.size	_ZN7rocprim17ROCPRIM_400000_NS6detail17trampoline_kernelINS0_14default_configENS1_25partition_config_selectorILNS1_17partition_subalgoE8ElNS0_10empty_typeEbEEZZNS1_14partition_implILS5_8ELb0ES3_jPlPS6_PKS6_NS0_5tupleIJS9_S6_EEENSD_IJSA_SA_EEENS0_18inequality_wrapperIZN2at6native12_GLOBAL__N_124unique_dim_cuda_templateIN3c104HalfEEESt5tupleIJNSH_6TensorESO_SO_EERKSO_lbbbEUlllE0_EEPmJS6_EEE10hipError_tPvRmT3_T4_T5_T6_T7_T9_mT8_P12ihipStream_tbDpT10_ENKUlT_T0_E_clISt17integral_constantIbLb0EES1D_IbLb1EEEEDaS19_S1A_EUlS19_E_NS1_11comp_targetILNS1_3genE2ELNS1_11target_archE906ELNS1_3gpuE6ELNS1_3repE0EEENS1_30default_config_static_selectorELNS0_4arch9wavefront6targetE1EEEvT1_, .Lfunc_end1333-_ZN7rocprim17ROCPRIM_400000_NS6detail17trampoline_kernelINS0_14default_configENS1_25partition_config_selectorILNS1_17partition_subalgoE8ElNS0_10empty_typeEbEEZZNS1_14partition_implILS5_8ELb0ES3_jPlPS6_PKS6_NS0_5tupleIJS9_S6_EEENSD_IJSA_SA_EEENS0_18inequality_wrapperIZN2at6native12_GLOBAL__N_124unique_dim_cuda_templateIN3c104HalfEEESt5tupleIJNSH_6TensorESO_SO_EERKSO_lbbbEUlllE0_EEPmJS6_EEE10hipError_tPvRmT3_T4_T5_T6_T7_T9_mT8_P12ihipStream_tbDpT10_ENKUlT_T0_E_clISt17integral_constantIbLb0EES1D_IbLb1EEEEDaS19_S1A_EUlS19_E_NS1_11comp_targetILNS1_3genE2ELNS1_11target_archE906ELNS1_3gpuE6ELNS1_3repE0EEENS1_30default_config_static_selectorELNS0_4arch9wavefront6targetE1EEEvT1_
                                        ; -- End function
	.section	.AMDGPU.csdata,"",@progbits
; Kernel info:
; codeLenInByte = 0
; NumSgprs: 6
; NumVgprs: 0
; NumAgprs: 0
; TotalNumVgprs: 0
; ScratchSize: 0
; MemoryBound: 0
; FloatMode: 240
; IeeeMode: 1
; LDSByteSize: 0 bytes/workgroup (compile time only)
; SGPRBlocks: 0
; VGPRBlocks: 0
; NumSGPRsForWavesPerEU: 6
; NumVGPRsForWavesPerEU: 1
; AccumOffset: 4
; Occupancy: 8
; WaveLimiterHint : 0
; COMPUTE_PGM_RSRC2:SCRATCH_EN: 0
; COMPUTE_PGM_RSRC2:USER_SGPR: 2
; COMPUTE_PGM_RSRC2:TRAP_HANDLER: 0
; COMPUTE_PGM_RSRC2:TGID_X_EN: 1
; COMPUTE_PGM_RSRC2:TGID_Y_EN: 0
; COMPUTE_PGM_RSRC2:TGID_Z_EN: 0
; COMPUTE_PGM_RSRC2:TIDIG_COMP_CNT: 0
; COMPUTE_PGM_RSRC3_GFX90A:ACCUM_OFFSET: 0
; COMPUTE_PGM_RSRC3_GFX90A:TG_SPLIT: 0
	.section	.text._ZN7rocprim17ROCPRIM_400000_NS6detail17trampoline_kernelINS0_14default_configENS1_25partition_config_selectorILNS1_17partition_subalgoE8ElNS0_10empty_typeEbEEZZNS1_14partition_implILS5_8ELb0ES3_jPlPS6_PKS6_NS0_5tupleIJS9_S6_EEENSD_IJSA_SA_EEENS0_18inequality_wrapperIZN2at6native12_GLOBAL__N_124unique_dim_cuda_templateIN3c104HalfEEESt5tupleIJNSH_6TensorESO_SO_EERKSO_lbbbEUlllE0_EEPmJS6_EEE10hipError_tPvRmT3_T4_T5_T6_T7_T9_mT8_P12ihipStream_tbDpT10_ENKUlT_T0_E_clISt17integral_constantIbLb0EES1D_IbLb1EEEEDaS19_S1A_EUlS19_E_NS1_11comp_targetILNS1_3genE10ELNS1_11target_archE1200ELNS1_3gpuE4ELNS1_3repE0EEENS1_30default_config_static_selectorELNS0_4arch9wavefront6targetE1EEEvT1_,"axG",@progbits,_ZN7rocprim17ROCPRIM_400000_NS6detail17trampoline_kernelINS0_14default_configENS1_25partition_config_selectorILNS1_17partition_subalgoE8ElNS0_10empty_typeEbEEZZNS1_14partition_implILS5_8ELb0ES3_jPlPS6_PKS6_NS0_5tupleIJS9_S6_EEENSD_IJSA_SA_EEENS0_18inequality_wrapperIZN2at6native12_GLOBAL__N_124unique_dim_cuda_templateIN3c104HalfEEESt5tupleIJNSH_6TensorESO_SO_EERKSO_lbbbEUlllE0_EEPmJS6_EEE10hipError_tPvRmT3_T4_T5_T6_T7_T9_mT8_P12ihipStream_tbDpT10_ENKUlT_T0_E_clISt17integral_constantIbLb0EES1D_IbLb1EEEEDaS19_S1A_EUlS19_E_NS1_11comp_targetILNS1_3genE10ELNS1_11target_archE1200ELNS1_3gpuE4ELNS1_3repE0EEENS1_30default_config_static_selectorELNS0_4arch9wavefront6targetE1EEEvT1_,comdat
	.globl	_ZN7rocprim17ROCPRIM_400000_NS6detail17trampoline_kernelINS0_14default_configENS1_25partition_config_selectorILNS1_17partition_subalgoE8ElNS0_10empty_typeEbEEZZNS1_14partition_implILS5_8ELb0ES3_jPlPS6_PKS6_NS0_5tupleIJS9_S6_EEENSD_IJSA_SA_EEENS0_18inequality_wrapperIZN2at6native12_GLOBAL__N_124unique_dim_cuda_templateIN3c104HalfEEESt5tupleIJNSH_6TensorESO_SO_EERKSO_lbbbEUlllE0_EEPmJS6_EEE10hipError_tPvRmT3_T4_T5_T6_T7_T9_mT8_P12ihipStream_tbDpT10_ENKUlT_T0_E_clISt17integral_constantIbLb0EES1D_IbLb1EEEEDaS19_S1A_EUlS19_E_NS1_11comp_targetILNS1_3genE10ELNS1_11target_archE1200ELNS1_3gpuE4ELNS1_3repE0EEENS1_30default_config_static_selectorELNS0_4arch9wavefront6targetE1EEEvT1_ ; -- Begin function _ZN7rocprim17ROCPRIM_400000_NS6detail17trampoline_kernelINS0_14default_configENS1_25partition_config_selectorILNS1_17partition_subalgoE8ElNS0_10empty_typeEbEEZZNS1_14partition_implILS5_8ELb0ES3_jPlPS6_PKS6_NS0_5tupleIJS9_S6_EEENSD_IJSA_SA_EEENS0_18inequality_wrapperIZN2at6native12_GLOBAL__N_124unique_dim_cuda_templateIN3c104HalfEEESt5tupleIJNSH_6TensorESO_SO_EERKSO_lbbbEUlllE0_EEPmJS6_EEE10hipError_tPvRmT3_T4_T5_T6_T7_T9_mT8_P12ihipStream_tbDpT10_ENKUlT_T0_E_clISt17integral_constantIbLb0EES1D_IbLb1EEEEDaS19_S1A_EUlS19_E_NS1_11comp_targetILNS1_3genE10ELNS1_11target_archE1200ELNS1_3gpuE4ELNS1_3repE0EEENS1_30default_config_static_selectorELNS0_4arch9wavefront6targetE1EEEvT1_
	.p2align	8
	.type	_ZN7rocprim17ROCPRIM_400000_NS6detail17trampoline_kernelINS0_14default_configENS1_25partition_config_selectorILNS1_17partition_subalgoE8ElNS0_10empty_typeEbEEZZNS1_14partition_implILS5_8ELb0ES3_jPlPS6_PKS6_NS0_5tupleIJS9_S6_EEENSD_IJSA_SA_EEENS0_18inequality_wrapperIZN2at6native12_GLOBAL__N_124unique_dim_cuda_templateIN3c104HalfEEESt5tupleIJNSH_6TensorESO_SO_EERKSO_lbbbEUlllE0_EEPmJS6_EEE10hipError_tPvRmT3_T4_T5_T6_T7_T9_mT8_P12ihipStream_tbDpT10_ENKUlT_T0_E_clISt17integral_constantIbLb0EES1D_IbLb1EEEEDaS19_S1A_EUlS19_E_NS1_11comp_targetILNS1_3genE10ELNS1_11target_archE1200ELNS1_3gpuE4ELNS1_3repE0EEENS1_30default_config_static_selectorELNS0_4arch9wavefront6targetE1EEEvT1_,@function
_ZN7rocprim17ROCPRIM_400000_NS6detail17trampoline_kernelINS0_14default_configENS1_25partition_config_selectorILNS1_17partition_subalgoE8ElNS0_10empty_typeEbEEZZNS1_14partition_implILS5_8ELb0ES3_jPlPS6_PKS6_NS0_5tupleIJS9_S6_EEENSD_IJSA_SA_EEENS0_18inequality_wrapperIZN2at6native12_GLOBAL__N_124unique_dim_cuda_templateIN3c104HalfEEESt5tupleIJNSH_6TensorESO_SO_EERKSO_lbbbEUlllE0_EEPmJS6_EEE10hipError_tPvRmT3_T4_T5_T6_T7_T9_mT8_P12ihipStream_tbDpT10_ENKUlT_T0_E_clISt17integral_constantIbLb0EES1D_IbLb1EEEEDaS19_S1A_EUlS19_E_NS1_11comp_targetILNS1_3genE10ELNS1_11target_archE1200ELNS1_3gpuE4ELNS1_3repE0EEENS1_30default_config_static_selectorELNS0_4arch9wavefront6targetE1EEEvT1_: ; @_ZN7rocprim17ROCPRIM_400000_NS6detail17trampoline_kernelINS0_14default_configENS1_25partition_config_selectorILNS1_17partition_subalgoE8ElNS0_10empty_typeEbEEZZNS1_14partition_implILS5_8ELb0ES3_jPlPS6_PKS6_NS0_5tupleIJS9_S6_EEENSD_IJSA_SA_EEENS0_18inequality_wrapperIZN2at6native12_GLOBAL__N_124unique_dim_cuda_templateIN3c104HalfEEESt5tupleIJNSH_6TensorESO_SO_EERKSO_lbbbEUlllE0_EEPmJS6_EEE10hipError_tPvRmT3_T4_T5_T6_T7_T9_mT8_P12ihipStream_tbDpT10_ENKUlT_T0_E_clISt17integral_constantIbLb0EES1D_IbLb1EEEEDaS19_S1A_EUlS19_E_NS1_11comp_targetILNS1_3genE10ELNS1_11target_archE1200ELNS1_3gpuE4ELNS1_3repE0EEENS1_30default_config_static_selectorELNS0_4arch9wavefront6targetE1EEEvT1_
; %bb.0:
	.section	.rodata,"a",@progbits
	.p2align	6, 0x0
	.amdhsa_kernel _ZN7rocprim17ROCPRIM_400000_NS6detail17trampoline_kernelINS0_14default_configENS1_25partition_config_selectorILNS1_17partition_subalgoE8ElNS0_10empty_typeEbEEZZNS1_14partition_implILS5_8ELb0ES3_jPlPS6_PKS6_NS0_5tupleIJS9_S6_EEENSD_IJSA_SA_EEENS0_18inequality_wrapperIZN2at6native12_GLOBAL__N_124unique_dim_cuda_templateIN3c104HalfEEESt5tupleIJNSH_6TensorESO_SO_EERKSO_lbbbEUlllE0_EEPmJS6_EEE10hipError_tPvRmT3_T4_T5_T6_T7_T9_mT8_P12ihipStream_tbDpT10_ENKUlT_T0_E_clISt17integral_constantIbLb0EES1D_IbLb1EEEEDaS19_S1A_EUlS19_E_NS1_11comp_targetILNS1_3genE10ELNS1_11target_archE1200ELNS1_3gpuE4ELNS1_3repE0EEENS1_30default_config_static_selectorELNS0_4arch9wavefront6targetE1EEEvT1_
		.amdhsa_group_segment_fixed_size 0
		.amdhsa_private_segment_fixed_size 0
		.amdhsa_kernarg_size 136
		.amdhsa_user_sgpr_count 2
		.amdhsa_user_sgpr_dispatch_ptr 0
		.amdhsa_user_sgpr_queue_ptr 0
		.amdhsa_user_sgpr_kernarg_segment_ptr 1
		.amdhsa_user_sgpr_dispatch_id 0
		.amdhsa_user_sgpr_kernarg_preload_length 0
		.amdhsa_user_sgpr_kernarg_preload_offset 0
		.amdhsa_user_sgpr_private_segment_size 0
		.amdhsa_uses_dynamic_stack 0
		.amdhsa_enable_private_segment 0
		.amdhsa_system_sgpr_workgroup_id_x 1
		.amdhsa_system_sgpr_workgroup_id_y 0
		.amdhsa_system_sgpr_workgroup_id_z 0
		.amdhsa_system_sgpr_workgroup_info 0
		.amdhsa_system_vgpr_workitem_id 0
		.amdhsa_next_free_vgpr 1
		.amdhsa_next_free_sgpr 0
		.amdhsa_accum_offset 4
		.amdhsa_reserve_vcc 0
		.amdhsa_float_round_mode_32 0
		.amdhsa_float_round_mode_16_64 0
		.amdhsa_float_denorm_mode_32 3
		.amdhsa_float_denorm_mode_16_64 3
		.amdhsa_dx10_clamp 1
		.amdhsa_ieee_mode 1
		.amdhsa_fp16_overflow 0
		.amdhsa_tg_split 0
		.amdhsa_exception_fp_ieee_invalid_op 0
		.amdhsa_exception_fp_denorm_src 0
		.amdhsa_exception_fp_ieee_div_zero 0
		.amdhsa_exception_fp_ieee_overflow 0
		.amdhsa_exception_fp_ieee_underflow 0
		.amdhsa_exception_fp_ieee_inexact 0
		.amdhsa_exception_int_div_zero 0
	.end_amdhsa_kernel
	.section	.text._ZN7rocprim17ROCPRIM_400000_NS6detail17trampoline_kernelINS0_14default_configENS1_25partition_config_selectorILNS1_17partition_subalgoE8ElNS0_10empty_typeEbEEZZNS1_14partition_implILS5_8ELb0ES3_jPlPS6_PKS6_NS0_5tupleIJS9_S6_EEENSD_IJSA_SA_EEENS0_18inequality_wrapperIZN2at6native12_GLOBAL__N_124unique_dim_cuda_templateIN3c104HalfEEESt5tupleIJNSH_6TensorESO_SO_EERKSO_lbbbEUlllE0_EEPmJS6_EEE10hipError_tPvRmT3_T4_T5_T6_T7_T9_mT8_P12ihipStream_tbDpT10_ENKUlT_T0_E_clISt17integral_constantIbLb0EES1D_IbLb1EEEEDaS19_S1A_EUlS19_E_NS1_11comp_targetILNS1_3genE10ELNS1_11target_archE1200ELNS1_3gpuE4ELNS1_3repE0EEENS1_30default_config_static_selectorELNS0_4arch9wavefront6targetE1EEEvT1_,"axG",@progbits,_ZN7rocprim17ROCPRIM_400000_NS6detail17trampoline_kernelINS0_14default_configENS1_25partition_config_selectorILNS1_17partition_subalgoE8ElNS0_10empty_typeEbEEZZNS1_14partition_implILS5_8ELb0ES3_jPlPS6_PKS6_NS0_5tupleIJS9_S6_EEENSD_IJSA_SA_EEENS0_18inequality_wrapperIZN2at6native12_GLOBAL__N_124unique_dim_cuda_templateIN3c104HalfEEESt5tupleIJNSH_6TensorESO_SO_EERKSO_lbbbEUlllE0_EEPmJS6_EEE10hipError_tPvRmT3_T4_T5_T6_T7_T9_mT8_P12ihipStream_tbDpT10_ENKUlT_T0_E_clISt17integral_constantIbLb0EES1D_IbLb1EEEEDaS19_S1A_EUlS19_E_NS1_11comp_targetILNS1_3genE10ELNS1_11target_archE1200ELNS1_3gpuE4ELNS1_3repE0EEENS1_30default_config_static_selectorELNS0_4arch9wavefront6targetE1EEEvT1_,comdat
.Lfunc_end1334:
	.size	_ZN7rocprim17ROCPRIM_400000_NS6detail17trampoline_kernelINS0_14default_configENS1_25partition_config_selectorILNS1_17partition_subalgoE8ElNS0_10empty_typeEbEEZZNS1_14partition_implILS5_8ELb0ES3_jPlPS6_PKS6_NS0_5tupleIJS9_S6_EEENSD_IJSA_SA_EEENS0_18inequality_wrapperIZN2at6native12_GLOBAL__N_124unique_dim_cuda_templateIN3c104HalfEEESt5tupleIJNSH_6TensorESO_SO_EERKSO_lbbbEUlllE0_EEPmJS6_EEE10hipError_tPvRmT3_T4_T5_T6_T7_T9_mT8_P12ihipStream_tbDpT10_ENKUlT_T0_E_clISt17integral_constantIbLb0EES1D_IbLb1EEEEDaS19_S1A_EUlS19_E_NS1_11comp_targetILNS1_3genE10ELNS1_11target_archE1200ELNS1_3gpuE4ELNS1_3repE0EEENS1_30default_config_static_selectorELNS0_4arch9wavefront6targetE1EEEvT1_, .Lfunc_end1334-_ZN7rocprim17ROCPRIM_400000_NS6detail17trampoline_kernelINS0_14default_configENS1_25partition_config_selectorILNS1_17partition_subalgoE8ElNS0_10empty_typeEbEEZZNS1_14partition_implILS5_8ELb0ES3_jPlPS6_PKS6_NS0_5tupleIJS9_S6_EEENSD_IJSA_SA_EEENS0_18inequality_wrapperIZN2at6native12_GLOBAL__N_124unique_dim_cuda_templateIN3c104HalfEEESt5tupleIJNSH_6TensorESO_SO_EERKSO_lbbbEUlllE0_EEPmJS6_EEE10hipError_tPvRmT3_T4_T5_T6_T7_T9_mT8_P12ihipStream_tbDpT10_ENKUlT_T0_E_clISt17integral_constantIbLb0EES1D_IbLb1EEEEDaS19_S1A_EUlS19_E_NS1_11comp_targetILNS1_3genE10ELNS1_11target_archE1200ELNS1_3gpuE4ELNS1_3repE0EEENS1_30default_config_static_selectorELNS0_4arch9wavefront6targetE1EEEvT1_
                                        ; -- End function
	.section	.AMDGPU.csdata,"",@progbits
; Kernel info:
; codeLenInByte = 0
; NumSgprs: 6
; NumVgprs: 0
; NumAgprs: 0
; TotalNumVgprs: 0
; ScratchSize: 0
; MemoryBound: 0
; FloatMode: 240
; IeeeMode: 1
; LDSByteSize: 0 bytes/workgroup (compile time only)
; SGPRBlocks: 0
; VGPRBlocks: 0
; NumSGPRsForWavesPerEU: 6
; NumVGPRsForWavesPerEU: 1
; AccumOffset: 4
; Occupancy: 8
; WaveLimiterHint : 0
; COMPUTE_PGM_RSRC2:SCRATCH_EN: 0
; COMPUTE_PGM_RSRC2:USER_SGPR: 2
; COMPUTE_PGM_RSRC2:TRAP_HANDLER: 0
; COMPUTE_PGM_RSRC2:TGID_X_EN: 1
; COMPUTE_PGM_RSRC2:TGID_Y_EN: 0
; COMPUTE_PGM_RSRC2:TGID_Z_EN: 0
; COMPUTE_PGM_RSRC2:TIDIG_COMP_CNT: 0
; COMPUTE_PGM_RSRC3_GFX90A:ACCUM_OFFSET: 0
; COMPUTE_PGM_RSRC3_GFX90A:TG_SPLIT: 0
	.section	.text._ZN7rocprim17ROCPRIM_400000_NS6detail17trampoline_kernelINS0_14default_configENS1_25partition_config_selectorILNS1_17partition_subalgoE8ElNS0_10empty_typeEbEEZZNS1_14partition_implILS5_8ELb0ES3_jPlPS6_PKS6_NS0_5tupleIJS9_S6_EEENSD_IJSA_SA_EEENS0_18inequality_wrapperIZN2at6native12_GLOBAL__N_124unique_dim_cuda_templateIN3c104HalfEEESt5tupleIJNSH_6TensorESO_SO_EERKSO_lbbbEUlllE0_EEPmJS6_EEE10hipError_tPvRmT3_T4_T5_T6_T7_T9_mT8_P12ihipStream_tbDpT10_ENKUlT_T0_E_clISt17integral_constantIbLb0EES1D_IbLb1EEEEDaS19_S1A_EUlS19_E_NS1_11comp_targetILNS1_3genE9ELNS1_11target_archE1100ELNS1_3gpuE3ELNS1_3repE0EEENS1_30default_config_static_selectorELNS0_4arch9wavefront6targetE1EEEvT1_,"axG",@progbits,_ZN7rocprim17ROCPRIM_400000_NS6detail17trampoline_kernelINS0_14default_configENS1_25partition_config_selectorILNS1_17partition_subalgoE8ElNS0_10empty_typeEbEEZZNS1_14partition_implILS5_8ELb0ES3_jPlPS6_PKS6_NS0_5tupleIJS9_S6_EEENSD_IJSA_SA_EEENS0_18inequality_wrapperIZN2at6native12_GLOBAL__N_124unique_dim_cuda_templateIN3c104HalfEEESt5tupleIJNSH_6TensorESO_SO_EERKSO_lbbbEUlllE0_EEPmJS6_EEE10hipError_tPvRmT3_T4_T5_T6_T7_T9_mT8_P12ihipStream_tbDpT10_ENKUlT_T0_E_clISt17integral_constantIbLb0EES1D_IbLb1EEEEDaS19_S1A_EUlS19_E_NS1_11comp_targetILNS1_3genE9ELNS1_11target_archE1100ELNS1_3gpuE3ELNS1_3repE0EEENS1_30default_config_static_selectorELNS0_4arch9wavefront6targetE1EEEvT1_,comdat
	.globl	_ZN7rocprim17ROCPRIM_400000_NS6detail17trampoline_kernelINS0_14default_configENS1_25partition_config_selectorILNS1_17partition_subalgoE8ElNS0_10empty_typeEbEEZZNS1_14partition_implILS5_8ELb0ES3_jPlPS6_PKS6_NS0_5tupleIJS9_S6_EEENSD_IJSA_SA_EEENS0_18inequality_wrapperIZN2at6native12_GLOBAL__N_124unique_dim_cuda_templateIN3c104HalfEEESt5tupleIJNSH_6TensorESO_SO_EERKSO_lbbbEUlllE0_EEPmJS6_EEE10hipError_tPvRmT3_T4_T5_T6_T7_T9_mT8_P12ihipStream_tbDpT10_ENKUlT_T0_E_clISt17integral_constantIbLb0EES1D_IbLb1EEEEDaS19_S1A_EUlS19_E_NS1_11comp_targetILNS1_3genE9ELNS1_11target_archE1100ELNS1_3gpuE3ELNS1_3repE0EEENS1_30default_config_static_selectorELNS0_4arch9wavefront6targetE1EEEvT1_ ; -- Begin function _ZN7rocprim17ROCPRIM_400000_NS6detail17trampoline_kernelINS0_14default_configENS1_25partition_config_selectorILNS1_17partition_subalgoE8ElNS0_10empty_typeEbEEZZNS1_14partition_implILS5_8ELb0ES3_jPlPS6_PKS6_NS0_5tupleIJS9_S6_EEENSD_IJSA_SA_EEENS0_18inequality_wrapperIZN2at6native12_GLOBAL__N_124unique_dim_cuda_templateIN3c104HalfEEESt5tupleIJNSH_6TensorESO_SO_EERKSO_lbbbEUlllE0_EEPmJS6_EEE10hipError_tPvRmT3_T4_T5_T6_T7_T9_mT8_P12ihipStream_tbDpT10_ENKUlT_T0_E_clISt17integral_constantIbLb0EES1D_IbLb1EEEEDaS19_S1A_EUlS19_E_NS1_11comp_targetILNS1_3genE9ELNS1_11target_archE1100ELNS1_3gpuE3ELNS1_3repE0EEENS1_30default_config_static_selectorELNS0_4arch9wavefront6targetE1EEEvT1_
	.p2align	8
	.type	_ZN7rocprim17ROCPRIM_400000_NS6detail17trampoline_kernelINS0_14default_configENS1_25partition_config_selectorILNS1_17partition_subalgoE8ElNS0_10empty_typeEbEEZZNS1_14partition_implILS5_8ELb0ES3_jPlPS6_PKS6_NS0_5tupleIJS9_S6_EEENSD_IJSA_SA_EEENS0_18inequality_wrapperIZN2at6native12_GLOBAL__N_124unique_dim_cuda_templateIN3c104HalfEEESt5tupleIJNSH_6TensorESO_SO_EERKSO_lbbbEUlllE0_EEPmJS6_EEE10hipError_tPvRmT3_T4_T5_T6_T7_T9_mT8_P12ihipStream_tbDpT10_ENKUlT_T0_E_clISt17integral_constantIbLb0EES1D_IbLb1EEEEDaS19_S1A_EUlS19_E_NS1_11comp_targetILNS1_3genE9ELNS1_11target_archE1100ELNS1_3gpuE3ELNS1_3repE0EEENS1_30default_config_static_selectorELNS0_4arch9wavefront6targetE1EEEvT1_,@function
_ZN7rocprim17ROCPRIM_400000_NS6detail17trampoline_kernelINS0_14default_configENS1_25partition_config_selectorILNS1_17partition_subalgoE8ElNS0_10empty_typeEbEEZZNS1_14partition_implILS5_8ELb0ES3_jPlPS6_PKS6_NS0_5tupleIJS9_S6_EEENSD_IJSA_SA_EEENS0_18inequality_wrapperIZN2at6native12_GLOBAL__N_124unique_dim_cuda_templateIN3c104HalfEEESt5tupleIJNSH_6TensorESO_SO_EERKSO_lbbbEUlllE0_EEPmJS6_EEE10hipError_tPvRmT3_T4_T5_T6_T7_T9_mT8_P12ihipStream_tbDpT10_ENKUlT_T0_E_clISt17integral_constantIbLb0EES1D_IbLb1EEEEDaS19_S1A_EUlS19_E_NS1_11comp_targetILNS1_3genE9ELNS1_11target_archE1100ELNS1_3gpuE3ELNS1_3repE0EEENS1_30default_config_static_selectorELNS0_4arch9wavefront6targetE1EEEvT1_: ; @_ZN7rocprim17ROCPRIM_400000_NS6detail17trampoline_kernelINS0_14default_configENS1_25partition_config_selectorILNS1_17partition_subalgoE8ElNS0_10empty_typeEbEEZZNS1_14partition_implILS5_8ELb0ES3_jPlPS6_PKS6_NS0_5tupleIJS9_S6_EEENSD_IJSA_SA_EEENS0_18inequality_wrapperIZN2at6native12_GLOBAL__N_124unique_dim_cuda_templateIN3c104HalfEEESt5tupleIJNSH_6TensorESO_SO_EERKSO_lbbbEUlllE0_EEPmJS6_EEE10hipError_tPvRmT3_T4_T5_T6_T7_T9_mT8_P12ihipStream_tbDpT10_ENKUlT_T0_E_clISt17integral_constantIbLb0EES1D_IbLb1EEEEDaS19_S1A_EUlS19_E_NS1_11comp_targetILNS1_3genE9ELNS1_11target_archE1100ELNS1_3gpuE3ELNS1_3repE0EEENS1_30default_config_static_selectorELNS0_4arch9wavefront6targetE1EEEvT1_
; %bb.0:
	.section	.rodata,"a",@progbits
	.p2align	6, 0x0
	.amdhsa_kernel _ZN7rocprim17ROCPRIM_400000_NS6detail17trampoline_kernelINS0_14default_configENS1_25partition_config_selectorILNS1_17partition_subalgoE8ElNS0_10empty_typeEbEEZZNS1_14partition_implILS5_8ELb0ES3_jPlPS6_PKS6_NS0_5tupleIJS9_S6_EEENSD_IJSA_SA_EEENS0_18inequality_wrapperIZN2at6native12_GLOBAL__N_124unique_dim_cuda_templateIN3c104HalfEEESt5tupleIJNSH_6TensorESO_SO_EERKSO_lbbbEUlllE0_EEPmJS6_EEE10hipError_tPvRmT3_T4_T5_T6_T7_T9_mT8_P12ihipStream_tbDpT10_ENKUlT_T0_E_clISt17integral_constantIbLb0EES1D_IbLb1EEEEDaS19_S1A_EUlS19_E_NS1_11comp_targetILNS1_3genE9ELNS1_11target_archE1100ELNS1_3gpuE3ELNS1_3repE0EEENS1_30default_config_static_selectorELNS0_4arch9wavefront6targetE1EEEvT1_
		.amdhsa_group_segment_fixed_size 0
		.amdhsa_private_segment_fixed_size 0
		.amdhsa_kernarg_size 136
		.amdhsa_user_sgpr_count 2
		.amdhsa_user_sgpr_dispatch_ptr 0
		.amdhsa_user_sgpr_queue_ptr 0
		.amdhsa_user_sgpr_kernarg_segment_ptr 1
		.amdhsa_user_sgpr_dispatch_id 0
		.amdhsa_user_sgpr_kernarg_preload_length 0
		.amdhsa_user_sgpr_kernarg_preload_offset 0
		.amdhsa_user_sgpr_private_segment_size 0
		.amdhsa_uses_dynamic_stack 0
		.amdhsa_enable_private_segment 0
		.amdhsa_system_sgpr_workgroup_id_x 1
		.amdhsa_system_sgpr_workgroup_id_y 0
		.amdhsa_system_sgpr_workgroup_id_z 0
		.amdhsa_system_sgpr_workgroup_info 0
		.amdhsa_system_vgpr_workitem_id 0
		.amdhsa_next_free_vgpr 1
		.amdhsa_next_free_sgpr 0
		.amdhsa_accum_offset 4
		.amdhsa_reserve_vcc 0
		.amdhsa_float_round_mode_32 0
		.amdhsa_float_round_mode_16_64 0
		.amdhsa_float_denorm_mode_32 3
		.amdhsa_float_denorm_mode_16_64 3
		.amdhsa_dx10_clamp 1
		.amdhsa_ieee_mode 1
		.amdhsa_fp16_overflow 0
		.amdhsa_tg_split 0
		.amdhsa_exception_fp_ieee_invalid_op 0
		.amdhsa_exception_fp_denorm_src 0
		.amdhsa_exception_fp_ieee_div_zero 0
		.amdhsa_exception_fp_ieee_overflow 0
		.amdhsa_exception_fp_ieee_underflow 0
		.amdhsa_exception_fp_ieee_inexact 0
		.amdhsa_exception_int_div_zero 0
	.end_amdhsa_kernel
	.section	.text._ZN7rocprim17ROCPRIM_400000_NS6detail17trampoline_kernelINS0_14default_configENS1_25partition_config_selectorILNS1_17partition_subalgoE8ElNS0_10empty_typeEbEEZZNS1_14partition_implILS5_8ELb0ES3_jPlPS6_PKS6_NS0_5tupleIJS9_S6_EEENSD_IJSA_SA_EEENS0_18inequality_wrapperIZN2at6native12_GLOBAL__N_124unique_dim_cuda_templateIN3c104HalfEEESt5tupleIJNSH_6TensorESO_SO_EERKSO_lbbbEUlllE0_EEPmJS6_EEE10hipError_tPvRmT3_T4_T5_T6_T7_T9_mT8_P12ihipStream_tbDpT10_ENKUlT_T0_E_clISt17integral_constantIbLb0EES1D_IbLb1EEEEDaS19_S1A_EUlS19_E_NS1_11comp_targetILNS1_3genE9ELNS1_11target_archE1100ELNS1_3gpuE3ELNS1_3repE0EEENS1_30default_config_static_selectorELNS0_4arch9wavefront6targetE1EEEvT1_,"axG",@progbits,_ZN7rocprim17ROCPRIM_400000_NS6detail17trampoline_kernelINS0_14default_configENS1_25partition_config_selectorILNS1_17partition_subalgoE8ElNS0_10empty_typeEbEEZZNS1_14partition_implILS5_8ELb0ES3_jPlPS6_PKS6_NS0_5tupleIJS9_S6_EEENSD_IJSA_SA_EEENS0_18inequality_wrapperIZN2at6native12_GLOBAL__N_124unique_dim_cuda_templateIN3c104HalfEEESt5tupleIJNSH_6TensorESO_SO_EERKSO_lbbbEUlllE0_EEPmJS6_EEE10hipError_tPvRmT3_T4_T5_T6_T7_T9_mT8_P12ihipStream_tbDpT10_ENKUlT_T0_E_clISt17integral_constantIbLb0EES1D_IbLb1EEEEDaS19_S1A_EUlS19_E_NS1_11comp_targetILNS1_3genE9ELNS1_11target_archE1100ELNS1_3gpuE3ELNS1_3repE0EEENS1_30default_config_static_selectorELNS0_4arch9wavefront6targetE1EEEvT1_,comdat
.Lfunc_end1335:
	.size	_ZN7rocprim17ROCPRIM_400000_NS6detail17trampoline_kernelINS0_14default_configENS1_25partition_config_selectorILNS1_17partition_subalgoE8ElNS0_10empty_typeEbEEZZNS1_14partition_implILS5_8ELb0ES3_jPlPS6_PKS6_NS0_5tupleIJS9_S6_EEENSD_IJSA_SA_EEENS0_18inequality_wrapperIZN2at6native12_GLOBAL__N_124unique_dim_cuda_templateIN3c104HalfEEESt5tupleIJNSH_6TensorESO_SO_EERKSO_lbbbEUlllE0_EEPmJS6_EEE10hipError_tPvRmT3_T4_T5_T6_T7_T9_mT8_P12ihipStream_tbDpT10_ENKUlT_T0_E_clISt17integral_constantIbLb0EES1D_IbLb1EEEEDaS19_S1A_EUlS19_E_NS1_11comp_targetILNS1_3genE9ELNS1_11target_archE1100ELNS1_3gpuE3ELNS1_3repE0EEENS1_30default_config_static_selectorELNS0_4arch9wavefront6targetE1EEEvT1_, .Lfunc_end1335-_ZN7rocprim17ROCPRIM_400000_NS6detail17trampoline_kernelINS0_14default_configENS1_25partition_config_selectorILNS1_17partition_subalgoE8ElNS0_10empty_typeEbEEZZNS1_14partition_implILS5_8ELb0ES3_jPlPS6_PKS6_NS0_5tupleIJS9_S6_EEENSD_IJSA_SA_EEENS0_18inequality_wrapperIZN2at6native12_GLOBAL__N_124unique_dim_cuda_templateIN3c104HalfEEESt5tupleIJNSH_6TensorESO_SO_EERKSO_lbbbEUlllE0_EEPmJS6_EEE10hipError_tPvRmT3_T4_T5_T6_T7_T9_mT8_P12ihipStream_tbDpT10_ENKUlT_T0_E_clISt17integral_constantIbLb0EES1D_IbLb1EEEEDaS19_S1A_EUlS19_E_NS1_11comp_targetILNS1_3genE9ELNS1_11target_archE1100ELNS1_3gpuE3ELNS1_3repE0EEENS1_30default_config_static_selectorELNS0_4arch9wavefront6targetE1EEEvT1_
                                        ; -- End function
	.section	.AMDGPU.csdata,"",@progbits
; Kernel info:
; codeLenInByte = 0
; NumSgprs: 6
; NumVgprs: 0
; NumAgprs: 0
; TotalNumVgprs: 0
; ScratchSize: 0
; MemoryBound: 0
; FloatMode: 240
; IeeeMode: 1
; LDSByteSize: 0 bytes/workgroup (compile time only)
; SGPRBlocks: 0
; VGPRBlocks: 0
; NumSGPRsForWavesPerEU: 6
; NumVGPRsForWavesPerEU: 1
; AccumOffset: 4
; Occupancy: 8
; WaveLimiterHint : 0
; COMPUTE_PGM_RSRC2:SCRATCH_EN: 0
; COMPUTE_PGM_RSRC2:USER_SGPR: 2
; COMPUTE_PGM_RSRC2:TRAP_HANDLER: 0
; COMPUTE_PGM_RSRC2:TGID_X_EN: 1
; COMPUTE_PGM_RSRC2:TGID_Y_EN: 0
; COMPUTE_PGM_RSRC2:TGID_Z_EN: 0
; COMPUTE_PGM_RSRC2:TIDIG_COMP_CNT: 0
; COMPUTE_PGM_RSRC3_GFX90A:ACCUM_OFFSET: 0
; COMPUTE_PGM_RSRC3_GFX90A:TG_SPLIT: 0
	.section	.text._ZN7rocprim17ROCPRIM_400000_NS6detail17trampoline_kernelINS0_14default_configENS1_25partition_config_selectorILNS1_17partition_subalgoE8ElNS0_10empty_typeEbEEZZNS1_14partition_implILS5_8ELb0ES3_jPlPS6_PKS6_NS0_5tupleIJS9_S6_EEENSD_IJSA_SA_EEENS0_18inequality_wrapperIZN2at6native12_GLOBAL__N_124unique_dim_cuda_templateIN3c104HalfEEESt5tupleIJNSH_6TensorESO_SO_EERKSO_lbbbEUlllE0_EEPmJS6_EEE10hipError_tPvRmT3_T4_T5_T6_T7_T9_mT8_P12ihipStream_tbDpT10_ENKUlT_T0_E_clISt17integral_constantIbLb0EES1D_IbLb1EEEEDaS19_S1A_EUlS19_E_NS1_11comp_targetILNS1_3genE8ELNS1_11target_archE1030ELNS1_3gpuE2ELNS1_3repE0EEENS1_30default_config_static_selectorELNS0_4arch9wavefront6targetE1EEEvT1_,"axG",@progbits,_ZN7rocprim17ROCPRIM_400000_NS6detail17trampoline_kernelINS0_14default_configENS1_25partition_config_selectorILNS1_17partition_subalgoE8ElNS0_10empty_typeEbEEZZNS1_14partition_implILS5_8ELb0ES3_jPlPS6_PKS6_NS0_5tupleIJS9_S6_EEENSD_IJSA_SA_EEENS0_18inequality_wrapperIZN2at6native12_GLOBAL__N_124unique_dim_cuda_templateIN3c104HalfEEESt5tupleIJNSH_6TensorESO_SO_EERKSO_lbbbEUlllE0_EEPmJS6_EEE10hipError_tPvRmT3_T4_T5_T6_T7_T9_mT8_P12ihipStream_tbDpT10_ENKUlT_T0_E_clISt17integral_constantIbLb0EES1D_IbLb1EEEEDaS19_S1A_EUlS19_E_NS1_11comp_targetILNS1_3genE8ELNS1_11target_archE1030ELNS1_3gpuE2ELNS1_3repE0EEENS1_30default_config_static_selectorELNS0_4arch9wavefront6targetE1EEEvT1_,comdat
	.globl	_ZN7rocprim17ROCPRIM_400000_NS6detail17trampoline_kernelINS0_14default_configENS1_25partition_config_selectorILNS1_17partition_subalgoE8ElNS0_10empty_typeEbEEZZNS1_14partition_implILS5_8ELb0ES3_jPlPS6_PKS6_NS0_5tupleIJS9_S6_EEENSD_IJSA_SA_EEENS0_18inequality_wrapperIZN2at6native12_GLOBAL__N_124unique_dim_cuda_templateIN3c104HalfEEESt5tupleIJNSH_6TensorESO_SO_EERKSO_lbbbEUlllE0_EEPmJS6_EEE10hipError_tPvRmT3_T4_T5_T6_T7_T9_mT8_P12ihipStream_tbDpT10_ENKUlT_T0_E_clISt17integral_constantIbLb0EES1D_IbLb1EEEEDaS19_S1A_EUlS19_E_NS1_11comp_targetILNS1_3genE8ELNS1_11target_archE1030ELNS1_3gpuE2ELNS1_3repE0EEENS1_30default_config_static_selectorELNS0_4arch9wavefront6targetE1EEEvT1_ ; -- Begin function _ZN7rocprim17ROCPRIM_400000_NS6detail17trampoline_kernelINS0_14default_configENS1_25partition_config_selectorILNS1_17partition_subalgoE8ElNS0_10empty_typeEbEEZZNS1_14partition_implILS5_8ELb0ES3_jPlPS6_PKS6_NS0_5tupleIJS9_S6_EEENSD_IJSA_SA_EEENS0_18inequality_wrapperIZN2at6native12_GLOBAL__N_124unique_dim_cuda_templateIN3c104HalfEEESt5tupleIJNSH_6TensorESO_SO_EERKSO_lbbbEUlllE0_EEPmJS6_EEE10hipError_tPvRmT3_T4_T5_T6_T7_T9_mT8_P12ihipStream_tbDpT10_ENKUlT_T0_E_clISt17integral_constantIbLb0EES1D_IbLb1EEEEDaS19_S1A_EUlS19_E_NS1_11comp_targetILNS1_3genE8ELNS1_11target_archE1030ELNS1_3gpuE2ELNS1_3repE0EEENS1_30default_config_static_selectorELNS0_4arch9wavefront6targetE1EEEvT1_
	.p2align	8
	.type	_ZN7rocprim17ROCPRIM_400000_NS6detail17trampoline_kernelINS0_14default_configENS1_25partition_config_selectorILNS1_17partition_subalgoE8ElNS0_10empty_typeEbEEZZNS1_14partition_implILS5_8ELb0ES3_jPlPS6_PKS6_NS0_5tupleIJS9_S6_EEENSD_IJSA_SA_EEENS0_18inequality_wrapperIZN2at6native12_GLOBAL__N_124unique_dim_cuda_templateIN3c104HalfEEESt5tupleIJNSH_6TensorESO_SO_EERKSO_lbbbEUlllE0_EEPmJS6_EEE10hipError_tPvRmT3_T4_T5_T6_T7_T9_mT8_P12ihipStream_tbDpT10_ENKUlT_T0_E_clISt17integral_constantIbLb0EES1D_IbLb1EEEEDaS19_S1A_EUlS19_E_NS1_11comp_targetILNS1_3genE8ELNS1_11target_archE1030ELNS1_3gpuE2ELNS1_3repE0EEENS1_30default_config_static_selectorELNS0_4arch9wavefront6targetE1EEEvT1_,@function
_ZN7rocprim17ROCPRIM_400000_NS6detail17trampoline_kernelINS0_14default_configENS1_25partition_config_selectorILNS1_17partition_subalgoE8ElNS0_10empty_typeEbEEZZNS1_14partition_implILS5_8ELb0ES3_jPlPS6_PKS6_NS0_5tupleIJS9_S6_EEENSD_IJSA_SA_EEENS0_18inequality_wrapperIZN2at6native12_GLOBAL__N_124unique_dim_cuda_templateIN3c104HalfEEESt5tupleIJNSH_6TensorESO_SO_EERKSO_lbbbEUlllE0_EEPmJS6_EEE10hipError_tPvRmT3_T4_T5_T6_T7_T9_mT8_P12ihipStream_tbDpT10_ENKUlT_T0_E_clISt17integral_constantIbLb0EES1D_IbLb1EEEEDaS19_S1A_EUlS19_E_NS1_11comp_targetILNS1_3genE8ELNS1_11target_archE1030ELNS1_3gpuE2ELNS1_3repE0EEENS1_30default_config_static_selectorELNS0_4arch9wavefront6targetE1EEEvT1_: ; @_ZN7rocprim17ROCPRIM_400000_NS6detail17trampoline_kernelINS0_14default_configENS1_25partition_config_selectorILNS1_17partition_subalgoE8ElNS0_10empty_typeEbEEZZNS1_14partition_implILS5_8ELb0ES3_jPlPS6_PKS6_NS0_5tupleIJS9_S6_EEENSD_IJSA_SA_EEENS0_18inequality_wrapperIZN2at6native12_GLOBAL__N_124unique_dim_cuda_templateIN3c104HalfEEESt5tupleIJNSH_6TensorESO_SO_EERKSO_lbbbEUlllE0_EEPmJS6_EEE10hipError_tPvRmT3_T4_T5_T6_T7_T9_mT8_P12ihipStream_tbDpT10_ENKUlT_T0_E_clISt17integral_constantIbLb0EES1D_IbLb1EEEEDaS19_S1A_EUlS19_E_NS1_11comp_targetILNS1_3genE8ELNS1_11target_archE1030ELNS1_3gpuE2ELNS1_3repE0EEENS1_30default_config_static_selectorELNS0_4arch9wavefront6targetE1EEEvT1_
; %bb.0:
	.section	.rodata,"a",@progbits
	.p2align	6, 0x0
	.amdhsa_kernel _ZN7rocprim17ROCPRIM_400000_NS6detail17trampoline_kernelINS0_14default_configENS1_25partition_config_selectorILNS1_17partition_subalgoE8ElNS0_10empty_typeEbEEZZNS1_14partition_implILS5_8ELb0ES3_jPlPS6_PKS6_NS0_5tupleIJS9_S6_EEENSD_IJSA_SA_EEENS0_18inequality_wrapperIZN2at6native12_GLOBAL__N_124unique_dim_cuda_templateIN3c104HalfEEESt5tupleIJNSH_6TensorESO_SO_EERKSO_lbbbEUlllE0_EEPmJS6_EEE10hipError_tPvRmT3_T4_T5_T6_T7_T9_mT8_P12ihipStream_tbDpT10_ENKUlT_T0_E_clISt17integral_constantIbLb0EES1D_IbLb1EEEEDaS19_S1A_EUlS19_E_NS1_11comp_targetILNS1_3genE8ELNS1_11target_archE1030ELNS1_3gpuE2ELNS1_3repE0EEENS1_30default_config_static_selectorELNS0_4arch9wavefront6targetE1EEEvT1_
		.amdhsa_group_segment_fixed_size 0
		.amdhsa_private_segment_fixed_size 0
		.amdhsa_kernarg_size 136
		.amdhsa_user_sgpr_count 2
		.amdhsa_user_sgpr_dispatch_ptr 0
		.amdhsa_user_sgpr_queue_ptr 0
		.amdhsa_user_sgpr_kernarg_segment_ptr 1
		.amdhsa_user_sgpr_dispatch_id 0
		.amdhsa_user_sgpr_kernarg_preload_length 0
		.amdhsa_user_sgpr_kernarg_preload_offset 0
		.amdhsa_user_sgpr_private_segment_size 0
		.amdhsa_uses_dynamic_stack 0
		.amdhsa_enable_private_segment 0
		.amdhsa_system_sgpr_workgroup_id_x 1
		.amdhsa_system_sgpr_workgroup_id_y 0
		.amdhsa_system_sgpr_workgroup_id_z 0
		.amdhsa_system_sgpr_workgroup_info 0
		.amdhsa_system_vgpr_workitem_id 0
		.amdhsa_next_free_vgpr 1
		.amdhsa_next_free_sgpr 0
		.amdhsa_accum_offset 4
		.amdhsa_reserve_vcc 0
		.amdhsa_float_round_mode_32 0
		.amdhsa_float_round_mode_16_64 0
		.amdhsa_float_denorm_mode_32 3
		.amdhsa_float_denorm_mode_16_64 3
		.amdhsa_dx10_clamp 1
		.amdhsa_ieee_mode 1
		.amdhsa_fp16_overflow 0
		.amdhsa_tg_split 0
		.amdhsa_exception_fp_ieee_invalid_op 0
		.amdhsa_exception_fp_denorm_src 0
		.amdhsa_exception_fp_ieee_div_zero 0
		.amdhsa_exception_fp_ieee_overflow 0
		.amdhsa_exception_fp_ieee_underflow 0
		.amdhsa_exception_fp_ieee_inexact 0
		.amdhsa_exception_int_div_zero 0
	.end_amdhsa_kernel
	.section	.text._ZN7rocprim17ROCPRIM_400000_NS6detail17trampoline_kernelINS0_14default_configENS1_25partition_config_selectorILNS1_17partition_subalgoE8ElNS0_10empty_typeEbEEZZNS1_14partition_implILS5_8ELb0ES3_jPlPS6_PKS6_NS0_5tupleIJS9_S6_EEENSD_IJSA_SA_EEENS0_18inequality_wrapperIZN2at6native12_GLOBAL__N_124unique_dim_cuda_templateIN3c104HalfEEESt5tupleIJNSH_6TensorESO_SO_EERKSO_lbbbEUlllE0_EEPmJS6_EEE10hipError_tPvRmT3_T4_T5_T6_T7_T9_mT8_P12ihipStream_tbDpT10_ENKUlT_T0_E_clISt17integral_constantIbLb0EES1D_IbLb1EEEEDaS19_S1A_EUlS19_E_NS1_11comp_targetILNS1_3genE8ELNS1_11target_archE1030ELNS1_3gpuE2ELNS1_3repE0EEENS1_30default_config_static_selectorELNS0_4arch9wavefront6targetE1EEEvT1_,"axG",@progbits,_ZN7rocprim17ROCPRIM_400000_NS6detail17trampoline_kernelINS0_14default_configENS1_25partition_config_selectorILNS1_17partition_subalgoE8ElNS0_10empty_typeEbEEZZNS1_14partition_implILS5_8ELb0ES3_jPlPS6_PKS6_NS0_5tupleIJS9_S6_EEENSD_IJSA_SA_EEENS0_18inequality_wrapperIZN2at6native12_GLOBAL__N_124unique_dim_cuda_templateIN3c104HalfEEESt5tupleIJNSH_6TensorESO_SO_EERKSO_lbbbEUlllE0_EEPmJS6_EEE10hipError_tPvRmT3_T4_T5_T6_T7_T9_mT8_P12ihipStream_tbDpT10_ENKUlT_T0_E_clISt17integral_constantIbLb0EES1D_IbLb1EEEEDaS19_S1A_EUlS19_E_NS1_11comp_targetILNS1_3genE8ELNS1_11target_archE1030ELNS1_3gpuE2ELNS1_3repE0EEENS1_30default_config_static_selectorELNS0_4arch9wavefront6targetE1EEEvT1_,comdat
.Lfunc_end1336:
	.size	_ZN7rocprim17ROCPRIM_400000_NS6detail17trampoline_kernelINS0_14default_configENS1_25partition_config_selectorILNS1_17partition_subalgoE8ElNS0_10empty_typeEbEEZZNS1_14partition_implILS5_8ELb0ES3_jPlPS6_PKS6_NS0_5tupleIJS9_S6_EEENSD_IJSA_SA_EEENS0_18inequality_wrapperIZN2at6native12_GLOBAL__N_124unique_dim_cuda_templateIN3c104HalfEEESt5tupleIJNSH_6TensorESO_SO_EERKSO_lbbbEUlllE0_EEPmJS6_EEE10hipError_tPvRmT3_T4_T5_T6_T7_T9_mT8_P12ihipStream_tbDpT10_ENKUlT_T0_E_clISt17integral_constantIbLb0EES1D_IbLb1EEEEDaS19_S1A_EUlS19_E_NS1_11comp_targetILNS1_3genE8ELNS1_11target_archE1030ELNS1_3gpuE2ELNS1_3repE0EEENS1_30default_config_static_selectorELNS0_4arch9wavefront6targetE1EEEvT1_, .Lfunc_end1336-_ZN7rocprim17ROCPRIM_400000_NS6detail17trampoline_kernelINS0_14default_configENS1_25partition_config_selectorILNS1_17partition_subalgoE8ElNS0_10empty_typeEbEEZZNS1_14partition_implILS5_8ELb0ES3_jPlPS6_PKS6_NS0_5tupleIJS9_S6_EEENSD_IJSA_SA_EEENS0_18inequality_wrapperIZN2at6native12_GLOBAL__N_124unique_dim_cuda_templateIN3c104HalfEEESt5tupleIJNSH_6TensorESO_SO_EERKSO_lbbbEUlllE0_EEPmJS6_EEE10hipError_tPvRmT3_T4_T5_T6_T7_T9_mT8_P12ihipStream_tbDpT10_ENKUlT_T0_E_clISt17integral_constantIbLb0EES1D_IbLb1EEEEDaS19_S1A_EUlS19_E_NS1_11comp_targetILNS1_3genE8ELNS1_11target_archE1030ELNS1_3gpuE2ELNS1_3repE0EEENS1_30default_config_static_selectorELNS0_4arch9wavefront6targetE1EEEvT1_
                                        ; -- End function
	.section	.AMDGPU.csdata,"",@progbits
; Kernel info:
; codeLenInByte = 0
; NumSgprs: 6
; NumVgprs: 0
; NumAgprs: 0
; TotalNumVgprs: 0
; ScratchSize: 0
; MemoryBound: 0
; FloatMode: 240
; IeeeMode: 1
; LDSByteSize: 0 bytes/workgroup (compile time only)
; SGPRBlocks: 0
; VGPRBlocks: 0
; NumSGPRsForWavesPerEU: 6
; NumVGPRsForWavesPerEU: 1
; AccumOffset: 4
; Occupancy: 8
; WaveLimiterHint : 0
; COMPUTE_PGM_RSRC2:SCRATCH_EN: 0
; COMPUTE_PGM_RSRC2:USER_SGPR: 2
; COMPUTE_PGM_RSRC2:TRAP_HANDLER: 0
; COMPUTE_PGM_RSRC2:TGID_X_EN: 1
; COMPUTE_PGM_RSRC2:TGID_Y_EN: 0
; COMPUTE_PGM_RSRC2:TGID_Z_EN: 0
; COMPUTE_PGM_RSRC2:TIDIG_COMP_CNT: 0
; COMPUTE_PGM_RSRC3_GFX90A:ACCUM_OFFSET: 0
; COMPUTE_PGM_RSRC3_GFX90A:TG_SPLIT: 0
	.section	.text._ZN7rocprim17ROCPRIM_400000_NS6detail17trampoline_kernelINS0_14default_configENS1_25partition_config_selectorILNS1_17partition_subalgoE9EllbEEZZNS1_14partition_implILS5_9ELb0ES3_jPlS8_PNS0_10empty_typeENS0_5tupleIJS8_S9_EEENSB_IJS8_SA_EEENS0_18inequality_wrapperIZN2at6native12_GLOBAL__N_124unique_dim_cuda_templateIN3c104HalfEEESt5tupleIJNSF_6TensorESM_SM_EERKSM_lbbbEUlllE0_EEPmJS9_EEE10hipError_tPvRmT3_T4_T5_T6_T7_T9_mT8_P12ihipStream_tbDpT10_ENKUlT_T0_E_clISt17integral_constantIbLb0EES1C_EEDaS17_S18_EUlS17_E_NS1_11comp_targetILNS1_3genE0ELNS1_11target_archE4294967295ELNS1_3gpuE0ELNS1_3repE0EEENS1_30default_config_static_selectorELNS0_4arch9wavefront6targetE1EEEvT1_,"axG",@progbits,_ZN7rocprim17ROCPRIM_400000_NS6detail17trampoline_kernelINS0_14default_configENS1_25partition_config_selectorILNS1_17partition_subalgoE9EllbEEZZNS1_14partition_implILS5_9ELb0ES3_jPlS8_PNS0_10empty_typeENS0_5tupleIJS8_S9_EEENSB_IJS8_SA_EEENS0_18inequality_wrapperIZN2at6native12_GLOBAL__N_124unique_dim_cuda_templateIN3c104HalfEEESt5tupleIJNSF_6TensorESM_SM_EERKSM_lbbbEUlllE0_EEPmJS9_EEE10hipError_tPvRmT3_T4_T5_T6_T7_T9_mT8_P12ihipStream_tbDpT10_ENKUlT_T0_E_clISt17integral_constantIbLb0EES1C_EEDaS17_S18_EUlS17_E_NS1_11comp_targetILNS1_3genE0ELNS1_11target_archE4294967295ELNS1_3gpuE0ELNS1_3repE0EEENS1_30default_config_static_selectorELNS0_4arch9wavefront6targetE1EEEvT1_,comdat
	.globl	_ZN7rocprim17ROCPRIM_400000_NS6detail17trampoline_kernelINS0_14default_configENS1_25partition_config_selectorILNS1_17partition_subalgoE9EllbEEZZNS1_14partition_implILS5_9ELb0ES3_jPlS8_PNS0_10empty_typeENS0_5tupleIJS8_S9_EEENSB_IJS8_SA_EEENS0_18inequality_wrapperIZN2at6native12_GLOBAL__N_124unique_dim_cuda_templateIN3c104HalfEEESt5tupleIJNSF_6TensorESM_SM_EERKSM_lbbbEUlllE0_EEPmJS9_EEE10hipError_tPvRmT3_T4_T5_T6_T7_T9_mT8_P12ihipStream_tbDpT10_ENKUlT_T0_E_clISt17integral_constantIbLb0EES1C_EEDaS17_S18_EUlS17_E_NS1_11comp_targetILNS1_3genE0ELNS1_11target_archE4294967295ELNS1_3gpuE0ELNS1_3repE0EEENS1_30default_config_static_selectorELNS0_4arch9wavefront6targetE1EEEvT1_ ; -- Begin function _ZN7rocprim17ROCPRIM_400000_NS6detail17trampoline_kernelINS0_14default_configENS1_25partition_config_selectorILNS1_17partition_subalgoE9EllbEEZZNS1_14partition_implILS5_9ELb0ES3_jPlS8_PNS0_10empty_typeENS0_5tupleIJS8_S9_EEENSB_IJS8_SA_EEENS0_18inequality_wrapperIZN2at6native12_GLOBAL__N_124unique_dim_cuda_templateIN3c104HalfEEESt5tupleIJNSF_6TensorESM_SM_EERKSM_lbbbEUlllE0_EEPmJS9_EEE10hipError_tPvRmT3_T4_T5_T6_T7_T9_mT8_P12ihipStream_tbDpT10_ENKUlT_T0_E_clISt17integral_constantIbLb0EES1C_EEDaS17_S18_EUlS17_E_NS1_11comp_targetILNS1_3genE0ELNS1_11target_archE4294967295ELNS1_3gpuE0ELNS1_3repE0EEENS1_30default_config_static_selectorELNS0_4arch9wavefront6targetE1EEEvT1_
	.p2align	8
	.type	_ZN7rocprim17ROCPRIM_400000_NS6detail17trampoline_kernelINS0_14default_configENS1_25partition_config_selectorILNS1_17partition_subalgoE9EllbEEZZNS1_14partition_implILS5_9ELb0ES3_jPlS8_PNS0_10empty_typeENS0_5tupleIJS8_S9_EEENSB_IJS8_SA_EEENS0_18inequality_wrapperIZN2at6native12_GLOBAL__N_124unique_dim_cuda_templateIN3c104HalfEEESt5tupleIJNSF_6TensorESM_SM_EERKSM_lbbbEUlllE0_EEPmJS9_EEE10hipError_tPvRmT3_T4_T5_T6_T7_T9_mT8_P12ihipStream_tbDpT10_ENKUlT_T0_E_clISt17integral_constantIbLb0EES1C_EEDaS17_S18_EUlS17_E_NS1_11comp_targetILNS1_3genE0ELNS1_11target_archE4294967295ELNS1_3gpuE0ELNS1_3repE0EEENS1_30default_config_static_selectorELNS0_4arch9wavefront6targetE1EEEvT1_,@function
_ZN7rocprim17ROCPRIM_400000_NS6detail17trampoline_kernelINS0_14default_configENS1_25partition_config_selectorILNS1_17partition_subalgoE9EllbEEZZNS1_14partition_implILS5_9ELb0ES3_jPlS8_PNS0_10empty_typeENS0_5tupleIJS8_S9_EEENSB_IJS8_SA_EEENS0_18inequality_wrapperIZN2at6native12_GLOBAL__N_124unique_dim_cuda_templateIN3c104HalfEEESt5tupleIJNSF_6TensorESM_SM_EERKSM_lbbbEUlllE0_EEPmJS9_EEE10hipError_tPvRmT3_T4_T5_T6_T7_T9_mT8_P12ihipStream_tbDpT10_ENKUlT_T0_E_clISt17integral_constantIbLb0EES1C_EEDaS17_S18_EUlS17_E_NS1_11comp_targetILNS1_3genE0ELNS1_11target_archE4294967295ELNS1_3gpuE0ELNS1_3repE0EEENS1_30default_config_static_selectorELNS0_4arch9wavefront6targetE1EEEvT1_: ; @_ZN7rocprim17ROCPRIM_400000_NS6detail17trampoline_kernelINS0_14default_configENS1_25partition_config_selectorILNS1_17partition_subalgoE9EllbEEZZNS1_14partition_implILS5_9ELb0ES3_jPlS8_PNS0_10empty_typeENS0_5tupleIJS8_S9_EEENSB_IJS8_SA_EEENS0_18inequality_wrapperIZN2at6native12_GLOBAL__N_124unique_dim_cuda_templateIN3c104HalfEEESt5tupleIJNSF_6TensorESM_SM_EERKSM_lbbbEUlllE0_EEPmJS9_EEE10hipError_tPvRmT3_T4_T5_T6_T7_T9_mT8_P12ihipStream_tbDpT10_ENKUlT_T0_E_clISt17integral_constantIbLb0EES1C_EEDaS17_S18_EUlS17_E_NS1_11comp_targetILNS1_3genE0ELNS1_11target_archE4294967295ELNS1_3gpuE0ELNS1_3repE0EEENS1_30default_config_static_selectorELNS0_4arch9wavefront6targetE1EEEvT1_
; %bb.0:
	.section	.rodata,"a",@progbits
	.p2align	6, 0x0
	.amdhsa_kernel _ZN7rocprim17ROCPRIM_400000_NS6detail17trampoline_kernelINS0_14default_configENS1_25partition_config_selectorILNS1_17partition_subalgoE9EllbEEZZNS1_14partition_implILS5_9ELb0ES3_jPlS8_PNS0_10empty_typeENS0_5tupleIJS8_S9_EEENSB_IJS8_SA_EEENS0_18inequality_wrapperIZN2at6native12_GLOBAL__N_124unique_dim_cuda_templateIN3c104HalfEEESt5tupleIJNSF_6TensorESM_SM_EERKSM_lbbbEUlllE0_EEPmJS9_EEE10hipError_tPvRmT3_T4_T5_T6_T7_T9_mT8_P12ihipStream_tbDpT10_ENKUlT_T0_E_clISt17integral_constantIbLb0EES1C_EEDaS17_S18_EUlS17_E_NS1_11comp_targetILNS1_3genE0ELNS1_11target_archE4294967295ELNS1_3gpuE0ELNS1_3repE0EEENS1_30default_config_static_selectorELNS0_4arch9wavefront6targetE1EEEvT1_
		.amdhsa_group_segment_fixed_size 0
		.amdhsa_private_segment_fixed_size 0
		.amdhsa_kernarg_size 120
		.amdhsa_user_sgpr_count 2
		.amdhsa_user_sgpr_dispatch_ptr 0
		.amdhsa_user_sgpr_queue_ptr 0
		.amdhsa_user_sgpr_kernarg_segment_ptr 1
		.amdhsa_user_sgpr_dispatch_id 0
		.amdhsa_user_sgpr_kernarg_preload_length 0
		.amdhsa_user_sgpr_kernarg_preload_offset 0
		.amdhsa_user_sgpr_private_segment_size 0
		.amdhsa_uses_dynamic_stack 0
		.amdhsa_enable_private_segment 0
		.amdhsa_system_sgpr_workgroup_id_x 1
		.amdhsa_system_sgpr_workgroup_id_y 0
		.amdhsa_system_sgpr_workgroup_id_z 0
		.amdhsa_system_sgpr_workgroup_info 0
		.amdhsa_system_vgpr_workitem_id 0
		.amdhsa_next_free_vgpr 1
		.amdhsa_next_free_sgpr 0
		.amdhsa_accum_offset 4
		.amdhsa_reserve_vcc 0
		.amdhsa_float_round_mode_32 0
		.amdhsa_float_round_mode_16_64 0
		.amdhsa_float_denorm_mode_32 3
		.amdhsa_float_denorm_mode_16_64 3
		.amdhsa_dx10_clamp 1
		.amdhsa_ieee_mode 1
		.amdhsa_fp16_overflow 0
		.amdhsa_tg_split 0
		.amdhsa_exception_fp_ieee_invalid_op 0
		.amdhsa_exception_fp_denorm_src 0
		.amdhsa_exception_fp_ieee_div_zero 0
		.amdhsa_exception_fp_ieee_overflow 0
		.amdhsa_exception_fp_ieee_underflow 0
		.amdhsa_exception_fp_ieee_inexact 0
		.amdhsa_exception_int_div_zero 0
	.end_amdhsa_kernel
	.section	.text._ZN7rocprim17ROCPRIM_400000_NS6detail17trampoline_kernelINS0_14default_configENS1_25partition_config_selectorILNS1_17partition_subalgoE9EllbEEZZNS1_14partition_implILS5_9ELb0ES3_jPlS8_PNS0_10empty_typeENS0_5tupleIJS8_S9_EEENSB_IJS8_SA_EEENS0_18inequality_wrapperIZN2at6native12_GLOBAL__N_124unique_dim_cuda_templateIN3c104HalfEEESt5tupleIJNSF_6TensorESM_SM_EERKSM_lbbbEUlllE0_EEPmJS9_EEE10hipError_tPvRmT3_T4_T5_T6_T7_T9_mT8_P12ihipStream_tbDpT10_ENKUlT_T0_E_clISt17integral_constantIbLb0EES1C_EEDaS17_S18_EUlS17_E_NS1_11comp_targetILNS1_3genE0ELNS1_11target_archE4294967295ELNS1_3gpuE0ELNS1_3repE0EEENS1_30default_config_static_selectorELNS0_4arch9wavefront6targetE1EEEvT1_,"axG",@progbits,_ZN7rocprim17ROCPRIM_400000_NS6detail17trampoline_kernelINS0_14default_configENS1_25partition_config_selectorILNS1_17partition_subalgoE9EllbEEZZNS1_14partition_implILS5_9ELb0ES3_jPlS8_PNS0_10empty_typeENS0_5tupleIJS8_S9_EEENSB_IJS8_SA_EEENS0_18inequality_wrapperIZN2at6native12_GLOBAL__N_124unique_dim_cuda_templateIN3c104HalfEEESt5tupleIJNSF_6TensorESM_SM_EERKSM_lbbbEUlllE0_EEPmJS9_EEE10hipError_tPvRmT3_T4_T5_T6_T7_T9_mT8_P12ihipStream_tbDpT10_ENKUlT_T0_E_clISt17integral_constantIbLb0EES1C_EEDaS17_S18_EUlS17_E_NS1_11comp_targetILNS1_3genE0ELNS1_11target_archE4294967295ELNS1_3gpuE0ELNS1_3repE0EEENS1_30default_config_static_selectorELNS0_4arch9wavefront6targetE1EEEvT1_,comdat
.Lfunc_end1337:
	.size	_ZN7rocprim17ROCPRIM_400000_NS6detail17trampoline_kernelINS0_14default_configENS1_25partition_config_selectorILNS1_17partition_subalgoE9EllbEEZZNS1_14partition_implILS5_9ELb0ES3_jPlS8_PNS0_10empty_typeENS0_5tupleIJS8_S9_EEENSB_IJS8_SA_EEENS0_18inequality_wrapperIZN2at6native12_GLOBAL__N_124unique_dim_cuda_templateIN3c104HalfEEESt5tupleIJNSF_6TensorESM_SM_EERKSM_lbbbEUlllE0_EEPmJS9_EEE10hipError_tPvRmT3_T4_T5_T6_T7_T9_mT8_P12ihipStream_tbDpT10_ENKUlT_T0_E_clISt17integral_constantIbLb0EES1C_EEDaS17_S18_EUlS17_E_NS1_11comp_targetILNS1_3genE0ELNS1_11target_archE4294967295ELNS1_3gpuE0ELNS1_3repE0EEENS1_30default_config_static_selectorELNS0_4arch9wavefront6targetE1EEEvT1_, .Lfunc_end1337-_ZN7rocprim17ROCPRIM_400000_NS6detail17trampoline_kernelINS0_14default_configENS1_25partition_config_selectorILNS1_17partition_subalgoE9EllbEEZZNS1_14partition_implILS5_9ELb0ES3_jPlS8_PNS0_10empty_typeENS0_5tupleIJS8_S9_EEENSB_IJS8_SA_EEENS0_18inequality_wrapperIZN2at6native12_GLOBAL__N_124unique_dim_cuda_templateIN3c104HalfEEESt5tupleIJNSF_6TensorESM_SM_EERKSM_lbbbEUlllE0_EEPmJS9_EEE10hipError_tPvRmT3_T4_T5_T6_T7_T9_mT8_P12ihipStream_tbDpT10_ENKUlT_T0_E_clISt17integral_constantIbLb0EES1C_EEDaS17_S18_EUlS17_E_NS1_11comp_targetILNS1_3genE0ELNS1_11target_archE4294967295ELNS1_3gpuE0ELNS1_3repE0EEENS1_30default_config_static_selectorELNS0_4arch9wavefront6targetE1EEEvT1_
                                        ; -- End function
	.section	.AMDGPU.csdata,"",@progbits
; Kernel info:
; codeLenInByte = 0
; NumSgprs: 6
; NumVgprs: 0
; NumAgprs: 0
; TotalNumVgprs: 0
; ScratchSize: 0
; MemoryBound: 0
; FloatMode: 240
; IeeeMode: 1
; LDSByteSize: 0 bytes/workgroup (compile time only)
; SGPRBlocks: 0
; VGPRBlocks: 0
; NumSGPRsForWavesPerEU: 6
; NumVGPRsForWavesPerEU: 1
; AccumOffset: 4
; Occupancy: 8
; WaveLimiterHint : 0
; COMPUTE_PGM_RSRC2:SCRATCH_EN: 0
; COMPUTE_PGM_RSRC2:USER_SGPR: 2
; COMPUTE_PGM_RSRC2:TRAP_HANDLER: 0
; COMPUTE_PGM_RSRC2:TGID_X_EN: 1
; COMPUTE_PGM_RSRC2:TGID_Y_EN: 0
; COMPUTE_PGM_RSRC2:TGID_Z_EN: 0
; COMPUTE_PGM_RSRC2:TIDIG_COMP_CNT: 0
; COMPUTE_PGM_RSRC3_GFX90A:ACCUM_OFFSET: 0
; COMPUTE_PGM_RSRC3_GFX90A:TG_SPLIT: 0
	.section	.text._ZN7rocprim17ROCPRIM_400000_NS6detail17trampoline_kernelINS0_14default_configENS1_25partition_config_selectorILNS1_17partition_subalgoE9EllbEEZZNS1_14partition_implILS5_9ELb0ES3_jPlS8_PNS0_10empty_typeENS0_5tupleIJS8_S9_EEENSB_IJS8_SA_EEENS0_18inequality_wrapperIZN2at6native12_GLOBAL__N_124unique_dim_cuda_templateIN3c104HalfEEESt5tupleIJNSF_6TensorESM_SM_EERKSM_lbbbEUlllE0_EEPmJS9_EEE10hipError_tPvRmT3_T4_T5_T6_T7_T9_mT8_P12ihipStream_tbDpT10_ENKUlT_T0_E_clISt17integral_constantIbLb0EES1C_EEDaS17_S18_EUlS17_E_NS1_11comp_targetILNS1_3genE5ELNS1_11target_archE942ELNS1_3gpuE9ELNS1_3repE0EEENS1_30default_config_static_selectorELNS0_4arch9wavefront6targetE1EEEvT1_,"axG",@progbits,_ZN7rocprim17ROCPRIM_400000_NS6detail17trampoline_kernelINS0_14default_configENS1_25partition_config_selectorILNS1_17partition_subalgoE9EllbEEZZNS1_14partition_implILS5_9ELb0ES3_jPlS8_PNS0_10empty_typeENS0_5tupleIJS8_S9_EEENSB_IJS8_SA_EEENS0_18inequality_wrapperIZN2at6native12_GLOBAL__N_124unique_dim_cuda_templateIN3c104HalfEEESt5tupleIJNSF_6TensorESM_SM_EERKSM_lbbbEUlllE0_EEPmJS9_EEE10hipError_tPvRmT3_T4_T5_T6_T7_T9_mT8_P12ihipStream_tbDpT10_ENKUlT_T0_E_clISt17integral_constantIbLb0EES1C_EEDaS17_S18_EUlS17_E_NS1_11comp_targetILNS1_3genE5ELNS1_11target_archE942ELNS1_3gpuE9ELNS1_3repE0EEENS1_30default_config_static_selectorELNS0_4arch9wavefront6targetE1EEEvT1_,comdat
	.globl	_ZN7rocprim17ROCPRIM_400000_NS6detail17trampoline_kernelINS0_14default_configENS1_25partition_config_selectorILNS1_17partition_subalgoE9EllbEEZZNS1_14partition_implILS5_9ELb0ES3_jPlS8_PNS0_10empty_typeENS0_5tupleIJS8_S9_EEENSB_IJS8_SA_EEENS0_18inequality_wrapperIZN2at6native12_GLOBAL__N_124unique_dim_cuda_templateIN3c104HalfEEESt5tupleIJNSF_6TensorESM_SM_EERKSM_lbbbEUlllE0_EEPmJS9_EEE10hipError_tPvRmT3_T4_T5_T6_T7_T9_mT8_P12ihipStream_tbDpT10_ENKUlT_T0_E_clISt17integral_constantIbLb0EES1C_EEDaS17_S18_EUlS17_E_NS1_11comp_targetILNS1_3genE5ELNS1_11target_archE942ELNS1_3gpuE9ELNS1_3repE0EEENS1_30default_config_static_selectorELNS0_4arch9wavefront6targetE1EEEvT1_ ; -- Begin function _ZN7rocprim17ROCPRIM_400000_NS6detail17trampoline_kernelINS0_14default_configENS1_25partition_config_selectorILNS1_17partition_subalgoE9EllbEEZZNS1_14partition_implILS5_9ELb0ES3_jPlS8_PNS0_10empty_typeENS0_5tupleIJS8_S9_EEENSB_IJS8_SA_EEENS0_18inequality_wrapperIZN2at6native12_GLOBAL__N_124unique_dim_cuda_templateIN3c104HalfEEESt5tupleIJNSF_6TensorESM_SM_EERKSM_lbbbEUlllE0_EEPmJS9_EEE10hipError_tPvRmT3_T4_T5_T6_T7_T9_mT8_P12ihipStream_tbDpT10_ENKUlT_T0_E_clISt17integral_constantIbLb0EES1C_EEDaS17_S18_EUlS17_E_NS1_11comp_targetILNS1_3genE5ELNS1_11target_archE942ELNS1_3gpuE9ELNS1_3repE0EEENS1_30default_config_static_selectorELNS0_4arch9wavefront6targetE1EEEvT1_
	.p2align	8
	.type	_ZN7rocprim17ROCPRIM_400000_NS6detail17trampoline_kernelINS0_14default_configENS1_25partition_config_selectorILNS1_17partition_subalgoE9EllbEEZZNS1_14partition_implILS5_9ELb0ES3_jPlS8_PNS0_10empty_typeENS0_5tupleIJS8_S9_EEENSB_IJS8_SA_EEENS0_18inequality_wrapperIZN2at6native12_GLOBAL__N_124unique_dim_cuda_templateIN3c104HalfEEESt5tupleIJNSF_6TensorESM_SM_EERKSM_lbbbEUlllE0_EEPmJS9_EEE10hipError_tPvRmT3_T4_T5_T6_T7_T9_mT8_P12ihipStream_tbDpT10_ENKUlT_T0_E_clISt17integral_constantIbLb0EES1C_EEDaS17_S18_EUlS17_E_NS1_11comp_targetILNS1_3genE5ELNS1_11target_archE942ELNS1_3gpuE9ELNS1_3repE0EEENS1_30default_config_static_selectorELNS0_4arch9wavefront6targetE1EEEvT1_,@function
_ZN7rocprim17ROCPRIM_400000_NS6detail17trampoline_kernelINS0_14default_configENS1_25partition_config_selectorILNS1_17partition_subalgoE9EllbEEZZNS1_14partition_implILS5_9ELb0ES3_jPlS8_PNS0_10empty_typeENS0_5tupleIJS8_S9_EEENSB_IJS8_SA_EEENS0_18inequality_wrapperIZN2at6native12_GLOBAL__N_124unique_dim_cuda_templateIN3c104HalfEEESt5tupleIJNSF_6TensorESM_SM_EERKSM_lbbbEUlllE0_EEPmJS9_EEE10hipError_tPvRmT3_T4_T5_T6_T7_T9_mT8_P12ihipStream_tbDpT10_ENKUlT_T0_E_clISt17integral_constantIbLb0EES1C_EEDaS17_S18_EUlS17_E_NS1_11comp_targetILNS1_3genE5ELNS1_11target_archE942ELNS1_3gpuE9ELNS1_3repE0EEENS1_30default_config_static_selectorELNS0_4arch9wavefront6targetE1EEEvT1_: ; @_ZN7rocprim17ROCPRIM_400000_NS6detail17trampoline_kernelINS0_14default_configENS1_25partition_config_selectorILNS1_17partition_subalgoE9EllbEEZZNS1_14partition_implILS5_9ELb0ES3_jPlS8_PNS0_10empty_typeENS0_5tupleIJS8_S9_EEENSB_IJS8_SA_EEENS0_18inequality_wrapperIZN2at6native12_GLOBAL__N_124unique_dim_cuda_templateIN3c104HalfEEESt5tupleIJNSF_6TensorESM_SM_EERKSM_lbbbEUlllE0_EEPmJS9_EEE10hipError_tPvRmT3_T4_T5_T6_T7_T9_mT8_P12ihipStream_tbDpT10_ENKUlT_T0_E_clISt17integral_constantIbLb0EES1C_EEDaS17_S18_EUlS17_E_NS1_11comp_targetILNS1_3genE5ELNS1_11target_archE942ELNS1_3gpuE9ELNS1_3repE0EEENS1_30default_config_static_selectorELNS0_4arch9wavefront6targetE1EEEvT1_
; %bb.0:
	s_load_dwordx8 s[20:27], s[0:1], 0x40
	s_load_dwordx4 s[4:7], s[0:1], 0x8
	s_load_dwordx2 s[10:11], s[0:1], 0x18
	s_load_dword s3, s[0:1], 0x70
	s_mul_i32 s12, s2, 0xe00
	s_waitcnt lgkmcnt(0)
	v_mov_b32_e32 v2, s24
	s_lshl_b64 s[14:15], s[6:7], 3
	s_add_u32 s18, s4, s14
	s_mul_i32 s4, s3, 0xe00
	s_addc_u32 s19, s5, s15
	s_add_i32 s8, s3, -1
	s_add_i32 s3, s4, s6
	s_sub_i32 s3, s24, s3
	s_addk_i32 s3, 0xe00
	s_add_u32 s4, s6, s4
	s_addc_u32 s5, s7, 0
	v_mov_b32_e32 v3, s25
	s_cmp_eq_u32 s2, s8
	s_load_dwordx2 s[22:23], s[22:23], 0x0
	v_cmp_ge_u64_e32 vcc, s[4:5], v[2:3]
	s_cselect_b64 s[24:25], -1, 0
	s_mov_b32 s13, 0
	s_and_b64 s[8:9], s[24:25], vcc
	s_xor_b64 s[34:35], s[8:9], -1
	s_lshl_b64 s[16:17], s[12:13], 3
	s_add_u32 s12, s18, s16
	s_mov_b64 s[4:5], -1
	s_addc_u32 s13, s19, s17
	s_and_b64 vcc, exec, s[34:35]
	s_cbranch_vccz .LBB1338_2
; %bb.1:
	v_lshlrev_b32_e32 v2, 3, v0
	v_mov_b32_e32 v3, 0
	v_lshl_add_u64 v[4:5], s[12:13], 0, v[2:3]
	v_add_co_u32_e32 v8, vcc, 0x1000, v4
	global_load_dwordx2 v[6:7], v2, s[12:13]
	s_nop 0
	v_addc_co_u32_e32 v9, vcc, 0, v5, vcc
	v_add_co_u32_e32 v10, vcc, 0x2000, v4
	s_mov_b64 s[4:5], 0
	s_nop 0
	v_addc_co_u32_e32 v11, vcc, 0, v5, vcc
	v_add_co_u32_e32 v12, vcc, 0x3000, v4
	s_nop 1
	v_addc_co_u32_e32 v13, vcc, 0, v5, vcc
	v_add_co_u32_e32 v14, vcc, 0x4000, v4
	s_nop 1
	v_addc_co_u32_e32 v15, vcc, 0, v5, vcc
	global_load_dwordx2 v[16:17], v[8:9], off
	global_load_dwordx2 v[18:19], v[10:11], off
	;; [unrolled: 1-line block ×4, first 2 shown]
	v_add_co_u32_e32 v8, vcc, 0x5000, v4
	s_nop 1
	v_addc_co_u32_e32 v9, vcc, 0, v5, vcc
	v_add_co_u32_e32 v4, vcc, 0x6000, v4
	global_load_dwordx2 v[8:9], v[8:9], off
	s_nop 0
	v_addc_co_u32_e32 v5, vcc, 0, v5, vcc
	global_load_dwordx2 v[4:5], v[4:5], off
	s_waitcnt vmcnt(5)
	ds_write2st64_b64 v2, v[6:7], v[16:17] offset1:8
	s_waitcnt vmcnt(3)
	ds_write2st64_b64 v2, v[18:19], v[20:21] offset0:16 offset1:24
	s_waitcnt vmcnt(1)
	ds_write2st64_b64 v2, v[22:23], v[8:9] offset0:32 offset1:40
	s_waitcnt vmcnt(0)
	ds_write_b64 v2, v[4:5] offset:24576
	s_waitcnt lgkmcnt(0)
	s_barrier
.LBB1338_2:
	s_load_dwordx4 s[28:31], s[0:1], 0x60
	s_andn2_b64 vcc, exec, s[4:5]
	v_cmp_gt_u32_e64 s[4:5], s3, v0
	s_cbranch_vccnz .LBB1338_18
; %bb.3:
                                        ; implicit-def: $vgpr2_vgpr3_vgpr4_vgpr5_vgpr6_vgpr7_vgpr8_vgpr9_vgpr10_vgpr11_vgpr12_vgpr13_vgpr14_vgpr15_vgpr16_vgpr17
	s_and_saveexec_b64 s[18:19], s[4:5]
	s_cbranch_execz .LBB1338_5
; %bb.4:
	v_lshlrev_b32_e32 v1, 3, v0
	global_load_dwordx2 v[2:3], v1, s[12:13]
.LBB1338_5:
	s_or_b64 exec, exec, s[18:19]
	v_or_b32_e32 v1, 0x200, v0
	v_cmp_gt_u32_e32 vcc, s3, v1
	s_and_saveexec_b64 s[4:5], vcc
	s_cbranch_execz .LBB1338_7
; %bb.6:
	v_lshlrev_b32_e32 v1, 3, v1
	global_load_dwordx2 v[4:5], v1, s[12:13]
.LBB1338_7:
	s_or_b64 exec, exec, s[4:5]
	v_or_b32_e32 v1, 0x400, v0
	v_cmp_gt_u32_e32 vcc, s3, v1
	s_and_saveexec_b64 s[4:5], vcc
	;; [unrolled: 9-line block ×6, first 2 shown]
	s_cbranch_execz .LBB1338_17
; %bb.16:
	v_lshlrev_b32_e32 v1, 3, v1
	global_load_dwordx2 v[14:15], v1, s[12:13]
.LBB1338_17:
	s_or_b64 exec, exec, s[4:5]
	v_lshlrev_b32_e32 v1, 3, v0
	s_waitcnt vmcnt(0)
	ds_write2st64_b64 v1, v[2:3], v[4:5] offset1:8
	ds_write2st64_b64 v1, v[6:7], v[8:9] offset0:16 offset1:24
	ds_write2st64_b64 v1, v[10:11], v[12:13] offset0:32 offset1:40
	ds_write_b64 v1, v[14:15] offset:24576
	s_waitcnt lgkmcnt(0)
	s_barrier
.LBB1338_18:
	v_mul_u32_u24_e32 v1, 7, v0
	v_lshlrev_b32_e32 v44, 3, v1
	s_waitcnt lgkmcnt(0)
	ds_read2_b64 v[22:25], v44 offset1:1
	ds_read2_b64 v[18:21], v44 offset0:2 offset1:3
	ds_read2_b64 v[14:17], v44 offset0:4 offset1:5
	ds_read_b64 v[28:29], v44 offset:48
	s_add_u32 s4, s10, s14
	s_addc_u32 s5, s11, s15
	s_add_u32 s4, s4, s16
	s_addc_u32 s5, s5, s17
	s_mov_b64 s[10:11], -1
	s_and_b64 vcc, exec, s[34:35]
	s_waitcnt lgkmcnt(0)
	s_barrier
	s_cbranch_vccz .LBB1338_20
; %bb.19:
	v_lshlrev_b32_e32 v2, 3, v0
	v_mov_b32_e32 v3, 0
	v_lshl_add_u64 v[4:5], s[4:5], 0, v[2:3]
	v_add_co_u32_e32 v8, vcc, 0x1000, v4
	global_load_dwordx2 v[6:7], v2, s[4:5]
	s_nop 0
	v_addc_co_u32_e32 v9, vcc, 0, v5, vcc
	v_add_co_u32_e32 v10, vcc, 0x2000, v4
	s_mov_b64 s[10:11], 0
	s_nop 0
	v_addc_co_u32_e32 v11, vcc, 0, v5, vcc
	v_add_co_u32_e32 v12, vcc, 0x3000, v4
	s_nop 1
	v_addc_co_u32_e32 v13, vcc, 0, v5, vcc
	v_add_co_u32_e32 v26, vcc, 0x4000, v4
	s_nop 1
	v_addc_co_u32_e32 v27, vcc, 0, v5, vcc
	global_load_dwordx2 v[30:31], v[8:9], off
	global_load_dwordx2 v[32:33], v[10:11], off
	;; [unrolled: 1-line block ×4, first 2 shown]
	v_add_co_u32_e32 v8, vcc, 0x5000, v4
	s_nop 1
	v_addc_co_u32_e32 v9, vcc, 0, v5, vcc
	v_add_co_u32_e32 v4, vcc, 0x6000, v4
	global_load_dwordx2 v[8:9], v[8:9], off
	s_nop 0
	v_addc_co_u32_e32 v5, vcc, 0, v5, vcc
	global_load_dwordx2 v[4:5], v[4:5], off
	s_waitcnt vmcnt(5)
	ds_write2st64_b64 v2, v[6:7], v[30:31] offset1:8
	s_waitcnt vmcnt(3)
	ds_write2st64_b64 v2, v[32:33], v[34:35] offset0:16 offset1:24
	s_waitcnt vmcnt(1)
	ds_write2st64_b64 v2, v[36:37], v[8:9] offset0:32 offset1:40
	s_waitcnt vmcnt(0)
	ds_write_b64 v2, v[4:5] offset:24576
	s_waitcnt lgkmcnt(0)
	s_barrier
.LBB1338_20:
	s_andn2_b64 vcc, exec, s[10:11]
	s_cbranch_vccnz .LBB1338_36
; %bb.21:
	v_cmp_gt_u32_e32 vcc, s3, v0
                                        ; implicit-def: $vgpr2_vgpr3
	s_and_saveexec_b64 s[10:11], vcc
	s_cbranch_execz .LBB1338_23
; %bb.22:
	v_lshlrev_b32_e32 v2, 3, v0
	global_load_dwordx2 v[2:3], v2, s[4:5]
.LBB1338_23:
	s_or_b64 exec, exec, s[10:11]
	v_or_b32_e32 v6, 0x200, v0
	v_cmp_gt_u32_e32 vcc, s3, v6
                                        ; implicit-def: $vgpr4_vgpr5
	s_and_saveexec_b64 s[10:11], vcc
	s_cbranch_execz .LBB1338_25
; %bb.24:
	v_lshlrev_b32_e32 v4, 3, v6
	global_load_dwordx2 v[4:5], v4, s[4:5]
.LBB1338_25:
	s_or_b64 exec, exec, s[10:11]
	v_or_b32_e32 v8, 0x400, v0
	v_cmp_gt_u32_e32 vcc, s3, v8
                                        ; implicit-def: $vgpr6_vgpr7
	s_and_saveexec_b64 s[10:11], vcc
	s_cbranch_execz .LBB1338_27
; %bb.26:
	v_lshlrev_b32_e32 v6, 3, v8
	global_load_dwordx2 v[6:7], v6, s[4:5]
.LBB1338_27:
	s_or_b64 exec, exec, s[10:11]
	v_or_b32_e32 v10, 0x600, v0
	v_cmp_gt_u32_e32 vcc, s3, v10
                                        ; implicit-def: $vgpr8_vgpr9
	s_and_saveexec_b64 s[10:11], vcc
	s_cbranch_execz .LBB1338_29
; %bb.28:
	v_lshlrev_b32_e32 v8, 3, v10
	global_load_dwordx2 v[8:9], v8, s[4:5]
.LBB1338_29:
	s_or_b64 exec, exec, s[10:11]
	v_or_b32_e32 v12, 0x800, v0
	v_cmp_gt_u32_e32 vcc, s3, v12
                                        ; implicit-def: $vgpr10_vgpr11
	s_and_saveexec_b64 s[10:11], vcc
	s_cbranch_execz .LBB1338_31
; %bb.30:
	v_lshlrev_b32_e32 v10, 3, v12
	global_load_dwordx2 v[10:11], v10, s[4:5]
.LBB1338_31:
	s_or_b64 exec, exec, s[10:11]
	v_or_b32_e32 v26, 0xa00, v0
	v_cmp_gt_u32_e32 vcc, s3, v26
                                        ; implicit-def: $vgpr12_vgpr13
	s_and_saveexec_b64 s[10:11], vcc
	s_cbranch_execz .LBB1338_33
; %bb.32:
	v_lshlrev_b32_e32 v12, 3, v26
	global_load_dwordx2 v[12:13], v12, s[4:5]
.LBB1338_33:
	s_or_b64 exec, exec, s[10:11]
	v_or_b32_e32 v30, 0xc00, v0
	v_cmp_gt_u32_e32 vcc, s3, v30
                                        ; implicit-def: $vgpr26_vgpr27
	s_and_saveexec_b64 s[10:11], vcc
	s_cbranch_execz .LBB1338_35
; %bb.34:
	v_lshlrev_b32_e32 v26, 3, v30
	global_load_dwordx2 v[26:27], v26, s[4:5]
.LBB1338_35:
	s_or_b64 exec, exec, s[10:11]
	s_movk_i32 s4, 0xffd0
	v_mad_i32_i24 v30, v0, s4, v44
	s_waitcnt vmcnt(0)
	ds_write2st64_b64 v30, v[2:3], v[4:5] offset1:8
	ds_write2st64_b64 v30, v[6:7], v[8:9] offset0:16 offset1:24
	ds_write2st64_b64 v30, v[10:11], v[12:13] offset0:32 offset1:40
	ds_write_b64 v30, v[26:27] offset:24576
	s_waitcnt lgkmcnt(0)
	s_barrier
.LBB1338_36:
	ds_read2_b64 v[10:13], v44 offset1:1
	ds_read2_b64 v[6:9], v44 offset0:2 offset1:3
	ds_read2_b64 v[2:5], v44 offset0:4 offset1:5
	ds_read_b64 v[26:27], v44 offset:48
	s_cmp_lg_u32 s2, 0
	s_cselect_b64 s[16:17], -1, 0
	s_cmp_lg_u64 s[6:7], 0
	s_cselect_b64 s[4:5], -1, 0
	s_or_b64 s[4:5], s[16:17], s[4:5]
	v_add_u32_e32 v41, 1, v1
	v_add_u32_e32 v38, 2, v1
	;; [unrolled: 1-line block ×6, first 2 shown]
	s_mov_b64 s[10:11], 0
	s_and_b64 vcc, exec, s[4:5]
	v_cmp_gt_i64_e64 s[4:5], s[26:27], 0
	s_waitcnt lgkmcnt(0)
	s_barrier
	s_cbranch_vccz .LBB1338_45
; %bb.37:
	s_add_u32 s6, s12, -8
	s_addc_u32 s7, s13, -1
	s_load_dwordx2 s[6:7], s[6:7], 0x0
	v_cndmask_b32_e64 v30, 0, 1, s[4:5]
	v_lshlrev_b32_e32 v45, 3, v0
	s_and_b64 vcc, exec, s[34:35]
	v_cmp_ne_u32_e64 s[4:5], 1, v30
	ds_write_b64 v45, v[28:29]
	s_cbranch_vccz .LBB1338_47
; %bb.38:
	v_mul_lo_u32 v32, v17, s26
	v_mul_lo_u32 v33, v16, s27
	v_mad_u64_u32 v[30:31], s[12:13], v16, s26, 0
	v_add3_u32 v31, v31, v33, v32
	s_and_b64 vcc, exec, s[4:5]
	v_lshl_add_u64 v[30:31], v[30:31], 1, s[28:29]
	s_cbranch_vccnz .LBB1338_50
; %bb.39:
	v_mul_lo_u32 v34, v29, s26
	v_mul_lo_u32 v35, v28, s27
	v_mad_u64_u32 v[32:33], s[10:11], v28, s26, 0
	v_add3_u32 v33, v33, v35, v34
	v_lshl_add_u64 v[32:33], v[32:33], 1, s[28:29]
	global_load_ushort v34, v[30:31], off
	global_load_ushort v35, v[32:33], off
	s_mov_b64 s[10:11], -1
	s_waitcnt vmcnt(0)
	v_cmp_eq_f16_e32 vcc, v34, v35
	s_and_saveexec_b64 s[12:13], vcc
	s_cbranch_execz .LBB1338_49
; %bb.40:
	s_add_u32 s10, s26, -1
	v_lshl_add_u64 v[32:33], v[32:33], 0, 2
	v_lshl_add_u64 v[34:35], v[30:31], 0, 2
	s_addc_u32 s11, s27, -1
	s_mov_b64 s[14:15], 0
	s_mov_b64 s[36:37], 0
                                        ; implicit-def: $sgpr18_sgpr19
	s_branch .LBB1338_43
.LBB1338_41:                            ;   in Loop: Header=BB1338_43 Depth=1
	global_load_ushort v36, v[34:35], off
	global_load_ushort v37, v[32:33], off
	s_add_u32 s36, s36, 1
	s_addc_u32 s37, s37, 0
	s_andn2_b64 s[18:19], s[18:19], exec
	v_lshl_add_u64 v[32:33], v[32:33], 0, 2
	v_lshl_add_u64 v[34:35], v[34:35], 0, 2
	s_waitcnt vmcnt(0)
	v_cmp_neq_f16_e32 vcc, v36, v37
	s_and_b64 s[38:39], vcc, exec
	s_or_b64 s[18:19], s[18:19], s[38:39]
.LBB1338_42:                            ;   in Loop: Header=BB1338_43 Depth=1
	s_and_b64 s[38:39], exec, s[18:19]
	s_or_b64 s[14:15], s[38:39], s[14:15]
	v_mov_b64_e32 v[36:37], s[36:37]
	s_andn2_b64 exec, exec, s[14:15]
	s_cbranch_execz .LBB1338_48
.LBB1338_43:                            ; =>This Inner Loop Header: Depth=1
	s_or_b64 s[18:19], s[18:19], exec
	s_cmp_eq_u64 s[10:11], s[36:37]
	s_cbranch_scc0 .LBB1338_41
; %bb.44:                               ;   in Loop: Header=BB1338_43 Depth=1
                                        ; implicit-def: $vgpr32_vgpr33
                                        ; implicit-def: $vgpr34_vgpr35
	s_mov_b64 s[36:37], s[26:27]
	s_branch .LBB1338_42
.LBB1338_45:
                                        ; implicit-def: $sgpr18_sgpr19
                                        ; implicit-def: $vgpr48
                                        ; implicit-def: $vgpr47
                                        ; implicit-def: $vgpr46
                                        ; implicit-def: $vgpr34
	s_branch .LBB1338_188
.LBB1338_46:
                                        ; implicit-def: $vgpr30_vgpr31
	s_branch .LBB1338_336
.LBB1338_47:
                                        ; implicit-def: $sgpr18_sgpr19
                                        ; implicit-def: $vgpr48
                                        ; implicit-def: $vgpr47
                                        ; implicit-def: $vgpr46
                                        ; implicit-def: $vgpr34
	s_cbranch_execnz .LBB1338_107
	s_branch .LBB1338_187
.LBB1338_48:
	s_or_b64 exec, exec, s[14:15]
	v_cmp_gt_i64_e32 vcc, s[26:27], v[36:37]
	s_orn2_b64 s[10:11], vcc, exec
.LBB1338_49:
	s_or_b64 exec, exec, s[12:13]
.LBB1338_50:
	v_mul_lo_u32 v34, v15, s26
	v_mul_lo_u32 v35, v14, s27
	v_mad_u64_u32 v[32:33], s[12:13], v14, s26, 0
	v_add3_u32 v33, v33, v35, v34
	s_mov_b64 s[12:13], 0
	s_and_b64 vcc, exec, s[4:5]
	v_lshl_add_u64 v[32:33], v[32:33], 1, s[28:29]
	s_mov_b64 s[14:15], 0
	s_cbranch_vccnz .LBB1338_59
; %bb.51:
	global_load_ushort v34, v[32:33], off
	global_load_ushort v35, v[30:31], off
	s_mov_b64 s[14:15], -1
	s_waitcnt vmcnt(0)
	v_cmp_eq_f16_e32 vcc, v34, v35
	s_and_saveexec_b64 s[18:19], vcc
	s_cbranch_execz .LBB1338_58
; %bb.52:
	s_add_u32 s14, s26, -1
	v_lshl_add_u64 v[30:31], v[30:31], 0, 2
	v_lshl_add_u64 v[34:35], v[32:33], 0, 2
	s_addc_u32 s15, s27, -1
	s_mov_b64 s[36:37], 0
	s_mov_b64 s[40:41], 0
                                        ; implicit-def: $sgpr38_sgpr39
	s_branch .LBB1338_55
.LBB1338_53:                            ;   in Loop: Header=BB1338_55 Depth=1
	global_load_ushort v36, v[34:35], off
	global_load_ushort v37, v[30:31], off
	s_add_u32 s40, s40, 1
	s_addc_u32 s41, s41, 0
	s_andn2_b64 s[38:39], s[38:39], exec
	v_lshl_add_u64 v[30:31], v[30:31], 0, 2
	v_lshl_add_u64 v[34:35], v[34:35], 0, 2
	s_waitcnt vmcnt(0)
	v_cmp_neq_f16_e32 vcc, v36, v37
	s_and_b64 s[42:43], vcc, exec
	s_or_b64 s[38:39], s[38:39], s[42:43]
.LBB1338_54:                            ;   in Loop: Header=BB1338_55 Depth=1
	s_and_b64 s[42:43], exec, s[38:39]
	s_or_b64 s[36:37], s[42:43], s[36:37]
	v_mov_b64_e32 v[36:37], s[40:41]
	s_andn2_b64 exec, exec, s[36:37]
	s_cbranch_execz .LBB1338_57
.LBB1338_55:                            ; =>This Inner Loop Header: Depth=1
	s_or_b64 s[38:39], s[38:39], exec
	s_cmp_eq_u64 s[14:15], s[40:41]
	s_cbranch_scc0 .LBB1338_53
; %bb.56:                               ;   in Loop: Header=BB1338_55 Depth=1
                                        ; implicit-def: $vgpr30_vgpr31
                                        ; implicit-def: $vgpr34_vgpr35
	s_mov_b64 s[40:41], s[26:27]
	s_branch .LBB1338_54
.LBB1338_57:
	s_or_b64 exec, exec, s[36:37]
	v_cmp_gt_i64_e32 vcc, s[26:27], v[36:37]
	s_orn2_b64 s[14:15], vcc, exec
.LBB1338_58:
	s_or_b64 exec, exec, s[18:19]
.LBB1338_59:
	v_mul_lo_u32 v34, v21, s26
	v_mul_lo_u32 v35, v20, s27
	v_mad_u64_u32 v[30:31], s[18:19], v20, s26, 0
	v_add3_u32 v31, v31, v35, v34
	s_and_b64 vcc, exec, s[4:5]
	v_lshl_add_u64 v[30:31], v[30:31], 1, s[28:29]
	s_cbranch_vccnz .LBB1338_68
; %bb.60:
	global_load_ushort v34, v[30:31], off
	global_load_ushort v35, v[32:33], off
	s_mov_b64 s[12:13], -1
	s_waitcnt vmcnt(0)
	v_cmp_eq_f16_e32 vcc, v34, v35
	s_and_saveexec_b64 s[18:19], vcc
	s_cbranch_execz .LBB1338_67
; %bb.61:
	s_add_u32 s12, s26, -1
	v_lshl_add_u64 v[32:33], v[32:33], 0, 2
	v_lshl_add_u64 v[34:35], v[30:31], 0, 2
	s_addc_u32 s13, s27, -1
	s_mov_b64 s[36:37], 0
	s_mov_b64 s[40:41], 0
                                        ; implicit-def: $sgpr38_sgpr39
	s_branch .LBB1338_64
.LBB1338_62:                            ;   in Loop: Header=BB1338_64 Depth=1
	global_load_ushort v36, v[34:35], off
	global_load_ushort v37, v[32:33], off
	s_add_u32 s40, s40, 1
	s_addc_u32 s41, s41, 0
	s_andn2_b64 s[38:39], s[38:39], exec
	v_lshl_add_u64 v[32:33], v[32:33], 0, 2
	v_lshl_add_u64 v[34:35], v[34:35], 0, 2
	s_waitcnt vmcnt(0)
	v_cmp_neq_f16_e32 vcc, v36, v37
	s_and_b64 s[42:43], vcc, exec
	s_or_b64 s[38:39], s[38:39], s[42:43]
.LBB1338_63:                            ;   in Loop: Header=BB1338_64 Depth=1
	s_and_b64 s[42:43], exec, s[38:39]
	s_or_b64 s[36:37], s[42:43], s[36:37]
	v_mov_b64_e32 v[36:37], s[40:41]
	s_andn2_b64 exec, exec, s[36:37]
	s_cbranch_execz .LBB1338_66
.LBB1338_64:                            ; =>This Inner Loop Header: Depth=1
	s_or_b64 s[38:39], s[38:39], exec
	s_cmp_eq_u64 s[12:13], s[40:41]
	s_cbranch_scc0 .LBB1338_62
; %bb.65:                               ;   in Loop: Header=BB1338_64 Depth=1
                                        ; implicit-def: $vgpr32_vgpr33
                                        ; implicit-def: $vgpr34_vgpr35
	s_mov_b64 s[40:41], s[26:27]
	s_branch .LBB1338_63
.LBB1338_66:
	s_or_b64 exec, exec, s[36:37]
	v_cmp_gt_i64_e32 vcc, s[26:27], v[36:37]
	s_orn2_b64 s[12:13], vcc, exec
.LBB1338_67:
	s_or_b64 exec, exec, s[18:19]
.LBB1338_68:
	v_mul_lo_u32 v34, v19, s26
	v_mul_lo_u32 v35, v18, s27
	v_mad_u64_u32 v[32:33], s[18:19], v18, s26, 0
	v_add3_u32 v33, v33, v35, v34
	s_mov_b64 s[18:19], 0
	s_and_b64 vcc, exec, s[4:5]
	v_lshl_add_u64 v[34:35], v[32:33], 1, s[28:29]
	s_mov_b64 s[36:37], 0
	s_cbranch_vccnz .LBB1338_77
; %bb.69:
	global_load_ushort v32, v[34:35], off
	global_load_ushort v33, v[30:31], off
	s_mov_b64 s[36:37], -1
	s_waitcnt vmcnt(0)
	v_cmp_eq_f16_e32 vcc, v32, v33
	s_and_saveexec_b64 s[38:39], vcc
	s_cbranch_execz .LBB1338_76
; %bb.70:
	s_add_u32 s36, s26, -1
	v_lshl_add_u64 v[30:31], v[30:31], 0, 2
	v_lshl_add_u64 v[32:33], v[34:35], 0, 2
	s_addc_u32 s37, s27, -1
	s_mov_b64 s[40:41], 0
	s_mov_b64 s[44:45], 0
                                        ; implicit-def: $sgpr42_sgpr43
	s_branch .LBB1338_73
.LBB1338_71:                            ;   in Loop: Header=BB1338_73 Depth=1
	global_load_ushort v36, v[32:33], off
	global_load_ushort v37, v[30:31], off
	s_add_u32 s44, s44, 1
	s_addc_u32 s45, s45, 0
	s_andn2_b64 s[42:43], s[42:43], exec
	v_lshl_add_u64 v[30:31], v[30:31], 0, 2
	v_lshl_add_u64 v[32:33], v[32:33], 0, 2
	s_waitcnt vmcnt(0)
	v_cmp_neq_f16_e32 vcc, v36, v37
	s_and_b64 s[46:47], vcc, exec
	s_or_b64 s[42:43], s[42:43], s[46:47]
.LBB1338_72:                            ;   in Loop: Header=BB1338_73 Depth=1
	s_and_b64 s[46:47], exec, s[42:43]
	s_or_b64 s[40:41], s[46:47], s[40:41]
	v_mov_b64_e32 v[36:37], s[44:45]
	s_andn2_b64 exec, exec, s[40:41]
	s_cbranch_execz .LBB1338_75
.LBB1338_73:                            ; =>This Inner Loop Header: Depth=1
	s_or_b64 s[42:43], s[42:43], exec
	s_cmp_eq_u64 s[36:37], s[44:45]
	s_cbranch_scc0 .LBB1338_71
; %bb.74:                               ;   in Loop: Header=BB1338_73 Depth=1
                                        ; implicit-def: $vgpr30_vgpr31
                                        ; implicit-def: $vgpr32_vgpr33
	s_mov_b64 s[44:45], s[26:27]
	s_branch .LBB1338_72
.LBB1338_75:
	s_or_b64 exec, exec, s[40:41]
	v_cmp_gt_i64_e32 vcc, s[26:27], v[36:37]
	s_orn2_b64 s[36:37], vcc, exec
.LBB1338_76:
	s_or_b64 exec, exec, s[38:39]
.LBB1338_77:
	v_mul_lo_u32 v32, v25, s26
	v_mul_lo_u32 v33, v24, s27
	v_mad_u64_u32 v[30:31], s[38:39], v24, s26, 0
	v_add3_u32 v31, v31, v33, v32
	s_and_b64 vcc, exec, s[4:5]
	v_lshl_add_u64 v[32:33], v[30:31], 1, s[28:29]
	s_cbranch_vccnz .LBB1338_86
; %bb.78:
	global_load_ushort v30, v[32:33], off
	global_load_ushort v31, v[34:35], off
	s_mov_b64 s[18:19], -1
	s_waitcnt vmcnt(0)
	v_cmp_eq_f16_e32 vcc, v30, v31
	s_and_saveexec_b64 s[38:39], vcc
	s_cbranch_execz .LBB1338_85
; %bb.79:
	s_add_u32 s18, s26, -1
	v_lshl_add_u64 v[30:31], v[34:35], 0, 2
	v_lshl_add_u64 v[34:35], v[32:33], 0, 2
	s_addc_u32 s19, s27, -1
	s_mov_b64 s[40:41], 0
	s_mov_b64 s[44:45], 0
                                        ; implicit-def: $sgpr42_sgpr43
	s_branch .LBB1338_82
.LBB1338_80:                            ;   in Loop: Header=BB1338_82 Depth=1
	global_load_ushort v36, v[34:35], off
	global_load_ushort v37, v[30:31], off
	s_add_u32 s44, s44, 1
	s_addc_u32 s45, s45, 0
	s_andn2_b64 s[42:43], s[42:43], exec
	v_lshl_add_u64 v[30:31], v[30:31], 0, 2
	v_lshl_add_u64 v[34:35], v[34:35], 0, 2
	s_waitcnt vmcnt(0)
	v_cmp_neq_f16_e32 vcc, v36, v37
	s_and_b64 s[46:47], vcc, exec
	s_or_b64 s[42:43], s[42:43], s[46:47]
.LBB1338_81:                            ;   in Loop: Header=BB1338_82 Depth=1
	s_and_b64 s[46:47], exec, s[42:43]
	s_or_b64 s[40:41], s[46:47], s[40:41]
	v_mov_b64_e32 v[36:37], s[44:45]
	s_andn2_b64 exec, exec, s[40:41]
	s_cbranch_execz .LBB1338_84
.LBB1338_82:                            ; =>This Inner Loop Header: Depth=1
	s_or_b64 s[42:43], s[42:43], exec
	s_cmp_eq_u64 s[18:19], s[44:45]
	s_cbranch_scc0 .LBB1338_80
; %bb.83:                               ;   in Loop: Header=BB1338_82 Depth=1
                                        ; implicit-def: $vgpr30_vgpr31
                                        ; implicit-def: $vgpr34_vgpr35
	s_mov_b64 s[44:45], s[26:27]
	s_branch .LBB1338_81
.LBB1338_84:
	s_or_b64 exec, exec, s[40:41]
	v_cmp_gt_i64_e32 vcc, s[26:27], v[36:37]
	s_orn2_b64 s[18:19], vcc, exec
.LBB1338_85:
	s_or_b64 exec, exec, s[38:39]
.LBB1338_86:
	v_mul_lo_u32 v34, v23, s26
	v_mul_lo_u32 v35, v22, s27
	v_mad_u64_u32 v[30:31], s[38:39], v22, s26, 0
	v_add3_u32 v31, v31, v35, v34
	s_mov_b64 s[40:41], 0
	s_and_b64 vcc, exec, s[4:5]
	v_lshl_add_u64 v[30:31], v[30:31], 1, s[28:29]
	s_cbranch_vccnz .LBB1338_95
; %bb.87:
	global_load_ushort v34, v[30:31], off
	global_load_ushort v35, v[32:33], off
	s_mov_b64 s[40:41], -1
	s_waitcnt vmcnt(0)
	v_cmp_eq_f16_e32 vcc, v34, v35
	s_and_saveexec_b64 s[38:39], vcc
	s_cbranch_execz .LBB1338_94
; %bb.88:
	s_add_u32 s40, s26, -1
	v_lshl_add_u64 v[32:33], v[32:33], 0, 2
	v_lshl_add_u64 v[34:35], v[30:31], 0, 2
	s_addc_u32 s41, s27, -1
	s_mov_b64 s[42:43], 0
	s_mov_b64 s[46:47], 0
                                        ; implicit-def: $sgpr44_sgpr45
	s_branch .LBB1338_91
.LBB1338_89:                            ;   in Loop: Header=BB1338_91 Depth=1
	global_load_ushort v36, v[34:35], off
	global_load_ushort v37, v[32:33], off
	s_add_u32 s46, s46, 1
	s_addc_u32 s47, s47, 0
	s_andn2_b64 s[44:45], s[44:45], exec
	v_lshl_add_u64 v[32:33], v[32:33], 0, 2
	v_lshl_add_u64 v[34:35], v[34:35], 0, 2
	s_waitcnt vmcnt(0)
	v_cmp_neq_f16_e32 vcc, v36, v37
	s_and_b64 s[48:49], vcc, exec
	s_or_b64 s[44:45], s[44:45], s[48:49]
.LBB1338_90:                            ;   in Loop: Header=BB1338_91 Depth=1
	s_and_b64 s[48:49], exec, s[44:45]
	s_or_b64 s[42:43], s[48:49], s[42:43]
	v_mov_b64_e32 v[36:37], s[46:47]
	s_andn2_b64 exec, exec, s[42:43]
	s_cbranch_execz .LBB1338_93
.LBB1338_91:                            ; =>This Inner Loop Header: Depth=1
	s_or_b64 s[44:45], s[44:45], exec
	s_cmp_eq_u64 s[40:41], s[46:47]
	s_cbranch_scc0 .LBB1338_89
; %bb.92:                               ;   in Loop: Header=BB1338_91 Depth=1
                                        ; implicit-def: $vgpr32_vgpr33
                                        ; implicit-def: $vgpr34_vgpr35
	s_mov_b64 s[46:47], s[26:27]
	s_branch .LBB1338_90
.LBB1338_93:
	s_or_b64 exec, exec, s[42:43]
	v_cmp_gt_i64_e32 vcc, s[26:27], v[36:37]
	s_orn2_b64 s[40:41], vcc, exec
.LBB1338_94:
	s_or_b64 exec, exec, s[38:39]
.LBB1338_95:
	v_cmp_ne_u32_e32 vcc, 0, v0
	s_waitcnt lgkmcnt(0)
	v_mov_b64_e32 v[32:33], s[6:7]
	s_barrier
	s_and_saveexec_b64 s[38:39], vcc
	s_cbranch_execz .LBB1338_97
; %bb.96:
	v_add_u32_e32 v32, -8, v45
	ds_read_b64 v[32:33], v32
.LBB1338_97:
	s_or_b64 exec, exec, s[38:39]
	v_cndmask_b32_e64 v35, 0, 1, s[36:37]
	v_cndmask_b32_e64 v34, 0, 1, s[18:19]
	;; [unrolled: 1-line block ×3, first 2 shown]
	v_lshlrev_b16_e32 v35, 8, v35
	v_lshlrev_b16_e32 v36, 8, v36
	v_or_b32_sdwa v37, v34, v35 dst_sel:WORD_1 dst_unused:UNUSED_PAD src0_sel:DWORD src1_sel:DWORD
	s_mov_b64 s[36:37], 0
	s_and_b64 vcc, exec, s[4:5]
	s_mov_b64 s[18:19], 0
	s_cbranch_vccnz .LBB1338_106
; %bb.98:
	s_waitcnt lgkmcnt(0)
	v_mul_lo_u32 v34, v33, s26
	v_mul_lo_u32 v35, v32, s27
	v_mad_u64_u32 v[32:33], s[18:19], v32, s26, 0
	v_add3_u32 v33, v33, v35, v34
	v_lshl_add_u64 v[32:33], v[32:33], 1, s[28:29]
	global_load_ushort v34, v[32:33], off
	global_load_ushort v35, v[30:31], off
	s_mov_b64 s[18:19], -1
	s_waitcnt vmcnt(0)
	v_cmp_eq_f16_e32 vcc, v34, v35
	s_and_saveexec_b64 s[38:39], vcc
	s_cbranch_execz .LBB1338_105
; %bb.99:
	s_add_u32 s18, s26, -1
	v_lshl_add_u64 v[30:31], v[30:31], 0, 2
	v_lshl_add_u64 v[32:33], v[32:33], 0, 2
	s_addc_u32 s19, s27, -1
	s_mov_b64 s[40:41], 0
	s_mov_b64 s[44:45], 0
                                        ; implicit-def: $sgpr42_sgpr43
	s_branch .LBB1338_102
.LBB1338_100:                           ;   in Loop: Header=BB1338_102 Depth=1
	global_load_ushort v34, v[32:33], off
	global_load_ushort v35, v[30:31], off
	s_add_u32 s44, s44, 1
	s_addc_u32 s45, s45, 0
	s_andn2_b64 s[42:43], s[42:43], exec
	v_lshl_add_u64 v[30:31], v[30:31], 0, 2
	v_lshl_add_u64 v[32:33], v[32:33], 0, 2
	s_waitcnt vmcnt(0)
	v_cmp_neq_f16_e32 vcc, v34, v35
	s_and_b64 s[46:47], vcc, exec
	s_or_b64 s[42:43], s[42:43], s[46:47]
.LBB1338_101:                           ;   in Loop: Header=BB1338_102 Depth=1
	s_and_b64 s[46:47], exec, s[42:43]
	s_or_b64 s[40:41], s[46:47], s[40:41]
	v_mov_b64_e32 v[34:35], s[44:45]
	s_andn2_b64 exec, exec, s[40:41]
	s_cbranch_execz .LBB1338_104
.LBB1338_102:                           ; =>This Inner Loop Header: Depth=1
	s_or_b64 s[42:43], s[42:43], exec
	s_cmp_eq_u64 s[18:19], s[44:45]
	s_cbranch_scc0 .LBB1338_100
; %bb.103:                              ;   in Loop: Header=BB1338_102 Depth=1
                                        ; implicit-def: $vgpr30_vgpr31
                                        ; implicit-def: $vgpr32_vgpr33
	s_mov_b64 s[44:45], s[26:27]
	s_branch .LBB1338_101
.LBB1338_104:
	s_or_b64 exec, exec, s[40:41]
	v_cmp_gt_i64_e32 vcc, s[26:27], v[34:35]
	s_orn2_b64 s[18:19], vcc, exec
.LBB1338_105:
	s_or_b64 exec, exec, s[38:39]
.LBB1338_106:
	v_cndmask_b32_e64 v46, 0, 1, s[12:13]
	v_cndmask_b32_e64 v47, 0, 1, s[14:15]
	;; [unrolled: 1-line block ×3, first 2 shown]
	v_or_b32_e32 v34, v36, v37
	s_and_b64 vcc, exec, s[36:37]
	s_cbranch_vccz .LBB1338_187
.LBB1338_107:
	v_cmp_gt_u32_e32 vcc, s3, v40
	s_mov_b64 s[12:13], 0
	s_mov_b64 s[10:11], 0
	s_and_saveexec_b64 s[14:15], vcc
	s_cbranch_execz .LBB1338_118
; %bb.108:
	s_and_b64 vcc, exec, s[4:5]
	s_mov_b64 s[18:19], 0
	s_cbranch_vccnz .LBB1338_117
; %bb.109:
	s_waitcnt lgkmcnt(0)
	v_mul_lo_u32 v32, v17, s26
	v_mul_lo_u32 v33, v16, s27
	v_mad_u64_u32 v[30:31], s[10:11], v16, s26, 0
	v_add3_u32 v31, v31, v33, v32
	v_mul_lo_u32 v32, v29, s26
	v_mul_lo_u32 v33, v28, s27
	v_mad_u64_u32 v[34:35], s[10:11], v28, s26, 0
	v_add3_u32 v35, v35, v33, v32
	v_lshl_add_u64 v[32:33], v[30:31], 1, s[28:29]
	v_lshl_add_u64 v[30:31], v[34:35], 1, s[28:29]
	global_load_ushort v34, v[32:33], off
	global_load_ushort v35, v[30:31], off
	s_mov_b64 s[18:19], -1
	s_waitcnt vmcnt(0)
	v_cmp_eq_f16_e32 vcc, v34, v35
	s_and_saveexec_b64 s[10:11], vcc
	s_cbranch_execz .LBB1338_116
; %bb.110:
	s_add_u32 s18, s26, -1
	v_lshl_add_u64 v[30:31], v[30:31], 0, 2
	v_lshl_add_u64 v[32:33], v[32:33], 0, 2
	s_addc_u32 s19, s27, -1
	s_mov_b64 s[36:37], 0
	s_mov_b64 s[40:41], 0
                                        ; implicit-def: $sgpr38_sgpr39
	s_branch .LBB1338_113
.LBB1338_111:                           ;   in Loop: Header=BB1338_113 Depth=1
	global_load_ushort v34, v[32:33], off
	global_load_ushort v35, v[30:31], off
	s_add_u32 s40, s40, 1
	s_addc_u32 s41, s41, 0
	s_andn2_b64 s[38:39], s[38:39], exec
	v_lshl_add_u64 v[30:31], v[30:31], 0, 2
	v_lshl_add_u64 v[32:33], v[32:33], 0, 2
	s_waitcnt vmcnt(0)
	v_cmp_neq_f16_e32 vcc, v34, v35
	s_and_b64 s[42:43], vcc, exec
	s_or_b64 s[38:39], s[38:39], s[42:43]
.LBB1338_112:                           ;   in Loop: Header=BB1338_113 Depth=1
	s_and_b64 s[42:43], exec, s[38:39]
	s_or_b64 s[36:37], s[42:43], s[36:37]
	v_mov_b64_e32 v[34:35], s[40:41]
	s_andn2_b64 exec, exec, s[36:37]
	s_cbranch_execz .LBB1338_115
.LBB1338_113:                           ; =>This Inner Loop Header: Depth=1
	s_or_b64 s[38:39], s[38:39], exec
	s_cmp_eq_u64 s[18:19], s[40:41]
	s_cbranch_scc0 .LBB1338_111
; %bb.114:                              ;   in Loop: Header=BB1338_113 Depth=1
                                        ; implicit-def: $vgpr30_vgpr31
                                        ; implicit-def: $vgpr32_vgpr33
	s_mov_b64 s[40:41], s[26:27]
	s_branch .LBB1338_112
.LBB1338_115:
	s_or_b64 exec, exec, s[36:37]
	v_cmp_gt_i64_e32 vcc, s[26:27], v[34:35]
	s_orn2_b64 s[18:19], vcc, exec
.LBB1338_116:
	s_or_b64 exec, exec, s[10:11]
.LBB1338_117:
	s_and_b64 s[10:11], s[18:19], exec
.LBB1338_118:
	s_or_b64 exec, exec, s[14:15]
	v_cmp_gt_u32_e32 vcc, s3, v43
	s_and_saveexec_b64 s[14:15], vcc
	s_cbranch_execz .LBB1338_129
; %bb.119:
	s_and_b64 vcc, exec, s[4:5]
	s_mov_b64 s[18:19], 0
	s_cbranch_vccnz .LBB1338_128
; %bb.120:
	s_waitcnt lgkmcnt(0)
	v_mul_lo_u32 v32, v15, s26
	v_mul_lo_u32 v33, v14, s27
	v_mad_u64_u32 v[30:31], s[12:13], v14, s26, 0
	v_add3_u32 v31, v31, v33, v32
	v_mul_lo_u32 v32, v17, s26
	v_mul_lo_u32 v33, v16, s27
	v_mad_u64_u32 v[34:35], s[12:13], v16, s26, 0
	v_add3_u32 v35, v35, v33, v32
	v_lshl_add_u64 v[32:33], v[30:31], 1, s[28:29]
	v_lshl_add_u64 v[30:31], v[34:35], 1, s[28:29]
	global_load_ushort v34, v[32:33], off
	global_load_ushort v35, v[30:31], off
	s_mov_b64 s[18:19], -1
	s_waitcnt vmcnt(0)
	v_cmp_eq_f16_e32 vcc, v34, v35
	s_and_saveexec_b64 s[12:13], vcc
	s_cbranch_execz .LBB1338_127
; %bb.121:
	s_add_u32 s18, s26, -1
	v_lshl_add_u64 v[30:31], v[30:31], 0, 2
	v_lshl_add_u64 v[32:33], v[32:33], 0, 2
	s_addc_u32 s19, s27, -1
	s_mov_b64 s[36:37], 0
	s_mov_b64 s[40:41], 0
                                        ; implicit-def: $sgpr38_sgpr39
	s_branch .LBB1338_124
.LBB1338_122:                           ;   in Loop: Header=BB1338_124 Depth=1
	global_load_ushort v34, v[32:33], off
	global_load_ushort v35, v[30:31], off
	s_add_u32 s40, s40, 1
	s_addc_u32 s41, s41, 0
	s_andn2_b64 s[38:39], s[38:39], exec
	v_lshl_add_u64 v[30:31], v[30:31], 0, 2
	v_lshl_add_u64 v[32:33], v[32:33], 0, 2
	s_waitcnt vmcnt(0)
	v_cmp_neq_f16_e32 vcc, v34, v35
	s_and_b64 s[42:43], vcc, exec
	s_or_b64 s[38:39], s[38:39], s[42:43]
.LBB1338_123:                           ;   in Loop: Header=BB1338_124 Depth=1
	s_and_b64 s[42:43], exec, s[38:39]
	s_or_b64 s[36:37], s[42:43], s[36:37]
	v_mov_b64_e32 v[34:35], s[40:41]
	s_andn2_b64 exec, exec, s[36:37]
	s_cbranch_execz .LBB1338_126
.LBB1338_124:                           ; =>This Inner Loop Header: Depth=1
	s_or_b64 s[38:39], s[38:39], exec
	s_cmp_eq_u64 s[18:19], s[40:41]
	s_cbranch_scc0 .LBB1338_122
; %bb.125:                              ;   in Loop: Header=BB1338_124 Depth=1
                                        ; implicit-def: $vgpr30_vgpr31
                                        ; implicit-def: $vgpr32_vgpr33
	s_mov_b64 s[40:41], s[26:27]
	s_branch .LBB1338_123
.LBB1338_126:
	s_or_b64 exec, exec, s[36:37]
	v_cmp_gt_i64_e32 vcc, s[26:27], v[34:35]
	s_orn2_b64 s[18:19], vcc, exec
.LBB1338_127:
	s_or_b64 exec, exec, s[12:13]
.LBB1338_128:
	s_and_b64 s[12:13], s[18:19], exec
.LBB1338_129:
	s_or_b64 exec, exec, s[14:15]
	v_cmp_gt_u32_e32 vcc, s3, v39
	s_mov_b64 s[18:19], 0
	s_mov_b64 s[14:15], 0
	s_and_saveexec_b64 s[36:37], vcc
	s_cbranch_execz .LBB1338_140
; %bb.130:
	s_and_b64 vcc, exec, s[4:5]
	s_mov_b64 s[38:39], 0
	s_cbranch_vccnz .LBB1338_139
; %bb.131:
	s_waitcnt lgkmcnt(0)
	v_mul_lo_u32 v32, v21, s26
	v_mul_lo_u32 v33, v20, s27
	v_mad_u64_u32 v[30:31], s[14:15], v20, s26, 0
	v_add3_u32 v31, v31, v33, v32
	v_mul_lo_u32 v32, v15, s26
	v_mul_lo_u32 v33, v14, s27
	v_mad_u64_u32 v[34:35], s[14:15], v14, s26, 0
	v_add3_u32 v35, v35, v33, v32
	v_lshl_add_u64 v[32:33], v[30:31], 1, s[28:29]
	v_lshl_add_u64 v[30:31], v[34:35], 1, s[28:29]
	global_load_ushort v34, v[32:33], off
	global_load_ushort v35, v[30:31], off
	s_mov_b64 s[38:39], -1
	s_waitcnt vmcnt(0)
	v_cmp_eq_f16_e32 vcc, v34, v35
	s_and_saveexec_b64 s[14:15], vcc
	s_cbranch_execz .LBB1338_138
; %bb.132:
	s_add_u32 s38, s26, -1
	v_lshl_add_u64 v[30:31], v[30:31], 0, 2
	v_lshl_add_u64 v[32:33], v[32:33], 0, 2
	s_addc_u32 s39, s27, -1
	s_mov_b64 s[40:41], 0
	s_mov_b64 s[44:45], 0
                                        ; implicit-def: $sgpr42_sgpr43
	s_branch .LBB1338_135
.LBB1338_133:                           ;   in Loop: Header=BB1338_135 Depth=1
	global_load_ushort v34, v[32:33], off
	global_load_ushort v35, v[30:31], off
	s_add_u32 s44, s44, 1
	s_addc_u32 s45, s45, 0
	s_andn2_b64 s[42:43], s[42:43], exec
	v_lshl_add_u64 v[30:31], v[30:31], 0, 2
	v_lshl_add_u64 v[32:33], v[32:33], 0, 2
	s_waitcnt vmcnt(0)
	v_cmp_neq_f16_e32 vcc, v34, v35
	s_and_b64 s[46:47], vcc, exec
	s_or_b64 s[42:43], s[42:43], s[46:47]
.LBB1338_134:                           ;   in Loop: Header=BB1338_135 Depth=1
	s_and_b64 s[46:47], exec, s[42:43]
	s_or_b64 s[40:41], s[46:47], s[40:41]
	v_mov_b64_e32 v[34:35], s[44:45]
	s_andn2_b64 exec, exec, s[40:41]
	s_cbranch_execz .LBB1338_137
.LBB1338_135:                           ; =>This Inner Loop Header: Depth=1
	s_or_b64 s[42:43], s[42:43], exec
	s_cmp_eq_u64 s[38:39], s[44:45]
	s_cbranch_scc0 .LBB1338_133
; %bb.136:                              ;   in Loop: Header=BB1338_135 Depth=1
                                        ; implicit-def: $vgpr30_vgpr31
                                        ; implicit-def: $vgpr32_vgpr33
	s_mov_b64 s[44:45], s[26:27]
	s_branch .LBB1338_134
.LBB1338_137:
	s_or_b64 exec, exec, s[40:41]
	v_cmp_gt_i64_e32 vcc, s[26:27], v[34:35]
	s_orn2_b64 s[38:39], vcc, exec
.LBB1338_138:
	s_or_b64 exec, exec, s[14:15]
.LBB1338_139:
	s_and_b64 s[14:15], s[38:39], exec
.LBB1338_140:
	s_or_b64 exec, exec, s[36:37]
	v_cmp_gt_u32_e32 vcc, s3, v42
	s_and_saveexec_b64 s[36:37], vcc
	s_cbranch_execz .LBB1338_151
; %bb.141:
	s_and_b64 vcc, exec, s[4:5]
	s_mov_b64 s[38:39], 0
	s_cbranch_vccnz .LBB1338_150
; %bb.142:
	s_waitcnt lgkmcnt(0)
	v_mul_lo_u32 v32, v19, s26
	v_mul_lo_u32 v33, v18, s27
	v_mad_u64_u32 v[30:31], s[18:19], v18, s26, 0
	v_add3_u32 v31, v31, v33, v32
	v_mul_lo_u32 v32, v21, s26
	v_mul_lo_u32 v33, v20, s27
	v_mad_u64_u32 v[34:35], s[18:19], v20, s26, 0
	v_add3_u32 v35, v35, v33, v32
	v_lshl_add_u64 v[32:33], v[30:31], 1, s[28:29]
	v_lshl_add_u64 v[30:31], v[34:35], 1, s[28:29]
	global_load_ushort v34, v[32:33], off
	global_load_ushort v35, v[30:31], off
	s_mov_b64 s[38:39], -1
	s_waitcnt vmcnt(0)
	v_cmp_eq_f16_e32 vcc, v34, v35
	s_and_saveexec_b64 s[18:19], vcc
	s_cbranch_execz .LBB1338_149
; %bb.143:
	s_add_u32 s38, s26, -1
	v_lshl_add_u64 v[30:31], v[30:31], 0, 2
	v_lshl_add_u64 v[32:33], v[32:33], 0, 2
	s_addc_u32 s39, s27, -1
	s_mov_b64 s[40:41], 0
	s_mov_b64 s[44:45], 0
                                        ; implicit-def: $sgpr42_sgpr43
	s_branch .LBB1338_146
.LBB1338_144:                           ;   in Loop: Header=BB1338_146 Depth=1
	global_load_ushort v34, v[32:33], off
	global_load_ushort v35, v[30:31], off
	s_add_u32 s44, s44, 1
	s_addc_u32 s45, s45, 0
	s_andn2_b64 s[42:43], s[42:43], exec
	v_lshl_add_u64 v[30:31], v[30:31], 0, 2
	v_lshl_add_u64 v[32:33], v[32:33], 0, 2
	s_waitcnt vmcnt(0)
	v_cmp_neq_f16_e32 vcc, v34, v35
	s_and_b64 s[46:47], vcc, exec
	s_or_b64 s[42:43], s[42:43], s[46:47]
.LBB1338_145:                           ;   in Loop: Header=BB1338_146 Depth=1
	s_and_b64 s[46:47], exec, s[42:43]
	s_or_b64 s[40:41], s[46:47], s[40:41]
	v_mov_b64_e32 v[34:35], s[44:45]
	s_andn2_b64 exec, exec, s[40:41]
	s_cbranch_execz .LBB1338_148
.LBB1338_146:                           ; =>This Inner Loop Header: Depth=1
	s_or_b64 s[42:43], s[42:43], exec
	s_cmp_eq_u64 s[38:39], s[44:45]
	s_cbranch_scc0 .LBB1338_144
; %bb.147:                              ;   in Loop: Header=BB1338_146 Depth=1
                                        ; implicit-def: $vgpr30_vgpr31
                                        ; implicit-def: $vgpr32_vgpr33
	s_mov_b64 s[44:45], s[26:27]
	s_branch .LBB1338_145
.LBB1338_148:
	s_or_b64 exec, exec, s[40:41]
	v_cmp_gt_i64_e32 vcc, s[26:27], v[34:35]
	s_orn2_b64 s[38:39], vcc, exec
.LBB1338_149:
	s_or_b64 exec, exec, s[18:19]
.LBB1338_150:
	s_and_b64 s[18:19], s[38:39], exec
.LBB1338_151:
	s_or_b64 exec, exec, s[36:37]
	v_cmp_gt_u32_e32 vcc, s3, v38
	s_mov_b64 s[36:37], 0
	s_mov_b64 s[38:39], 0
	s_and_saveexec_b64 s[40:41], vcc
	s_cbranch_execz .LBB1338_162
; %bb.152:
	s_and_b64 vcc, exec, s[4:5]
	s_mov_b64 s[42:43], 0
	s_cbranch_vccnz .LBB1338_161
; %bb.153:
	s_waitcnt lgkmcnt(0)
	v_mul_lo_u32 v32, v25, s26
	v_mul_lo_u32 v33, v24, s27
	v_mad_u64_u32 v[30:31], s[38:39], v24, s26, 0
	v_add3_u32 v31, v31, v33, v32
	v_mul_lo_u32 v32, v19, s26
	v_mul_lo_u32 v33, v18, s27
	v_mad_u64_u32 v[34:35], s[38:39], v18, s26, 0
	v_add3_u32 v35, v35, v33, v32
	v_lshl_add_u64 v[32:33], v[30:31], 1, s[28:29]
	v_lshl_add_u64 v[30:31], v[34:35], 1, s[28:29]
	global_load_ushort v34, v[32:33], off
	global_load_ushort v35, v[30:31], off
	s_mov_b64 s[42:43], -1
	s_waitcnt vmcnt(0)
	v_cmp_eq_f16_e32 vcc, v34, v35
	s_and_saveexec_b64 s[38:39], vcc
	s_cbranch_execz .LBB1338_160
; %bb.154:
	s_add_u32 s42, s26, -1
	v_lshl_add_u64 v[30:31], v[30:31], 0, 2
	v_lshl_add_u64 v[32:33], v[32:33], 0, 2
	s_addc_u32 s43, s27, -1
	s_mov_b64 s[44:45], 0
	s_mov_b64 s[48:49], 0
                                        ; implicit-def: $sgpr46_sgpr47
	s_branch .LBB1338_157
.LBB1338_155:                           ;   in Loop: Header=BB1338_157 Depth=1
	global_load_ushort v34, v[32:33], off
	global_load_ushort v35, v[30:31], off
	s_add_u32 s48, s48, 1
	s_addc_u32 s49, s49, 0
	s_andn2_b64 s[46:47], s[46:47], exec
	v_lshl_add_u64 v[30:31], v[30:31], 0, 2
	v_lshl_add_u64 v[32:33], v[32:33], 0, 2
	s_waitcnt vmcnt(0)
	v_cmp_neq_f16_e32 vcc, v34, v35
	s_and_b64 s[50:51], vcc, exec
	s_or_b64 s[46:47], s[46:47], s[50:51]
.LBB1338_156:                           ;   in Loop: Header=BB1338_157 Depth=1
	s_and_b64 s[50:51], exec, s[46:47]
	s_or_b64 s[44:45], s[50:51], s[44:45]
	v_mov_b64_e32 v[34:35], s[48:49]
	s_andn2_b64 exec, exec, s[44:45]
	s_cbranch_execz .LBB1338_159
.LBB1338_157:                           ; =>This Inner Loop Header: Depth=1
	s_or_b64 s[46:47], s[46:47], exec
	s_cmp_eq_u64 s[42:43], s[48:49]
	s_cbranch_scc0 .LBB1338_155
; %bb.158:                              ;   in Loop: Header=BB1338_157 Depth=1
                                        ; implicit-def: $vgpr30_vgpr31
                                        ; implicit-def: $vgpr32_vgpr33
	s_mov_b64 s[48:49], s[26:27]
	s_branch .LBB1338_156
.LBB1338_159:
	s_or_b64 exec, exec, s[44:45]
	v_cmp_gt_i64_e32 vcc, s[26:27], v[34:35]
	s_orn2_b64 s[42:43], vcc, exec
.LBB1338_160:
	s_or_b64 exec, exec, s[38:39]
.LBB1338_161:
	s_and_b64 s[38:39], s[42:43], exec
.LBB1338_162:
	s_or_b64 exec, exec, s[40:41]
	v_cmp_gt_u32_e32 vcc, s3, v41
	s_and_saveexec_b64 s[40:41], vcc
	s_cbranch_execz .LBB1338_173
; %bb.163:
	s_and_b64 vcc, exec, s[4:5]
	s_mov_b64 s[42:43], 0
	s_cbranch_vccnz .LBB1338_172
; %bb.164:
	s_waitcnt lgkmcnt(0)
	v_mul_lo_u32 v32, v23, s26
	v_mul_lo_u32 v33, v22, s27
	v_mad_u64_u32 v[30:31], s[36:37], v22, s26, 0
	v_add3_u32 v31, v31, v33, v32
	v_mul_lo_u32 v32, v25, s26
	v_mul_lo_u32 v33, v24, s27
	v_mad_u64_u32 v[34:35], s[36:37], v24, s26, 0
	v_add3_u32 v35, v35, v33, v32
	v_lshl_add_u64 v[32:33], v[30:31], 1, s[28:29]
	v_lshl_add_u64 v[30:31], v[34:35], 1, s[28:29]
	global_load_ushort v34, v[32:33], off
	global_load_ushort v35, v[30:31], off
	s_mov_b64 s[42:43], -1
	s_waitcnt vmcnt(0)
	v_cmp_eq_f16_e32 vcc, v34, v35
	s_and_saveexec_b64 s[36:37], vcc
	s_cbranch_execz .LBB1338_171
; %bb.165:
	s_add_u32 s42, s26, -1
	v_lshl_add_u64 v[30:31], v[30:31], 0, 2
	v_lshl_add_u64 v[32:33], v[32:33], 0, 2
	s_addc_u32 s43, s27, -1
	s_mov_b64 s[44:45], 0
	s_mov_b64 s[48:49], 0
                                        ; implicit-def: $sgpr46_sgpr47
	s_branch .LBB1338_168
.LBB1338_166:                           ;   in Loop: Header=BB1338_168 Depth=1
	global_load_ushort v34, v[32:33], off
	global_load_ushort v35, v[30:31], off
	s_add_u32 s48, s48, 1
	s_addc_u32 s49, s49, 0
	s_andn2_b64 s[46:47], s[46:47], exec
	v_lshl_add_u64 v[30:31], v[30:31], 0, 2
	v_lshl_add_u64 v[32:33], v[32:33], 0, 2
	s_waitcnt vmcnt(0)
	v_cmp_neq_f16_e32 vcc, v34, v35
	s_and_b64 s[50:51], vcc, exec
	s_or_b64 s[46:47], s[46:47], s[50:51]
.LBB1338_167:                           ;   in Loop: Header=BB1338_168 Depth=1
	s_and_b64 s[50:51], exec, s[46:47]
	s_or_b64 s[44:45], s[50:51], s[44:45]
	v_mov_b64_e32 v[34:35], s[48:49]
	s_andn2_b64 exec, exec, s[44:45]
	s_cbranch_execz .LBB1338_170
.LBB1338_168:                           ; =>This Inner Loop Header: Depth=1
	s_or_b64 s[46:47], s[46:47], exec
	s_cmp_eq_u64 s[42:43], s[48:49]
	s_cbranch_scc0 .LBB1338_166
; %bb.169:                              ;   in Loop: Header=BB1338_168 Depth=1
                                        ; implicit-def: $vgpr30_vgpr31
                                        ; implicit-def: $vgpr32_vgpr33
	s_mov_b64 s[48:49], s[26:27]
	s_branch .LBB1338_167
.LBB1338_170:
	s_or_b64 exec, exec, s[44:45]
	v_cmp_gt_i64_e32 vcc, s[26:27], v[34:35]
	s_orn2_b64 s[42:43], vcc, exec
.LBB1338_171:
	s_or_b64 exec, exec, s[36:37]
.LBB1338_172:
	s_and_b64 s[36:37], s[42:43], exec
.LBB1338_173:
	s_or_b64 exec, exec, s[40:41]
	v_cmp_ne_u32_e32 vcc, 0, v0
	s_waitcnt lgkmcnt(0)
	v_mov_b64_e32 v[30:31], s[6:7]
	s_barrier
	s_and_saveexec_b64 s[6:7], vcc
	s_cbranch_execz .LBB1338_175
; %bb.174:
	v_add_u32_e32 v30, -8, v45
	ds_read_b64 v[30:31], v30
.LBB1338_175:
	s_or_b64 exec, exec, s[6:7]
	v_cndmask_b32_e64 v33, 0, 1, s[18:19]
	v_cndmask_b32_e64 v32, 0, 1, s[38:39]
	;; [unrolled: 1-line block ×3, first 2 shown]
	v_lshlrev_b16_e32 v33, 8, v33
	v_cmp_gt_u32_e32 vcc, s3, v1
	v_lshlrev_b16_e32 v36, 8, v34
	v_or_b32_sdwa v37, v32, v33 dst_sel:WORD_1 dst_unused:UNUSED_PAD src0_sel:DWORD src1_sel:DWORD
	s_mov_b64 s[18:19], 0
	s_and_saveexec_b64 s[6:7], vcc
	s_cbranch_execz .LBB1338_186
; %bb.176:
	s_and_b64 vcc, exec, s[4:5]
	s_cbranch_vccnz .LBB1338_185
; %bb.177:
	s_waitcnt lgkmcnt(0)
	v_mul_lo_u32 v32, v31, s26
	v_mul_lo_u32 v33, v30, s27
	v_mad_u64_u32 v[30:31], s[4:5], v30, s26, 0
	v_add3_u32 v31, v31, v33, v32
	v_mul_lo_u32 v32, v23, s26
	v_mul_lo_u32 v33, v22, s27
	v_mad_u64_u32 v[34:35], s[4:5], v22, s26, 0
	v_add3_u32 v35, v35, v33, v32
	v_lshl_add_u64 v[32:33], v[30:31], 1, s[28:29]
	v_lshl_add_u64 v[30:31], v[34:35], 1, s[28:29]
	global_load_ushort v34, v[32:33], off
	global_load_ushort v35, v[30:31], off
	s_mov_b64 s[18:19], -1
	s_waitcnt vmcnt(0)
	v_cmp_eq_f16_e32 vcc, v34, v35
	s_and_saveexec_b64 s[4:5], vcc
	s_cbranch_execz .LBB1338_184
; %bb.178:
	s_add_u32 s18, s26, -1
	v_lshl_add_u64 v[30:31], v[30:31], 0, 2
	v_lshl_add_u64 v[32:33], v[32:33], 0, 2
	s_addc_u32 s19, s27, -1
	s_mov_b64 s[36:37], 0
	s_mov_b64 s[40:41], 0
                                        ; implicit-def: $sgpr38_sgpr39
	s_branch .LBB1338_181
.LBB1338_179:                           ;   in Loop: Header=BB1338_181 Depth=1
	global_load_ushort v34, v[32:33], off
	global_load_ushort v35, v[30:31], off
	s_add_u32 s40, s40, 1
	s_addc_u32 s41, s41, 0
	s_andn2_b64 s[38:39], s[38:39], exec
	v_lshl_add_u64 v[30:31], v[30:31], 0, 2
	v_lshl_add_u64 v[32:33], v[32:33], 0, 2
	s_waitcnt vmcnt(0)
	v_cmp_neq_f16_e32 vcc, v34, v35
	s_and_b64 s[42:43], vcc, exec
	s_or_b64 s[38:39], s[38:39], s[42:43]
.LBB1338_180:                           ;   in Loop: Header=BB1338_181 Depth=1
	s_and_b64 s[42:43], exec, s[38:39]
	s_or_b64 s[36:37], s[42:43], s[36:37]
	v_mov_b64_e32 v[34:35], s[40:41]
	s_andn2_b64 exec, exec, s[36:37]
	s_cbranch_execz .LBB1338_183
.LBB1338_181:                           ; =>This Inner Loop Header: Depth=1
	s_or_b64 s[38:39], s[38:39], exec
	s_cmp_eq_u64 s[18:19], s[40:41]
	s_cbranch_scc0 .LBB1338_179
; %bb.182:                              ;   in Loop: Header=BB1338_181 Depth=1
                                        ; implicit-def: $vgpr30_vgpr31
                                        ; implicit-def: $vgpr32_vgpr33
	s_mov_b64 s[40:41], s[26:27]
	s_branch .LBB1338_180
.LBB1338_183:
	s_or_b64 exec, exec, s[36:37]
	v_cmp_gt_i64_e32 vcc, s[26:27], v[34:35]
	s_orn2_b64 s[18:19], vcc, exec
.LBB1338_184:
	s_or_b64 exec, exec, s[4:5]
.LBB1338_185:
	s_and_b64 s[18:19], s[18:19], exec
.LBB1338_186:
	s_or_b64 exec, exec, s[6:7]
	v_cndmask_b32_e64 v46, 0, 1, s[14:15]
	v_cndmask_b32_e64 v47, 0, 1, s[12:13]
	;; [unrolled: 1-line block ×3, first 2 shown]
	v_or_b32_e32 v34, v36, v37
.LBB1338_187:
	s_mov_b64 s[10:11], -1
	s_cbranch_execnz .LBB1338_46
.LBB1338_188:
	s_movk_i32 s4, 0xffd0
	v_mad_i32_i24 v44, v0, s4, v44
	s_mov_b64 s[12:13], 0
	s_waitcnt lgkmcnt(0)
	v_cmp_gt_i64_e64 s[6:7], s[26:27], 0
	s_and_b64 vcc, exec, s[34:35]
	ds_write_b64 v44, v[28:29]
	s_cbranch_vccz .LBB1338_196
; %bb.189:
	v_mul_lo_u32 v32, v17, s26
	v_mul_lo_u32 v33, v16, s27
	v_mad_u64_u32 v[30:31], s[4:5], v16, s26, 0
	v_add3_u32 v31, v31, v33, v32
	v_cndmask_b32_e64 v32, 0, 1, s[6:7]
	v_cmp_ne_u32_e64 s[4:5], 1, v32
	s_andn2_b64 vcc, exec, s[6:7]
	v_lshl_add_u64 v[30:31], v[30:31], 1, s[28:29]
	s_cbranch_vccnz .LBB1338_199
; %bb.190:
	v_mul_lo_u32 v34, v29, s26
	v_mul_lo_u32 v35, v28, s27
	v_mad_u64_u32 v[32:33], s[12:13], v28, s26, 0
	v_add3_u32 v33, v33, v35, v34
	v_lshl_add_u64 v[32:33], v[32:33], 1, s[28:29]
	global_load_ushort v34, v[30:31], off
	global_load_ushort v35, v[32:33], off
	s_mov_b64 s[12:13], -1
	s_waitcnt vmcnt(0)
	v_cmp_eq_f16_e32 vcc, v34, v35
	s_and_saveexec_b64 s[14:15], vcc
	s_cbranch_execz .LBB1338_198
; %bb.191:
	s_add_u32 s12, s26, -1
	v_lshl_add_u64 v[32:33], v[32:33], 0, 2
	v_lshl_add_u64 v[34:35], v[30:31], 0, 2
	s_addc_u32 s13, s27, -1
	s_mov_b64 s[18:19], 0
	s_mov_b64 s[38:39], 0
                                        ; implicit-def: $sgpr36_sgpr37
	s_branch .LBB1338_194
.LBB1338_192:                           ;   in Loop: Header=BB1338_194 Depth=1
	global_load_ushort v36, v[34:35], off
	global_load_ushort v37, v[32:33], off
	s_add_u32 s38, s38, 1
	s_addc_u32 s39, s39, 0
	s_andn2_b64 s[36:37], s[36:37], exec
	v_lshl_add_u64 v[32:33], v[32:33], 0, 2
	v_lshl_add_u64 v[34:35], v[34:35], 0, 2
	s_waitcnt vmcnt(0)
	v_cmp_neq_f16_e32 vcc, v36, v37
	s_and_b64 s[40:41], vcc, exec
	s_or_b64 s[36:37], s[36:37], s[40:41]
.LBB1338_193:                           ;   in Loop: Header=BB1338_194 Depth=1
	s_and_b64 s[40:41], exec, s[36:37]
	s_or_b64 s[18:19], s[40:41], s[18:19]
	v_mov_b64_e32 v[36:37], s[38:39]
	s_andn2_b64 exec, exec, s[18:19]
	s_cbranch_execz .LBB1338_197
.LBB1338_194:                           ; =>This Inner Loop Header: Depth=1
	s_or_b64 s[36:37], s[36:37], exec
	s_cmp_eq_u64 s[12:13], s[38:39]
	s_cbranch_scc0 .LBB1338_192
; %bb.195:                              ;   in Loop: Header=BB1338_194 Depth=1
                                        ; implicit-def: $vgpr32_vgpr33
                                        ; implicit-def: $vgpr34_vgpr35
	s_mov_b64 s[38:39], s[26:27]
	s_branch .LBB1338_193
.LBB1338_196:
                                        ; implicit-def: $sgpr18_sgpr19
                                        ; implicit-def: $vgpr48
                                        ; implicit-def: $vgpr47
                                        ; implicit-def: $vgpr46
                                        ; implicit-def: $vgpr34
                                        ; implicit-def: $vgpr30_vgpr31
	s_cbranch_execnz .LBB1338_256
	s_branch .LBB1338_336
.LBB1338_197:
	s_or_b64 exec, exec, s[18:19]
	v_cmp_gt_i64_e32 vcc, s[26:27], v[36:37]
	s_orn2_b64 s[12:13], vcc, exec
.LBB1338_198:
	s_or_b64 exec, exec, s[14:15]
.LBB1338_199:
	v_mul_lo_u32 v34, v15, s26
	v_mul_lo_u32 v35, v14, s27
	v_mad_u64_u32 v[32:33], s[14:15], v14, s26, 0
	v_add3_u32 v33, v33, v35, v34
	s_mov_b64 s[14:15], 0
	s_and_b64 vcc, exec, s[4:5]
	v_lshl_add_u64 v[32:33], v[32:33], 1, s[28:29]
	s_mov_b64 s[18:19], 0
	s_cbranch_vccnz .LBB1338_208
; %bb.200:
	global_load_ushort v34, v[32:33], off
	global_load_ushort v35, v[30:31], off
	s_mov_b64 s[18:19], -1
	s_waitcnt vmcnt(0)
	v_cmp_eq_f16_e32 vcc, v34, v35
	s_and_saveexec_b64 s[36:37], vcc
	s_cbranch_execz .LBB1338_207
; %bb.201:
	s_add_u32 s18, s26, -1
	v_lshl_add_u64 v[30:31], v[30:31], 0, 2
	v_lshl_add_u64 v[34:35], v[32:33], 0, 2
	s_addc_u32 s19, s27, -1
	s_mov_b64 s[38:39], 0
	s_mov_b64 s[42:43], 0
                                        ; implicit-def: $sgpr40_sgpr41
	s_branch .LBB1338_204
.LBB1338_202:                           ;   in Loop: Header=BB1338_204 Depth=1
	global_load_ushort v36, v[34:35], off
	global_load_ushort v37, v[30:31], off
	s_add_u32 s42, s42, 1
	s_addc_u32 s43, s43, 0
	s_andn2_b64 s[40:41], s[40:41], exec
	v_lshl_add_u64 v[30:31], v[30:31], 0, 2
	v_lshl_add_u64 v[34:35], v[34:35], 0, 2
	s_waitcnt vmcnt(0)
	v_cmp_neq_f16_e32 vcc, v36, v37
	s_and_b64 s[44:45], vcc, exec
	s_or_b64 s[40:41], s[40:41], s[44:45]
.LBB1338_203:                           ;   in Loop: Header=BB1338_204 Depth=1
	s_and_b64 s[44:45], exec, s[40:41]
	s_or_b64 s[38:39], s[44:45], s[38:39]
	v_mov_b64_e32 v[36:37], s[42:43]
	s_andn2_b64 exec, exec, s[38:39]
	s_cbranch_execz .LBB1338_206
.LBB1338_204:                           ; =>This Inner Loop Header: Depth=1
	s_or_b64 s[40:41], s[40:41], exec
	s_cmp_eq_u64 s[18:19], s[42:43]
	s_cbranch_scc0 .LBB1338_202
; %bb.205:                              ;   in Loop: Header=BB1338_204 Depth=1
                                        ; implicit-def: $vgpr30_vgpr31
                                        ; implicit-def: $vgpr34_vgpr35
	s_mov_b64 s[42:43], s[26:27]
	s_branch .LBB1338_203
.LBB1338_206:
	s_or_b64 exec, exec, s[38:39]
	v_cmp_gt_i64_e32 vcc, s[26:27], v[36:37]
	s_orn2_b64 s[18:19], vcc, exec
.LBB1338_207:
	s_or_b64 exec, exec, s[36:37]
.LBB1338_208:
	v_mul_lo_u32 v34, v21, s26
	v_mul_lo_u32 v35, v20, s27
	v_mad_u64_u32 v[30:31], s[36:37], v20, s26, 0
	v_add3_u32 v31, v31, v35, v34
	s_and_b64 vcc, exec, s[4:5]
	v_lshl_add_u64 v[30:31], v[30:31], 1, s[28:29]
	s_cbranch_vccnz .LBB1338_217
; %bb.209:
	global_load_ushort v34, v[30:31], off
	global_load_ushort v35, v[32:33], off
	s_mov_b64 s[14:15], -1
	s_waitcnt vmcnt(0)
	v_cmp_eq_f16_e32 vcc, v34, v35
	s_and_saveexec_b64 s[36:37], vcc
	s_cbranch_execz .LBB1338_216
; %bb.210:
	s_add_u32 s14, s26, -1
	v_lshl_add_u64 v[32:33], v[32:33], 0, 2
	v_lshl_add_u64 v[34:35], v[30:31], 0, 2
	s_addc_u32 s15, s27, -1
	s_mov_b64 s[38:39], 0
	s_mov_b64 s[42:43], 0
                                        ; implicit-def: $sgpr40_sgpr41
	s_branch .LBB1338_213
.LBB1338_211:                           ;   in Loop: Header=BB1338_213 Depth=1
	global_load_ushort v36, v[34:35], off
	global_load_ushort v37, v[32:33], off
	s_add_u32 s42, s42, 1
	s_addc_u32 s43, s43, 0
	s_andn2_b64 s[40:41], s[40:41], exec
	v_lshl_add_u64 v[32:33], v[32:33], 0, 2
	v_lshl_add_u64 v[34:35], v[34:35], 0, 2
	s_waitcnt vmcnt(0)
	v_cmp_neq_f16_e32 vcc, v36, v37
	s_and_b64 s[44:45], vcc, exec
	s_or_b64 s[40:41], s[40:41], s[44:45]
.LBB1338_212:                           ;   in Loop: Header=BB1338_213 Depth=1
	s_and_b64 s[44:45], exec, s[40:41]
	s_or_b64 s[38:39], s[44:45], s[38:39]
	v_mov_b64_e32 v[36:37], s[42:43]
	s_andn2_b64 exec, exec, s[38:39]
	s_cbranch_execz .LBB1338_215
.LBB1338_213:                           ; =>This Inner Loop Header: Depth=1
	s_or_b64 s[40:41], s[40:41], exec
	s_cmp_eq_u64 s[14:15], s[42:43]
	s_cbranch_scc0 .LBB1338_211
; %bb.214:                              ;   in Loop: Header=BB1338_213 Depth=1
                                        ; implicit-def: $vgpr32_vgpr33
                                        ; implicit-def: $vgpr34_vgpr35
	s_mov_b64 s[42:43], s[26:27]
	s_branch .LBB1338_212
.LBB1338_215:
	s_or_b64 exec, exec, s[38:39]
	v_cmp_gt_i64_e32 vcc, s[26:27], v[36:37]
	s_orn2_b64 s[14:15], vcc, exec
.LBB1338_216:
	s_or_b64 exec, exec, s[36:37]
.LBB1338_217:
	v_mul_lo_u32 v34, v19, s26
	v_mul_lo_u32 v35, v18, s27
	v_mad_u64_u32 v[32:33], s[36:37], v18, s26, 0
	v_add3_u32 v33, v33, v35, v34
	s_mov_b64 s[36:37], 0
	s_and_b64 vcc, exec, s[4:5]
	v_lshl_add_u64 v[32:33], v[32:33], 1, s[28:29]
	s_mov_b64 s[38:39], 0
	s_cbranch_vccnz .LBB1338_226
; %bb.218:
	global_load_ushort v34, v[32:33], off
	global_load_ushort v35, v[30:31], off
	s_mov_b64 s[38:39], -1
	s_waitcnt vmcnt(0)
	v_cmp_eq_f16_e32 vcc, v34, v35
	s_and_saveexec_b64 s[40:41], vcc
	s_cbranch_execz .LBB1338_225
; %bb.219:
	s_add_u32 s38, s26, -1
	v_lshl_add_u64 v[30:31], v[30:31], 0, 2
	v_lshl_add_u64 v[34:35], v[32:33], 0, 2
	s_addc_u32 s39, s27, -1
	s_mov_b64 s[42:43], 0
	s_mov_b64 s[46:47], 0
                                        ; implicit-def: $sgpr44_sgpr45
	s_branch .LBB1338_222
.LBB1338_220:                           ;   in Loop: Header=BB1338_222 Depth=1
	global_load_ushort v36, v[34:35], off
	global_load_ushort v37, v[30:31], off
	s_add_u32 s46, s46, 1
	s_addc_u32 s47, s47, 0
	s_andn2_b64 s[44:45], s[44:45], exec
	v_lshl_add_u64 v[30:31], v[30:31], 0, 2
	v_lshl_add_u64 v[34:35], v[34:35], 0, 2
	s_waitcnt vmcnt(0)
	v_cmp_neq_f16_e32 vcc, v36, v37
	s_and_b64 s[48:49], vcc, exec
	s_or_b64 s[44:45], s[44:45], s[48:49]
.LBB1338_221:                           ;   in Loop: Header=BB1338_222 Depth=1
	s_and_b64 s[48:49], exec, s[44:45]
	s_or_b64 s[42:43], s[48:49], s[42:43]
	v_mov_b64_e32 v[36:37], s[46:47]
	s_andn2_b64 exec, exec, s[42:43]
	s_cbranch_execz .LBB1338_224
.LBB1338_222:                           ; =>This Inner Loop Header: Depth=1
	s_or_b64 s[44:45], s[44:45], exec
	s_cmp_eq_u64 s[38:39], s[46:47]
	s_cbranch_scc0 .LBB1338_220
; %bb.223:                              ;   in Loop: Header=BB1338_222 Depth=1
                                        ; implicit-def: $vgpr30_vgpr31
                                        ; implicit-def: $vgpr34_vgpr35
	s_mov_b64 s[46:47], s[26:27]
	s_branch .LBB1338_221
.LBB1338_224:
	s_or_b64 exec, exec, s[42:43]
	v_cmp_gt_i64_e32 vcc, s[26:27], v[36:37]
	s_orn2_b64 s[38:39], vcc, exec
.LBB1338_225:
	s_or_b64 exec, exec, s[40:41]
.LBB1338_226:
	v_mul_lo_u32 v34, v25, s26
	v_mul_lo_u32 v35, v24, s27
	v_mad_u64_u32 v[30:31], s[40:41], v24, s26, 0
	v_add3_u32 v31, v31, v35, v34
	s_and_b64 vcc, exec, s[4:5]
	v_lshl_add_u64 v[30:31], v[30:31], 1, s[28:29]
	s_cbranch_vccnz .LBB1338_235
; %bb.227:
	global_load_ushort v34, v[30:31], off
	global_load_ushort v35, v[32:33], off
	s_mov_b64 s[36:37], -1
	s_waitcnt vmcnt(0)
	v_cmp_eq_f16_e32 vcc, v34, v35
	s_and_saveexec_b64 s[40:41], vcc
	s_cbranch_execz .LBB1338_234
; %bb.228:
	s_add_u32 s36, s26, -1
	v_lshl_add_u64 v[32:33], v[32:33], 0, 2
	v_lshl_add_u64 v[34:35], v[30:31], 0, 2
	s_addc_u32 s37, s27, -1
	s_mov_b64 s[42:43], 0
	s_mov_b64 s[46:47], 0
                                        ; implicit-def: $sgpr44_sgpr45
	s_branch .LBB1338_231
.LBB1338_229:                           ;   in Loop: Header=BB1338_231 Depth=1
	global_load_ushort v36, v[34:35], off
	global_load_ushort v37, v[32:33], off
	s_add_u32 s46, s46, 1
	s_addc_u32 s47, s47, 0
	s_andn2_b64 s[44:45], s[44:45], exec
	v_lshl_add_u64 v[32:33], v[32:33], 0, 2
	v_lshl_add_u64 v[34:35], v[34:35], 0, 2
	s_waitcnt vmcnt(0)
	v_cmp_neq_f16_e32 vcc, v36, v37
	s_and_b64 s[48:49], vcc, exec
	s_or_b64 s[44:45], s[44:45], s[48:49]
.LBB1338_230:                           ;   in Loop: Header=BB1338_231 Depth=1
	s_and_b64 s[48:49], exec, s[44:45]
	s_or_b64 s[42:43], s[48:49], s[42:43]
	v_mov_b64_e32 v[36:37], s[46:47]
	s_andn2_b64 exec, exec, s[42:43]
	s_cbranch_execz .LBB1338_233
.LBB1338_231:                           ; =>This Inner Loop Header: Depth=1
	s_or_b64 s[44:45], s[44:45], exec
	s_cmp_eq_u64 s[36:37], s[46:47]
	s_cbranch_scc0 .LBB1338_229
; %bb.232:                              ;   in Loop: Header=BB1338_231 Depth=1
                                        ; implicit-def: $vgpr32_vgpr33
                                        ; implicit-def: $vgpr34_vgpr35
	s_mov_b64 s[46:47], s[26:27]
	s_branch .LBB1338_230
.LBB1338_233:
	s_or_b64 exec, exec, s[42:43]
	v_cmp_gt_i64_e32 vcc, s[26:27], v[36:37]
	s_orn2_b64 s[36:37], vcc, exec
.LBB1338_234:
	s_or_b64 exec, exec, s[40:41]
.LBB1338_235:
	v_mul_lo_u32 v34, v23, s26
	v_mul_lo_u32 v35, v22, s27
	v_mad_u64_u32 v[32:33], s[40:41], v22, s26, 0
	v_add3_u32 v33, v33, v35, v34
	s_and_b64 vcc, exec, s[4:5]
	s_mov_b64 s[42:43], 0
	s_cbranch_vccnz .LBB1338_244
; %bb.236:
	v_lshl_add_u64 v[34:35], v[32:33], 1, s[28:29]
	global_load_ushort v36, v[34:35], off
	global_load_ushort v37, v[30:31], off
	s_mov_b64 s[42:43], -1
	s_waitcnt vmcnt(0)
	v_cmp_eq_f16_e32 vcc, v36, v37
	s_and_saveexec_b64 s[40:41], vcc
	s_cbranch_execz .LBB1338_243
; %bb.237:
	s_add_u32 s42, s26, -1
	v_lshl_add_u64 v[30:31], v[30:31], 0, 2
	v_lshl_add_u64 v[34:35], v[34:35], 0, 2
	s_addc_u32 s43, s27, -1
	s_mov_b64 s[44:45], 0
	s_mov_b64 s[48:49], 0
                                        ; implicit-def: $sgpr46_sgpr47
	s_branch .LBB1338_240
.LBB1338_238:                           ;   in Loop: Header=BB1338_240 Depth=1
	global_load_ushort v36, v[34:35], off
	global_load_ushort v37, v[30:31], off
	s_add_u32 s48, s48, 1
	s_addc_u32 s49, s49, 0
	s_andn2_b64 s[46:47], s[46:47], exec
	v_lshl_add_u64 v[30:31], v[30:31], 0, 2
	v_lshl_add_u64 v[34:35], v[34:35], 0, 2
	s_waitcnt vmcnt(0)
	v_cmp_neq_f16_e32 vcc, v36, v37
	s_and_b64 s[50:51], vcc, exec
	s_or_b64 s[46:47], s[46:47], s[50:51]
.LBB1338_239:                           ;   in Loop: Header=BB1338_240 Depth=1
	s_and_b64 s[50:51], exec, s[46:47]
	s_or_b64 s[44:45], s[50:51], s[44:45]
	v_mov_b64_e32 v[36:37], s[48:49]
	s_andn2_b64 exec, exec, s[44:45]
	s_cbranch_execz .LBB1338_242
.LBB1338_240:                           ; =>This Inner Loop Header: Depth=1
	s_or_b64 s[46:47], s[46:47], exec
	s_cmp_eq_u64 s[42:43], s[48:49]
	s_cbranch_scc0 .LBB1338_238
; %bb.241:                              ;   in Loop: Header=BB1338_240 Depth=1
                                        ; implicit-def: $vgpr30_vgpr31
                                        ; implicit-def: $vgpr34_vgpr35
	s_mov_b64 s[48:49], s[26:27]
	s_branch .LBB1338_239
.LBB1338_242:
	s_or_b64 exec, exec, s[44:45]
	v_cmp_gt_i64_e32 vcc, s[26:27], v[36:37]
	s_orn2_b64 s[42:43], vcc, exec
.LBB1338_243:
	s_or_b64 exec, exec, s[40:41]
.LBB1338_244:
	v_cndmask_b32_e64 v31, 0, 1, s[38:39]
	v_cndmask_b32_e64 v30, 0, 1, s[36:37]
	;; [unrolled: 1-line block ×3, first 2 shown]
	v_lshlrev_b16_e32 v31, 8, v31
	v_cndmask_b32_e64 v46, 0, 1, s[14:15]
	v_cndmask_b32_e64 v34, 0, 1, s[42:43]
	v_or_b32_sdwa v30, v30, v31 dst_sel:WORD_1 dst_unused:UNUSED_PAD src0_sel:DWORD src1_sel:DWORD
	v_lshlrev_b16_e32 v31, 8, v47
	v_lshlrev_b16_e32 v34, 8, v34
	v_or_b32_e32 v31, v46, v31
	v_or_b32_e32 v34, 1, v34
	v_and_b32_e32 v31, 0xffff, v31
	v_cndmask_b32_e64 v48, 0, 1, s[12:13]
	v_or_b32_sdwa v30, v34, v30 dst_sel:DWORD dst_unused:UNUSED_PAD src0_sel:WORD_0 src1_sel:DWORD
	v_lshl_or_b32 v31, v48, 16, v31
	v_cmp_ne_u32_e32 vcc, 0, v0
	s_waitcnt lgkmcnt(0)
	s_barrier
	s_waitcnt lgkmcnt(0)
                                        ; implicit-def: $sgpr18_sgpr19
                                        ; implicit-def: $vgpr34
	s_and_saveexec_b64 s[12:13], vcc
	s_xor_b64 s[12:13], exec, s[12:13]
	s_cbranch_execz .LBB1338_255
; %bb.245:
	s_mov_b32 s33, 0x3020104
	s_and_b64 vcc, exec, s[4:5]
	s_mov_b64 s[14:15], 0
	s_cbranch_vccnz .LBB1338_254
; %bb.246:
	v_add_u32_e32 v31, -8, v44
	ds_read_b64 v[34:35], v31
	v_lshl_add_u64 v[32:33], v[32:33], 1, s[28:29]
	s_mov_b64 s[14:15], -1
	s_waitcnt lgkmcnt(0)
	v_mul_lo_u32 v31, v35, s26
	v_mul_lo_u32 v36, v34, s27
	v_mad_u64_u32 v[34:35], s[4:5], v34, s26, 0
	v_add3_u32 v35, v35, v36, v31
	v_lshl_add_u64 v[34:35], v[34:35], 1, s[28:29]
	global_load_ushort v31, v[34:35], off
	global_load_ushort v36, v[32:33], off
	s_waitcnt vmcnt(0)
	v_cmp_eq_f16_e32 vcc, v31, v36
	s_and_saveexec_b64 s[4:5], vcc
	s_cbranch_execz .LBB1338_253
; %bb.247:
	s_add_u32 s14, s26, -1
	v_lshl_add_u64 v[32:33], v[32:33], 0, 2
	v_lshl_add_u64 v[34:35], v[34:35], 0, 2
	s_addc_u32 s15, s27, -1
	s_mov_b64 s[18:19], 0
	s_mov_b64 s[38:39], 0
                                        ; implicit-def: $sgpr36_sgpr37
	s_branch .LBB1338_250
.LBB1338_248:                           ;   in Loop: Header=BB1338_250 Depth=1
	global_load_ushort v31, v[34:35], off
	global_load_ushort v36, v[32:33], off
	s_add_u32 s38, s38, 1
	s_addc_u32 s39, s39, 0
	s_andn2_b64 s[36:37], s[36:37], exec
	v_lshl_add_u64 v[32:33], v[32:33], 0, 2
	v_lshl_add_u64 v[34:35], v[34:35], 0, 2
	s_waitcnt vmcnt(0)
	v_cmp_neq_f16_e32 vcc, v31, v36
	s_and_b64 s[40:41], vcc, exec
	s_or_b64 s[36:37], s[36:37], s[40:41]
.LBB1338_249:                           ;   in Loop: Header=BB1338_250 Depth=1
	s_and_b64 s[40:41], exec, s[36:37]
	s_or_b64 s[18:19], s[40:41], s[18:19]
	v_mov_b64_e32 v[36:37], s[38:39]
	s_andn2_b64 exec, exec, s[18:19]
	s_cbranch_execz .LBB1338_252
.LBB1338_250:                           ; =>This Inner Loop Header: Depth=1
	s_or_b64 s[36:37], s[36:37], exec
	s_cmp_eq_u64 s[14:15], s[38:39]
	s_cbranch_scc0 .LBB1338_248
; %bb.251:                              ;   in Loop: Header=BB1338_250 Depth=1
                                        ; implicit-def: $vgpr32_vgpr33
                                        ; implicit-def: $vgpr34_vgpr35
	s_mov_b64 s[38:39], s[26:27]
	s_branch .LBB1338_249
.LBB1338_252:
	s_or_b64 exec, exec, s[18:19]
	v_cmp_gt_i64_e32 vcc, s[26:27], v[36:37]
	s_orn2_b64 s[14:15], vcc, exec
.LBB1338_253:
	s_or_b64 exec, exec, s[4:5]
.LBB1338_254:
	v_perm_b32 v34, v30, v30, s33
	s_and_b64 s[18:19], s[14:15], exec
	s_or_b64 s[10:11], s[10:11], exec
                                        ; implicit-def: $vgpr30_vgpr31
.LBB1338_255:
	s_or_b64 exec, exec, s[12:13]
	s_branch .LBB1338_336
.LBB1338_256:
	v_cmp_gt_u32_e32 vcc, s3, v40
	s_mov_b64 s[12:13], 0
	s_mov_b64 s[4:5], 0
	s_and_saveexec_b64 s[14:15], vcc
	s_cbranch_execz .LBB1338_267
; %bb.257:
	s_andn2_b64 vcc, exec, s[6:7]
	s_mov_b64 s[18:19], 0
	s_cbranch_vccnz .LBB1338_266
; %bb.258:
	v_mul_lo_u32 v32, v17, s26
	v_mul_lo_u32 v33, v16, s27
	v_mad_u64_u32 v[30:31], s[4:5], v16, s26, 0
	v_add3_u32 v31, v31, v33, v32
	v_mul_lo_u32 v32, v29, s26
	v_mul_lo_u32 v33, v28, s27
	v_mad_u64_u32 v[34:35], s[4:5], v28, s26, 0
	v_add3_u32 v35, v35, v33, v32
	v_lshl_add_u64 v[32:33], v[30:31], 1, s[28:29]
	v_lshl_add_u64 v[30:31], v[34:35], 1, s[28:29]
	global_load_ushort v34, v[32:33], off
	global_load_ushort v35, v[30:31], off
	s_mov_b64 s[18:19], -1
	s_waitcnt vmcnt(0)
	v_cmp_eq_f16_e32 vcc, v34, v35
	s_and_saveexec_b64 s[4:5], vcc
	s_cbranch_execz .LBB1338_265
; %bb.259:
	s_add_u32 s18, s26, -1
	v_lshl_add_u64 v[30:31], v[30:31], 0, 2
	v_lshl_add_u64 v[32:33], v[32:33], 0, 2
	s_addc_u32 s19, s27, -1
	s_mov_b64 s[36:37], 0
	s_mov_b64 s[40:41], 0
                                        ; implicit-def: $sgpr38_sgpr39
	s_branch .LBB1338_262
.LBB1338_260:                           ;   in Loop: Header=BB1338_262 Depth=1
	global_load_ushort v34, v[32:33], off
	global_load_ushort v35, v[30:31], off
	s_add_u32 s40, s40, 1
	s_addc_u32 s41, s41, 0
	s_andn2_b64 s[38:39], s[38:39], exec
	v_lshl_add_u64 v[30:31], v[30:31], 0, 2
	v_lshl_add_u64 v[32:33], v[32:33], 0, 2
	s_waitcnt vmcnt(0)
	v_cmp_neq_f16_e32 vcc, v34, v35
	s_and_b64 s[42:43], vcc, exec
	s_or_b64 s[38:39], s[38:39], s[42:43]
.LBB1338_261:                           ;   in Loop: Header=BB1338_262 Depth=1
	s_and_b64 s[42:43], exec, s[38:39]
	s_or_b64 s[36:37], s[42:43], s[36:37]
	v_mov_b64_e32 v[34:35], s[40:41]
	s_andn2_b64 exec, exec, s[36:37]
	s_cbranch_execz .LBB1338_264
.LBB1338_262:                           ; =>This Inner Loop Header: Depth=1
	s_or_b64 s[38:39], s[38:39], exec
	s_cmp_eq_u64 s[18:19], s[40:41]
	s_cbranch_scc0 .LBB1338_260
; %bb.263:                              ;   in Loop: Header=BB1338_262 Depth=1
                                        ; implicit-def: $vgpr30_vgpr31
                                        ; implicit-def: $vgpr32_vgpr33
	s_mov_b64 s[40:41], s[26:27]
	s_branch .LBB1338_261
.LBB1338_264:
	s_or_b64 exec, exec, s[36:37]
	v_cmp_gt_i64_e32 vcc, s[26:27], v[34:35]
	s_orn2_b64 s[18:19], vcc, exec
.LBB1338_265:
	s_or_b64 exec, exec, s[4:5]
.LBB1338_266:
	s_and_b64 s[4:5], s[18:19], exec
.LBB1338_267:
	s_or_b64 exec, exec, s[14:15]
	v_cmp_gt_u32_e32 vcc, s3, v43
	s_and_saveexec_b64 s[14:15], vcc
	s_cbranch_execz .LBB1338_278
; %bb.268:
	s_andn2_b64 vcc, exec, s[6:7]
	s_mov_b64 s[18:19], 0
	s_cbranch_vccnz .LBB1338_277
; %bb.269:
	v_mul_lo_u32 v32, v15, s26
	v_mul_lo_u32 v33, v14, s27
	v_mad_u64_u32 v[30:31], s[12:13], v14, s26, 0
	v_add3_u32 v31, v31, v33, v32
	v_mul_lo_u32 v32, v17, s26
	v_mul_lo_u32 v33, v16, s27
	v_mad_u64_u32 v[34:35], s[12:13], v16, s26, 0
	v_add3_u32 v35, v35, v33, v32
	v_lshl_add_u64 v[32:33], v[30:31], 1, s[28:29]
	v_lshl_add_u64 v[30:31], v[34:35], 1, s[28:29]
	global_load_ushort v34, v[32:33], off
	global_load_ushort v35, v[30:31], off
	s_mov_b64 s[18:19], -1
	s_waitcnt vmcnt(0)
	v_cmp_eq_f16_e32 vcc, v34, v35
	s_and_saveexec_b64 s[12:13], vcc
	s_cbranch_execz .LBB1338_276
; %bb.270:
	s_add_u32 s18, s26, -1
	v_lshl_add_u64 v[30:31], v[30:31], 0, 2
	v_lshl_add_u64 v[32:33], v[32:33], 0, 2
	s_addc_u32 s19, s27, -1
	s_mov_b64 s[36:37], 0
	s_mov_b64 s[40:41], 0
                                        ; implicit-def: $sgpr38_sgpr39
	s_branch .LBB1338_273
.LBB1338_271:                           ;   in Loop: Header=BB1338_273 Depth=1
	global_load_ushort v34, v[32:33], off
	global_load_ushort v35, v[30:31], off
	s_add_u32 s40, s40, 1
	s_addc_u32 s41, s41, 0
	s_andn2_b64 s[38:39], s[38:39], exec
	v_lshl_add_u64 v[30:31], v[30:31], 0, 2
	v_lshl_add_u64 v[32:33], v[32:33], 0, 2
	s_waitcnt vmcnt(0)
	v_cmp_neq_f16_e32 vcc, v34, v35
	s_and_b64 s[42:43], vcc, exec
	s_or_b64 s[38:39], s[38:39], s[42:43]
.LBB1338_272:                           ;   in Loop: Header=BB1338_273 Depth=1
	s_and_b64 s[42:43], exec, s[38:39]
	s_or_b64 s[36:37], s[42:43], s[36:37]
	v_mov_b64_e32 v[34:35], s[40:41]
	s_andn2_b64 exec, exec, s[36:37]
	s_cbranch_execz .LBB1338_275
.LBB1338_273:                           ; =>This Inner Loop Header: Depth=1
	s_or_b64 s[38:39], s[38:39], exec
	s_cmp_eq_u64 s[18:19], s[40:41]
	s_cbranch_scc0 .LBB1338_271
; %bb.274:                              ;   in Loop: Header=BB1338_273 Depth=1
                                        ; implicit-def: $vgpr30_vgpr31
                                        ; implicit-def: $vgpr32_vgpr33
	s_mov_b64 s[40:41], s[26:27]
	s_branch .LBB1338_272
.LBB1338_275:
	s_or_b64 exec, exec, s[36:37]
	v_cmp_gt_i64_e32 vcc, s[26:27], v[34:35]
	s_orn2_b64 s[18:19], vcc, exec
.LBB1338_276:
	s_or_b64 exec, exec, s[12:13]
.LBB1338_277:
	s_and_b64 s[12:13], s[18:19], exec
.LBB1338_278:
	s_or_b64 exec, exec, s[14:15]
	v_cmp_gt_u32_e32 vcc, s3, v39
	s_mov_b64 s[18:19], 0
	s_mov_b64 s[14:15], 0
	s_and_saveexec_b64 s[36:37], vcc
	s_cbranch_execz .LBB1338_289
; %bb.279:
	s_andn2_b64 vcc, exec, s[6:7]
	s_mov_b64 s[38:39], 0
	s_cbranch_vccnz .LBB1338_288
; %bb.280:
	v_mul_lo_u32 v32, v21, s26
	v_mul_lo_u32 v33, v20, s27
	v_mad_u64_u32 v[30:31], s[14:15], v20, s26, 0
	v_add3_u32 v31, v31, v33, v32
	v_mul_lo_u32 v32, v15, s26
	v_mul_lo_u32 v33, v14, s27
	v_mad_u64_u32 v[34:35], s[14:15], v14, s26, 0
	v_add3_u32 v35, v35, v33, v32
	v_lshl_add_u64 v[32:33], v[30:31], 1, s[28:29]
	v_lshl_add_u64 v[30:31], v[34:35], 1, s[28:29]
	global_load_ushort v34, v[32:33], off
	global_load_ushort v35, v[30:31], off
	s_mov_b64 s[38:39], -1
	s_waitcnt vmcnt(0)
	v_cmp_eq_f16_e32 vcc, v34, v35
	s_and_saveexec_b64 s[14:15], vcc
	s_cbranch_execz .LBB1338_287
; %bb.281:
	s_add_u32 s38, s26, -1
	v_lshl_add_u64 v[30:31], v[30:31], 0, 2
	v_lshl_add_u64 v[32:33], v[32:33], 0, 2
	s_addc_u32 s39, s27, -1
	s_mov_b64 s[40:41], 0
	s_mov_b64 s[44:45], 0
                                        ; implicit-def: $sgpr42_sgpr43
	s_branch .LBB1338_284
.LBB1338_282:                           ;   in Loop: Header=BB1338_284 Depth=1
	global_load_ushort v34, v[32:33], off
	global_load_ushort v35, v[30:31], off
	s_add_u32 s44, s44, 1
	s_addc_u32 s45, s45, 0
	s_andn2_b64 s[42:43], s[42:43], exec
	v_lshl_add_u64 v[30:31], v[30:31], 0, 2
	v_lshl_add_u64 v[32:33], v[32:33], 0, 2
	s_waitcnt vmcnt(0)
	v_cmp_neq_f16_e32 vcc, v34, v35
	s_and_b64 s[46:47], vcc, exec
	s_or_b64 s[42:43], s[42:43], s[46:47]
.LBB1338_283:                           ;   in Loop: Header=BB1338_284 Depth=1
	s_and_b64 s[46:47], exec, s[42:43]
	s_or_b64 s[40:41], s[46:47], s[40:41]
	v_mov_b64_e32 v[34:35], s[44:45]
	s_andn2_b64 exec, exec, s[40:41]
	s_cbranch_execz .LBB1338_286
.LBB1338_284:                           ; =>This Inner Loop Header: Depth=1
	s_or_b64 s[42:43], s[42:43], exec
	s_cmp_eq_u64 s[38:39], s[44:45]
	s_cbranch_scc0 .LBB1338_282
; %bb.285:                              ;   in Loop: Header=BB1338_284 Depth=1
                                        ; implicit-def: $vgpr30_vgpr31
                                        ; implicit-def: $vgpr32_vgpr33
	s_mov_b64 s[44:45], s[26:27]
	s_branch .LBB1338_283
.LBB1338_286:
	s_or_b64 exec, exec, s[40:41]
	v_cmp_gt_i64_e32 vcc, s[26:27], v[34:35]
	s_orn2_b64 s[38:39], vcc, exec
.LBB1338_287:
	s_or_b64 exec, exec, s[14:15]
.LBB1338_288:
	s_and_b64 s[14:15], s[38:39], exec
.LBB1338_289:
	s_or_b64 exec, exec, s[36:37]
	v_cmp_gt_u32_e32 vcc, s3, v42
	s_and_saveexec_b64 s[36:37], vcc
	s_cbranch_execz .LBB1338_300
; %bb.290:
	s_andn2_b64 vcc, exec, s[6:7]
	s_mov_b64 s[38:39], 0
	s_cbranch_vccnz .LBB1338_299
; %bb.291:
	v_mul_lo_u32 v32, v19, s26
	v_mul_lo_u32 v33, v18, s27
	v_mad_u64_u32 v[30:31], s[18:19], v18, s26, 0
	v_add3_u32 v31, v31, v33, v32
	v_mul_lo_u32 v32, v21, s26
	v_mul_lo_u32 v33, v20, s27
	v_mad_u64_u32 v[34:35], s[18:19], v20, s26, 0
	v_add3_u32 v35, v35, v33, v32
	v_lshl_add_u64 v[32:33], v[30:31], 1, s[28:29]
	v_lshl_add_u64 v[30:31], v[34:35], 1, s[28:29]
	global_load_ushort v34, v[32:33], off
	global_load_ushort v35, v[30:31], off
	s_mov_b64 s[38:39], -1
	s_waitcnt vmcnt(0)
	v_cmp_eq_f16_e32 vcc, v34, v35
	s_and_saveexec_b64 s[18:19], vcc
	s_cbranch_execz .LBB1338_298
; %bb.292:
	s_add_u32 s38, s26, -1
	v_lshl_add_u64 v[30:31], v[30:31], 0, 2
	v_lshl_add_u64 v[32:33], v[32:33], 0, 2
	s_addc_u32 s39, s27, -1
	s_mov_b64 s[40:41], 0
	s_mov_b64 s[44:45], 0
                                        ; implicit-def: $sgpr42_sgpr43
	s_branch .LBB1338_295
.LBB1338_293:                           ;   in Loop: Header=BB1338_295 Depth=1
	global_load_ushort v34, v[32:33], off
	global_load_ushort v35, v[30:31], off
	s_add_u32 s44, s44, 1
	s_addc_u32 s45, s45, 0
	s_andn2_b64 s[42:43], s[42:43], exec
	v_lshl_add_u64 v[30:31], v[30:31], 0, 2
	v_lshl_add_u64 v[32:33], v[32:33], 0, 2
	s_waitcnt vmcnt(0)
	v_cmp_neq_f16_e32 vcc, v34, v35
	s_and_b64 s[46:47], vcc, exec
	s_or_b64 s[42:43], s[42:43], s[46:47]
.LBB1338_294:                           ;   in Loop: Header=BB1338_295 Depth=1
	s_and_b64 s[46:47], exec, s[42:43]
	s_or_b64 s[40:41], s[46:47], s[40:41]
	v_mov_b64_e32 v[34:35], s[44:45]
	s_andn2_b64 exec, exec, s[40:41]
	s_cbranch_execz .LBB1338_297
.LBB1338_295:                           ; =>This Inner Loop Header: Depth=1
	s_or_b64 s[42:43], s[42:43], exec
	s_cmp_eq_u64 s[38:39], s[44:45]
	s_cbranch_scc0 .LBB1338_293
; %bb.296:                              ;   in Loop: Header=BB1338_295 Depth=1
                                        ; implicit-def: $vgpr30_vgpr31
                                        ; implicit-def: $vgpr32_vgpr33
	s_mov_b64 s[44:45], s[26:27]
	s_branch .LBB1338_294
.LBB1338_297:
	s_or_b64 exec, exec, s[40:41]
	v_cmp_gt_i64_e32 vcc, s[26:27], v[34:35]
	s_orn2_b64 s[38:39], vcc, exec
.LBB1338_298:
	s_or_b64 exec, exec, s[18:19]
.LBB1338_299:
	s_and_b64 s[18:19], s[38:39], exec
.LBB1338_300:
	s_or_b64 exec, exec, s[36:37]
	v_cmp_gt_u32_e32 vcc, s3, v38
	s_mov_b64 s[36:37], 0
	s_mov_b64 s[38:39], 0
	s_and_saveexec_b64 s[40:41], vcc
	s_cbranch_execz .LBB1338_311
; %bb.301:
	s_andn2_b64 vcc, exec, s[6:7]
	s_mov_b64 s[42:43], 0
	s_cbranch_vccnz .LBB1338_310
; %bb.302:
	v_mul_lo_u32 v32, v25, s26
	v_mul_lo_u32 v33, v24, s27
	v_mad_u64_u32 v[30:31], s[38:39], v24, s26, 0
	v_add3_u32 v31, v31, v33, v32
	v_mul_lo_u32 v32, v19, s26
	v_mul_lo_u32 v33, v18, s27
	v_mad_u64_u32 v[34:35], s[38:39], v18, s26, 0
	v_add3_u32 v35, v35, v33, v32
	v_lshl_add_u64 v[32:33], v[30:31], 1, s[28:29]
	v_lshl_add_u64 v[30:31], v[34:35], 1, s[28:29]
	global_load_ushort v34, v[32:33], off
	global_load_ushort v35, v[30:31], off
	s_mov_b64 s[42:43], -1
	s_waitcnt vmcnt(0)
	v_cmp_eq_f16_e32 vcc, v34, v35
	s_and_saveexec_b64 s[38:39], vcc
	s_cbranch_execz .LBB1338_309
; %bb.303:
	s_add_u32 s42, s26, -1
	v_lshl_add_u64 v[30:31], v[30:31], 0, 2
	v_lshl_add_u64 v[32:33], v[32:33], 0, 2
	s_addc_u32 s43, s27, -1
	s_mov_b64 s[44:45], 0
	s_mov_b64 s[48:49], 0
                                        ; implicit-def: $sgpr46_sgpr47
	s_branch .LBB1338_306
.LBB1338_304:                           ;   in Loop: Header=BB1338_306 Depth=1
	global_load_ushort v34, v[32:33], off
	global_load_ushort v35, v[30:31], off
	s_add_u32 s48, s48, 1
	s_addc_u32 s49, s49, 0
	s_andn2_b64 s[46:47], s[46:47], exec
	v_lshl_add_u64 v[30:31], v[30:31], 0, 2
	v_lshl_add_u64 v[32:33], v[32:33], 0, 2
	s_waitcnt vmcnt(0)
	v_cmp_neq_f16_e32 vcc, v34, v35
	s_and_b64 s[50:51], vcc, exec
	s_or_b64 s[46:47], s[46:47], s[50:51]
.LBB1338_305:                           ;   in Loop: Header=BB1338_306 Depth=1
	s_and_b64 s[50:51], exec, s[46:47]
	s_or_b64 s[44:45], s[50:51], s[44:45]
	v_mov_b64_e32 v[34:35], s[48:49]
	s_andn2_b64 exec, exec, s[44:45]
	s_cbranch_execz .LBB1338_308
.LBB1338_306:                           ; =>This Inner Loop Header: Depth=1
	s_or_b64 s[46:47], s[46:47], exec
	s_cmp_eq_u64 s[42:43], s[48:49]
	s_cbranch_scc0 .LBB1338_304
; %bb.307:                              ;   in Loop: Header=BB1338_306 Depth=1
                                        ; implicit-def: $vgpr30_vgpr31
                                        ; implicit-def: $vgpr32_vgpr33
	s_mov_b64 s[48:49], s[26:27]
	s_branch .LBB1338_305
.LBB1338_308:
	s_or_b64 exec, exec, s[44:45]
	v_cmp_gt_i64_e32 vcc, s[26:27], v[34:35]
	s_orn2_b64 s[42:43], vcc, exec
.LBB1338_309:
	s_or_b64 exec, exec, s[38:39]
.LBB1338_310:
	s_and_b64 s[38:39], s[42:43], exec
.LBB1338_311:
	s_or_b64 exec, exec, s[40:41]
	v_cmp_gt_u32_e32 vcc, s3, v41
	s_and_saveexec_b64 s[40:41], vcc
	s_cbranch_execz .LBB1338_322
; %bb.312:
	s_andn2_b64 vcc, exec, s[6:7]
	s_mov_b64 s[42:43], 0
	s_cbranch_vccnz .LBB1338_321
; %bb.313:
	v_mul_lo_u32 v32, v23, s26
	v_mul_lo_u32 v33, v22, s27
	v_mad_u64_u32 v[30:31], s[36:37], v22, s26, 0
	v_add3_u32 v31, v31, v33, v32
	v_mul_lo_u32 v32, v25, s26
	v_mul_lo_u32 v33, v24, s27
	v_mad_u64_u32 v[34:35], s[36:37], v24, s26, 0
	v_add3_u32 v35, v35, v33, v32
	v_lshl_add_u64 v[32:33], v[30:31], 1, s[28:29]
	v_lshl_add_u64 v[30:31], v[34:35], 1, s[28:29]
	global_load_ushort v34, v[32:33], off
	global_load_ushort v35, v[30:31], off
	s_mov_b64 s[42:43], -1
	s_waitcnt vmcnt(0)
	v_cmp_eq_f16_e32 vcc, v34, v35
	s_and_saveexec_b64 s[36:37], vcc
	s_cbranch_execz .LBB1338_320
; %bb.314:
	s_add_u32 s42, s26, -1
	v_lshl_add_u64 v[30:31], v[30:31], 0, 2
	v_lshl_add_u64 v[32:33], v[32:33], 0, 2
	s_addc_u32 s43, s27, -1
	s_mov_b64 s[44:45], 0
	s_mov_b64 s[48:49], 0
                                        ; implicit-def: $sgpr46_sgpr47
	s_branch .LBB1338_317
.LBB1338_315:                           ;   in Loop: Header=BB1338_317 Depth=1
	global_load_ushort v34, v[32:33], off
	global_load_ushort v35, v[30:31], off
	s_add_u32 s48, s48, 1
	s_addc_u32 s49, s49, 0
	s_andn2_b64 s[46:47], s[46:47], exec
	v_lshl_add_u64 v[30:31], v[30:31], 0, 2
	v_lshl_add_u64 v[32:33], v[32:33], 0, 2
	s_waitcnt vmcnt(0)
	v_cmp_neq_f16_e32 vcc, v34, v35
	s_and_b64 s[50:51], vcc, exec
	s_or_b64 s[46:47], s[46:47], s[50:51]
.LBB1338_316:                           ;   in Loop: Header=BB1338_317 Depth=1
	s_and_b64 s[50:51], exec, s[46:47]
	s_or_b64 s[44:45], s[50:51], s[44:45]
	v_mov_b64_e32 v[34:35], s[48:49]
	s_andn2_b64 exec, exec, s[44:45]
	s_cbranch_execz .LBB1338_319
.LBB1338_317:                           ; =>This Inner Loop Header: Depth=1
	s_or_b64 s[46:47], s[46:47], exec
	s_cmp_eq_u64 s[42:43], s[48:49]
	s_cbranch_scc0 .LBB1338_315
; %bb.318:                              ;   in Loop: Header=BB1338_317 Depth=1
                                        ; implicit-def: $vgpr30_vgpr31
                                        ; implicit-def: $vgpr32_vgpr33
	s_mov_b64 s[48:49], s[26:27]
	s_branch .LBB1338_316
.LBB1338_319:
	s_or_b64 exec, exec, s[44:45]
	v_cmp_gt_i64_e32 vcc, s[26:27], v[34:35]
	s_orn2_b64 s[42:43], vcc, exec
.LBB1338_320:
	s_or_b64 exec, exec, s[36:37]
.LBB1338_321:
	s_and_b64 s[36:37], s[42:43], exec
.LBB1338_322:
	s_or_b64 exec, exec, s[40:41]
	v_cndmask_b32_e64 v31, 0, 1, s[18:19]
	v_cndmask_b32_e64 v30, 0, 1, s[38:39]
	;; [unrolled: 1-line block ×3, first 2 shown]
	v_lshlrev_b16_e32 v31, 8, v31
	v_cndmask_b32_e64 v46, 0, 1, s[14:15]
	v_cndmask_b32_e64 v32, 0, 1, s[36:37]
	v_or_b32_sdwa v30, v30, v31 dst_sel:WORD_1 dst_unused:UNUSED_PAD src0_sel:DWORD src1_sel:DWORD
	v_lshlrev_b16_e32 v31, 8, v47
	v_lshlrev_b16_e32 v32, 8, v32
	v_or_b32_e32 v31, v46, v31
	v_or_b32_e32 v32, 1, v32
	v_and_b32_e32 v31, 0xffff, v31
	v_cndmask_b32_e64 v48, 0, 1, s[4:5]
	v_or_b32_sdwa v30, v32, v30 dst_sel:DWORD dst_unused:UNUSED_PAD src0_sel:WORD_0 src1_sel:DWORD
	v_lshl_or_b32 v31, v48, 16, v31
	v_cmp_ne_u32_e32 vcc, 0, v0
	s_waitcnt lgkmcnt(0)
	s_barrier
	s_waitcnt lgkmcnt(0)
                                        ; implicit-def: $sgpr18_sgpr19
                                        ; implicit-def: $vgpr34
	s_and_saveexec_b64 s[4:5], vcc
	s_cbranch_execz .LBB1338_335
; %bb.323:
	v_cmp_gt_u32_e32 vcc, s3, v1
	s_mov_b32 s33, 0x3020104
	s_mov_b64 s[14:15], 0
	s_and_saveexec_b64 s[12:13], vcc
	s_cbranch_execz .LBB1338_334
; %bb.324:
	s_andn2_b64 vcc, exec, s[6:7]
	s_cbranch_vccnz .LBB1338_333
; %bb.325:
	v_add_u32_e32 v31, -8, v44
	ds_read_b64 v[32:33], v31
	v_mul_lo_u32 v31, v23, s26
	v_mad_u64_u32 v[36:37], s[6:7], v22, s26, 0
	s_mov_b64 s[14:15], -1
	s_waitcnt lgkmcnt(0)
	v_mul_lo_u32 v34, v33, s26
	v_mul_lo_u32 v35, v32, s27
	v_mad_u64_u32 v[32:33], s[6:7], v32, s26, 0
	v_add3_u32 v33, v33, v35, v34
	v_mul_lo_u32 v34, v22, s27
	v_add3_u32 v37, v37, v34, v31
	v_lshl_add_u64 v[34:35], v[32:33], 1, s[28:29]
	v_lshl_add_u64 v[32:33], v[36:37], 1, s[28:29]
	global_load_ushort v31, v[34:35], off
	global_load_ushort v36, v[32:33], off
	s_waitcnt vmcnt(0)
	v_cmp_eq_f16_e32 vcc, v31, v36
	s_and_saveexec_b64 s[6:7], vcc
	s_cbranch_execz .LBB1338_332
; %bb.326:
	s_add_u32 s14, s26, -1
	v_lshl_add_u64 v[32:33], v[32:33], 0, 2
	v_lshl_add_u64 v[34:35], v[34:35], 0, 2
	s_addc_u32 s15, s27, -1
	s_mov_b64 s[18:19], 0
	s_mov_b64 s[36:37], 0
                                        ; implicit-def: $sgpr28_sgpr29
	s_branch .LBB1338_329
.LBB1338_327:                           ;   in Loop: Header=BB1338_329 Depth=1
	global_load_ushort v31, v[34:35], off
	global_load_ushort v36, v[32:33], off
	s_add_u32 s36, s36, 1
	s_addc_u32 s37, s37, 0
	s_andn2_b64 s[28:29], s[28:29], exec
	v_lshl_add_u64 v[32:33], v[32:33], 0, 2
	v_lshl_add_u64 v[34:35], v[34:35], 0, 2
	s_waitcnt vmcnt(0)
	v_cmp_neq_f16_e32 vcc, v31, v36
	s_and_b64 s[38:39], vcc, exec
	s_or_b64 s[28:29], s[28:29], s[38:39]
.LBB1338_328:                           ;   in Loop: Header=BB1338_329 Depth=1
	s_and_b64 s[38:39], exec, s[28:29]
	s_or_b64 s[18:19], s[38:39], s[18:19]
	v_mov_b64_e32 v[36:37], s[36:37]
	s_andn2_b64 exec, exec, s[18:19]
	s_cbranch_execz .LBB1338_331
.LBB1338_329:                           ; =>This Inner Loop Header: Depth=1
	s_or_b64 s[28:29], s[28:29], exec
	s_cmp_eq_u64 s[14:15], s[36:37]
	s_cbranch_scc0 .LBB1338_327
; %bb.330:                              ;   in Loop: Header=BB1338_329 Depth=1
                                        ; implicit-def: $vgpr32_vgpr33
                                        ; implicit-def: $vgpr34_vgpr35
	s_mov_b64 s[36:37], s[26:27]
	s_branch .LBB1338_328
.LBB1338_331:
	s_or_b64 exec, exec, s[18:19]
	v_cmp_gt_i64_e32 vcc, s[26:27], v[36:37]
	s_orn2_b64 s[14:15], vcc, exec
.LBB1338_332:
	s_or_b64 exec, exec, s[6:7]
.LBB1338_333:
	s_and_b64 s[14:15], s[14:15], exec
.LBB1338_334:
	s_or_b64 exec, exec, s[12:13]
	v_perm_b32 v34, v30, v30, s33
	s_and_b64 s[18:19], s[14:15], exec
	s_or_b64 s[10:11], s[10:11], exec
                                        ; implicit-def: $vgpr30_vgpr31
.LBB1338_335:
	s_or_b64 exec, exec, s[4:5]
.LBB1338_336:
	s_and_saveexec_b64 s[4:5], s[10:11]
	s_cbranch_execz .LBB1338_338
; %bb.337:
	s_waitcnt lgkmcnt(0)
	v_lshlrev_b16_e32 v31, 8, v47
	v_and_b32_e32 v32, 0xff, v48
	v_or_b32_sdwa v31, v46, v31 dst_sel:DWORD dst_unused:UNUSED_PAD src0_sel:BYTE_0 src1_sel:DWORD
	v_lshlrev_b32_e32 v32, 16, v32
	s_movk_i32 s6, 0xff
	v_or_b32_sdwa v31, v31, v32 dst_sel:DWORD dst_unused:UNUSED_PAD src0_sel:WORD_0 src1_sel:DWORD
	v_lshrrev_b32_e32 v32, 24, v34
	v_lshlrev_b16_e32 v32, 8, v32
	v_and_b32_sdwa v33, v34, s6 dst_sel:DWORD dst_unused:UNUSED_PAD src0_sel:WORD_1 src1_sel:DWORD
	v_or_b32_sdwa v32, v33, v32 dst_sel:WORD_1 dst_unused:UNUSED_PAD src0_sel:DWORD src1_sel:DWORD
	v_mov_b32_e32 v33, 8
	v_cndmask_b32_e64 v30, 0, 1, s[18:19]
	v_lshrrev_b32_sdwa v33, v33, v34 dst_sel:BYTE_1 dst_unused:UNUSED_PAD src0_sel:DWORD src1_sel:DWORD
	s_nop 0
	v_or_b32_e32 v30, v30, v33
	v_or_b32_sdwa v30, v30, v32 dst_sel:DWORD dst_unused:UNUSED_PAD src0_sel:WORD_0 src1_sel:DWORD
.LBB1338_338:
	s_or_b64 exec, exec, s[4:5]
	s_andn2_b64 vcc, exec, s[8:9]
	s_cbranch_vccnz .LBB1338_340
; %bb.339:
	s_waitcnt lgkmcnt(0)
	v_and_b32_e32 v32, 0xffff0000, v30
	v_cmp_gt_u32_e32 vcc, s3, v1
	s_mov_b32 s4, 0x40c0100
	s_nop 0
	v_cndmask_b32_e32 v1, v32, v30, vcc
	v_and_b32_e32 v1, 0xffff00ff, v1
	v_cmp_gt_u32_e32 vcc, s3, v41
	s_nop 1
	v_cndmask_b32_e32 v1, v1, v30, vcc
	v_lshrrev_b32_e32 v32, 24, v1
	v_perm_b32 v1, v32, v1, s4
	v_cmp_gt_u32_e32 vcc, s3, v38
	v_and_b32_e32 v32, 0xffffff00, v31
	s_nop 0
	v_cndmask_b32_e32 v1, v1, v30, vcc
	v_and_b32_e32 v1, 0xffffff, v1
	v_cmp_gt_u32_e32 vcc, s3, v42
	s_nop 1
	v_cndmask_b32_e32 v1, v1, v30, vcc
	v_cmp_gt_u32_e32 vcc, s3, v39
	s_nop 1
	v_cndmask_b32_e32 v32, v32, v31, vcc
	v_and_b32_e32 v32, 0xffff00ff, v32
	v_cndmask_b32_e32 v1, v1, v30, vcc
	v_cmp_gt_u32_e32 vcc, s3, v43
	s_nop 1
	v_cndmask_b32_e32 v32, v32, v31, vcc
	v_lshrrev_b32_e32 v33, 24, v32
	v_cndmask_b32_e32 v1, v1, v30, vcc
	v_perm_b32 v32, v33, v32, s4
	v_cmp_gt_u32_e32 vcc, s3, v40
	s_mov_b32 s3, 0x3020104
	s_nop 0
	v_cndmask_b32_e32 v1, v1, v30, vcc
	v_cndmask_b32_e32 v30, v32, v31, vcc
	v_mov_b32_e32 v31, 8
	v_lshrrev_b32_sdwa v31, v31, v30 dst_sel:BYTE_1 dst_unused:UNUSED_PAD src0_sel:DWORD src1_sel:DWORD
	s_nop 0
	v_or_b32_sdwa v31, v30, v31 dst_sel:DWORD dst_unused:UNUSED_PAD src0_sel:BYTE_0 src1_sel:DWORD
	v_and_b32_e32 v31, 0xffff, v31
	v_bfe_u32 v30, v30, 16, 8
	v_lshl_or_b32 v31, v30, 16, v31
	v_perm_b32 v30, v1, v1, s3
.LBB1338_340:
	s_waitcnt lgkmcnt(0)
	v_and_b32_e32 v1, 0xff, v30
	v_bfe_u32 v43, v30, 8, 8
	v_bfe_u32 v45, v30, 16, 8
	v_alignbit_b32 v32, v31, v30, 24
	v_and_b32_e32 v47, 0xff, v32
	v_and_b32_e32 v48, 0xff, v31
	v_add3_u32 v33, v43, v1, v45
	v_bfe_u32 v49, v31, 8, 8
	v_bfe_u32 v32, v31, 16, 8
	v_add3_u32 v33, v33, v47, v48
	v_add3_u32 v52, v33, v49, v32
	v_mbcnt_lo_u32_b32 v32, -1, 0
	v_mbcnt_hi_u32_b32 v50, -1, v32
	v_and_b32_e32 v32, 15, v50
	v_cmp_eq_u32_e64 s[14:15], 0, v32
	v_cmp_lt_u32_e64 s[12:13], 1, v32
	v_cmp_lt_u32_e64 s[10:11], 3, v32
	;; [unrolled: 1-line block ×3, first 2 shown]
	v_and_b32_e32 v32, 16, v50
	v_cmp_eq_u32_e64 s[6:7], 0, v32
	v_or_b32_e32 v32, 63, v0
	v_cmp_lt_u32_e64 s[18:19], 31, v50
	v_lshrrev_b32_e32 v51, 6, v0
	v_cmp_eq_u32_e64 s[4:5], v32, v0
	s_and_b64 vcc, exec, s[16:17]
	s_barrier
	s_cbranch_vccz .LBB1338_367
; %bb.341:
	v_mov_b32_dpp v32, v52 row_shr:1 row_mask:0xf bank_mask:0xf
	v_cndmask_b32_e64 v32, v32, 0, s[14:15]
	v_add_u32_e32 v32, v32, v52
	s_nop 1
	v_mov_b32_dpp v33, v32 row_shr:2 row_mask:0xf bank_mask:0xf
	v_cndmask_b32_e64 v33, 0, v33, s[12:13]
	v_add_u32_e32 v32, v32, v33
	s_nop 1
	;; [unrolled: 4-line block ×4, first 2 shown]
	v_mov_b32_dpp v33, v32 row_bcast:15 row_mask:0xf bank_mask:0xf
	v_cndmask_b32_e64 v33, v33, 0, s[6:7]
	v_add_u32_e32 v32, v32, v33
	s_nop 1
	v_mov_b32_dpp v33, v32 row_bcast:31 row_mask:0xf bank_mask:0xf
	v_cndmask_b32_e64 v33, 0, v33, s[18:19]
	v_add_u32_e32 v32, v32, v33
	s_and_saveexec_b64 s[16:17], s[4:5]
	s_cbranch_execz .LBB1338_343
; %bb.342:
	v_lshlrev_b32_e32 v33, 2, v51
	ds_write_b32 v33, v32
.LBB1338_343:
	s_or_b64 exec, exec, s[16:17]
	v_cmp_gt_u32_e32 vcc, 8, v0
	s_waitcnt lgkmcnt(0)
	s_barrier
	s_and_saveexec_b64 s[16:17], vcc
	s_cbranch_execz .LBB1338_345
; %bb.344:
	v_lshlrev_b32_e32 v33, 2, v0
	ds_read_b32 v34, v33
	v_and_b32_e32 v35, 7, v50
	v_cmp_ne_u32_e32 vcc, 0, v35
	s_waitcnt lgkmcnt(0)
	v_mov_b32_dpp v36, v34 row_shr:1 row_mask:0xf bank_mask:0xf
	v_cndmask_b32_e32 v36, 0, v36, vcc
	v_add_u32_e32 v34, v36, v34
	v_cmp_lt_u32_e32 vcc, 1, v35
	s_nop 0
	v_mov_b32_dpp v36, v34 row_shr:2 row_mask:0xf bank_mask:0xf
	v_cndmask_b32_e32 v36, 0, v36, vcc
	v_add_u32_e32 v34, v34, v36
	v_cmp_lt_u32_e32 vcc, 3, v35
	s_nop 0
	v_mov_b32_dpp v36, v34 row_shr:4 row_mask:0xf bank_mask:0xf
	v_cndmask_b32_e32 v35, 0, v36, vcc
	v_add_u32_e32 v34, v34, v35
	ds_write_b32 v33, v34
.LBB1338_345:
	s_or_b64 exec, exec, s[16:17]
	v_cmp_gt_u32_e32 vcc, 64, v0
	v_cmp_lt_u32_e64 s[16:17], 63, v0
	s_waitcnt lgkmcnt(0)
	s_barrier
	s_waitcnt lgkmcnt(0)
                                        ; implicit-def: $vgpr42
	s_and_saveexec_b64 s[26:27], s[16:17]
	s_cbranch_execz .LBB1338_347
; %bb.346:
	v_lshl_add_u32 v33, v51, 2, -4
	ds_read_b32 v42, v33
	s_waitcnt lgkmcnt(0)
	v_add_u32_e32 v32, v42, v32
.LBB1338_347:
	s_or_b64 exec, exec, s[26:27]
	v_add_u32_e32 v33, -1, v50
	v_and_b32_e32 v34, 64, v50
	v_cmp_lt_i32_e64 s[16:17], v33, v34
	s_nop 1
	v_cndmask_b32_e64 v33, v33, v50, s[16:17]
	v_lshlrev_b32_e32 v33, 2, v33
	ds_bpermute_b32 v44, v33, v32
	v_cmp_eq_u32_e64 s[16:17], 0, v50
	s_and_saveexec_b64 s[26:27], vcc
	s_cbranch_execz .LBB1338_366
; %bb.348:
	v_mov_b32_e32 v39, 0
	ds_read_b32 v32, v39 offset:28
	s_and_saveexec_b64 s[28:29], s[16:17]
	s_cbranch_execz .LBB1338_350
; %bb.349:
	s_add_i32 s36, s2, 64
	s_mov_b32 s37, 0
	s_lshl_b64 s[36:37], s[36:37], 3
	s_add_u32 s36, s30, s36
	v_mov_b32_e32 v33, 1
	s_addc_u32 s37, s31, s37
	s_waitcnt lgkmcnt(0)
	global_store_dwordx2 v39, v[32:33], s[36:37] sc1
.LBB1338_350:
	s_or_b64 exec, exec, s[28:29]
	v_xad_u32 v34, v50, -1, s2
	v_add_u32_e32 v38, 64, v34
	v_lshl_add_u64 v[40:41], v[38:39], 3, s[30:31]
	global_load_dwordx2 v[36:37], v[40:41], off sc1
	s_waitcnt vmcnt(0)
	v_cmp_eq_u16_sdwa s[36:37], v37, v39 src0_sel:BYTE_0 src1_sel:DWORD
	s_and_saveexec_b64 s[28:29], s[36:37]
	s_cbranch_execz .LBB1338_354
; %bb.351:
	s_mov_b64 s[36:37], 0
	v_mov_b32_e32 v33, 0
.LBB1338_352:                           ; =>This Inner Loop Header: Depth=1
	global_load_dwordx2 v[36:37], v[40:41], off sc1
	s_waitcnt vmcnt(0)
	v_cmp_ne_u16_sdwa s[38:39], v37, v33 src0_sel:BYTE_0 src1_sel:DWORD
	s_or_b64 s[36:37], s[38:39], s[36:37]
	s_andn2_b64 exec, exec, s[36:37]
	s_cbranch_execnz .LBB1338_352
; %bb.353:
	s_or_b64 exec, exec, s[36:37]
.LBB1338_354:
	s_or_b64 exec, exec, s[28:29]
	v_and_b32_e32 v46, 63, v50
	v_mov_b32_e32 v33, 2
	v_cmp_ne_u32_e32 vcc, 63, v46
	v_cmp_eq_u16_sdwa s[28:29], v37, v33 src0_sel:BYTE_0 src1_sel:DWORD
	v_lshlrev_b64 v[38:39], v50, -1
	v_addc_co_u32_e32 v41, vcc, 0, v50, vcc
	v_and_b32_e32 v35, s29, v39
	v_lshlrev_b32_e32 v53, 2, v41
	v_or_b32_e32 v35, 0x80000000, v35
	ds_bpermute_b32 v41, v53, v36
	v_and_b32_e32 v40, s28, v38
	v_ffbl_b32_e32 v35, v35
	v_add_u32_e32 v35, 32, v35
	v_ffbl_b32_e32 v40, v40
	v_min_u32_e32 v35, v40, v35
	v_cmp_lt_u32_e32 vcc, v46, v35
	v_add_u32_e32 v55, 2, v46
	v_add_u32_e32 v57, 4, v46
	s_waitcnt lgkmcnt(0)
	v_cndmask_b32_e32 v40, 0, v41, vcc
	v_cmp_gt_u32_e32 vcc, 62, v46
	v_add_u32_e32 v36, v40, v36
	v_add_u32_e32 v59, 8, v46
	v_cndmask_b32_e64 v40, 0, 1, vcc
	v_lshlrev_b32_e32 v40, 1, v40
	v_add_lshl_u32 v54, v40, v50, 2
	ds_bpermute_b32 v40, v54, v36
	v_cmp_le_u32_e32 vcc, v55, v35
	v_add_u32_e32 v62, 16, v46
	v_add_u32_e32 v64, 32, v46
	s_waitcnt lgkmcnt(0)
	v_cndmask_b32_e32 v40, 0, v40, vcc
	v_cmp_gt_u32_e32 vcc, 60, v46
	v_add_u32_e32 v36, v36, v40
	s_nop 0
	v_cndmask_b32_e64 v40, 0, 1, vcc
	v_lshlrev_b32_e32 v40, 2, v40
	v_add_lshl_u32 v56, v40, v50, 2
	ds_bpermute_b32 v40, v56, v36
	v_cmp_le_u32_e32 vcc, v57, v35
	s_waitcnt lgkmcnt(0)
	s_nop 0
	v_cndmask_b32_e32 v40, 0, v40, vcc
	v_cmp_gt_u32_e32 vcc, 56, v46
	v_add_u32_e32 v36, v36, v40
	s_nop 0
	v_cndmask_b32_e64 v40, 0, 1, vcc
	v_lshlrev_b32_e32 v40, 3, v40
	v_add_lshl_u32 v58, v40, v50, 2
	ds_bpermute_b32 v40, v58, v36
	v_cmp_le_u32_e32 vcc, v59, v35
	s_waitcnt lgkmcnt(0)
	s_nop 0
	;; [unrolled: 11-line block ×4, first 2 shown]
	v_cndmask_b32_e32 v35, 0, v40, vcc
	v_add_u32_e32 v36, v36, v35
	v_mov_b32_e32 v35, 0
	s_branch .LBB1338_356
.LBB1338_355:                           ;   in Loop: Header=BB1338_356 Depth=1
	s_or_b64 exec, exec, s[28:29]
	v_cmp_eq_u16_sdwa s[28:29], v37, v33 src0_sel:BYTE_0 src1_sel:DWORD
	ds_bpermute_b32 v65, v53, v36
	v_subrev_u32_e32 v34, 64, v34
	v_and_b32_e32 v40, s29, v39
	v_or_b32_e32 v40, 0x80000000, v40
	v_and_b32_e32 v41, s28, v38
	v_ffbl_b32_e32 v40, v40
	v_add_u32_e32 v40, 32, v40
	v_ffbl_b32_e32 v41, v41
	v_min_u32_e32 v40, v41, v40
	v_cmp_lt_u32_e32 vcc, v46, v40
	s_waitcnt lgkmcnt(0)
	s_nop 0
	v_cndmask_b32_e32 v41, 0, v65, vcc
	v_add_u32_e32 v36, v41, v36
	ds_bpermute_b32 v41, v54, v36
	v_cmp_le_u32_e32 vcc, v55, v40
	s_waitcnt lgkmcnt(0)
	s_nop 0
	v_cndmask_b32_e32 v41, 0, v41, vcc
	v_add_u32_e32 v36, v36, v41
	ds_bpermute_b32 v41, v56, v36
	v_cmp_le_u32_e32 vcc, v57, v40
	;; [unrolled: 6-line block ×5, first 2 shown]
	s_waitcnt lgkmcnt(0)
	s_nop 0
	v_cndmask_b32_e32 v40, 0, v41, vcc
	v_add3_u32 v36, v40, v60, v36
.LBB1338_356:                           ; =>This Loop Header: Depth=1
                                        ;     Child Loop BB1338_359 Depth 2
	v_cmp_ne_u16_sdwa s[28:29], v37, v33 src0_sel:BYTE_0 src1_sel:DWORD
	v_mov_b32_e32 v60, v36
	s_nop 0
	v_cndmask_b32_e64 v37, 0, 1, s[28:29]
	;;#ASMSTART
	;;#ASMEND
	s_nop 0
	v_cmp_ne_u32_e32 vcc, 0, v37
	s_cmp_lg_u64 vcc, exec
	s_cbranch_scc1 .LBB1338_361
; %bb.357:                              ;   in Loop: Header=BB1338_356 Depth=1
	v_lshl_add_u64 v[40:41], v[34:35], 3, s[30:31]
	global_load_dwordx2 v[36:37], v[40:41], off sc1
	s_waitcnt vmcnt(0)
	v_cmp_eq_u16_sdwa s[36:37], v37, v35 src0_sel:BYTE_0 src1_sel:DWORD
	s_and_saveexec_b64 s[28:29], s[36:37]
	s_cbranch_execz .LBB1338_355
; %bb.358:                              ;   in Loop: Header=BB1338_356 Depth=1
	s_mov_b64 s[36:37], 0
.LBB1338_359:                           ;   Parent Loop BB1338_356 Depth=1
                                        ; =>  This Inner Loop Header: Depth=2
	global_load_dwordx2 v[36:37], v[40:41], off sc1
	s_waitcnt vmcnt(0)
	v_cmp_ne_u16_sdwa s[38:39], v37, v35 src0_sel:BYTE_0 src1_sel:DWORD
	s_or_b64 s[36:37], s[38:39], s[36:37]
	s_andn2_b64 exec, exec, s[36:37]
	s_cbranch_execnz .LBB1338_359
; %bb.360:                              ;   in Loop: Header=BB1338_356 Depth=1
	s_or_b64 exec, exec, s[36:37]
	s_branch .LBB1338_355
.LBB1338_361:                           ;   in Loop: Header=BB1338_356 Depth=1
                                        ; implicit-def: $vgpr36
                                        ; implicit-def: $vgpr37
	s_cbranch_execz .LBB1338_356
; %bb.362:
	s_and_saveexec_b64 s[28:29], s[16:17]
	s_cbranch_execz .LBB1338_364
; %bb.363:
	s_add_i32 s2, s2, 64
	s_mov_b32 s3, 0
	s_lshl_b64 s[2:3], s[2:3], 3
	s_add_u32 s2, s30, s2
	v_add_u32_e32 v34, v60, v32
	v_mov_b32_e32 v35, 2
	s_addc_u32 s3, s31, s3
	v_mov_b32_e32 v33, 0
	global_store_dwordx2 v33, v[34:35], s[2:3] sc1
	s_movk_i32 s2, 0x7000
	v_add_u32_e64 v33, s2, 0
	ds_write2_b32 v33, v32, v60 offset1:2
.LBB1338_364:
	s_or_b64 exec, exec, s[28:29]
	v_cmp_eq_u32_e32 vcc, 0, v0
	s_and_b64 exec, exec, vcc
	s_cbranch_execz .LBB1338_366
; %bb.365:
	v_mov_b32_e32 v32, 0
	ds_write_b32 v32, v60 offset:28
.LBB1338_366:
	s_or_b64 exec, exec, s[26:27]
	v_mov_b32_e32 v32, 0
	s_waitcnt lgkmcnt(0)
	s_barrier
	ds_read_b32 v32, v32 offset:28
	v_cndmask_b32_e64 v33, v44, v42, s[16:17]
	v_cmp_ne_u32_e32 vcc, 0, v0
	s_movk_i32 s2, 0x7000
	s_waitcnt lgkmcnt(0)
	v_cndmask_b32_e32 v33, 0, v33, vcc
	v_add_u32_e32 v46, v32, v33
	v_add_u32_e64 v32, s2, 0
	v_add_u32_e32 v44, v46, v1
	s_barrier
	ds_read2_b32 v[32:33], v32 offset1:2
	v_add_u32_e32 v42, v44, v43
	v_add_u32_e32 v40, v42, v45
	;; [unrolled: 1-line block ×5, first 2 shown]
	s_waitcnt lgkmcnt(0)
	v_readfirstlane_b32 s26, v32
	v_readfirstlane_b32 s16, v33
	v_lshrrev_b64 v[32:33], 24, v[30:31]
	s_branch .LBB1338_377
.LBB1338_367:
                                        ; implicit-def: $vgpr34
                                        ; implicit-def: $vgpr36
                                        ; implicit-def: $vgpr38
                                        ; implicit-def: $vgpr40
                                        ; implicit-def: $vgpr42
                                        ; implicit-def: $vgpr44
                                        ; implicit-def: $vgpr46
                                        ; implicit-def: $sgpr16
                                        ; implicit-def: $sgpr26
	v_lshrrev_b64 v[32:33], 24, v[30:31]
	s_cbranch_execz .LBB1338_377
; %bb.368:
	s_nop 0
	v_mov_b32_dpp v33, v52 row_shr:1 row_mask:0xf bank_mask:0xf
	v_cndmask_b32_e64 v33, v33, 0, s[14:15]
	v_add_u32_e32 v33, v33, v52
	s_nop 1
	v_mov_b32_dpp v34, v33 row_shr:2 row_mask:0xf bank_mask:0xf
	v_cndmask_b32_e64 v34, 0, v34, s[12:13]
	v_add_u32_e32 v33, v33, v34
	;; [unrolled: 4-line block ×4, first 2 shown]
	s_nop 1
	v_mov_b32_dpp v34, v33 row_bcast:15 row_mask:0xf bank_mask:0xf
	v_cndmask_b32_e64 v34, v34, 0, s[6:7]
	v_add_u32_e32 v33, v33, v34
	s_nop 1
	v_mov_b32_dpp v34, v33 row_bcast:31 row_mask:0xf bank_mask:0xf
	v_cndmask_b32_e64 v34, 0, v34, s[18:19]
	v_add_u32_e32 v33, v33, v34
	s_and_saveexec_b64 s[2:3], s[4:5]
	s_cbranch_execz .LBB1338_370
; %bb.369:
	v_lshlrev_b32_e32 v34, 2, v51
	ds_write_b32 v34, v33
.LBB1338_370:
	s_or_b64 exec, exec, s[2:3]
	v_cmp_gt_u32_e32 vcc, 8, v0
	s_waitcnt lgkmcnt(0)
	s_barrier
	s_and_saveexec_b64 s[2:3], vcc
	s_cbranch_execz .LBB1338_372
; %bb.371:
	v_lshlrev_b32_e32 v34, 2, v0
	ds_read_b32 v35, v34
	v_and_b32_e32 v36, 7, v50
	v_cmp_ne_u32_e32 vcc, 0, v36
	s_waitcnt lgkmcnt(0)
	v_mov_b32_dpp v37, v35 row_shr:1 row_mask:0xf bank_mask:0xf
	v_cndmask_b32_e32 v37, 0, v37, vcc
	v_add_u32_e32 v35, v37, v35
	v_cmp_lt_u32_e32 vcc, 1, v36
	s_nop 0
	v_mov_b32_dpp v37, v35 row_shr:2 row_mask:0xf bank_mask:0xf
	v_cndmask_b32_e32 v37, 0, v37, vcc
	v_add_u32_e32 v35, v35, v37
	v_cmp_lt_u32_e32 vcc, 3, v36
	s_nop 0
	v_mov_b32_dpp v37, v35 row_shr:4 row_mask:0xf bank_mask:0xf
	v_cndmask_b32_e32 v36, 0, v37, vcc
	v_add_u32_e32 v35, v35, v36
	ds_write_b32 v34, v35
.LBB1338_372:
	s_or_b64 exec, exec, s[2:3]
	v_cmp_lt_u32_e32 vcc, 63, v0
	v_mov_b32_e32 v35, 0
	v_mov_b32_e32 v34, 0
	s_waitcnt lgkmcnt(0)
	s_barrier
	s_and_saveexec_b64 s[2:3], vcc
	s_cbranch_execz .LBB1338_374
; %bb.373:
	v_lshl_add_u32 v34, v51, 2, -4
	ds_read_b32 v34, v34
.LBB1338_374:
	s_or_b64 exec, exec, s[2:3]
	v_add_u32_e32 v36, -1, v50
	v_and_b32_e32 v37, 64, v50
	v_cmp_lt_i32_e32 vcc, v36, v37
	s_waitcnt lgkmcnt(0)
	v_add_u32_e32 v33, v34, v33
	ds_read_b32 v35, v35 offset:28
	v_cndmask_b32_e32 v36, v36, v50, vcc
	v_lshlrev_b32_e32 v36, 2, v36
	ds_bpermute_b32 v33, v36, v33
	s_mov_b32 s16, 0
	v_cmp_eq_u32_e32 vcc, 0, v0
	s_waitcnt lgkmcnt(1)
	v_readfirstlane_b32 s26, v35
	s_and_saveexec_b64 s[2:3], vcc
	s_cbranch_execz .LBB1338_376
; %bb.375:
	v_mov_b32_e32 v35, 0
	v_mov_b32_e32 v36, s26
	;; [unrolled: 1-line block ×3, first 2 shown]
	global_store_dwordx2 v35, v[36:37], s[30:31] offset:512 sc1
.LBB1338_376:
	s_or_b64 exec, exec, s[2:3]
	v_cmp_eq_u32_e64 s[2:3], 0, v50
	s_waitcnt lgkmcnt(0)
	s_barrier
	v_cndmask_b32_e64 v33, v33, v34, s[2:3]
	v_cndmask_b32_e64 v46, v33, 0, vcc
	v_add_u32_e32 v44, v46, v1
	v_add_u32_e32 v42, v44, v43
	;; [unrolled: 1-line block ×6, first 2 shown]
.LBB1338_377:
	s_load_dwordx4 s[4:7], s[0:1], 0x28
	s_cmpk_lt_u32 s26, 0x201
	s_cselect_b64 s[2:3], -1, 0
	v_lshrrev_b32_e32 v33, 8, v30
	v_lshrrev_b32_e32 v1, 8, v31
	s_mov_b64 s[0:1], -1
	s_and_b64 vcc, exec, s[2:3]
	s_cbranch_vccz .LBB1338_400
; %bb.378:
	s_add_i32 s8, s16, s26
	v_cmp_gt_u32_e32 vcc, s8, v46
	s_or_b64 s[10:11], s[34:35], vcc
	s_and_saveexec_b64 s[0:1], s[10:11]
	s_cbranch_execz .LBB1338_381
; %bb.379:
	v_and_b32_e32 v35, 1, v30
	v_cmp_eq_u32_e32 vcc, 1, v35
	s_and_b64 exec, exec, vcc
	s_cbranch_execz .LBB1338_381
; %bb.380:
	s_lshl_b64 s[10:11], s[22:23], 3
	s_waitcnt lgkmcnt(0)
	s_add_u32 s10, s4, s10
	s_addc_u32 s11, s5, s11
	v_mov_b32_e32 v47, 0
	v_lshl_add_u64 v[48:49], v[46:47], 3, s[10:11]
	global_store_dwordx2 v[48:49], v[22:23], off
.LBB1338_381:
	s_or_b64 exec, exec, s[0:1]
	v_cmp_gt_u32_e32 vcc, s8, v44
	s_or_b64 s[10:11], s[34:35], vcc
	s_and_saveexec_b64 s[0:1], s[10:11]
	s_cbranch_execz .LBB1338_384
; %bb.382:
	v_and_b32_e32 v35, 1, v33
	v_cmp_eq_u32_e32 vcc, 1, v35
	s_and_b64 exec, exec, vcc
	s_cbranch_execz .LBB1338_384
; %bb.383:
	s_lshl_b64 s[10:11], s[22:23], 3
	s_waitcnt lgkmcnt(0)
	s_add_u32 s10, s4, s10
	s_addc_u32 s11, s5, s11
	v_mov_b32_e32 v45, 0
	v_lshl_add_u64 v[48:49], v[44:45], 3, s[10:11]
	global_store_dwordx2 v[48:49], v[24:25], off
.LBB1338_384:
	s_or_b64 exec, exec, s[0:1]
	v_cmp_gt_u32_e32 vcc, s8, v42
	s_or_b64 s[10:11], s[34:35], vcc
	s_and_saveexec_b64 s[0:1], s[10:11]
	s_cbranch_execz .LBB1338_387
; %bb.385:
	v_mov_b32_e32 v35, 1
	v_and_b32_sdwa v35, v35, v30 dst_sel:DWORD dst_unused:UNUSED_PAD src0_sel:DWORD src1_sel:WORD_1
	v_cmp_eq_u32_e32 vcc, 1, v35
	s_and_b64 exec, exec, vcc
	s_cbranch_execz .LBB1338_387
; %bb.386:
	s_lshl_b64 s[10:11], s[22:23], 3
	s_waitcnt lgkmcnt(0)
	s_add_u32 s10, s4, s10
	s_addc_u32 s11, s5, s11
	v_mov_b32_e32 v43, 0
	v_lshl_add_u64 v[48:49], v[42:43], 3, s[10:11]
	global_store_dwordx2 v[48:49], v[18:19], off
.LBB1338_387:
	s_or_b64 exec, exec, s[0:1]
	v_cmp_gt_u32_e32 vcc, s8, v40
	s_or_b64 s[10:11], s[34:35], vcc
	s_and_saveexec_b64 s[0:1], s[10:11]
	s_cbranch_execz .LBB1338_390
; %bb.388:
	v_and_b32_e32 v35, 1, v32
	v_cmp_eq_u32_e32 vcc, 1, v35
	s_and_b64 exec, exec, vcc
	s_cbranch_execz .LBB1338_390
; %bb.389:
	s_lshl_b64 s[10:11], s[22:23], 3
	s_waitcnt lgkmcnt(0)
	s_add_u32 s10, s4, s10
	s_addc_u32 s11, s5, s11
	v_mov_b32_e32 v41, 0
	v_lshl_add_u64 v[48:49], v[40:41], 3, s[10:11]
	global_store_dwordx2 v[48:49], v[20:21], off
.LBB1338_390:
	s_or_b64 exec, exec, s[0:1]
	v_cmp_gt_u32_e32 vcc, s8, v38
	s_or_b64 s[10:11], s[34:35], vcc
	s_and_saveexec_b64 s[0:1], s[10:11]
	s_cbranch_execz .LBB1338_393
; %bb.391:
	v_and_b32_e32 v35, 1, v31
	v_cmp_eq_u32_e32 vcc, 1, v35
	s_and_b64 exec, exec, vcc
	s_cbranch_execz .LBB1338_393
; %bb.392:
	s_lshl_b64 s[10:11], s[22:23], 3
	s_waitcnt lgkmcnt(0)
	s_add_u32 s10, s4, s10
	s_addc_u32 s11, s5, s11
	v_mov_b32_e32 v39, 0
	v_lshl_add_u64 v[48:49], v[38:39], 3, s[10:11]
	global_store_dwordx2 v[48:49], v[14:15], off
.LBB1338_393:
	;; [unrolled: 19-line block ×3, first 2 shown]
	s_or_b64 exec, exec, s[0:1]
	v_cmp_gt_u32_e32 vcc, s8, v34
	s_or_b64 s[8:9], s[34:35], vcc
	s_and_saveexec_b64 s[0:1], s[8:9]
	s_cbranch_execz .LBB1338_399
; %bb.397:
	v_mov_b32_e32 v35, 1
	v_and_b32_sdwa v35, v35, v31 dst_sel:DWORD dst_unused:UNUSED_PAD src0_sel:DWORD src1_sel:WORD_1
	v_cmp_eq_u32_e32 vcc, 1, v35
	s_and_b64 exec, exec, vcc
	s_cbranch_execz .LBB1338_399
; %bb.398:
	s_lshl_b64 s[8:9], s[22:23], 3
	s_waitcnt lgkmcnt(0)
	s_add_u32 s8, s4, s8
	s_addc_u32 s9, s5, s9
	v_mov_b32_e32 v35, 0
	v_lshl_add_u64 v[48:49], v[34:35], 3, s[8:9]
	global_store_dwordx2 v[48:49], v[28:29], off
.LBB1338_399:
	s_or_b64 exec, exec, s[0:1]
	s_mov_b64 s[0:1], 0
.LBB1338_400:
	v_and_b32_e32 v48, 1, v30
	s_and_b64 vcc, exec, s[0:1]
	v_cmp_eq_u32_e64 s[0:1], 1, v48
	s_cbranch_vccz .LBB1338_419
; %bb.401:
	s_and_saveexec_b64 s[8:9], s[0:1]
	s_cbranch_execz .LBB1338_403
; %bb.402:
	v_subrev_u32_e32 v35, s16, v46
	v_lshlrev_b32_e32 v35, 3, v35
	ds_write_b64 v35, v[22:23]
.LBB1338_403:
	s_or_b64 exec, exec, s[8:9]
	v_and_b32_e32 v22, 1, v33
	v_cmp_eq_u32_e32 vcc, 1, v22
	s_and_saveexec_b64 s[0:1], vcc
	s_cbranch_execz .LBB1338_405
; %bb.404:
	v_subrev_u32_e32 v22, s16, v44
	v_lshlrev_b32_e32 v22, 3, v22
	ds_write_b64 v22, v[24:25]
.LBB1338_405:
	s_or_b64 exec, exec, s[0:1]
	v_mov_b32_e32 v22, 1
	v_and_b32_sdwa v22, v22, v30 dst_sel:DWORD dst_unused:UNUSED_PAD src0_sel:DWORD src1_sel:WORD_1
	v_cmp_eq_u32_e32 vcc, 1, v22
	s_and_saveexec_b64 s[0:1], vcc
	s_cbranch_execz .LBB1338_407
; %bb.406:
	v_subrev_u32_e32 v22, s16, v42
	v_lshlrev_b32_e32 v22, 3, v22
	ds_write_b64 v22, v[18:19]
.LBB1338_407:
	s_or_b64 exec, exec, s[0:1]
	v_and_b32_e32 v18, 1, v32
	v_cmp_eq_u32_e32 vcc, 1, v18
	s_and_saveexec_b64 s[0:1], vcc
	s_cbranch_execz .LBB1338_409
; %bb.408:
	v_subrev_u32_e32 v18, s16, v40
	v_lshlrev_b32_e32 v18, 3, v18
	ds_write_b64 v18, v[20:21]
.LBB1338_409:
	s_or_b64 exec, exec, s[0:1]
	v_and_b32_e32 v18, 1, v31
	;; [unrolled: 10-line block ×3, first 2 shown]
	v_cmp_eq_u32_e32 vcc, 1, v14
	s_and_saveexec_b64 s[0:1], vcc
	s_cbranch_execz .LBB1338_413
; %bb.412:
	v_subrev_u32_e32 v14, s16, v36
	v_lshlrev_b32_e32 v14, 3, v14
	ds_write_b64 v14, v[16:17]
.LBB1338_413:
	s_or_b64 exec, exec, s[0:1]
	v_mov_b32_e32 v14, 1
	v_and_b32_sdwa v14, v14, v31 dst_sel:DWORD dst_unused:UNUSED_PAD src0_sel:DWORD src1_sel:WORD_1
	v_cmp_eq_u32_e32 vcc, 1, v14
	s_and_saveexec_b64 s[0:1], vcc
	s_cbranch_execz .LBB1338_415
; %bb.414:
	v_subrev_u32_e32 v14, s16, v34
	v_lshlrev_b32_e32 v14, 3, v14
	ds_write_b64 v14, v[28:29]
.LBB1338_415:
	s_or_b64 exec, exec, s[0:1]
	v_cmp_gt_u32_e32 vcc, s26, v0
	s_waitcnt lgkmcnt(0)
	s_barrier
	s_and_saveexec_b64 s[0:1], vcc
	s_cbranch_execz .LBB1338_418
; %bb.416:
	s_mov_b32 s17, 0
	s_lshl_b64 s[8:9], s[22:23], 3
	s_lshl_b64 s[10:11], s[16:17], 3
	s_add_u32 s8, s8, s10
	s_addc_u32 s9, s9, s11
	s_add_u32 s4, s4, s8
	v_lshlrev_b32_e32 v14, 3, v0
	v_mov_b32_e32 v15, 0
	s_addc_u32 s5, s5, s9
	v_lshl_add_u64 v[16:17], s[4:5], 0, v[14:15]
	s_mov_b64 s[4:5], 0
	s_mov_b64 s[8:9], 0x1000
	v_mov_b32_e32 v15, v0
.LBB1338_417:                           ; =>This Inner Loop Header: Depth=1
	ds_read_b64 v[18:19], v14
	v_add_u32_e32 v15, 0x200, v15
	v_cmp_le_u32_e32 vcc, s26, v15
	v_add_u32_e32 v14, 0x1000, v14
	s_or_b64 s[4:5], vcc, s[4:5]
	s_waitcnt lgkmcnt(0)
	global_store_dwordx2 v[16:17], v[18:19], off
	v_lshl_add_u64 v[16:17], v[16:17], 0, s[8:9]
	s_andn2_b64 exec, exec, s[4:5]
	s_cbranch_execnz .LBB1338_417
.LBB1338_418:
	s_or_b64 exec, exec, s[0:1]
.LBB1338_419:
	s_mov_b64 s[0:1], -1
	s_and_b64 vcc, exec, s[2:3]
	s_waitcnt lgkmcnt(0)
	s_barrier
	s_cbranch_vccnz .LBB1338_423
; %bb.420:
	s_and_b64 vcc, exec, s[0:1]
	s_cbranch_vccnz .LBB1338_445
.LBB1338_421:
	v_cmp_eq_u32_e32 vcc, 0, v0
	s_and_b64 s[0:1], vcc, s[24:25]
	s_and_saveexec_b64 s[2:3], s[0:1]
	s_cbranch_execnz .LBB1338_463
.LBB1338_422:
	s_endpgm
.LBB1338_423:
	s_add_i32 s2, s16, s26
	v_cmp_gt_u32_e32 vcc, s2, v46
	s_or_b64 s[4:5], s[34:35], vcc
	s_and_saveexec_b64 s[0:1], s[4:5]
	s_cbranch_execz .LBB1338_426
; %bb.424:
	v_cmp_eq_u32_e32 vcc, 1, v48
	s_and_b64 exec, exec, vcc
	s_cbranch_execz .LBB1338_426
; %bb.425:
	s_lshl_b64 s[4:5], s[22:23], 3
	s_add_u32 s4, s6, s4
	s_addc_u32 s5, s7, s5
	v_mov_b32_e32 v47, 0
	v_lshl_add_u64 v[14:15], v[46:47], 3, s[4:5]
	global_store_dwordx2 v[14:15], v[10:11], off
.LBB1338_426:
	s_or_b64 exec, exec, s[0:1]
	v_cmp_gt_u32_e32 vcc, s2, v44
	s_or_b64 s[4:5], s[34:35], vcc
	s_and_saveexec_b64 s[0:1], s[4:5]
	s_cbranch_execz .LBB1338_429
; %bb.427:
	v_and_b32_e32 v14, 1, v33
	v_cmp_eq_u32_e32 vcc, 1, v14
	s_and_b64 exec, exec, vcc
	s_cbranch_execz .LBB1338_429
; %bb.428:
	s_lshl_b64 s[4:5], s[22:23], 3
	s_add_u32 s4, s6, s4
	s_addc_u32 s5, s7, s5
	v_mov_b32_e32 v45, 0
	v_lshl_add_u64 v[14:15], v[44:45], 3, s[4:5]
	global_store_dwordx2 v[14:15], v[12:13], off
.LBB1338_429:
	s_or_b64 exec, exec, s[0:1]
	v_cmp_gt_u32_e32 vcc, s2, v42
	s_or_b64 s[4:5], s[34:35], vcc
	s_and_saveexec_b64 s[0:1], s[4:5]
	s_cbranch_execz .LBB1338_432
; %bb.430:
	v_mov_b32_e32 v14, 1
	v_and_b32_sdwa v14, v14, v30 dst_sel:DWORD dst_unused:UNUSED_PAD src0_sel:DWORD src1_sel:WORD_1
	v_cmp_eq_u32_e32 vcc, 1, v14
	s_and_b64 exec, exec, vcc
	s_cbranch_execz .LBB1338_432
; %bb.431:
	s_lshl_b64 s[4:5], s[22:23], 3
	s_add_u32 s4, s6, s4
	s_addc_u32 s5, s7, s5
	v_mov_b32_e32 v43, 0
	v_lshl_add_u64 v[14:15], v[42:43], 3, s[4:5]
	global_store_dwordx2 v[14:15], v[6:7], off
.LBB1338_432:
	s_or_b64 exec, exec, s[0:1]
	v_cmp_gt_u32_e32 vcc, s2, v40
	s_or_b64 s[4:5], s[34:35], vcc
	s_and_saveexec_b64 s[0:1], s[4:5]
	s_cbranch_execz .LBB1338_435
; %bb.433:
	v_and_b32_e32 v14, 1, v32
	v_cmp_eq_u32_e32 vcc, 1, v14
	s_and_b64 exec, exec, vcc
	s_cbranch_execz .LBB1338_435
; %bb.434:
	s_lshl_b64 s[4:5], s[22:23], 3
	s_add_u32 s4, s6, s4
	s_addc_u32 s5, s7, s5
	v_mov_b32_e32 v41, 0
	v_lshl_add_u64 v[14:15], v[40:41], 3, s[4:5]
	global_store_dwordx2 v[14:15], v[8:9], off
.LBB1338_435:
	s_or_b64 exec, exec, s[0:1]
	v_cmp_gt_u32_e32 vcc, s2, v38
	s_or_b64 s[4:5], s[34:35], vcc
	s_and_saveexec_b64 s[0:1], s[4:5]
	s_cbranch_execz .LBB1338_438
; %bb.436:
	v_and_b32_e32 v14, 1, v31
	v_cmp_eq_u32_e32 vcc, 1, v14
	s_and_b64 exec, exec, vcc
	s_cbranch_execz .LBB1338_438
; %bb.437:
	s_lshl_b64 s[4:5], s[22:23], 3
	s_add_u32 s4, s6, s4
	s_addc_u32 s5, s7, s5
	v_mov_b32_e32 v39, 0
	v_lshl_add_u64 v[14:15], v[38:39], 3, s[4:5]
	global_store_dwordx2 v[14:15], v[2:3], off
.LBB1338_438:
	;; [unrolled: 18-line block ×3, first 2 shown]
	s_or_b64 exec, exec, s[0:1]
	v_cmp_gt_u32_e32 vcc, s2, v34
	s_or_b64 s[2:3], s[34:35], vcc
	s_and_saveexec_b64 s[0:1], s[2:3]
	s_cbranch_execz .LBB1338_444
; %bb.442:
	v_mov_b32_e32 v14, 1
	v_and_b32_sdwa v14, v14, v31 dst_sel:DWORD dst_unused:UNUSED_PAD src0_sel:DWORD src1_sel:WORD_1
	v_cmp_eq_u32_e32 vcc, 1, v14
	s_and_b64 exec, exec, vcc
	s_cbranch_execz .LBB1338_444
; %bb.443:
	s_lshl_b64 s[2:3], s[22:23], 3
	s_add_u32 s2, s6, s2
	s_addc_u32 s3, s7, s3
	v_mov_b32_e32 v35, 0
	v_lshl_add_u64 v[14:15], v[34:35], 3, s[2:3]
	global_store_dwordx2 v[14:15], v[26:27], off
.LBB1338_444:
	s_or_b64 exec, exec, s[0:1]
	s_branch .LBB1338_421
.LBB1338_445:
	v_cmp_eq_u32_e32 vcc, 1, v48
	s_and_saveexec_b64 s[0:1], vcc
	s_cbranch_execz .LBB1338_447
; %bb.446:
	v_subrev_u32_e32 v14, s16, v46
	v_lshlrev_b32_e32 v14, 3, v14
	ds_write_b64 v14, v[10:11]
.LBB1338_447:
	s_or_b64 exec, exec, s[0:1]
	v_and_b32_e32 v10, 1, v33
	v_cmp_eq_u32_e32 vcc, 1, v10
	s_and_saveexec_b64 s[0:1], vcc
	s_cbranch_execz .LBB1338_449
; %bb.448:
	v_subrev_u32_e32 v10, s16, v44
	v_lshlrev_b32_e32 v10, 3, v10
	ds_write_b64 v10, v[12:13]
.LBB1338_449:
	s_or_b64 exec, exec, s[0:1]
	v_mov_b32_e32 v10, 1
	v_and_b32_sdwa v10, v10, v30 dst_sel:DWORD dst_unused:UNUSED_PAD src0_sel:DWORD src1_sel:WORD_1
	v_cmp_eq_u32_e32 vcc, 1, v10
	s_and_saveexec_b64 s[0:1], vcc
	s_cbranch_execz .LBB1338_451
; %bb.450:
	v_subrev_u32_e32 v10, s16, v42
	v_lshlrev_b32_e32 v10, 3, v10
	ds_write_b64 v10, v[6:7]
.LBB1338_451:
	s_or_b64 exec, exec, s[0:1]
	v_and_b32_e32 v6, 1, v32
	v_cmp_eq_u32_e32 vcc, 1, v6
	s_and_saveexec_b64 s[0:1], vcc
	s_cbranch_execz .LBB1338_453
; %bb.452:
	v_subrev_u32_e32 v6, s16, v40
	v_lshlrev_b32_e32 v6, 3, v6
	ds_write_b64 v6, v[8:9]
.LBB1338_453:
	s_or_b64 exec, exec, s[0:1]
	v_and_b32_e32 v6, 1, v31
	;; [unrolled: 10-line block ×3, first 2 shown]
	v_cmp_eq_u32_e32 vcc, 1, v1
	s_and_saveexec_b64 s[0:1], vcc
	s_cbranch_execz .LBB1338_457
; %bb.456:
	v_subrev_u32_e32 v1, s16, v36
	v_lshlrev_b32_e32 v1, 3, v1
	ds_write_b64 v1, v[4:5]
.LBB1338_457:
	s_or_b64 exec, exec, s[0:1]
	v_mov_b32_e32 v1, 1
	v_and_b32_sdwa v1, v1, v31 dst_sel:DWORD dst_unused:UNUSED_PAD src0_sel:DWORD src1_sel:WORD_1
	v_cmp_eq_u32_e32 vcc, 1, v1
	s_and_saveexec_b64 s[0:1], vcc
	s_cbranch_execz .LBB1338_459
; %bb.458:
	v_subrev_u32_e32 v1, s16, v34
	v_lshlrev_b32_e32 v1, 3, v1
	ds_write_b64 v1, v[26:27]
.LBB1338_459:
	s_or_b64 exec, exec, s[0:1]
	v_cmp_gt_u32_e32 vcc, s26, v0
	s_waitcnt lgkmcnt(0)
	s_barrier
	s_and_saveexec_b64 s[0:1], vcc
	s_cbranch_execz .LBB1338_462
; %bb.460:
	s_mov_b32 s17, 0
	s_lshl_b64 s[2:3], s[22:23], 3
	s_lshl_b64 s[4:5], s[16:17], 3
	s_add_u32 s2, s2, s4
	s_addc_u32 s3, s3, s5
	s_add_u32 s2, s6, s2
	v_lshlrev_b32_e32 v2, 3, v0
	v_mov_b32_e32 v3, 0
	s_addc_u32 s3, s7, s3
	v_lshl_add_u64 v[4:5], s[2:3], 0, v[2:3]
	s_mov_b64 s[2:3], 0
	s_mov_b64 s[4:5], 0x1000
	v_mov_b32_e32 v1, v0
.LBB1338_461:                           ; =>This Inner Loop Header: Depth=1
	ds_read_b64 v[6:7], v2
	v_add_u32_e32 v1, 0x200, v1
	v_cmp_le_u32_e32 vcc, s26, v1
	v_add_u32_e32 v2, 0x1000, v2
	s_or_b64 s[2:3], vcc, s[2:3]
	s_waitcnt lgkmcnt(0)
	global_store_dwordx2 v[4:5], v[6:7], off
	v_lshl_add_u64 v[4:5], v[4:5], 0, s[4:5]
	s_andn2_b64 exec, exec, s[2:3]
	s_cbranch_execnz .LBB1338_461
.LBB1338_462:
	s_or_b64 exec, exec, s[0:1]
	v_cmp_eq_u32_e32 vcc, 0, v0
	s_and_b64 s[0:1], vcc, s[24:25]
	s_and_saveexec_b64 s[2:3], s[0:1]
	s_cbranch_execz .LBB1338_422
.LBB1338_463:
	s_add_u32 s0, s22, s26
	s_addc_u32 s1, s23, 0
	s_add_u32 s0, s0, s16
	s_addc_u32 s1, s1, 0
	v_mov_b32_e32 v2, 0
	v_mov_b64_e32 v[0:1], s[0:1]
	global_store_dwordx2 v2, v[0:1], s[20:21]
	s_endpgm
	.section	.rodata,"a",@progbits
	.p2align	6, 0x0
	.amdhsa_kernel _ZN7rocprim17ROCPRIM_400000_NS6detail17trampoline_kernelINS0_14default_configENS1_25partition_config_selectorILNS1_17partition_subalgoE9EllbEEZZNS1_14partition_implILS5_9ELb0ES3_jPlS8_PNS0_10empty_typeENS0_5tupleIJS8_S9_EEENSB_IJS8_SA_EEENS0_18inequality_wrapperIZN2at6native12_GLOBAL__N_124unique_dim_cuda_templateIN3c104HalfEEESt5tupleIJNSF_6TensorESM_SM_EERKSM_lbbbEUlllE0_EEPmJS9_EEE10hipError_tPvRmT3_T4_T5_T6_T7_T9_mT8_P12ihipStream_tbDpT10_ENKUlT_T0_E_clISt17integral_constantIbLb0EES1C_EEDaS17_S18_EUlS17_E_NS1_11comp_targetILNS1_3genE5ELNS1_11target_archE942ELNS1_3gpuE9ELNS1_3repE0EEENS1_30default_config_static_selectorELNS0_4arch9wavefront6targetE1EEEvT1_
		.amdhsa_group_segment_fixed_size 28684
		.amdhsa_private_segment_fixed_size 0
		.amdhsa_kernarg_size 120
		.amdhsa_user_sgpr_count 2
		.amdhsa_user_sgpr_dispatch_ptr 0
		.amdhsa_user_sgpr_queue_ptr 0
		.amdhsa_user_sgpr_kernarg_segment_ptr 1
		.amdhsa_user_sgpr_dispatch_id 0
		.amdhsa_user_sgpr_kernarg_preload_length 0
		.amdhsa_user_sgpr_kernarg_preload_offset 0
		.amdhsa_user_sgpr_private_segment_size 0
		.amdhsa_uses_dynamic_stack 0
		.amdhsa_enable_private_segment 0
		.amdhsa_system_sgpr_workgroup_id_x 1
		.amdhsa_system_sgpr_workgroup_id_y 0
		.amdhsa_system_sgpr_workgroup_id_z 0
		.amdhsa_system_sgpr_workgroup_info 0
		.amdhsa_system_vgpr_workitem_id 0
		.amdhsa_next_free_vgpr 66
		.amdhsa_next_free_sgpr 52
		.amdhsa_accum_offset 68
		.amdhsa_reserve_vcc 1
		.amdhsa_float_round_mode_32 0
		.amdhsa_float_round_mode_16_64 0
		.amdhsa_float_denorm_mode_32 3
		.amdhsa_float_denorm_mode_16_64 3
		.amdhsa_dx10_clamp 1
		.amdhsa_ieee_mode 1
		.amdhsa_fp16_overflow 0
		.amdhsa_tg_split 0
		.amdhsa_exception_fp_ieee_invalid_op 0
		.amdhsa_exception_fp_denorm_src 0
		.amdhsa_exception_fp_ieee_div_zero 0
		.amdhsa_exception_fp_ieee_overflow 0
		.amdhsa_exception_fp_ieee_underflow 0
		.amdhsa_exception_fp_ieee_inexact 0
		.amdhsa_exception_int_div_zero 0
	.end_amdhsa_kernel
	.section	.text._ZN7rocprim17ROCPRIM_400000_NS6detail17trampoline_kernelINS0_14default_configENS1_25partition_config_selectorILNS1_17partition_subalgoE9EllbEEZZNS1_14partition_implILS5_9ELb0ES3_jPlS8_PNS0_10empty_typeENS0_5tupleIJS8_S9_EEENSB_IJS8_SA_EEENS0_18inequality_wrapperIZN2at6native12_GLOBAL__N_124unique_dim_cuda_templateIN3c104HalfEEESt5tupleIJNSF_6TensorESM_SM_EERKSM_lbbbEUlllE0_EEPmJS9_EEE10hipError_tPvRmT3_T4_T5_T6_T7_T9_mT8_P12ihipStream_tbDpT10_ENKUlT_T0_E_clISt17integral_constantIbLb0EES1C_EEDaS17_S18_EUlS17_E_NS1_11comp_targetILNS1_3genE5ELNS1_11target_archE942ELNS1_3gpuE9ELNS1_3repE0EEENS1_30default_config_static_selectorELNS0_4arch9wavefront6targetE1EEEvT1_,"axG",@progbits,_ZN7rocprim17ROCPRIM_400000_NS6detail17trampoline_kernelINS0_14default_configENS1_25partition_config_selectorILNS1_17partition_subalgoE9EllbEEZZNS1_14partition_implILS5_9ELb0ES3_jPlS8_PNS0_10empty_typeENS0_5tupleIJS8_S9_EEENSB_IJS8_SA_EEENS0_18inequality_wrapperIZN2at6native12_GLOBAL__N_124unique_dim_cuda_templateIN3c104HalfEEESt5tupleIJNSF_6TensorESM_SM_EERKSM_lbbbEUlllE0_EEPmJS9_EEE10hipError_tPvRmT3_T4_T5_T6_T7_T9_mT8_P12ihipStream_tbDpT10_ENKUlT_T0_E_clISt17integral_constantIbLb0EES1C_EEDaS17_S18_EUlS17_E_NS1_11comp_targetILNS1_3genE5ELNS1_11target_archE942ELNS1_3gpuE9ELNS1_3repE0EEENS1_30default_config_static_selectorELNS0_4arch9wavefront6targetE1EEEvT1_,comdat
.Lfunc_end1338:
	.size	_ZN7rocprim17ROCPRIM_400000_NS6detail17trampoline_kernelINS0_14default_configENS1_25partition_config_selectorILNS1_17partition_subalgoE9EllbEEZZNS1_14partition_implILS5_9ELb0ES3_jPlS8_PNS0_10empty_typeENS0_5tupleIJS8_S9_EEENSB_IJS8_SA_EEENS0_18inequality_wrapperIZN2at6native12_GLOBAL__N_124unique_dim_cuda_templateIN3c104HalfEEESt5tupleIJNSF_6TensorESM_SM_EERKSM_lbbbEUlllE0_EEPmJS9_EEE10hipError_tPvRmT3_T4_T5_T6_T7_T9_mT8_P12ihipStream_tbDpT10_ENKUlT_T0_E_clISt17integral_constantIbLb0EES1C_EEDaS17_S18_EUlS17_E_NS1_11comp_targetILNS1_3genE5ELNS1_11target_archE942ELNS1_3gpuE9ELNS1_3repE0EEENS1_30default_config_static_selectorELNS0_4arch9wavefront6targetE1EEEvT1_, .Lfunc_end1338-_ZN7rocprim17ROCPRIM_400000_NS6detail17trampoline_kernelINS0_14default_configENS1_25partition_config_selectorILNS1_17partition_subalgoE9EllbEEZZNS1_14partition_implILS5_9ELb0ES3_jPlS8_PNS0_10empty_typeENS0_5tupleIJS8_S9_EEENSB_IJS8_SA_EEENS0_18inequality_wrapperIZN2at6native12_GLOBAL__N_124unique_dim_cuda_templateIN3c104HalfEEESt5tupleIJNSF_6TensorESM_SM_EERKSM_lbbbEUlllE0_EEPmJS9_EEE10hipError_tPvRmT3_T4_T5_T6_T7_T9_mT8_P12ihipStream_tbDpT10_ENKUlT_T0_E_clISt17integral_constantIbLb0EES1C_EEDaS17_S18_EUlS17_E_NS1_11comp_targetILNS1_3genE5ELNS1_11target_archE942ELNS1_3gpuE9ELNS1_3repE0EEENS1_30default_config_static_selectorELNS0_4arch9wavefront6targetE1EEEvT1_
                                        ; -- End function
	.section	.AMDGPU.csdata,"",@progbits
; Kernel info:
; codeLenInByte = 14392
; NumSgprs: 58
; NumVgprs: 66
; NumAgprs: 0
; TotalNumVgprs: 66
; ScratchSize: 0
; MemoryBound: 0
; FloatMode: 240
; IeeeMode: 1
; LDSByteSize: 28684 bytes/workgroup (compile time only)
; SGPRBlocks: 7
; VGPRBlocks: 8
; NumSGPRsForWavesPerEU: 58
; NumVGPRsForWavesPerEU: 66
; AccumOffset: 68
; Occupancy: 4
; WaveLimiterHint : 1
; COMPUTE_PGM_RSRC2:SCRATCH_EN: 0
; COMPUTE_PGM_RSRC2:USER_SGPR: 2
; COMPUTE_PGM_RSRC2:TRAP_HANDLER: 0
; COMPUTE_PGM_RSRC2:TGID_X_EN: 1
; COMPUTE_PGM_RSRC2:TGID_Y_EN: 0
; COMPUTE_PGM_RSRC2:TGID_Z_EN: 0
; COMPUTE_PGM_RSRC2:TIDIG_COMP_CNT: 0
; COMPUTE_PGM_RSRC3_GFX90A:ACCUM_OFFSET: 16
; COMPUTE_PGM_RSRC3_GFX90A:TG_SPLIT: 0
	.section	.text._ZN7rocprim17ROCPRIM_400000_NS6detail17trampoline_kernelINS0_14default_configENS1_25partition_config_selectorILNS1_17partition_subalgoE9EllbEEZZNS1_14partition_implILS5_9ELb0ES3_jPlS8_PNS0_10empty_typeENS0_5tupleIJS8_S9_EEENSB_IJS8_SA_EEENS0_18inequality_wrapperIZN2at6native12_GLOBAL__N_124unique_dim_cuda_templateIN3c104HalfEEESt5tupleIJNSF_6TensorESM_SM_EERKSM_lbbbEUlllE0_EEPmJS9_EEE10hipError_tPvRmT3_T4_T5_T6_T7_T9_mT8_P12ihipStream_tbDpT10_ENKUlT_T0_E_clISt17integral_constantIbLb0EES1C_EEDaS17_S18_EUlS17_E_NS1_11comp_targetILNS1_3genE4ELNS1_11target_archE910ELNS1_3gpuE8ELNS1_3repE0EEENS1_30default_config_static_selectorELNS0_4arch9wavefront6targetE1EEEvT1_,"axG",@progbits,_ZN7rocprim17ROCPRIM_400000_NS6detail17trampoline_kernelINS0_14default_configENS1_25partition_config_selectorILNS1_17partition_subalgoE9EllbEEZZNS1_14partition_implILS5_9ELb0ES3_jPlS8_PNS0_10empty_typeENS0_5tupleIJS8_S9_EEENSB_IJS8_SA_EEENS0_18inequality_wrapperIZN2at6native12_GLOBAL__N_124unique_dim_cuda_templateIN3c104HalfEEESt5tupleIJNSF_6TensorESM_SM_EERKSM_lbbbEUlllE0_EEPmJS9_EEE10hipError_tPvRmT3_T4_T5_T6_T7_T9_mT8_P12ihipStream_tbDpT10_ENKUlT_T0_E_clISt17integral_constantIbLb0EES1C_EEDaS17_S18_EUlS17_E_NS1_11comp_targetILNS1_3genE4ELNS1_11target_archE910ELNS1_3gpuE8ELNS1_3repE0EEENS1_30default_config_static_selectorELNS0_4arch9wavefront6targetE1EEEvT1_,comdat
	.globl	_ZN7rocprim17ROCPRIM_400000_NS6detail17trampoline_kernelINS0_14default_configENS1_25partition_config_selectorILNS1_17partition_subalgoE9EllbEEZZNS1_14partition_implILS5_9ELb0ES3_jPlS8_PNS0_10empty_typeENS0_5tupleIJS8_S9_EEENSB_IJS8_SA_EEENS0_18inequality_wrapperIZN2at6native12_GLOBAL__N_124unique_dim_cuda_templateIN3c104HalfEEESt5tupleIJNSF_6TensorESM_SM_EERKSM_lbbbEUlllE0_EEPmJS9_EEE10hipError_tPvRmT3_T4_T5_T6_T7_T9_mT8_P12ihipStream_tbDpT10_ENKUlT_T0_E_clISt17integral_constantIbLb0EES1C_EEDaS17_S18_EUlS17_E_NS1_11comp_targetILNS1_3genE4ELNS1_11target_archE910ELNS1_3gpuE8ELNS1_3repE0EEENS1_30default_config_static_selectorELNS0_4arch9wavefront6targetE1EEEvT1_ ; -- Begin function _ZN7rocprim17ROCPRIM_400000_NS6detail17trampoline_kernelINS0_14default_configENS1_25partition_config_selectorILNS1_17partition_subalgoE9EllbEEZZNS1_14partition_implILS5_9ELb0ES3_jPlS8_PNS0_10empty_typeENS0_5tupleIJS8_S9_EEENSB_IJS8_SA_EEENS0_18inequality_wrapperIZN2at6native12_GLOBAL__N_124unique_dim_cuda_templateIN3c104HalfEEESt5tupleIJNSF_6TensorESM_SM_EERKSM_lbbbEUlllE0_EEPmJS9_EEE10hipError_tPvRmT3_T4_T5_T6_T7_T9_mT8_P12ihipStream_tbDpT10_ENKUlT_T0_E_clISt17integral_constantIbLb0EES1C_EEDaS17_S18_EUlS17_E_NS1_11comp_targetILNS1_3genE4ELNS1_11target_archE910ELNS1_3gpuE8ELNS1_3repE0EEENS1_30default_config_static_selectorELNS0_4arch9wavefront6targetE1EEEvT1_
	.p2align	8
	.type	_ZN7rocprim17ROCPRIM_400000_NS6detail17trampoline_kernelINS0_14default_configENS1_25partition_config_selectorILNS1_17partition_subalgoE9EllbEEZZNS1_14partition_implILS5_9ELb0ES3_jPlS8_PNS0_10empty_typeENS0_5tupleIJS8_S9_EEENSB_IJS8_SA_EEENS0_18inequality_wrapperIZN2at6native12_GLOBAL__N_124unique_dim_cuda_templateIN3c104HalfEEESt5tupleIJNSF_6TensorESM_SM_EERKSM_lbbbEUlllE0_EEPmJS9_EEE10hipError_tPvRmT3_T4_T5_T6_T7_T9_mT8_P12ihipStream_tbDpT10_ENKUlT_T0_E_clISt17integral_constantIbLb0EES1C_EEDaS17_S18_EUlS17_E_NS1_11comp_targetILNS1_3genE4ELNS1_11target_archE910ELNS1_3gpuE8ELNS1_3repE0EEENS1_30default_config_static_selectorELNS0_4arch9wavefront6targetE1EEEvT1_,@function
_ZN7rocprim17ROCPRIM_400000_NS6detail17trampoline_kernelINS0_14default_configENS1_25partition_config_selectorILNS1_17partition_subalgoE9EllbEEZZNS1_14partition_implILS5_9ELb0ES3_jPlS8_PNS0_10empty_typeENS0_5tupleIJS8_S9_EEENSB_IJS8_SA_EEENS0_18inequality_wrapperIZN2at6native12_GLOBAL__N_124unique_dim_cuda_templateIN3c104HalfEEESt5tupleIJNSF_6TensorESM_SM_EERKSM_lbbbEUlllE0_EEPmJS9_EEE10hipError_tPvRmT3_T4_T5_T6_T7_T9_mT8_P12ihipStream_tbDpT10_ENKUlT_T0_E_clISt17integral_constantIbLb0EES1C_EEDaS17_S18_EUlS17_E_NS1_11comp_targetILNS1_3genE4ELNS1_11target_archE910ELNS1_3gpuE8ELNS1_3repE0EEENS1_30default_config_static_selectorELNS0_4arch9wavefront6targetE1EEEvT1_: ; @_ZN7rocprim17ROCPRIM_400000_NS6detail17trampoline_kernelINS0_14default_configENS1_25partition_config_selectorILNS1_17partition_subalgoE9EllbEEZZNS1_14partition_implILS5_9ELb0ES3_jPlS8_PNS0_10empty_typeENS0_5tupleIJS8_S9_EEENSB_IJS8_SA_EEENS0_18inequality_wrapperIZN2at6native12_GLOBAL__N_124unique_dim_cuda_templateIN3c104HalfEEESt5tupleIJNSF_6TensorESM_SM_EERKSM_lbbbEUlllE0_EEPmJS9_EEE10hipError_tPvRmT3_T4_T5_T6_T7_T9_mT8_P12ihipStream_tbDpT10_ENKUlT_T0_E_clISt17integral_constantIbLb0EES1C_EEDaS17_S18_EUlS17_E_NS1_11comp_targetILNS1_3genE4ELNS1_11target_archE910ELNS1_3gpuE8ELNS1_3repE0EEENS1_30default_config_static_selectorELNS0_4arch9wavefront6targetE1EEEvT1_
; %bb.0:
	.section	.rodata,"a",@progbits
	.p2align	6, 0x0
	.amdhsa_kernel _ZN7rocprim17ROCPRIM_400000_NS6detail17trampoline_kernelINS0_14default_configENS1_25partition_config_selectorILNS1_17partition_subalgoE9EllbEEZZNS1_14partition_implILS5_9ELb0ES3_jPlS8_PNS0_10empty_typeENS0_5tupleIJS8_S9_EEENSB_IJS8_SA_EEENS0_18inequality_wrapperIZN2at6native12_GLOBAL__N_124unique_dim_cuda_templateIN3c104HalfEEESt5tupleIJNSF_6TensorESM_SM_EERKSM_lbbbEUlllE0_EEPmJS9_EEE10hipError_tPvRmT3_T4_T5_T6_T7_T9_mT8_P12ihipStream_tbDpT10_ENKUlT_T0_E_clISt17integral_constantIbLb0EES1C_EEDaS17_S18_EUlS17_E_NS1_11comp_targetILNS1_3genE4ELNS1_11target_archE910ELNS1_3gpuE8ELNS1_3repE0EEENS1_30default_config_static_selectorELNS0_4arch9wavefront6targetE1EEEvT1_
		.amdhsa_group_segment_fixed_size 0
		.amdhsa_private_segment_fixed_size 0
		.amdhsa_kernarg_size 120
		.amdhsa_user_sgpr_count 2
		.amdhsa_user_sgpr_dispatch_ptr 0
		.amdhsa_user_sgpr_queue_ptr 0
		.amdhsa_user_sgpr_kernarg_segment_ptr 1
		.amdhsa_user_sgpr_dispatch_id 0
		.amdhsa_user_sgpr_kernarg_preload_length 0
		.amdhsa_user_sgpr_kernarg_preload_offset 0
		.amdhsa_user_sgpr_private_segment_size 0
		.amdhsa_uses_dynamic_stack 0
		.amdhsa_enable_private_segment 0
		.amdhsa_system_sgpr_workgroup_id_x 1
		.amdhsa_system_sgpr_workgroup_id_y 0
		.amdhsa_system_sgpr_workgroup_id_z 0
		.amdhsa_system_sgpr_workgroup_info 0
		.amdhsa_system_vgpr_workitem_id 0
		.amdhsa_next_free_vgpr 1
		.amdhsa_next_free_sgpr 0
		.amdhsa_accum_offset 4
		.amdhsa_reserve_vcc 0
		.amdhsa_float_round_mode_32 0
		.amdhsa_float_round_mode_16_64 0
		.amdhsa_float_denorm_mode_32 3
		.amdhsa_float_denorm_mode_16_64 3
		.amdhsa_dx10_clamp 1
		.amdhsa_ieee_mode 1
		.amdhsa_fp16_overflow 0
		.amdhsa_tg_split 0
		.amdhsa_exception_fp_ieee_invalid_op 0
		.amdhsa_exception_fp_denorm_src 0
		.amdhsa_exception_fp_ieee_div_zero 0
		.amdhsa_exception_fp_ieee_overflow 0
		.amdhsa_exception_fp_ieee_underflow 0
		.amdhsa_exception_fp_ieee_inexact 0
		.amdhsa_exception_int_div_zero 0
	.end_amdhsa_kernel
	.section	.text._ZN7rocprim17ROCPRIM_400000_NS6detail17trampoline_kernelINS0_14default_configENS1_25partition_config_selectorILNS1_17partition_subalgoE9EllbEEZZNS1_14partition_implILS5_9ELb0ES3_jPlS8_PNS0_10empty_typeENS0_5tupleIJS8_S9_EEENSB_IJS8_SA_EEENS0_18inequality_wrapperIZN2at6native12_GLOBAL__N_124unique_dim_cuda_templateIN3c104HalfEEESt5tupleIJNSF_6TensorESM_SM_EERKSM_lbbbEUlllE0_EEPmJS9_EEE10hipError_tPvRmT3_T4_T5_T6_T7_T9_mT8_P12ihipStream_tbDpT10_ENKUlT_T0_E_clISt17integral_constantIbLb0EES1C_EEDaS17_S18_EUlS17_E_NS1_11comp_targetILNS1_3genE4ELNS1_11target_archE910ELNS1_3gpuE8ELNS1_3repE0EEENS1_30default_config_static_selectorELNS0_4arch9wavefront6targetE1EEEvT1_,"axG",@progbits,_ZN7rocprim17ROCPRIM_400000_NS6detail17trampoline_kernelINS0_14default_configENS1_25partition_config_selectorILNS1_17partition_subalgoE9EllbEEZZNS1_14partition_implILS5_9ELb0ES3_jPlS8_PNS0_10empty_typeENS0_5tupleIJS8_S9_EEENSB_IJS8_SA_EEENS0_18inequality_wrapperIZN2at6native12_GLOBAL__N_124unique_dim_cuda_templateIN3c104HalfEEESt5tupleIJNSF_6TensorESM_SM_EERKSM_lbbbEUlllE0_EEPmJS9_EEE10hipError_tPvRmT3_T4_T5_T6_T7_T9_mT8_P12ihipStream_tbDpT10_ENKUlT_T0_E_clISt17integral_constantIbLb0EES1C_EEDaS17_S18_EUlS17_E_NS1_11comp_targetILNS1_3genE4ELNS1_11target_archE910ELNS1_3gpuE8ELNS1_3repE0EEENS1_30default_config_static_selectorELNS0_4arch9wavefront6targetE1EEEvT1_,comdat
.Lfunc_end1339:
	.size	_ZN7rocprim17ROCPRIM_400000_NS6detail17trampoline_kernelINS0_14default_configENS1_25partition_config_selectorILNS1_17partition_subalgoE9EllbEEZZNS1_14partition_implILS5_9ELb0ES3_jPlS8_PNS0_10empty_typeENS0_5tupleIJS8_S9_EEENSB_IJS8_SA_EEENS0_18inequality_wrapperIZN2at6native12_GLOBAL__N_124unique_dim_cuda_templateIN3c104HalfEEESt5tupleIJNSF_6TensorESM_SM_EERKSM_lbbbEUlllE0_EEPmJS9_EEE10hipError_tPvRmT3_T4_T5_T6_T7_T9_mT8_P12ihipStream_tbDpT10_ENKUlT_T0_E_clISt17integral_constantIbLb0EES1C_EEDaS17_S18_EUlS17_E_NS1_11comp_targetILNS1_3genE4ELNS1_11target_archE910ELNS1_3gpuE8ELNS1_3repE0EEENS1_30default_config_static_selectorELNS0_4arch9wavefront6targetE1EEEvT1_, .Lfunc_end1339-_ZN7rocprim17ROCPRIM_400000_NS6detail17trampoline_kernelINS0_14default_configENS1_25partition_config_selectorILNS1_17partition_subalgoE9EllbEEZZNS1_14partition_implILS5_9ELb0ES3_jPlS8_PNS0_10empty_typeENS0_5tupleIJS8_S9_EEENSB_IJS8_SA_EEENS0_18inequality_wrapperIZN2at6native12_GLOBAL__N_124unique_dim_cuda_templateIN3c104HalfEEESt5tupleIJNSF_6TensorESM_SM_EERKSM_lbbbEUlllE0_EEPmJS9_EEE10hipError_tPvRmT3_T4_T5_T6_T7_T9_mT8_P12ihipStream_tbDpT10_ENKUlT_T0_E_clISt17integral_constantIbLb0EES1C_EEDaS17_S18_EUlS17_E_NS1_11comp_targetILNS1_3genE4ELNS1_11target_archE910ELNS1_3gpuE8ELNS1_3repE0EEENS1_30default_config_static_selectorELNS0_4arch9wavefront6targetE1EEEvT1_
                                        ; -- End function
	.section	.AMDGPU.csdata,"",@progbits
; Kernel info:
; codeLenInByte = 0
; NumSgprs: 6
; NumVgprs: 0
; NumAgprs: 0
; TotalNumVgprs: 0
; ScratchSize: 0
; MemoryBound: 0
; FloatMode: 240
; IeeeMode: 1
; LDSByteSize: 0 bytes/workgroup (compile time only)
; SGPRBlocks: 0
; VGPRBlocks: 0
; NumSGPRsForWavesPerEU: 6
; NumVGPRsForWavesPerEU: 1
; AccumOffset: 4
; Occupancy: 8
; WaveLimiterHint : 0
; COMPUTE_PGM_RSRC2:SCRATCH_EN: 0
; COMPUTE_PGM_RSRC2:USER_SGPR: 2
; COMPUTE_PGM_RSRC2:TRAP_HANDLER: 0
; COMPUTE_PGM_RSRC2:TGID_X_EN: 1
; COMPUTE_PGM_RSRC2:TGID_Y_EN: 0
; COMPUTE_PGM_RSRC2:TGID_Z_EN: 0
; COMPUTE_PGM_RSRC2:TIDIG_COMP_CNT: 0
; COMPUTE_PGM_RSRC3_GFX90A:ACCUM_OFFSET: 0
; COMPUTE_PGM_RSRC3_GFX90A:TG_SPLIT: 0
	.section	.text._ZN7rocprim17ROCPRIM_400000_NS6detail17trampoline_kernelINS0_14default_configENS1_25partition_config_selectorILNS1_17partition_subalgoE9EllbEEZZNS1_14partition_implILS5_9ELb0ES3_jPlS8_PNS0_10empty_typeENS0_5tupleIJS8_S9_EEENSB_IJS8_SA_EEENS0_18inequality_wrapperIZN2at6native12_GLOBAL__N_124unique_dim_cuda_templateIN3c104HalfEEESt5tupleIJNSF_6TensorESM_SM_EERKSM_lbbbEUlllE0_EEPmJS9_EEE10hipError_tPvRmT3_T4_T5_T6_T7_T9_mT8_P12ihipStream_tbDpT10_ENKUlT_T0_E_clISt17integral_constantIbLb0EES1C_EEDaS17_S18_EUlS17_E_NS1_11comp_targetILNS1_3genE3ELNS1_11target_archE908ELNS1_3gpuE7ELNS1_3repE0EEENS1_30default_config_static_selectorELNS0_4arch9wavefront6targetE1EEEvT1_,"axG",@progbits,_ZN7rocprim17ROCPRIM_400000_NS6detail17trampoline_kernelINS0_14default_configENS1_25partition_config_selectorILNS1_17partition_subalgoE9EllbEEZZNS1_14partition_implILS5_9ELb0ES3_jPlS8_PNS0_10empty_typeENS0_5tupleIJS8_S9_EEENSB_IJS8_SA_EEENS0_18inequality_wrapperIZN2at6native12_GLOBAL__N_124unique_dim_cuda_templateIN3c104HalfEEESt5tupleIJNSF_6TensorESM_SM_EERKSM_lbbbEUlllE0_EEPmJS9_EEE10hipError_tPvRmT3_T4_T5_T6_T7_T9_mT8_P12ihipStream_tbDpT10_ENKUlT_T0_E_clISt17integral_constantIbLb0EES1C_EEDaS17_S18_EUlS17_E_NS1_11comp_targetILNS1_3genE3ELNS1_11target_archE908ELNS1_3gpuE7ELNS1_3repE0EEENS1_30default_config_static_selectorELNS0_4arch9wavefront6targetE1EEEvT1_,comdat
	.globl	_ZN7rocprim17ROCPRIM_400000_NS6detail17trampoline_kernelINS0_14default_configENS1_25partition_config_selectorILNS1_17partition_subalgoE9EllbEEZZNS1_14partition_implILS5_9ELb0ES3_jPlS8_PNS0_10empty_typeENS0_5tupleIJS8_S9_EEENSB_IJS8_SA_EEENS0_18inequality_wrapperIZN2at6native12_GLOBAL__N_124unique_dim_cuda_templateIN3c104HalfEEESt5tupleIJNSF_6TensorESM_SM_EERKSM_lbbbEUlllE0_EEPmJS9_EEE10hipError_tPvRmT3_T4_T5_T6_T7_T9_mT8_P12ihipStream_tbDpT10_ENKUlT_T0_E_clISt17integral_constantIbLb0EES1C_EEDaS17_S18_EUlS17_E_NS1_11comp_targetILNS1_3genE3ELNS1_11target_archE908ELNS1_3gpuE7ELNS1_3repE0EEENS1_30default_config_static_selectorELNS0_4arch9wavefront6targetE1EEEvT1_ ; -- Begin function _ZN7rocprim17ROCPRIM_400000_NS6detail17trampoline_kernelINS0_14default_configENS1_25partition_config_selectorILNS1_17partition_subalgoE9EllbEEZZNS1_14partition_implILS5_9ELb0ES3_jPlS8_PNS0_10empty_typeENS0_5tupleIJS8_S9_EEENSB_IJS8_SA_EEENS0_18inequality_wrapperIZN2at6native12_GLOBAL__N_124unique_dim_cuda_templateIN3c104HalfEEESt5tupleIJNSF_6TensorESM_SM_EERKSM_lbbbEUlllE0_EEPmJS9_EEE10hipError_tPvRmT3_T4_T5_T6_T7_T9_mT8_P12ihipStream_tbDpT10_ENKUlT_T0_E_clISt17integral_constantIbLb0EES1C_EEDaS17_S18_EUlS17_E_NS1_11comp_targetILNS1_3genE3ELNS1_11target_archE908ELNS1_3gpuE7ELNS1_3repE0EEENS1_30default_config_static_selectorELNS0_4arch9wavefront6targetE1EEEvT1_
	.p2align	8
	.type	_ZN7rocprim17ROCPRIM_400000_NS6detail17trampoline_kernelINS0_14default_configENS1_25partition_config_selectorILNS1_17partition_subalgoE9EllbEEZZNS1_14partition_implILS5_9ELb0ES3_jPlS8_PNS0_10empty_typeENS0_5tupleIJS8_S9_EEENSB_IJS8_SA_EEENS0_18inequality_wrapperIZN2at6native12_GLOBAL__N_124unique_dim_cuda_templateIN3c104HalfEEESt5tupleIJNSF_6TensorESM_SM_EERKSM_lbbbEUlllE0_EEPmJS9_EEE10hipError_tPvRmT3_T4_T5_T6_T7_T9_mT8_P12ihipStream_tbDpT10_ENKUlT_T0_E_clISt17integral_constantIbLb0EES1C_EEDaS17_S18_EUlS17_E_NS1_11comp_targetILNS1_3genE3ELNS1_11target_archE908ELNS1_3gpuE7ELNS1_3repE0EEENS1_30default_config_static_selectorELNS0_4arch9wavefront6targetE1EEEvT1_,@function
_ZN7rocprim17ROCPRIM_400000_NS6detail17trampoline_kernelINS0_14default_configENS1_25partition_config_selectorILNS1_17partition_subalgoE9EllbEEZZNS1_14partition_implILS5_9ELb0ES3_jPlS8_PNS0_10empty_typeENS0_5tupleIJS8_S9_EEENSB_IJS8_SA_EEENS0_18inequality_wrapperIZN2at6native12_GLOBAL__N_124unique_dim_cuda_templateIN3c104HalfEEESt5tupleIJNSF_6TensorESM_SM_EERKSM_lbbbEUlllE0_EEPmJS9_EEE10hipError_tPvRmT3_T4_T5_T6_T7_T9_mT8_P12ihipStream_tbDpT10_ENKUlT_T0_E_clISt17integral_constantIbLb0EES1C_EEDaS17_S18_EUlS17_E_NS1_11comp_targetILNS1_3genE3ELNS1_11target_archE908ELNS1_3gpuE7ELNS1_3repE0EEENS1_30default_config_static_selectorELNS0_4arch9wavefront6targetE1EEEvT1_: ; @_ZN7rocprim17ROCPRIM_400000_NS6detail17trampoline_kernelINS0_14default_configENS1_25partition_config_selectorILNS1_17partition_subalgoE9EllbEEZZNS1_14partition_implILS5_9ELb0ES3_jPlS8_PNS0_10empty_typeENS0_5tupleIJS8_S9_EEENSB_IJS8_SA_EEENS0_18inequality_wrapperIZN2at6native12_GLOBAL__N_124unique_dim_cuda_templateIN3c104HalfEEESt5tupleIJNSF_6TensorESM_SM_EERKSM_lbbbEUlllE0_EEPmJS9_EEE10hipError_tPvRmT3_T4_T5_T6_T7_T9_mT8_P12ihipStream_tbDpT10_ENKUlT_T0_E_clISt17integral_constantIbLb0EES1C_EEDaS17_S18_EUlS17_E_NS1_11comp_targetILNS1_3genE3ELNS1_11target_archE908ELNS1_3gpuE7ELNS1_3repE0EEENS1_30default_config_static_selectorELNS0_4arch9wavefront6targetE1EEEvT1_
; %bb.0:
	.section	.rodata,"a",@progbits
	.p2align	6, 0x0
	.amdhsa_kernel _ZN7rocprim17ROCPRIM_400000_NS6detail17trampoline_kernelINS0_14default_configENS1_25partition_config_selectorILNS1_17partition_subalgoE9EllbEEZZNS1_14partition_implILS5_9ELb0ES3_jPlS8_PNS0_10empty_typeENS0_5tupleIJS8_S9_EEENSB_IJS8_SA_EEENS0_18inequality_wrapperIZN2at6native12_GLOBAL__N_124unique_dim_cuda_templateIN3c104HalfEEESt5tupleIJNSF_6TensorESM_SM_EERKSM_lbbbEUlllE0_EEPmJS9_EEE10hipError_tPvRmT3_T4_T5_T6_T7_T9_mT8_P12ihipStream_tbDpT10_ENKUlT_T0_E_clISt17integral_constantIbLb0EES1C_EEDaS17_S18_EUlS17_E_NS1_11comp_targetILNS1_3genE3ELNS1_11target_archE908ELNS1_3gpuE7ELNS1_3repE0EEENS1_30default_config_static_selectorELNS0_4arch9wavefront6targetE1EEEvT1_
		.amdhsa_group_segment_fixed_size 0
		.amdhsa_private_segment_fixed_size 0
		.amdhsa_kernarg_size 120
		.amdhsa_user_sgpr_count 2
		.amdhsa_user_sgpr_dispatch_ptr 0
		.amdhsa_user_sgpr_queue_ptr 0
		.amdhsa_user_sgpr_kernarg_segment_ptr 1
		.amdhsa_user_sgpr_dispatch_id 0
		.amdhsa_user_sgpr_kernarg_preload_length 0
		.amdhsa_user_sgpr_kernarg_preload_offset 0
		.amdhsa_user_sgpr_private_segment_size 0
		.amdhsa_uses_dynamic_stack 0
		.amdhsa_enable_private_segment 0
		.amdhsa_system_sgpr_workgroup_id_x 1
		.amdhsa_system_sgpr_workgroup_id_y 0
		.amdhsa_system_sgpr_workgroup_id_z 0
		.amdhsa_system_sgpr_workgroup_info 0
		.amdhsa_system_vgpr_workitem_id 0
		.amdhsa_next_free_vgpr 1
		.amdhsa_next_free_sgpr 0
		.amdhsa_accum_offset 4
		.amdhsa_reserve_vcc 0
		.amdhsa_float_round_mode_32 0
		.amdhsa_float_round_mode_16_64 0
		.amdhsa_float_denorm_mode_32 3
		.amdhsa_float_denorm_mode_16_64 3
		.amdhsa_dx10_clamp 1
		.amdhsa_ieee_mode 1
		.amdhsa_fp16_overflow 0
		.amdhsa_tg_split 0
		.amdhsa_exception_fp_ieee_invalid_op 0
		.amdhsa_exception_fp_denorm_src 0
		.amdhsa_exception_fp_ieee_div_zero 0
		.amdhsa_exception_fp_ieee_overflow 0
		.amdhsa_exception_fp_ieee_underflow 0
		.amdhsa_exception_fp_ieee_inexact 0
		.amdhsa_exception_int_div_zero 0
	.end_amdhsa_kernel
	.section	.text._ZN7rocprim17ROCPRIM_400000_NS6detail17trampoline_kernelINS0_14default_configENS1_25partition_config_selectorILNS1_17partition_subalgoE9EllbEEZZNS1_14partition_implILS5_9ELb0ES3_jPlS8_PNS0_10empty_typeENS0_5tupleIJS8_S9_EEENSB_IJS8_SA_EEENS0_18inequality_wrapperIZN2at6native12_GLOBAL__N_124unique_dim_cuda_templateIN3c104HalfEEESt5tupleIJNSF_6TensorESM_SM_EERKSM_lbbbEUlllE0_EEPmJS9_EEE10hipError_tPvRmT3_T4_T5_T6_T7_T9_mT8_P12ihipStream_tbDpT10_ENKUlT_T0_E_clISt17integral_constantIbLb0EES1C_EEDaS17_S18_EUlS17_E_NS1_11comp_targetILNS1_3genE3ELNS1_11target_archE908ELNS1_3gpuE7ELNS1_3repE0EEENS1_30default_config_static_selectorELNS0_4arch9wavefront6targetE1EEEvT1_,"axG",@progbits,_ZN7rocprim17ROCPRIM_400000_NS6detail17trampoline_kernelINS0_14default_configENS1_25partition_config_selectorILNS1_17partition_subalgoE9EllbEEZZNS1_14partition_implILS5_9ELb0ES3_jPlS8_PNS0_10empty_typeENS0_5tupleIJS8_S9_EEENSB_IJS8_SA_EEENS0_18inequality_wrapperIZN2at6native12_GLOBAL__N_124unique_dim_cuda_templateIN3c104HalfEEESt5tupleIJNSF_6TensorESM_SM_EERKSM_lbbbEUlllE0_EEPmJS9_EEE10hipError_tPvRmT3_T4_T5_T6_T7_T9_mT8_P12ihipStream_tbDpT10_ENKUlT_T0_E_clISt17integral_constantIbLb0EES1C_EEDaS17_S18_EUlS17_E_NS1_11comp_targetILNS1_3genE3ELNS1_11target_archE908ELNS1_3gpuE7ELNS1_3repE0EEENS1_30default_config_static_selectorELNS0_4arch9wavefront6targetE1EEEvT1_,comdat
.Lfunc_end1340:
	.size	_ZN7rocprim17ROCPRIM_400000_NS6detail17trampoline_kernelINS0_14default_configENS1_25partition_config_selectorILNS1_17partition_subalgoE9EllbEEZZNS1_14partition_implILS5_9ELb0ES3_jPlS8_PNS0_10empty_typeENS0_5tupleIJS8_S9_EEENSB_IJS8_SA_EEENS0_18inequality_wrapperIZN2at6native12_GLOBAL__N_124unique_dim_cuda_templateIN3c104HalfEEESt5tupleIJNSF_6TensorESM_SM_EERKSM_lbbbEUlllE0_EEPmJS9_EEE10hipError_tPvRmT3_T4_T5_T6_T7_T9_mT8_P12ihipStream_tbDpT10_ENKUlT_T0_E_clISt17integral_constantIbLb0EES1C_EEDaS17_S18_EUlS17_E_NS1_11comp_targetILNS1_3genE3ELNS1_11target_archE908ELNS1_3gpuE7ELNS1_3repE0EEENS1_30default_config_static_selectorELNS0_4arch9wavefront6targetE1EEEvT1_, .Lfunc_end1340-_ZN7rocprim17ROCPRIM_400000_NS6detail17trampoline_kernelINS0_14default_configENS1_25partition_config_selectorILNS1_17partition_subalgoE9EllbEEZZNS1_14partition_implILS5_9ELb0ES3_jPlS8_PNS0_10empty_typeENS0_5tupleIJS8_S9_EEENSB_IJS8_SA_EEENS0_18inequality_wrapperIZN2at6native12_GLOBAL__N_124unique_dim_cuda_templateIN3c104HalfEEESt5tupleIJNSF_6TensorESM_SM_EERKSM_lbbbEUlllE0_EEPmJS9_EEE10hipError_tPvRmT3_T4_T5_T6_T7_T9_mT8_P12ihipStream_tbDpT10_ENKUlT_T0_E_clISt17integral_constantIbLb0EES1C_EEDaS17_S18_EUlS17_E_NS1_11comp_targetILNS1_3genE3ELNS1_11target_archE908ELNS1_3gpuE7ELNS1_3repE0EEENS1_30default_config_static_selectorELNS0_4arch9wavefront6targetE1EEEvT1_
                                        ; -- End function
	.section	.AMDGPU.csdata,"",@progbits
; Kernel info:
; codeLenInByte = 0
; NumSgprs: 6
; NumVgprs: 0
; NumAgprs: 0
; TotalNumVgprs: 0
; ScratchSize: 0
; MemoryBound: 0
; FloatMode: 240
; IeeeMode: 1
; LDSByteSize: 0 bytes/workgroup (compile time only)
; SGPRBlocks: 0
; VGPRBlocks: 0
; NumSGPRsForWavesPerEU: 6
; NumVGPRsForWavesPerEU: 1
; AccumOffset: 4
; Occupancy: 8
; WaveLimiterHint : 0
; COMPUTE_PGM_RSRC2:SCRATCH_EN: 0
; COMPUTE_PGM_RSRC2:USER_SGPR: 2
; COMPUTE_PGM_RSRC2:TRAP_HANDLER: 0
; COMPUTE_PGM_RSRC2:TGID_X_EN: 1
; COMPUTE_PGM_RSRC2:TGID_Y_EN: 0
; COMPUTE_PGM_RSRC2:TGID_Z_EN: 0
; COMPUTE_PGM_RSRC2:TIDIG_COMP_CNT: 0
; COMPUTE_PGM_RSRC3_GFX90A:ACCUM_OFFSET: 0
; COMPUTE_PGM_RSRC3_GFX90A:TG_SPLIT: 0
	.section	.text._ZN7rocprim17ROCPRIM_400000_NS6detail17trampoline_kernelINS0_14default_configENS1_25partition_config_selectorILNS1_17partition_subalgoE9EllbEEZZNS1_14partition_implILS5_9ELb0ES3_jPlS8_PNS0_10empty_typeENS0_5tupleIJS8_S9_EEENSB_IJS8_SA_EEENS0_18inequality_wrapperIZN2at6native12_GLOBAL__N_124unique_dim_cuda_templateIN3c104HalfEEESt5tupleIJNSF_6TensorESM_SM_EERKSM_lbbbEUlllE0_EEPmJS9_EEE10hipError_tPvRmT3_T4_T5_T6_T7_T9_mT8_P12ihipStream_tbDpT10_ENKUlT_T0_E_clISt17integral_constantIbLb0EES1C_EEDaS17_S18_EUlS17_E_NS1_11comp_targetILNS1_3genE2ELNS1_11target_archE906ELNS1_3gpuE6ELNS1_3repE0EEENS1_30default_config_static_selectorELNS0_4arch9wavefront6targetE1EEEvT1_,"axG",@progbits,_ZN7rocprim17ROCPRIM_400000_NS6detail17trampoline_kernelINS0_14default_configENS1_25partition_config_selectorILNS1_17partition_subalgoE9EllbEEZZNS1_14partition_implILS5_9ELb0ES3_jPlS8_PNS0_10empty_typeENS0_5tupleIJS8_S9_EEENSB_IJS8_SA_EEENS0_18inequality_wrapperIZN2at6native12_GLOBAL__N_124unique_dim_cuda_templateIN3c104HalfEEESt5tupleIJNSF_6TensorESM_SM_EERKSM_lbbbEUlllE0_EEPmJS9_EEE10hipError_tPvRmT3_T4_T5_T6_T7_T9_mT8_P12ihipStream_tbDpT10_ENKUlT_T0_E_clISt17integral_constantIbLb0EES1C_EEDaS17_S18_EUlS17_E_NS1_11comp_targetILNS1_3genE2ELNS1_11target_archE906ELNS1_3gpuE6ELNS1_3repE0EEENS1_30default_config_static_selectorELNS0_4arch9wavefront6targetE1EEEvT1_,comdat
	.globl	_ZN7rocprim17ROCPRIM_400000_NS6detail17trampoline_kernelINS0_14default_configENS1_25partition_config_selectorILNS1_17partition_subalgoE9EllbEEZZNS1_14partition_implILS5_9ELb0ES3_jPlS8_PNS0_10empty_typeENS0_5tupleIJS8_S9_EEENSB_IJS8_SA_EEENS0_18inequality_wrapperIZN2at6native12_GLOBAL__N_124unique_dim_cuda_templateIN3c104HalfEEESt5tupleIJNSF_6TensorESM_SM_EERKSM_lbbbEUlllE0_EEPmJS9_EEE10hipError_tPvRmT3_T4_T5_T6_T7_T9_mT8_P12ihipStream_tbDpT10_ENKUlT_T0_E_clISt17integral_constantIbLb0EES1C_EEDaS17_S18_EUlS17_E_NS1_11comp_targetILNS1_3genE2ELNS1_11target_archE906ELNS1_3gpuE6ELNS1_3repE0EEENS1_30default_config_static_selectorELNS0_4arch9wavefront6targetE1EEEvT1_ ; -- Begin function _ZN7rocprim17ROCPRIM_400000_NS6detail17trampoline_kernelINS0_14default_configENS1_25partition_config_selectorILNS1_17partition_subalgoE9EllbEEZZNS1_14partition_implILS5_9ELb0ES3_jPlS8_PNS0_10empty_typeENS0_5tupleIJS8_S9_EEENSB_IJS8_SA_EEENS0_18inequality_wrapperIZN2at6native12_GLOBAL__N_124unique_dim_cuda_templateIN3c104HalfEEESt5tupleIJNSF_6TensorESM_SM_EERKSM_lbbbEUlllE0_EEPmJS9_EEE10hipError_tPvRmT3_T4_T5_T6_T7_T9_mT8_P12ihipStream_tbDpT10_ENKUlT_T0_E_clISt17integral_constantIbLb0EES1C_EEDaS17_S18_EUlS17_E_NS1_11comp_targetILNS1_3genE2ELNS1_11target_archE906ELNS1_3gpuE6ELNS1_3repE0EEENS1_30default_config_static_selectorELNS0_4arch9wavefront6targetE1EEEvT1_
	.p2align	8
	.type	_ZN7rocprim17ROCPRIM_400000_NS6detail17trampoline_kernelINS0_14default_configENS1_25partition_config_selectorILNS1_17partition_subalgoE9EllbEEZZNS1_14partition_implILS5_9ELb0ES3_jPlS8_PNS0_10empty_typeENS0_5tupleIJS8_S9_EEENSB_IJS8_SA_EEENS0_18inequality_wrapperIZN2at6native12_GLOBAL__N_124unique_dim_cuda_templateIN3c104HalfEEESt5tupleIJNSF_6TensorESM_SM_EERKSM_lbbbEUlllE0_EEPmJS9_EEE10hipError_tPvRmT3_T4_T5_T6_T7_T9_mT8_P12ihipStream_tbDpT10_ENKUlT_T0_E_clISt17integral_constantIbLb0EES1C_EEDaS17_S18_EUlS17_E_NS1_11comp_targetILNS1_3genE2ELNS1_11target_archE906ELNS1_3gpuE6ELNS1_3repE0EEENS1_30default_config_static_selectorELNS0_4arch9wavefront6targetE1EEEvT1_,@function
_ZN7rocprim17ROCPRIM_400000_NS6detail17trampoline_kernelINS0_14default_configENS1_25partition_config_selectorILNS1_17partition_subalgoE9EllbEEZZNS1_14partition_implILS5_9ELb0ES3_jPlS8_PNS0_10empty_typeENS0_5tupleIJS8_S9_EEENSB_IJS8_SA_EEENS0_18inequality_wrapperIZN2at6native12_GLOBAL__N_124unique_dim_cuda_templateIN3c104HalfEEESt5tupleIJNSF_6TensorESM_SM_EERKSM_lbbbEUlllE0_EEPmJS9_EEE10hipError_tPvRmT3_T4_T5_T6_T7_T9_mT8_P12ihipStream_tbDpT10_ENKUlT_T0_E_clISt17integral_constantIbLb0EES1C_EEDaS17_S18_EUlS17_E_NS1_11comp_targetILNS1_3genE2ELNS1_11target_archE906ELNS1_3gpuE6ELNS1_3repE0EEENS1_30default_config_static_selectorELNS0_4arch9wavefront6targetE1EEEvT1_: ; @_ZN7rocprim17ROCPRIM_400000_NS6detail17trampoline_kernelINS0_14default_configENS1_25partition_config_selectorILNS1_17partition_subalgoE9EllbEEZZNS1_14partition_implILS5_9ELb0ES3_jPlS8_PNS0_10empty_typeENS0_5tupleIJS8_S9_EEENSB_IJS8_SA_EEENS0_18inequality_wrapperIZN2at6native12_GLOBAL__N_124unique_dim_cuda_templateIN3c104HalfEEESt5tupleIJNSF_6TensorESM_SM_EERKSM_lbbbEUlllE0_EEPmJS9_EEE10hipError_tPvRmT3_T4_T5_T6_T7_T9_mT8_P12ihipStream_tbDpT10_ENKUlT_T0_E_clISt17integral_constantIbLb0EES1C_EEDaS17_S18_EUlS17_E_NS1_11comp_targetILNS1_3genE2ELNS1_11target_archE906ELNS1_3gpuE6ELNS1_3repE0EEENS1_30default_config_static_selectorELNS0_4arch9wavefront6targetE1EEEvT1_
; %bb.0:
	.section	.rodata,"a",@progbits
	.p2align	6, 0x0
	.amdhsa_kernel _ZN7rocprim17ROCPRIM_400000_NS6detail17trampoline_kernelINS0_14default_configENS1_25partition_config_selectorILNS1_17partition_subalgoE9EllbEEZZNS1_14partition_implILS5_9ELb0ES3_jPlS8_PNS0_10empty_typeENS0_5tupleIJS8_S9_EEENSB_IJS8_SA_EEENS0_18inequality_wrapperIZN2at6native12_GLOBAL__N_124unique_dim_cuda_templateIN3c104HalfEEESt5tupleIJNSF_6TensorESM_SM_EERKSM_lbbbEUlllE0_EEPmJS9_EEE10hipError_tPvRmT3_T4_T5_T6_T7_T9_mT8_P12ihipStream_tbDpT10_ENKUlT_T0_E_clISt17integral_constantIbLb0EES1C_EEDaS17_S18_EUlS17_E_NS1_11comp_targetILNS1_3genE2ELNS1_11target_archE906ELNS1_3gpuE6ELNS1_3repE0EEENS1_30default_config_static_selectorELNS0_4arch9wavefront6targetE1EEEvT1_
		.amdhsa_group_segment_fixed_size 0
		.amdhsa_private_segment_fixed_size 0
		.amdhsa_kernarg_size 120
		.amdhsa_user_sgpr_count 2
		.amdhsa_user_sgpr_dispatch_ptr 0
		.amdhsa_user_sgpr_queue_ptr 0
		.amdhsa_user_sgpr_kernarg_segment_ptr 1
		.amdhsa_user_sgpr_dispatch_id 0
		.amdhsa_user_sgpr_kernarg_preload_length 0
		.amdhsa_user_sgpr_kernarg_preload_offset 0
		.amdhsa_user_sgpr_private_segment_size 0
		.amdhsa_uses_dynamic_stack 0
		.amdhsa_enable_private_segment 0
		.amdhsa_system_sgpr_workgroup_id_x 1
		.amdhsa_system_sgpr_workgroup_id_y 0
		.amdhsa_system_sgpr_workgroup_id_z 0
		.amdhsa_system_sgpr_workgroup_info 0
		.amdhsa_system_vgpr_workitem_id 0
		.amdhsa_next_free_vgpr 1
		.amdhsa_next_free_sgpr 0
		.amdhsa_accum_offset 4
		.amdhsa_reserve_vcc 0
		.amdhsa_float_round_mode_32 0
		.amdhsa_float_round_mode_16_64 0
		.amdhsa_float_denorm_mode_32 3
		.amdhsa_float_denorm_mode_16_64 3
		.amdhsa_dx10_clamp 1
		.amdhsa_ieee_mode 1
		.amdhsa_fp16_overflow 0
		.amdhsa_tg_split 0
		.amdhsa_exception_fp_ieee_invalid_op 0
		.amdhsa_exception_fp_denorm_src 0
		.amdhsa_exception_fp_ieee_div_zero 0
		.amdhsa_exception_fp_ieee_overflow 0
		.amdhsa_exception_fp_ieee_underflow 0
		.amdhsa_exception_fp_ieee_inexact 0
		.amdhsa_exception_int_div_zero 0
	.end_amdhsa_kernel
	.section	.text._ZN7rocprim17ROCPRIM_400000_NS6detail17trampoline_kernelINS0_14default_configENS1_25partition_config_selectorILNS1_17partition_subalgoE9EllbEEZZNS1_14partition_implILS5_9ELb0ES3_jPlS8_PNS0_10empty_typeENS0_5tupleIJS8_S9_EEENSB_IJS8_SA_EEENS0_18inequality_wrapperIZN2at6native12_GLOBAL__N_124unique_dim_cuda_templateIN3c104HalfEEESt5tupleIJNSF_6TensorESM_SM_EERKSM_lbbbEUlllE0_EEPmJS9_EEE10hipError_tPvRmT3_T4_T5_T6_T7_T9_mT8_P12ihipStream_tbDpT10_ENKUlT_T0_E_clISt17integral_constantIbLb0EES1C_EEDaS17_S18_EUlS17_E_NS1_11comp_targetILNS1_3genE2ELNS1_11target_archE906ELNS1_3gpuE6ELNS1_3repE0EEENS1_30default_config_static_selectorELNS0_4arch9wavefront6targetE1EEEvT1_,"axG",@progbits,_ZN7rocprim17ROCPRIM_400000_NS6detail17trampoline_kernelINS0_14default_configENS1_25partition_config_selectorILNS1_17partition_subalgoE9EllbEEZZNS1_14partition_implILS5_9ELb0ES3_jPlS8_PNS0_10empty_typeENS0_5tupleIJS8_S9_EEENSB_IJS8_SA_EEENS0_18inequality_wrapperIZN2at6native12_GLOBAL__N_124unique_dim_cuda_templateIN3c104HalfEEESt5tupleIJNSF_6TensorESM_SM_EERKSM_lbbbEUlllE0_EEPmJS9_EEE10hipError_tPvRmT3_T4_T5_T6_T7_T9_mT8_P12ihipStream_tbDpT10_ENKUlT_T0_E_clISt17integral_constantIbLb0EES1C_EEDaS17_S18_EUlS17_E_NS1_11comp_targetILNS1_3genE2ELNS1_11target_archE906ELNS1_3gpuE6ELNS1_3repE0EEENS1_30default_config_static_selectorELNS0_4arch9wavefront6targetE1EEEvT1_,comdat
.Lfunc_end1341:
	.size	_ZN7rocprim17ROCPRIM_400000_NS6detail17trampoline_kernelINS0_14default_configENS1_25partition_config_selectorILNS1_17partition_subalgoE9EllbEEZZNS1_14partition_implILS5_9ELb0ES3_jPlS8_PNS0_10empty_typeENS0_5tupleIJS8_S9_EEENSB_IJS8_SA_EEENS0_18inequality_wrapperIZN2at6native12_GLOBAL__N_124unique_dim_cuda_templateIN3c104HalfEEESt5tupleIJNSF_6TensorESM_SM_EERKSM_lbbbEUlllE0_EEPmJS9_EEE10hipError_tPvRmT3_T4_T5_T6_T7_T9_mT8_P12ihipStream_tbDpT10_ENKUlT_T0_E_clISt17integral_constantIbLb0EES1C_EEDaS17_S18_EUlS17_E_NS1_11comp_targetILNS1_3genE2ELNS1_11target_archE906ELNS1_3gpuE6ELNS1_3repE0EEENS1_30default_config_static_selectorELNS0_4arch9wavefront6targetE1EEEvT1_, .Lfunc_end1341-_ZN7rocprim17ROCPRIM_400000_NS6detail17trampoline_kernelINS0_14default_configENS1_25partition_config_selectorILNS1_17partition_subalgoE9EllbEEZZNS1_14partition_implILS5_9ELb0ES3_jPlS8_PNS0_10empty_typeENS0_5tupleIJS8_S9_EEENSB_IJS8_SA_EEENS0_18inequality_wrapperIZN2at6native12_GLOBAL__N_124unique_dim_cuda_templateIN3c104HalfEEESt5tupleIJNSF_6TensorESM_SM_EERKSM_lbbbEUlllE0_EEPmJS9_EEE10hipError_tPvRmT3_T4_T5_T6_T7_T9_mT8_P12ihipStream_tbDpT10_ENKUlT_T0_E_clISt17integral_constantIbLb0EES1C_EEDaS17_S18_EUlS17_E_NS1_11comp_targetILNS1_3genE2ELNS1_11target_archE906ELNS1_3gpuE6ELNS1_3repE0EEENS1_30default_config_static_selectorELNS0_4arch9wavefront6targetE1EEEvT1_
                                        ; -- End function
	.section	.AMDGPU.csdata,"",@progbits
; Kernel info:
; codeLenInByte = 0
; NumSgprs: 6
; NumVgprs: 0
; NumAgprs: 0
; TotalNumVgprs: 0
; ScratchSize: 0
; MemoryBound: 0
; FloatMode: 240
; IeeeMode: 1
; LDSByteSize: 0 bytes/workgroup (compile time only)
; SGPRBlocks: 0
; VGPRBlocks: 0
; NumSGPRsForWavesPerEU: 6
; NumVGPRsForWavesPerEU: 1
; AccumOffset: 4
; Occupancy: 8
; WaveLimiterHint : 0
; COMPUTE_PGM_RSRC2:SCRATCH_EN: 0
; COMPUTE_PGM_RSRC2:USER_SGPR: 2
; COMPUTE_PGM_RSRC2:TRAP_HANDLER: 0
; COMPUTE_PGM_RSRC2:TGID_X_EN: 1
; COMPUTE_PGM_RSRC2:TGID_Y_EN: 0
; COMPUTE_PGM_RSRC2:TGID_Z_EN: 0
; COMPUTE_PGM_RSRC2:TIDIG_COMP_CNT: 0
; COMPUTE_PGM_RSRC3_GFX90A:ACCUM_OFFSET: 0
; COMPUTE_PGM_RSRC3_GFX90A:TG_SPLIT: 0
	.section	.text._ZN7rocprim17ROCPRIM_400000_NS6detail17trampoline_kernelINS0_14default_configENS1_25partition_config_selectorILNS1_17partition_subalgoE9EllbEEZZNS1_14partition_implILS5_9ELb0ES3_jPlS8_PNS0_10empty_typeENS0_5tupleIJS8_S9_EEENSB_IJS8_SA_EEENS0_18inequality_wrapperIZN2at6native12_GLOBAL__N_124unique_dim_cuda_templateIN3c104HalfEEESt5tupleIJNSF_6TensorESM_SM_EERKSM_lbbbEUlllE0_EEPmJS9_EEE10hipError_tPvRmT3_T4_T5_T6_T7_T9_mT8_P12ihipStream_tbDpT10_ENKUlT_T0_E_clISt17integral_constantIbLb0EES1C_EEDaS17_S18_EUlS17_E_NS1_11comp_targetILNS1_3genE10ELNS1_11target_archE1200ELNS1_3gpuE4ELNS1_3repE0EEENS1_30default_config_static_selectorELNS0_4arch9wavefront6targetE1EEEvT1_,"axG",@progbits,_ZN7rocprim17ROCPRIM_400000_NS6detail17trampoline_kernelINS0_14default_configENS1_25partition_config_selectorILNS1_17partition_subalgoE9EllbEEZZNS1_14partition_implILS5_9ELb0ES3_jPlS8_PNS0_10empty_typeENS0_5tupleIJS8_S9_EEENSB_IJS8_SA_EEENS0_18inequality_wrapperIZN2at6native12_GLOBAL__N_124unique_dim_cuda_templateIN3c104HalfEEESt5tupleIJNSF_6TensorESM_SM_EERKSM_lbbbEUlllE0_EEPmJS9_EEE10hipError_tPvRmT3_T4_T5_T6_T7_T9_mT8_P12ihipStream_tbDpT10_ENKUlT_T0_E_clISt17integral_constantIbLb0EES1C_EEDaS17_S18_EUlS17_E_NS1_11comp_targetILNS1_3genE10ELNS1_11target_archE1200ELNS1_3gpuE4ELNS1_3repE0EEENS1_30default_config_static_selectorELNS0_4arch9wavefront6targetE1EEEvT1_,comdat
	.globl	_ZN7rocprim17ROCPRIM_400000_NS6detail17trampoline_kernelINS0_14default_configENS1_25partition_config_selectorILNS1_17partition_subalgoE9EllbEEZZNS1_14partition_implILS5_9ELb0ES3_jPlS8_PNS0_10empty_typeENS0_5tupleIJS8_S9_EEENSB_IJS8_SA_EEENS0_18inequality_wrapperIZN2at6native12_GLOBAL__N_124unique_dim_cuda_templateIN3c104HalfEEESt5tupleIJNSF_6TensorESM_SM_EERKSM_lbbbEUlllE0_EEPmJS9_EEE10hipError_tPvRmT3_T4_T5_T6_T7_T9_mT8_P12ihipStream_tbDpT10_ENKUlT_T0_E_clISt17integral_constantIbLb0EES1C_EEDaS17_S18_EUlS17_E_NS1_11comp_targetILNS1_3genE10ELNS1_11target_archE1200ELNS1_3gpuE4ELNS1_3repE0EEENS1_30default_config_static_selectorELNS0_4arch9wavefront6targetE1EEEvT1_ ; -- Begin function _ZN7rocprim17ROCPRIM_400000_NS6detail17trampoline_kernelINS0_14default_configENS1_25partition_config_selectorILNS1_17partition_subalgoE9EllbEEZZNS1_14partition_implILS5_9ELb0ES3_jPlS8_PNS0_10empty_typeENS0_5tupleIJS8_S9_EEENSB_IJS8_SA_EEENS0_18inequality_wrapperIZN2at6native12_GLOBAL__N_124unique_dim_cuda_templateIN3c104HalfEEESt5tupleIJNSF_6TensorESM_SM_EERKSM_lbbbEUlllE0_EEPmJS9_EEE10hipError_tPvRmT3_T4_T5_T6_T7_T9_mT8_P12ihipStream_tbDpT10_ENKUlT_T0_E_clISt17integral_constantIbLb0EES1C_EEDaS17_S18_EUlS17_E_NS1_11comp_targetILNS1_3genE10ELNS1_11target_archE1200ELNS1_3gpuE4ELNS1_3repE0EEENS1_30default_config_static_selectorELNS0_4arch9wavefront6targetE1EEEvT1_
	.p2align	8
	.type	_ZN7rocprim17ROCPRIM_400000_NS6detail17trampoline_kernelINS0_14default_configENS1_25partition_config_selectorILNS1_17partition_subalgoE9EllbEEZZNS1_14partition_implILS5_9ELb0ES3_jPlS8_PNS0_10empty_typeENS0_5tupleIJS8_S9_EEENSB_IJS8_SA_EEENS0_18inequality_wrapperIZN2at6native12_GLOBAL__N_124unique_dim_cuda_templateIN3c104HalfEEESt5tupleIJNSF_6TensorESM_SM_EERKSM_lbbbEUlllE0_EEPmJS9_EEE10hipError_tPvRmT3_T4_T5_T6_T7_T9_mT8_P12ihipStream_tbDpT10_ENKUlT_T0_E_clISt17integral_constantIbLb0EES1C_EEDaS17_S18_EUlS17_E_NS1_11comp_targetILNS1_3genE10ELNS1_11target_archE1200ELNS1_3gpuE4ELNS1_3repE0EEENS1_30default_config_static_selectorELNS0_4arch9wavefront6targetE1EEEvT1_,@function
_ZN7rocprim17ROCPRIM_400000_NS6detail17trampoline_kernelINS0_14default_configENS1_25partition_config_selectorILNS1_17partition_subalgoE9EllbEEZZNS1_14partition_implILS5_9ELb0ES3_jPlS8_PNS0_10empty_typeENS0_5tupleIJS8_S9_EEENSB_IJS8_SA_EEENS0_18inequality_wrapperIZN2at6native12_GLOBAL__N_124unique_dim_cuda_templateIN3c104HalfEEESt5tupleIJNSF_6TensorESM_SM_EERKSM_lbbbEUlllE0_EEPmJS9_EEE10hipError_tPvRmT3_T4_T5_T6_T7_T9_mT8_P12ihipStream_tbDpT10_ENKUlT_T0_E_clISt17integral_constantIbLb0EES1C_EEDaS17_S18_EUlS17_E_NS1_11comp_targetILNS1_3genE10ELNS1_11target_archE1200ELNS1_3gpuE4ELNS1_3repE0EEENS1_30default_config_static_selectorELNS0_4arch9wavefront6targetE1EEEvT1_: ; @_ZN7rocprim17ROCPRIM_400000_NS6detail17trampoline_kernelINS0_14default_configENS1_25partition_config_selectorILNS1_17partition_subalgoE9EllbEEZZNS1_14partition_implILS5_9ELb0ES3_jPlS8_PNS0_10empty_typeENS0_5tupleIJS8_S9_EEENSB_IJS8_SA_EEENS0_18inequality_wrapperIZN2at6native12_GLOBAL__N_124unique_dim_cuda_templateIN3c104HalfEEESt5tupleIJNSF_6TensorESM_SM_EERKSM_lbbbEUlllE0_EEPmJS9_EEE10hipError_tPvRmT3_T4_T5_T6_T7_T9_mT8_P12ihipStream_tbDpT10_ENKUlT_T0_E_clISt17integral_constantIbLb0EES1C_EEDaS17_S18_EUlS17_E_NS1_11comp_targetILNS1_3genE10ELNS1_11target_archE1200ELNS1_3gpuE4ELNS1_3repE0EEENS1_30default_config_static_selectorELNS0_4arch9wavefront6targetE1EEEvT1_
; %bb.0:
	.section	.rodata,"a",@progbits
	.p2align	6, 0x0
	.amdhsa_kernel _ZN7rocprim17ROCPRIM_400000_NS6detail17trampoline_kernelINS0_14default_configENS1_25partition_config_selectorILNS1_17partition_subalgoE9EllbEEZZNS1_14partition_implILS5_9ELb0ES3_jPlS8_PNS0_10empty_typeENS0_5tupleIJS8_S9_EEENSB_IJS8_SA_EEENS0_18inequality_wrapperIZN2at6native12_GLOBAL__N_124unique_dim_cuda_templateIN3c104HalfEEESt5tupleIJNSF_6TensorESM_SM_EERKSM_lbbbEUlllE0_EEPmJS9_EEE10hipError_tPvRmT3_T4_T5_T6_T7_T9_mT8_P12ihipStream_tbDpT10_ENKUlT_T0_E_clISt17integral_constantIbLb0EES1C_EEDaS17_S18_EUlS17_E_NS1_11comp_targetILNS1_3genE10ELNS1_11target_archE1200ELNS1_3gpuE4ELNS1_3repE0EEENS1_30default_config_static_selectorELNS0_4arch9wavefront6targetE1EEEvT1_
		.amdhsa_group_segment_fixed_size 0
		.amdhsa_private_segment_fixed_size 0
		.amdhsa_kernarg_size 120
		.amdhsa_user_sgpr_count 2
		.amdhsa_user_sgpr_dispatch_ptr 0
		.amdhsa_user_sgpr_queue_ptr 0
		.amdhsa_user_sgpr_kernarg_segment_ptr 1
		.amdhsa_user_sgpr_dispatch_id 0
		.amdhsa_user_sgpr_kernarg_preload_length 0
		.amdhsa_user_sgpr_kernarg_preload_offset 0
		.amdhsa_user_sgpr_private_segment_size 0
		.amdhsa_uses_dynamic_stack 0
		.amdhsa_enable_private_segment 0
		.amdhsa_system_sgpr_workgroup_id_x 1
		.amdhsa_system_sgpr_workgroup_id_y 0
		.amdhsa_system_sgpr_workgroup_id_z 0
		.amdhsa_system_sgpr_workgroup_info 0
		.amdhsa_system_vgpr_workitem_id 0
		.amdhsa_next_free_vgpr 1
		.amdhsa_next_free_sgpr 0
		.amdhsa_accum_offset 4
		.amdhsa_reserve_vcc 0
		.amdhsa_float_round_mode_32 0
		.amdhsa_float_round_mode_16_64 0
		.amdhsa_float_denorm_mode_32 3
		.amdhsa_float_denorm_mode_16_64 3
		.amdhsa_dx10_clamp 1
		.amdhsa_ieee_mode 1
		.amdhsa_fp16_overflow 0
		.amdhsa_tg_split 0
		.amdhsa_exception_fp_ieee_invalid_op 0
		.amdhsa_exception_fp_denorm_src 0
		.amdhsa_exception_fp_ieee_div_zero 0
		.amdhsa_exception_fp_ieee_overflow 0
		.amdhsa_exception_fp_ieee_underflow 0
		.amdhsa_exception_fp_ieee_inexact 0
		.amdhsa_exception_int_div_zero 0
	.end_amdhsa_kernel
	.section	.text._ZN7rocprim17ROCPRIM_400000_NS6detail17trampoline_kernelINS0_14default_configENS1_25partition_config_selectorILNS1_17partition_subalgoE9EllbEEZZNS1_14partition_implILS5_9ELb0ES3_jPlS8_PNS0_10empty_typeENS0_5tupleIJS8_S9_EEENSB_IJS8_SA_EEENS0_18inequality_wrapperIZN2at6native12_GLOBAL__N_124unique_dim_cuda_templateIN3c104HalfEEESt5tupleIJNSF_6TensorESM_SM_EERKSM_lbbbEUlllE0_EEPmJS9_EEE10hipError_tPvRmT3_T4_T5_T6_T7_T9_mT8_P12ihipStream_tbDpT10_ENKUlT_T0_E_clISt17integral_constantIbLb0EES1C_EEDaS17_S18_EUlS17_E_NS1_11comp_targetILNS1_3genE10ELNS1_11target_archE1200ELNS1_3gpuE4ELNS1_3repE0EEENS1_30default_config_static_selectorELNS0_4arch9wavefront6targetE1EEEvT1_,"axG",@progbits,_ZN7rocprim17ROCPRIM_400000_NS6detail17trampoline_kernelINS0_14default_configENS1_25partition_config_selectorILNS1_17partition_subalgoE9EllbEEZZNS1_14partition_implILS5_9ELb0ES3_jPlS8_PNS0_10empty_typeENS0_5tupleIJS8_S9_EEENSB_IJS8_SA_EEENS0_18inequality_wrapperIZN2at6native12_GLOBAL__N_124unique_dim_cuda_templateIN3c104HalfEEESt5tupleIJNSF_6TensorESM_SM_EERKSM_lbbbEUlllE0_EEPmJS9_EEE10hipError_tPvRmT3_T4_T5_T6_T7_T9_mT8_P12ihipStream_tbDpT10_ENKUlT_T0_E_clISt17integral_constantIbLb0EES1C_EEDaS17_S18_EUlS17_E_NS1_11comp_targetILNS1_3genE10ELNS1_11target_archE1200ELNS1_3gpuE4ELNS1_3repE0EEENS1_30default_config_static_selectorELNS0_4arch9wavefront6targetE1EEEvT1_,comdat
.Lfunc_end1342:
	.size	_ZN7rocprim17ROCPRIM_400000_NS6detail17trampoline_kernelINS0_14default_configENS1_25partition_config_selectorILNS1_17partition_subalgoE9EllbEEZZNS1_14partition_implILS5_9ELb0ES3_jPlS8_PNS0_10empty_typeENS0_5tupleIJS8_S9_EEENSB_IJS8_SA_EEENS0_18inequality_wrapperIZN2at6native12_GLOBAL__N_124unique_dim_cuda_templateIN3c104HalfEEESt5tupleIJNSF_6TensorESM_SM_EERKSM_lbbbEUlllE0_EEPmJS9_EEE10hipError_tPvRmT3_T4_T5_T6_T7_T9_mT8_P12ihipStream_tbDpT10_ENKUlT_T0_E_clISt17integral_constantIbLb0EES1C_EEDaS17_S18_EUlS17_E_NS1_11comp_targetILNS1_3genE10ELNS1_11target_archE1200ELNS1_3gpuE4ELNS1_3repE0EEENS1_30default_config_static_selectorELNS0_4arch9wavefront6targetE1EEEvT1_, .Lfunc_end1342-_ZN7rocprim17ROCPRIM_400000_NS6detail17trampoline_kernelINS0_14default_configENS1_25partition_config_selectorILNS1_17partition_subalgoE9EllbEEZZNS1_14partition_implILS5_9ELb0ES3_jPlS8_PNS0_10empty_typeENS0_5tupleIJS8_S9_EEENSB_IJS8_SA_EEENS0_18inequality_wrapperIZN2at6native12_GLOBAL__N_124unique_dim_cuda_templateIN3c104HalfEEESt5tupleIJNSF_6TensorESM_SM_EERKSM_lbbbEUlllE0_EEPmJS9_EEE10hipError_tPvRmT3_T4_T5_T6_T7_T9_mT8_P12ihipStream_tbDpT10_ENKUlT_T0_E_clISt17integral_constantIbLb0EES1C_EEDaS17_S18_EUlS17_E_NS1_11comp_targetILNS1_3genE10ELNS1_11target_archE1200ELNS1_3gpuE4ELNS1_3repE0EEENS1_30default_config_static_selectorELNS0_4arch9wavefront6targetE1EEEvT1_
                                        ; -- End function
	.section	.AMDGPU.csdata,"",@progbits
; Kernel info:
; codeLenInByte = 0
; NumSgprs: 6
; NumVgprs: 0
; NumAgprs: 0
; TotalNumVgprs: 0
; ScratchSize: 0
; MemoryBound: 0
; FloatMode: 240
; IeeeMode: 1
; LDSByteSize: 0 bytes/workgroup (compile time only)
; SGPRBlocks: 0
; VGPRBlocks: 0
; NumSGPRsForWavesPerEU: 6
; NumVGPRsForWavesPerEU: 1
; AccumOffset: 4
; Occupancy: 8
; WaveLimiterHint : 0
; COMPUTE_PGM_RSRC2:SCRATCH_EN: 0
; COMPUTE_PGM_RSRC2:USER_SGPR: 2
; COMPUTE_PGM_RSRC2:TRAP_HANDLER: 0
; COMPUTE_PGM_RSRC2:TGID_X_EN: 1
; COMPUTE_PGM_RSRC2:TGID_Y_EN: 0
; COMPUTE_PGM_RSRC2:TGID_Z_EN: 0
; COMPUTE_PGM_RSRC2:TIDIG_COMP_CNT: 0
; COMPUTE_PGM_RSRC3_GFX90A:ACCUM_OFFSET: 0
; COMPUTE_PGM_RSRC3_GFX90A:TG_SPLIT: 0
	.section	.text._ZN7rocprim17ROCPRIM_400000_NS6detail17trampoline_kernelINS0_14default_configENS1_25partition_config_selectorILNS1_17partition_subalgoE9EllbEEZZNS1_14partition_implILS5_9ELb0ES3_jPlS8_PNS0_10empty_typeENS0_5tupleIJS8_S9_EEENSB_IJS8_SA_EEENS0_18inequality_wrapperIZN2at6native12_GLOBAL__N_124unique_dim_cuda_templateIN3c104HalfEEESt5tupleIJNSF_6TensorESM_SM_EERKSM_lbbbEUlllE0_EEPmJS9_EEE10hipError_tPvRmT3_T4_T5_T6_T7_T9_mT8_P12ihipStream_tbDpT10_ENKUlT_T0_E_clISt17integral_constantIbLb0EES1C_EEDaS17_S18_EUlS17_E_NS1_11comp_targetILNS1_3genE9ELNS1_11target_archE1100ELNS1_3gpuE3ELNS1_3repE0EEENS1_30default_config_static_selectorELNS0_4arch9wavefront6targetE1EEEvT1_,"axG",@progbits,_ZN7rocprim17ROCPRIM_400000_NS6detail17trampoline_kernelINS0_14default_configENS1_25partition_config_selectorILNS1_17partition_subalgoE9EllbEEZZNS1_14partition_implILS5_9ELb0ES3_jPlS8_PNS0_10empty_typeENS0_5tupleIJS8_S9_EEENSB_IJS8_SA_EEENS0_18inequality_wrapperIZN2at6native12_GLOBAL__N_124unique_dim_cuda_templateIN3c104HalfEEESt5tupleIJNSF_6TensorESM_SM_EERKSM_lbbbEUlllE0_EEPmJS9_EEE10hipError_tPvRmT3_T4_T5_T6_T7_T9_mT8_P12ihipStream_tbDpT10_ENKUlT_T0_E_clISt17integral_constantIbLb0EES1C_EEDaS17_S18_EUlS17_E_NS1_11comp_targetILNS1_3genE9ELNS1_11target_archE1100ELNS1_3gpuE3ELNS1_3repE0EEENS1_30default_config_static_selectorELNS0_4arch9wavefront6targetE1EEEvT1_,comdat
	.globl	_ZN7rocprim17ROCPRIM_400000_NS6detail17trampoline_kernelINS0_14default_configENS1_25partition_config_selectorILNS1_17partition_subalgoE9EllbEEZZNS1_14partition_implILS5_9ELb0ES3_jPlS8_PNS0_10empty_typeENS0_5tupleIJS8_S9_EEENSB_IJS8_SA_EEENS0_18inequality_wrapperIZN2at6native12_GLOBAL__N_124unique_dim_cuda_templateIN3c104HalfEEESt5tupleIJNSF_6TensorESM_SM_EERKSM_lbbbEUlllE0_EEPmJS9_EEE10hipError_tPvRmT3_T4_T5_T6_T7_T9_mT8_P12ihipStream_tbDpT10_ENKUlT_T0_E_clISt17integral_constantIbLb0EES1C_EEDaS17_S18_EUlS17_E_NS1_11comp_targetILNS1_3genE9ELNS1_11target_archE1100ELNS1_3gpuE3ELNS1_3repE0EEENS1_30default_config_static_selectorELNS0_4arch9wavefront6targetE1EEEvT1_ ; -- Begin function _ZN7rocprim17ROCPRIM_400000_NS6detail17trampoline_kernelINS0_14default_configENS1_25partition_config_selectorILNS1_17partition_subalgoE9EllbEEZZNS1_14partition_implILS5_9ELb0ES3_jPlS8_PNS0_10empty_typeENS0_5tupleIJS8_S9_EEENSB_IJS8_SA_EEENS0_18inequality_wrapperIZN2at6native12_GLOBAL__N_124unique_dim_cuda_templateIN3c104HalfEEESt5tupleIJNSF_6TensorESM_SM_EERKSM_lbbbEUlllE0_EEPmJS9_EEE10hipError_tPvRmT3_T4_T5_T6_T7_T9_mT8_P12ihipStream_tbDpT10_ENKUlT_T0_E_clISt17integral_constantIbLb0EES1C_EEDaS17_S18_EUlS17_E_NS1_11comp_targetILNS1_3genE9ELNS1_11target_archE1100ELNS1_3gpuE3ELNS1_3repE0EEENS1_30default_config_static_selectorELNS0_4arch9wavefront6targetE1EEEvT1_
	.p2align	8
	.type	_ZN7rocprim17ROCPRIM_400000_NS6detail17trampoline_kernelINS0_14default_configENS1_25partition_config_selectorILNS1_17partition_subalgoE9EllbEEZZNS1_14partition_implILS5_9ELb0ES3_jPlS8_PNS0_10empty_typeENS0_5tupleIJS8_S9_EEENSB_IJS8_SA_EEENS0_18inequality_wrapperIZN2at6native12_GLOBAL__N_124unique_dim_cuda_templateIN3c104HalfEEESt5tupleIJNSF_6TensorESM_SM_EERKSM_lbbbEUlllE0_EEPmJS9_EEE10hipError_tPvRmT3_T4_T5_T6_T7_T9_mT8_P12ihipStream_tbDpT10_ENKUlT_T0_E_clISt17integral_constantIbLb0EES1C_EEDaS17_S18_EUlS17_E_NS1_11comp_targetILNS1_3genE9ELNS1_11target_archE1100ELNS1_3gpuE3ELNS1_3repE0EEENS1_30default_config_static_selectorELNS0_4arch9wavefront6targetE1EEEvT1_,@function
_ZN7rocprim17ROCPRIM_400000_NS6detail17trampoline_kernelINS0_14default_configENS1_25partition_config_selectorILNS1_17partition_subalgoE9EllbEEZZNS1_14partition_implILS5_9ELb0ES3_jPlS8_PNS0_10empty_typeENS0_5tupleIJS8_S9_EEENSB_IJS8_SA_EEENS0_18inequality_wrapperIZN2at6native12_GLOBAL__N_124unique_dim_cuda_templateIN3c104HalfEEESt5tupleIJNSF_6TensorESM_SM_EERKSM_lbbbEUlllE0_EEPmJS9_EEE10hipError_tPvRmT3_T4_T5_T6_T7_T9_mT8_P12ihipStream_tbDpT10_ENKUlT_T0_E_clISt17integral_constantIbLb0EES1C_EEDaS17_S18_EUlS17_E_NS1_11comp_targetILNS1_3genE9ELNS1_11target_archE1100ELNS1_3gpuE3ELNS1_3repE0EEENS1_30default_config_static_selectorELNS0_4arch9wavefront6targetE1EEEvT1_: ; @_ZN7rocprim17ROCPRIM_400000_NS6detail17trampoline_kernelINS0_14default_configENS1_25partition_config_selectorILNS1_17partition_subalgoE9EllbEEZZNS1_14partition_implILS5_9ELb0ES3_jPlS8_PNS0_10empty_typeENS0_5tupleIJS8_S9_EEENSB_IJS8_SA_EEENS0_18inequality_wrapperIZN2at6native12_GLOBAL__N_124unique_dim_cuda_templateIN3c104HalfEEESt5tupleIJNSF_6TensorESM_SM_EERKSM_lbbbEUlllE0_EEPmJS9_EEE10hipError_tPvRmT3_T4_T5_T6_T7_T9_mT8_P12ihipStream_tbDpT10_ENKUlT_T0_E_clISt17integral_constantIbLb0EES1C_EEDaS17_S18_EUlS17_E_NS1_11comp_targetILNS1_3genE9ELNS1_11target_archE1100ELNS1_3gpuE3ELNS1_3repE0EEENS1_30default_config_static_selectorELNS0_4arch9wavefront6targetE1EEEvT1_
; %bb.0:
	.section	.rodata,"a",@progbits
	.p2align	6, 0x0
	.amdhsa_kernel _ZN7rocprim17ROCPRIM_400000_NS6detail17trampoline_kernelINS0_14default_configENS1_25partition_config_selectorILNS1_17partition_subalgoE9EllbEEZZNS1_14partition_implILS5_9ELb0ES3_jPlS8_PNS0_10empty_typeENS0_5tupleIJS8_S9_EEENSB_IJS8_SA_EEENS0_18inequality_wrapperIZN2at6native12_GLOBAL__N_124unique_dim_cuda_templateIN3c104HalfEEESt5tupleIJNSF_6TensorESM_SM_EERKSM_lbbbEUlllE0_EEPmJS9_EEE10hipError_tPvRmT3_T4_T5_T6_T7_T9_mT8_P12ihipStream_tbDpT10_ENKUlT_T0_E_clISt17integral_constantIbLb0EES1C_EEDaS17_S18_EUlS17_E_NS1_11comp_targetILNS1_3genE9ELNS1_11target_archE1100ELNS1_3gpuE3ELNS1_3repE0EEENS1_30default_config_static_selectorELNS0_4arch9wavefront6targetE1EEEvT1_
		.amdhsa_group_segment_fixed_size 0
		.amdhsa_private_segment_fixed_size 0
		.amdhsa_kernarg_size 120
		.amdhsa_user_sgpr_count 2
		.amdhsa_user_sgpr_dispatch_ptr 0
		.amdhsa_user_sgpr_queue_ptr 0
		.amdhsa_user_sgpr_kernarg_segment_ptr 1
		.amdhsa_user_sgpr_dispatch_id 0
		.amdhsa_user_sgpr_kernarg_preload_length 0
		.amdhsa_user_sgpr_kernarg_preload_offset 0
		.amdhsa_user_sgpr_private_segment_size 0
		.amdhsa_uses_dynamic_stack 0
		.amdhsa_enable_private_segment 0
		.amdhsa_system_sgpr_workgroup_id_x 1
		.amdhsa_system_sgpr_workgroup_id_y 0
		.amdhsa_system_sgpr_workgroup_id_z 0
		.amdhsa_system_sgpr_workgroup_info 0
		.amdhsa_system_vgpr_workitem_id 0
		.amdhsa_next_free_vgpr 1
		.amdhsa_next_free_sgpr 0
		.amdhsa_accum_offset 4
		.amdhsa_reserve_vcc 0
		.amdhsa_float_round_mode_32 0
		.amdhsa_float_round_mode_16_64 0
		.amdhsa_float_denorm_mode_32 3
		.amdhsa_float_denorm_mode_16_64 3
		.amdhsa_dx10_clamp 1
		.amdhsa_ieee_mode 1
		.amdhsa_fp16_overflow 0
		.amdhsa_tg_split 0
		.amdhsa_exception_fp_ieee_invalid_op 0
		.amdhsa_exception_fp_denorm_src 0
		.amdhsa_exception_fp_ieee_div_zero 0
		.amdhsa_exception_fp_ieee_overflow 0
		.amdhsa_exception_fp_ieee_underflow 0
		.amdhsa_exception_fp_ieee_inexact 0
		.amdhsa_exception_int_div_zero 0
	.end_amdhsa_kernel
	.section	.text._ZN7rocprim17ROCPRIM_400000_NS6detail17trampoline_kernelINS0_14default_configENS1_25partition_config_selectorILNS1_17partition_subalgoE9EllbEEZZNS1_14partition_implILS5_9ELb0ES3_jPlS8_PNS0_10empty_typeENS0_5tupleIJS8_S9_EEENSB_IJS8_SA_EEENS0_18inequality_wrapperIZN2at6native12_GLOBAL__N_124unique_dim_cuda_templateIN3c104HalfEEESt5tupleIJNSF_6TensorESM_SM_EERKSM_lbbbEUlllE0_EEPmJS9_EEE10hipError_tPvRmT3_T4_T5_T6_T7_T9_mT8_P12ihipStream_tbDpT10_ENKUlT_T0_E_clISt17integral_constantIbLb0EES1C_EEDaS17_S18_EUlS17_E_NS1_11comp_targetILNS1_3genE9ELNS1_11target_archE1100ELNS1_3gpuE3ELNS1_3repE0EEENS1_30default_config_static_selectorELNS0_4arch9wavefront6targetE1EEEvT1_,"axG",@progbits,_ZN7rocprim17ROCPRIM_400000_NS6detail17trampoline_kernelINS0_14default_configENS1_25partition_config_selectorILNS1_17partition_subalgoE9EllbEEZZNS1_14partition_implILS5_9ELb0ES3_jPlS8_PNS0_10empty_typeENS0_5tupleIJS8_S9_EEENSB_IJS8_SA_EEENS0_18inequality_wrapperIZN2at6native12_GLOBAL__N_124unique_dim_cuda_templateIN3c104HalfEEESt5tupleIJNSF_6TensorESM_SM_EERKSM_lbbbEUlllE0_EEPmJS9_EEE10hipError_tPvRmT3_T4_T5_T6_T7_T9_mT8_P12ihipStream_tbDpT10_ENKUlT_T0_E_clISt17integral_constantIbLb0EES1C_EEDaS17_S18_EUlS17_E_NS1_11comp_targetILNS1_3genE9ELNS1_11target_archE1100ELNS1_3gpuE3ELNS1_3repE0EEENS1_30default_config_static_selectorELNS0_4arch9wavefront6targetE1EEEvT1_,comdat
.Lfunc_end1343:
	.size	_ZN7rocprim17ROCPRIM_400000_NS6detail17trampoline_kernelINS0_14default_configENS1_25partition_config_selectorILNS1_17partition_subalgoE9EllbEEZZNS1_14partition_implILS5_9ELb0ES3_jPlS8_PNS0_10empty_typeENS0_5tupleIJS8_S9_EEENSB_IJS8_SA_EEENS0_18inequality_wrapperIZN2at6native12_GLOBAL__N_124unique_dim_cuda_templateIN3c104HalfEEESt5tupleIJNSF_6TensorESM_SM_EERKSM_lbbbEUlllE0_EEPmJS9_EEE10hipError_tPvRmT3_T4_T5_T6_T7_T9_mT8_P12ihipStream_tbDpT10_ENKUlT_T0_E_clISt17integral_constantIbLb0EES1C_EEDaS17_S18_EUlS17_E_NS1_11comp_targetILNS1_3genE9ELNS1_11target_archE1100ELNS1_3gpuE3ELNS1_3repE0EEENS1_30default_config_static_selectorELNS0_4arch9wavefront6targetE1EEEvT1_, .Lfunc_end1343-_ZN7rocprim17ROCPRIM_400000_NS6detail17trampoline_kernelINS0_14default_configENS1_25partition_config_selectorILNS1_17partition_subalgoE9EllbEEZZNS1_14partition_implILS5_9ELb0ES3_jPlS8_PNS0_10empty_typeENS0_5tupleIJS8_S9_EEENSB_IJS8_SA_EEENS0_18inequality_wrapperIZN2at6native12_GLOBAL__N_124unique_dim_cuda_templateIN3c104HalfEEESt5tupleIJNSF_6TensorESM_SM_EERKSM_lbbbEUlllE0_EEPmJS9_EEE10hipError_tPvRmT3_T4_T5_T6_T7_T9_mT8_P12ihipStream_tbDpT10_ENKUlT_T0_E_clISt17integral_constantIbLb0EES1C_EEDaS17_S18_EUlS17_E_NS1_11comp_targetILNS1_3genE9ELNS1_11target_archE1100ELNS1_3gpuE3ELNS1_3repE0EEENS1_30default_config_static_selectorELNS0_4arch9wavefront6targetE1EEEvT1_
                                        ; -- End function
	.section	.AMDGPU.csdata,"",@progbits
; Kernel info:
; codeLenInByte = 0
; NumSgprs: 6
; NumVgprs: 0
; NumAgprs: 0
; TotalNumVgprs: 0
; ScratchSize: 0
; MemoryBound: 0
; FloatMode: 240
; IeeeMode: 1
; LDSByteSize: 0 bytes/workgroup (compile time only)
; SGPRBlocks: 0
; VGPRBlocks: 0
; NumSGPRsForWavesPerEU: 6
; NumVGPRsForWavesPerEU: 1
; AccumOffset: 4
; Occupancy: 8
; WaveLimiterHint : 0
; COMPUTE_PGM_RSRC2:SCRATCH_EN: 0
; COMPUTE_PGM_RSRC2:USER_SGPR: 2
; COMPUTE_PGM_RSRC2:TRAP_HANDLER: 0
; COMPUTE_PGM_RSRC2:TGID_X_EN: 1
; COMPUTE_PGM_RSRC2:TGID_Y_EN: 0
; COMPUTE_PGM_RSRC2:TGID_Z_EN: 0
; COMPUTE_PGM_RSRC2:TIDIG_COMP_CNT: 0
; COMPUTE_PGM_RSRC3_GFX90A:ACCUM_OFFSET: 0
; COMPUTE_PGM_RSRC3_GFX90A:TG_SPLIT: 0
	.section	.text._ZN7rocprim17ROCPRIM_400000_NS6detail17trampoline_kernelINS0_14default_configENS1_25partition_config_selectorILNS1_17partition_subalgoE9EllbEEZZNS1_14partition_implILS5_9ELb0ES3_jPlS8_PNS0_10empty_typeENS0_5tupleIJS8_S9_EEENSB_IJS8_SA_EEENS0_18inequality_wrapperIZN2at6native12_GLOBAL__N_124unique_dim_cuda_templateIN3c104HalfEEESt5tupleIJNSF_6TensorESM_SM_EERKSM_lbbbEUlllE0_EEPmJS9_EEE10hipError_tPvRmT3_T4_T5_T6_T7_T9_mT8_P12ihipStream_tbDpT10_ENKUlT_T0_E_clISt17integral_constantIbLb0EES1C_EEDaS17_S18_EUlS17_E_NS1_11comp_targetILNS1_3genE8ELNS1_11target_archE1030ELNS1_3gpuE2ELNS1_3repE0EEENS1_30default_config_static_selectorELNS0_4arch9wavefront6targetE1EEEvT1_,"axG",@progbits,_ZN7rocprim17ROCPRIM_400000_NS6detail17trampoline_kernelINS0_14default_configENS1_25partition_config_selectorILNS1_17partition_subalgoE9EllbEEZZNS1_14partition_implILS5_9ELb0ES3_jPlS8_PNS0_10empty_typeENS0_5tupleIJS8_S9_EEENSB_IJS8_SA_EEENS0_18inequality_wrapperIZN2at6native12_GLOBAL__N_124unique_dim_cuda_templateIN3c104HalfEEESt5tupleIJNSF_6TensorESM_SM_EERKSM_lbbbEUlllE0_EEPmJS9_EEE10hipError_tPvRmT3_T4_T5_T6_T7_T9_mT8_P12ihipStream_tbDpT10_ENKUlT_T0_E_clISt17integral_constantIbLb0EES1C_EEDaS17_S18_EUlS17_E_NS1_11comp_targetILNS1_3genE8ELNS1_11target_archE1030ELNS1_3gpuE2ELNS1_3repE0EEENS1_30default_config_static_selectorELNS0_4arch9wavefront6targetE1EEEvT1_,comdat
	.globl	_ZN7rocprim17ROCPRIM_400000_NS6detail17trampoline_kernelINS0_14default_configENS1_25partition_config_selectorILNS1_17partition_subalgoE9EllbEEZZNS1_14partition_implILS5_9ELb0ES3_jPlS8_PNS0_10empty_typeENS0_5tupleIJS8_S9_EEENSB_IJS8_SA_EEENS0_18inequality_wrapperIZN2at6native12_GLOBAL__N_124unique_dim_cuda_templateIN3c104HalfEEESt5tupleIJNSF_6TensorESM_SM_EERKSM_lbbbEUlllE0_EEPmJS9_EEE10hipError_tPvRmT3_T4_T5_T6_T7_T9_mT8_P12ihipStream_tbDpT10_ENKUlT_T0_E_clISt17integral_constantIbLb0EES1C_EEDaS17_S18_EUlS17_E_NS1_11comp_targetILNS1_3genE8ELNS1_11target_archE1030ELNS1_3gpuE2ELNS1_3repE0EEENS1_30default_config_static_selectorELNS0_4arch9wavefront6targetE1EEEvT1_ ; -- Begin function _ZN7rocprim17ROCPRIM_400000_NS6detail17trampoline_kernelINS0_14default_configENS1_25partition_config_selectorILNS1_17partition_subalgoE9EllbEEZZNS1_14partition_implILS5_9ELb0ES3_jPlS8_PNS0_10empty_typeENS0_5tupleIJS8_S9_EEENSB_IJS8_SA_EEENS0_18inequality_wrapperIZN2at6native12_GLOBAL__N_124unique_dim_cuda_templateIN3c104HalfEEESt5tupleIJNSF_6TensorESM_SM_EERKSM_lbbbEUlllE0_EEPmJS9_EEE10hipError_tPvRmT3_T4_T5_T6_T7_T9_mT8_P12ihipStream_tbDpT10_ENKUlT_T0_E_clISt17integral_constantIbLb0EES1C_EEDaS17_S18_EUlS17_E_NS1_11comp_targetILNS1_3genE8ELNS1_11target_archE1030ELNS1_3gpuE2ELNS1_3repE0EEENS1_30default_config_static_selectorELNS0_4arch9wavefront6targetE1EEEvT1_
	.p2align	8
	.type	_ZN7rocprim17ROCPRIM_400000_NS6detail17trampoline_kernelINS0_14default_configENS1_25partition_config_selectorILNS1_17partition_subalgoE9EllbEEZZNS1_14partition_implILS5_9ELb0ES3_jPlS8_PNS0_10empty_typeENS0_5tupleIJS8_S9_EEENSB_IJS8_SA_EEENS0_18inequality_wrapperIZN2at6native12_GLOBAL__N_124unique_dim_cuda_templateIN3c104HalfEEESt5tupleIJNSF_6TensorESM_SM_EERKSM_lbbbEUlllE0_EEPmJS9_EEE10hipError_tPvRmT3_T4_T5_T6_T7_T9_mT8_P12ihipStream_tbDpT10_ENKUlT_T0_E_clISt17integral_constantIbLb0EES1C_EEDaS17_S18_EUlS17_E_NS1_11comp_targetILNS1_3genE8ELNS1_11target_archE1030ELNS1_3gpuE2ELNS1_3repE0EEENS1_30default_config_static_selectorELNS0_4arch9wavefront6targetE1EEEvT1_,@function
_ZN7rocprim17ROCPRIM_400000_NS6detail17trampoline_kernelINS0_14default_configENS1_25partition_config_selectorILNS1_17partition_subalgoE9EllbEEZZNS1_14partition_implILS5_9ELb0ES3_jPlS8_PNS0_10empty_typeENS0_5tupleIJS8_S9_EEENSB_IJS8_SA_EEENS0_18inequality_wrapperIZN2at6native12_GLOBAL__N_124unique_dim_cuda_templateIN3c104HalfEEESt5tupleIJNSF_6TensorESM_SM_EERKSM_lbbbEUlllE0_EEPmJS9_EEE10hipError_tPvRmT3_T4_T5_T6_T7_T9_mT8_P12ihipStream_tbDpT10_ENKUlT_T0_E_clISt17integral_constantIbLb0EES1C_EEDaS17_S18_EUlS17_E_NS1_11comp_targetILNS1_3genE8ELNS1_11target_archE1030ELNS1_3gpuE2ELNS1_3repE0EEENS1_30default_config_static_selectorELNS0_4arch9wavefront6targetE1EEEvT1_: ; @_ZN7rocprim17ROCPRIM_400000_NS6detail17trampoline_kernelINS0_14default_configENS1_25partition_config_selectorILNS1_17partition_subalgoE9EllbEEZZNS1_14partition_implILS5_9ELb0ES3_jPlS8_PNS0_10empty_typeENS0_5tupleIJS8_S9_EEENSB_IJS8_SA_EEENS0_18inequality_wrapperIZN2at6native12_GLOBAL__N_124unique_dim_cuda_templateIN3c104HalfEEESt5tupleIJNSF_6TensorESM_SM_EERKSM_lbbbEUlllE0_EEPmJS9_EEE10hipError_tPvRmT3_T4_T5_T6_T7_T9_mT8_P12ihipStream_tbDpT10_ENKUlT_T0_E_clISt17integral_constantIbLb0EES1C_EEDaS17_S18_EUlS17_E_NS1_11comp_targetILNS1_3genE8ELNS1_11target_archE1030ELNS1_3gpuE2ELNS1_3repE0EEENS1_30default_config_static_selectorELNS0_4arch9wavefront6targetE1EEEvT1_
; %bb.0:
	.section	.rodata,"a",@progbits
	.p2align	6, 0x0
	.amdhsa_kernel _ZN7rocprim17ROCPRIM_400000_NS6detail17trampoline_kernelINS0_14default_configENS1_25partition_config_selectorILNS1_17partition_subalgoE9EllbEEZZNS1_14partition_implILS5_9ELb0ES3_jPlS8_PNS0_10empty_typeENS0_5tupleIJS8_S9_EEENSB_IJS8_SA_EEENS0_18inequality_wrapperIZN2at6native12_GLOBAL__N_124unique_dim_cuda_templateIN3c104HalfEEESt5tupleIJNSF_6TensorESM_SM_EERKSM_lbbbEUlllE0_EEPmJS9_EEE10hipError_tPvRmT3_T4_T5_T6_T7_T9_mT8_P12ihipStream_tbDpT10_ENKUlT_T0_E_clISt17integral_constantIbLb0EES1C_EEDaS17_S18_EUlS17_E_NS1_11comp_targetILNS1_3genE8ELNS1_11target_archE1030ELNS1_3gpuE2ELNS1_3repE0EEENS1_30default_config_static_selectorELNS0_4arch9wavefront6targetE1EEEvT1_
		.amdhsa_group_segment_fixed_size 0
		.amdhsa_private_segment_fixed_size 0
		.amdhsa_kernarg_size 120
		.amdhsa_user_sgpr_count 2
		.amdhsa_user_sgpr_dispatch_ptr 0
		.amdhsa_user_sgpr_queue_ptr 0
		.amdhsa_user_sgpr_kernarg_segment_ptr 1
		.amdhsa_user_sgpr_dispatch_id 0
		.amdhsa_user_sgpr_kernarg_preload_length 0
		.amdhsa_user_sgpr_kernarg_preload_offset 0
		.amdhsa_user_sgpr_private_segment_size 0
		.amdhsa_uses_dynamic_stack 0
		.amdhsa_enable_private_segment 0
		.amdhsa_system_sgpr_workgroup_id_x 1
		.amdhsa_system_sgpr_workgroup_id_y 0
		.amdhsa_system_sgpr_workgroup_id_z 0
		.amdhsa_system_sgpr_workgroup_info 0
		.amdhsa_system_vgpr_workitem_id 0
		.amdhsa_next_free_vgpr 1
		.amdhsa_next_free_sgpr 0
		.amdhsa_accum_offset 4
		.amdhsa_reserve_vcc 0
		.amdhsa_float_round_mode_32 0
		.amdhsa_float_round_mode_16_64 0
		.amdhsa_float_denorm_mode_32 3
		.amdhsa_float_denorm_mode_16_64 3
		.amdhsa_dx10_clamp 1
		.amdhsa_ieee_mode 1
		.amdhsa_fp16_overflow 0
		.amdhsa_tg_split 0
		.amdhsa_exception_fp_ieee_invalid_op 0
		.amdhsa_exception_fp_denorm_src 0
		.amdhsa_exception_fp_ieee_div_zero 0
		.amdhsa_exception_fp_ieee_overflow 0
		.amdhsa_exception_fp_ieee_underflow 0
		.amdhsa_exception_fp_ieee_inexact 0
		.amdhsa_exception_int_div_zero 0
	.end_amdhsa_kernel
	.section	.text._ZN7rocprim17ROCPRIM_400000_NS6detail17trampoline_kernelINS0_14default_configENS1_25partition_config_selectorILNS1_17partition_subalgoE9EllbEEZZNS1_14partition_implILS5_9ELb0ES3_jPlS8_PNS0_10empty_typeENS0_5tupleIJS8_S9_EEENSB_IJS8_SA_EEENS0_18inequality_wrapperIZN2at6native12_GLOBAL__N_124unique_dim_cuda_templateIN3c104HalfEEESt5tupleIJNSF_6TensorESM_SM_EERKSM_lbbbEUlllE0_EEPmJS9_EEE10hipError_tPvRmT3_T4_T5_T6_T7_T9_mT8_P12ihipStream_tbDpT10_ENKUlT_T0_E_clISt17integral_constantIbLb0EES1C_EEDaS17_S18_EUlS17_E_NS1_11comp_targetILNS1_3genE8ELNS1_11target_archE1030ELNS1_3gpuE2ELNS1_3repE0EEENS1_30default_config_static_selectorELNS0_4arch9wavefront6targetE1EEEvT1_,"axG",@progbits,_ZN7rocprim17ROCPRIM_400000_NS6detail17trampoline_kernelINS0_14default_configENS1_25partition_config_selectorILNS1_17partition_subalgoE9EllbEEZZNS1_14partition_implILS5_9ELb0ES3_jPlS8_PNS0_10empty_typeENS0_5tupleIJS8_S9_EEENSB_IJS8_SA_EEENS0_18inequality_wrapperIZN2at6native12_GLOBAL__N_124unique_dim_cuda_templateIN3c104HalfEEESt5tupleIJNSF_6TensorESM_SM_EERKSM_lbbbEUlllE0_EEPmJS9_EEE10hipError_tPvRmT3_T4_T5_T6_T7_T9_mT8_P12ihipStream_tbDpT10_ENKUlT_T0_E_clISt17integral_constantIbLb0EES1C_EEDaS17_S18_EUlS17_E_NS1_11comp_targetILNS1_3genE8ELNS1_11target_archE1030ELNS1_3gpuE2ELNS1_3repE0EEENS1_30default_config_static_selectorELNS0_4arch9wavefront6targetE1EEEvT1_,comdat
.Lfunc_end1344:
	.size	_ZN7rocprim17ROCPRIM_400000_NS6detail17trampoline_kernelINS0_14default_configENS1_25partition_config_selectorILNS1_17partition_subalgoE9EllbEEZZNS1_14partition_implILS5_9ELb0ES3_jPlS8_PNS0_10empty_typeENS0_5tupleIJS8_S9_EEENSB_IJS8_SA_EEENS0_18inequality_wrapperIZN2at6native12_GLOBAL__N_124unique_dim_cuda_templateIN3c104HalfEEESt5tupleIJNSF_6TensorESM_SM_EERKSM_lbbbEUlllE0_EEPmJS9_EEE10hipError_tPvRmT3_T4_T5_T6_T7_T9_mT8_P12ihipStream_tbDpT10_ENKUlT_T0_E_clISt17integral_constantIbLb0EES1C_EEDaS17_S18_EUlS17_E_NS1_11comp_targetILNS1_3genE8ELNS1_11target_archE1030ELNS1_3gpuE2ELNS1_3repE0EEENS1_30default_config_static_selectorELNS0_4arch9wavefront6targetE1EEEvT1_, .Lfunc_end1344-_ZN7rocprim17ROCPRIM_400000_NS6detail17trampoline_kernelINS0_14default_configENS1_25partition_config_selectorILNS1_17partition_subalgoE9EllbEEZZNS1_14partition_implILS5_9ELb0ES3_jPlS8_PNS0_10empty_typeENS0_5tupleIJS8_S9_EEENSB_IJS8_SA_EEENS0_18inequality_wrapperIZN2at6native12_GLOBAL__N_124unique_dim_cuda_templateIN3c104HalfEEESt5tupleIJNSF_6TensorESM_SM_EERKSM_lbbbEUlllE0_EEPmJS9_EEE10hipError_tPvRmT3_T4_T5_T6_T7_T9_mT8_P12ihipStream_tbDpT10_ENKUlT_T0_E_clISt17integral_constantIbLb0EES1C_EEDaS17_S18_EUlS17_E_NS1_11comp_targetILNS1_3genE8ELNS1_11target_archE1030ELNS1_3gpuE2ELNS1_3repE0EEENS1_30default_config_static_selectorELNS0_4arch9wavefront6targetE1EEEvT1_
                                        ; -- End function
	.section	.AMDGPU.csdata,"",@progbits
; Kernel info:
; codeLenInByte = 0
; NumSgprs: 6
; NumVgprs: 0
; NumAgprs: 0
; TotalNumVgprs: 0
; ScratchSize: 0
; MemoryBound: 0
; FloatMode: 240
; IeeeMode: 1
; LDSByteSize: 0 bytes/workgroup (compile time only)
; SGPRBlocks: 0
; VGPRBlocks: 0
; NumSGPRsForWavesPerEU: 6
; NumVGPRsForWavesPerEU: 1
; AccumOffset: 4
; Occupancy: 8
; WaveLimiterHint : 0
; COMPUTE_PGM_RSRC2:SCRATCH_EN: 0
; COMPUTE_PGM_RSRC2:USER_SGPR: 2
; COMPUTE_PGM_RSRC2:TRAP_HANDLER: 0
; COMPUTE_PGM_RSRC2:TGID_X_EN: 1
; COMPUTE_PGM_RSRC2:TGID_Y_EN: 0
; COMPUTE_PGM_RSRC2:TGID_Z_EN: 0
; COMPUTE_PGM_RSRC2:TIDIG_COMP_CNT: 0
; COMPUTE_PGM_RSRC3_GFX90A:ACCUM_OFFSET: 0
; COMPUTE_PGM_RSRC3_GFX90A:TG_SPLIT: 0
	.section	.text._ZN7rocprim17ROCPRIM_400000_NS6detail17trampoline_kernelINS0_14default_configENS1_25partition_config_selectorILNS1_17partition_subalgoE9EllbEEZZNS1_14partition_implILS5_9ELb0ES3_jPlS8_PNS0_10empty_typeENS0_5tupleIJS8_S9_EEENSB_IJS8_SA_EEENS0_18inequality_wrapperIZN2at6native12_GLOBAL__N_124unique_dim_cuda_templateIN3c104HalfEEESt5tupleIJNSF_6TensorESM_SM_EERKSM_lbbbEUlllE0_EEPmJS9_EEE10hipError_tPvRmT3_T4_T5_T6_T7_T9_mT8_P12ihipStream_tbDpT10_ENKUlT_T0_E_clISt17integral_constantIbLb1EES1C_EEDaS17_S18_EUlS17_E_NS1_11comp_targetILNS1_3genE0ELNS1_11target_archE4294967295ELNS1_3gpuE0ELNS1_3repE0EEENS1_30default_config_static_selectorELNS0_4arch9wavefront6targetE1EEEvT1_,"axG",@progbits,_ZN7rocprim17ROCPRIM_400000_NS6detail17trampoline_kernelINS0_14default_configENS1_25partition_config_selectorILNS1_17partition_subalgoE9EllbEEZZNS1_14partition_implILS5_9ELb0ES3_jPlS8_PNS0_10empty_typeENS0_5tupleIJS8_S9_EEENSB_IJS8_SA_EEENS0_18inequality_wrapperIZN2at6native12_GLOBAL__N_124unique_dim_cuda_templateIN3c104HalfEEESt5tupleIJNSF_6TensorESM_SM_EERKSM_lbbbEUlllE0_EEPmJS9_EEE10hipError_tPvRmT3_T4_T5_T6_T7_T9_mT8_P12ihipStream_tbDpT10_ENKUlT_T0_E_clISt17integral_constantIbLb1EES1C_EEDaS17_S18_EUlS17_E_NS1_11comp_targetILNS1_3genE0ELNS1_11target_archE4294967295ELNS1_3gpuE0ELNS1_3repE0EEENS1_30default_config_static_selectorELNS0_4arch9wavefront6targetE1EEEvT1_,comdat
	.globl	_ZN7rocprim17ROCPRIM_400000_NS6detail17trampoline_kernelINS0_14default_configENS1_25partition_config_selectorILNS1_17partition_subalgoE9EllbEEZZNS1_14partition_implILS5_9ELb0ES3_jPlS8_PNS0_10empty_typeENS0_5tupleIJS8_S9_EEENSB_IJS8_SA_EEENS0_18inequality_wrapperIZN2at6native12_GLOBAL__N_124unique_dim_cuda_templateIN3c104HalfEEESt5tupleIJNSF_6TensorESM_SM_EERKSM_lbbbEUlllE0_EEPmJS9_EEE10hipError_tPvRmT3_T4_T5_T6_T7_T9_mT8_P12ihipStream_tbDpT10_ENKUlT_T0_E_clISt17integral_constantIbLb1EES1C_EEDaS17_S18_EUlS17_E_NS1_11comp_targetILNS1_3genE0ELNS1_11target_archE4294967295ELNS1_3gpuE0ELNS1_3repE0EEENS1_30default_config_static_selectorELNS0_4arch9wavefront6targetE1EEEvT1_ ; -- Begin function _ZN7rocprim17ROCPRIM_400000_NS6detail17trampoline_kernelINS0_14default_configENS1_25partition_config_selectorILNS1_17partition_subalgoE9EllbEEZZNS1_14partition_implILS5_9ELb0ES3_jPlS8_PNS0_10empty_typeENS0_5tupleIJS8_S9_EEENSB_IJS8_SA_EEENS0_18inequality_wrapperIZN2at6native12_GLOBAL__N_124unique_dim_cuda_templateIN3c104HalfEEESt5tupleIJNSF_6TensorESM_SM_EERKSM_lbbbEUlllE0_EEPmJS9_EEE10hipError_tPvRmT3_T4_T5_T6_T7_T9_mT8_P12ihipStream_tbDpT10_ENKUlT_T0_E_clISt17integral_constantIbLb1EES1C_EEDaS17_S18_EUlS17_E_NS1_11comp_targetILNS1_3genE0ELNS1_11target_archE4294967295ELNS1_3gpuE0ELNS1_3repE0EEENS1_30default_config_static_selectorELNS0_4arch9wavefront6targetE1EEEvT1_
	.p2align	8
	.type	_ZN7rocprim17ROCPRIM_400000_NS6detail17trampoline_kernelINS0_14default_configENS1_25partition_config_selectorILNS1_17partition_subalgoE9EllbEEZZNS1_14partition_implILS5_9ELb0ES3_jPlS8_PNS0_10empty_typeENS0_5tupleIJS8_S9_EEENSB_IJS8_SA_EEENS0_18inequality_wrapperIZN2at6native12_GLOBAL__N_124unique_dim_cuda_templateIN3c104HalfEEESt5tupleIJNSF_6TensorESM_SM_EERKSM_lbbbEUlllE0_EEPmJS9_EEE10hipError_tPvRmT3_T4_T5_T6_T7_T9_mT8_P12ihipStream_tbDpT10_ENKUlT_T0_E_clISt17integral_constantIbLb1EES1C_EEDaS17_S18_EUlS17_E_NS1_11comp_targetILNS1_3genE0ELNS1_11target_archE4294967295ELNS1_3gpuE0ELNS1_3repE0EEENS1_30default_config_static_selectorELNS0_4arch9wavefront6targetE1EEEvT1_,@function
_ZN7rocprim17ROCPRIM_400000_NS6detail17trampoline_kernelINS0_14default_configENS1_25partition_config_selectorILNS1_17partition_subalgoE9EllbEEZZNS1_14partition_implILS5_9ELb0ES3_jPlS8_PNS0_10empty_typeENS0_5tupleIJS8_S9_EEENSB_IJS8_SA_EEENS0_18inequality_wrapperIZN2at6native12_GLOBAL__N_124unique_dim_cuda_templateIN3c104HalfEEESt5tupleIJNSF_6TensorESM_SM_EERKSM_lbbbEUlllE0_EEPmJS9_EEE10hipError_tPvRmT3_T4_T5_T6_T7_T9_mT8_P12ihipStream_tbDpT10_ENKUlT_T0_E_clISt17integral_constantIbLb1EES1C_EEDaS17_S18_EUlS17_E_NS1_11comp_targetILNS1_3genE0ELNS1_11target_archE4294967295ELNS1_3gpuE0ELNS1_3repE0EEENS1_30default_config_static_selectorELNS0_4arch9wavefront6targetE1EEEvT1_: ; @_ZN7rocprim17ROCPRIM_400000_NS6detail17trampoline_kernelINS0_14default_configENS1_25partition_config_selectorILNS1_17partition_subalgoE9EllbEEZZNS1_14partition_implILS5_9ELb0ES3_jPlS8_PNS0_10empty_typeENS0_5tupleIJS8_S9_EEENSB_IJS8_SA_EEENS0_18inequality_wrapperIZN2at6native12_GLOBAL__N_124unique_dim_cuda_templateIN3c104HalfEEESt5tupleIJNSF_6TensorESM_SM_EERKSM_lbbbEUlllE0_EEPmJS9_EEE10hipError_tPvRmT3_T4_T5_T6_T7_T9_mT8_P12ihipStream_tbDpT10_ENKUlT_T0_E_clISt17integral_constantIbLb1EES1C_EEDaS17_S18_EUlS17_E_NS1_11comp_targetILNS1_3genE0ELNS1_11target_archE4294967295ELNS1_3gpuE0ELNS1_3repE0EEENS1_30default_config_static_selectorELNS0_4arch9wavefront6targetE1EEEvT1_
; %bb.0:
	.section	.rodata,"a",@progbits
	.p2align	6, 0x0
	.amdhsa_kernel _ZN7rocprim17ROCPRIM_400000_NS6detail17trampoline_kernelINS0_14default_configENS1_25partition_config_selectorILNS1_17partition_subalgoE9EllbEEZZNS1_14partition_implILS5_9ELb0ES3_jPlS8_PNS0_10empty_typeENS0_5tupleIJS8_S9_EEENSB_IJS8_SA_EEENS0_18inequality_wrapperIZN2at6native12_GLOBAL__N_124unique_dim_cuda_templateIN3c104HalfEEESt5tupleIJNSF_6TensorESM_SM_EERKSM_lbbbEUlllE0_EEPmJS9_EEE10hipError_tPvRmT3_T4_T5_T6_T7_T9_mT8_P12ihipStream_tbDpT10_ENKUlT_T0_E_clISt17integral_constantIbLb1EES1C_EEDaS17_S18_EUlS17_E_NS1_11comp_targetILNS1_3genE0ELNS1_11target_archE4294967295ELNS1_3gpuE0ELNS1_3repE0EEENS1_30default_config_static_selectorELNS0_4arch9wavefront6targetE1EEEvT1_
		.amdhsa_group_segment_fixed_size 0
		.amdhsa_private_segment_fixed_size 0
		.amdhsa_kernarg_size 136
		.amdhsa_user_sgpr_count 2
		.amdhsa_user_sgpr_dispatch_ptr 0
		.amdhsa_user_sgpr_queue_ptr 0
		.amdhsa_user_sgpr_kernarg_segment_ptr 1
		.amdhsa_user_sgpr_dispatch_id 0
		.amdhsa_user_sgpr_kernarg_preload_length 0
		.amdhsa_user_sgpr_kernarg_preload_offset 0
		.amdhsa_user_sgpr_private_segment_size 0
		.amdhsa_uses_dynamic_stack 0
		.amdhsa_enable_private_segment 0
		.amdhsa_system_sgpr_workgroup_id_x 1
		.amdhsa_system_sgpr_workgroup_id_y 0
		.amdhsa_system_sgpr_workgroup_id_z 0
		.amdhsa_system_sgpr_workgroup_info 0
		.amdhsa_system_vgpr_workitem_id 0
		.amdhsa_next_free_vgpr 1
		.amdhsa_next_free_sgpr 0
		.amdhsa_accum_offset 4
		.amdhsa_reserve_vcc 0
		.amdhsa_float_round_mode_32 0
		.amdhsa_float_round_mode_16_64 0
		.amdhsa_float_denorm_mode_32 3
		.amdhsa_float_denorm_mode_16_64 3
		.amdhsa_dx10_clamp 1
		.amdhsa_ieee_mode 1
		.amdhsa_fp16_overflow 0
		.amdhsa_tg_split 0
		.amdhsa_exception_fp_ieee_invalid_op 0
		.amdhsa_exception_fp_denorm_src 0
		.amdhsa_exception_fp_ieee_div_zero 0
		.amdhsa_exception_fp_ieee_overflow 0
		.amdhsa_exception_fp_ieee_underflow 0
		.amdhsa_exception_fp_ieee_inexact 0
		.amdhsa_exception_int_div_zero 0
	.end_amdhsa_kernel
	.section	.text._ZN7rocprim17ROCPRIM_400000_NS6detail17trampoline_kernelINS0_14default_configENS1_25partition_config_selectorILNS1_17partition_subalgoE9EllbEEZZNS1_14partition_implILS5_9ELb0ES3_jPlS8_PNS0_10empty_typeENS0_5tupleIJS8_S9_EEENSB_IJS8_SA_EEENS0_18inequality_wrapperIZN2at6native12_GLOBAL__N_124unique_dim_cuda_templateIN3c104HalfEEESt5tupleIJNSF_6TensorESM_SM_EERKSM_lbbbEUlllE0_EEPmJS9_EEE10hipError_tPvRmT3_T4_T5_T6_T7_T9_mT8_P12ihipStream_tbDpT10_ENKUlT_T0_E_clISt17integral_constantIbLb1EES1C_EEDaS17_S18_EUlS17_E_NS1_11comp_targetILNS1_3genE0ELNS1_11target_archE4294967295ELNS1_3gpuE0ELNS1_3repE0EEENS1_30default_config_static_selectorELNS0_4arch9wavefront6targetE1EEEvT1_,"axG",@progbits,_ZN7rocprim17ROCPRIM_400000_NS6detail17trampoline_kernelINS0_14default_configENS1_25partition_config_selectorILNS1_17partition_subalgoE9EllbEEZZNS1_14partition_implILS5_9ELb0ES3_jPlS8_PNS0_10empty_typeENS0_5tupleIJS8_S9_EEENSB_IJS8_SA_EEENS0_18inequality_wrapperIZN2at6native12_GLOBAL__N_124unique_dim_cuda_templateIN3c104HalfEEESt5tupleIJNSF_6TensorESM_SM_EERKSM_lbbbEUlllE0_EEPmJS9_EEE10hipError_tPvRmT3_T4_T5_T6_T7_T9_mT8_P12ihipStream_tbDpT10_ENKUlT_T0_E_clISt17integral_constantIbLb1EES1C_EEDaS17_S18_EUlS17_E_NS1_11comp_targetILNS1_3genE0ELNS1_11target_archE4294967295ELNS1_3gpuE0ELNS1_3repE0EEENS1_30default_config_static_selectorELNS0_4arch9wavefront6targetE1EEEvT1_,comdat
.Lfunc_end1345:
	.size	_ZN7rocprim17ROCPRIM_400000_NS6detail17trampoline_kernelINS0_14default_configENS1_25partition_config_selectorILNS1_17partition_subalgoE9EllbEEZZNS1_14partition_implILS5_9ELb0ES3_jPlS8_PNS0_10empty_typeENS0_5tupleIJS8_S9_EEENSB_IJS8_SA_EEENS0_18inequality_wrapperIZN2at6native12_GLOBAL__N_124unique_dim_cuda_templateIN3c104HalfEEESt5tupleIJNSF_6TensorESM_SM_EERKSM_lbbbEUlllE0_EEPmJS9_EEE10hipError_tPvRmT3_T4_T5_T6_T7_T9_mT8_P12ihipStream_tbDpT10_ENKUlT_T0_E_clISt17integral_constantIbLb1EES1C_EEDaS17_S18_EUlS17_E_NS1_11comp_targetILNS1_3genE0ELNS1_11target_archE4294967295ELNS1_3gpuE0ELNS1_3repE0EEENS1_30default_config_static_selectorELNS0_4arch9wavefront6targetE1EEEvT1_, .Lfunc_end1345-_ZN7rocprim17ROCPRIM_400000_NS6detail17trampoline_kernelINS0_14default_configENS1_25partition_config_selectorILNS1_17partition_subalgoE9EllbEEZZNS1_14partition_implILS5_9ELb0ES3_jPlS8_PNS0_10empty_typeENS0_5tupleIJS8_S9_EEENSB_IJS8_SA_EEENS0_18inequality_wrapperIZN2at6native12_GLOBAL__N_124unique_dim_cuda_templateIN3c104HalfEEESt5tupleIJNSF_6TensorESM_SM_EERKSM_lbbbEUlllE0_EEPmJS9_EEE10hipError_tPvRmT3_T4_T5_T6_T7_T9_mT8_P12ihipStream_tbDpT10_ENKUlT_T0_E_clISt17integral_constantIbLb1EES1C_EEDaS17_S18_EUlS17_E_NS1_11comp_targetILNS1_3genE0ELNS1_11target_archE4294967295ELNS1_3gpuE0ELNS1_3repE0EEENS1_30default_config_static_selectorELNS0_4arch9wavefront6targetE1EEEvT1_
                                        ; -- End function
	.section	.AMDGPU.csdata,"",@progbits
; Kernel info:
; codeLenInByte = 0
; NumSgprs: 6
; NumVgprs: 0
; NumAgprs: 0
; TotalNumVgprs: 0
; ScratchSize: 0
; MemoryBound: 0
; FloatMode: 240
; IeeeMode: 1
; LDSByteSize: 0 bytes/workgroup (compile time only)
; SGPRBlocks: 0
; VGPRBlocks: 0
; NumSGPRsForWavesPerEU: 6
; NumVGPRsForWavesPerEU: 1
; AccumOffset: 4
; Occupancy: 8
; WaveLimiterHint : 0
; COMPUTE_PGM_RSRC2:SCRATCH_EN: 0
; COMPUTE_PGM_RSRC2:USER_SGPR: 2
; COMPUTE_PGM_RSRC2:TRAP_HANDLER: 0
; COMPUTE_PGM_RSRC2:TGID_X_EN: 1
; COMPUTE_PGM_RSRC2:TGID_Y_EN: 0
; COMPUTE_PGM_RSRC2:TGID_Z_EN: 0
; COMPUTE_PGM_RSRC2:TIDIG_COMP_CNT: 0
; COMPUTE_PGM_RSRC3_GFX90A:ACCUM_OFFSET: 0
; COMPUTE_PGM_RSRC3_GFX90A:TG_SPLIT: 0
	.section	.text._ZN7rocprim17ROCPRIM_400000_NS6detail17trampoline_kernelINS0_14default_configENS1_25partition_config_selectorILNS1_17partition_subalgoE9EllbEEZZNS1_14partition_implILS5_9ELb0ES3_jPlS8_PNS0_10empty_typeENS0_5tupleIJS8_S9_EEENSB_IJS8_SA_EEENS0_18inequality_wrapperIZN2at6native12_GLOBAL__N_124unique_dim_cuda_templateIN3c104HalfEEESt5tupleIJNSF_6TensorESM_SM_EERKSM_lbbbEUlllE0_EEPmJS9_EEE10hipError_tPvRmT3_T4_T5_T6_T7_T9_mT8_P12ihipStream_tbDpT10_ENKUlT_T0_E_clISt17integral_constantIbLb1EES1C_EEDaS17_S18_EUlS17_E_NS1_11comp_targetILNS1_3genE5ELNS1_11target_archE942ELNS1_3gpuE9ELNS1_3repE0EEENS1_30default_config_static_selectorELNS0_4arch9wavefront6targetE1EEEvT1_,"axG",@progbits,_ZN7rocprim17ROCPRIM_400000_NS6detail17trampoline_kernelINS0_14default_configENS1_25partition_config_selectorILNS1_17partition_subalgoE9EllbEEZZNS1_14partition_implILS5_9ELb0ES3_jPlS8_PNS0_10empty_typeENS0_5tupleIJS8_S9_EEENSB_IJS8_SA_EEENS0_18inequality_wrapperIZN2at6native12_GLOBAL__N_124unique_dim_cuda_templateIN3c104HalfEEESt5tupleIJNSF_6TensorESM_SM_EERKSM_lbbbEUlllE0_EEPmJS9_EEE10hipError_tPvRmT3_T4_T5_T6_T7_T9_mT8_P12ihipStream_tbDpT10_ENKUlT_T0_E_clISt17integral_constantIbLb1EES1C_EEDaS17_S18_EUlS17_E_NS1_11comp_targetILNS1_3genE5ELNS1_11target_archE942ELNS1_3gpuE9ELNS1_3repE0EEENS1_30default_config_static_selectorELNS0_4arch9wavefront6targetE1EEEvT1_,comdat
	.globl	_ZN7rocprim17ROCPRIM_400000_NS6detail17trampoline_kernelINS0_14default_configENS1_25partition_config_selectorILNS1_17partition_subalgoE9EllbEEZZNS1_14partition_implILS5_9ELb0ES3_jPlS8_PNS0_10empty_typeENS0_5tupleIJS8_S9_EEENSB_IJS8_SA_EEENS0_18inequality_wrapperIZN2at6native12_GLOBAL__N_124unique_dim_cuda_templateIN3c104HalfEEESt5tupleIJNSF_6TensorESM_SM_EERKSM_lbbbEUlllE0_EEPmJS9_EEE10hipError_tPvRmT3_T4_T5_T6_T7_T9_mT8_P12ihipStream_tbDpT10_ENKUlT_T0_E_clISt17integral_constantIbLb1EES1C_EEDaS17_S18_EUlS17_E_NS1_11comp_targetILNS1_3genE5ELNS1_11target_archE942ELNS1_3gpuE9ELNS1_3repE0EEENS1_30default_config_static_selectorELNS0_4arch9wavefront6targetE1EEEvT1_ ; -- Begin function _ZN7rocprim17ROCPRIM_400000_NS6detail17trampoline_kernelINS0_14default_configENS1_25partition_config_selectorILNS1_17partition_subalgoE9EllbEEZZNS1_14partition_implILS5_9ELb0ES3_jPlS8_PNS0_10empty_typeENS0_5tupleIJS8_S9_EEENSB_IJS8_SA_EEENS0_18inequality_wrapperIZN2at6native12_GLOBAL__N_124unique_dim_cuda_templateIN3c104HalfEEESt5tupleIJNSF_6TensorESM_SM_EERKSM_lbbbEUlllE0_EEPmJS9_EEE10hipError_tPvRmT3_T4_T5_T6_T7_T9_mT8_P12ihipStream_tbDpT10_ENKUlT_T0_E_clISt17integral_constantIbLb1EES1C_EEDaS17_S18_EUlS17_E_NS1_11comp_targetILNS1_3genE5ELNS1_11target_archE942ELNS1_3gpuE9ELNS1_3repE0EEENS1_30default_config_static_selectorELNS0_4arch9wavefront6targetE1EEEvT1_
	.p2align	8
	.type	_ZN7rocprim17ROCPRIM_400000_NS6detail17trampoline_kernelINS0_14default_configENS1_25partition_config_selectorILNS1_17partition_subalgoE9EllbEEZZNS1_14partition_implILS5_9ELb0ES3_jPlS8_PNS0_10empty_typeENS0_5tupleIJS8_S9_EEENSB_IJS8_SA_EEENS0_18inequality_wrapperIZN2at6native12_GLOBAL__N_124unique_dim_cuda_templateIN3c104HalfEEESt5tupleIJNSF_6TensorESM_SM_EERKSM_lbbbEUlllE0_EEPmJS9_EEE10hipError_tPvRmT3_T4_T5_T6_T7_T9_mT8_P12ihipStream_tbDpT10_ENKUlT_T0_E_clISt17integral_constantIbLb1EES1C_EEDaS17_S18_EUlS17_E_NS1_11comp_targetILNS1_3genE5ELNS1_11target_archE942ELNS1_3gpuE9ELNS1_3repE0EEENS1_30default_config_static_selectorELNS0_4arch9wavefront6targetE1EEEvT1_,@function
_ZN7rocprim17ROCPRIM_400000_NS6detail17trampoline_kernelINS0_14default_configENS1_25partition_config_selectorILNS1_17partition_subalgoE9EllbEEZZNS1_14partition_implILS5_9ELb0ES3_jPlS8_PNS0_10empty_typeENS0_5tupleIJS8_S9_EEENSB_IJS8_SA_EEENS0_18inequality_wrapperIZN2at6native12_GLOBAL__N_124unique_dim_cuda_templateIN3c104HalfEEESt5tupleIJNSF_6TensorESM_SM_EERKSM_lbbbEUlllE0_EEPmJS9_EEE10hipError_tPvRmT3_T4_T5_T6_T7_T9_mT8_P12ihipStream_tbDpT10_ENKUlT_T0_E_clISt17integral_constantIbLb1EES1C_EEDaS17_S18_EUlS17_E_NS1_11comp_targetILNS1_3genE5ELNS1_11target_archE942ELNS1_3gpuE9ELNS1_3repE0EEENS1_30default_config_static_selectorELNS0_4arch9wavefront6targetE1EEEvT1_: ; @_ZN7rocprim17ROCPRIM_400000_NS6detail17trampoline_kernelINS0_14default_configENS1_25partition_config_selectorILNS1_17partition_subalgoE9EllbEEZZNS1_14partition_implILS5_9ELb0ES3_jPlS8_PNS0_10empty_typeENS0_5tupleIJS8_S9_EEENSB_IJS8_SA_EEENS0_18inequality_wrapperIZN2at6native12_GLOBAL__N_124unique_dim_cuda_templateIN3c104HalfEEESt5tupleIJNSF_6TensorESM_SM_EERKSM_lbbbEUlllE0_EEPmJS9_EEE10hipError_tPvRmT3_T4_T5_T6_T7_T9_mT8_P12ihipStream_tbDpT10_ENKUlT_T0_E_clISt17integral_constantIbLb1EES1C_EEDaS17_S18_EUlS17_E_NS1_11comp_targetILNS1_3genE5ELNS1_11target_archE942ELNS1_3gpuE9ELNS1_3repE0EEENS1_30default_config_static_selectorELNS0_4arch9wavefront6targetE1EEEvT1_
; %bb.0:
	s_load_dwordx4 s[4:7], s[0:1], 0x8
	s_load_dwordx2 s[10:11], s[0:1], 0x18
	s_load_dwordx8 s[20:27], s[0:1], 0x40
	s_load_dwordx4 s[36:39], s[0:1], 0x60
	v_cmp_ne_u32_e64 s[2:3], 0, v0
	v_cmp_eq_u32_e64 s[18:19], 0, v0
	s_and_saveexec_b64 s[8:9], s[18:19]
	s_cbranch_execz .LBB1346_4
; %bb.1:
	s_mov_b64 s[14:15], exec
	v_mbcnt_lo_u32_b32 v1, s14, 0
	v_mbcnt_hi_u32_b32 v1, s15, v1
	v_cmp_eq_u32_e32 vcc, 0, v1
                                        ; implicit-def: $vgpr2
	s_and_saveexec_b64 s[12:13], vcc
	s_cbranch_execz .LBB1346_3
; %bb.2:
	s_load_dwordx2 s[16:17], s[0:1], 0x78
	s_bcnt1_i32_b64 s14, s[14:15]
	v_mov_b32_e32 v2, 0
	v_mov_b32_e32 v3, s14
	s_waitcnt lgkmcnt(0)
	global_atomic_add v2, v2, v3, s[16:17] sc0
.LBB1346_3:
	s_or_b64 exec, exec, s[12:13]
	s_waitcnt vmcnt(0)
	v_readfirstlane_b32 s12, v2
	v_mov_b32_e32 v2, 0
	s_nop 0
	v_add_u32_e32 v1, s12, v1
	ds_write_b32 v2, v1
.LBB1346_4:
	s_or_b64 exec, exec, s[8:9]
	v_mov_b32_e32 v3, 0
	s_load_dwordx4 s[28:31], s[0:1], 0x28
	s_load_dword s8, s[0:1], 0x70
	s_waitcnt lgkmcnt(0)
	s_barrier
	ds_read_b32 v1, v3
	s_waitcnt lgkmcnt(0)
	s_barrier
	global_load_dwordx2 v[4:5], v3, s[22:23]
	s_lshl_b64 s[12:13], s[6:7], 3
	s_mul_i32 s14, s8, 0xe00
	s_add_u32 s16, s4, s12
	s_addc_u32 s17, s5, s13
	s_add_i32 s4, s14, s6
	s_sub_i32 s54, s24, s4
	s_add_i32 s15, s8, -1
	s_addk_i32 s54, 0xe00
	s_add_u32 s4, s6, s14
	v_readfirstlane_b32 s33, v1
	s_addc_u32 s5, s7, 0
	v_mov_b32_e32 v6, s24
	v_mov_b32_e32 v7, s25
	s_cmp_eq_u32 s33, s15
	s_mov_b32 s9, 0
	s_mul_i32 s8, s33, 0xe00
	v_cmp_ge_u64_e32 vcc, s[4:5], v[6:7]
	s_cselect_b64 s[24:25], -1, 0
	s_lshl_b64 s[14:15], s[8:9], 3
	s_and_b64 s[8:9], vcc, s[24:25]
	s_xor_b64 s[34:35], s[8:9], -1
	s_add_u32 s4, s16, s14
	s_mov_b64 s[0:1], -1
	s_addc_u32 s5, s17, s15
	s_and_b64 vcc, exec, s[34:35]
	s_waitcnt vmcnt(0)
	v_readfirstlane_b32 s22, v4
	v_readfirstlane_b32 s23, v5
	s_cbranch_vccz .LBB1346_6
; %bb.5:
	v_lshlrev_b32_e32 v2, 3, v0
	v_lshl_add_u64 v[4:5], s[4:5], 0, v[2:3]
	v_add_co_u32_e32 v8, vcc, 0x1000, v4
	global_load_dwordx2 v[6:7], v2, s[4:5]
	s_nop 0
	v_addc_co_u32_e32 v9, vcc, 0, v5, vcc
	v_add_co_u32_e32 v10, vcc, 0x2000, v4
	s_mov_b64 s[0:1], 0
	s_nop 0
	v_addc_co_u32_e32 v11, vcc, 0, v5, vcc
	v_add_co_u32_e32 v12, vcc, 0x3000, v4
	s_nop 1
	v_addc_co_u32_e32 v13, vcc, 0, v5, vcc
	v_add_co_u32_e32 v14, vcc, 0x4000, v4
	s_nop 1
	v_addc_co_u32_e32 v15, vcc, 0, v5, vcc
	global_load_dwordx2 v[16:17], v[8:9], off
	global_load_dwordx2 v[18:19], v[10:11], off
	;; [unrolled: 1-line block ×4, first 2 shown]
	v_add_co_u32_e32 v8, vcc, 0x5000, v4
	s_nop 1
	v_addc_co_u32_e32 v9, vcc, 0, v5, vcc
	v_add_co_u32_e32 v4, vcc, 0x6000, v4
	global_load_dwordx2 v[8:9], v[8:9], off
	s_nop 0
	v_addc_co_u32_e32 v5, vcc, 0, v5, vcc
	global_load_dwordx2 v[4:5], v[4:5], off
	s_waitcnt vmcnt(5)
	ds_write2st64_b64 v2, v[6:7], v[16:17] offset1:8
	s_waitcnt vmcnt(3)
	ds_write2st64_b64 v2, v[18:19], v[20:21] offset0:16 offset1:24
	s_waitcnt vmcnt(1)
	ds_write2st64_b64 v2, v[22:23], v[8:9] offset0:32 offset1:40
	s_waitcnt vmcnt(0)
	ds_write_b64 v2, v[4:5] offset:24576
	s_waitcnt lgkmcnt(0)
	s_barrier
.LBB1346_6:
	s_andn2_b64 vcc, exec, s[0:1]
	v_cmp_gt_u32_e64 s[0:1], s54, v0
	s_cbranch_vccnz .LBB1346_22
; %bb.7:
                                        ; implicit-def: $vgpr2_vgpr3_vgpr4_vgpr5_vgpr6_vgpr7_vgpr8_vgpr9_vgpr10_vgpr11_vgpr12_vgpr13_vgpr14_vgpr15_vgpr16_vgpr17
	s_and_saveexec_b64 s[16:17], s[0:1]
	s_cbranch_execz .LBB1346_9
; %bb.8:
	v_lshlrev_b32_e32 v1, 3, v0
	global_load_dwordx2 v[2:3], v1, s[4:5]
.LBB1346_9:
	s_or_b64 exec, exec, s[16:17]
	v_or_b32_e32 v1, 0x200, v0
	v_cmp_gt_u32_e32 vcc, s54, v1
	s_and_saveexec_b64 s[0:1], vcc
	s_cbranch_execz .LBB1346_11
; %bb.10:
	v_lshlrev_b32_e32 v1, 3, v1
	global_load_dwordx2 v[4:5], v1, s[4:5]
.LBB1346_11:
	s_or_b64 exec, exec, s[0:1]
	v_or_b32_e32 v1, 0x400, v0
	v_cmp_gt_u32_e32 vcc, s54, v1
	s_and_saveexec_b64 s[0:1], vcc
	;; [unrolled: 9-line block ×6, first 2 shown]
	s_cbranch_execz .LBB1346_21
; %bb.20:
	v_lshlrev_b32_e32 v1, 3, v1
	global_load_dwordx2 v[14:15], v1, s[4:5]
.LBB1346_21:
	s_or_b64 exec, exec, s[0:1]
	v_lshlrev_b32_e32 v1, 3, v0
	s_waitcnt vmcnt(0)
	ds_write2st64_b64 v1, v[2:3], v[4:5] offset1:8
	ds_write2st64_b64 v1, v[6:7], v[8:9] offset0:16 offset1:24
	ds_write2st64_b64 v1, v[10:11], v[12:13] offset0:32 offset1:40
	ds_write_b64 v1, v[14:15] offset:24576
	s_waitcnt lgkmcnt(0)
	s_barrier
.LBB1346_22:
	v_mul_u32_u24_e32 v1, 7, v0
	v_lshlrev_b32_e32 v46, 3, v1
	ds_read2_b64 v[22:25], v46 offset1:1
	ds_read2_b64 v[18:21], v46 offset0:2 offset1:3
	ds_read2_b64 v[14:17], v46 offset0:4 offset1:5
	ds_read_b64 v[28:29], v46 offset:48
	s_add_u32 s0, s10, s12
	s_addc_u32 s1, s11, s13
	s_add_u32 s0, s0, s14
	s_addc_u32 s1, s1, s15
	s_mov_b64 s[10:11], -1
	s_and_b64 vcc, exec, s[34:35]
	s_waitcnt lgkmcnt(0)
	s_barrier
	s_cbranch_vccz .LBB1346_24
; %bb.23:
	v_lshlrev_b32_e32 v2, 3, v0
	v_mov_b32_e32 v3, 0
	v_lshl_add_u64 v[4:5], s[0:1], 0, v[2:3]
	v_add_co_u32_e32 v8, vcc, 0x1000, v4
	global_load_dwordx2 v[6:7], v2, s[0:1]
	s_nop 0
	v_addc_co_u32_e32 v9, vcc, 0, v5, vcc
	v_add_co_u32_e32 v10, vcc, 0x2000, v4
	s_mov_b64 s[10:11], 0
	s_nop 0
	v_addc_co_u32_e32 v11, vcc, 0, v5, vcc
	v_add_co_u32_e32 v12, vcc, 0x3000, v4
	s_nop 1
	v_addc_co_u32_e32 v13, vcc, 0, v5, vcc
	v_add_co_u32_e32 v26, vcc, 0x4000, v4
	s_nop 1
	v_addc_co_u32_e32 v27, vcc, 0, v5, vcc
	global_load_dwordx2 v[30:31], v[8:9], off
	global_load_dwordx2 v[32:33], v[10:11], off
	;; [unrolled: 1-line block ×4, first 2 shown]
	v_add_co_u32_e32 v8, vcc, 0x5000, v4
	s_nop 1
	v_addc_co_u32_e32 v9, vcc, 0, v5, vcc
	v_add_co_u32_e32 v4, vcc, 0x6000, v4
	global_load_dwordx2 v[8:9], v[8:9], off
	s_nop 0
	v_addc_co_u32_e32 v5, vcc, 0, v5, vcc
	global_load_dwordx2 v[4:5], v[4:5], off
	s_waitcnt vmcnt(5)
	ds_write2st64_b64 v2, v[6:7], v[30:31] offset1:8
	s_waitcnt vmcnt(3)
	ds_write2st64_b64 v2, v[32:33], v[34:35] offset0:16 offset1:24
	s_waitcnt vmcnt(1)
	ds_write2st64_b64 v2, v[36:37], v[8:9] offset0:32 offset1:40
	s_waitcnt vmcnt(0)
	ds_write_b64 v2, v[4:5] offset:24576
	s_waitcnt lgkmcnt(0)
	s_barrier
.LBB1346_24:
	s_andn2_b64 vcc, exec, s[10:11]
	s_cbranch_vccnz .LBB1346_40
; %bb.25:
	v_cmp_gt_u32_e32 vcc, s54, v0
                                        ; implicit-def: $vgpr2_vgpr3
	s_and_saveexec_b64 s[10:11], vcc
	s_cbranch_execz .LBB1346_27
; %bb.26:
	v_lshlrev_b32_e32 v2, 3, v0
	global_load_dwordx2 v[2:3], v2, s[0:1]
.LBB1346_27:
	s_or_b64 exec, exec, s[10:11]
	v_or_b32_e32 v6, 0x200, v0
	v_cmp_gt_u32_e32 vcc, s54, v6
                                        ; implicit-def: $vgpr4_vgpr5
	s_and_saveexec_b64 s[10:11], vcc
	s_cbranch_execz .LBB1346_29
; %bb.28:
	v_lshlrev_b32_e32 v4, 3, v6
	global_load_dwordx2 v[4:5], v4, s[0:1]
.LBB1346_29:
	s_or_b64 exec, exec, s[10:11]
	v_or_b32_e32 v8, 0x400, v0
	v_cmp_gt_u32_e32 vcc, s54, v8
                                        ; implicit-def: $vgpr6_vgpr7
	s_and_saveexec_b64 s[10:11], vcc
	s_cbranch_execz .LBB1346_31
; %bb.30:
	v_lshlrev_b32_e32 v6, 3, v8
	global_load_dwordx2 v[6:7], v6, s[0:1]
.LBB1346_31:
	s_or_b64 exec, exec, s[10:11]
	v_or_b32_e32 v10, 0x600, v0
	v_cmp_gt_u32_e32 vcc, s54, v10
                                        ; implicit-def: $vgpr8_vgpr9
	s_and_saveexec_b64 s[10:11], vcc
	s_cbranch_execz .LBB1346_33
; %bb.32:
	v_lshlrev_b32_e32 v8, 3, v10
	global_load_dwordx2 v[8:9], v8, s[0:1]
.LBB1346_33:
	s_or_b64 exec, exec, s[10:11]
	v_or_b32_e32 v12, 0x800, v0
	v_cmp_gt_u32_e32 vcc, s54, v12
                                        ; implicit-def: $vgpr10_vgpr11
	s_and_saveexec_b64 s[10:11], vcc
	s_cbranch_execz .LBB1346_35
; %bb.34:
	v_lshlrev_b32_e32 v10, 3, v12
	global_load_dwordx2 v[10:11], v10, s[0:1]
.LBB1346_35:
	s_or_b64 exec, exec, s[10:11]
	v_or_b32_e32 v26, 0xa00, v0
	v_cmp_gt_u32_e32 vcc, s54, v26
                                        ; implicit-def: $vgpr12_vgpr13
	s_and_saveexec_b64 s[10:11], vcc
	s_cbranch_execz .LBB1346_37
; %bb.36:
	v_lshlrev_b32_e32 v12, 3, v26
	global_load_dwordx2 v[12:13], v12, s[0:1]
.LBB1346_37:
	s_or_b64 exec, exec, s[10:11]
	v_or_b32_e32 v30, 0xc00, v0
	v_cmp_gt_u32_e32 vcc, s54, v30
                                        ; implicit-def: $vgpr26_vgpr27
	s_and_saveexec_b64 s[10:11], vcc
	s_cbranch_execz .LBB1346_39
; %bb.38:
	v_lshlrev_b32_e32 v26, 3, v30
	global_load_dwordx2 v[26:27], v26, s[0:1]
.LBB1346_39:
	s_or_b64 exec, exec, s[10:11]
	s_movk_i32 s0, 0xffd0
	v_mad_i32_i24 v30, v0, s0, v46
	s_waitcnt vmcnt(0)
	ds_write2st64_b64 v30, v[2:3], v[4:5] offset1:8
	ds_write2st64_b64 v30, v[6:7], v[8:9] offset0:16 offset1:24
	ds_write2st64_b64 v30, v[10:11], v[12:13] offset0:32 offset1:40
	ds_write_b64 v30, v[26:27] offset:24576
	s_waitcnt lgkmcnt(0)
	s_barrier
.LBB1346_40:
	ds_read2_b64 v[10:13], v46 offset1:1
	ds_read2_b64 v[6:9], v46 offset0:2 offset1:3
	ds_read2_b64 v[2:5], v46 offset0:4 offset1:5
	ds_read_b64 v[26:27], v46 offset:48
	s_cmp_lg_u32 s33, 0
	s_cselect_b64 s[0:1], -1, 0
	s_cmp_lg_u64 s[6:7], 0
	s_cselect_b64 s[6:7], -1, 0
	s_or_b64 s[6:7], s[6:7], s[0:1]
	v_add_u32_e32 v43, 1, v1
	v_add_u32_e32 v40, 2, v1
	;; [unrolled: 1-line block ×6, first 2 shown]
	s_mov_b64 s[10:11], 0
	s_and_b64 vcc, exec, s[6:7]
	v_cmp_gt_i64_e64 s[12:13], s[26:27], 0
	s_waitcnt lgkmcnt(0)
	s_barrier
	s_cbranch_vccz .LBB1346_49
; %bb.41:
	v_mov_b32_e32 v30, 0
	global_load_dwordx2 v[30:31], v30, s[4:5] offset:-8
	v_cndmask_b32_e64 v32, 0, 1, s[12:13]
	v_lshlrev_b32_e32 v47, 3, v0
	s_mov_b64 s[6:7], 0
	s_and_b64 vcc, exec, s[34:35]
	v_cmp_ne_u32_e64 s[4:5], 1, v32
	ds_write_b64 v47, v[28:29]
	s_cbranch_vccz .LBB1346_51
; %bb.42:
	v_mul_lo_u32 v34, v17, s26
	v_mul_lo_u32 v35, v16, s27
	v_mad_u64_u32 v[32:33], s[10:11], v16, s26, 0
	v_add3_u32 v33, v33, v35, v34
	s_and_b64 vcc, exec, s[4:5]
	v_lshl_add_u64 v[32:33], v[32:33], 1, s[36:37]
	s_cbranch_vccnz .LBB1346_54
; %bb.43:
	v_mul_lo_u32 v36, v29, s26
	v_mul_lo_u32 v37, v28, s27
	v_mad_u64_u32 v[34:35], s[6:7], v28, s26, 0
	v_add3_u32 v35, v35, v37, v36
	v_lshl_add_u64 v[34:35], v[34:35], 1, s[36:37]
	global_load_ushort v36, v[32:33], off
	global_load_ushort v37, v[34:35], off
	s_mov_b64 s[6:7], -1
	s_waitcnt vmcnt(0)
	v_cmp_eq_f16_e32 vcc, v36, v37
	s_and_saveexec_b64 s[10:11], vcc
	s_cbranch_execz .LBB1346_53
; %bb.44:
	s_add_u32 s6, s26, -1
	v_lshl_add_u64 v[34:35], v[34:35], 0, 2
	v_lshl_add_u64 v[36:37], v[32:33], 0, 2
	s_addc_u32 s7, s27, -1
	s_mov_b64 s[12:13], 0
	s_mov_b64 s[16:17], 0
                                        ; implicit-def: $sgpr14_sgpr15
	s_branch .LBB1346_47
.LBB1346_45:                            ;   in Loop: Header=BB1346_47 Depth=1
	global_load_ushort v38, v[36:37], off
	global_load_ushort v39, v[34:35], off
	s_add_u32 s16, s16, 1
	s_addc_u32 s17, s17, 0
	s_andn2_b64 s[14:15], s[14:15], exec
	v_lshl_add_u64 v[34:35], v[34:35], 0, 2
	v_lshl_add_u64 v[36:37], v[36:37], 0, 2
	s_waitcnt vmcnt(0)
	v_cmp_neq_f16_e32 vcc, v38, v39
	s_and_b64 s[40:41], vcc, exec
	s_or_b64 s[14:15], s[14:15], s[40:41]
.LBB1346_46:                            ;   in Loop: Header=BB1346_47 Depth=1
	s_and_b64 s[40:41], exec, s[14:15]
	s_or_b64 s[12:13], s[40:41], s[12:13]
	v_mov_b64_e32 v[38:39], s[16:17]
	s_andn2_b64 exec, exec, s[12:13]
	s_cbranch_execz .LBB1346_52
.LBB1346_47:                            ; =>This Inner Loop Header: Depth=1
	s_or_b64 s[14:15], s[14:15], exec
	s_cmp_eq_u64 s[6:7], s[16:17]
	s_cbranch_scc0 .LBB1346_45
; %bb.48:                               ;   in Loop: Header=BB1346_47 Depth=1
                                        ; implicit-def: $vgpr34_vgpr35
                                        ; implicit-def: $vgpr36_vgpr37
	s_mov_b64 s[16:17], s[26:27]
	s_branch .LBB1346_46
.LBB1346_49:
                                        ; implicit-def: $sgpr14_sgpr15
                                        ; implicit-def: $vgpr49
                                        ; implicit-def: $vgpr48
                                        ; implicit-def: $vgpr39
                                        ; implicit-def: $vgpr34
	s_branch .LBB1346_192
.LBB1346_50:
                                        ; implicit-def: $vgpr30_vgpr31
	s_branch .LBB1346_340
.LBB1346_51:
                                        ; implicit-def: $sgpr14_sgpr15
                                        ; implicit-def: $vgpr49
                                        ; implicit-def: $vgpr48
                                        ; implicit-def: $vgpr39
                                        ; implicit-def: $vgpr34
	s_cbranch_execnz .LBB1346_111
	s_branch .LBB1346_191
.LBB1346_52:
	s_or_b64 exec, exec, s[12:13]
	v_cmp_gt_i64_e32 vcc, s[26:27], v[38:39]
	s_orn2_b64 s[6:7], vcc, exec
.LBB1346_53:
	s_or_b64 exec, exec, s[10:11]
.LBB1346_54:
	v_mul_lo_u32 v36, v15, s26
	v_mul_lo_u32 v37, v14, s27
	v_mad_u64_u32 v[34:35], s[10:11], v14, s26, 0
	v_add3_u32 v35, v35, v37, v36
	s_mov_b64 s[10:11], 0
	s_and_b64 vcc, exec, s[4:5]
	v_lshl_add_u64 v[34:35], v[34:35], 1, s[36:37]
	s_mov_b64 s[12:13], 0
	s_cbranch_vccnz .LBB1346_63
; %bb.55:
	global_load_ushort v36, v[34:35], off
	global_load_ushort v37, v[32:33], off
	s_mov_b64 s[12:13], -1
	s_waitcnt vmcnt(0)
	v_cmp_eq_f16_e32 vcc, v36, v37
	s_and_saveexec_b64 s[14:15], vcc
	s_cbranch_execz .LBB1346_62
; %bb.56:
	s_add_u32 s12, s26, -1
	v_lshl_add_u64 v[32:33], v[32:33], 0, 2
	v_lshl_add_u64 v[36:37], v[34:35], 0, 2
	s_addc_u32 s13, s27, -1
	s_mov_b64 s[16:17], 0
	s_mov_b64 s[42:43], 0
                                        ; implicit-def: $sgpr40_sgpr41
	s_branch .LBB1346_59
.LBB1346_57:                            ;   in Loop: Header=BB1346_59 Depth=1
	global_load_ushort v38, v[36:37], off
	global_load_ushort v39, v[32:33], off
	s_add_u32 s42, s42, 1
	s_addc_u32 s43, s43, 0
	s_andn2_b64 s[40:41], s[40:41], exec
	v_lshl_add_u64 v[32:33], v[32:33], 0, 2
	v_lshl_add_u64 v[36:37], v[36:37], 0, 2
	s_waitcnt vmcnt(0)
	v_cmp_neq_f16_e32 vcc, v38, v39
	s_and_b64 s[44:45], vcc, exec
	s_or_b64 s[40:41], s[40:41], s[44:45]
.LBB1346_58:                            ;   in Loop: Header=BB1346_59 Depth=1
	s_and_b64 s[44:45], exec, s[40:41]
	s_or_b64 s[16:17], s[44:45], s[16:17]
	v_mov_b64_e32 v[38:39], s[42:43]
	s_andn2_b64 exec, exec, s[16:17]
	s_cbranch_execz .LBB1346_61
.LBB1346_59:                            ; =>This Inner Loop Header: Depth=1
	s_or_b64 s[40:41], s[40:41], exec
	s_cmp_eq_u64 s[12:13], s[42:43]
	s_cbranch_scc0 .LBB1346_57
; %bb.60:                               ;   in Loop: Header=BB1346_59 Depth=1
                                        ; implicit-def: $vgpr32_vgpr33
                                        ; implicit-def: $vgpr36_vgpr37
	s_mov_b64 s[42:43], s[26:27]
	s_branch .LBB1346_58
.LBB1346_61:
	s_or_b64 exec, exec, s[16:17]
	v_cmp_gt_i64_e32 vcc, s[26:27], v[38:39]
	s_orn2_b64 s[12:13], vcc, exec
.LBB1346_62:
	s_or_b64 exec, exec, s[14:15]
.LBB1346_63:
	v_mul_lo_u32 v36, v21, s26
	v_mul_lo_u32 v37, v20, s27
	v_mad_u64_u32 v[32:33], s[14:15], v20, s26, 0
	v_add3_u32 v33, v33, v37, v36
	s_and_b64 vcc, exec, s[4:5]
	v_lshl_add_u64 v[32:33], v[32:33], 1, s[36:37]
	s_cbranch_vccnz .LBB1346_72
; %bb.64:
	global_load_ushort v36, v[32:33], off
	global_load_ushort v37, v[34:35], off
	s_mov_b64 s[10:11], -1
	s_waitcnt vmcnt(0)
	v_cmp_eq_f16_e32 vcc, v36, v37
	s_and_saveexec_b64 s[14:15], vcc
	s_cbranch_execz .LBB1346_71
; %bb.65:
	s_add_u32 s10, s26, -1
	v_lshl_add_u64 v[34:35], v[34:35], 0, 2
	v_lshl_add_u64 v[36:37], v[32:33], 0, 2
	s_addc_u32 s11, s27, -1
	s_mov_b64 s[16:17], 0
	s_mov_b64 s[42:43], 0
                                        ; implicit-def: $sgpr40_sgpr41
	s_branch .LBB1346_68
.LBB1346_66:                            ;   in Loop: Header=BB1346_68 Depth=1
	global_load_ushort v38, v[36:37], off
	global_load_ushort v39, v[34:35], off
	s_add_u32 s42, s42, 1
	s_addc_u32 s43, s43, 0
	s_andn2_b64 s[40:41], s[40:41], exec
	v_lshl_add_u64 v[34:35], v[34:35], 0, 2
	v_lshl_add_u64 v[36:37], v[36:37], 0, 2
	s_waitcnt vmcnt(0)
	v_cmp_neq_f16_e32 vcc, v38, v39
	s_and_b64 s[44:45], vcc, exec
	s_or_b64 s[40:41], s[40:41], s[44:45]
.LBB1346_67:                            ;   in Loop: Header=BB1346_68 Depth=1
	s_and_b64 s[44:45], exec, s[40:41]
	s_or_b64 s[16:17], s[44:45], s[16:17]
	v_mov_b64_e32 v[38:39], s[42:43]
	s_andn2_b64 exec, exec, s[16:17]
	s_cbranch_execz .LBB1346_70
.LBB1346_68:                            ; =>This Inner Loop Header: Depth=1
	s_or_b64 s[40:41], s[40:41], exec
	s_cmp_eq_u64 s[10:11], s[42:43]
	s_cbranch_scc0 .LBB1346_66
; %bb.69:                               ;   in Loop: Header=BB1346_68 Depth=1
                                        ; implicit-def: $vgpr34_vgpr35
                                        ; implicit-def: $vgpr36_vgpr37
	s_mov_b64 s[42:43], s[26:27]
	s_branch .LBB1346_67
.LBB1346_70:
	s_or_b64 exec, exec, s[16:17]
	v_cmp_gt_i64_e32 vcc, s[26:27], v[38:39]
	s_orn2_b64 s[10:11], vcc, exec
.LBB1346_71:
	s_or_b64 exec, exec, s[14:15]
.LBB1346_72:
	v_mul_lo_u32 v36, v19, s26
	v_mul_lo_u32 v37, v18, s27
	v_mad_u64_u32 v[34:35], s[14:15], v18, s26, 0
	v_add3_u32 v35, v35, v37, v36
	s_mov_b64 s[14:15], 0
	s_and_b64 vcc, exec, s[4:5]
	v_lshl_add_u64 v[36:37], v[34:35], 1, s[36:37]
	s_mov_b64 s[16:17], 0
	s_cbranch_vccnz .LBB1346_81
; %bb.73:
	global_load_ushort v34, v[36:37], off
	global_load_ushort v35, v[32:33], off
	s_mov_b64 s[16:17], -1
	s_waitcnt vmcnt(0)
	v_cmp_eq_f16_e32 vcc, v34, v35
	s_and_saveexec_b64 s[40:41], vcc
	s_cbranch_execz .LBB1346_80
; %bb.74:
	s_add_u32 s16, s26, -1
	v_lshl_add_u64 v[32:33], v[32:33], 0, 2
	v_lshl_add_u64 v[34:35], v[36:37], 0, 2
	s_addc_u32 s17, s27, -1
	s_mov_b64 s[42:43], 0
	s_mov_b64 s[46:47], 0
                                        ; implicit-def: $sgpr44_sgpr45
	s_branch .LBB1346_77
.LBB1346_75:                            ;   in Loop: Header=BB1346_77 Depth=1
	global_load_ushort v38, v[34:35], off
	global_load_ushort v39, v[32:33], off
	s_add_u32 s46, s46, 1
	s_addc_u32 s47, s47, 0
	s_andn2_b64 s[44:45], s[44:45], exec
	v_lshl_add_u64 v[32:33], v[32:33], 0, 2
	v_lshl_add_u64 v[34:35], v[34:35], 0, 2
	s_waitcnt vmcnt(0)
	v_cmp_neq_f16_e32 vcc, v38, v39
	s_and_b64 s[48:49], vcc, exec
	s_or_b64 s[44:45], s[44:45], s[48:49]
.LBB1346_76:                            ;   in Loop: Header=BB1346_77 Depth=1
	s_and_b64 s[48:49], exec, s[44:45]
	s_or_b64 s[42:43], s[48:49], s[42:43]
	v_mov_b64_e32 v[38:39], s[46:47]
	s_andn2_b64 exec, exec, s[42:43]
	s_cbranch_execz .LBB1346_79
.LBB1346_77:                            ; =>This Inner Loop Header: Depth=1
	s_or_b64 s[44:45], s[44:45], exec
	s_cmp_eq_u64 s[16:17], s[46:47]
	s_cbranch_scc0 .LBB1346_75
; %bb.78:                               ;   in Loop: Header=BB1346_77 Depth=1
                                        ; implicit-def: $vgpr32_vgpr33
                                        ; implicit-def: $vgpr34_vgpr35
	s_mov_b64 s[46:47], s[26:27]
	s_branch .LBB1346_76
.LBB1346_79:
	s_or_b64 exec, exec, s[42:43]
	v_cmp_gt_i64_e32 vcc, s[26:27], v[38:39]
	s_orn2_b64 s[16:17], vcc, exec
.LBB1346_80:
	s_or_b64 exec, exec, s[40:41]
.LBB1346_81:
	v_mul_lo_u32 v34, v25, s26
	v_mul_lo_u32 v35, v24, s27
	v_mad_u64_u32 v[32:33], s[40:41], v24, s26, 0
	v_add3_u32 v33, v33, v35, v34
	s_and_b64 vcc, exec, s[4:5]
	v_lshl_add_u64 v[34:35], v[32:33], 1, s[36:37]
	s_cbranch_vccnz .LBB1346_90
; %bb.82:
	global_load_ushort v32, v[34:35], off
	global_load_ushort v33, v[36:37], off
	s_mov_b64 s[14:15], -1
	s_waitcnt vmcnt(0)
	v_cmp_eq_f16_e32 vcc, v32, v33
	s_and_saveexec_b64 s[40:41], vcc
	s_cbranch_execz .LBB1346_89
; %bb.83:
	s_add_u32 s14, s26, -1
	v_lshl_add_u64 v[32:33], v[36:37], 0, 2
	v_lshl_add_u64 v[36:37], v[34:35], 0, 2
	s_addc_u32 s15, s27, -1
	s_mov_b64 s[42:43], 0
	s_mov_b64 s[46:47], 0
                                        ; implicit-def: $sgpr44_sgpr45
	s_branch .LBB1346_86
.LBB1346_84:                            ;   in Loop: Header=BB1346_86 Depth=1
	global_load_ushort v38, v[36:37], off
	global_load_ushort v39, v[32:33], off
	s_add_u32 s46, s46, 1
	s_addc_u32 s47, s47, 0
	s_andn2_b64 s[44:45], s[44:45], exec
	v_lshl_add_u64 v[32:33], v[32:33], 0, 2
	v_lshl_add_u64 v[36:37], v[36:37], 0, 2
	s_waitcnt vmcnt(0)
	v_cmp_neq_f16_e32 vcc, v38, v39
	s_and_b64 s[48:49], vcc, exec
	s_or_b64 s[44:45], s[44:45], s[48:49]
.LBB1346_85:                            ;   in Loop: Header=BB1346_86 Depth=1
	s_and_b64 s[48:49], exec, s[44:45]
	s_or_b64 s[42:43], s[48:49], s[42:43]
	v_mov_b64_e32 v[38:39], s[46:47]
	s_andn2_b64 exec, exec, s[42:43]
	s_cbranch_execz .LBB1346_88
.LBB1346_86:                            ; =>This Inner Loop Header: Depth=1
	s_or_b64 s[44:45], s[44:45], exec
	s_cmp_eq_u64 s[14:15], s[46:47]
	s_cbranch_scc0 .LBB1346_84
; %bb.87:                               ;   in Loop: Header=BB1346_86 Depth=1
                                        ; implicit-def: $vgpr32_vgpr33
                                        ; implicit-def: $vgpr36_vgpr37
	s_mov_b64 s[46:47], s[26:27]
	s_branch .LBB1346_85
.LBB1346_88:
	s_or_b64 exec, exec, s[42:43]
	v_cmp_gt_i64_e32 vcc, s[26:27], v[38:39]
	s_orn2_b64 s[14:15], vcc, exec
.LBB1346_89:
	s_or_b64 exec, exec, s[40:41]
.LBB1346_90:
	v_mul_lo_u32 v36, v23, s26
	v_mul_lo_u32 v37, v22, s27
	v_mad_u64_u32 v[32:33], s[40:41], v22, s26, 0
	v_add3_u32 v33, v33, v37, v36
	s_mov_b64 s[42:43], 0
	s_and_b64 vcc, exec, s[4:5]
	v_lshl_add_u64 v[32:33], v[32:33], 1, s[36:37]
	s_cbranch_vccnz .LBB1346_99
; %bb.91:
	global_load_ushort v36, v[32:33], off
	global_load_ushort v37, v[34:35], off
	s_mov_b64 s[42:43], -1
	s_waitcnt vmcnt(0)
	v_cmp_eq_f16_e32 vcc, v36, v37
	s_and_saveexec_b64 s[40:41], vcc
	s_cbranch_execz .LBB1346_98
; %bb.92:
	s_add_u32 s42, s26, -1
	v_lshl_add_u64 v[34:35], v[34:35], 0, 2
	v_lshl_add_u64 v[36:37], v[32:33], 0, 2
	s_addc_u32 s43, s27, -1
	s_mov_b64 s[44:45], 0
	s_mov_b64 s[48:49], 0
                                        ; implicit-def: $sgpr46_sgpr47
	s_branch .LBB1346_95
.LBB1346_93:                            ;   in Loop: Header=BB1346_95 Depth=1
	global_load_ushort v38, v[36:37], off
	global_load_ushort v39, v[34:35], off
	s_add_u32 s48, s48, 1
	s_addc_u32 s49, s49, 0
	s_andn2_b64 s[46:47], s[46:47], exec
	v_lshl_add_u64 v[34:35], v[34:35], 0, 2
	v_lshl_add_u64 v[36:37], v[36:37], 0, 2
	s_waitcnt vmcnt(0)
	v_cmp_neq_f16_e32 vcc, v38, v39
	s_and_b64 s[50:51], vcc, exec
	s_or_b64 s[46:47], s[46:47], s[50:51]
.LBB1346_94:                            ;   in Loop: Header=BB1346_95 Depth=1
	s_and_b64 s[50:51], exec, s[46:47]
	s_or_b64 s[44:45], s[50:51], s[44:45]
	v_mov_b64_e32 v[38:39], s[48:49]
	s_andn2_b64 exec, exec, s[44:45]
	s_cbranch_execz .LBB1346_97
.LBB1346_95:                            ; =>This Inner Loop Header: Depth=1
	s_or_b64 s[46:47], s[46:47], exec
	s_cmp_eq_u64 s[42:43], s[48:49]
	s_cbranch_scc0 .LBB1346_93
; %bb.96:                               ;   in Loop: Header=BB1346_95 Depth=1
                                        ; implicit-def: $vgpr34_vgpr35
                                        ; implicit-def: $vgpr36_vgpr37
	s_mov_b64 s[48:49], s[26:27]
	s_branch .LBB1346_94
.LBB1346_97:
	s_or_b64 exec, exec, s[44:45]
	v_cmp_gt_i64_e32 vcc, s[26:27], v[38:39]
	s_orn2_b64 s[42:43], vcc, exec
.LBB1346_98:
	s_or_b64 exec, exec, s[40:41]
.LBB1346_99:
	s_waitcnt vmcnt(0)
	v_mov_b64_e32 v[34:35], v[30:31]
	s_waitcnt lgkmcnt(0)
	s_barrier
	s_and_saveexec_b64 s[40:41], s[2:3]
	s_cbranch_execz .LBB1346_101
; %bb.100:
	v_add_u32_e32 v34, -8, v47
	ds_read_b64 v[34:35], v34
.LBB1346_101:
	s_or_b64 exec, exec, s[40:41]
	v_cndmask_b32_e64 v37, 0, 1, s[16:17]
	v_cndmask_b32_e64 v36, 0, 1, s[14:15]
	;; [unrolled: 1-line block ×3, first 2 shown]
	v_lshlrev_b16_e32 v37, 8, v37
	v_lshlrev_b16_e32 v38, 8, v38
	v_or_b32_sdwa v50, v36, v37 dst_sel:WORD_1 dst_unused:UNUSED_PAD src0_sel:DWORD src1_sel:DWORD
	s_mov_b64 s[16:17], 0
	s_and_b64 vcc, exec, s[4:5]
	s_mov_b64 s[14:15], 0
	s_cbranch_vccnz .LBB1346_110
; %bb.102:
	s_waitcnt lgkmcnt(0)
	v_mul_lo_u32 v36, v35, s26
	v_mul_lo_u32 v37, v34, s27
	v_mad_u64_u32 v[34:35], s[14:15], v34, s26, 0
	v_add3_u32 v35, v35, v37, v36
	v_lshl_add_u64 v[34:35], v[34:35], 1, s[36:37]
	global_load_ushort v36, v[34:35], off
	global_load_ushort v37, v[32:33], off
	s_mov_b64 s[14:15], -1
	s_waitcnt vmcnt(0)
	v_cmp_eq_f16_e32 vcc, v36, v37
	s_and_saveexec_b64 s[40:41], vcc
	s_cbranch_execz .LBB1346_109
; %bb.103:
	s_add_u32 s14, s26, -1
	v_lshl_add_u64 v[32:33], v[32:33], 0, 2
	v_lshl_add_u64 v[34:35], v[34:35], 0, 2
	s_addc_u32 s15, s27, -1
	s_mov_b64 s[42:43], 0
	s_mov_b64 s[46:47], 0
                                        ; implicit-def: $sgpr44_sgpr45
	s_branch .LBB1346_106
.LBB1346_104:                           ;   in Loop: Header=BB1346_106 Depth=1
	global_load_ushort v36, v[34:35], off
	global_load_ushort v37, v[32:33], off
	s_add_u32 s46, s46, 1
	s_addc_u32 s47, s47, 0
	s_andn2_b64 s[44:45], s[44:45], exec
	v_lshl_add_u64 v[32:33], v[32:33], 0, 2
	v_lshl_add_u64 v[34:35], v[34:35], 0, 2
	s_waitcnt vmcnt(0)
	v_cmp_neq_f16_e32 vcc, v36, v37
	s_and_b64 s[48:49], vcc, exec
	s_or_b64 s[44:45], s[44:45], s[48:49]
.LBB1346_105:                           ;   in Loop: Header=BB1346_106 Depth=1
	s_and_b64 s[48:49], exec, s[44:45]
	s_or_b64 s[42:43], s[48:49], s[42:43]
	v_mov_b64_e32 v[36:37], s[46:47]
	s_andn2_b64 exec, exec, s[42:43]
	s_cbranch_execz .LBB1346_108
.LBB1346_106:                           ; =>This Inner Loop Header: Depth=1
	s_or_b64 s[44:45], s[44:45], exec
	s_cmp_eq_u64 s[14:15], s[46:47]
	s_cbranch_scc0 .LBB1346_104
; %bb.107:                              ;   in Loop: Header=BB1346_106 Depth=1
                                        ; implicit-def: $vgpr32_vgpr33
                                        ; implicit-def: $vgpr34_vgpr35
	s_mov_b64 s[46:47], s[26:27]
	s_branch .LBB1346_105
.LBB1346_108:
	s_or_b64 exec, exec, s[42:43]
	v_cmp_gt_i64_e32 vcc, s[26:27], v[36:37]
	s_orn2_b64 s[14:15], vcc, exec
.LBB1346_109:
	s_or_b64 exec, exec, s[40:41]
.LBB1346_110:
	v_cndmask_b32_e64 v39, 0, 1, s[10:11]
	v_cndmask_b32_e64 v48, 0, 1, s[12:13]
	;; [unrolled: 1-line block ×3, first 2 shown]
	s_waitcnt lgkmcnt(0)
	v_or_b32_e32 v34, v38, v50
	s_and_b64 vcc, exec, s[16:17]
	s_cbranch_vccz .LBB1346_191
.LBB1346_111:
	v_cmp_gt_u32_e32 vcc, s54, v42
	s_mov_b64 s[10:11], 0
	s_mov_b64 s[6:7], 0
	s_and_saveexec_b64 s[12:13], vcc
	s_cbranch_execz .LBB1346_122
; %bb.112:
	s_and_b64 vcc, exec, s[4:5]
	s_mov_b64 s[14:15], 0
	s_cbranch_vccnz .LBB1346_121
; %bb.113:
	v_mul_lo_u32 v34, v17, s26
	v_mul_lo_u32 v35, v16, s27
	v_mad_u64_u32 v[32:33], s[6:7], v16, s26, 0
	v_add3_u32 v33, v33, v35, v34
	v_mul_lo_u32 v34, v29, s26
	v_mul_lo_u32 v35, v28, s27
	v_mad_u64_u32 v[36:37], s[6:7], v28, s26, 0
	v_add3_u32 v37, v37, v35, v34
	v_lshl_add_u64 v[34:35], v[32:33], 1, s[36:37]
	v_lshl_add_u64 v[32:33], v[36:37], 1, s[36:37]
	global_load_ushort v36, v[34:35], off
	global_load_ushort v37, v[32:33], off
	s_mov_b64 s[14:15], -1
	s_waitcnt vmcnt(0)
	v_cmp_eq_f16_e32 vcc, v36, v37
	s_and_saveexec_b64 s[6:7], vcc
	s_cbranch_execz .LBB1346_120
; %bb.114:
	s_add_u32 s14, s26, -1
	v_lshl_add_u64 v[32:33], v[32:33], 0, 2
	v_lshl_add_u64 v[34:35], v[34:35], 0, 2
	s_addc_u32 s15, s27, -1
	s_mov_b64 s[16:17], 0
	s_mov_b64 s[42:43], 0
                                        ; implicit-def: $sgpr40_sgpr41
	s_branch .LBB1346_117
.LBB1346_115:                           ;   in Loop: Header=BB1346_117 Depth=1
	global_load_ushort v36, v[34:35], off
	global_load_ushort v37, v[32:33], off
	s_add_u32 s42, s42, 1
	s_addc_u32 s43, s43, 0
	s_andn2_b64 s[40:41], s[40:41], exec
	v_lshl_add_u64 v[32:33], v[32:33], 0, 2
	v_lshl_add_u64 v[34:35], v[34:35], 0, 2
	s_waitcnt vmcnt(0)
	v_cmp_neq_f16_e32 vcc, v36, v37
	s_and_b64 s[44:45], vcc, exec
	s_or_b64 s[40:41], s[40:41], s[44:45]
.LBB1346_116:                           ;   in Loop: Header=BB1346_117 Depth=1
	s_and_b64 s[44:45], exec, s[40:41]
	s_or_b64 s[16:17], s[44:45], s[16:17]
	v_mov_b64_e32 v[36:37], s[42:43]
	s_andn2_b64 exec, exec, s[16:17]
	s_cbranch_execz .LBB1346_119
.LBB1346_117:                           ; =>This Inner Loop Header: Depth=1
	s_or_b64 s[40:41], s[40:41], exec
	s_cmp_eq_u64 s[14:15], s[42:43]
	s_cbranch_scc0 .LBB1346_115
; %bb.118:                              ;   in Loop: Header=BB1346_117 Depth=1
                                        ; implicit-def: $vgpr32_vgpr33
                                        ; implicit-def: $vgpr34_vgpr35
	s_mov_b64 s[42:43], s[26:27]
	s_branch .LBB1346_116
.LBB1346_119:
	s_or_b64 exec, exec, s[16:17]
	v_cmp_gt_i64_e32 vcc, s[26:27], v[36:37]
	s_orn2_b64 s[14:15], vcc, exec
.LBB1346_120:
	s_or_b64 exec, exec, s[6:7]
.LBB1346_121:
	s_and_b64 s[6:7], s[14:15], exec
.LBB1346_122:
	s_or_b64 exec, exec, s[12:13]
	v_cmp_gt_u32_e32 vcc, s54, v45
	s_and_saveexec_b64 s[12:13], vcc
	s_cbranch_execz .LBB1346_133
; %bb.123:
	s_and_b64 vcc, exec, s[4:5]
	s_mov_b64 s[14:15], 0
	s_cbranch_vccnz .LBB1346_132
; %bb.124:
	v_mul_lo_u32 v34, v15, s26
	v_mul_lo_u32 v35, v14, s27
	v_mad_u64_u32 v[32:33], s[10:11], v14, s26, 0
	v_add3_u32 v33, v33, v35, v34
	v_mul_lo_u32 v34, v17, s26
	v_mul_lo_u32 v35, v16, s27
	v_mad_u64_u32 v[36:37], s[10:11], v16, s26, 0
	v_add3_u32 v37, v37, v35, v34
	v_lshl_add_u64 v[34:35], v[32:33], 1, s[36:37]
	v_lshl_add_u64 v[32:33], v[36:37], 1, s[36:37]
	global_load_ushort v36, v[34:35], off
	global_load_ushort v37, v[32:33], off
	s_mov_b64 s[14:15], -1
	s_waitcnt vmcnt(0)
	v_cmp_eq_f16_e32 vcc, v36, v37
	s_and_saveexec_b64 s[10:11], vcc
	s_cbranch_execz .LBB1346_131
; %bb.125:
	s_add_u32 s14, s26, -1
	v_lshl_add_u64 v[32:33], v[32:33], 0, 2
	v_lshl_add_u64 v[34:35], v[34:35], 0, 2
	s_addc_u32 s15, s27, -1
	s_mov_b64 s[16:17], 0
	s_mov_b64 s[42:43], 0
                                        ; implicit-def: $sgpr40_sgpr41
	s_branch .LBB1346_128
.LBB1346_126:                           ;   in Loop: Header=BB1346_128 Depth=1
	global_load_ushort v36, v[34:35], off
	global_load_ushort v37, v[32:33], off
	s_add_u32 s42, s42, 1
	s_addc_u32 s43, s43, 0
	s_andn2_b64 s[40:41], s[40:41], exec
	v_lshl_add_u64 v[32:33], v[32:33], 0, 2
	v_lshl_add_u64 v[34:35], v[34:35], 0, 2
	s_waitcnt vmcnt(0)
	v_cmp_neq_f16_e32 vcc, v36, v37
	s_and_b64 s[44:45], vcc, exec
	s_or_b64 s[40:41], s[40:41], s[44:45]
.LBB1346_127:                           ;   in Loop: Header=BB1346_128 Depth=1
	s_and_b64 s[44:45], exec, s[40:41]
	s_or_b64 s[16:17], s[44:45], s[16:17]
	v_mov_b64_e32 v[36:37], s[42:43]
	s_andn2_b64 exec, exec, s[16:17]
	s_cbranch_execz .LBB1346_130
.LBB1346_128:                           ; =>This Inner Loop Header: Depth=1
	s_or_b64 s[40:41], s[40:41], exec
	s_cmp_eq_u64 s[14:15], s[42:43]
	s_cbranch_scc0 .LBB1346_126
; %bb.129:                              ;   in Loop: Header=BB1346_128 Depth=1
                                        ; implicit-def: $vgpr32_vgpr33
                                        ; implicit-def: $vgpr34_vgpr35
	s_mov_b64 s[42:43], s[26:27]
	s_branch .LBB1346_127
.LBB1346_130:
	s_or_b64 exec, exec, s[16:17]
	v_cmp_gt_i64_e32 vcc, s[26:27], v[36:37]
	s_orn2_b64 s[14:15], vcc, exec
.LBB1346_131:
	s_or_b64 exec, exec, s[10:11]
.LBB1346_132:
	s_and_b64 s[10:11], s[14:15], exec
.LBB1346_133:
	s_or_b64 exec, exec, s[12:13]
	v_cmp_gt_u32_e32 vcc, s54, v41
	s_mov_b64 s[14:15], 0
	s_mov_b64 s[12:13], 0
	s_and_saveexec_b64 s[16:17], vcc
	s_cbranch_execz .LBB1346_144
; %bb.134:
	s_and_b64 vcc, exec, s[4:5]
	s_mov_b64 s[40:41], 0
	s_cbranch_vccnz .LBB1346_143
; %bb.135:
	v_mul_lo_u32 v34, v21, s26
	v_mul_lo_u32 v35, v20, s27
	v_mad_u64_u32 v[32:33], s[12:13], v20, s26, 0
	v_add3_u32 v33, v33, v35, v34
	v_mul_lo_u32 v34, v15, s26
	v_mul_lo_u32 v35, v14, s27
	v_mad_u64_u32 v[36:37], s[12:13], v14, s26, 0
	v_add3_u32 v37, v37, v35, v34
	v_lshl_add_u64 v[34:35], v[32:33], 1, s[36:37]
	v_lshl_add_u64 v[32:33], v[36:37], 1, s[36:37]
	global_load_ushort v36, v[34:35], off
	global_load_ushort v37, v[32:33], off
	s_mov_b64 s[40:41], -1
	s_waitcnt vmcnt(0)
	v_cmp_eq_f16_e32 vcc, v36, v37
	s_and_saveexec_b64 s[12:13], vcc
	s_cbranch_execz .LBB1346_142
; %bb.136:
	s_add_u32 s40, s26, -1
	v_lshl_add_u64 v[32:33], v[32:33], 0, 2
	v_lshl_add_u64 v[34:35], v[34:35], 0, 2
	s_addc_u32 s41, s27, -1
	s_mov_b64 s[42:43], 0
	s_mov_b64 s[46:47], 0
                                        ; implicit-def: $sgpr44_sgpr45
	s_branch .LBB1346_139
.LBB1346_137:                           ;   in Loop: Header=BB1346_139 Depth=1
	global_load_ushort v36, v[34:35], off
	global_load_ushort v37, v[32:33], off
	s_add_u32 s46, s46, 1
	s_addc_u32 s47, s47, 0
	s_andn2_b64 s[44:45], s[44:45], exec
	v_lshl_add_u64 v[32:33], v[32:33], 0, 2
	v_lshl_add_u64 v[34:35], v[34:35], 0, 2
	s_waitcnt vmcnt(0)
	v_cmp_neq_f16_e32 vcc, v36, v37
	s_and_b64 s[48:49], vcc, exec
	s_or_b64 s[44:45], s[44:45], s[48:49]
.LBB1346_138:                           ;   in Loop: Header=BB1346_139 Depth=1
	s_and_b64 s[48:49], exec, s[44:45]
	s_or_b64 s[42:43], s[48:49], s[42:43]
	v_mov_b64_e32 v[36:37], s[46:47]
	s_andn2_b64 exec, exec, s[42:43]
	s_cbranch_execz .LBB1346_141
.LBB1346_139:                           ; =>This Inner Loop Header: Depth=1
	s_or_b64 s[44:45], s[44:45], exec
	s_cmp_eq_u64 s[40:41], s[46:47]
	s_cbranch_scc0 .LBB1346_137
; %bb.140:                              ;   in Loop: Header=BB1346_139 Depth=1
                                        ; implicit-def: $vgpr32_vgpr33
                                        ; implicit-def: $vgpr34_vgpr35
	s_mov_b64 s[46:47], s[26:27]
	s_branch .LBB1346_138
.LBB1346_141:
	s_or_b64 exec, exec, s[42:43]
	v_cmp_gt_i64_e32 vcc, s[26:27], v[36:37]
	s_orn2_b64 s[40:41], vcc, exec
.LBB1346_142:
	s_or_b64 exec, exec, s[12:13]
.LBB1346_143:
	s_and_b64 s[12:13], s[40:41], exec
.LBB1346_144:
	s_or_b64 exec, exec, s[16:17]
	v_cmp_gt_u32_e32 vcc, s54, v44
	s_and_saveexec_b64 s[16:17], vcc
	s_cbranch_execz .LBB1346_155
; %bb.145:
	s_and_b64 vcc, exec, s[4:5]
	s_mov_b64 s[40:41], 0
	s_cbranch_vccnz .LBB1346_154
; %bb.146:
	v_mul_lo_u32 v34, v19, s26
	v_mul_lo_u32 v35, v18, s27
	v_mad_u64_u32 v[32:33], s[14:15], v18, s26, 0
	v_add3_u32 v33, v33, v35, v34
	v_mul_lo_u32 v34, v21, s26
	v_mul_lo_u32 v35, v20, s27
	v_mad_u64_u32 v[36:37], s[14:15], v20, s26, 0
	v_add3_u32 v37, v37, v35, v34
	v_lshl_add_u64 v[34:35], v[32:33], 1, s[36:37]
	v_lshl_add_u64 v[32:33], v[36:37], 1, s[36:37]
	global_load_ushort v36, v[34:35], off
	global_load_ushort v37, v[32:33], off
	s_mov_b64 s[40:41], -1
	s_waitcnt vmcnt(0)
	v_cmp_eq_f16_e32 vcc, v36, v37
	s_and_saveexec_b64 s[14:15], vcc
	s_cbranch_execz .LBB1346_153
; %bb.147:
	s_add_u32 s40, s26, -1
	v_lshl_add_u64 v[32:33], v[32:33], 0, 2
	v_lshl_add_u64 v[34:35], v[34:35], 0, 2
	s_addc_u32 s41, s27, -1
	s_mov_b64 s[42:43], 0
	s_mov_b64 s[46:47], 0
                                        ; implicit-def: $sgpr44_sgpr45
	s_branch .LBB1346_150
.LBB1346_148:                           ;   in Loop: Header=BB1346_150 Depth=1
	global_load_ushort v36, v[34:35], off
	global_load_ushort v37, v[32:33], off
	s_add_u32 s46, s46, 1
	s_addc_u32 s47, s47, 0
	s_andn2_b64 s[44:45], s[44:45], exec
	v_lshl_add_u64 v[32:33], v[32:33], 0, 2
	v_lshl_add_u64 v[34:35], v[34:35], 0, 2
	s_waitcnt vmcnt(0)
	v_cmp_neq_f16_e32 vcc, v36, v37
	s_and_b64 s[48:49], vcc, exec
	s_or_b64 s[44:45], s[44:45], s[48:49]
.LBB1346_149:                           ;   in Loop: Header=BB1346_150 Depth=1
	s_and_b64 s[48:49], exec, s[44:45]
	s_or_b64 s[42:43], s[48:49], s[42:43]
	v_mov_b64_e32 v[36:37], s[46:47]
	s_andn2_b64 exec, exec, s[42:43]
	s_cbranch_execz .LBB1346_152
.LBB1346_150:                           ; =>This Inner Loop Header: Depth=1
	s_or_b64 s[44:45], s[44:45], exec
	s_cmp_eq_u64 s[40:41], s[46:47]
	s_cbranch_scc0 .LBB1346_148
; %bb.151:                              ;   in Loop: Header=BB1346_150 Depth=1
                                        ; implicit-def: $vgpr32_vgpr33
                                        ; implicit-def: $vgpr34_vgpr35
	s_mov_b64 s[46:47], s[26:27]
	s_branch .LBB1346_149
.LBB1346_152:
	s_or_b64 exec, exec, s[42:43]
	v_cmp_gt_i64_e32 vcc, s[26:27], v[36:37]
	s_orn2_b64 s[40:41], vcc, exec
.LBB1346_153:
	s_or_b64 exec, exec, s[14:15]
.LBB1346_154:
	s_and_b64 s[14:15], s[40:41], exec
.LBB1346_155:
	s_or_b64 exec, exec, s[16:17]
	v_cmp_gt_u32_e32 vcc, s54, v40
	s_mov_b64 s[16:17], 0
	s_mov_b64 s[40:41], 0
	s_and_saveexec_b64 s[42:43], vcc
	s_cbranch_execz .LBB1346_166
; %bb.156:
	s_and_b64 vcc, exec, s[4:5]
	s_mov_b64 s[44:45], 0
	s_cbranch_vccnz .LBB1346_165
; %bb.157:
	v_mul_lo_u32 v34, v25, s26
	v_mul_lo_u32 v35, v24, s27
	v_mad_u64_u32 v[32:33], s[40:41], v24, s26, 0
	v_add3_u32 v33, v33, v35, v34
	v_mul_lo_u32 v34, v19, s26
	v_mul_lo_u32 v35, v18, s27
	v_mad_u64_u32 v[36:37], s[40:41], v18, s26, 0
	v_add3_u32 v37, v37, v35, v34
	v_lshl_add_u64 v[34:35], v[32:33], 1, s[36:37]
	v_lshl_add_u64 v[32:33], v[36:37], 1, s[36:37]
	global_load_ushort v36, v[34:35], off
	global_load_ushort v37, v[32:33], off
	s_mov_b64 s[44:45], -1
	s_waitcnt vmcnt(0)
	v_cmp_eq_f16_e32 vcc, v36, v37
	s_and_saveexec_b64 s[40:41], vcc
	s_cbranch_execz .LBB1346_164
; %bb.158:
	s_add_u32 s44, s26, -1
	v_lshl_add_u64 v[32:33], v[32:33], 0, 2
	v_lshl_add_u64 v[34:35], v[34:35], 0, 2
	s_addc_u32 s45, s27, -1
	s_mov_b64 s[46:47], 0
	s_mov_b64 s[50:51], 0
                                        ; implicit-def: $sgpr48_sgpr49
	s_branch .LBB1346_161
.LBB1346_159:                           ;   in Loop: Header=BB1346_161 Depth=1
	global_load_ushort v36, v[34:35], off
	global_load_ushort v37, v[32:33], off
	s_add_u32 s50, s50, 1
	s_addc_u32 s51, s51, 0
	s_andn2_b64 s[48:49], s[48:49], exec
	v_lshl_add_u64 v[32:33], v[32:33], 0, 2
	v_lshl_add_u64 v[34:35], v[34:35], 0, 2
	s_waitcnt vmcnt(0)
	v_cmp_neq_f16_e32 vcc, v36, v37
	s_and_b64 s[52:53], vcc, exec
	s_or_b64 s[48:49], s[48:49], s[52:53]
.LBB1346_160:                           ;   in Loop: Header=BB1346_161 Depth=1
	s_and_b64 s[52:53], exec, s[48:49]
	s_or_b64 s[46:47], s[52:53], s[46:47]
	v_mov_b64_e32 v[36:37], s[50:51]
	s_andn2_b64 exec, exec, s[46:47]
	s_cbranch_execz .LBB1346_163
.LBB1346_161:                           ; =>This Inner Loop Header: Depth=1
	s_or_b64 s[48:49], s[48:49], exec
	s_cmp_eq_u64 s[44:45], s[50:51]
	s_cbranch_scc0 .LBB1346_159
; %bb.162:                              ;   in Loop: Header=BB1346_161 Depth=1
                                        ; implicit-def: $vgpr32_vgpr33
                                        ; implicit-def: $vgpr34_vgpr35
	s_mov_b64 s[50:51], s[26:27]
	s_branch .LBB1346_160
.LBB1346_163:
	s_or_b64 exec, exec, s[46:47]
	v_cmp_gt_i64_e32 vcc, s[26:27], v[36:37]
	s_orn2_b64 s[44:45], vcc, exec
.LBB1346_164:
	s_or_b64 exec, exec, s[40:41]
.LBB1346_165:
	s_and_b64 s[40:41], s[44:45], exec
.LBB1346_166:
	s_or_b64 exec, exec, s[42:43]
	v_cmp_gt_u32_e32 vcc, s54, v43
	s_and_saveexec_b64 s[42:43], vcc
	s_cbranch_execz .LBB1346_177
; %bb.167:
	s_and_b64 vcc, exec, s[4:5]
	s_mov_b64 s[44:45], 0
	s_cbranch_vccnz .LBB1346_176
; %bb.168:
	v_mul_lo_u32 v34, v23, s26
	v_mul_lo_u32 v35, v22, s27
	v_mad_u64_u32 v[32:33], s[16:17], v22, s26, 0
	v_add3_u32 v33, v33, v35, v34
	v_mul_lo_u32 v34, v25, s26
	v_mul_lo_u32 v35, v24, s27
	v_mad_u64_u32 v[36:37], s[16:17], v24, s26, 0
	v_add3_u32 v37, v37, v35, v34
	v_lshl_add_u64 v[34:35], v[32:33], 1, s[36:37]
	v_lshl_add_u64 v[32:33], v[36:37], 1, s[36:37]
	global_load_ushort v36, v[34:35], off
	global_load_ushort v37, v[32:33], off
	s_mov_b64 s[44:45], -1
	s_waitcnt vmcnt(0)
	v_cmp_eq_f16_e32 vcc, v36, v37
	s_and_saveexec_b64 s[16:17], vcc
	s_cbranch_execz .LBB1346_175
; %bb.169:
	s_add_u32 s44, s26, -1
	v_lshl_add_u64 v[32:33], v[32:33], 0, 2
	v_lshl_add_u64 v[34:35], v[34:35], 0, 2
	s_addc_u32 s45, s27, -1
	s_mov_b64 s[46:47], 0
	s_mov_b64 s[50:51], 0
                                        ; implicit-def: $sgpr48_sgpr49
	s_branch .LBB1346_172
.LBB1346_170:                           ;   in Loop: Header=BB1346_172 Depth=1
	global_load_ushort v36, v[34:35], off
	global_load_ushort v37, v[32:33], off
	s_add_u32 s50, s50, 1
	s_addc_u32 s51, s51, 0
	s_andn2_b64 s[48:49], s[48:49], exec
	v_lshl_add_u64 v[32:33], v[32:33], 0, 2
	v_lshl_add_u64 v[34:35], v[34:35], 0, 2
	s_waitcnt vmcnt(0)
	v_cmp_neq_f16_e32 vcc, v36, v37
	s_and_b64 s[52:53], vcc, exec
	s_or_b64 s[48:49], s[48:49], s[52:53]
.LBB1346_171:                           ;   in Loop: Header=BB1346_172 Depth=1
	s_and_b64 s[52:53], exec, s[48:49]
	s_or_b64 s[46:47], s[52:53], s[46:47]
	v_mov_b64_e32 v[36:37], s[50:51]
	s_andn2_b64 exec, exec, s[46:47]
	s_cbranch_execz .LBB1346_174
.LBB1346_172:                           ; =>This Inner Loop Header: Depth=1
	s_or_b64 s[48:49], s[48:49], exec
	s_cmp_eq_u64 s[44:45], s[50:51]
	s_cbranch_scc0 .LBB1346_170
; %bb.173:                              ;   in Loop: Header=BB1346_172 Depth=1
                                        ; implicit-def: $vgpr32_vgpr33
                                        ; implicit-def: $vgpr34_vgpr35
	s_mov_b64 s[50:51], s[26:27]
	s_branch .LBB1346_171
.LBB1346_174:
	s_or_b64 exec, exec, s[46:47]
	v_cmp_gt_i64_e32 vcc, s[26:27], v[36:37]
	s_orn2_b64 s[44:45], vcc, exec
.LBB1346_175:
	s_or_b64 exec, exec, s[16:17]
.LBB1346_176:
	s_and_b64 s[16:17], s[44:45], exec
.LBB1346_177:
	s_or_b64 exec, exec, s[42:43]
	s_waitcnt lgkmcnt(0)
	s_barrier
	s_and_saveexec_b64 s[42:43], s[2:3]
	s_cbranch_execz .LBB1346_179
; %bb.178:
	s_waitcnt vmcnt(0)
	v_add_u32_e32 v30, -8, v47
	ds_read_b64 v[30:31], v30
.LBB1346_179:
	s_or_b64 exec, exec, s[42:43]
	v_cndmask_b32_e64 v33, 0, 1, s[14:15]
	v_cndmask_b32_e64 v32, 0, 1, s[40:41]
	;; [unrolled: 1-line block ×3, first 2 shown]
	v_lshlrev_b16_e32 v33, 8, v33
	v_cmp_gt_u32_e32 vcc, s54, v1
	v_lshlrev_b16_e32 v36, 8, v34
	v_or_b32_sdwa v37, v32, v33 dst_sel:WORD_1 dst_unused:UNUSED_PAD src0_sel:DWORD src1_sel:DWORD
	s_mov_b64 s[14:15], 0
	s_and_saveexec_b64 s[16:17], vcc
	s_cbranch_execz .LBB1346_190
; %bb.180:
	s_and_b64 vcc, exec, s[4:5]
	s_cbranch_vccnz .LBB1346_189
; %bb.181:
	s_waitcnt vmcnt(0) lgkmcnt(0)
	v_mul_lo_u32 v32, v31, s26
	v_mul_lo_u32 v33, v30, s27
	v_mad_u64_u32 v[30:31], s[4:5], v30, s26, 0
	v_add3_u32 v31, v31, v33, v32
	v_mul_lo_u32 v32, v23, s26
	v_mul_lo_u32 v33, v22, s27
	v_mad_u64_u32 v[34:35], s[4:5], v22, s26, 0
	v_add3_u32 v35, v35, v33, v32
	v_lshl_add_u64 v[32:33], v[30:31], 1, s[36:37]
	v_lshl_add_u64 v[30:31], v[34:35], 1, s[36:37]
	global_load_ushort v34, v[32:33], off
	global_load_ushort v35, v[30:31], off
	s_mov_b64 s[14:15], -1
	s_waitcnt vmcnt(0)
	v_cmp_eq_f16_e32 vcc, v34, v35
	s_and_saveexec_b64 s[4:5], vcc
	s_cbranch_execz .LBB1346_188
; %bb.182:
	s_add_u32 s14, s26, -1
	v_lshl_add_u64 v[30:31], v[30:31], 0, 2
	v_lshl_add_u64 v[32:33], v[32:33], 0, 2
	s_addc_u32 s15, s27, -1
	s_mov_b64 s[40:41], 0
	s_mov_b64 s[44:45], 0
                                        ; implicit-def: $sgpr42_sgpr43
	s_branch .LBB1346_185
.LBB1346_183:                           ;   in Loop: Header=BB1346_185 Depth=1
	global_load_ushort v34, v[32:33], off
	global_load_ushort v35, v[30:31], off
	s_add_u32 s44, s44, 1
	s_addc_u32 s45, s45, 0
	s_andn2_b64 s[42:43], s[42:43], exec
	v_lshl_add_u64 v[30:31], v[30:31], 0, 2
	v_lshl_add_u64 v[32:33], v[32:33], 0, 2
	s_waitcnt vmcnt(0)
	v_cmp_neq_f16_e32 vcc, v34, v35
	s_and_b64 s[46:47], vcc, exec
	s_or_b64 s[42:43], s[42:43], s[46:47]
.LBB1346_184:                           ;   in Loop: Header=BB1346_185 Depth=1
	s_and_b64 s[46:47], exec, s[42:43]
	s_or_b64 s[40:41], s[46:47], s[40:41]
	v_mov_b64_e32 v[34:35], s[44:45]
	s_andn2_b64 exec, exec, s[40:41]
	s_cbranch_execz .LBB1346_187
.LBB1346_185:                           ; =>This Inner Loop Header: Depth=1
	s_or_b64 s[42:43], s[42:43], exec
	s_cmp_eq_u64 s[14:15], s[44:45]
	s_cbranch_scc0 .LBB1346_183
; %bb.186:                              ;   in Loop: Header=BB1346_185 Depth=1
                                        ; implicit-def: $vgpr30_vgpr31
                                        ; implicit-def: $vgpr32_vgpr33
	s_mov_b64 s[44:45], s[26:27]
	s_branch .LBB1346_184
.LBB1346_187:
	s_or_b64 exec, exec, s[40:41]
	v_cmp_gt_i64_e32 vcc, s[26:27], v[34:35]
	s_orn2_b64 s[14:15], vcc, exec
.LBB1346_188:
	s_or_b64 exec, exec, s[4:5]
.LBB1346_189:
	s_and_b64 s[14:15], s[14:15], exec
.LBB1346_190:
	s_or_b64 exec, exec, s[16:17]
	v_cndmask_b32_e64 v39, 0, 1, s[12:13]
	v_cndmask_b32_e64 v48, 0, 1, s[10:11]
	;; [unrolled: 1-line block ×3, first 2 shown]
	v_or_b32_e32 v34, v36, v37
.LBB1346_191:
	s_mov_b64 s[10:11], -1
	s_cbranch_execnz .LBB1346_50
.LBB1346_192:
	s_movk_i32 s4, 0xffd0
	v_mad_i32_i24 v38, v0, s4, v46
	s_mov_b64 s[12:13], 0
	v_cmp_gt_i64_e64 s[6:7], s[26:27], 0
	s_and_b64 vcc, exec, s[34:35]
	ds_write_b64 v38, v[28:29]
	s_cbranch_vccz .LBB1346_200
; %bb.193:
	v_mul_lo_u32 v32, v17, s26
	v_mul_lo_u32 v33, v16, s27
	s_waitcnt vmcnt(0) lgkmcnt(1)
	v_mad_u64_u32 v[30:31], s[4:5], v16, s26, 0
	v_add3_u32 v31, v31, v33, v32
	v_cndmask_b32_e64 v32, 0, 1, s[6:7]
	v_cmp_ne_u32_e64 s[4:5], 1, v32
	s_andn2_b64 vcc, exec, s[6:7]
	v_lshl_add_u64 v[30:31], v[30:31], 1, s[36:37]
	s_cbranch_vccnz .LBB1346_203
; %bb.194:
	v_mul_lo_u32 v34, v29, s26
	v_mul_lo_u32 v35, v28, s27
	v_mad_u64_u32 v[32:33], s[12:13], v28, s26, 0
	v_add3_u32 v33, v33, v35, v34
	v_lshl_add_u64 v[32:33], v[32:33], 1, s[36:37]
	global_load_ushort v34, v[30:31], off
	global_load_ushort v35, v[32:33], off
	s_mov_b64 s[12:13], -1
	s_waitcnt vmcnt(0)
	v_cmp_eq_f16_e32 vcc, v34, v35
	s_and_saveexec_b64 s[14:15], vcc
	s_cbranch_execz .LBB1346_202
; %bb.195:
	s_add_u32 s12, s26, -1
	v_lshl_add_u64 v[32:33], v[32:33], 0, 2
	v_lshl_add_u64 v[34:35], v[30:31], 0, 2
	s_addc_u32 s13, s27, -1
	s_mov_b64 s[16:17], 0
	s_mov_b64 s[42:43], 0
                                        ; implicit-def: $sgpr40_sgpr41
	s_branch .LBB1346_198
.LBB1346_196:                           ;   in Loop: Header=BB1346_198 Depth=1
	global_load_ushort v36, v[34:35], off
	global_load_ushort v37, v[32:33], off
	s_add_u32 s42, s42, 1
	s_addc_u32 s43, s43, 0
	s_andn2_b64 s[40:41], s[40:41], exec
	v_lshl_add_u64 v[32:33], v[32:33], 0, 2
	v_lshl_add_u64 v[34:35], v[34:35], 0, 2
	s_waitcnt vmcnt(0)
	v_cmp_neq_f16_e32 vcc, v36, v37
	s_and_b64 s[44:45], vcc, exec
	s_or_b64 s[40:41], s[40:41], s[44:45]
.LBB1346_197:                           ;   in Loop: Header=BB1346_198 Depth=1
	s_and_b64 s[44:45], exec, s[40:41]
	s_or_b64 s[16:17], s[44:45], s[16:17]
	v_mov_b64_e32 v[36:37], s[42:43]
	s_andn2_b64 exec, exec, s[16:17]
	s_cbranch_execz .LBB1346_201
.LBB1346_198:                           ; =>This Inner Loop Header: Depth=1
	s_or_b64 s[40:41], s[40:41], exec
	s_cmp_eq_u64 s[12:13], s[42:43]
	s_cbranch_scc0 .LBB1346_196
; %bb.199:                              ;   in Loop: Header=BB1346_198 Depth=1
                                        ; implicit-def: $vgpr32_vgpr33
                                        ; implicit-def: $vgpr34_vgpr35
	s_mov_b64 s[42:43], s[26:27]
	s_branch .LBB1346_197
.LBB1346_200:
                                        ; implicit-def: $sgpr14_sgpr15
                                        ; implicit-def: $vgpr49
                                        ; implicit-def: $vgpr48
                                        ; implicit-def: $vgpr39
                                        ; implicit-def: $vgpr34
                                        ; implicit-def: $vgpr30_vgpr31
	s_cbranch_execnz .LBB1346_260
	s_branch .LBB1346_340
.LBB1346_201:
	s_or_b64 exec, exec, s[16:17]
	v_cmp_gt_i64_e32 vcc, s[26:27], v[36:37]
	s_orn2_b64 s[12:13], vcc, exec
.LBB1346_202:
	s_or_b64 exec, exec, s[14:15]
.LBB1346_203:
	v_mul_lo_u32 v34, v15, s26
	v_mul_lo_u32 v35, v14, s27
	v_mad_u64_u32 v[32:33], s[14:15], v14, s26, 0
	v_add3_u32 v33, v33, v35, v34
	s_mov_b64 s[14:15], 0
	s_and_b64 vcc, exec, s[4:5]
	v_lshl_add_u64 v[32:33], v[32:33], 1, s[36:37]
	s_mov_b64 s[16:17], 0
	s_cbranch_vccnz .LBB1346_212
; %bb.204:
	global_load_ushort v34, v[32:33], off
	global_load_ushort v35, v[30:31], off
	s_mov_b64 s[16:17], -1
	s_waitcnt vmcnt(0)
	v_cmp_eq_f16_e32 vcc, v34, v35
	s_and_saveexec_b64 s[40:41], vcc
	s_cbranch_execz .LBB1346_211
; %bb.205:
	s_add_u32 s16, s26, -1
	v_lshl_add_u64 v[30:31], v[30:31], 0, 2
	v_lshl_add_u64 v[34:35], v[32:33], 0, 2
	s_addc_u32 s17, s27, -1
	s_mov_b64 s[42:43], 0
	s_mov_b64 s[46:47], 0
                                        ; implicit-def: $sgpr44_sgpr45
	s_branch .LBB1346_208
.LBB1346_206:                           ;   in Loop: Header=BB1346_208 Depth=1
	global_load_ushort v36, v[34:35], off
	global_load_ushort v37, v[30:31], off
	s_add_u32 s46, s46, 1
	s_addc_u32 s47, s47, 0
	s_andn2_b64 s[44:45], s[44:45], exec
	v_lshl_add_u64 v[30:31], v[30:31], 0, 2
	v_lshl_add_u64 v[34:35], v[34:35], 0, 2
	s_waitcnt vmcnt(0)
	v_cmp_neq_f16_e32 vcc, v36, v37
	s_and_b64 s[48:49], vcc, exec
	s_or_b64 s[44:45], s[44:45], s[48:49]
.LBB1346_207:                           ;   in Loop: Header=BB1346_208 Depth=1
	s_and_b64 s[48:49], exec, s[44:45]
	s_or_b64 s[42:43], s[48:49], s[42:43]
	v_mov_b64_e32 v[36:37], s[46:47]
	s_andn2_b64 exec, exec, s[42:43]
	s_cbranch_execz .LBB1346_210
.LBB1346_208:                           ; =>This Inner Loop Header: Depth=1
	s_or_b64 s[44:45], s[44:45], exec
	s_cmp_eq_u64 s[16:17], s[46:47]
	s_cbranch_scc0 .LBB1346_206
; %bb.209:                              ;   in Loop: Header=BB1346_208 Depth=1
                                        ; implicit-def: $vgpr30_vgpr31
                                        ; implicit-def: $vgpr34_vgpr35
	s_mov_b64 s[46:47], s[26:27]
	s_branch .LBB1346_207
.LBB1346_210:
	s_or_b64 exec, exec, s[42:43]
	v_cmp_gt_i64_e32 vcc, s[26:27], v[36:37]
	s_orn2_b64 s[16:17], vcc, exec
.LBB1346_211:
	s_or_b64 exec, exec, s[40:41]
.LBB1346_212:
	v_mul_lo_u32 v34, v21, s26
	v_mul_lo_u32 v35, v20, s27
	v_mad_u64_u32 v[30:31], s[40:41], v20, s26, 0
	v_add3_u32 v31, v31, v35, v34
	s_and_b64 vcc, exec, s[4:5]
	v_lshl_add_u64 v[30:31], v[30:31], 1, s[36:37]
	s_cbranch_vccnz .LBB1346_221
; %bb.213:
	global_load_ushort v34, v[30:31], off
	global_load_ushort v35, v[32:33], off
	s_mov_b64 s[14:15], -1
	s_waitcnt vmcnt(0)
	v_cmp_eq_f16_e32 vcc, v34, v35
	s_and_saveexec_b64 s[40:41], vcc
	s_cbranch_execz .LBB1346_220
; %bb.214:
	s_add_u32 s14, s26, -1
	v_lshl_add_u64 v[32:33], v[32:33], 0, 2
	v_lshl_add_u64 v[34:35], v[30:31], 0, 2
	s_addc_u32 s15, s27, -1
	s_mov_b64 s[42:43], 0
	s_mov_b64 s[46:47], 0
                                        ; implicit-def: $sgpr44_sgpr45
	s_branch .LBB1346_217
.LBB1346_215:                           ;   in Loop: Header=BB1346_217 Depth=1
	global_load_ushort v36, v[34:35], off
	global_load_ushort v37, v[32:33], off
	s_add_u32 s46, s46, 1
	s_addc_u32 s47, s47, 0
	s_andn2_b64 s[44:45], s[44:45], exec
	v_lshl_add_u64 v[32:33], v[32:33], 0, 2
	v_lshl_add_u64 v[34:35], v[34:35], 0, 2
	s_waitcnt vmcnt(0)
	v_cmp_neq_f16_e32 vcc, v36, v37
	s_and_b64 s[48:49], vcc, exec
	s_or_b64 s[44:45], s[44:45], s[48:49]
.LBB1346_216:                           ;   in Loop: Header=BB1346_217 Depth=1
	s_and_b64 s[48:49], exec, s[44:45]
	s_or_b64 s[42:43], s[48:49], s[42:43]
	v_mov_b64_e32 v[36:37], s[46:47]
	s_andn2_b64 exec, exec, s[42:43]
	s_cbranch_execz .LBB1346_219
.LBB1346_217:                           ; =>This Inner Loop Header: Depth=1
	s_or_b64 s[44:45], s[44:45], exec
	s_cmp_eq_u64 s[14:15], s[46:47]
	s_cbranch_scc0 .LBB1346_215
; %bb.218:                              ;   in Loop: Header=BB1346_217 Depth=1
                                        ; implicit-def: $vgpr32_vgpr33
                                        ; implicit-def: $vgpr34_vgpr35
	s_mov_b64 s[46:47], s[26:27]
	s_branch .LBB1346_216
.LBB1346_219:
	s_or_b64 exec, exec, s[42:43]
	v_cmp_gt_i64_e32 vcc, s[26:27], v[36:37]
	s_orn2_b64 s[14:15], vcc, exec
.LBB1346_220:
	s_or_b64 exec, exec, s[40:41]
.LBB1346_221:
	v_mul_lo_u32 v34, v19, s26
	v_mul_lo_u32 v35, v18, s27
	v_mad_u64_u32 v[32:33], s[40:41], v18, s26, 0
	v_add3_u32 v33, v33, v35, v34
	s_mov_b64 s[40:41], 0
	s_and_b64 vcc, exec, s[4:5]
	v_lshl_add_u64 v[32:33], v[32:33], 1, s[36:37]
	s_mov_b64 s[42:43], 0
	s_cbranch_vccnz .LBB1346_230
; %bb.222:
	global_load_ushort v34, v[32:33], off
	global_load_ushort v35, v[30:31], off
	s_mov_b64 s[42:43], -1
	s_waitcnt vmcnt(0)
	v_cmp_eq_f16_e32 vcc, v34, v35
	s_and_saveexec_b64 s[44:45], vcc
	s_cbranch_execz .LBB1346_229
; %bb.223:
	s_add_u32 s42, s26, -1
	v_lshl_add_u64 v[30:31], v[30:31], 0, 2
	v_lshl_add_u64 v[34:35], v[32:33], 0, 2
	s_addc_u32 s43, s27, -1
	s_mov_b64 s[46:47], 0
	s_mov_b64 s[50:51], 0
                                        ; implicit-def: $sgpr48_sgpr49
	s_branch .LBB1346_226
.LBB1346_224:                           ;   in Loop: Header=BB1346_226 Depth=1
	global_load_ushort v36, v[34:35], off
	global_load_ushort v37, v[30:31], off
	s_add_u32 s50, s50, 1
	s_addc_u32 s51, s51, 0
	s_andn2_b64 s[48:49], s[48:49], exec
	v_lshl_add_u64 v[30:31], v[30:31], 0, 2
	v_lshl_add_u64 v[34:35], v[34:35], 0, 2
	s_waitcnt vmcnt(0)
	v_cmp_neq_f16_e32 vcc, v36, v37
	s_and_b64 s[52:53], vcc, exec
	s_or_b64 s[48:49], s[48:49], s[52:53]
.LBB1346_225:                           ;   in Loop: Header=BB1346_226 Depth=1
	s_and_b64 s[52:53], exec, s[48:49]
	s_or_b64 s[46:47], s[52:53], s[46:47]
	v_mov_b64_e32 v[36:37], s[50:51]
	s_andn2_b64 exec, exec, s[46:47]
	s_cbranch_execz .LBB1346_228
.LBB1346_226:                           ; =>This Inner Loop Header: Depth=1
	s_or_b64 s[48:49], s[48:49], exec
	s_cmp_eq_u64 s[42:43], s[50:51]
	s_cbranch_scc0 .LBB1346_224
; %bb.227:                              ;   in Loop: Header=BB1346_226 Depth=1
                                        ; implicit-def: $vgpr30_vgpr31
                                        ; implicit-def: $vgpr34_vgpr35
	s_mov_b64 s[50:51], s[26:27]
	s_branch .LBB1346_225
.LBB1346_228:
	s_or_b64 exec, exec, s[46:47]
	v_cmp_gt_i64_e32 vcc, s[26:27], v[36:37]
	s_orn2_b64 s[42:43], vcc, exec
.LBB1346_229:
	s_or_b64 exec, exec, s[44:45]
.LBB1346_230:
	v_mul_lo_u32 v34, v25, s26
	v_mul_lo_u32 v35, v24, s27
	v_mad_u64_u32 v[30:31], s[44:45], v24, s26, 0
	v_add3_u32 v31, v31, v35, v34
	s_and_b64 vcc, exec, s[4:5]
	v_lshl_add_u64 v[30:31], v[30:31], 1, s[36:37]
	s_cbranch_vccnz .LBB1346_239
; %bb.231:
	global_load_ushort v34, v[30:31], off
	global_load_ushort v35, v[32:33], off
	s_mov_b64 s[40:41], -1
	s_waitcnt vmcnt(0)
	v_cmp_eq_f16_e32 vcc, v34, v35
	s_and_saveexec_b64 s[44:45], vcc
	s_cbranch_execz .LBB1346_238
; %bb.232:
	s_add_u32 s40, s26, -1
	v_lshl_add_u64 v[32:33], v[32:33], 0, 2
	v_lshl_add_u64 v[34:35], v[30:31], 0, 2
	s_addc_u32 s41, s27, -1
	s_mov_b64 s[46:47], 0
	s_mov_b64 s[50:51], 0
                                        ; implicit-def: $sgpr48_sgpr49
	s_branch .LBB1346_235
.LBB1346_233:                           ;   in Loop: Header=BB1346_235 Depth=1
	global_load_ushort v36, v[34:35], off
	global_load_ushort v37, v[32:33], off
	s_add_u32 s50, s50, 1
	s_addc_u32 s51, s51, 0
	s_andn2_b64 s[48:49], s[48:49], exec
	v_lshl_add_u64 v[32:33], v[32:33], 0, 2
	v_lshl_add_u64 v[34:35], v[34:35], 0, 2
	s_waitcnt vmcnt(0)
	v_cmp_neq_f16_e32 vcc, v36, v37
	s_and_b64 s[52:53], vcc, exec
	s_or_b64 s[48:49], s[48:49], s[52:53]
.LBB1346_234:                           ;   in Loop: Header=BB1346_235 Depth=1
	s_and_b64 s[52:53], exec, s[48:49]
	s_or_b64 s[46:47], s[52:53], s[46:47]
	v_mov_b64_e32 v[36:37], s[50:51]
	s_andn2_b64 exec, exec, s[46:47]
	s_cbranch_execz .LBB1346_237
.LBB1346_235:                           ; =>This Inner Loop Header: Depth=1
	s_or_b64 s[48:49], s[48:49], exec
	s_cmp_eq_u64 s[40:41], s[50:51]
	s_cbranch_scc0 .LBB1346_233
; %bb.236:                              ;   in Loop: Header=BB1346_235 Depth=1
                                        ; implicit-def: $vgpr32_vgpr33
                                        ; implicit-def: $vgpr34_vgpr35
	s_mov_b64 s[50:51], s[26:27]
	s_branch .LBB1346_234
.LBB1346_237:
	s_or_b64 exec, exec, s[46:47]
	v_cmp_gt_i64_e32 vcc, s[26:27], v[36:37]
	s_orn2_b64 s[40:41], vcc, exec
.LBB1346_238:
	s_or_b64 exec, exec, s[44:45]
.LBB1346_239:
	v_mul_lo_u32 v34, v23, s26
	v_mul_lo_u32 v35, v22, s27
	v_mad_u64_u32 v[32:33], s[44:45], v22, s26, 0
	v_add3_u32 v33, v33, v35, v34
	s_and_b64 vcc, exec, s[4:5]
	s_mov_b64 s[46:47], 0
	s_cbranch_vccnz .LBB1346_248
; %bb.240:
	v_lshl_add_u64 v[34:35], v[32:33], 1, s[36:37]
	global_load_ushort v36, v[34:35], off
	global_load_ushort v37, v[30:31], off
	s_mov_b64 s[46:47], -1
	s_waitcnt vmcnt(0)
	v_cmp_eq_f16_e32 vcc, v36, v37
	s_and_saveexec_b64 s[44:45], vcc
	s_cbranch_execz .LBB1346_247
; %bb.241:
	s_add_u32 s46, s26, -1
	v_lshl_add_u64 v[30:31], v[30:31], 0, 2
	v_lshl_add_u64 v[34:35], v[34:35], 0, 2
	s_addc_u32 s47, s27, -1
	s_mov_b64 s[48:49], 0
	s_mov_b64 s[52:53], 0
                                        ; implicit-def: $sgpr50_sgpr51
	s_branch .LBB1346_244
.LBB1346_242:                           ;   in Loop: Header=BB1346_244 Depth=1
	global_load_ushort v36, v[34:35], off
	global_load_ushort v37, v[30:31], off
	s_add_u32 s52, s52, 1
	s_addc_u32 s53, s53, 0
	s_andn2_b64 s[50:51], s[50:51], exec
	v_lshl_add_u64 v[30:31], v[30:31], 0, 2
	v_lshl_add_u64 v[34:35], v[34:35], 0, 2
	s_waitcnt vmcnt(0)
	v_cmp_neq_f16_e32 vcc, v36, v37
	s_and_b64 s[56:57], vcc, exec
	s_or_b64 s[50:51], s[50:51], s[56:57]
.LBB1346_243:                           ;   in Loop: Header=BB1346_244 Depth=1
	s_and_b64 s[56:57], exec, s[50:51]
	s_or_b64 s[48:49], s[56:57], s[48:49]
	v_mov_b64_e32 v[36:37], s[52:53]
	s_andn2_b64 exec, exec, s[48:49]
	s_cbranch_execz .LBB1346_246
.LBB1346_244:                           ; =>This Inner Loop Header: Depth=1
	s_or_b64 s[50:51], s[50:51], exec
	s_cmp_eq_u64 s[46:47], s[52:53]
	s_cbranch_scc0 .LBB1346_242
; %bb.245:                              ;   in Loop: Header=BB1346_244 Depth=1
                                        ; implicit-def: $vgpr30_vgpr31
                                        ; implicit-def: $vgpr34_vgpr35
	s_mov_b64 s[52:53], s[26:27]
	s_branch .LBB1346_243
.LBB1346_246:
	s_or_b64 exec, exec, s[48:49]
	v_cmp_gt_i64_e32 vcc, s[26:27], v[36:37]
	s_orn2_b64 s[46:47], vcc, exec
.LBB1346_247:
	s_or_b64 exec, exec, s[44:45]
.LBB1346_248:
	v_cndmask_b32_e64 v31, 0, 1, s[42:43]
	v_cndmask_b32_e64 v30, 0, 1, s[40:41]
	;; [unrolled: 1-line block ×3, first 2 shown]
	v_lshlrev_b16_e32 v31, 8, v31
	v_cndmask_b32_e64 v39, 0, 1, s[14:15]
	v_cndmask_b32_e64 v34, 0, 1, s[46:47]
	v_or_b32_sdwa v30, v30, v31 dst_sel:WORD_1 dst_unused:UNUSED_PAD src0_sel:DWORD src1_sel:DWORD
	v_lshlrev_b16_e32 v31, 8, v48
	v_lshlrev_b16_e32 v34, 8, v34
	v_or_b32_e32 v31, v39, v31
	v_or_b32_e32 v34, 1, v34
	v_and_b32_e32 v31, 0xffff, v31
	v_cndmask_b32_e64 v49, 0, 1, s[12:13]
	v_or_b32_sdwa v30, v34, v30 dst_sel:DWORD dst_unused:UNUSED_PAD src0_sel:WORD_0 src1_sel:DWORD
	v_lshl_or_b32 v31, v49, 16, v31
	s_waitcnt lgkmcnt(0)
	s_barrier
	s_waitcnt lgkmcnt(0)
                                        ; implicit-def: $sgpr14_sgpr15
                                        ; implicit-def: $vgpr34
	s_and_saveexec_b64 s[12:13], s[2:3]
	s_xor_b64 s[12:13], exec, s[12:13]
	s_cbranch_execz .LBB1346_259
; %bb.249:
	s_mov_b32 s44, 0x3020104
	s_and_b64 vcc, exec, s[4:5]
	s_mov_b64 s[14:15], 0
	s_cbranch_vccnz .LBB1346_258
; %bb.250:
	v_add_u32_e32 v31, -8, v38
	ds_read_b64 v[34:35], v31
	v_lshl_add_u64 v[32:33], v[32:33], 1, s[36:37]
	s_mov_b64 s[14:15], -1
	s_waitcnt lgkmcnt(0)
	v_mul_lo_u32 v31, v35, s26
	v_mul_lo_u32 v36, v34, s27
	v_mad_u64_u32 v[34:35], s[4:5], v34, s26, 0
	v_add3_u32 v35, v35, v36, v31
	v_lshl_add_u64 v[34:35], v[34:35], 1, s[36:37]
	global_load_ushort v31, v[34:35], off
	global_load_ushort v36, v[32:33], off
	s_waitcnt vmcnt(0)
	v_cmp_eq_f16_e32 vcc, v31, v36
	s_and_saveexec_b64 s[4:5], vcc
	s_cbranch_execz .LBB1346_257
; %bb.251:
	s_add_u32 s14, s26, -1
	v_lshl_add_u64 v[32:33], v[32:33], 0, 2
	v_lshl_add_u64 v[34:35], v[34:35], 0, 2
	s_addc_u32 s15, s27, -1
	s_mov_b64 s[16:17], 0
	s_mov_b64 s[42:43], 0
                                        ; implicit-def: $sgpr40_sgpr41
	s_branch .LBB1346_254
.LBB1346_252:                           ;   in Loop: Header=BB1346_254 Depth=1
	global_load_ushort v31, v[34:35], off
	global_load_ushort v36, v[32:33], off
	s_add_u32 s42, s42, 1
	s_addc_u32 s43, s43, 0
	s_andn2_b64 s[40:41], s[40:41], exec
	v_lshl_add_u64 v[32:33], v[32:33], 0, 2
	v_lshl_add_u64 v[34:35], v[34:35], 0, 2
	s_waitcnt vmcnt(0)
	v_cmp_neq_f16_e32 vcc, v31, v36
	s_and_b64 s[46:47], vcc, exec
	s_or_b64 s[40:41], s[40:41], s[46:47]
.LBB1346_253:                           ;   in Loop: Header=BB1346_254 Depth=1
	s_and_b64 s[46:47], exec, s[40:41]
	s_or_b64 s[16:17], s[46:47], s[16:17]
	v_mov_b64_e32 v[36:37], s[42:43]
	s_andn2_b64 exec, exec, s[16:17]
	s_cbranch_execz .LBB1346_256
.LBB1346_254:                           ; =>This Inner Loop Header: Depth=1
	s_or_b64 s[40:41], s[40:41], exec
	s_cmp_eq_u64 s[14:15], s[42:43]
	s_cbranch_scc0 .LBB1346_252
; %bb.255:                              ;   in Loop: Header=BB1346_254 Depth=1
                                        ; implicit-def: $vgpr32_vgpr33
                                        ; implicit-def: $vgpr34_vgpr35
	s_mov_b64 s[42:43], s[26:27]
	s_branch .LBB1346_253
.LBB1346_256:
	s_or_b64 exec, exec, s[16:17]
	v_cmp_gt_i64_e32 vcc, s[26:27], v[36:37]
	s_orn2_b64 s[14:15], vcc, exec
.LBB1346_257:
	s_or_b64 exec, exec, s[4:5]
.LBB1346_258:
	v_perm_b32 v34, v30, v30, s44
	s_and_b64 s[14:15], s[14:15], exec
	s_or_b64 s[10:11], s[10:11], exec
                                        ; implicit-def: $vgpr30_vgpr31
.LBB1346_259:
	s_or_b64 exec, exec, s[12:13]
	s_branch .LBB1346_340
.LBB1346_260:
	v_cmp_gt_u32_e32 vcc, s54, v42
	s_mov_b64 s[12:13], 0
	s_mov_b64 s[4:5], 0
	s_and_saveexec_b64 s[14:15], vcc
	s_cbranch_execz .LBB1346_271
; %bb.261:
	s_andn2_b64 vcc, exec, s[6:7]
	s_mov_b64 s[16:17], 0
	s_cbranch_vccnz .LBB1346_270
; %bb.262:
	v_mul_lo_u32 v32, v17, s26
	v_mul_lo_u32 v33, v16, s27
	s_waitcnt vmcnt(0) lgkmcnt(1)
	v_mad_u64_u32 v[30:31], s[4:5], v16, s26, 0
	v_add3_u32 v31, v31, v33, v32
	v_mul_lo_u32 v32, v29, s26
	v_mul_lo_u32 v33, v28, s27
	v_mad_u64_u32 v[34:35], s[4:5], v28, s26, 0
	v_add3_u32 v35, v35, v33, v32
	v_lshl_add_u64 v[32:33], v[30:31], 1, s[36:37]
	v_lshl_add_u64 v[30:31], v[34:35], 1, s[36:37]
	global_load_ushort v34, v[32:33], off
	global_load_ushort v35, v[30:31], off
	s_mov_b64 s[16:17], -1
	s_waitcnt vmcnt(0)
	v_cmp_eq_f16_e32 vcc, v34, v35
	s_and_saveexec_b64 s[4:5], vcc
	s_cbranch_execz .LBB1346_269
; %bb.263:
	s_add_u32 s16, s26, -1
	v_lshl_add_u64 v[30:31], v[30:31], 0, 2
	v_lshl_add_u64 v[32:33], v[32:33], 0, 2
	s_addc_u32 s17, s27, -1
	s_mov_b64 s[40:41], 0
	s_mov_b64 s[44:45], 0
                                        ; implicit-def: $sgpr42_sgpr43
	s_branch .LBB1346_266
.LBB1346_264:                           ;   in Loop: Header=BB1346_266 Depth=1
	global_load_ushort v34, v[32:33], off
	global_load_ushort v35, v[30:31], off
	s_add_u32 s44, s44, 1
	s_addc_u32 s45, s45, 0
	s_andn2_b64 s[42:43], s[42:43], exec
	v_lshl_add_u64 v[30:31], v[30:31], 0, 2
	v_lshl_add_u64 v[32:33], v[32:33], 0, 2
	s_waitcnt vmcnt(0)
	v_cmp_neq_f16_e32 vcc, v34, v35
	s_and_b64 s[46:47], vcc, exec
	s_or_b64 s[42:43], s[42:43], s[46:47]
.LBB1346_265:                           ;   in Loop: Header=BB1346_266 Depth=1
	s_and_b64 s[46:47], exec, s[42:43]
	s_or_b64 s[40:41], s[46:47], s[40:41]
	v_mov_b64_e32 v[34:35], s[44:45]
	s_andn2_b64 exec, exec, s[40:41]
	s_cbranch_execz .LBB1346_268
.LBB1346_266:                           ; =>This Inner Loop Header: Depth=1
	s_or_b64 s[42:43], s[42:43], exec
	s_cmp_eq_u64 s[16:17], s[44:45]
	s_cbranch_scc0 .LBB1346_264
; %bb.267:                              ;   in Loop: Header=BB1346_266 Depth=1
                                        ; implicit-def: $vgpr30_vgpr31
                                        ; implicit-def: $vgpr32_vgpr33
	s_mov_b64 s[44:45], s[26:27]
	s_branch .LBB1346_265
.LBB1346_268:
	s_or_b64 exec, exec, s[40:41]
	v_cmp_gt_i64_e32 vcc, s[26:27], v[34:35]
	s_orn2_b64 s[16:17], vcc, exec
.LBB1346_269:
	s_or_b64 exec, exec, s[4:5]
.LBB1346_270:
	s_and_b64 s[4:5], s[16:17], exec
.LBB1346_271:
	s_or_b64 exec, exec, s[14:15]
	v_cmp_gt_u32_e32 vcc, s54, v45
	s_and_saveexec_b64 s[14:15], vcc
	s_cbranch_execz .LBB1346_282
; %bb.272:
	s_andn2_b64 vcc, exec, s[6:7]
	s_mov_b64 s[16:17], 0
	s_cbranch_vccnz .LBB1346_281
; %bb.273:
	v_mul_lo_u32 v32, v15, s26
	v_mul_lo_u32 v33, v14, s27
	s_waitcnt vmcnt(0) lgkmcnt(1)
	v_mad_u64_u32 v[30:31], s[12:13], v14, s26, 0
	v_add3_u32 v31, v31, v33, v32
	v_mul_lo_u32 v32, v17, s26
	v_mul_lo_u32 v33, v16, s27
	v_mad_u64_u32 v[34:35], s[12:13], v16, s26, 0
	v_add3_u32 v35, v35, v33, v32
	v_lshl_add_u64 v[32:33], v[30:31], 1, s[36:37]
	v_lshl_add_u64 v[30:31], v[34:35], 1, s[36:37]
	global_load_ushort v34, v[32:33], off
	global_load_ushort v35, v[30:31], off
	s_mov_b64 s[16:17], -1
	s_waitcnt vmcnt(0)
	v_cmp_eq_f16_e32 vcc, v34, v35
	s_and_saveexec_b64 s[12:13], vcc
	s_cbranch_execz .LBB1346_280
; %bb.274:
	s_add_u32 s16, s26, -1
	v_lshl_add_u64 v[30:31], v[30:31], 0, 2
	v_lshl_add_u64 v[32:33], v[32:33], 0, 2
	s_addc_u32 s17, s27, -1
	s_mov_b64 s[40:41], 0
	s_mov_b64 s[44:45], 0
                                        ; implicit-def: $sgpr42_sgpr43
	s_branch .LBB1346_277
.LBB1346_275:                           ;   in Loop: Header=BB1346_277 Depth=1
	global_load_ushort v34, v[32:33], off
	global_load_ushort v35, v[30:31], off
	s_add_u32 s44, s44, 1
	s_addc_u32 s45, s45, 0
	s_andn2_b64 s[42:43], s[42:43], exec
	v_lshl_add_u64 v[30:31], v[30:31], 0, 2
	v_lshl_add_u64 v[32:33], v[32:33], 0, 2
	s_waitcnt vmcnt(0)
	v_cmp_neq_f16_e32 vcc, v34, v35
	s_and_b64 s[46:47], vcc, exec
	s_or_b64 s[42:43], s[42:43], s[46:47]
.LBB1346_276:                           ;   in Loop: Header=BB1346_277 Depth=1
	s_and_b64 s[46:47], exec, s[42:43]
	s_or_b64 s[40:41], s[46:47], s[40:41]
	v_mov_b64_e32 v[34:35], s[44:45]
	s_andn2_b64 exec, exec, s[40:41]
	s_cbranch_execz .LBB1346_279
.LBB1346_277:                           ; =>This Inner Loop Header: Depth=1
	s_or_b64 s[42:43], s[42:43], exec
	s_cmp_eq_u64 s[16:17], s[44:45]
	s_cbranch_scc0 .LBB1346_275
; %bb.278:                              ;   in Loop: Header=BB1346_277 Depth=1
                                        ; implicit-def: $vgpr30_vgpr31
                                        ; implicit-def: $vgpr32_vgpr33
	s_mov_b64 s[44:45], s[26:27]
	s_branch .LBB1346_276
.LBB1346_279:
	s_or_b64 exec, exec, s[40:41]
	v_cmp_gt_i64_e32 vcc, s[26:27], v[34:35]
	s_orn2_b64 s[16:17], vcc, exec
.LBB1346_280:
	s_or_b64 exec, exec, s[12:13]
.LBB1346_281:
	s_and_b64 s[12:13], s[16:17], exec
.LBB1346_282:
	s_or_b64 exec, exec, s[14:15]
	v_cmp_gt_u32_e32 vcc, s54, v41
	s_mov_b64 s[16:17], 0
	s_mov_b64 s[14:15], 0
	s_and_saveexec_b64 s[40:41], vcc
	s_cbranch_execz .LBB1346_293
; %bb.283:
	s_andn2_b64 vcc, exec, s[6:7]
	s_mov_b64 s[42:43], 0
	s_cbranch_vccnz .LBB1346_292
; %bb.284:
	v_mul_lo_u32 v32, v21, s26
	v_mul_lo_u32 v33, v20, s27
	s_waitcnt vmcnt(0) lgkmcnt(1)
	v_mad_u64_u32 v[30:31], s[14:15], v20, s26, 0
	v_add3_u32 v31, v31, v33, v32
	v_mul_lo_u32 v32, v15, s26
	v_mul_lo_u32 v33, v14, s27
	v_mad_u64_u32 v[34:35], s[14:15], v14, s26, 0
	v_add3_u32 v35, v35, v33, v32
	v_lshl_add_u64 v[32:33], v[30:31], 1, s[36:37]
	v_lshl_add_u64 v[30:31], v[34:35], 1, s[36:37]
	global_load_ushort v34, v[32:33], off
	global_load_ushort v35, v[30:31], off
	s_mov_b64 s[42:43], -1
	s_waitcnt vmcnt(0)
	v_cmp_eq_f16_e32 vcc, v34, v35
	s_and_saveexec_b64 s[14:15], vcc
	s_cbranch_execz .LBB1346_291
; %bb.285:
	s_add_u32 s42, s26, -1
	v_lshl_add_u64 v[30:31], v[30:31], 0, 2
	v_lshl_add_u64 v[32:33], v[32:33], 0, 2
	s_addc_u32 s43, s27, -1
	s_mov_b64 s[44:45], 0
	s_mov_b64 s[48:49], 0
                                        ; implicit-def: $sgpr46_sgpr47
	s_branch .LBB1346_288
.LBB1346_286:                           ;   in Loop: Header=BB1346_288 Depth=1
	global_load_ushort v34, v[32:33], off
	global_load_ushort v35, v[30:31], off
	s_add_u32 s48, s48, 1
	s_addc_u32 s49, s49, 0
	s_andn2_b64 s[46:47], s[46:47], exec
	v_lshl_add_u64 v[30:31], v[30:31], 0, 2
	v_lshl_add_u64 v[32:33], v[32:33], 0, 2
	s_waitcnt vmcnt(0)
	v_cmp_neq_f16_e32 vcc, v34, v35
	s_and_b64 s[50:51], vcc, exec
	s_or_b64 s[46:47], s[46:47], s[50:51]
.LBB1346_287:                           ;   in Loop: Header=BB1346_288 Depth=1
	s_and_b64 s[50:51], exec, s[46:47]
	s_or_b64 s[44:45], s[50:51], s[44:45]
	v_mov_b64_e32 v[34:35], s[48:49]
	s_andn2_b64 exec, exec, s[44:45]
	s_cbranch_execz .LBB1346_290
.LBB1346_288:                           ; =>This Inner Loop Header: Depth=1
	s_or_b64 s[46:47], s[46:47], exec
	s_cmp_eq_u64 s[42:43], s[48:49]
	s_cbranch_scc0 .LBB1346_286
; %bb.289:                              ;   in Loop: Header=BB1346_288 Depth=1
                                        ; implicit-def: $vgpr30_vgpr31
                                        ; implicit-def: $vgpr32_vgpr33
	s_mov_b64 s[48:49], s[26:27]
	s_branch .LBB1346_287
.LBB1346_290:
	s_or_b64 exec, exec, s[44:45]
	v_cmp_gt_i64_e32 vcc, s[26:27], v[34:35]
	s_orn2_b64 s[42:43], vcc, exec
.LBB1346_291:
	s_or_b64 exec, exec, s[14:15]
.LBB1346_292:
	s_and_b64 s[14:15], s[42:43], exec
.LBB1346_293:
	s_or_b64 exec, exec, s[40:41]
	v_cmp_gt_u32_e32 vcc, s54, v44
	s_and_saveexec_b64 s[40:41], vcc
	s_cbranch_execz .LBB1346_304
; %bb.294:
	s_andn2_b64 vcc, exec, s[6:7]
	s_mov_b64 s[42:43], 0
	s_cbranch_vccnz .LBB1346_303
; %bb.295:
	v_mul_lo_u32 v32, v19, s26
	v_mul_lo_u32 v33, v18, s27
	s_waitcnt vmcnt(0) lgkmcnt(1)
	v_mad_u64_u32 v[30:31], s[16:17], v18, s26, 0
	v_add3_u32 v31, v31, v33, v32
	v_mul_lo_u32 v32, v21, s26
	v_mul_lo_u32 v33, v20, s27
	v_mad_u64_u32 v[34:35], s[16:17], v20, s26, 0
	v_add3_u32 v35, v35, v33, v32
	v_lshl_add_u64 v[32:33], v[30:31], 1, s[36:37]
	v_lshl_add_u64 v[30:31], v[34:35], 1, s[36:37]
	global_load_ushort v34, v[32:33], off
	global_load_ushort v35, v[30:31], off
	s_mov_b64 s[42:43], -1
	s_waitcnt vmcnt(0)
	v_cmp_eq_f16_e32 vcc, v34, v35
	s_and_saveexec_b64 s[16:17], vcc
	s_cbranch_execz .LBB1346_302
; %bb.296:
	s_add_u32 s42, s26, -1
	v_lshl_add_u64 v[30:31], v[30:31], 0, 2
	v_lshl_add_u64 v[32:33], v[32:33], 0, 2
	s_addc_u32 s43, s27, -1
	s_mov_b64 s[44:45], 0
	s_mov_b64 s[48:49], 0
                                        ; implicit-def: $sgpr46_sgpr47
	s_branch .LBB1346_299
.LBB1346_297:                           ;   in Loop: Header=BB1346_299 Depth=1
	global_load_ushort v34, v[32:33], off
	global_load_ushort v35, v[30:31], off
	s_add_u32 s48, s48, 1
	s_addc_u32 s49, s49, 0
	s_andn2_b64 s[46:47], s[46:47], exec
	v_lshl_add_u64 v[30:31], v[30:31], 0, 2
	v_lshl_add_u64 v[32:33], v[32:33], 0, 2
	s_waitcnt vmcnt(0)
	v_cmp_neq_f16_e32 vcc, v34, v35
	s_and_b64 s[50:51], vcc, exec
	s_or_b64 s[46:47], s[46:47], s[50:51]
.LBB1346_298:                           ;   in Loop: Header=BB1346_299 Depth=1
	s_and_b64 s[50:51], exec, s[46:47]
	s_or_b64 s[44:45], s[50:51], s[44:45]
	v_mov_b64_e32 v[34:35], s[48:49]
	s_andn2_b64 exec, exec, s[44:45]
	s_cbranch_execz .LBB1346_301
.LBB1346_299:                           ; =>This Inner Loop Header: Depth=1
	s_or_b64 s[46:47], s[46:47], exec
	s_cmp_eq_u64 s[42:43], s[48:49]
	s_cbranch_scc0 .LBB1346_297
; %bb.300:                              ;   in Loop: Header=BB1346_299 Depth=1
                                        ; implicit-def: $vgpr30_vgpr31
                                        ; implicit-def: $vgpr32_vgpr33
	s_mov_b64 s[48:49], s[26:27]
	s_branch .LBB1346_298
.LBB1346_301:
	s_or_b64 exec, exec, s[44:45]
	v_cmp_gt_i64_e32 vcc, s[26:27], v[34:35]
	s_orn2_b64 s[42:43], vcc, exec
.LBB1346_302:
	s_or_b64 exec, exec, s[16:17]
.LBB1346_303:
	s_and_b64 s[16:17], s[42:43], exec
.LBB1346_304:
	s_or_b64 exec, exec, s[40:41]
	v_cmp_gt_u32_e32 vcc, s54, v40
	s_mov_b64 s[40:41], 0
	s_mov_b64 s[42:43], 0
	s_and_saveexec_b64 s[44:45], vcc
	s_cbranch_execz .LBB1346_315
; %bb.305:
	s_andn2_b64 vcc, exec, s[6:7]
	s_mov_b64 s[46:47], 0
	s_cbranch_vccnz .LBB1346_314
; %bb.306:
	v_mul_lo_u32 v32, v25, s26
	v_mul_lo_u32 v33, v24, s27
	s_waitcnt vmcnt(0) lgkmcnt(1)
	v_mad_u64_u32 v[30:31], s[42:43], v24, s26, 0
	v_add3_u32 v31, v31, v33, v32
	v_mul_lo_u32 v32, v19, s26
	v_mul_lo_u32 v33, v18, s27
	v_mad_u64_u32 v[34:35], s[42:43], v18, s26, 0
	v_add3_u32 v35, v35, v33, v32
	v_lshl_add_u64 v[32:33], v[30:31], 1, s[36:37]
	v_lshl_add_u64 v[30:31], v[34:35], 1, s[36:37]
	global_load_ushort v34, v[32:33], off
	global_load_ushort v35, v[30:31], off
	s_mov_b64 s[46:47], -1
	s_waitcnt vmcnt(0)
	v_cmp_eq_f16_e32 vcc, v34, v35
	s_and_saveexec_b64 s[42:43], vcc
	s_cbranch_execz .LBB1346_313
; %bb.307:
	s_add_u32 s46, s26, -1
	v_lshl_add_u64 v[30:31], v[30:31], 0, 2
	v_lshl_add_u64 v[32:33], v[32:33], 0, 2
	s_addc_u32 s47, s27, -1
	s_mov_b64 s[48:49], 0
	s_mov_b64 s[52:53], 0
                                        ; implicit-def: $sgpr50_sgpr51
	s_branch .LBB1346_310
.LBB1346_308:                           ;   in Loop: Header=BB1346_310 Depth=1
	global_load_ushort v34, v[32:33], off
	global_load_ushort v35, v[30:31], off
	s_add_u32 s52, s52, 1
	s_addc_u32 s53, s53, 0
	s_andn2_b64 s[50:51], s[50:51], exec
	v_lshl_add_u64 v[30:31], v[30:31], 0, 2
	v_lshl_add_u64 v[32:33], v[32:33], 0, 2
	s_waitcnt vmcnt(0)
	v_cmp_neq_f16_e32 vcc, v34, v35
	s_and_b64 s[56:57], vcc, exec
	s_or_b64 s[50:51], s[50:51], s[56:57]
.LBB1346_309:                           ;   in Loop: Header=BB1346_310 Depth=1
	s_and_b64 s[56:57], exec, s[50:51]
	s_or_b64 s[48:49], s[56:57], s[48:49]
	v_mov_b64_e32 v[34:35], s[52:53]
	s_andn2_b64 exec, exec, s[48:49]
	s_cbranch_execz .LBB1346_312
.LBB1346_310:                           ; =>This Inner Loop Header: Depth=1
	s_or_b64 s[50:51], s[50:51], exec
	s_cmp_eq_u64 s[46:47], s[52:53]
	s_cbranch_scc0 .LBB1346_308
; %bb.311:                              ;   in Loop: Header=BB1346_310 Depth=1
                                        ; implicit-def: $vgpr30_vgpr31
                                        ; implicit-def: $vgpr32_vgpr33
	s_mov_b64 s[52:53], s[26:27]
	s_branch .LBB1346_309
.LBB1346_312:
	s_or_b64 exec, exec, s[48:49]
	v_cmp_gt_i64_e32 vcc, s[26:27], v[34:35]
	s_orn2_b64 s[46:47], vcc, exec
.LBB1346_313:
	s_or_b64 exec, exec, s[42:43]
.LBB1346_314:
	s_and_b64 s[42:43], s[46:47], exec
.LBB1346_315:
	s_or_b64 exec, exec, s[44:45]
	v_cmp_gt_u32_e32 vcc, s54, v43
	s_and_saveexec_b64 s[44:45], vcc
	s_cbranch_execz .LBB1346_326
; %bb.316:
	s_andn2_b64 vcc, exec, s[6:7]
	s_mov_b64 s[46:47], 0
	s_cbranch_vccnz .LBB1346_325
; %bb.317:
	v_mul_lo_u32 v32, v23, s26
	v_mul_lo_u32 v33, v22, s27
	s_waitcnt vmcnt(0) lgkmcnt(1)
	v_mad_u64_u32 v[30:31], s[40:41], v22, s26, 0
	v_add3_u32 v31, v31, v33, v32
	v_mul_lo_u32 v32, v25, s26
	v_mul_lo_u32 v33, v24, s27
	v_mad_u64_u32 v[34:35], s[40:41], v24, s26, 0
	v_add3_u32 v35, v35, v33, v32
	v_lshl_add_u64 v[32:33], v[30:31], 1, s[36:37]
	v_lshl_add_u64 v[30:31], v[34:35], 1, s[36:37]
	global_load_ushort v34, v[32:33], off
	global_load_ushort v35, v[30:31], off
	s_mov_b64 s[46:47], -1
	s_waitcnt vmcnt(0)
	v_cmp_eq_f16_e32 vcc, v34, v35
	s_and_saveexec_b64 s[40:41], vcc
	s_cbranch_execz .LBB1346_324
; %bb.318:
	s_add_u32 s46, s26, -1
	v_lshl_add_u64 v[30:31], v[30:31], 0, 2
	v_lshl_add_u64 v[32:33], v[32:33], 0, 2
	s_addc_u32 s47, s27, -1
	s_mov_b64 s[48:49], 0
	s_mov_b64 s[52:53], 0
                                        ; implicit-def: $sgpr50_sgpr51
	s_branch .LBB1346_321
.LBB1346_319:                           ;   in Loop: Header=BB1346_321 Depth=1
	global_load_ushort v34, v[32:33], off
	global_load_ushort v35, v[30:31], off
	s_add_u32 s52, s52, 1
	s_addc_u32 s53, s53, 0
	s_andn2_b64 s[50:51], s[50:51], exec
	v_lshl_add_u64 v[30:31], v[30:31], 0, 2
	v_lshl_add_u64 v[32:33], v[32:33], 0, 2
	s_waitcnt vmcnt(0)
	v_cmp_neq_f16_e32 vcc, v34, v35
	s_and_b64 s[56:57], vcc, exec
	s_or_b64 s[50:51], s[50:51], s[56:57]
.LBB1346_320:                           ;   in Loop: Header=BB1346_321 Depth=1
	s_and_b64 s[56:57], exec, s[50:51]
	s_or_b64 s[48:49], s[56:57], s[48:49]
	v_mov_b64_e32 v[34:35], s[52:53]
	s_andn2_b64 exec, exec, s[48:49]
	s_cbranch_execz .LBB1346_323
.LBB1346_321:                           ; =>This Inner Loop Header: Depth=1
	s_or_b64 s[50:51], s[50:51], exec
	s_cmp_eq_u64 s[46:47], s[52:53]
	s_cbranch_scc0 .LBB1346_319
; %bb.322:                              ;   in Loop: Header=BB1346_321 Depth=1
                                        ; implicit-def: $vgpr30_vgpr31
                                        ; implicit-def: $vgpr32_vgpr33
	s_mov_b64 s[52:53], s[26:27]
	s_branch .LBB1346_320
.LBB1346_323:
	s_or_b64 exec, exec, s[48:49]
	v_cmp_gt_i64_e32 vcc, s[26:27], v[34:35]
	s_orn2_b64 s[46:47], vcc, exec
.LBB1346_324:
	s_or_b64 exec, exec, s[40:41]
.LBB1346_325:
	s_and_b64 s[40:41], s[46:47], exec
.LBB1346_326:
	s_or_b64 exec, exec, s[44:45]
	s_waitcnt vmcnt(0) lgkmcnt(1)
	v_cndmask_b32_e64 v31, 0, 1, s[16:17]
	v_cndmask_b32_e64 v30, 0, 1, s[42:43]
	;; [unrolled: 1-line block ×3, first 2 shown]
	v_lshlrev_b16_e32 v31, 8, v31
	v_cndmask_b32_e64 v39, 0, 1, s[14:15]
	v_cndmask_b32_e64 v32, 0, 1, s[40:41]
	v_or_b32_sdwa v30, v30, v31 dst_sel:WORD_1 dst_unused:UNUSED_PAD src0_sel:DWORD src1_sel:DWORD
	v_lshlrev_b16_e32 v31, 8, v48
	v_lshlrev_b16_e32 v32, 8, v32
	v_or_b32_e32 v31, v39, v31
	v_or_b32_e32 v32, 1, v32
	v_and_b32_e32 v31, 0xffff, v31
	v_cndmask_b32_e64 v49, 0, 1, s[4:5]
	v_or_b32_sdwa v30, v32, v30 dst_sel:DWORD dst_unused:UNUSED_PAD src0_sel:WORD_0 src1_sel:DWORD
	v_lshl_or_b32 v31, v49, 16, v31
	s_waitcnt lgkmcnt(0)
	s_barrier
	s_waitcnt lgkmcnt(0)
                                        ; implicit-def: $sgpr14_sgpr15
                                        ; implicit-def: $vgpr34
	s_and_saveexec_b64 s[4:5], s[2:3]
	s_cbranch_execz .LBB1346_339
; %bb.327:
	v_cmp_gt_u32_e32 vcc, s54, v1
	s_mov_b32 s40, 0x3020104
	s_mov_b64 s[12:13], 0
	s_and_saveexec_b64 s[2:3], vcc
	s_cbranch_execz .LBB1346_338
; %bb.328:
	s_andn2_b64 vcc, exec, s[6:7]
	s_cbranch_vccnz .LBB1346_337
; %bb.329:
	v_add_u32_e32 v31, -8, v38
	ds_read_b64 v[32:33], v31
	v_mul_lo_u32 v31, v23, s26
	v_mad_u64_u32 v[36:37], s[6:7], v22, s26, 0
	s_mov_b64 s[12:13], -1
	s_waitcnt lgkmcnt(0)
	v_mul_lo_u32 v34, v33, s26
	v_mul_lo_u32 v35, v32, s27
	v_mad_u64_u32 v[32:33], s[6:7], v32, s26, 0
	v_add3_u32 v33, v33, v35, v34
	v_mul_lo_u32 v34, v22, s27
	v_add3_u32 v37, v37, v34, v31
	v_lshl_add_u64 v[34:35], v[32:33], 1, s[36:37]
	v_lshl_add_u64 v[32:33], v[36:37], 1, s[36:37]
	global_load_ushort v31, v[34:35], off
	global_load_ushort v36, v[32:33], off
	s_waitcnt vmcnt(0)
	v_cmp_eq_f16_e32 vcc, v31, v36
	s_and_saveexec_b64 s[6:7], vcc
	s_cbranch_execz .LBB1346_336
; %bb.330:
	s_add_u32 s12, s26, -1
	v_lshl_add_u64 v[32:33], v[32:33], 0, 2
	v_lshl_add_u64 v[34:35], v[34:35], 0, 2
	s_addc_u32 s13, s27, -1
	s_mov_b64 s[14:15], 0
	s_mov_b64 s[36:37], 0
                                        ; implicit-def: $sgpr16_sgpr17
	s_branch .LBB1346_333
.LBB1346_331:                           ;   in Loop: Header=BB1346_333 Depth=1
	global_load_ushort v31, v[34:35], off
	global_load_ushort v36, v[32:33], off
	s_add_u32 s36, s36, 1
	s_addc_u32 s37, s37, 0
	s_andn2_b64 s[16:17], s[16:17], exec
	v_lshl_add_u64 v[32:33], v[32:33], 0, 2
	v_lshl_add_u64 v[34:35], v[34:35], 0, 2
	s_waitcnt vmcnt(0)
	v_cmp_neq_f16_e32 vcc, v31, v36
	s_and_b64 s[42:43], vcc, exec
	s_or_b64 s[16:17], s[16:17], s[42:43]
.LBB1346_332:                           ;   in Loop: Header=BB1346_333 Depth=1
	s_and_b64 s[42:43], exec, s[16:17]
	s_or_b64 s[14:15], s[42:43], s[14:15]
	v_mov_b64_e32 v[36:37], s[36:37]
	s_andn2_b64 exec, exec, s[14:15]
	s_cbranch_execz .LBB1346_335
.LBB1346_333:                           ; =>This Inner Loop Header: Depth=1
	s_or_b64 s[16:17], s[16:17], exec
	s_cmp_eq_u64 s[12:13], s[36:37]
	s_cbranch_scc0 .LBB1346_331
; %bb.334:                              ;   in Loop: Header=BB1346_333 Depth=1
                                        ; implicit-def: $vgpr32_vgpr33
                                        ; implicit-def: $vgpr34_vgpr35
	s_mov_b64 s[36:37], s[26:27]
	s_branch .LBB1346_332
.LBB1346_335:
	s_or_b64 exec, exec, s[14:15]
	v_cmp_gt_i64_e32 vcc, s[26:27], v[36:37]
	s_orn2_b64 s[12:13], vcc, exec
.LBB1346_336:
	s_or_b64 exec, exec, s[6:7]
.LBB1346_337:
	s_and_b64 s[12:13], s[12:13], exec
.LBB1346_338:
	s_or_b64 exec, exec, s[2:3]
	v_perm_b32 v34, v30, v30, s40
	s_and_b64 s[14:15], s[12:13], exec
	s_or_b64 s[10:11], s[10:11], exec
                                        ; implicit-def: $vgpr30_vgpr31
.LBB1346_339:
	s_or_b64 exec, exec, s[4:5]
.LBB1346_340:
	s_and_saveexec_b64 s[2:3], s[10:11]
	s_cbranch_execz .LBB1346_342
; %bb.341:
	s_waitcnt vmcnt(0) lgkmcnt(0)
	v_lshlrev_b16_e32 v31, 8, v48
	v_and_b32_e32 v32, 0xff, v49
	v_or_b32_sdwa v31, v39, v31 dst_sel:DWORD dst_unused:UNUSED_PAD src0_sel:BYTE_0 src1_sel:DWORD
	v_lshlrev_b32_e32 v32, 16, v32
	s_movk_i32 s4, 0xff
	v_or_b32_sdwa v31, v31, v32 dst_sel:DWORD dst_unused:UNUSED_PAD src0_sel:WORD_0 src1_sel:DWORD
	v_lshrrev_b32_e32 v32, 24, v34
	v_lshlrev_b16_e32 v32, 8, v32
	v_and_b32_sdwa v33, v34, s4 dst_sel:DWORD dst_unused:UNUSED_PAD src0_sel:WORD_1 src1_sel:DWORD
	v_or_b32_sdwa v32, v33, v32 dst_sel:WORD_1 dst_unused:UNUSED_PAD src0_sel:DWORD src1_sel:DWORD
	v_mov_b32_e32 v33, 8
	v_cndmask_b32_e64 v30, 0, 1, s[14:15]
	v_lshrrev_b32_sdwa v33, v33, v34 dst_sel:BYTE_1 dst_unused:UNUSED_PAD src0_sel:DWORD src1_sel:DWORD
	s_nop 0
	v_or_b32_e32 v30, v30, v33
	v_or_b32_sdwa v30, v30, v32 dst_sel:DWORD dst_unused:UNUSED_PAD src0_sel:WORD_0 src1_sel:DWORD
.LBB1346_342:
	s_or_b64 exec, exec, s[2:3]
	s_andn2_b64 vcc, exec, s[8:9]
	s_cbranch_vccnz .LBB1346_344
; %bb.343:
	s_waitcnt vmcnt(0) lgkmcnt(0)
	v_and_b32_e32 v32, 0xffff0000, v30
	v_cmp_gt_u32_e32 vcc, s54, v1
	s_mov_b32 s2, 0x40c0100
	s_nop 0
	v_cndmask_b32_e32 v1, v32, v30, vcc
	v_and_b32_e32 v1, 0xffff00ff, v1
	v_cmp_gt_u32_e32 vcc, s54, v43
	s_nop 1
	v_cndmask_b32_e32 v1, v1, v30, vcc
	v_lshrrev_b32_e32 v32, 24, v1
	v_perm_b32 v1, v32, v1, s2
	v_cmp_gt_u32_e32 vcc, s54, v40
	v_and_b32_e32 v32, 0xffffff00, v31
	s_nop 0
	v_cndmask_b32_e32 v1, v1, v30, vcc
	v_and_b32_e32 v1, 0xffffff, v1
	v_cmp_gt_u32_e32 vcc, s54, v44
	s_nop 1
	v_cndmask_b32_e32 v1, v1, v30, vcc
	v_cmp_gt_u32_e32 vcc, s54, v41
	s_nop 1
	v_cndmask_b32_e32 v32, v32, v31, vcc
	v_and_b32_e32 v32, 0xffff00ff, v32
	v_cndmask_b32_e32 v1, v1, v30, vcc
	v_cmp_gt_u32_e32 vcc, s54, v45
	s_nop 1
	v_cndmask_b32_e32 v32, v32, v31, vcc
	v_lshrrev_b32_e32 v33, 24, v32
	v_cndmask_b32_e32 v1, v1, v30, vcc
	v_perm_b32 v32, v33, v32, s2
	v_cmp_gt_u32_e32 vcc, s54, v42
	s_mov_b32 s2, 0x3020104
	s_nop 0
	v_cndmask_b32_e32 v1, v1, v30, vcc
	v_cndmask_b32_e32 v30, v32, v31, vcc
	v_mov_b32_e32 v31, 8
	v_lshrrev_b32_sdwa v31, v31, v30 dst_sel:BYTE_1 dst_unused:UNUSED_PAD src0_sel:DWORD src1_sel:DWORD
	s_nop 0
	v_or_b32_sdwa v31, v30, v31 dst_sel:DWORD dst_unused:UNUSED_PAD src0_sel:BYTE_0 src1_sel:DWORD
	v_and_b32_e32 v31, 0xffff, v31
	v_bfe_u32 v30, v30, 16, 8
	v_lshl_or_b32 v31, v30, 16, v31
	v_perm_b32 v30, v1, v1, s2
.LBB1346_344:
	s_waitcnt vmcnt(0) lgkmcnt(0)
	v_and_b32_e32 v1, 0xff, v30
	v_bfe_u32 v43, v30, 8, 8
	v_bfe_u32 v45, v30, 16, 8
	v_alignbit_b32 v32, v31, v30, 24
	v_and_b32_e32 v47, 0xff, v32
	v_and_b32_e32 v48, 0xff, v31
	v_add3_u32 v33, v43, v1, v45
	v_bfe_u32 v49, v31, 8, 8
	v_bfe_u32 v32, v31, 16, 8
	v_add3_u32 v33, v33, v47, v48
	v_add3_u32 v52, v33, v49, v32
	v_mbcnt_lo_u32_b32 v32, -1, 0
	v_mbcnt_hi_u32_b32 v50, -1, v32
	v_and_b32_e32 v32, 15, v50
	v_cmp_eq_u32_e64 s[14:15], 0, v32
	v_cmp_lt_u32_e64 s[12:13], 1, v32
	v_cmp_lt_u32_e64 s[10:11], 3, v32
	;; [unrolled: 1-line block ×3, first 2 shown]
	v_and_b32_e32 v32, 16, v50
	v_cmp_eq_u32_e64 s[6:7], 0, v32
	v_or_b32_e32 v32, 63, v0
	v_cmp_lt_u32_e64 s[2:3], 31, v50
	v_lshrrev_b32_e32 v51, 6, v0
	v_cmp_eq_u32_e64 s[4:5], v32, v0
	s_and_b64 vcc, exec, s[0:1]
	s_barrier
	s_cbranch_vccz .LBB1346_375
; %bb.345:
	v_mov_b32_dpp v32, v52 row_shr:1 row_mask:0xf bank_mask:0xf
	v_cndmask_b32_e64 v32, v32, 0, s[14:15]
	v_add_u32_e32 v32, v32, v52
	s_nop 1
	v_mov_b32_dpp v33, v32 row_shr:2 row_mask:0xf bank_mask:0xf
	v_cndmask_b32_e64 v33, 0, v33, s[12:13]
	v_add_u32_e32 v32, v32, v33
	s_nop 1
	;; [unrolled: 4-line block ×4, first 2 shown]
	v_mov_b32_dpp v33, v32 row_bcast:15 row_mask:0xf bank_mask:0xf
	v_cndmask_b32_e64 v33, v33, 0, s[6:7]
	v_add_u32_e32 v32, v32, v33
	s_nop 1
	v_mov_b32_dpp v33, v32 row_bcast:31 row_mask:0xf bank_mask:0xf
	v_cndmask_b32_e64 v33, 0, v33, s[2:3]
	v_add_u32_e32 v32, v32, v33
	s_and_saveexec_b64 s[0:1], s[4:5]
	s_cbranch_execz .LBB1346_347
; %bb.346:
	v_lshlrev_b32_e32 v33, 2, v51
	ds_write_b32 v33, v32
.LBB1346_347:
	s_or_b64 exec, exec, s[0:1]
	v_cmp_gt_u32_e32 vcc, 8, v0
	s_waitcnt lgkmcnt(0)
	s_barrier
	s_and_saveexec_b64 s[0:1], vcc
	s_cbranch_execz .LBB1346_349
; %bb.348:
	v_lshlrev_b32_e32 v33, 2, v0
	ds_read_b32 v34, v33
	v_and_b32_e32 v35, 7, v50
	v_cmp_ne_u32_e32 vcc, 0, v35
	s_waitcnt lgkmcnt(0)
	v_mov_b32_dpp v36, v34 row_shr:1 row_mask:0xf bank_mask:0xf
	v_cndmask_b32_e32 v36, 0, v36, vcc
	v_add_u32_e32 v34, v36, v34
	v_cmp_lt_u32_e32 vcc, 1, v35
	s_nop 0
	v_mov_b32_dpp v36, v34 row_shr:2 row_mask:0xf bank_mask:0xf
	v_cndmask_b32_e32 v36, 0, v36, vcc
	v_add_u32_e32 v34, v34, v36
	v_cmp_lt_u32_e32 vcc, 3, v35
	s_nop 0
	v_mov_b32_dpp v36, v34 row_shr:4 row_mask:0xf bank_mask:0xf
	v_cndmask_b32_e32 v35, 0, v36, vcc
	v_add_u32_e32 v34, v34, v35
	ds_write_b32 v33, v34
.LBB1346_349:
	s_or_b64 exec, exec, s[0:1]
	v_cmp_gt_u32_e32 vcc, 64, v0
	v_cmp_lt_u32_e64 s[0:1], 63, v0
	s_waitcnt lgkmcnt(0)
	s_barrier
	s_waitcnt lgkmcnt(0)
                                        ; implicit-def: $vgpr42
	s_and_saveexec_b64 s[16:17], s[0:1]
	s_cbranch_execz .LBB1346_351
; %bb.350:
	v_lshl_add_u32 v33, v51, 2, -4
	ds_read_b32 v42, v33
	s_waitcnt lgkmcnt(0)
	v_add_u32_e32 v32, v42, v32
.LBB1346_351:
	s_or_b64 exec, exec, s[16:17]
	v_add_u32_e32 v33, -1, v50
	v_and_b32_e32 v34, 64, v50
	v_cmp_lt_i32_e64 s[0:1], v33, v34
	v_cmp_eq_u32_e64 s[16:17], 0, v50
	s_nop 0
	v_cndmask_b32_e64 v33, v33, v50, s[0:1]
	v_lshlrev_b32_e32 v33, 2, v33
	ds_bpermute_b32 v44, v33, v32
	s_and_saveexec_b64 s[0:1], vcc
	s_cbranch_execz .LBB1346_374
; %bb.352:
	v_mov_b32_e32 v41, 0
	ds_read_b32 v32, v41 offset:28
	s_and_saveexec_b64 s[26:27], s[16:17]
	s_cbranch_execz .LBB1346_354
; %bb.353:
	s_add_i32 s36, s33, 64
	s_mov_b32 s37, 0
	s_lshl_b64 s[36:37], s[36:37], 3
	s_add_u32 s36, s38, s36
	v_mov_b32_e32 v33, 1
	s_addc_u32 s37, s39, s37
	s_waitcnt lgkmcnt(0)
	global_store_dwordx2 v41, v[32:33], s[36:37] sc1
.LBB1346_354:
	s_or_b64 exec, exec, s[26:27]
	v_xad_u32 v34, v50, -1, s33
	v_add_u32_e32 v40, 64, v34
	v_lshl_add_u64 v[36:37], v[40:41], 3, s[38:39]
	global_load_dwordx2 v[38:39], v[36:37], off sc1
	s_waitcnt vmcnt(0)
	v_cmp_eq_u16_sdwa s[36:37], v39, v41 src0_sel:BYTE_0 src1_sel:DWORD
	s_and_saveexec_b64 s[26:27], s[36:37]
	s_cbranch_execz .LBB1346_360
; %bb.355:
	s_mov_b32 s40, 1
	s_mov_b64 s[36:37], 0
	v_mov_b32_e32 v33, 0
.LBB1346_356:                           ; =>This Loop Header: Depth=1
                                        ;     Child Loop BB1346_357 Depth 2
	s_max_u32 s41, s40, 1
.LBB1346_357:                           ;   Parent Loop BB1346_356 Depth=1
                                        ; =>  This Inner Loop Header: Depth=2
	s_add_i32 s41, s41, -1
	s_cmp_eq_u32 s41, 0
	s_sleep 1
	s_cbranch_scc0 .LBB1346_357
; %bb.358:                              ;   in Loop: Header=BB1346_356 Depth=1
	global_load_dwordx2 v[38:39], v[36:37], off sc1
	s_cmp_lt_u32 s40, 32
	s_cselect_b64 s[42:43], -1, 0
	s_cmp_lg_u64 s[42:43], 0
	s_addc_u32 s40, s40, 0
	s_waitcnt vmcnt(0)
	v_cmp_ne_u16_sdwa s[42:43], v39, v33 src0_sel:BYTE_0 src1_sel:DWORD
	s_or_b64 s[36:37], s[42:43], s[36:37]
	s_andn2_b64 exec, exec, s[36:37]
	s_cbranch_execnz .LBB1346_356
; %bb.359:
	s_or_b64 exec, exec, s[36:37]
.LBB1346_360:
	s_or_b64 exec, exec, s[26:27]
	v_and_b32_e32 v46, 63, v50
	v_mov_b32_e32 v33, 2
	v_cmp_ne_u32_e32 vcc, 63, v46
	v_cmp_eq_u16_sdwa s[26:27], v39, v33 src0_sel:BYTE_0 src1_sel:DWORD
	v_lshlrev_b64 v[36:37], v50, -1
	v_addc_co_u32_e32 v41, vcc, 0, v50, vcc
	v_and_b32_e32 v35, s27, v37
	v_lshlrev_b32_e32 v53, 2, v41
	v_or_b32_e32 v35, 0x80000000, v35
	ds_bpermute_b32 v41, v53, v38
	v_and_b32_e32 v40, s26, v36
	v_ffbl_b32_e32 v35, v35
	v_add_u32_e32 v35, 32, v35
	v_ffbl_b32_e32 v40, v40
	v_min_u32_e32 v35, v40, v35
	v_cmp_lt_u32_e32 vcc, v46, v35
	v_add_u32_e32 v55, 2, v46
	v_add_u32_e32 v57, 4, v46
	s_waitcnt lgkmcnt(0)
	v_cndmask_b32_e32 v40, 0, v41, vcc
	v_cmp_gt_u32_e32 vcc, 62, v46
	v_add_u32_e32 v38, v40, v38
	v_add_u32_e32 v59, 8, v46
	v_cndmask_b32_e64 v40, 0, 1, vcc
	v_lshlrev_b32_e32 v40, 1, v40
	v_add_lshl_u32 v54, v40, v50, 2
	ds_bpermute_b32 v40, v54, v38
	v_cmp_le_u32_e32 vcc, v55, v35
	v_add_u32_e32 v62, 16, v46
	v_add_u32_e32 v64, 32, v46
	s_waitcnt lgkmcnt(0)
	v_cndmask_b32_e32 v40, 0, v40, vcc
	v_cmp_gt_u32_e32 vcc, 60, v46
	v_add_u32_e32 v38, v38, v40
	s_nop 0
	v_cndmask_b32_e64 v40, 0, 1, vcc
	v_lshlrev_b32_e32 v40, 2, v40
	v_add_lshl_u32 v56, v40, v50, 2
	ds_bpermute_b32 v40, v56, v38
	v_cmp_le_u32_e32 vcc, v57, v35
	s_waitcnt lgkmcnt(0)
	s_nop 0
	v_cndmask_b32_e32 v40, 0, v40, vcc
	v_cmp_gt_u32_e32 vcc, 56, v46
	v_add_u32_e32 v38, v38, v40
	s_nop 0
	v_cndmask_b32_e64 v40, 0, 1, vcc
	v_lshlrev_b32_e32 v40, 3, v40
	v_add_lshl_u32 v58, v40, v50, 2
	ds_bpermute_b32 v40, v58, v38
	v_cmp_le_u32_e32 vcc, v59, v35
	s_waitcnt lgkmcnt(0)
	s_nop 0
	;; [unrolled: 11-line block ×4, first 2 shown]
	v_cndmask_b32_e32 v35, 0, v40, vcc
	v_add_u32_e32 v38, v38, v35
	v_mov_b32_e32 v35, 0
	s_branch .LBB1346_362
.LBB1346_361:                           ;   in Loop: Header=BB1346_362 Depth=1
	s_or_b64 exec, exec, s[26:27]
	v_cmp_eq_u16_sdwa s[26:27], v39, v33 src0_sel:BYTE_0 src1_sel:DWORD
	ds_bpermute_b32 v65, v53, v38
	v_subrev_u32_e32 v34, 64, v34
	v_and_b32_e32 v40, s27, v37
	v_or_b32_e32 v40, 0x80000000, v40
	v_and_b32_e32 v41, s26, v36
	v_ffbl_b32_e32 v40, v40
	v_add_u32_e32 v40, 32, v40
	v_ffbl_b32_e32 v41, v41
	v_min_u32_e32 v40, v41, v40
	v_cmp_lt_u32_e32 vcc, v46, v40
	s_waitcnt lgkmcnt(0)
	s_nop 0
	v_cndmask_b32_e32 v41, 0, v65, vcc
	v_add_u32_e32 v38, v41, v38
	ds_bpermute_b32 v41, v54, v38
	v_cmp_le_u32_e32 vcc, v55, v40
	s_waitcnt lgkmcnt(0)
	s_nop 0
	v_cndmask_b32_e32 v41, 0, v41, vcc
	v_add_u32_e32 v38, v38, v41
	ds_bpermute_b32 v41, v56, v38
	v_cmp_le_u32_e32 vcc, v57, v40
	;; [unrolled: 6-line block ×5, first 2 shown]
	s_waitcnt lgkmcnt(0)
	s_nop 0
	v_cndmask_b32_e32 v40, 0, v41, vcc
	v_add3_u32 v38, v40, v60, v38
.LBB1346_362:                           ; =>This Loop Header: Depth=1
                                        ;     Child Loop BB1346_365 Depth 2
                                        ;       Child Loop BB1346_366 Depth 3
	v_cmp_ne_u16_sdwa s[26:27], v39, v33 src0_sel:BYTE_0 src1_sel:DWORD
	v_mov_b32_e32 v60, v38
	s_nop 0
	v_cndmask_b32_e64 v39, 0, 1, s[26:27]
	;;#ASMSTART
	;;#ASMEND
	s_nop 0
	v_cmp_ne_u32_e32 vcc, 0, v39
	s_cmp_lg_u64 vcc, exec
	s_cbranch_scc1 .LBB1346_369
; %bb.363:                              ;   in Loop: Header=BB1346_362 Depth=1
	v_lshl_add_u64 v[40:41], v[34:35], 3, s[38:39]
	global_load_dwordx2 v[38:39], v[40:41], off sc1
	s_waitcnt vmcnt(0)
	v_cmp_eq_u16_sdwa s[36:37], v39, v35 src0_sel:BYTE_0 src1_sel:DWORD
	s_and_saveexec_b64 s[26:27], s[36:37]
	s_cbranch_execz .LBB1346_361
; %bb.364:                              ;   in Loop: Header=BB1346_362 Depth=1
	s_mov_b32 s40, 1
	s_mov_b64 s[36:37], 0
.LBB1346_365:                           ;   Parent Loop BB1346_362 Depth=1
                                        ; =>  This Loop Header: Depth=2
                                        ;       Child Loop BB1346_366 Depth 3
	s_max_u32 s41, s40, 1
.LBB1346_366:                           ;   Parent Loop BB1346_362 Depth=1
                                        ;     Parent Loop BB1346_365 Depth=2
                                        ; =>    This Inner Loop Header: Depth=3
	s_add_i32 s41, s41, -1
	s_cmp_eq_u32 s41, 0
	s_sleep 1
	s_cbranch_scc0 .LBB1346_366
; %bb.367:                              ;   in Loop: Header=BB1346_365 Depth=2
	global_load_dwordx2 v[38:39], v[40:41], off sc1
	s_cmp_lt_u32 s40, 32
	s_cselect_b64 s[42:43], -1, 0
	s_cmp_lg_u64 s[42:43], 0
	s_addc_u32 s40, s40, 0
	s_waitcnt vmcnt(0)
	v_cmp_ne_u16_sdwa s[42:43], v39, v35 src0_sel:BYTE_0 src1_sel:DWORD
	s_or_b64 s[36:37], s[42:43], s[36:37]
	s_andn2_b64 exec, exec, s[36:37]
	s_cbranch_execnz .LBB1346_365
; %bb.368:                              ;   in Loop: Header=BB1346_362 Depth=1
	s_or_b64 exec, exec, s[36:37]
	s_branch .LBB1346_361
.LBB1346_369:                           ;   in Loop: Header=BB1346_362 Depth=1
                                        ; implicit-def: $vgpr38
                                        ; implicit-def: $vgpr39
	s_cbranch_execz .LBB1346_362
; %bb.370:
	s_and_saveexec_b64 s[26:27], s[16:17]
	s_cbranch_execz .LBB1346_372
; %bb.371:
	s_add_i32 s36, s33, 64
	s_mov_b32 s37, 0
	s_lshl_b64 s[36:37], s[36:37], 3
	s_add_u32 s36, s38, s36
	v_add_u32_e32 v34, v60, v32
	v_mov_b32_e32 v35, 2
	s_addc_u32 s37, s39, s37
	v_mov_b32_e32 v33, 0
	s_movk_i32 s33, 0x7000
	global_store_dwordx2 v33, v[34:35], s[36:37] sc1
	v_add_u32_e64 v33, s33, 0
	ds_write2_b32 v33, v32, v60 offset1:2
.LBB1346_372:
	s_or_b64 exec, exec, s[26:27]
	s_and_b64 exec, exec, s[18:19]
	s_cbranch_execz .LBB1346_374
; %bb.373:
	v_mov_b32_e32 v32, 0
	ds_write_b32 v32, v60 offset:28
.LBB1346_374:
	s_or_b64 exec, exec, s[0:1]
	v_mov_b32_e32 v32, 0
	s_waitcnt lgkmcnt(0)
	s_barrier
	ds_read_b32 v32, v32 offset:28
	v_cndmask_b32_e64 v33, v44, v42, s[16:17]
	v_cndmask_b32_e64 v33, v33, 0, s[18:19]
	s_movk_i32 s0, 0x7000
	s_waitcnt lgkmcnt(0)
	v_add_u32_e32 v46, v32, v33
	v_add_u32_e64 v32, s0, 0
	v_add_u32_e32 v44, v46, v1
	s_barrier
	ds_read2_b32 v[32:33], v32 offset1:2
	v_add_u32_e32 v42, v44, v43
	v_add_u32_e32 v40, v42, v45
	;; [unrolled: 1-line block ×5, first 2 shown]
	s_waitcnt lgkmcnt(0)
	v_readfirstlane_b32 s26, v32
	v_readfirstlane_b32 s16, v33
	v_lshrrev_b64 v[32:33], 24, v[30:31]
	s_branch .LBB1346_385
.LBB1346_375:
                                        ; implicit-def: $vgpr34
                                        ; implicit-def: $vgpr36
                                        ; implicit-def: $vgpr38
                                        ; implicit-def: $vgpr40
                                        ; implicit-def: $vgpr42
                                        ; implicit-def: $vgpr44
                                        ; implicit-def: $vgpr46
                                        ; implicit-def: $sgpr16
                                        ; implicit-def: $sgpr26
	v_lshrrev_b64 v[32:33], 24, v[30:31]
	s_cbranch_execz .LBB1346_385
; %bb.376:
	s_nop 0
	v_mov_b32_dpp v33, v52 row_shr:1 row_mask:0xf bank_mask:0xf
	v_cndmask_b32_e64 v33, v33, 0, s[14:15]
	v_add_u32_e32 v33, v33, v52
	s_nop 1
	v_mov_b32_dpp v34, v33 row_shr:2 row_mask:0xf bank_mask:0xf
	v_cndmask_b32_e64 v34, 0, v34, s[12:13]
	v_add_u32_e32 v33, v33, v34
	;; [unrolled: 4-line block ×4, first 2 shown]
	s_nop 1
	v_mov_b32_dpp v34, v33 row_bcast:15 row_mask:0xf bank_mask:0xf
	v_cndmask_b32_e64 v34, v34, 0, s[6:7]
	v_add_u32_e32 v33, v33, v34
	s_nop 1
	v_mov_b32_dpp v34, v33 row_bcast:31 row_mask:0xf bank_mask:0xf
	v_cndmask_b32_e64 v34, 0, v34, s[2:3]
	v_add_u32_e32 v33, v33, v34
	s_and_saveexec_b64 s[0:1], s[4:5]
	s_cbranch_execz .LBB1346_378
; %bb.377:
	v_lshlrev_b32_e32 v34, 2, v51
	ds_write_b32 v34, v33
.LBB1346_378:
	s_or_b64 exec, exec, s[0:1]
	v_cmp_gt_u32_e32 vcc, 8, v0
	s_waitcnt lgkmcnt(0)
	s_barrier
	s_and_saveexec_b64 s[0:1], vcc
	s_cbranch_execz .LBB1346_380
; %bb.379:
	v_lshlrev_b32_e32 v34, 2, v0
	ds_read_b32 v35, v34
	v_and_b32_e32 v36, 7, v50
	v_cmp_ne_u32_e32 vcc, 0, v36
	s_waitcnt lgkmcnt(0)
	v_mov_b32_dpp v37, v35 row_shr:1 row_mask:0xf bank_mask:0xf
	v_cndmask_b32_e32 v37, 0, v37, vcc
	v_add_u32_e32 v35, v37, v35
	v_cmp_lt_u32_e32 vcc, 1, v36
	s_nop 0
	v_mov_b32_dpp v37, v35 row_shr:2 row_mask:0xf bank_mask:0xf
	v_cndmask_b32_e32 v37, 0, v37, vcc
	v_add_u32_e32 v35, v35, v37
	v_cmp_lt_u32_e32 vcc, 3, v36
	s_nop 0
	v_mov_b32_dpp v37, v35 row_shr:4 row_mask:0xf bank_mask:0xf
	v_cndmask_b32_e32 v36, 0, v37, vcc
	v_add_u32_e32 v35, v35, v36
	ds_write_b32 v34, v35
.LBB1346_380:
	s_or_b64 exec, exec, s[0:1]
	v_cmp_lt_u32_e32 vcc, 63, v0
	v_mov_b32_e32 v35, 0
	v_mov_b32_e32 v34, 0
	s_waitcnt lgkmcnt(0)
	s_barrier
	s_and_saveexec_b64 s[0:1], vcc
	s_cbranch_execz .LBB1346_382
; %bb.381:
	v_lshl_add_u32 v34, v51, 2, -4
	ds_read_b32 v34, v34
.LBB1346_382:
	s_or_b64 exec, exec, s[0:1]
	v_add_u32_e32 v36, -1, v50
	v_and_b32_e32 v37, 64, v50
	v_cmp_lt_i32_e32 vcc, v36, v37
	s_waitcnt lgkmcnt(0)
	v_add_u32_e32 v33, v34, v33
	ds_read_b32 v35, v35 offset:28
	v_cndmask_b32_e32 v36, v36, v50, vcc
	v_lshlrev_b32_e32 v36, 2, v36
	ds_bpermute_b32 v33, v36, v33
	s_waitcnt lgkmcnt(1)
	v_readfirstlane_b32 s26, v35
	s_and_saveexec_b64 s[0:1], s[18:19]
	s_cbranch_execz .LBB1346_384
; %bb.383:
	v_mov_b32_e32 v35, 0
	v_mov_b32_e32 v36, s26
	;; [unrolled: 1-line block ×3, first 2 shown]
	global_store_dwordx2 v35, v[36:37], s[38:39] offset:512 sc1
.LBB1346_384:
	s_or_b64 exec, exec, s[0:1]
	v_cmp_eq_u32_e32 vcc, 0, v50
	s_mov_b32 s16, 0
	s_waitcnt lgkmcnt(0)
	v_cndmask_b32_e32 v33, v33, v34, vcc
	v_cndmask_b32_e64 v46, v33, 0, s[18:19]
	v_add_u32_e32 v44, v46, v1
	v_add_u32_e32 v42, v44, v43
	;; [unrolled: 1-line block ×6, first 2 shown]
	s_barrier
.LBB1346_385:
	s_cmpk_lt_u32 s26, 0x201
	s_cselect_b64 s[2:3], -1, 0
	v_lshrrev_b32_e32 v33, 8, v30
	v_lshrrev_b32_e32 v1, 8, v31
	s_mov_b64 s[0:1], -1
	s_and_b64 vcc, exec, s[2:3]
	s_cbranch_vccz .LBB1346_408
; %bb.386:
	s_add_i32 s4, s16, s26
	v_cmp_gt_u32_e32 vcc, s4, v46
	s_or_b64 s[6:7], s[34:35], vcc
	s_and_saveexec_b64 s[0:1], s[6:7]
	s_cbranch_execz .LBB1346_389
; %bb.387:
	v_and_b32_e32 v35, 1, v30
	v_cmp_eq_u32_e32 vcc, 1, v35
	s_and_b64 exec, exec, vcc
	s_cbranch_execz .LBB1346_389
; %bb.388:
	s_lshl_b64 s[6:7], s[22:23], 3
	s_add_u32 s6, s28, s6
	s_addc_u32 s7, s29, s7
	v_mov_b32_e32 v47, 0
	v_lshl_add_u64 v[48:49], v[46:47], 3, s[6:7]
	global_store_dwordx2 v[48:49], v[22:23], off
.LBB1346_389:
	s_or_b64 exec, exec, s[0:1]
	v_cmp_gt_u32_e32 vcc, s4, v44
	s_or_b64 s[6:7], s[34:35], vcc
	s_and_saveexec_b64 s[0:1], s[6:7]
	s_cbranch_execz .LBB1346_392
; %bb.390:
	v_and_b32_e32 v35, 1, v33
	v_cmp_eq_u32_e32 vcc, 1, v35
	s_and_b64 exec, exec, vcc
	s_cbranch_execz .LBB1346_392
; %bb.391:
	s_lshl_b64 s[6:7], s[22:23], 3
	s_add_u32 s6, s28, s6
	s_addc_u32 s7, s29, s7
	v_mov_b32_e32 v45, 0
	v_lshl_add_u64 v[48:49], v[44:45], 3, s[6:7]
	global_store_dwordx2 v[48:49], v[24:25], off
.LBB1346_392:
	s_or_b64 exec, exec, s[0:1]
	v_cmp_gt_u32_e32 vcc, s4, v42
	s_or_b64 s[6:7], s[34:35], vcc
	s_and_saveexec_b64 s[0:1], s[6:7]
	s_cbranch_execz .LBB1346_395
; %bb.393:
	v_mov_b32_e32 v35, 1
	v_and_b32_sdwa v35, v35, v30 dst_sel:DWORD dst_unused:UNUSED_PAD src0_sel:DWORD src1_sel:WORD_1
	v_cmp_eq_u32_e32 vcc, 1, v35
	s_and_b64 exec, exec, vcc
	s_cbranch_execz .LBB1346_395
; %bb.394:
	s_lshl_b64 s[6:7], s[22:23], 3
	s_add_u32 s6, s28, s6
	s_addc_u32 s7, s29, s7
	v_mov_b32_e32 v43, 0
	v_lshl_add_u64 v[48:49], v[42:43], 3, s[6:7]
	global_store_dwordx2 v[48:49], v[18:19], off
.LBB1346_395:
	s_or_b64 exec, exec, s[0:1]
	v_cmp_gt_u32_e32 vcc, s4, v40
	s_or_b64 s[6:7], s[34:35], vcc
	s_and_saveexec_b64 s[0:1], s[6:7]
	s_cbranch_execz .LBB1346_398
; %bb.396:
	v_and_b32_e32 v35, 1, v32
	v_cmp_eq_u32_e32 vcc, 1, v35
	s_and_b64 exec, exec, vcc
	s_cbranch_execz .LBB1346_398
; %bb.397:
	s_lshl_b64 s[6:7], s[22:23], 3
	s_add_u32 s6, s28, s6
	s_addc_u32 s7, s29, s7
	v_mov_b32_e32 v41, 0
	v_lshl_add_u64 v[48:49], v[40:41], 3, s[6:7]
	global_store_dwordx2 v[48:49], v[20:21], off
.LBB1346_398:
	s_or_b64 exec, exec, s[0:1]
	v_cmp_gt_u32_e32 vcc, s4, v38
	s_or_b64 s[6:7], s[34:35], vcc
	s_and_saveexec_b64 s[0:1], s[6:7]
	s_cbranch_execz .LBB1346_401
; %bb.399:
	v_and_b32_e32 v35, 1, v31
	v_cmp_eq_u32_e32 vcc, 1, v35
	s_and_b64 exec, exec, vcc
	s_cbranch_execz .LBB1346_401
; %bb.400:
	s_lshl_b64 s[6:7], s[22:23], 3
	s_add_u32 s6, s28, s6
	s_addc_u32 s7, s29, s7
	v_mov_b32_e32 v39, 0
	v_lshl_add_u64 v[48:49], v[38:39], 3, s[6:7]
	global_store_dwordx2 v[48:49], v[14:15], off
.LBB1346_401:
	s_or_b64 exec, exec, s[0:1]
	v_cmp_gt_u32_e32 vcc, s4, v36
	s_or_b64 s[6:7], s[34:35], vcc
	s_and_saveexec_b64 s[0:1], s[6:7]
	s_cbranch_execz .LBB1346_404
; %bb.402:
	v_and_b32_e32 v35, 1, v1
	v_cmp_eq_u32_e32 vcc, 1, v35
	s_and_b64 exec, exec, vcc
	s_cbranch_execz .LBB1346_404
; %bb.403:
	s_lshl_b64 s[6:7], s[22:23], 3
	s_add_u32 s6, s28, s6
	s_addc_u32 s7, s29, s7
	v_mov_b32_e32 v37, 0
	v_lshl_add_u64 v[48:49], v[36:37], 3, s[6:7]
	global_store_dwordx2 v[48:49], v[16:17], off
.LBB1346_404:
	s_or_b64 exec, exec, s[0:1]
	v_cmp_gt_u32_e32 vcc, s4, v34
	s_or_b64 s[4:5], s[34:35], vcc
	s_and_saveexec_b64 s[0:1], s[4:5]
	s_cbranch_execz .LBB1346_407
; %bb.405:
	v_mov_b32_e32 v35, 1
	v_and_b32_sdwa v35, v35, v31 dst_sel:DWORD dst_unused:UNUSED_PAD src0_sel:DWORD src1_sel:WORD_1
	v_cmp_eq_u32_e32 vcc, 1, v35
	s_and_b64 exec, exec, vcc
	s_cbranch_execz .LBB1346_407
; %bb.406:
	s_lshl_b64 s[4:5], s[22:23], 3
	s_add_u32 s4, s28, s4
	s_addc_u32 s5, s29, s5
	v_mov_b32_e32 v35, 0
	v_lshl_add_u64 v[48:49], v[34:35], 3, s[4:5]
	global_store_dwordx2 v[48:49], v[28:29], off
.LBB1346_407:
	s_or_b64 exec, exec, s[0:1]
	s_mov_b64 s[0:1], 0
.LBB1346_408:
	v_and_b32_e32 v48, 1, v30
	s_and_b64 vcc, exec, s[0:1]
	v_cmp_eq_u32_e64 s[0:1], 1, v48
	s_cbranch_vccz .LBB1346_427
; %bb.409:
	s_and_saveexec_b64 s[4:5], s[0:1]
	s_cbranch_execz .LBB1346_411
; %bb.410:
	v_subrev_u32_e32 v35, s16, v46
	v_lshlrev_b32_e32 v35, 3, v35
	ds_write_b64 v35, v[22:23]
.LBB1346_411:
	s_or_b64 exec, exec, s[4:5]
	v_and_b32_e32 v22, 1, v33
	v_cmp_eq_u32_e32 vcc, 1, v22
	s_and_saveexec_b64 s[0:1], vcc
	s_cbranch_execz .LBB1346_413
; %bb.412:
	v_subrev_u32_e32 v22, s16, v44
	v_lshlrev_b32_e32 v22, 3, v22
	ds_write_b64 v22, v[24:25]
.LBB1346_413:
	s_or_b64 exec, exec, s[0:1]
	v_mov_b32_e32 v22, 1
	v_and_b32_sdwa v22, v22, v30 dst_sel:DWORD dst_unused:UNUSED_PAD src0_sel:DWORD src1_sel:WORD_1
	v_cmp_eq_u32_e32 vcc, 1, v22
	s_and_saveexec_b64 s[0:1], vcc
	s_cbranch_execz .LBB1346_415
; %bb.414:
	v_subrev_u32_e32 v22, s16, v42
	v_lshlrev_b32_e32 v22, 3, v22
	ds_write_b64 v22, v[18:19]
.LBB1346_415:
	s_or_b64 exec, exec, s[0:1]
	v_and_b32_e32 v18, 1, v32
	v_cmp_eq_u32_e32 vcc, 1, v18
	s_and_saveexec_b64 s[0:1], vcc
	s_cbranch_execz .LBB1346_417
; %bb.416:
	v_subrev_u32_e32 v18, s16, v40
	v_lshlrev_b32_e32 v18, 3, v18
	ds_write_b64 v18, v[20:21]
.LBB1346_417:
	s_or_b64 exec, exec, s[0:1]
	v_and_b32_e32 v18, 1, v31
	;; [unrolled: 10-line block ×3, first 2 shown]
	v_cmp_eq_u32_e32 vcc, 1, v14
	s_and_saveexec_b64 s[0:1], vcc
	s_cbranch_execz .LBB1346_421
; %bb.420:
	v_subrev_u32_e32 v14, s16, v36
	v_lshlrev_b32_e32 v14, 3, v14
	ds_write_b64 v14, v[16:17]
.LBB1346_421:
	s_or_b64 exec, exec, s[0:1]
	v_mov_b32_e32 v14, 1
	v_and_b32_sdwa v14, v14, v31 dst_sel:DWORD dst_unused:UNUSED_PAD src0_sel:DWORD src1_sel:WORD_1
	v_cmp_eq_u32_e32 vcc, 1, v14
	s_and_saveexec_b64 s[0:1], vcc
	s_cbranch_execz .LBB1346_423
; %bb.422:
	v_subrev_u32_e32 v14, s16, v34
	v_lshlrev_b32_e32 v14, 3, v14
	ds_write_b64 v14, v[28:29]
.LBB1346_423:
	s_or_b64 exec, exec, s[0:1]
	v_cmp_gt_u32_e32 vcc, s26, v0
	s_waitcnt lgkmcnt(0)
	s_barrier
	s_and_saveexec_b64 s[0:1], vcc
	s_cbranch_execz .LBB1346_426
; %bb.424:
	s_mov_b32 s17, 0
	s_lshl_b64 s[4:5], s[22:23], 3
	s_lshl_b64 s[6:7], s[16:17], 3
	s_add_u32 s4, s4, s6
	s_addc_u32 s5, s5, s7
	s_add_u32 s4, s28, s4
	v_lshlrev_b32_e32 v14, 3, v0
	v_mov_b32_e32 v15, 0
	s_addc_u32 s5, s29, s5
	v_lshl_add_u64 v[16:17], s[4:5], 0, v[14:15]
	s_mov_b64 s[4:5], 0
	s_mov_b64 s[6:7], 0x1000
	v_mov_b32_e32 v15, v0
.LBB1346_425:                           ; =>This Inner Loop Header: Depth=1
	ds_read_b64 v[18:19], v14
	v_add_u32_e32 v15, 0x200, v15
	v_cmp_le_u32_e32 vcc, s26, v15
	v_add_u32_e32 v14, 0x1000, v14
	s_or_b64 s[4:5], vcc, s[4:5]
	s_waitcnt lgkmcnt(0)
	global_store_dwordx2 v[16:17], v[18:19], off
	v_lshl_add_u64 v[16:17], v[16:17], 0, s[6:7]
	s_andn2_b64 exec, exec, s[4:5]
	s_cbranch_execnz .LBB1346_425
.LBB1346_426:
	s_or_b64 exec, exec, s[0:1]
.LBB1346_427:
	s_mov_b64 s[0:1], -1
	s_and_b64 vcc, exec, s[2:3]
	s_barrier
	s_cbranch_vccnz .LBB1346_431
; %bb.428:
	s_and_b64 vcc, exec, s[0:1]
	s_cbranch_vccnz .LBB1346_453
.LBB1346_429:
	s_and_b64 s[0:1], s[18:19], s[24:25]
	s_and_saveexec_b64 s[2:3], s[0:1]
	s_cbranch_execnz .LBB1346_471
.LBB1346_430:
	s_endpgm
.LBB1346_431:
	s_add_i32 s2, s16, s26
	v_cmp_gt_u32_e32 vcc, s2, v46
	s_or_b64 s[4:5], s[34:35], vcc
	s_and_saveexec_b64 s[0:1], s[4:5]
	s_cbranch_execz .LBB1346_434
; %bb.432:
	v_cmp_eq_u32_e32 vcc, 1, v48
	s_and_b64 exec, exec, vcc
	s_cbranch_execz .LBB1346_434
; %bb.433:
	s_lshl_b64 s[4:5], s[22:23], 3
	s_add_u32 s4, s30, s4
	s_addc_u32 s5, s31, s5
	v_mov_b32_e32 v47, 0
	v_lshl_add_u64 v[14:15], v[46:47], 3, s[4:5]
	global_store_dwordx2 v[14:15], v[10:11], off
.LBB1346_434:
	s_or_b64 exec, exec, s[0:1]
	v_cmp_gt_u32_e32 vcc, s2, v44
	s_or_b64 s[4:5], s[34:35], vcc
	s_and_saveexec_b64 s[0:1], s[4:5]
	s_cbranch_execz .LBB1346_437
; %bb.435:
	v_and_b32_e32 v14, 1, v33
	v_cmp_eq_u32_e32 vcc, 1, v14
	s_and_b64 exec, exec, vcc
	s_cbranch_execz .LBB1346_437
; %bb.436:
	s_lshl_b64 s[4:5], s[22:23], 3
	s_add_u32 s4, s30, s4
	s_addc_u32 s5, s31, s5
	v_mov_b32_e32 v45, 0
	v_lshl_add_u64 v[14:15], v[44:45], 3, s[4:5]
	global_store_dwordx2 v[14:15], v[12:13], off
.LBB1346_437:
	s_or_b64 exec, exec, s[0:1]
	v_cmp_gt_u32_e32 vcc, s2, v42
	s_or_b64 s[4:5], s[34:35], vcc
	s_and_saveexec_b64 s[0:1], s[4:5]
	s_cbranch_execz .LBB1346_440
; %bb.438:
	v_mov_b32_e32 v14, 1
	v_and_b32_sdwa v14, v14, v30 dst_sel:DWORD dst_unused:UNUSED_PAD src0_sel:DWORD src1_sel:WORD_1
	v_cmp_eq_u32_e32 vcc, 1, v14
	s_and_b64 exec, exec, vcc
	s_cbranch_execz .LBB1346_440
; %bb.439:
	s_lshl_b64 s[4:5], s[22:23], 3
	s_add_u32 s4, s30, s4
	s_addc_u32 s5, s31, s5
	v_mov_b32_e32 v43, 0
	v_lshl_add_u64 v[14:15], v[42:43], 3, s[4:5]
	global_store_dwordx2 v[14:15], v[6:7], off
.LBB1346_440:
	s_or_b64 exec, exec, s[0:1]
	v_cmp_gt_u32_e32 vcc, s2, v40
	s_or_b64 s[4:5], s[34:35], vcc
	s_and_saveexec_b64 s[0:1], s[4:5]
	s_cbranch_execz .LBB1346_443
; %bb.441:
	v_and_b32_e32 v14, 1, v32
	v_cmp_eq_u32_e32 vcc, 1, v14
	s_and_b64 exec, exec, vcc
	s_cbranch_execz .LBB1346_443
; %bb.442:
	s_lshl_b64 s[4:5], s[22:23], 3
	s_add_u32 s4, s30, s4
	s_addc_u32 s5, s31, s5
	v_mov_b32_e32 v41, 0
	v_lshl_add_u64 v[14:15], v[40:41], 3, s[4:5]
	global_store_dwordx2 v[14:15], v[8:9], off
.LBB1346_443:
	s_or_b64 exec, exec, s[0:1]
	v_cmp_gt_u32_e32 vcc, s2, v38
	s_or_b64 s[4:5], s[34:35], vcc
	s_and_saveexec_b64 s[0:1], s[4:5]
	s_cbranch_execz .LBB1346_446
; %bb.444:
	v_and_b32_e32 v14, 1, v31
	v_cmp_eq_u32_e32 vcc, 1, v14
	s_and_b64 exec, exec, vcc
	s_cbranch_execz .LBB1346_446
; %bb.445:
	s_lshl_b64 s[4:5], s[22:23], 3
	s_add_u32 s4, s30, s4
	s_addc_u32 s5, s31, s5
	v_mov_b32_e32 v39, 0
	v_lshl_add_u64 v[14:15], v[38:39], 3, s[4:5]
	global_store_dwordx2 v[14:15], v[2:3], off
.LBB1346_446:
	;; [unrolled: 18-line block ×3, first 2 shown]
	s_or_b64 exec, exec, s[0:1]
	v_cmp_gt_u32_e32 vcc, s2, v34
	s_or_b64 s[2:3], s[34:35], vcc
	s_and_saveexec_b64 s[0:1], s[2:3]
	s_cbranch_execz .LBB1346_452
; %bb.450:
	v_mov_b32_e32 v14, 1
	v_and_b32_sdwa v14, v14, v31 dst_sel:DWORD dst_unused:UNUSED_PAD src0_sel:DWORD src1_sel:WORD_1
	v_cmp_eq_u32_e32 vcc, 1, v14
	s_and_b64 exec, exec, vcc
	s_cbranch_execz .LBB1346_452
; %bb.451:
	s_lshl_b64 s[2:3], s[22:23], 3
	s_add_u32 s2, s30, s2
	s_addc_u32 s3, s31, s3
	v_mov_b32_e32 v35, 0
	v_lshl_add_u64 v[14:15], v[34:35], 3, s[2:3]
	global_store_dwordx2 v[14:15], v[26:27], off
.LBB1346_452:
	s_or_b64 exec, exec, s[0:1]
	s_branch .LBB1346_429
.LBB1346_453:
	v_cmp_eq_u32_e32 vcc, 1, v48
	s_and_saveexec_b64 s[0:1], vcc
	s_cbranch_execz .LBB1346_455
; %bb.454:
	v_subrev_u32_e32 v14, s16, v46
	v_lshlrev_b32_e32 v14, 3, v14
	ds_write_b64 v14, v[10:11]
.LBB1346_455:
	s_or_b64 exec, exec, s[0:1]
	v_and_b32_e32 v10, 1, v33
	v_cmp_eq_u32_e32 vcc, 1, v10
	s_and_saveexec_b64 s[0:1], vcc
	s_cbranch_execz .LBB1346_457
; %bb.456:
	v_subrev_u32_e32 v10, s16, v44
	v_lshlrev_b32_e32 v10, 3, v10
	ds_write_b64 v10, v[12:13]
.LBB1346_457:
	s_or_b64 exec, exec, s[0:1]
	v_mov_b32_e32 v10, 1
	v_and_b32_sdwa v10, v10, v30 dst_sel:DWORD dst_unused:UNUSED_PAD src0_sel:DWORD src1_sel:WORD_1
	v_cmp_eq_u32_e32 vcc, 1, v10
	s_and_saveexec_b64 s[0:1], vcc
	s_cbranch_execz .LBB1346_459
; %bb.458:
	v_subrev_u32_e32 v10, s16, v42
	v_lshlrev_b32_e32 v10, 3, v10
	ds_write_b64 v10, v[6:7]
.LBB1346_459:
	s_or_b64 exec, exec, s[0:1]
	v_and_b32_e32 v6, 1, v32
	v_cmp_eq_u32_e32 vcc, 1, v6
	s_and_saveexec_b64 s[0:1], vcc
	s_cbranch_execz .LBB1346_461
; %bb.460:
	v_subrev_u32_e32 v6, s16, v40
	v_lshlrev_b32_e32 v6, 3, v6
	ds_write_b64 v6, v[8:9]
.LBB1346_461:
	s_or_b64 exec, exec, s[0:1]
	v_and_b32_e32 v6, 1, v31
	;; [unrolled: 10-line block ×3, first 2 shown]
	v_cmp_eq_u32_e32 vcc, 1, v1
	s_and_saveexec_b64 s[0:1], vcc
	s_cbranch_execz .LBB1346_465
; %bb.464:
	v_subrev_u32_e32 v1, s16, v36
	v_lshlrev_b32_e32 v1, 3, v1
	ds_write_b64 v1, v[4:5]
.LBB1346_465:
	s_or_b64 exec, exec, s[0:1]
	v_mov_b32_e32 v1, 1
	v_and_b32_sdwa v1, v1, v31 dst_sel:DWORD dst_unused:UNUSED_PAD src0_sel:DWORD src1_sel:WORD_1
	v_cmp_eq_u32_e32 vcc, 1, v1
	s_and_saveexec_b64 s[0:1], vcc
	s_cbranch_execz .LBB1346_467
; %bb.466:
	v_subrev_u32_e32 v1, s16, v34
	v_lshlrev_b32_e32 v1, 3, v1
	ds_write_b64 v1, v[26:27]
.LBB1346_467:
	s_or_b64 exec, exec, s[0:1]
	v_cmp_gt_u32_e32 vcc, s26, v0
	s_waitcnt lgkmcnt(0)
	s_barrier
	s_and_saveexec_b64 s[0:1], vcc
	s_cbranch_execz .LBB1346_470
; %bb.468:
	s_mov_b32 s17, 0
	s_lshl_b64 s[2:3], s[22:23], 3
	s_lshl_b64 s[4:5], s[16:17], 3
	s_add_u32 s2, s2, s4
	s_addc_u32 s3, s3, s5
	s_add_u32 s2, s30, s2
	v_lshlrev_b32_e32 v2, 3, v0
	v_mov_b32_e32 v3, 0
	s_addc_u32 s3, s31, s3
	v_lshl_add_u64 v[4:5], s[2:3], 0, v[2:3]
	s_mov_b64 s[2:3], 0
	s_mov_b64 s[4:5], 0x1000
.LBB1346_469:                           ; =>This Inner Loop Header: Depth=1
	ds_read_b64 v[6:7], v2
	v_add_u32_e32 v0, 0x200, v0
	v_cmp_le_u32_e32 vcc, s26, v0
	v_add_u32_e32 v2, 0x1000, v2
	s_or_b64 s[2:3], vcc, s[2:3]
	s_waitcnt lgkmcnt(0)
	global_store_dwordx2 v[4:5], v[6:7], off
	v_lshl_add_u64 v[4:5], v[4:5], 0, s[4:5]
	s_andn2_b64 exec, exec, s[2:3]
	s_cbranch_execnz .LBB1346_469
.LBB1346_470:
	s_or_b64 exec, exec, s[0:1]
	s_and_b64 s[0:1], s[18:19], s[24:25]
	s_and_saveexec_b64 s[2:3], s[0:1]
	s_cbranch_execz .LBB1346_430
.LBB1346_471:
	s_add_u32 s0, s22, s26
	s_addc_u32 s1, s23, 0
	s_add_u32 s0, s0, s16
	s_addc_u32 s1, s1, 0
	v_mov_b32_e32 v2, 0
	v_mov_b64_e32 v[0:1], s[0:1]
	global_store_dwordx2 v2, v[0:1], s[20:21]
	s_endpgm
	.section	.rodata,"a",@progbits
	.p2align	6, 0x0
	.amdhsa_kernel _ZN7rocprim17ROCPRIM_400000_NS6detail17trampoline_kernelINS0_14default_configENS1_25partition_config_selectorILNS1_17partition_subalgoE9EllbEEZZNS1_14partition_implILS5_9ELb0ES3_jPlS8_PNS0_10empty_typeENS0_5tupleIJS8_S9_EEENSB_IJS8_SA_EEENS0_18inequality_wrapperIZN2at6native12_GLOBAL__N_124unique_dim_cuda_templateIN3c104HalfEEESt5tupleIJNSF_6TensorESM_SM_EERKSM_lbbbEUlllE0_EEPmJS9_EEE10hipError_tPvRmT3_T4_T5_T6_T7_T9_mT8_P12ihipStream_tbDpT10_ENKUlT_T0_E_clISt17integral_constantIbLb1EES1C_EEDaS17_S18_EUlS17_E_NS1_11comp_targetILNS1_3genE5ELNS1_11target_archE942ELNS1_3gpuE9ELNS1_3repE0EEENS1_30default_config_static_selectorELNS0_4arch9wavefront6targetE1EEEvT1_
		.amdhsa_group_segment_fixed_size 28684
		.amdhsa_private_segment_fixed_size 0
		.amdhsa_kernarg_size 136
		.amdhsa_user_sgpr_count 2
		.amdhsa_user_sgpr_dispatch_ptr 0
		.amdhsa_user_sgpr_queue_ptr 0
		.amdhsa_user_sgpr_kernarg_segment_ptr 1
		.amdhsa_user_sgpr_dispatch_id 0
		.amdhsa_user_sgpr_kernarg_preload_length 0
		.amdhsa_user_sgpr_kernarg_preload_offset 0
		.amdhsa_user_sgpr_private_segment_size 0
		.amdhsa_uses_dynamic_stack 0
		.amdhsa_enable_private_segment 0
		.amdhsa_system_sgpr_workgroup_id_x 1
		.amdhsa_system_sgpr_workgroup_id_y 0
		.amdhsa_system_sgpr_workgroup_id_z 0
		.amdhsa_system_sgpr_workgroup_info 0
		.amdhsa_system_vgpr_workitem_id 0
		.amdhsa_next_free_vgpr 66
		.amdhsa_next_free_sgpr 58
		.amdhsa_accum_offset 68
		.amdhsa_reserve_vcc 1
		.amdhsa_float_round_mode_32 0
		.amdhsa_float_round_mode_16_64 0
		.amdhsa_float_denorm_mode_32 3
		.amdhsa_float_denorm_mode_16_64 3
		.amdhsa_dx10_clamp 1
		.amdhsa_ieee_mode 1
		.amdhsa_fp16_overflow 0
		.amdhsa_tg_split 0
		.amdhsa_exception_fp_ieee_invalid_op 0
		.amdhsa_exception_fp_denorm_src 0
		.amdhsa_exception_fp_ieee_div_zero 0
		.amdhsa_exception_fp_ieee_overflow 0
		.amdhsa_exception_fp_ieee_underflow 0
		.amdhsa_exception_fp_ieee_inexact 0
		.amdhsa_exception_int_div_zero 0
	.end_amdhsa_kernel
	.section	.text._ZN7rocprim17ROCPRIM_400000_NS6detail17trampoline_kernelINS0_14default_configENS1_25partition_config_selectorILNS1_17partition_subalgoE9EllbEEZZNS1_14partition_implILS5_9ELb0ES3_jPlS8_PNS0_10empty_typeENS0_5tupleIJS8_S9_EEENSB_IJS8_SA_EEENS0_18inequality_wrapperIZN2at6native12_GLOBAL__N_124unique_dim_cuda_templateIN3c104HalfEEESt5tupleIJNSF_6TensorESM_SM_EERKSM_lbbbEUlllE0_EEPmJS9_EEE10hipError_tPvRmT3_T4_T5_T6_T7_T9_mT8_P12ihipStream_tbDpT10_ENKUlT_T0_E_clISt17integral_constantIbLb1EES1C_EEDaS17_S18_EUlS17_E_NS1_11comp_targetILNS1_3genE5ELNS1_11target_archE942ELNS1_3gpuE9ELNS1_3repE0EEENS1_30default_config_static_selectorELNS0_4arch9wavefront6targetE1EEEvT1_,"axG",@progbits,_ZN7rocprim17ROCPRIM_400000_NS6detail17trampoline_kernelINS0_14default_configENS1_25partition_config_selectorILNS1_17partition_subalgoE9EllbEEZZNS1_14partition_implILS5_9ELb0ES3_jPlS8_PNS0_10empty_typeENS0_5tupleIJS8_S9_EEENSB_IJS8_SA_EEENS0_18inequality_wrapperIZN2at6native12_GLOBAL__N_124unique_dim_cuda_templateIN3c104HalfEEESt5tupleIJNSF_6TensorESM_SM_EERKSM_lbbbEUlllE0_EEPmJS9_EEE10hipError_tPvRmT3_T4_T5_T6_T7_T9_mT8_P12ihipStream_tbDpT10_ENKUlT_T0_E_clISt17integral_constantIbLb1EES1C_EEDaS17_S18_EUlS17_E_NS1_11comp_targetILNS1_3genE5ELNS1_11target_archE942ELNS1_3gpuE9ELNS1_3repE0EEENS1_30default_config_static_selectorELNS0_4arch9wavefront6targetE1EEEvT1_,comdat
.Lfunc_end1346:
	.size	_ZN7rocprim17ROCPRIM_400000_NS6detail17trampoline_kernelINS0_14default_configENS1_25partition_config_selectorILNS1_17partition_subalgoE9EllbEEZZNS1_14partition_implILS5_9ELb0ES3_jPlS8_PNS0_10empty_typeENS0_5tupleIJS8_S9_EEENSB_IJS8_SA_EEENS0_18inequality_wrapperIZN2at6native12_GLOBAL__N_124unique_dim_cuda_templateIN3c104HalfEEESt5tupleIJNSF_6TensorESM_SM_EERKSM_lbbbEUlllE0_EEPmJS9_EEE10hipError_tPvRmT3_T4_T5_T6_T7_T9_mT8_P12ihipStream_tbDpT10_ENKUlT_T0_E_clISt17integral_constantIbLb1EES1C_EEDaS17_S18_EUlS17_E_NS1_11comp_targetILNS1_3genE5ELNS1_11target_archE942ELNS1_3gpuE9ELNS1_3repE0EEENS1_30default_config_static_selectorELNS0_4arch9wavefront6targetE1EEEvT1_, .Lfunc_end1346-_ZN7rocprim17ROCPRIM_400000_NS6detail17trampoline_kernelINS0_14default_configENS1_25partition_config_selectorILNS1_17partition_subalgoE9EllbEEZZNS1_14partition_implILS5_9ELb0ES3_jPlS8_PNS0_10empty_typeENS0_5tupleIJS8_S9_EEENSB_IJS8_SA_EEENS0_18inequality_wrapperIZN2at6native12_GLOBAL__N_124unique_dim_cuda_templateIN3c104HalfEEESt5tupleIJNSF_6TensorESM_SM_EERKSM_lbbbEUlllE0_EEPmJS9_EEE10hipError_tPvRmT3_T4_T5_T6_T7_T9_mT8_P12ihipStream_tbDpT10_ENKUlT_T0_E_clISt17integral_constantIbLb1EES1C_EEDaS17_S18_EUlS17_E_NS1_11comp_targetILNS1_3genE5ELNS1_11target_archE942ELNS1_3gpuE9ELNS1_3repE0EEENS1_30default_config_static_selectorELNS0_4arch9wavefront6targetE1EEEvT1_
                                        ; -- End function
	.section	.AMDGPU.csdata,"",@progbits
; Kernel info:
; codeLenInByte = 14564
; NumSgprs: 64
; NumVgprs: 66
; NumAgprs: 0
; TotalNumVgprs: 66
; ScratchSize: 0
; MemoryBound: 0
; FloatMode: 240
; IeeeMode: 1
; LDSByteSize: 28684 bytes/workgroup (compile time only)
; SGPRBlocks: 7
; VGPRBlocks: 8
; NumSGPRsForWavesPerEU: 64
; NumVGPRsForWavesPerEU: 66
; AccumOffset: 68
; Occupancy: 4
; WaveLimiterHint : 1
; COMPUTE_PGM_RSRC2:SCRATCH_EN: 0
; COMPUTE_PGM_RSRC2:USER_SGPR: 2
; COMPUTE_PGM_RSRC2:TRAP_HANDLER: 0
; COMPUTE_PGM_RSRC2:TGID_X_EN: 1
; COMPUTE_PGM_RSRC2:TGID_Y_EN: 0
; COMPUTE_PGM_RSRC2:TGID_Z_EN: 0
; COMPUTE_PGM_RSRC2:TIDIG_COMP_CNT: 0
; COMPUTE_PGM_RSRC3_GFX90A:ACCUM_OFFSET: 16
; COMPUTE_PGM_RSRC3_GFX90A:TG_SPLIT: 0
	.section	.text._ZN7rocprim17ROCPRIM_400000_NS6detail17trampoline_kernelINS0_14default_configENS1_25partition_config_selectorILNS1_17partition_subalgoE9EllbEEZZNS1_14partition_implILS5_9ELb0ES3_jPlS8_PNS0_10empty_typeENS0_5tupleIJS8_S9_EEENSB_IJS8_SA_EEENS0_18inequality_wrapperIZN2at6native12_GLOBAL__N_124unique_dim_cuda_templateIN3c104HalfEEESt5tupleIJNSF_6TensorESM_SM_EERKSM_lbbbEUlllE0_EEPmJS9_EEE10hipError_tPvRmT3_T4_T5_T6_T7_T9_mT8_P12ihipStream_tbDpT10_ENKUlT_T0_E_clISt17integral_constantIbLb1EES1C_EEDaS17_S18_EUlS17_E_NS1_11comp_targetILNS1_3genE4ELNS1_11target_archE910ELNS1_3gpuE8ELNS1_3repE0EEENS1_30default_config_static_selectorELNS0_4arch9wavefront6targetE1EEEvT1_,"axG",@progbits,_ZN7rocprim17ROCPRIM_400000_NS6detail17trampoline_kernelINS0_14default_configENS1_25partition_config_selectorILNS1_17partition_subalgoE9EllbEEZZNS1_14partition_implILS5_9ELb0ES3_jPlS8_PNS0_10empty_typeENS0_5tupleIJS8_S9_EEENSB_IJS8_SA_EEENS0_18inequality_wrapperIZN2at6native12_GLOBAL__N_124unique_dim_cuda_templateIN3c104HalfEEESt5tupleIJNSF_6TensorESM_SM_EERKSM_lbbbEUlllE0_EEPmJS9_EEE10hipError_tPvRmT3_T4_T5_T6_T7_T9_mT8_P12ihipStream_tbDpT10_ENKUlT_T0_E_clISt17integral_constantIbLb1EES1C_EEDaS17_S18_EUlS17_E_NS1_11comp_targetILNS1_3genE4ELNS1_11target_archE910ELNS1_3gpuE8ELNS1_3repE0EEENS1_30default_config_static_selectorELNS0_4arch9wavefront6targetE1EEEvT1_,comdat
	.globl	_ZN7rocprim17ROCPRIM_400000_NS6detail17trampoline_kernelINS0_14default_configENS1_25partition_config_selectorILNS1_17partition_subalgoE9EllbEEZZNS1_14partition_implILS5_9ELb0ES3_jPlS8_PNS0_10empty_typeENS0_5tupleIJS8_S9_EEENSB_IJS8_SA_EEENS0_18inequality_wrapperIZN2at6native12_GLOBAL__N_124unique_dim_cuda_templateIN3c104HalfEEESt5tupleIJNSF_6TensorESM_SM_EERKSM_lbbbEUlllE0_EEPmJS9_EEE10hipError_tPvRmT3_T4_T5_T6_T7_T9_mT8_P12ihipStream_tbDpT10_ENKUlT_T0_E_clISt17integral_constantIbLb1EES1C_EEDaS17_S18_EUlS17_E_NS1_11comp_targetILNS1_3genE4ELNS1_11target_archE910ELNS1_3gpuE8ELNS1_3repE0EEENS1_30default_config_static_selectorELNS0_4arch9wavefront6targetE1EEEvT1_ ; -- Begin function _ZN7rocprim17ROCPRIM_400000_NS6detail17trampoline_kernelINS0_14default_configENS1_25partition_config_selectorILNS1_17partition_subalgoE9EllbEEZZNS1_14partition_implILS5_9ELb0ES3_jPlS8_PNS0_10empty_typeENS0_5tupleIJS8_S9_EEENSB_IJS8_SA_EEENS0_18inequality_wrapperIZN2at6native12_GLOBAL__N_124unique_dim_cuda_templateIN3c104HalfEEESt5tupleIJNSF_6TensorESM_SM_EERKSM_lbbbEUlllE0_EEPmJS9_EEE10hipError_tPvRmT3_T4_T5_T6_T7_T9_mT8_P12ihipStream_tbDpT10_ENKUlT_T0_E_clISt17integral_constantIbLb1EES1C_EEDaS17_S18_EUlS17_E_NS1_11comp_targetILNS1_3genE4ELNS1_11target_archE910ELNS1_3gpuE8ELNS1_3repE0EEENS1_30default_config_static_selectorELNS0_4arch9wavefront6targetE1EEEvT1_
	.p2align	8
	.type	_ZN7rocprim17ROCPRIM_400000_NS6detail17trampoline_kernelINS0_14default_configENS1_25partition_config_selectorILNS1_17partition_subalgoE9EllbEEZZNS1_14partition_implILS5_9ELb0ES3_jPlS8_PNS0_10empty_typeENS0_5tupleIJS8_S9_EEENSB_IJS8_SA_EEENS0_18inequality_wrapperIZN2at6native12_GLOBAL__N_124unique_dim_cuda_templateIN3c104HalfEEESt5tupleIJNSF_6TensorESM_SM_EERKSM_lbbbEUlllE0_EEPmJS9_EEE10hipError_tPvRmT3_T4_T5_T6_T7_T9_mT8_P12ihipStream_tbDpT10_ENKUlT_T0_E_clISt17integral_constantIbLb1EES1C_EEDaS17_S18_EUlS17_E_NS1_11comp_targetILNS1_3genE4ELNS1_11target_archE910ELNS1_3gpuE8ELNS1_3repE0EEENS1_30default_config_static_selectorELNS0_4arch9wavefront6targetE1EEEvT1_,@function
_ZN7rocprim17ROCPRIM_400000_NS6detail17trampoline_kernelINS0_14default_configENS1_25partition_config_selectorILNS1_17partition_subalgoE9EllbEEZZNS1_14partition_implILS5_9ELb0ES3_jPlS8_PNS0_10empty_typeENS0_5tupleIJS8_S9_EEENSB_IJS8_SA_EEENS0_18inequality_wrapperIZN2at6native12_GLOBAL__N_124unique_dim_cuda_templateIN3c104HalfEEESt5tupleIJNSF_6TensorESM_SM_EERKSM_lbbbEUlllE0_EEPmJS9_EEE10hipError_tPvRmT3_T4_T5_T6_T7_T9_mT8_P12ihipStream_tbDpT10_ENKUlT_T0_E_clISt17integral_constantIbLb1EES1C_EEDaS17_S18_EUlS17_E_NS1_11comp_targetILNS1_3genE4ELNS1_11target_archE910ELNS1_3gpuE8ELNS1_3repE0EEENS1_30default_config_static_selectorELNS0_4arch9wavefront6targetE1EEEvT1_: ; @_ZN7rocprim17ROCPRIM_400000_NS6detail17trampoline_kernelINS0_14default_configENS1_25partition_config_selectorILNS1_17partition_subalgoE9EllbEEZZNS1_14partition_implILS5_9ELb0ES3_jPlS8_PNS0_10empty_typeENS0_5tupleIJS8_S9_EEENSB_IJS8_SA_EEENS0_18inequality_wrapperIZN2at6native12_GLOBAL__N_124unique_dim_cuda_templateIN3c104HalfEEESt5tupleIJNSF_6TensorESM_SM_EERKSM_lbbbEUlllE0_EEPmJS9_EEE10hipError_tPvRmT3_T4_T5_T6_T7_T9_mT8_P12ihipStream_tbDpT10_ENKUlT_T0_E_clISt17integral_constantIbLb1EES1C_EEDaS17_S18_EUlS17_E_NS1_11comp_targetILNS1_3genE4ELNS1_11target_archE910ELNS1_3gpuE8ELNS1_3repE0EEENS1_30default_config_static_selectorELNS0_4arch9wavefront6targetE1EEEvT1_
; %bb.0:
	.section	.rodata,"a",@progbits
	.p2align	6, 0x0
	.amdhsa_kernel _ZN7rocprim17ROCPRIM_400000_NS6detail17trampoline_kernelINS0_14default_configENS1_25partition_config_selectorILNS1_17partition_subalgoE9EllbEEZZNS1_14partition_implILS5_9ELb0ES3_jPlS8_PNS0_10empty_typeENS0_5tupleIJS8_S9_EEENSB_IJS8_SA_EEENS0_18inequality_wrapperIZN2at6native12_GLOBAL__N_124unique_dim_cuda_templateIN3c104HalfEEESt5tupleIJNSF_6TensorESM_SM_EERKSM_lbbbEUlllE0_EEPmJS9_EEE10hipError_tPvRmT3_T4_T5_T6_T7_T9_mT8_P12ihipStream_tbDpT10_ENKUlT_T0_E_clISt17integral_constantIbLb1EES1C_EEDaS17_S18_EUlS17_E_NS1_11comp_targetILNS1_3genE4ELNS1_11target_archE910ELNS1_3gpuE8ELNS1_3repE0EEENS1_30default_config_static_selectorELNS0_4arch9wavefront6targetE1EEEvT1_
		.amdhsa_group_segment_fixed_size 0
		.amdhsa_private_segment_fixed_size 0
		.amdhsa_kernarg_size 136
		.amdhsa_user_sgpr_count 2
		.amdhsa_user_sgpr_dispatch_ptr 0
		.amdhsa_user_sgpr_queue_ptr 0
		.amdhsa_user_sgpr_kernarg_segment_ptr 1
		.amdhsa_user_sgpr_dispatch_id 0
		.amdhsa_user_sgpr_kernarg_preload_length 0
		.amdhsa_user_sgpr_kernarg_preload_offset 0
		.amdhsa_user_sgpr_private_segment_size 0
		.amdhsa_uses_dynamic_stack 0
		.amdhsa_enable_private_segment 0
		.amdhsa_system_sgpr_workgroup_id_x 1
		.amdhsa_system_sgpr_workgroup_id_y 0
		.amdhsa_system_sgpr_workgroup_id_z 0
		.amdhsa_system_sgpr_workgroup_info 0
		.amdhsa_system_vgpr_workitem_id 0
		.amdhsa_next_free_vgpr 1
		.amdhsa_next_free_sgpr 0
		.amdhsa_accum_offset 4
		.amdhsa_reserve_vcc 0
		.amdhsa_float_round_mode_32 0
		.amdhsa_float_round_mode_16_64 0
		.amdhsa_float_denorm_mode_32 3
		.amdhsa_float_denorm_mode_16_64 3
		.amdhsa_dx10_clamp 1
		.amdhsa_ieee_mode 1
		.amdhsa_fp16_overflow 0
		.amdhsa_tg_split 0
		.amdhsa_exception_fp_ieee_invalid_op 0
		.amdhsa_exception_fp_denorm_src 0
		.amdhsa_exception_fp_ieee_div_zero 0
		.amdhsa_exception_fp_ieee_overflow 0
		.amdhsa_exception_fp_ieee_underflow 0
		.amdhsa_exception_fp_ieee_inexact 0
		.amdhsa_exception_int_div_zero 0
	.end_amdhsa_kernel
	.section	.text._ZN7rocprim17ROCPRIM_400000_NS6detail17trampoline_kernelINS0_14default_configENS1_25partition_config_selectorILNS1_17partition_subalgoE9EllbEEZZNS1_14partition_implILS5_9ELb0ES3_jPlS8_PNS0_10empty_typeENS0_5tupleIJS8_S9_EEENSB_IJS8_SA_EEENS0_18inequality_wrapperIZN2at6native12_GLOBAL__N_124unique_dim_cuda_templateIN3c104HalfEEESt5tupleIJNSF_6TensorESM_SM_EERKSM_lbbbEUlllE0_EEPmJS9_EEE10hipError_tPvRmT3_T4_T5_T6_T7_T9_mT8_P12ihipStream_tbDpT10_ENKUlT_T0_E_clISt17integral_constantIbLb1EES1C_EEDaS17_S18_EUlS17_E_NS1_11comp_targetILNS1_3genE4ELNS1_11target_archE910ELNS1_3gpuE8ELNS1_3repE0EEENS1_30default_config_static_selectorELNS0_4arch9wavefront6targetE1EEEvT1_,"axG",@progbits,_ZN7rocprim17ROCPRIM_400000_NS6detail17trampoline_kernelINS0_14default_configENS1_25partition_config_selectorILNS1_17partition_subalgoE9EllbEEZZNS1_14partition_implILS5_9ELb0ES3_jPlS8_PNS0_10empty_typeENS0_5tupleIJS8_S9_EEENSB_IJS8_SA_EEENS0_18inequality_wrapperIZN2at6native12_GLOBAL__N_124unique_dim_cuda_templateIN3c104HalfEEESt5tupleIJNSF_6TensorESM_SM_EERKSM_lbbbEUlllE0_EEPmJS9_EEE10hipError_tPvRmT3_T4_T5_T6_T7_T9_mT8_P12ihipStream_tbDpT10_ENKUlT_T0_E_clISt17integral_constantIbLb1EES1C_EEDaS17_S18_EUlS17_E_NS1_11comp_targetILNS1_3genE4ELNS1_11target_archE910ELNS1_3gpuE8ELNS1_3repE0EEENS1_30default_config_static_selectorELNS0_4arch9wavefront6targetE1EEEvT1_,comdat
.Lfunc_end1347:
	.size	_ZN7rocprim17ROCPRIM_400000_NS6detail17trampoline_kernelINS0_14default_configENS1_25partition_config_selectorILNS1_17partition_subalgoE9EllbEEZZNS1_14partition_implILS5_9ELb0ES3_jPlS8_PNS0_10empty_typeENS0_5tupleIJS8_S9_EEENSB_IJS8_SA_EEENS0_18inequality_wrapperIZN2at6native12_GLOBAL__N_124unique_dim_cuda_templateIN3c104HalfEEESt5tupleIJNSF_6TensorESM_SM_EERKSM_lbbbEUlllE0_EEPmJS9_EEE10hipError_tPvRmT3_T4_T5_T6_T7_T9_mT8_P12ihipStream_tbDpT10_ENKUlT_T0_E_clISt17integral_constantIbLb1EES1C_EEDaS17_S18_EUlS17_E_NS1_11comp_targetILNS1_3genE4ELNS1_11target_archE910ELNS1_3gpuE8ELNS1_3repE0EEENS1_30default_config_static_selectorELNS0_4arch9wavefront6targetE1EEEvT1_, .Lfunc_end1347-_ZN7rocprim17ROCPRIM_400000_NS6detail17trampoline_kernelINS0_14default_configENS1_25partition_config_selectorILNS1_17partition_subalgoE9EllbEEZZNS1_14partition_implILS5_9ELb0ES3_jPlS8_PNS0_10empty_typeENS0_5tupleIJS8_S9_EEENSB_IJS8_SA_EEENS0_18inequality_wrapperIZN2at6native12_GLOBAL__N_124unique_dim_cuda_templateIN3c104HalfEEESt5tupleIJNSF_6TensorESM_SM_EERKSM_lbbbEUlllE0_EEPmJS9_EEE10hipError_tPvRmT3_T4_T5_T6_T7_T9_mT8_P12ihipStream_tbDpT10_ENKUlT_T0_E_clISt17integral_constantIbLb1EES1C_EEDaS17_S18_EUlS17_E_NS1_11comp_targetILNS1_3genE4ELNS1_11target_archE910ELNS1_3gpuE8ELNS1_3repE0EEENS1_30default_config_static_selectorELNS0_4arch9wavefront6targetE1EEEvT1_
                                        ; -- End function
	.section	.AMDGPU.csdata,"",@progbits
; Kernel info:
; codeLenInByte = 0
; NumSgprs: 6
; NumVgprs: 0
; NumAgprs: 0
; TotalNumVgprs: 0
; ScratchSize: 0
; MemoryBound: 0
; FloatMode: 240
; IeeeMode: 1
; LDSByteSize: 0 bytes/workgroup (compile time only)
; SGPRBlocks: 0
; VGPRBlocks: 0
; NumSGPRsForWavesPerEU: 6
; NumVGPRsForWavesPerEU: 1
; AccumOffset: 4
; Occupancy: 8
; WaveLimiterHint : 0
; COMPUTE_PGM_RSRC2:SCRATCH_EN: 0
; COMPUTE_PGM_RSRC2:USER_SGPR: 2
; COMPUTE_PGM_RSRC2:TRAP_HANDLER: 0
; COMPUTE_PGM_RSRC2:TGID_X_EN: 1
; COMPUTE_PGM_RSRC2:TGID_Y_EN: 0
; COMPUTE_PGM_RSRC2:TGID_Z_EN: 0
; COMPUTE_PGM_RSRC2:TIDIG_COMP_CNT: 0
; COMPUTE_PGM_RSRC3_GFX90A:ACCUM_OFFSET: 0
; COMPUTE_PGM_RSRC3_GFX90A:TG_SPLIT: 0
	.section	.text._ZN7rocprim17ROCPRIM_400000_NS6detail17trampoline_kernelINS0_14default_configENS1_25partition_config_selectorILNS1_17partition_subalgoE9EllbEEZZNS1_14partition_implILS5_9ELb0ES3_jPlS8_PNS0_10empty_typeENS0_5tupleIJS8_S9_EEENSB_IJS8_SA_EEENS0_18inequality_wrapperIZN2at6native12_GLOBAL__N_124unique_dim_cuda_templateIN3c104HalfEEESt5tupleIJNSF_6TensorESM_SM_EERKSM_lbbbEUlllE0_EEPmJS9_EEE10hipError_tPvRmT3_T4_T5_T6_T7_T9_mT8_P12ihipStream_tbDpT10_ENKUlT_T0_E_clISt17integral_constantIbLb1EES1C_EEDaS17_S18_EUlS17_E_NS1_11comp_targetILNS1_3genE3ELNS1_11target_archE908ELNS1_3gpuE7ELNS1_3repE0EEENS1_30default_config_static_selectorELNS0_4arch9wavefront6targetE1EEEvT1_,"axG",@progbits,_ZN7rocprim17ROCPRIM_400000_NS6detail17trampoline_kernelINS0_14default_configENS1_25partition_config_selectorILNS1_17partition_subalgoE9EllbEEZZNS1_14partition_implILS5_9ELb0ES3_jPlS8_PNS0_10empty_typeENS0_5tupleIJS8_S9_EEENSB_IJS8_SA_EEENS0_18inequality_wrapperIZN2at6native12_GLOBAL__N_124unique_dim_cuda_templateIN3c104HalfEEESt5tupleIJNSF_6TensorESM_SM_EERKSM_lbbbEUlllE0_EEPmJS9_EEE10hipError_tPvRmT3_T4_T5_T6_T7_T9_mT8_P12ihipStream_tbDpT10_ENKUlT_T0_E_clISt17integral_constantIbLb1EES1C_EEDaS17_S18_EUlS17_E_NS1_11comp_targetILNS1_3genE3ELNS1_11target_archE908ELNS1_3gpuE7ELNS1_3repE0EEENS1_30default_config_static_selectorELNS0_4arch9wavefront6targetE1EEEvT1_,comdat
	.globl	_ZN7rocprim17ROCPRIM_400000_NS6detail17trampoline_kernelINS0_14default_configENS1_25partition_config_selectorILNS1_17partition_subalgoE9EllbEEZZNS1_14partition_implILS5_9ELb0ES3_jPlS8_PNS0_10empty_typeENS0_5tupleIJS8_S9_EEENSB_IJS8_SA_EEENS0_18inequality_wrapperIZN2at6native12_GLOBAL__N_124unique_dim_cuda_templateIN3c104HalfEEESt5tupleIJNSF_6TensorESM_SM_EERKSM_lbbbEUlllE0_EEPmJS9_EEE10hipError_tPvRmT3_T4_T5_T6_T7_T9_mT8_P12ihipStream_tbDpT10_ENKUlT_T0_E_clISt17integral_constantIbLb1EES1C_EEDaS17_S18_EUlS17_E_NS1_11comp_targetILNS1_3genE3ELNS1_11target_archE908ELNS1_3gpuE7ELNS1_3repE0EEENS1_30default_config_static_selectorELNS0_4arch9wavefront6targetE1EEEvT1_ ; -- Begin function _ZN7rocprim17ROCPRIM_400000_NS6detail17trampoline_kernelINS0_14default_configENS1_25partition_config_selectorILNS1_17partition_subalgoE9EllbEEZZNS1_14partition_implILS5_9ELb0ES3_jPlS8_PNS0_10empty_typeENS0_5tupleIJS8_S9_EEENSB_IJS8_SA_EEENS0_18inequality_wrapperIZN2at6native12_GLOBAL__N_124unique_dim_cuda_templateIN3c104HalfEEESt5tupleIJNSF_6TensorESM_SM_EERKSM_lbbbEUlllE0_EEPmJS9_EEE10hipError_tPvRmT3_T4_T5_T6_T7_T9_mT8_P12ihipStream_tbDpT10_ENKUlT_T0_E_clISt17integral_constantIbLb1EES1C_EEDaS17_S18_EUlS17_E_NS1_11comp_targetILNS1_3genE3ELNS1_11target_archE908ELNS1_3gpuE7ELNS1_3repE0EEENS1_30default_config_static_selectorELNS0_4arch9wavefront6targetE1EEEvT1_
	.p2align	8
	.type	_ZN7rocprim17ROCPRIM_400000_NS6detail17trampoline_kernelINS0_14default_configENS1_25partition_config_selectorILNS1_17partition_subalgoE9EllbEEZZNS1_14partition_implILS5_9ELb0ES3_jPlS8_PNS0_10empty_typeENS0_5tupleIJS8_S9_EEENSB_IJS8_SA_EEENS0_18inequality_wrapperIZN2at6native12_GLOBAL__N_124unique_dim_cuda_templateIN3c104HalfEEESt5tupleIJNSF_6TensorESM_SM_EERKSM_lbbbEUlllE0_EEPmJS9_EEE10hipError_tPvRmT3_T4_T5_T6_T7_T9_mT8_P12ihipStream_tbDpT10_ENKUlT_T0_E_clISt17integral_constantIbLb1EES1C_EEDaS17_S18_EUlS17_E_NS1_11comp_targetILNS1_3genE3ELNS1_11target_archE908ELNS1_3gpuE7ELNS1_3repE0EEENS1_30default_config_static_selectorELNS0_4arch9wavefront6targetE1EEEvT1_,@function
_ZN7rocprim17ROCPRIM_400000_NS6detail17trampoline_kernelINS0_14default_configENS1_25partition_config_selectorILNS1_17partition_subalgoE9EllbEEZZNS1_14partition_implILS5_9ELb0ES3_jPlS8_PNS0_10empty_typeENS0_5tupleIJS8_S9_EEENSB_IJS8_SA_EEENS0_18inequality_wrapperIZN2at6native12_GLOBAL__N_124unique_dim_cuda_templateIN3c104HalfEEESt5tupleIJNSF_6TensorESM_SM_EERKSM_lbbbEUlllE0_EEPmJS9_EEE10hipError_tPvRmT3_T4_T5_T6_T7_T9_mT8_P12ihipStream_tbDpT10_ENKUlT_T0_E_clISt17integral_constantIbLb1EES1C_EEDaS17_S18_EUlS17_E_NS1_11comp_targetILNS1_3genE3ELNS1_11target_archE908ELNS1_3gpuE7ELNS1_3repE0EEENS1_30default_config_static_selectorELNS0_4arch9wavefront6targetE1EEEvT1_: ; @_ZN7rocprim17ROCPRIM_400000_NS6detail17trampoline_kernelINS0_14default_configENS1_25partition_config_selectorILNS1_17partition_subalgoE9EllbEEZZNS1_14partition_implILS5_9ELb0ES3_jPlS8_PNS0_10empty_typeENS0_5tupleIJS8_S9_EEENSB_IJS8_SA_EEENS0_18inequality_wrapperIZN2at6native12_GLOBAL__N_124unique_dim_cuda_templateIN3c104HalfEEESt5tupleIJNSF_6TensorESM_SM_EERKSM_lbbbEUlllE0_EEPmJS9_EEE10hipError_tPvRmT3_T4_T5_T6_T7_T9_mT8_P12ihipStream_tbDpT10_ENKUlT_T0_E_clISt17integral_constantIbLb1EES1C_EEDaS17_S18_EUlS17_E_NS1_11comp_targetILNS1_3genE3ELNS1_11target_archE908ELNS1_3gpuE7ELNS1_3repE0EEENS1_30default_config_static_selectorELNS0_4arch9wavefront6targetE1EEEvT1_
; %bb.0:
	.section	.rodata,"a",@progbits
	.p2align	6, 0x0
	.amdhsa_kernel _ZN7rocprim17ROCPRIM_400000_NS6detail17trampoline_kernelINS0_14default_configENS1_25partition_config_selectorILNS1_17partition_subalgoE9EllbEEZZNS1_14partition_implILS5_9ELb0ES3_jPlS8_PNS0_10empty_typeENS0_5tupleIJS8_S9_EEENSB_IJS8_SA_EEENS0_18inequality_wrapperIZN2at6native12_GLOBAL__N_124unique_dim_cuda_templateIN3c104HalfEEESt5tupleIJNSF_6TensorESM_SM_EERKSM_lbbbEUlllE0_EEPmJS9_EEE10hipError_tPvRmT3_T4_T5_T6_T7_T9_mT8_P12ihipStream_tbDpT10_ENKUlT_T0_E_clISt17integral_constantIbLb1EES1C_EEDaS17_S18_EUlS17_E_NS1_11comp_targetILNS1_3genE3ELNS1_11target_archE908ELNS1_3gpuE7ELNS1_3repE0EEENS1_30default_config_static_selectorELNS0_4arch9wavefront6targetE1EEEvT1_
		.amdhsa_group_segment_fixed_size 0
		.amdhsa_private_segment_fixed_size 0
		.amdhsa_kernarg_size 136
		.amdhsa_user_sgpr_count 2
		.amdhsa_user_sgpr_dispatch_ptr 0
		.amdhsa_user_sgpr_queue_ptr 0
		.amdhsa_user_sgpr_kernarg_segment_ptr 1
		.amdhsa_user_sgpr_dispatch_id 0
		.amdhsa_user_sgpr_kernarg_preload_length 0
		.amdhsa_user_sgpr_kernarg_preload_offset 0
		.amdhsa_user_sgpr_private_segment_size 0
		.amdhsa_uses_dynamic_stack 0
		.amdhsa_enable_private_segment 0
		.amdhsa_system_sgpr_workgroup_id_x 1
		.amdhsa_system_sgpr_workgroup_id_y 0
		.amdhsa_system_sgpr_workgroup_id_z 0
		.amdhsa_system_sgpr_workgroup_info 0
		.amdhsa_system_vgpr_workitem_id 0
		.amdhsa_next_free_vgpr 1
		.amdhsa_next_free_sgpr 0
		.amdhsa_accum_offset 4
		.amdhsa_reserve_vcc 0
		.amdhsa_float_round_mode_32 0
		.amdhsa_float_round_mode_16_64 0
		.amdhsa_float_denorm_mode_32 3
		.amdhsa_float_denorm_mode_16_64 3
		.amdhsa_dx10_clamp 1
		.amdhsa_ieee_mode 1
		.amdhsa_fp16_overflow 0
		.amdhsa_tg_split 0
		.amdhsa_exception_fp_ieee_invalid_op 0
		.amdhsa_exception_fp_denorm_src 0
		.amdhsa_exception_fp_ieee_div_zero 0
		.amdhsa_exception_fp_ieee_overflow 0
		.amdhsa_exception_fp_ieee_underflow 0
		.amdhsa_exception_fp_ieee_inexact 0
		.amdhsa_exception_int_div_zero 0
	.end_amdhsa_kernel
	.section	.text._ZN7rocprim17ROCPRIM_400000_NS6detail17trampoline_kernelINS0_14default_configENS1_25partition_config_selectorILNS1_17partition_subalgoE9EllbEEZZNS1_14partition_implILS5_9ELb0ES3_jPlS8_PNS0_10empty_typeENS0_5tupleIJS8_S9_EEENSB_IJS8_SA_EEENS0_18inequality_wrapperIZN2at6native12_GLOBAL__N_124unique_dim_cuda_templateIN3c104HalfEEESt5tupleIJNSF_6TensorESM_SM_EERKSM_lbbbEUlllE0_EEPmJS9_EEE10hipError_tPvRmT3_T4_T5_T6_T7_T9_mT8_P12ihipStream_tbDpT10_ENKUlT_T0_E_clISt17integral_constantIbLb1EES1C_EEDaS17_S18_EUlS17_E_NS1_11comp_targetILNS1_3genE3ELNS1_11target_archE908ELNS1_3gpuE7ELNS1_3repE0EEENS1_30default_config_static_selectorELNS0_4arch9wavefront6targetE1EEEvT1_,"axG",@progbits,_ZN7rocprim17ROCPRIM_400000_NS6detail17trampoline_kernelINS0_14default_configENS1_25partition_config_selectorILNS1_17partition_subalgoE9EllbEEZZNS1_14partition_implILS5_9ELb0ES3_jPlS8_PNS0_10empty_typeENS0_5tupleIJS8_S9_EEENSB_IJS8_SA_EEENS0_18inequality_wrapperIZN2at6native12_GLOBAL__N_124unique_dim_cuda_templateIN3c104HalfEEESt5tupleIJNSF_6TensorESM_SM_EERKSM_lbbbEUlllE0_EEPmJS9_EEE10hipError_tPvRmT3_T4_T5_T6_T7_T9_mT8_P12ihipStream_tbDpT10_ENKUlT_T0_E_clISt17integral_constantIbLb1EES1C_EEDaS17_S18_EUlS17_E_NS1_11comp_targetILNS1_3genE3ELNS1_11target_archE908ELNS1_3gpuE7ELNS1_3repE0EEENS1_30default_config_static_selectorELNS0_4arch9wavefront6targetE1EEEvT1_,comdat
.Lfunc_end1348:
	.size	_ZN7rocprim17ROCPRIM_400000_NS6detail17trampoline_kernelINS0_14default_configENS1_25partition_config_selectorILNS1_17partition_subalgoE9EllbEEZZNS1_14partition_implILS5_9ELb0ES3_jPlS8_PNS0_10empty_typeENS0_5tupleIJS8_S9_EEENSB_IJS8_SA_EEENS0_18inequality_wrapperIZN2at6native12_GLOBAL__N_124unique_dim_cuda_templateIN3c104HalfEEESt5tupleIJNSF_6TensorESM_SM_EERKSM_lbbbEUlllE0_EEPmJS9_EEE10hipError_tPvRmT3_T4_T5_T6_T7_T9_mT8_P12ihipStream_tbDpT10_ENKUlT_T0_E_clISt17integral_constantIbLb1EES1C_EEDaS17_S18_EUlS17_E_NS1_11comp_targetILNS1_3genE3ELNS1_11target_archE908ELNS1_3gpuE7ELNS1_3repE0EEENS1_30default_config_static_selectorELNS0_4arch9wavefront6targetE1EEEvT1_, .Lfunc_end1348-_ZN7rocprim17ROCPRIM_400000_NS6detail17trampoline_kernelINS0_14default_configENS1_25partition_config_selectorILNS1_17partition_subalgoE9EllbEEZZNS1_14partition_implILS5_9ELb0ES3_jPlS8_PNS0_10empty_typeENS0_5tupleIJS8_S9_EEENSB_IJS8_SA_EEENS0_18inequality_wrapperIZN2at6native12_GLOBAL__N_124unique_dim_cuda_templateIN3c104HalfEEESt5tupleIJNSF_6TensorESM_SM_EERKSM_lbbbEUlllE0_EEPmJS9_EEE10hipError_tPvRmT3_T4_T5_T6_T7_T9_mT8_P12ihipStream_tbDpT10_ENKUlT_T0_E_clISt17integral_constantIbLb1EES1C_EEDaS17_S18_EUlS17_E_NS1_11comp_targetILNS1_3genE3ELNS1_11target_archE908ELNS1_3gpuE7ELNS1_3repE0EEENS1_30default_config_static_selectorELNS0_4arch9wavefront6targetE1EEEvT1_
                                        ; -- End function
	.section	.AMDGPU.csdata,"",@progbits
; Kernel info:
; codeLenInByte = 0
; NumSgprs: 6
; NumVgprs: 0
; NumAgprs: 0
; TotalNumVgprs: 0
; ScratchSize: 0
; MemoryBound: 0
; FloatMode: 240
; IeeeMode: 1
; LDSByteSize: 0 bytes/workgroup (compile time only)
; SGPRBlocks: 0
; VGPRBlocks: 0
; NumSGPRsForWavesPerEU: 6
; NumVGPRsForWavesPerEU: 1
; AccumOffset: 4
; Occupancy: 8
; WaveLimiterHint : 0
; COMPUTE_PGM_RSRC2:SCRATCH_EN: 0
; COMPUTE_PGM_RSRC2:USER_SGPR: 2
; COMPUTE_PGM_RSRC2:TRAP_HANDLER: 0
; COMPUTE_PGM_RSRC2:TGID_X_EN: 1
; COMPUTE_PGM_RSRC2:TGID_Y_EN: 0
; COMPUTE_PGM_RSRC2:TGID_Z_EN: 0
; COMPUTE_PGM_RSRC2:TIDIG_COMP_CNT: 0
; COMPUTE_PGM_RSRC3_GFX90A:ACCUM_OFFSET: 0
; COMPUTE_PGM_RSRC3_GFX90A:TG_SPLIT: 0
	.section	.text._ZN7rocprim17ROCPRIM_400000_NS6detail17trampoline_kernelINS0_14default_configENS1_25partition_config_selectorILNS1_17partition_subalgoE9EllbEEZZNS1_14partition_implILS5_9ELb0ES3_jPlS8_PNS0_10empty_typeENS0_5tupleIJS8_S9_EEENSB_IJS8_SA_EEENS0_18inequality_wrapperIZN2at6native12_GLOBAL__N_124unique_dim_cuda_templateIN3c104HalfEEESt5tupleIJNSF_6TensorESM_SM_EERKSM_lbbbEUlllE0_EEPmJS9_EEE10hipError_tPvRmT3_T4_T5_T6_T7_T9_mT8_P12ihipStream_tbDpT10_ENKUlT_T0_E_clISt17integral_constantIbLb1EES1C_EEDaS17_S18_EUlS17_E_NS1_11comp_targetILNS1_3genE2ELNS1_11target_archE906ELNS1_3gpuE6ELNS1_3repE0EEENS1_30default_config_static_selectorELNS0_4arch9wavefront6targetE1EEEvT1_,"axG",@progbits,_ZN7rocprim17ROCPRIM_400000_NS6detail17trampoline_kernelINS0_14default_configENS1_25partition_config_selectorILNS1_17partition_subalgoE9EllbEEZZNS1_14partition_implILS5_9ELb0ES3_jPlS8_PNS0_10empty_typeENS0_5tupleIJS8_S9_EEENSB_IJS8_SA_EEENS0_18inequality_wrapperIZN2at6native12_GLOBAL__N_124unique_dim_cuda_templateIN3c104HalfEEESt5tupleIJNSF_6TensorESM_SM_EERKSM_lbbbEUlllE0_EEPmJS9_EEE10hipError_tPvRmT3_T4_T5_T6_T7_T9_mT8_P12ihipStream_tbDpT10_ENKUlT_T0_E_clISt17integral_constantIbLb1EES1C_EEDaS17_S18_EUlS17_E_NS1_11comp_targetILNS1_3genE2ELNS1_11target_archE906ELNS1_3gpuE6ELNS1_3repE0EEENS1_30default_config_static_selectorELNS0_4arch9wavefront6targetE1EEEvT1_,comdat
	.globl	_ZN7rocprim17ROCPRIM_400000_NS6detail17trampoline_kernelINS0_14default_configENS1_25partition_config_selectorILNS1_17partition_subalgoE9EllbEEZZNS1_14partition_implILS5_9ELb0ES3_jPlS8_PNS0_10empty_typeENS0_5tupleIJS8_S9_EEENSB_IJS8_SA_EEENS0_18inequality_wrapperIZN2at6native12_GLOBAL__N_124unique_dim_cuda_templateIN3c104HalfEEESt5tupleIJNSF_6TensorESM_SM_EERKSM_lbbbEUlllE0_EEPmJS9_EEE10hipError_tPvRmT3_T4_T5_T6_T7_T9_mT8_P12ihipStream_tbDpT10_ENKUlT_T0_E_clISt17integral_constantIbLb1EES1C_EEDaS17_S18_EUlS17_E_NS1_11comp_targetILNS1_3genE2ELNS1_11target_archE906ELNS1_3gpuE6ELNS1_3repE0EEENS1_30default_config_static_selectorELNS0_4arch9wavefront6targetE1EEEvT1_ ; -- Begin function _ZN7rocprim17ROCPRIM_400000_NS6detail17trampoline_kernelINS0_14default_configENS1_25partition_config_selectorILNS1_17partition_subalgoE9EllbEEZZNS1_14partition_implILS5_9ELb0ES3_jPlS8_PNS0_10empty_typeENS0_5tupleIJS8_S9_EEENSB_IJS8_SA_EEENS0_18inequality_wrapperIZN2at6native12_GLOBAL__N_124unique_dim_cuda_templateIN3c104HalfEEESt5tupleIJNSF_6TensorESM_SM_EERKSM_lbbbEUlllE0_EEPmJS9_EEE10hipError_tPvRmT3_T4_T5_T6_T7_T9_mT8_P12ihipStream_tbDpT10_ENKUlT_T0_E_clISt17integral_constantIbLb1EES1C_EEDaS17_S18_EUlS17_E_NS1_11comp_targetILNS1_3genE2ELNS1_11target_archE906ELNS1_3gpuE6ELNS1_3repE0EEENS1_30default_config_static_selectorELNS0_4arch9wavefront6targetE1EEEvT1_
	.p2align	8
	.type	_ZN7rocprim17ROCPRIM_400000_NS6detail17trampoline_kernelINS0_14default_configENS1_25partition_config_selectorILNS1_17partition_subalgoE9EllbEEZZNS1_14partition_implILS5_9ELb0ES3_jPlS8_PNS0_10empty_typeENS0_5tupleIJS8_S9_EEENSB_IJS8_SA_EEENS0_18inequality_wrapperIZN2at6native12_GLOBAL__N_124unique_dim_cuda_templateIN3c104HalfEEESt5tupleIJNSF_6TensorESM_SM_EERKSM_lbbbEUlllE0_EEPmJS9_EEE10hipError_tPvRmT3_T4_T5_T6_T7_T9_mT8_P12ihipStream_tbDpT10_ENKUlT_T0_E_clISt17integral_constantIbLb1EES1C_EEDaS17_S18_EUlS17_E_NS1_11comp_targetILNS1_3genE2ELNS1_11target_archE906ELNS1_3gpuE6ELNS1_3repE0EEENS1_30default_config_static_selectorELNS0_4arch9wavefront6targetE1EEEvT1_,@function
_ZN7rocprim17ROCPRIM_400000_NS6detail17trampoline_kernelINS0_14default_configENS1_25partition_config_selectorILNS1_17partition_subalgoE9EllbEEZZNS1_14partition_implILS5_9ELb0ES3_jPlS8_PNS0_10empty_typeENS0_5tupleIJS8_S9_EEENSB_IJS8_SA_EEENS0_18inequality_wrapperIZN2at6native12_GLOBAL__N_124unique_dim_cuda_templateIN3c104HalfEEESt5tupleIJNSF_6TensorESM_SM_EERKSM_lbbbEUlllE0_EEPmJS9_EEE10hipError_tPvRmT3_T4_T5_T6_T7_T9_mT8_P12ihipStream_tbDpT10_ENKUlT_T0_E_clISt17integral_constantIbLb1EES1C_EEDaS17_S18_EUlS17_E_NS1_11comp_targetILNS1_3genE2ELNS1_11target_archE906ELNS1_3gpuE6ELNS1_3repE0EEENS1_30default_config_static_selectorELNS0_4arch9wavefront6targetE1EEEvT1_: ; @_ZN7rocprim17ROCPRIM_400000_NS6detail17trampoline_kernelINS0_14default_configENS1_25partition_config_selectorILNS1_17partition_subalgoE9EllbEEZZNS1_14partition_implILS5_9ELb0ES3_jPlS8_PNS0_10empty_typeENS0_5tupleIJS8_S9_EEENSB_IJS8_SA_EEENS0_18inequality_wrapperIZN2at6native12_GLOBAL__N_124unique_dim_cuda_templateIN3c104HalfEEESt5tupleIJNSF_6TensorESM_SM_EERKSM_lbbbEUlllE0_EEPmJS9_EEE10hipError_tPvRmT3_T4_T5_T6_T7_T9_mT8_P12ihipStream_tbDpT10_ENKUlT_T0_E_clISt17integral_constantIbLb1EES1C_EEDaS17_S18_EUlS17_E_NS1_11comp_targetILNS1_3genE2ELNS1_11target_archE906ELNS1_3gpuE6ELNS1_3repE0EEENS1_30default_config_static_selectorELNS0_4arch9wavefront6targetE1EEEvT1_
; %bb.0:
	.section	.rodata,"a",@progbits
	.p2align	6, 0x0
	.amdhsa_kernel _ZN7rocprim17ROCPRIM_400000_NS6detail17trampoline_kernelINS0_14default_configENS1_25partition_config_selectorILNS1_17partition_subalgoE9EllbEEZZNS1_14partition_implILS5_9ELb0ES3_jPlS8_PNS0_10empty_typeENS0_5tupleIJS8_S9_EEENSB_IJS8_SA_EEENS0_18inequality_wrapperIZN2at6native12_GLOBAL__N_124unique_dim_cuda_templateIN3c104HalfEEESt5tupleIJNSF_6TensorESM_SM_EERKSM_lbbbEUlllE0_EEPmJS9_EEE10hipError_tPvRmT3_T4_T5_T6_T7_T9_mT8_P12ihipStream_tbDpT10_ENKUlT_T0_E_clISt17integral_constantIbLb1EES1C_EEDaS17_S18_EUlS17_E_NS1_11comp_targetILNS1_3genE2ELNS1_11target_archE906ELNS1_3gpuE6ELNS1_3repE0EEENS1_30default_config_static_selectorELNS0_4arch9wavefront6targetE1EEEvT1_
		.amdhsa_group_segment_fixed_size 0
		.amdhsa_private_segment_fixed_size 0
		.amdhsa_kernarg_size 136
		.amdhsa_user_sgpr_count 2
		.amdhsa_user_sgpr_dispatch_ptr 0
		.amdhsa_user_sgpr_queue_ptr 0
		.amdhsa_user_sgpr_kernarg_segment_ptr 1
		.amdhsa_user_sgpr_dispatch_id 0
		.amdhsa_user_sgpr_kernarg_preload_length 0
		.amdhsa_user_sgpr_kernarg_preload_offset 0
		.amdhsa_user_sgpr_private_segment_size 0
		.amdhsa_uses_dynamic_stack 0
		.amdhsa_enable_private_segment 0
		.amdhsa_system_sgpr_workgroup_id_x 1
		.amdhsa_system_sgpr_workgroup_id_y 0
		.amdhsa_system_sgpr_workgroup_id_z 0
		.amdhsa_system_sgpr_workgroup_info 0
		.amdhsa_system_vgpr_workitem_id 0
		.amdhsa_next_free_vgpr 1
		.amdhsa_next_free_sgpr 0
		.amdhsa_accum_offset 4
		.amdhsa_reserve_vcc 0
		.amdhsa_float_round_mode_32 0
		.amdhsa_float_round_mode_16_64 0
		.amdhsa_float_denorm_mode_32 3
		.amdhsa_float_denorm_mode_16_64 3
		.amdhsa_dx10_clamp 1
		.amdhsa_ieee_mode 1
		.amdhsa_fp16_overflow 0
		.amdhsa_tg_split 0
		.amdhsa_exception_fp_ieee_invalid_op 0
		.amdhsa_exception_fp_denorm_src 0
		.amdhsa_exception_fp_ieee_div_zero 0
		.amdhsa_exception_fp_ieee_overflow 0
		.amdhsa_exception_fp_ieee_underflow 0
		.amdhsa_exception_fp_ieee_inexact 0
		.amdhsa_exception_int_div_zero 0
	.end_amdhsa_kernel
	.section	.text._ZN7rocprim17ROCPRIM_400000_NS6detail17trampoline_kernelINS0_14default_configENS1_25partition_config_selectorILNS1_17partition_subalgoE9EllbEEZZNS1_14partition_implILS5_9ELb0ES3_jPlS8_PNS0_10empty_typeENS0_5tupleIJS8_S9_EEENSB_IJS8_SA_EEENS0_18inequality_wrapperIZN2at6native12_GLOBAL__N_124unique_dim_cuda_templateIN3c104HalfEEESt5tupleIJNSF_6TensorESM_SM_EERKSM_lbbbEUlllE0_EEPmJS9_EEE10hipError_tPvRmT3_T4_T5_T6_T7_T9_mT8_P12ihipStream_tbDpT10_ENKUlT_T0_E_clISt17integral_constantIbLb1EES1C_EEDaS17_S18_EUlS17_E_NS1_11comp_targetILNS1_3genE2ELNS1_11target_archE906ELNS1_3gpuE6ELNS1_3repE0EEENS1_30default_config_static_selectorELNS0_4arch9wavefront6targetE1EEEvT1_,"axG",@progbits,_ZN7rocprim17ROCPRIM_400000_NS6detail17trampoline_kernelINS0_14default_configENS1_25partition_config_selectorILNS1_17partition_subalgoE9EllbEEZZNS1_14partition_implILS5_9ELb0ES3_jPlS8_PNS0_10empty_typeENS0_5tupleIJS8_S9_EEENSB_IJS8_SA_EEENS0_18inequality_wrapperIZN2at6native12_GLOBAL__N_124unique_dim_cuda_templateIN3c104HalfEEESt5tupleIJNSF_6TensorESM_SM_EERKSM_lbbbEUlllE0_EEPmJS9_EEE10hipError_tPvRmT3_T4_T5_T6_T7_T9_mT8_P12ihipStream_tbDpT10_ENKUlT_T0_E_clISt17integral_constantIbLb1EES1C_EEDaS17_S18_EUlS17_E_NS1_11comp_targetILNS1_3genE2ELNS1_11target_archE906ELNS1_3gpuE6ELNS1_3repE0EEENS1_30default_config_static_selectorELNS0_4arch9wavefront6targetE1EEEvT1_,comdat
.Lfunc_end1349:
	.size	_ZN7rocprim17ROCPRIM_400000_NS6detail17trampoline_kernelINS0_14default_configENS1_25partition_config_selectorILNS1_17partition_subalgoE9EllbEEZZNS1_14partition_implILS5_9ELb0ES3_jPlS8_PNS0_10empty_typeENS0_5tupleIJS8_S9_EEENSB_IJS8_SA_EEENS0_18inequality_wrapperIZN2at6native12_GLOBAL__N_124unique_dim_cuda_templateIN3c104HalfEEESt5tupleIJNSF_6TensorESM_SM_EERKSM_lbbbEUlllE0_EEPmJS9_EEE10hipError_tPvRmT3_T4_T5_T6_T7_T9_mT8_P12ihipStream_tbDpT10_ENKUlT_T0_E_clISt17integral_constantIbLb1EES1C_EEDaS17_S18_EUlS17_E_NS1_11comp_targetILNS1_3genE2ELNS1_11target_archE906ELNS1_3gpuE6ELNS1_3repE0EEENS1_30default_config_static_selectorELNS0_4arch9wavefront6targetE1EEEvT1_, .Lfunc_end1349-_ZN7rocprim17ROCPRIM_400000_NS6detail17trampoline_kernelINS0_14default_configENS1_25partition_config_selectorILNS1_17partition_subalgoE9EllbEEZZNS1_14partition_implILS5_9ELb0ES3_jPlS8_PNS0_10empty_typeENS0_5tupleIJS8_S9_EEENSB_IJS8_SA_EEENS0_18inequality_wrapperIZN2at6native12_GLOBAL__N_124unique_dim_cuda_templateIN3c104HalfEEESt5tupleIJNSF_6TensorESM_SM_EERKSM_lbbbEUlllE0_EEPmJS9_EEE10hipError_tPvRmT3_T4_T5_T6_T7_T9_mT8_P12ihipStream_tbDpT10_ENKUlT_T0_E_clISt17integral_constantIbLb1EES1C_EEDaS17_S18_EUlS17_E_NS1_11comp_targetILNS1_3genE2ELNS1_11target_archE906ELNS1_3gpuE6ELNS1_3repE0EEENS1_30default_config_static_selectorELNS0_4arch9wavefront6targetE1EEEvT1_
                                        ; -- End function
	.section	.AMDGPU.csdata,"",@progbits
; Kernel info:
; codeLenInByte = 0
; NumSgprs: 6
; NumVgprs: 0
; NumAgprs: 0
; TotalNumVgprs: 0
; ScratchSize: 0
; MemoryBound: 0
; FloatMode: 240
; IeeeMode: 1
; LDSByteSize: 0 bytes/workgroup (compile time only)
; SGPRBlocks: 0
; VGPRBlocks: 0
; NumSGPRsForWavesPerEU: 6
; NumVGPRsForWavesPerEU: 1
; AccumOffset: 4
; Occupancy: 8
; WaveLimiterHint : 0
; COMPUTE_PGM_RSRC2:SCRATCH_EN: 0
; COMPUTE_PGM_RSRC2:USER_SGPR: 2
; COMPUTE_PGM_RSRC2:TRAP_HANDLER: 0
; COMPUTE_PGM_RSRC2:TGID_X_EN: 1
; COMPUTE_PGM_RSRC2:TGID_Y_EN: 0
; COMPUTE_PGM_RSRC2:TGID_Z_EN: 0
; COMPUTE_PGM_RSRC2:TIDIG_COMP_CNT: 0
; COMPUTE_PGM_RSRC3_GFX90A:ACCUM_OFFSET: 0
; COMPUTE_PGM_RSRC3_GFX90A:TG_SPLIT: 0
	.section	.text._ZN7rocprim17ROCPRIM_400000_NS6detail17trampoline_kernelINS0_14default_configENS1_25partition_config_selectorILNS1_17partition_subalgoE9EllbEEZZNS1_14partition_implILS5_9ELb0ES3_jPlS8_PNS0_10empty_typeENS0_5tupleIJS8_S9_EEENSB_IJS8_SA_EEENS0_18inequality_wrapperIZN2at6native12_GLOBAL__N_124unique_dim_cuda_templateIN3c104HalfEEESt5tupleIJNSF_6TensorESM_SM_EERKSM_lbbbEUlllE0_EEPmJS9_EEE10hipError_tPvRmT3_T4_T5_T6_T7_T9_mT8_P12ihipStream_tbDpT10_ENKUlT_T0_E_clISt17integral_constantIbLb1EES1C_EEDaS17_S18_EUlS17_E_NS1_11comp_targetILNS1_3genE10ELNS1_11target_archE1200ELNS1_3gpuE4ELNS1_3repE0EEENS1_30default_config_static_selectorELNS0_4arch9wavefront6targetE1EEEvT1_,"axG",@progbits,_ZN7rocprim17ROCPRIM_400000_NS6detail17trampoline_kernelINS0_14default_configENS1_25partition_config_selectorILNS1_17partition_subalgoE9EllbEEZZNS1_14partition_implILS5_9ELb0ES3_jPlS8_PNS0_10empty_typeENS0_5tupleIJS8_S9_EEENSB_IJS8_SA_EEENS0_18inequality_wrapperIZN2at6native12_GLOBAL__N_124unique_dim_cuda_templateIN3c104HalfEEESt5tupleIJNSF_6TensorESM_SM_EERKSM_lbbbEUlllE0_EEPmJS9_EEE10hipError_tPvRmT3_T4_T5_T6_T7_T9_mT8_P12ihipStream_tbDpT10_ENKUlT_T0_E_clISt17integral_constantIbLb1EES1C_EEDaS17_S18_EUlS17_E_NS1_11comp_targetILNS1_3genE10ELNS1_11target_archE1200ELNS1_3gpuE4ELNS1_3repE0EEENS1_30default_config_static_selectorELNS0_4arch9wavefront6targetE1EEEvT1_,comdat
	.globl	_ZN7rocprim17ROCPRIM_400000_NS6detail17trampoline_kernelINS0_14default_configENS1_25partition_config_selectorILNS1_17partition_subalgoE9EllbEEZZNS1_14partition_implILS5_9ELb0ES3_jPlS8_PNS0_10empty_typeENS0_5tupleIJS8_S9_EEENSB_IJS8_SA_EEENS0_18inequality_wrapperIZN2at6native12_GLOBAL__N_124unique_dim_cuda_templateIN3c104HalfEEESt5tupleIJNSF_6TensorESM_SM_EERKSM_lbbbEUlllE0_EEPmJS9_EEE10hipError_tPvRmT3_T4_T5_T6_T7_T9_mT8_P12ihipStream_tbDpT10_ENKUlT_T0_E_clISt17integral_constantIbLb1EES1C_EEDaS17_S18_EUlS17_E_NS1_11comp_targetILNS1_3genE10ELNS1_11target_archE1200ELNS1_3gpuE4ELNS1_3repE0EEENS1_30default_config_static_selectorELNS0_4arch9wavefront6targetE1EEEvT1_ ; -- Begin function _ZN7rocprim17ROCPRIM_400000_NS6detail17trampoline_kernelINS0_14default_configENS1_25partition_config_selectorILNS1_17partition_subalgoE9EllbEEZZNS1_14partition_implILS5_9ELb0ES3_jPlS8_PNS0_10empty_typeENS0_5tupleIJS8_S9_EEENSB_IJS8_SA_EEENS0_18inequality_wrapperIZN2at6native12_GLOBAL__N_124unique_dim_cuda_templateIN3c104HalfEEESt5tupleIJNSF_6TensorESM_SM_EERKSM_lbbbEUlllE0_EEPmJS9_EEE10hipError_tPvRmT3_T4_T5_T6_T7_T9_mT8_P12ihipStream_tbDpT10_ENKUlT_T0_E_clISt17integral_constantIbLb1EES1C_EEDaS17_S18_EUlS17_E_NS1_11comp_targetILNS1_3genE10ELNS1_11target_archE1200ELNS1_3gpuE4ELNS1_3repE0EEENS1_30default_config_static_selectorELNS0_4arch9wavefront6targetE1EEEvT1_
	.p2align	8
	.type	_ZN7rocprim17ROCPRIM_400000_NS6detail17trampoline_kernelINS0_14default_configENS1_25partition_config_selectorILNS1_17partition_subalgoE9EllbEEZZNS1_14partition_implILS5_9ELb0ES3_jPlS8_PNS0_10empty_typeENS0_5tupleIJS8_S9_EEENSB_IJS8_SA_EEENS0_18inequality_wrapperIZN2at6native12_GLOBAL__N_124unique_dim_cuda_templateIN3c104HalfEEESt5tupleIJNSF_6TensorESM_SM_EERKSM_lbbbEUlllE0_EEPmJS9_EEE10hipError_tPvRmT3_T4_T5_T6_T7_T9_mT8_P12ihipStream_tbDpT10_ENKUlT_T0_E_clISt17integral_constantIbLb1EES1C_EEDaS17_S18_EUlS17_E_NS1_11comp_targetILNS1_3genE10ELNS1_11target_archE1200ELNS1_3gpuE4ELNS1_3repE0EEENS1_30default_config_static_selectorELNS0_4arch9wavefront6targetE1EEEvT1_,@function
_ZN7rocprim17ROCPRIM_400000_NS6detail17trampoline_kernelINS0_14default_configENS1_25partition_config_selectorILNS1_17partition_subalgoE9EllbEEZZNS1_14partition_implILS5_9ELb0ES3_jPlS8_PNS0_10empty_typeENS0_5tupleIJS8_S9_EEENSB_IJS8_SA_EEENS0_18inequality_wrapperIZN2at6native12_GLOBAL__N_124unique_dim_cuda_templateIN3c104HalfEEESt5tupleIJNSF_6TensorESM_SM_EERKSM_lbbbEUlllE0_EEPmJS9_EEE10hipError_tPvRmT3_T4_T5_T6_T7_T9_mT8_P12ihipStream_tbDpT10_ENKUlT_T0_E_clISt17integral_constantIbLb1EES1C_EEDaS17_S18_EUlS17_E_NS1_11comp_targetILNS1_3genE10ELNS1_11target_archE1200ELNS1_3gpuE4ELNS1_3repE0EEENS1_30default_config_static_selectorELNS0_4arch9wavefront6targetE1EEEvT1_: ; @_ZN7rocprim17ROCPRIM_400000_NS6detail17trampoline_kernelINS0_14default_configENS1_25partition_config_selectorILNS1_17partition_subalgoE9EllbEEZZNS1_14partition_implILS5_9ELb0ES3_jPlS8_PNS0_10empty_typeENS0_5tupleIJS8_S9_EEENSB_IJS8_SA_EEENS0_18inequality_wrapperIZN2at6native12_GLOBAL__N_124unique_dim_cuda_templateIN3c104HalfEEESt5tupleIJNSF_6TensorESM_SM_EERKSM_lbbbEUlllE0_EEPmJS9_EEE10hipError_tPvRmT3_T4_T5_T6_T7_T9_mT8_P12ihipStream_tbDpT10_ENKUlT_T0_E_clISt17integral_constantIbLb1EES1C_EEDaS17_S18_EUlS17_E_NS1_11comp_targetILNS1_3genE10ELNS1_11target_archE1200ELNS1_3gpuE4ELNS1_3repE0EEENS1_30default_config_static_selectorELNS0_4arch9wavefront6targetE1EEEvT1_
; %bb.0:
	.section	.rodata,"a",@progbits
	.p2align	6, 0x0
	.amdhsa_kernel _ZN7rocprim17ROCPRIM_400000_NS6detail17trampoline_kernelINS0_14default_configENS1_25partition_config_selectorILNS1_17partition_subalgoE9EllbEEZZNS1_14partition_implILS5_9ELb0ES3_jPlS8_PNS0_10empty_typeENS0_5tupleIJS8_S9_EEENSB_IJS8_SA_EEENS0_18inequality_wrapperIZN2at6native12_GLOBAL__N_124unique_dim_cuda_templateIN3c104HalfEEESt5tupleIJNSF_6TensorESM_SM_EERKSM_lbbbEUlllE0_EEPmJS9_EEE10hipError_tPvRmT3_T4_T5_T6_T7_T9_mT8_P12ihipStream_tbDpT10_ENKUlT_T0_E_clISt17integral_constantIbLb1EES1C_EEDaS17_S18_EUlS17_E_NS1_11comp_targetILNS1_3genE10ELNS1_11target_archE1200ELNS1_3gpuE4ELNS1_3repE0EEENS1_30default_config_static_selectorELNS0_4arch9wavefront6targetE1EEEvT1_
		.amdhsa_group_segment_fixed_size 0
		.amdhsa_private_segment_fixed_size 0
		.amdhsa_kernarg_size 136
		.amdhsa_user_sgpr_count 2
		.amdhsa_user_sgpr_dispatch_ptr 0
		.amdhsa_user_sgpr_queue_ptr 0
		.amdhsa_user_sgpr_kernarg_segment_ptr 1
		.amdhsa_user_sgpr_dispatch_id 0
		.amdhsa_user_sgpr_kernarg_preload_length 0
		.amdhsa_user_sgpr_kernarg_preload_offset 0
		.amdhsa_user_sgpr_private_segment_size 0
		.amdhsa_uses_dynamic_stack 0
		.amdhsa_enable_private_segment 0
		.amdhsa_system_sgpr_workgroup_id_x 1
		.amdhsa_system_sgpr_workgroup_id_y 0
		.amdhsa_system_sgpr_workgroup_id_z 0
		.amdhsa_system_sgpr_workgroup_info 0
		.amdhsa_system_vgpr_workitem_id 0
		.amdhsa_next_free_vgpr 1
		.amdhsa_next_free_sgpr 0
		.amdhsa_accum_offset 4
		.amdhsa_reserve_vcc 0
		.amdhsa_float_round_mode_32 0
		.amdhsa_float_round_mode_16_64 0
		.amdhsa_float_denorm_mode_32 3
		.amdhsa_float_denorm_mode_16_64 3
		.amdhsa_dx10_clamp 1
		.amdhsa_ieee_mode 1
		.amdhsa_fp16_overflow 0
		.amdhsa_tg_split 0
		.amdhsa_exception_fp_ieee_invalid_op 0
		.amdhsa_exception_fp_denorm_src 0
		.amdhsa_exception_fp_ieee_div_zero 0
		.amdhsa_exception_fp_ieee_overflow 0
		.amdhsa_exception_fp_ieee_underflow 0
		.amdhsa_exception_fp_ieee_inexact 0
		.amdhsa_exception_int_div_zero 0
	.end_amdhsa_kernel
	.section	.text._ZN7rocprim17ROCPRIM_400000_NS6detail17trampoline_kernelINS0_14default_configENS1_25partition_config_selectorILNS1_17partition_subalgoE9EllbEEZZNS1_14partition_implILS5_9ELb0ES3_jPlS8_PNS0_10empty_typeENS0_5tupleIJS8_S9_EEENSB_IJS8_SA_EEENS0_18inequality_wrapperIZN2at6native12_GLOBAL__N_124unique_dim_cuda_templateIN3c104HalfEEESt5tupleIJNSF_6TensorESM_SM_EERKSM_lbbbEUlllE0_EEPmJS9_EEE10hipError_tPvRmT3_T4_T5_T6_T7_T9_mT8_P12ihipStream_tbDpT10_ENKUlT_T0_E_clISt17integral_constantIbLb1EES1C_EEDaS17_S18_EUlS17_E_NS1_11comp_targetILNS1_3genE10ELNS1_11target_archE1200ELNS1_3gpuE4ELNS1_3repE0EEENS1_30default_config_static_selectorELNS0_4arch9wavefront6targetE1EEEvT1_,"axG",@progbits,_ZN7rocprim17ROCPRIM_400000_NS6detail17trampoline_kernelINS0_14default_configENS1_25partition_config_selectorILNS1_17partition_subalgoE9EllbEEZZNS1_14partition_implILS5_9ELb0ES3_jPlS8_PNS0_10empty_typeENS0_5tupleIJS8_S9_EEENSB_IJS8_SA_EEENS0_18inequality_wrapperIZN2at6native12_GLOBAL__N_124unique_dim_cuda_templateIN3c104HalfEEESt5tupleIJNSF_6TensorESM_SM_EERKSM_lbbbEUlllE0_EEPmJS9_EEE10hipError_tPvRmT3_T4_T5_T6_T7_T9_mT8_P12ihipStream_tbDpT10_ENKUlT_T0_E_clISt17integral_constantIbLb1EES1C_EEDaS17_S18_EUlS17_E_NS1_11comp_targetILNS1_3genE10ELNS1_11target_archE1200ELNS1_3gpuE4ELNS1_3repE0EEENS1_30default_config_static_selectorELNS0_4arch9wavefront6targetE1EEEvT1_,comdat
.Lfunc_end1350:
	.size	_ZN7rocprim17ROCPRIM_400000_NS6detail17trampoline_kernelINS0_14default_configENS1_25partition_config_selectorILNS1_17partition_subalgoE9EllbEEZZNS1_14partition_implILS5_9ELb0ES3_jPlS8_PNS0_10empty_typeENS0_5tupleIJS8_S9_EEENSB_IJS8_SA_EEENS0_18inequality_wrapperIZN2at6native12_GLOBAL__N_124unique_dim_cuda_templateIN3c104HalfEEESt5tupleIJNSF_6TensorESM_SM_EERKSM_lbbbEUlllE0_EEPmJS9_EEE10hipError_tPvRmT3_T4_T5_T6_T7_T9_mT8_P12ihipStream_tbDpT10_ENKUlT_T0_E_clISt17integral_constantIbLb1EES1C_EEDaS17_S18_EUlS17_E_NS1_11comp_targetILNS1_3genE10ELNS1_11target_archE1200ELNS1_3gpuE4ELNS1_3repE0EEENS1_30default_config_static_selectorELNS0_4arch9wavefront6targetE1EEEvT1_, .Lfunc_end1350-_ZN7rocprim17ROCPRIM_400000_NS6detail17trampoline_kernelINS0_14default_configENS1_25partition_config_selectorILNS1_17partition_subalgoE9EllbEEZZNS1_14partition_implILS5_9ELb0ES3_jPlS8_PNS0_10empty_typeENS0_5tupleIJS8_S9_EEENSB_IJS8_SA_EEENS0_18inequality_wrapperIZN2at6native12_GLOBAL__N_124unique_dim_cuda_templateIN3c104HalfEEESt5tupleIJNSF_6TensorESM_SM_EERKSM_lbbbEUlllE0_EEPmJS9_EEE10hipError_tPvRmT3_T4_T5_T6_T7_T9_mT8_P12ihipStream_tbDpT10_ENKUlT_T0_E_clISt17integral_constantIbLb1EES1C_EEDaS17_S18_EUlS17_E_NS1_11comp_targetILNS1_3genE10ELNS1_11target_archE1200ELNS1_3gpuE4ELNS1_3repE0EEENS1_30default_config_static_selectorELNS0_4arch9wavefront6targetE1EEEvT1_
                                        ; -- End function
	.section	.AMDGPU.csdata,"",@progbits
; Kernel info:
; codeLenInByte = 0
; NumSgprs: 6
; NumVgprs: 0
; NumAgprs: 0
; TotalNumVgprs: 0
; ScratchSize: 0
; MemoryBound: 0
; FloatMode: 240
; IeeeMode: 1
; LDSByteSize: 0 bytes/workgroup (compile time only)
; SGPRBlocks: 0
; VGPRBlocks: 0
; NumSGPRsForWavesPerEU: 6
; NumVGPRsForWavesPerEU: 1
; AccumOffset: 4
; Occupancy: 8
; WaveLimiterHint : 0
; COMPUTE_PGM_RSRC2:SCRATCH_EN: 0
; COMPUTE_PGM_RSRC2:USER_SGPR: 2
; COMPUTE_PGM_RSRC2:TRAP_HANDLER: 0
; COMPUTE_PGM_RSRC2:TGID_X_EN: 1
; COMPUTE_PGM_RSRC2:TGID_Y_EN: 0
; COMPUTE_PGM_RSRC2:TGID_Z_EN: 0
; COMPUTE_PGM_RSRC2:TIDIG_COMP_CNT: 0
; COMPUTE_PGM_RSRC3_GFX90A:ACCUM_OFFSET: 0
; COMPUTE_PGM_RSRC3_GFX90A:TG_SPLIT: 0
	.section	.text._ZN7rocprim17ROCPRIM_400000_NS6detail17trampoline_kernelINS0_14default_configENS1_25partition_config_selectorILNS1_17partition_subalgoE9EllbEEZZNS1_14partition_implILS5_9ELb0ES3_jPlS8_PNS0_10empty_typeENS0_5tupleIJS8_S9_EEENSB_IJS8_SA_EEENS0_18inequality_wrapperIZN2at6native12_GLOBAL__N_124unique_dim_cuda_templateIN3c104HalfEEESt5tupleIJNSF_6TensorESM_SM_EERKSM_lbbbEUlllE0_EEPmJS9_EEE10hipError_tPvRmT3_T4_T5_T6_T7_T9_mT8_P12ihipStream_tbDpT10_ENKUlT_T0_E_clISt17integral_constantIbLb1EES1C_EEDaS17_S18_EUlS17_E_NS1_11comp_targetILNS1_3genE9ELNS1_11target_archE1100ELNS1_3gpuE3ELNS1_3repE0EEENS1_30default_config_static_selectorELNS0_4arch9wavefront6targetE1EEEvT1_,"axG",@progbits,_ZN7rocprim17ROCPRIM_400000_NS6detail17trampoline_kernelINS0_14default_configENS1_25partition_config_selectorILNS1_17partition_subalgoE9EllbEEZZNS1_14partition_implILS5_9ELb0ES3_jPlS8_PNS0_10empty_typeENS0_5tupleIJS8_S9_EEENSB_IJS8_SA_EEENS0_18inequality_wrapperIZN2at6native12_GLOBAL__N_124unique_dim_cuda_templateIN3c104HalfEEESt5tupleIJNSF_6TensorESM_SM_EERKSM_lbbbEUlllE0_EEPmJS9_EEE10hipError_tPvRmT3_T4_T5_T6_T7_T9_mT8_P12ihipStream_tbDpT10_ENKUlT_T0_E_clISt17integral_constantIbLb1EES1C_EEDaS17_S18_EUlS17_E_NS1_11comp_targetILNS1_3genE9ELNS1_11target_archE1100ELNS1_3gpuE3ELNS1_3repE0EEENS1_30default_config_static_selectorELNS0_4arch9wavefront6targetE1EEEvT1_,comdat
	.globl	_ZN7rocprim17ROCPRIM_400000_NS6detail17trampoline_kernelINS0_14default_configENS1_25partition_config_selectorILNS1_17partition_subalgoE9EllbEEZZNS1_14partition_implILS5_9ELb0ES3_jPlS8_PNS0_10empty_typeENS0_5tupleIJS8_S9_EEENSB_IJS8_SA_EEENS0_18inequality_wrapperIZN2at6native12_GLOBAL__N_124unique_dim_cuda_templateIN3c104HalfEEESt5tupleIJNSF_6TensorESM_SM_EERKSM_lbbbEUlllE0_EEPmJS9_EEE10hipError_tPvRmT3_T4_T5_T6_T7_T9_mT8_P12ihipStream_tbDpT10_ENKUlT_T0_E_clISt17integral_constantIbLb1EES1C_EEDaS17_S18_EUlS17_E_NS1_11comp_targetILNS1_3genE9ELNS1_11target_archE1100ELNS1_3gpuE3ELNS1_3repE0EEENS1_30default_config_static_selectorELNS0_4arch9wavefront6targetE1EEEvT1_ ; -- Begin function _ZN7rocprim17ROCPRIM_400000_NS6detail17trampoline_kernelINS0_14default_configENS1_25partition_config_selectorILNS1_17partition_subalgoE9EllbEEZZNS1_14partition_implILS5_9ELb0ES3_jPlS8_PNS0_10empty_typeENS0_5tupleIJS8_S9_EEENSB_IJS8_SA_EEENS0_18inequality_wrapperIZN2at6native12_GLOBAL__N_124unique_dim_cuda_templateIN3c104HalfEEESt5tupleIJNSF_6TensorESM_SM_EERKSM_lbbbEUlllE0_EEPmJS9_EEE10hipError_tPvRmT3_T4_T5_T6_T7_T9_mT8_P12ihipStream_tbDpT10_ENKUlT_T0_E_clISt17integral_constantIbLb1EES1C_EEDaS17_S18_EUlS17_E_NS1_11comp_targetILNS1_3genE9ELNS1_11target_archE1100ELNS1_3gpuE3ELNS1_3repE0EEENS1_30default_config_static_selectorELNS0_4arch9wavefront6targetE1EEEvT1_
	.p2align	8
	.type	_ZN7rocprim17ROCPRIM_400000_NS6detail17trampoline_kernelINS0_14default_configENS1_25partition_config_selectorILNS1_17partition_subalgoE9EllbEEZZNS1_14partition_implILS5_9ELb0ES3_jPlS8_PNS0_10empty_typeENS0_5tupleIJS8_S9_EEENSB_IJS8_SA_EEENS0_18inequality_wrapperIZN2at6native12_GLOBAL__N_124unique_dim_cuda_templateIN3c104HalfEEESt5tupleIJNSF_6TensorESM_SM_EERKSM_lbbbEUlllE0_EEPmJS9_EEE10hipError_tPvRmT3_T4_T5_T6_T7_T9_mT8_P12ihipStream_tbDpT10_ENKUlT_T0_E_clISt17integral_constantIbLb1EES1C_EEDaS17_S18_EUlS17_E_NS1_11comp_targetILNS1_3genE9ELNS1_11target_archE1100ELNS1_3gpuE3ELNS1_3repE0EEENS1_30default_config_static_selectorELNS0_4arch9wavefront6targetE1EEEvT1_,@function
_ZN7rocprim17ROCPRIM_400000_NS6detail17trampoline_kernelINS0_14default_configENS1_25partition_config_selectorILNS1_17partition_subalgoE9EllbEEZZNS1_14partition_implILS5_9ELb0ES3_jPlS8_PNS0_10empty_typeENS0_5tupleIJS8_S9_EEENSB_IJS8_SA_EEENS0_18inequality_wrapperIZN2at6native12_GLOBAL__N_124unique_dim_cuda_templateIN3c104HalfEEESt5tupleIJNSF_6TensorESM_SM_EERKSM_lbbbEUlllE0_EEPmJS9_EEE10hipError_tPvRmT3_T4_T5_T6_T7_T9_mT8_P12ihipStream_tbDpT10_ENKUlT_T0_E_clISt17integral_constantIbLb1EES1C_EEDaS17_S18_EUlS17_E_NS1_11comp_targetILNS1_3genE9ELNS1_11target_archE1100ELNS1_3gpuE3ELNS1_3repE0EEENS1_30default_config_static_selectorELNS0_4arch9wavefront6targetE1EEEvT1_: ; @_ZN7rocprim17ROCPRIM_400000_NS6detail17trampoline_kernelINS0_14default_configENS1_25partition_config_selectorILNS1_17partition_subalgoE9EllbEEZZNS1_14partition_implILS5_9ELb0ES3_jPlS8_PNS0_10empty_typeENS0_5tupleIJS8_S9_EEENSB_IJS8_SA_EEENS0_18inequality_wrapperIZN2at6native12_GLOBAL__N_124unique_dim_cuda_templateIN3c104HalfEEESt5tupleIJNSF_6TensorESM_SM_EERKSM_lbbbEUlllE0_EEPmJS9_EEE10hipError_tPvRmT3_T4_T5_T6_T7_T9_mT8_P12ihipStream_tbDpT10_ENKUlT_T0_E_clISt17integral_constantIbLb1EES1C_EEDaS17_S18_EUlS17_E_NS1_11comp_targetILNS1_3genE9ELNS1_11target_archE1100ELNS1_3gpuE3ELNS1_3repE0EEENS1_30default_config_static_selectorELNS0_4arch9wavefront6targetE1EEEvT1_
; %bb.0:
	.section	.rodata,"a",@progbits
	.p2align	6, 0x0
	.amdhsa_kernel _ZN7rocprim17ROCPRIM_400000_NS6detail17trampoline_kernelINS0_14default_configENS1_25partition_config_selectorILNS1_17partition_subalgoE9EllbEEZZNS1_14partition_implILS5_9ELb0ES3_jPlS8_PNS0_10empty_typeENS0_5tupleIJS8_S9_EEENSB_IJS8_SA_EEENS0_18inequality_wrapperIZN2at6native12_GLOBAL__N_124unique_dim_cuda_templateIN3c104HalfEEESt5tupleIJNSF_6TensorESM_SM_EERKSM_lbbbEUlllE0_EEPmJS9_EEE10hipError_tPvRmT3_T4_T5_T6_T7_T9_mT8_P12ihipStream_tbDpT10_ENKUlT_T0_E_clISt17integral_constantIbLb1EES1C_EEDaS17_S18_EUlS17_E_NS1_11comp_targetILNS1_3genE9ELNS1_11target_archE1100ELNS1_3gpuE3ELNS1_3repE0EEENS1_30default_config_static_selectorELNS0_4arch9wavefront6targetE1EEEvT1_
		.amdhsa_group_segment_fixed_size 0
		.amdhsa_private_segment_fixed_size 0
		.amdhsa_kernarg_size 136
		.amdhsa_user_sgpr_count 2
		.amdhsa_user_sgpr_dispatch_ptr 0
		.amdhsa_user_sgpr_queue_ptr 0
		.amdhsa_user_sgpr_kernarg_segment_ptr 1
		.amdhsa_user_sgpr_dispatch_id 0
		.amdhsa_user_sgpr_kernarg_preload_length 0
		.amdhsa_user_sgpr_kernarg_preload_offset 0
		.amdhsa_user_sgpr_private_segment_size 0
		.amdhsa_uses_dynamic_stack 0
		.amdhsa_enable_private_segment 0
		.amdhsa_system_sgpr_workgroup_id_x 1
		.amdhsa_system_sgpr_workgroup_id_y 0
		.amdhsa_system_sgpr_workgroup_id_z 0
		.amdhsa_system_sgpr_workgroup_info 0
		.amdhsa_system_vgpr_workitem_id 0
		.amdhsa_next_free_vgpr 1
		.amdhsa_next_free_sgpr 0
		.amdhsa_accum_offset 4
		.amdhsa_reserve_vcc 0
		.amdhsa_float_round_mode_32 0
		.amdhsa_float_round_mode_16_64 0
		.amdhsa_float_denorm_mode_32 3
		.amdhsa_float_denorm_mode_16_64 3
		.amdhsa_dx10_clamp 1
		.amdhsa_ieee_mode 1
		.amdhsa_fp16_overflow 0
		.amdhsa_tg_split 0
		.amdhsa_exception_fp_ieee_invalid_op 0
		.amdhsa_exception_fp_denorm_src 0
		.amdhsa_exception_fp_ieee_div_zero 0
		.amdhsa_exception_fp_ieee_overflow 0
		.amdhsa_exception_fp_ieee_underflow 0
		.amdhsa_exception_fp_ieee_inexact 0
		.amdhsa_exception_int_div_zero 0
	.end_amdhsa_kernel
	.section	.text._ZN7rocprim17ROCPRIM_400000_NS6detail17trampoline_kernelINS0_14default_configENS1_25partition_config_selectorILNS1_17partition_subalgoE9EllbEEZZNS1_14partition_implILS5_9ELb0ES3_jPlS8_PNS0_10empty_typeENS0_5tupleIJS8_S9_EEENSB_IJS8_SA_EEENS0_18inequality_wrapperIZN2at6native12_GLOBAL__N_124unique_dim_cuda_templateIN3c104HalfEEESt5tupleIJNSF_6TensorESM_SM_EERKSM_lbbbEUlllE0_EEPmJS9_EEE10hipError_tPvRmT3_T4_T5_T6_T7_T9_mT8_P12ihipStream_tbDpT10_ENKUlT_T0_E_clISt17integral_constantIbLb1EES1C_EEDaS17_S18_EUlS17_E_NS1_11comp_targetILNS1_3genE9ELNS1_11target_archE1100ELNS1_3gpuE3ELNS1_3repE0EEENS1_30default_config_static_selectorELNS0_4arch9wavefront6targetE1EEEvT1_,"axG",@progbits,_ZN7rocprim17ROCPRIM_400000_NS6detail17trampoline_kernelINS0_14default_configENS1_25partition_config_selectorILNS1_17partition_subalgoE9EllbEEZZNS1_14partition_implILS5_9ELb0ES3_jPlS8_PNS0_10empty_typeENS0_5tupleIJS8_S9_EEENSB_IJS8_SA_EEENS0_18inequality_wrapperIZN2at6native12_GLOBAL__N_124unique_dim_cuda_templateIN3c104HalfEEESt5tupleIJNSF_6TensorESM_SM_EERKSM_lbbbEUlllE0_EEPmJS9_EEE10hipError_tPvRmT3_T4_T5_T6_T7_T9_mT8_P12ihipStream_tbDpT10_ENKUlT_T0_E_clISt17integral_constantIbLb1EES1C_EEDaS17_S18_EUlS17_E_NS1_11comp_targetILNS1_3genE9ELNS1_11target_archE1100ELNS1_3gpuE3ELNS1_3repE0EEENS1_30default_config_static_selectorELNS0_4arch9wavefront6targetE1EEEvT1_,comdat
.Lfunc_end1351:
	.size	_ZN7rocprim17ROCPRIM_400000_NS6detail17trampoline_kernelINS0_14default_configENS1_25partition_config_selectorILNS1_17partition_subalgoE9EllbEEZZNS1_14partition_implILS5_9ELb0ES3_jPlS8_PNS0_10empty_typeENS0_5tupleIJS8_S9_EEENSB_IJS8_SA_EEENS0_18inequality_wrapperIZN2at6native12_GLOBAL__N_124unique_dim_cuda_templateIN3c104HalfEEESt5tupleIJNSF_6TensorESM_SM_EERKSM_lbbbEUlllE0_EEPmJS9_EEE10hipError_tPvRmT3_T4_T5_T6_T7_T9_mT8_P12ihipStream_tbDpT10_ENKUlT_T0_E_clISt17integral_constantIbLb1EES1C_EEDaS17_S18_EUlS17_E_NS1_11comp_targetILNS1_3genE9ELNS1_11target_archE1100ELNS1_3gpuE3ELNS1_3repE0EEENS1_30default_config_static_selectorELNS0_4arch9wavefront6targetE1EEEvT1_, .Lfunc_end1351-_ZN7rocprim17ROCPRIM_400000_NS6detail17trampoline_kernelINS0_14default_configENS1_25partition_config_selectorILNS1_17partition_subalgoE9EllbEEZZNS1_14partition_implILS5_9ELb0ES3_jPlS8_PNS0_10empty_typeENS0_5tupleIJS8_S9_EEENSB_IJS8_SA_EEENS0_18inequality_wrapperIZN2at6native12_GLOBAL__N_124unique_dim_cuda_templateIN3c104HalfEEESt5tupleIJNSF_6TensorESM_SM_EERKSM_lbbbEUlllE0_EEPmJS9_EEE10hipError_tPvRmT3_T4_T5_T6_T7_T9_mT8_P12ihipStream_tbDpT10_ENKUlT_T0_E_clISt17integral_constantIbLb1EES1C_EEDaS17_S18_EUlS17_E_NS1_11comp_targetILNS1_3genE9ELNS1_11target_archE1100ELNS1_3gpuE3ELNS1_3repE0EEENS1_30default_config_static_selectorELNS0_4arch9wavefront6targetE1EEEvT1_
                                        ; -- End function
	.section	.AMDGPU.csdata,"",@progbits
; Kernel info:
; codeLenInByte = 0
; NumSgprs: 6
; NumVgprs: 0
; NumAgprs: 0
; TotalNumVgprs: 0
; ScratchSize: 0
; MemoryBound: 0
; FloatMode: 240
; IeeeMode: 1
; LDSByteSize: 0 bytes/workgroup (compile time only)
; SGPRBlocks: 0
; VGPRBlocks: 0
; NumSGPRsForWavesPerEU: 6
; NumVGPRsForWavesPerEU: 1
; AccumOffset: 4
; Occupancy: 8
; WaveLimiterHint : 0
; COMPUTE_PGM_RSRC2:SCRATCH_EN: 0
; COMPUTE_PGM_RSRC2:USER_SGPR: 2
; COMPUTE_PGM_RSRC2:TRAP_HANDLER: 0
; COMPUTE_PGM_RSRC2:TGID_X_EN: 1
; COMPUTE_PGM_RSRC2:TGID_Y_EN: 0
; COMPUTE_PGM_RSRC2:TGID_Z_EN: 0
; COMPUTE_PGM_RSRC2:TIDIG_COMP_CNT: 0
; COMPUTE_PGM_RSRC3_GFX90A:ACCUM_OFFSET: 0
; COMPUTE_PGM_RSRC3_GFX90A:TG_SPLIT: 0
	.section	.text._ZN7rocprim17ROCPRIM_400000_NS6detail17trampoline_kernelINS0_14default_configENS1_25partition_config_selectorILNS1_17partition_subalgoE9EllbEEZZNS1_14partition_implILS5_9ELb0ES3_jPlS8_PNS0_10empty_typeENS0_5tupleIJS8_S9_EEENSB_IJS8_SA_EEENS0_18inequality_wrapperIZN2at6native12_GLOBAL__N_124unique_dim_cuda_templateIN3c104HalfEEESt5tupleIJNSF_6TensorESM_SM_EERKSM_lbbbEUlllE0_EEPmJS9_EEE10hipError_tPvRmT3_T4_T5_T6_T7_T9_mT8_P12ihipStream_tbDpT10_ENKUlT_T0_E_clISt17integral_constantIbLb1EES1C_EEDaS17_S18_EUlS17_E_NS1_11comp_targetILNS1_3genE8ELNS1_11target_archE1030ELNS1_3gpuE2ELNS1_3repE0EEENS1_30default_config_static_selectorELNS0_4arch9wavefront6targetE1EEEvT1_,"axG",@progbits,_ZN7rocprim17ROCPRIM_400000_NS6detail17trampoline_kernelINS0_14default_configENS1_25partition_config_selectorILNS1_17partition_subalgoE9EllbEEZZNS1_14partition_implILS5_9ELb0ES3_jPlS8_PNS0_10empty_typeENS0_5tupleIJS8_S9_EEENSB_IJS8_SA_EEENS0_18inequality_wrapperIZN2at6native12_GLOBAL__N_124unique_dim_cuda_templateIN3c104HalfEEESt5tupleIJNSF_6TensorESM_SM_EERKSM_lbbbEUlllE0_EEPmJS9_EEE10hipError_tPvRmT3_T4_T5_T6_T7_T9_mT8_P12ihipStream_tbDpT10_ENKUlT_T0_E_clISt17integral_constantIbLb1EES1C_EEDaS17_S18_EUlS17_E_NS1_11comp_targetILNS1_3genE8ELNS1_11target_archE1030ELNS1_3gpuE2ELNS1_3repE0EEENS1_30default_config_static_selectorELNS0_4arch9wavefront6targetE1EEEvT1_,comdat
	.globl	_ZN7rocprim17ROCPRIM_400000_NS6detail17trampoline_kernelINS0_14default_configENS1_25partition_config_selectorILNS1_17partition_subalgoE9EllbEEZZNS1_14partition_implILS5_9ELb0ES3_jPlS8_PNS0_10empty_typeENS0_5tupleIJS8_S9_EEENSB_IJS8_SA_EEENS0_18inequality_wrapperIZN2at6native12_GLOBAL__N_124unique_dim_cuda_templateIN3c104HalfEEESt5tupleIJNSF_6TensorESM_SM_EERKSM_lbbbEUlllE0_EEPmJS9_EEE10hipError_tPvRmT3_T4_T5_T6_T7_T9_mT8_P12ihipStream_tbDpT10_ENKUlT_T0_E_clISt17integral_constantIbLb1EES1C_EEDaS17_S18_EUlS17_E_NS1_11comp_targetILNS1_3genE8ELNS1_11target_archE1030ELNS1_3gpuE2ELNS1_3repE0EEENS1_30default_config_static_selectorELNS0_4arch9wavefront6targetE1EEEvT1_ ; -- Begin function _ZN7rocprim17ROCPRIM_400000_NS6detail17trampoline_kernelINS0_14default_configENS1_25partition_config_selectorILNS1_17partition_subalgoE9EllbEEZZNS1_14partition_implILS5_9ELb0ES3_jPlS8_PNS0_10empty_typeENS0_5tupleIJS8_S9_EEENSB_IJS8_SA_EEENS0_18inequality_wrapperIZN2at6native12_GLOBAL__N_124unique_dim_cuda_templateIN3c104HalfEEESt5tupleIJNSF_6TensorESM_SM_EERKSM_lbbbEUlllE0_EEPmJS9_EEE10hipError_tPvRmT3_T4_T5_T6_T7_T9_mT8_P12ihipStream_tbDpT10_ENKUlT_T0_E_clISt17integral_constantIbLb1EES1C_EEDaS17_S18_EUlS17_E_NS1_11comp_targetILNS1_3genE8ELNS1_11target_archE1030ELNS1_3gpuE2ELNS1_3repE0EEENS1_30default_config_static_selectorELNS0_4arch9wavefront6targetE1EEEvT1_
	.p2align	8
	.type	_ZN7rocprim17ROCPRIM_400000_NS6detail17trampoline_kernelINS0_14default_configENS1_25partition_config_selectorILNS1_17partition_subalgoE9EllbEEZZNS1_14partition_implILS5_9ELb0ES3_jPlS8_PNS0_10empty_typeENS0_5tupleIJS8_S9_EEENSB_IJS8_SA_EEENS0_18inequality_wrapperIZN2at6native12_GLOBAL__N_124unique_dim_cuda_templateIN3c104HalfEEESt5tupleIJNSF_6TensorESM_SM_EERKSM_lbbbEUlllE0_EEPmJS9_EEE10hipError_tPvRmT3_T4_T5_T6_T7_T9_mT8_P12ihipStream_tbDpT10_ENKUlT_T0_E_clISt17integral_constantIbLb1EES1C_EEDaS17_S18_EUlS17_E_NS1_11comp_targetILNS1_3genE8ELNS1_11target_archE1030ELNS1_3gpuE2ELNS1_3repE0EEENS1_30default_config_static_selectorELNS0_4arch9wavefront6targetE1EEEvT1_,@function
_ZN7rocprim17ROCPRIM_400000_NS6detail17trampoline_kernelINS0_14default_configENS1_25partition_config_selectorILNS1_17partition_subalgoE9EllbEEZZNS1_14partition_implILS5_9ELb0ES3_jPlS8_PNS0_10empty_typeENS0_5tupleIJS8_S9_EEENSB_IJS8_SA_EEENS0_18inequality_wrapperIZN2at6native12_GLOBAL__N_124unique_dim_cuda_templateIN3c104HalfEEESt5tupleIJNSF_6TensorESM_SM_EERKSM_lbbbEUlllE0_EEPmJS9_EEE10hipError_tPvRmT3_T4_T5_T6_T7_T9_mT8_P12ihipStream_tbDpT10_ENKUlT_T0_E_clISt17integral_constantIbLb1EES1C_EEDaS17_S18_EUlS17_E_NS1_11comp_targetILNS1_3genE8ELNS1_11target_archE1030ELNS1_3gpuE2ELNS1_3repE0EEENS1_30default_config_static_selectorELNS0_4arch9wavefront6targetE1EEEvT1_: ; @_ZN7rocprim17ROCPRIM_400000_NS6detail17trampoline_kernelINS0_14default_configENS1_25partition_config_selectorILNS1_17partition_subalgoE9EllbEEZZNS1_14partition_implILS5_9ELb0ES3_jPlS8_PNS0_10empty_typeENS0_5tupleIJS8_S9_EEENSB_IJS8_SA_EEENS0_18inequality_wrapperIZN2at6native12_GLOBAL__N_124unique_dim_cuda_templateIN3c104HalfEEESt5tupleIJNSF_6TensorESM_SM_EERKSM_lbbbEUlllE0_EEPmJS9_EEE10hipError_tPvRmT3_T4_T5_T6_T7_T9_mT8_P12ihipStream_tbDpT10_ENKUlT_T0_E_clISt17integral_constantIbLb1EES1C_EEDaS17_S18_EUlS17_E_NS1_11comp_targetILNS1_3genE8ELNS1_11target_archE1030ELNS1_3gpuE2ELNS1_3repE0EEENS1_30default_config_static_selectorELNS0_4arch9wavefront6targetE1EEEvT1_
; %bb.0:
	.section	.rodata,"a",@progbits
	.p2align	6, 0x0
	.amdhsa_kernel _ZN7rocprim17ROCPRIM_400000_NS6detail17trampoline_kernelINS0_14default_configENS1_25partition_config_selectorILNS1_17partition_subalgoE9EllbEEZZNS1_14partition_implILS5_9ELb0ES3_jPlS8_PNS0_10empty_typeENS0_5tupleIJS8_S9_EEENSB_IJS8_SA_EEENS0_18inequality_wrapperIZN2at6native12_GLOBAL__N_124unique_dim_cuda_templateIN3c104HalfEEESt5tupleIJNSF_6TensorESM_SM_EERKSM_lbbbEUlllE0_EEPmJS9_EEE10hipError_tPvRmT3_T4_T5_T6_T7_T9_mT8_P12ihipStream_tbDpT10_ENKUlT_T0_E_clISt17integral_constantIbLb1EES1C_EEDaS17_S18_EUlS17_E_NS1_11comp_targetILNS1_3genE8ELNS1_11target_archE1030ELNS1_3gpuE2ELNS1_3repE0EEENS1_30default_config_static_selectorELNS0_4arch9wavefront6targetE1EEEvT1_
		.amdhsa_group_segment_fixed_size 0
		.amdhsa_private_segment_fixed_size 0
		.amdhsa_kernarg_size 136
		.amdhsa_user_sgpr_count 2
		.amdhsa_user_sgpr_dispatch_ptr 0
		.amdhsa_user_sgpr_queue_ptr 0
		.amdhsa_user_sgpr_kernarg_segment_ptr 1
		.amdhsa_user_sgpr_dispatch_id 0
		.amdhsa_user_sgpr_kernarg_preload_length 0
		.amdhsa_user_sgpr_kernarg_preload_offset 0
		.amdhsa_user_sgpr_private_segment_size 0
		.amdhsa_uses_dynamic_stack 0
		.amdhsa_enable_private_segment 0
		.amdhsa_system_sgpr_workgroup_id_x 1
		.amdhsa_system_sgpr_workgroup_id_y 0
		.amdhsa_system_sgpr_workgroup_id_z 0
		.amdhsa_system_sgpr_workgroup_info 0
		.amdhsa_system_vgpr_workitem_id 0
		.amdhsa_next_free_vgpr 1
		.amdhsa_next_free_sgpr 0
		.amdhsa_accum_offset 4
		.amdhsa_reserve_vcc 0
		.amdhsa_float_round_mode_32 0
		.amdhsa_float_round_mode_16_64 0
		.amdhsa_float_denorm_mode_32 3
		.amdhsa_float_denorm_mode_16_64 3
		.amdhsa_dx10_clamp 1
		.amdhsa_ieee_mode 1
		.amdhsa_fp16_overflow 0
		.amdhsa_tg_split 0
		.amdhsa_exception_fp_ieee_invalid_op 0
		.amdhsa_exception_fp_denorm_src 0
		.amdhsa_exception_fp_ieee_div_zero 0
		.amdhsa_exception_fp_ieee_overflow 0
		.amdhsa_exception_fp_ieee_underflow 0
		.amdhsa_exception_fp_ieee_inexact 0
		.amdhsa_exception_int_div_zero 0
	.end_amdhsa_kernel
	.section	.text._ZN7rocprim17ROCPRIM_400000_NS6detail17trampoline_kernelINS0_14default_configENS1_25partition_config_selectorILNS1_17partition_subalgoE9EllbEEZZNS1_14partition_implILS5_9ELb0ES3_jPlS8_PNS0_10empty_typeENS0_5tupleIJS8_S9_EEENSB_IJS8_SA_EEENS0_18inequality_wrapperIZN2at6native12_GLOBAL__N_124unique_dim_cuda_templateIN3c104HalfEEESt5tupleIJNSF_6TensorESM_SM_EERKSM_lbbbEUlllE0_EEPmJS9_EEE10hipError_tPvRmT3_T4_T5_T6_T7_T9_mT8_P12ihipStream_tbDpT10_ENKUlT_T0_E_clISt17integral_constantIbLb1EES1C_EEDaS17_S18_EUlS17_E_NS1_11comp_targetILNS1_3genE8ELNS1_11target_archE1030ELNS1_3gpuE2ELNS1_3repE0EEENS1_30default_config_static_selectorELNS0_4arch9wavefront6targetE1EEEvT1_,"axG",@progbits,_ZN7rocprim17ROCPRIM_400000_NS6detail17trampoline_kernelINS0_14default_configENS1_25partition_config_selectorILNS1_17partition_subalgoE9EllbEEZZNS1_14partition_implILS5_9ELb0ES3_jPlS8_PNS0_10empty_typeENS0_5tupleIJS8_S9_EEENSB_IJS8_SA_EEENS0_18inequality_wrapperIZN2at6native12_GLOBAL__N_124unique_dim_cuda_templateIN3c104HalfEEESt5tupleIJNSF_6TensorESM_SM_EERKSM_lbbbEUlllE0_EEPmJS9_EEE10hipError_tPvRmT3_T4_T5_T6_T7_T9_mT8_P12ihipStream_tbDpT10_ENKUlT_T0_E_clISt17integral_constantIbLb1EES1C_EEDaS17_S18_EUlS17_E_NS1_11comp_targetILNS1_3genE8ELNS1_11target_archE1030ELNS1_3gpuE2ELNS1_3repE0EEENS1_30default_config_static_selectorELNS0_4arch9wavefront6targetE1EEEvT1_,comdat
.Lfunc_end1352:
	.size	_ZN7rocprim17ROCPRIM_400000_NS6detail17trampoline_kernelINS0_14default_configENS1_25partition_config_selectorILNS1_17partition_subalgoE9EllbEEZZNS1_14partition_implILS5_9ELb0ES3_jPlS8_PNS0_10empty_typeENS0_5tupleIJS8_S9_EEENSB_IJS8_SA_EEENS0_18inequality_wrapperIZN2at6native12_GLOBAL__N_124unique_dim_cuda_templateIN3c104HalfEEESt5tupleIJNSF_6TensorESM_SM_EERKSM_lbbbEUlllE0_EEPmJS9_EEE10hipError_tPvRmT3_T4_T5_T6_T7_T9_mT8_P12ihipStream_tbDpT10_ENKUlT_T0_E_clISt17integral_constantIbLb1EES1C_EEDaS17_S18_EUlS17_E_NS1_11comp_targetILNS1_3genE8ELNS1_11target_archE1030ELNS1_3gpuE2ELNS1_3repE0EEENS1_30default_config_static_selectorELNS0_4arch9wavefront6targetE1EEEvT1_, .Lfunc_end1352-_ZN7rocprim17ROCPRIM_400000_NS6detail17trampoline_kernelINS0_14default_configENS1_25partition_config_selectorILNS1_17partition_subalgoE9EllbEEZZNS1_14partition_implILS5_9ELb0ES3_jPlS8_PNS0_10empty_typeENS0_5tupleIJS8_S9_EEENSB_IJS8_SA_EEENS0_18inequality_wrapperIZN2at6native12_GLOBAL__N_124unique_dim_cuda_templateIN3c104HalfEEESt5tupleIJNSF_6TensorESM_SM_EERKSM_lbbbEUlllE0_EEPmJS9_EEE10hipError_tPvRmT3_T4_T5_T6_T7_T9_mT8_P12ihipStream_tbDpT10_ENKUlT_T0_E_clISt17integral_constantIbLb1EES1C_EEDaS17_S18_EUlS17_E_NS1_11comp_targetILNS1_3genE8ELNS1_11target_archE1030ELNS1_3gpuE2ELNS1_3repE0EEENS1_30default_config_static_selectorELNS0_4arch9wavefront6targetE1EEEvT1_
                                        ; -- End function
	.section	.AMDGPU.csdata,"",@progbits
; Kernel info:
; codeLenInByte = 0
; NumSgprs: 6
; NumVgprs: 0
; NumAgprs: 0
; TotalNumVgprs: 0
; ScratchSize: 0
; MemoryBound: 0
; FloatMode: 240
; IeeeMode: 1
; LDSByteSize: 0 bytes/workgroup (compile time only)
; SGPRBlocks: 0
; VGPRBlocks: 0
; NumSGPRsForWavesPerEU: 6
; NumVGPRsForWavesPerEU: 1
; AccumOffset: 4
; Occupancy: 8
; WaveLimiterHint : 0
; COMPUTE_PGM_RSRC2:SCRATCH_EN: 0
; COMPUTE_PGM_RSRC2:USER_SGPR: 2
; COMPUTE_PGM_RSRC2:TRAP_HANDLER: 0
; COMPUTE_PGM_RSRC2:TGID_X_EN: 1
; COMPUTE_PGM_RSRC2:TGID_Y_EN: 0
; COMPUTE_PGM_RSRC2:TGID_Z_EN: 0
; COMPUTE_PGM_RSRC2:TIDIG_COMP_CNT: 0
; COMPUTE_PGM_RSRC3_GFX90A:ACCUM_OFFSET: 0
; COMPUTE_PGM_RSRC3_GFX90A:TG_SPLIT: 0
	.section	.text._ZN7rocprim17ROCPRIM_400000_NS6detail17trampoline_kernelINS0_14default_configENS1_25partition_config_selectorILNS1_17partition_subalgoE9EllbEEZZNS1_14partition_implILS5_9ELb0ES3_jPlS8_PNS0_10empty_typeENS0_5tupleIJS8_S9_EEENSB_IJS8_SA_EEENS0_18inequality_wrapperIZN2at6native12_GLOBAL__N_124unique_dim_cuda_templateIN3c104HalfEEESt5tupleIJNSF_6TensorESM_SM_EERKSM_lbbbEUlllE0_EEPmJS9_EEE10hipError_tPvRmT3_T4_T5_T6_T7_T9_mT8_P12ihipStream_tbDpT10_ENKUlT_T0_E_clISt17integral_constantIbLb1EES1B_IbLb0EEEEDaS17_S18_EUlS17_E_NS1_11comp_targetILNS1_3genE0ELNS1_11target_archE4294967295ELNS1_3gpuE0ELNS1_3repE0EEENS1_30default_config_static_selectorELNS0_4arch9wavefront6targetE1EEEvT1_,"axG",@progbits,_ZN7rocprim17ROCPRIM_400000_NS6detail17trampoline_kernelINS0_14default_configENS1_25partition_config_selectorILNS1_17partition_subalgoE9EllbEEZZNS1_14partition_implILS5_9ELb0ES3_jPlS8_PNS0_10empty_typeENS0_5tupleIJS8_S9_EEENSB_IJS8_SA_EEENS0_18inequality_wrapperIZN2at6native12_GLOBAL__N_124unique_dim_cuda_templateIN3c104HalfEEESt5tupleIJNSF_6TensorESM_SM_EERKSM_lbbbEUlllE0_EEPmJS9_EEE10hipError_tPvRmT3_T4_T5_T6_T7_T9_mT8_P12ihipStream_tbDpT10_ENKUlT_T0_E_clISt17integral_constantIbLb1EES1B_IbLb0EEEEDaS17_S18_EUlS17_E_NS1_11comp_targetILNS1_3genE0ELNS1_11target_archE4294967295ELNS1_3gpuE0ELNS1_3repE0EEENS1_30default_config_static_selectorELNS0_4arch9wavefront6targetE1EEEvT1_,comdat
	.globl	_ZN7rocprim17ROCPRIM_400000_NS6detail17trampoline_kernelINS0_14default_configENS1_25partition_config_selectorILNS1_17partition_subalgoE9EllbEEZZNS1_14partition_implILS5_9ELb0ES3_jPlS8_PNS0_10empty_typeENS0_5tupleIJS8_S9_EEENSB_IJS8_SA_EEENS0_18inequality_wrapperIZN2at6native12_GLOBAL__N_124unique_dim_cuda_templateIN3c104HalfEEESt5tupleIJNSF_6TensorESM_SM_EERKSM_lbbbEUlllE0_EEPmJS9_EEE10hipError_tPvRmT3_T4_T5_T6_T7_T9_mT8_P12ihipStream_tbDpT10_ENKUlT_T0_E_clISt17integral_constantIbLb1EES1B_IbLb0EEEEDaS17_S18_EUlS17_E_NS1_11comp_targetILNS1_3genE0ELNS1_11target_archE4294967295ELNS1_3gpuE0ELNS1_3repE0EEENS1_30default_config_static_selectorELNS0_4arch9wavefront6targetE1EEEvT1_ ; -- Begin function _ZN7rocprim17ROCPRIM_400000_NS6detail17trampoline_kernelINS0_14default_configENS1_25partition_config_selectorILNS1_17partition_subalgoE9EllbEEZZNS1_14partition_implILS5_9ELb0ES3_jPlS8_PNS0_10empty_typeENS0_5tupleIJS8_S9_EEENSB_IJS8_SA_EEENS0_18inequality_wrapperIZN2at6native12_GLOBAL__N_124unique_dim_cuda_templateIN3c104HalfEEESt5tupleIJNSF_6TensorESM_SM_EERKSM_lbbbEUlllE0_EEPmJS9_EEE10hipError_tPvRmT3_T4_T5_T6_T7_T9_mT8_P12ihipStream_tbDpT10_ENKUlT_T0_E_clISt17integral_constantIbLb1EES1B_IbLb0EEEEDaS17_S18_EUlS17_E_NS1_11comp_targetILNS1_3genE0ELNS1_11target_archE4294967295ELNS1_3gpuE0ELNS1_3repE0EEENS1_30default_config_static_selectorELNS0_4arch9wavefront6targetE1EEEvT1_
	.p2align	8
	.type	_ZN7rocprim17ROCPRIM_400000_NS6detail17trampoline_kernelINS0_14default_configENS1_25partition_config_selectorILNS1_17partition_subalgoE9EllbEEZZNS1_14partition_implILS5_9ELb0ES3_jPlS8_PNS0_10empty_typeENS0_5tupleIJS8_S9_EEENSB_IJS8_SA_EEENS0_18inequality_wrapperIZN2at6native12_GLOBAL__N_124unique_dim_cuda_templateIN3c104HalfEEESt5tupleIJNSF_6TensorESM_SM_EERKSM_lbbbEUlllE0_EEPmJS9_EEE10hipError_tPvRmT3_T4_T5_T6_T7_T9_mT8_P12ihipStream_tbDpT10_ENKUlT_T0_E_clISt17integral_constantIbLb1EES1B_IbLb0EEEEDaS17_S18_EUlS17_E_NS1_11comp_targetILNS1_3genE0ELNS1_11target_archE4294967295ELNS1_3gpuE0ELNS1_3repE0EEENS1_30default_config_static_selectorELNS0_4arch9wavefront6targetE1EEEvT1_,@function
_ZN7rocprim17ROCPRIM_400000_NS6detail17trampoline_kernelINS0_14default_configENS1_25partition_config_selectorILNS1_17partition_subalgoE9EllbEEZZNS1_14partition_implILS5_9ELb0ES3_jPlS8_PNS0_10empty_typeENS0_5tupleIJS8_S9_EEENSB_IJS8_SA_EEENS0_18inequality_wrapperIZN2at6native12_GLOBAL__N_124unique_dim_cuda_templateIN3c104HalfEEESt5tupleIJNSF_6TensorESM_SM_EERKSM_lbbbEUlllE0_EEPmJS9_EEE10hipError_tPvRmT3_T4_T5_T6_T7_T9_mT8_P12ihipStream_tbDpT10_ENKUlT_T0_E_clISt17integral_constantIbLb1EES1B_IbLb0EEEEDaS17_S18_EUlS17_E_NS1_11comp_targetILNS1_3genE0ELNS1_11target_archE4294967295ELNS1_3gpuE0ELNS1_3repE0EEENS1_30default_config_static_selectorELNS0_4arch9wavefront6targetE1EEEvT1_: ; @_ZN7rocprim17ROCPRIM_400000_NS6detail17trampoline_kernelINS0_14default_configENS1_25partition_config_selectorILNS1_17partition_subalgoE9EllbEEZZNS1_14partition_implILS5_9ELb0ES3_jPlS8_PNS0_10empty_typeENS0_5tupleIJS8_S9_EEENSB_IJS8_SA_EEENS0_18inequality_wrapperIZN2at6native12_GLOBAL__N_124unique_dim_cuda_templateIN3c104HalfEEESt5tupleIJNSF_6TensorESM_SM_EERKSM_lbbbEUlllE0_EEPmJS9_EEE10hipError_tPvRmT3_T4_T5_T6_T7_T9_mT8_P12ihipStream_tbDpT10_ENKUlT_T0_E_clISt17integral_constantIbLb1EES1B_IbLb0EEEEDaS17_S18_EUlS17_E_NS1_11comp_targetILNS1_3genE0ELNS1_11target_archE4294967295ELNS1_3gpuE0ELNS1_3repE0EEENS1_30default_config_static_selectorELNS0_4arch9wavefront6targetE1EEEvT1_
; %bb.0:
	.section	.rodata,"a",@progbits
	.p2align	6, 0x0
	.amdhsa_kernel _ZN7rocprim17ROCPRIM_400000_NS6detail17trampoline_kernelINS0_14default_configENS1_25partition_config_selectorILNS1_17partition_subalgoE9EllbEEZZNS1_14partition_implILS5_9ELb0ES3_jPlS8_PNS0_10empty_typeENS0_5tupleIJS8_S9_EEENSB_IJS8_SA_EEENS0_18inequality_wrapperIZN2at6native12_GLOBAL__N_124unique_dim_cuda_templateIN3c104HalfEEESt5tupleIJNSF_6TensorESM_SM_EERKSM_lbbbEUlllE0_EEPmJS9_EEE10hipError_tPvRmT3_T4_T5_T6_T7_T9_mT8_P12ihipStream_tbDpT10_ENKUlT_T0_E_clISt17integral_constantIbLb1EES1B_IbLb0EEEEDaS17_S18_EUlS17_E_NS1_11comp_targetILNS1_3genE0ELNS1_11target_archE4294967295ELNS1_3gpuE0ELNS1_3repE0EEENS1_30default_config_static_selectorELNS0_4arch9wavefront6targetE1EEEvT1_
		.amdhsa_group_segment_fixed_size 0
		.amdhsa_private_segment_fixed_size 0
		.amdhsa_kernarg_size 120
		.amdhsa_user_sgpr_count 2
		.amdhsa_user_sgpr_dispatch_ptr 0
		.amdhsa_user_sgpr_queue_ptr 0
		.amdhsa_user_sgpr_kernarg_segment_ptr 1
		.amdhsa_user_sgpr_dispatch_id 0
		.amdhsa_user_sgpr_kernarg_preload_length 0
		.amdhsa_user_sgpr_kernarg_preload_offset 0
		.amdhsa_user_sgpr_private_segment_size 0
		.amdhsa_uses_dynamic_stack 0
		.amdhsa_enable_private_segment 0
		.amdhsa_system_sgpr_workgroup_id_x 1
		.amdhsa_system_sgpr_workgroup_id_y 0
		.amdhsa_system_sgpr_workgroup_id_z 0
		.amdhsa_system_sgpr_workgroup_info 0
		.amdhsa_system_vgpr_workitem_id 0
		.amdhsa_next_free_vgpr 1
		.amdhsa_next_free_sgpr 0
		.amdhsa_accum_offset 4
		.amdhsa_reserve_vcc 0
		.amdhsa_float_round_mode_32 0
		.amdhsa_float_round_mode_16_64 0
		.amdhsa_float_denorm_mode_32 3
		.amdhsa_float_denorm_mode_16_64 3
		.amdhsa_dx10_clamp 1
		.amdhsa_ieee_mode 1
		.amdhsa_fp16_overflow 0
		.amdhsa_tg_split 0
		.amdhsa_exception_fp_ieee_invalid_op 0
		.amdhsa_exception_fp_denorm_src 0
		.amdhsa_exception_fp_ieee_div_zero 0
		.amdhsa_exception_fp_ieee_overflow 0
		.amdhsa_exception_fp_ieee_underflow 0
		.amdhsa_exception_fp_ieee_inexact 0
		.amdhsa_exception_int_div_zero 0
	.end_amdhsa_kernel
	.section	.text._ZN7rocprim17ROCPRIM_400000_NS6detail17trampoline_kernelINS0_14default_configENS1_25partition_config_selectorILNS1_17partition_subalgoE9EllbEEZZNS1_14partition_implILS5_9ELb0ES3_jPlS8_PNS0_10empty_typeENS0_5tupleIJS8_S9_EEENSB_IJS8_SA_EEENS0_18inequality_wrapperIZN2at6native12_GLOBAL__N_124unique_dim_cuda_templateIN3c104HalfEEESt5tupleIJNSF_6TensorESM_SM_EERKSM_lbbbEUlllE0_EEPmJS9_EEE10hipError_tPvRmT3_T4_T5_T6_T7_T9_mT8_P12ihipStream_tbDpT10_ENKUlT_T0_E_clISt17integral_constantIbLb1EES1B_IbLb0EEEEDaS17_S18_EUlS17_E_NS1_11comp_targetILNS1_3genE0ELNS1_11target_archE4294967295ELNS1_3gpuE0ELNS1_3repE0EEENS1_30default_config_static_selectorELNS0_4arch9wavefront6targetE1EEEvT1_,"axG",@progbits,_ZN7rocprim17ROCPRIM_400000_NS6detail17trampoline_kernelINS0_14default_configENS1_25partition_config_selectorILNS1_17partition_subalgoE9EllbEEZZNS1_14partition_implILS5_9ELb0ES3_jPlS8_PNS0_10empty_typeENS0_5tupleIJS8_S9_EEENSB_IJS8_SA_EEENS0_18inequality_wrapperIZN2at6native12_GLOBAL__N_124unique_dim_cuda_templateIN3c104HalfEEESt5tupleIJNSF_6TensorESM_SM_EERKSM_lbbbEUlllE0_EEPmJS9_EEE10hipError_tPvRmT3_T4_T5_T6_T7_T9_mT8_P12ihipStream_tbDpT10_ENKUlT_T0_E_clISt17integral_constantIbLb1EES1B_IbLb0EEEEDaS17_S18_EUlS17_E_NS1_11comp_targetILNS1_3genE0ELNS1_11target_archE4294967295ELNS1_3gpuE0ELNS1_3repE0EEENS1_30default_config_static_selectorELNS0_4arch9wavefront6targetE1EEEvT1_,comdat
.Lfunc_end1353:
	.size	_ZN7rocprim17ROCPRIM_400000_NS6detail17trampoline_kernelINS0_14default_configENS1_25partition_config_selectorILNS1_17partition_subalgoE9EllbEEZZNS1_14partition_implILS5_9ELb0ES3_jPlS8_PNS0_10empty_typeENS0_5tupleIJS8_S9_EEENSB_IJS8_SA_EEENS0_18inequality_wrapperIZN2at6native12_GLOBAL__N_124unique_dim_cuda_templateIN3c104HalfEEESt5tupleIJNSF_6TensorESM_SM_EERKSM_lbbbEUlllE0_EEPmJS9_EEE10hipError_tPvRmT3_T4_T5_T6_T7_T9_mT8_P12ihipStream_tbDpT10_ENKUlT_T0_E_clISt17integral_constantIbLb1EES1B_IbLb0EEEEDaS17_S18_EUlS17_E_NS1_11comp_targetILNS1_3genE0ELNS1_11target_archE4294967295ELNS1_3gpuE0ELNS1_3repE0EEENS1_30default_config_static_selectorELNS0_4arch9wavefront6targetE1EEEvT1_, .Lfunc_end1353-_ZN7rocprim17ROCPRIM_400000_NS6detail17trampoline_kernelINS0_14default_configENS1_25partition_config_selectorILNS1_17partition_subalgoE9EllbEEZZNS1_14partition_implILS5_9ELb0ES3_jPlS8_PNS0_10empty_typeENS0_5tupleIJS8_S9_EEENSB_IJS8_SA_EEENS0_18inequality_wrapperIZN2at6native12_GLOBAL__N_124unique_dim_cuda_templateIN3c104HalfEEESt5tupleIJNSF_6TensorESM_SM_EERKSM_lbbbEUlllE0_EEPmJS9_EEE10hipError_tPvRmT3_T4_T5_T6_T7_T9_mT8_P12ihipStream_tbDpT10_ENKUlT_T0_E_clISt17integral_constantIbLb1EES1B_IbLb0EEEEDaS17_S18_EUlS17_E_NS1_11comp_targetILNS1_3genE0ELNS1_11target_archE4294967295ELNS1_3gpuE0ELNS1_3repE0EEENS1_30default_config_static_selectorELNS0_4arch9wavefront6targetE1EEEvT1_
                                        ; -- End function
	.section	.AMDGPU.csdata,"",@progbits
; Kernel info:
; codeLenInByte = 0
; NumSgprs: 6
; NumVgprs: 0
; NumAgprs: 0
; TotalNumVgprs: 0
; ScratchSize: 0
; MemoryBound: 0
; FloatMode: 240
; IeeeMode: 1
; LDSByteSize: 0 bytes/workgroup (compile time only)
; SGPRBlocks: 0
; VGPRBlocks: 0
; NumSGPRsForWavesPerEU: 6
; NumVGPRsForWavesPerEU: 1
; AccumOffset: 4
; Occupancy: 8
; WaveLimiterHint : 0
; COMPUTE_PGM_RSRC2:SCRATCH_EN: 0
; COMPUTE_PGM_RSRC2:USER_SGPR: 2
; COMPUTE_PGM_RSRC2:TRAP_HANDLER: 0
; COMPUTE_PGM_RSRC2:TGID_X_EN: 1
; COMPUTE_PGM_RSRC2:TGID_Y_EN: 0
; COMPUTE_PGM_RSRC2:TGID_Z_EN: 0
; COMPUTE_PGM_RSRC2:TIDIG_COMP_CNT: 0
; COMPUTE_PGM_RSRC3_GFX90A:ACCUM_OFFSET: 0
; COMPUTE_PGM_RSRC3_GFX90A:TG_SPLIT: 0
	.section	.text._ZN7rocprim17ROCPRIM_400000_NS6detail17trampoline_kernelINS0_14default_configENS1_25partition_config_selectorILNS1_17partition_subalgoE9EllbEEZZNS1_14partition_implILS5_9ELb0ES3_jPlS8_PNS0_10empty_typeENS0_5tupleIJS8_S9_EEENSB_IJS8_SA_EEENS0_18inequality_wrapperIZN2at6native12_GLOBAL__N_124unique_dim_cuda_templateIN3c104HalfEEESt5tupleIJNSF_6TensorESM_SM_EERKSM_lbbbEUlllE0_EEPmJS9_EEE10hipError_tPvRmT3_T4_T5_T6_T7_T9_mT8_P12ihipStream_tbDpT10_ENKUlT_T0_E_clISt17integral_constantIbLb1EES1B_IbLb0EEEEDaS17_S18_EUlS17_E_NS1_11comp_targetILNS1_3genE5ELNS1_11target_archE942ELNS1_3gpuE9ELNS1_3repE0EEENS1_30default_config_static_selectorELNS0_4arch9wavefront6targetE1EEEvT1_,"axG",@progbits,_ZN7rocprim17ROCPRIM_400000_NS6detail17trampoline_kernelINS0_14default_configENS1_25partition_config_selectorILNS1_17partition_subalgoE9EllbEEZZNS1_14partition_implILS5_9ELb0ES3_jPlS8_PNS0_10empty_typeENS0_5tupleIJS8_S9_EEENSB_IJS8_SA_EEENS0_18inequality_wrapperIZN2at6native12_GLOBAL__N_124unique_dim_cuda_templateIN3c104HalfEEESt5tupleIJNSF_6TensorESM_SM_EERKSM_lbbbEUlllE0_EEPmJS9_EEE10hipError_tPvRmT3_T4_T5_T6_T7_T9_mT8_P12ihipStream_tbDpT10_ENKUlT_T0_E_clISt17integral_constantIbLb1EES1B_IbLb0EEEEDaS17_S18_EUlS17_E_NS1_11comp_targetILNS1_3genE5ELNS1_11target_archE942ELNS1_3gpuE9ELNS1_3repE0EEENS1_30default_config_static_selectorELNS0_4arch9wavefront6targetE1EEEvT1_,comdat
	.globl	_ZN7rocprim17ROCPRIM_400000_NS6detail17trampoline_kernelINS0_14default_configENS1_25partition_config_selectorILNS1_17partition_subalgoE9EllbEEZZNS1_14partition_implILS5_9ELb0ES3_jPlS8_PNS0_10empty_typeENS0_5tupleIJS8_S9_EEENSB_IJS8_SA_EEENS0_18inequality_wrapperIZN2at6native12_GLOBAL__N_124unique_dim_cuda_templateIN3c104HalfEEESt5tupleIJNSF_6TensorESM_SM_EERKSM_lbbbEUlllE0_EEPmJS9_EEE10hipError_tPvRmT3_T4_T5_T6_T7_T9_mT8_P12ihipStream_tbDpT10_ENKUlT_T0_E_clISt17integral_constantIbLb1EES1B_IbLb0EEEEDaS17_S18_EUlS17_E_NS1_11comp_targetILNS1_3genE5ELNS1_11target_archE942ELNS1_3gpuE9ELNS1_3repE0EEENS1_30default_config_static_selectorELNS0_4arch9wavefront6targetE1EEEvT1_ ; -- Begin function _ZN7rocprim17ROCPRIM_400000_NS6detail17trampoline_kernelINS0_14default_configENS1_25partition_config_selectorILNS1_17partition_subalgoE9EllbEEZZNS1_14partition_implILS5_9ELb0ES3_jPlS8_PNS0_10empty_typeENS0_5tupleIJS8_S9_EEENSB_IJS8_SA_EEENS0_18inequality_wrapperIZN2at6native12_GLOBAL__N_124unique_dim_cuda_templateIN3c104HalfEEESt5tupleIJNSF_6TensorESM_SM_EERKSM_lbbbEUlllE0_EEPmJS9_EEE10hipError_tPvRmT3_T4_T5_T6_T7_T9_mT8_P12ihipStream_tbDpT10_ENKUlT_T0_E_clISt17integral_constantIbLb1EES1B_IbLb0EEEEDaS17_S18_EUlS17_E_NS1_11comp_targetILNS1_3genE5ELNS1_11target_archE942ELNS1_3gpuE9ELNS1_3repE0EEENS1_30default_config_static_selectorELNS0_4arch9wavefront6targetE1EEEvT1_
	.p2align	8
	.type	_ZN7rocprim17ROCPRIM_400000_NS6detail17trampoline_kernelINS0_14default_configENS1_25partition_config_selectorILNS1_17partition_subalgoE9EllbEEZZNS1_14partition_implILS5_9ELb0ES3_jPlS8_PNS0_10empty_typeENS0_5tupleIJS8_S9_EEENSB_IJS8_SA_EEENS0_18inequality_wrapperIZN2at6native12_GLOBAL__N_124unique_dim_cuda_templateIN3c104HalfEEESt5tupleIJNSF_6TensorESM_SM_EERKSM_lbbbEUlllE0_EEPmJS9_EEE10hipError_tPvRmT3_T4_T5_T6_T7_T9_mT8_P12ihipStream_tbDpT10_ENKUlT_T0_E_clISt17integral_constantIbLb1EES1B_IbLb0EEEEDaS17_S18_EUlS17_E_NS1_11comp_targetILNS1_3genE5ELNS1_11target_archE942ELNS1_3gpuE9ELNS1_3repE0EEENS1_30default_config_static_selectorELNS0_4arch9wavefront6targetE1EEEvT1_,@function
_ZN7rocprim17ROCPRIM_400000_NS6detail17trampoline_kernelINS0_14default_configENS1_25partition_config_selectorILNS1_17partition_subalgoE9EllbEEZZNS1_14partition_implILS5_9ELb0ES3_jPlS8_PNS0_10empty_typeENS0_5tupleIJS8_S9_EEENSB_IJS8_SA_EEENS0_18inequality_wrapperIZN2at6native12_GLOBAL__N_124unique_dim_cuda_templateIN3c104HalfEEESt5tupleIJNSF_6TensorESM_SM_EERKSM_lbbbEUlllE0_EEPmJS9_EEE10hipError_tPvRmT3_T4_T5_T6_T7_T9_mT8_P12ihipStream_tbDpT10_ENKUlT_T0_E_clISt17integral_constantIbLb1EES1B_IbLb0EEEEDaS17_S18_EUlS17_E_NS1_11comp_targetILNS1_3genE5ELNS1_11target_archE942ELNS1_3gpuE9ELNS1_3repE0EEENS1_30default_config_static_selectorELNS0_4arch9wavefront6targetE1EEEvT1_: ; @_ZN7rocprim17ROCPRIM_400000_NS6detail17trampoline_kernelINS0_14default_configENS1_25partition_config_selectorILNS1_17partition_subalgoE9EllbEEZZNS1_14partition_implILS5_9ELb0ES3_jPlS8_PNS0_10empty_typeENS0_5tupleIJS8_S9_EEENSB_IJS8_SA_EEENS0_18inequality_wrapperIZN2at6native12_GLOBAL__N_124unique_dim_cuda_templateIN3c104HalfEEESt5tupleIJNSF_6TensorESM_SM_EERKSM_lbbbEUlllE0_EEPmJS9_EEE10hipError_tPvRmT3_T4_T5_T6_T7_T9_mT8_P12ihipStream_tbDpT10_ENKUlT_T0_E_clISt17integral_constantIbLb1EES1B_IbLb0EEEEDaS17_S18_EUlS17_E_NS1_11comp_targetILNS1_3genE5ELNS1_11target_archE942ELNS1_3gpuE9ELNS1_3repE0EEENS1_30default_config_static_selectorELNS0_4arch9wavefront6targetE1EEEvT1_
; %bb.0:
	s_load_dwordx8 s[20:27], s[0:1], 0x40
	s_load_dwordx4 s[4:7], s[0:1], 0x8
	s_load_dwordx2 s[10:11], s[0:1], 0x18
	s_load_dword s3, s[0:1], 0x70
	s_mul_i32 s12, s2, 0xe00
	s_waitcnt lgkmcnt(0)
	v_mov_b32_e32 v2, s24
	s_lshl_b64 s[14:15], s[6:7], 3
	s_add_u32 s18, s4, s14
	s_mul_i32 s4, s3, 0xe00
	s_addc_u32 s19, s5, s15
	s_add_i32 s8, s3, -1
	s_add_i32 s3, s4, s6
	s_sub_i32 s3, s24, s3
	s_addk_i32 s3, 0xe00
	s_add_u32 s4, s6, s4
	s_addc_u32 s5, s7, 0
	v_mov_b32_e32 v3, s25
	s_cmp_eq_u32 s2, s8
	s_load_dwordx2 s[22:23], s[22:23], 0x0
	v_cmp_ge_u64_e32 vcc, s[4:5], v[2:3]
	s_cselect_b64 s[24:25], -1, 0
	s_mov_b32 s13, 0
	s_and_b64 s[8:9], s[24:25], vcc
	s_xor_b64 s[34:35], s[8:9], -1
	s_lshl_b64 s[16:17], s[12:13], 3
	s_add_u32 s12, s18, s16
	s_mov_b64 s[4:5], -1
	s_addc_u32 s13, s19, s17
	s_and_b64 vcc, exec, s[34:35]
	s_cbranch_vccz .LBB1354_2
; %bb.1:
	v_lshlrev_b32_e32 v2, 3, v0
	v_mov_b32_e32 v3, 0
	v_lshl_add_u64 v[4:5], s[12:13], 0, v[2:3]
	v_add_co_u32_e32 v8, vcc, 0x1000, v4
	global_load_dwordx2 v[6:7], v2, s[12:13]
	s_nop 0
	v_addc_co_u32_e32 v9, vcc, 0, v5, vcc
	v_add_co_u32_e32 v10, vcc, 0x2000, v4
	s_mov_b64 s[4:5], 0
	s_nop 0
	v_addc_co_u32_e32 v11, vcc, 0, v5, vcc
	v_add_co_u32_e32 v12, vcc, 0x3000, v4
	s_nop 1
	v_addc_co_u32_e32 v13, vcc, 0, v5, vcc
	v_add_co_u32_e32 v14, vcc, 0x4000, v4
	s_nop 1
	v_addc_co_u32_e32 v15, vcc, 0, v5, vcc
	global_load_dwordx2 v[16:17], v[8:9], off
	global_load_dwordx2 v[18:19], v[10:11], off
	;; [unrolled: 1-line block ×4, first 2 shown]
	v_add_co_u32_e32 v8, vcc, 0x5000, v4
	s_nop 1
	v_addc_co_u32_e32 v9, vcc, 0, v5, vcc
	v_add_co_u32_e32 v4, vcc, 0x6000, v4
	global_load_dwordx2 v[8:9], v[8:9], off
	s_nop 0
	v_addc_co_u32_e32 v5, vcc, 0, v5, vcc
	global_load_dwordx2 v[4:5], v[4:5], off
	s_waitcnt vmcnt(5)
	ds_write2st64_b64 v2, v[6:7], v[16:17] offset1:8
	s_waitcnt vmcnt(3)
	ds_write2st64_b64 v2, v[18:19], v[20:21] offset0:16 offset1:24
	s_waitcnt vmcnt(1)
	ds_write2st64_b64 v2, v[22:23], v[8:9] offset0:32 offset1:40
	s_waitcnt vmcnt(0)
	ds_write_b64 v2, v[4:5] offset:24576
	s_waitcnt lgkmcnt(0)
	s_barrier
.LBB1354_2:
	s_load_dwordx4 s[28:31], s[0:1], 0x60
	s_andn2_b64 vcc, exec, s[4:5]
	v_cmp_gt_u32_e64 s[4:5], s3, v0
	s_cbranch_vccnz .LBB1354_18
; %bb.3:
                                        ; implicit-def: $vgpr2_vgpr3_vgpr4_vgpr5_vgpr6_vgpr7_vgpr8_vgpr9_vgpr10_vgpr11_vgpr12_vgpr13_vgpr14_vgpr15_vgpr16_vgpr17
	s_and_saveexec_b64 s[18:19], s[4:5]
	s_cbranch_execz .LBB1354_5
; %bb.4:
	v_lshlrev_b32_e32 v1, 3, v0
	global_load_dwordx2 v[2:3], v1, s[12:13]
.LBB1354_5:
	s_or_b64 exec, exec, s[18:19]
	v_or_b32_e32 v1, 0x200, v0
	v_cmp_gt_u32_e32 vcc, s3, v1
	s_and_saveexec_b64 s[4:5], vcc
	s_cbranch_execz .LBB1354_7
; %bb.6:
	v_lshlrev_b32_e32 v1, 3, v1
	global_load_dwordx2 v[4:5], v1, s[12:13]
.LBB1354_7:
	s_or_b64 exec, exec, s[4:5]
	v_or_b32_e32 v1, 0x400, v0
	v_cmp_gt_u32_e32 vcc, s3, v1
	s_and_saveexec_b64 s[4:5], vcc
	;; [unrolled: 9-line block ×6, first 2 shown]
	s_cbranch_execz .LBB1354_17
; %bb.16:
	v_lshlrev_b32_e32 v1, 3, v1
	global_load_dwordx2 v[14:15], v1, s[12:13]
.LBB1354_17:
	s_or_b64 exec, exec, s[4:5]
	v_lshlrev_b32_e32 v1, 3, v0
	s_waitcnt vmcnt(0)
	ds_write2st64_b64 v1, v[2:3], v[4:5] offset1:8
	ds_write2st64_b64 v1, v[6:7], v[8:9] offset0:16 offset1:24
	ds_write2st64_b64 v1, v[10:11], v[12:13] offset0:32 offset1:40
	ds_write_b64 v1, v[14:15] offset:24576
	s_waitcnt lgkmcnt(0)
	s_barrier
.LBB1354_18:
	v_mul_u32_u24_e32 v1, 7, v0
	v_lshlrev_b32_e32 v44, 3, v1
	s_waitcnt lgkmcnt(0)
	ds_read2_b64 v[22:25], v44 offset1:1
	ds_read2_b64 v[18:21], v44 offset0:2 offset1:3
	ds_read2_b64 v[14:17], v44 offset0:4 offset1:5
	ds_read_b64 v[28:29], v44 offset:48
	s_add_u32 s4, s10, s14
	s_addc_u32 s5, s11, s15
	s_add_u32 s4, s4, s16
	s_addc_u32 s5, s5, s17
	s_mov_b64 s[10:11], -1
	s_and_b64 vcc, exec, s[34:35]
	s_waitcnt lgkmcnt(0)
	s_barrier
	s_cbranch_vccz .LBB1354_20
; %bb.19:
	v_lshlrev_b32_e32 v2, 3, v0
	v_mov_b32_e32 v3, 0
	v_lshl_add_u64 v[4:5], s[4:5], 0, v[2:3]
	v_add_co_u32_e32 v8, vcc, 0x1000, v4
	global_load_dwordx2 v[6:7], v2, s[4:5]
	s_nop 0
	v_addc_co_u32_e32 v9, vcc, 0, v5, vcc
	v_add_co_u32_e32 v10, vcc, 0x2000, v4
	s_mov_b64 s[10:11], 0
	s_nop 0
	v_addc_co_u32_e32 v11, vcc, 0, v5, vcc
	v_add_co_u32_e32 v12, vcc, 0x3000, v4
	s_nop 1
	v_addc_co_u32_e32 v13, vcc, 0, v5, vcc
	v_add_co_u32_e32 v26, vcc, 0x4000, v4
	s_nop 1
	v_addc_co_u32_e32 v27, vcc, 0, v5, vcc
	global_load_dwordx2 v[30:31], v[8:9], off
	global_load_dwordx2 v[32:33], v[10:11], off
	;; [unrolled: 1-line block ×4, first 2 shown]
	v_add_co_u32_e32 v8, vcc, 0x5000, v4
	s_nop 1
	v_addc_co_u32_e32 v9, vcc, 0, v5, vcc
	v_add_co_u32_e32 v4, vcc, 0x6000, v4
	global_load_dwordx2 v[8:9], v[8:9], off
	s_nop 0
	v_addc_co_u32_e32 v5, vcc, 0, v5, vcc
	global_load_dwordx2 v[4:5], v[4:5], off
	s_waitcnt vmcnt(5)
	ds_write2st64_b64 v2, v[6:7], v[30:31] offset1:8
	s_waitcnt vmcnt(3)
	ds_write2st64_b64 v2, v[32:33], v[34:35] offset0:16 offset1:24
	s_waitcnt vmcnt(1)
	ds_write2st64_b64 v2, v[36:37], v[8:9] offset0:32 offset1:40
	s_waitcnt vmcnt(0)
	ds_write_b64 v2, v[4:5] offset:24576
	s_waitcnt lgkmcnt(0)
	s_barrier
.LBB1354_20:
	s_andn2_b64 vcc, exec, s[10:11]
	s_cbranch_vccnz .LBB1354_36
; %bb.21:
	v_cmp_gt_u32_e32 vcc, s3, v0
                                        ; implicit-def: $vgpr2_vgpr3
	s_and_saveexec_b64 s[10:11], vcc
	s_cbranch_execz .LBB1354_23
; %bb.22:
	v_lshlrev_b32_e32 v2, 3, v0
	global_load_dwordx2 v[2:3], v2, s[4:5]
.LBB1354_23:
	s_or_b64 exec, exec, s[10:11]
	v_or_b32_e32 v6, 0x200, v0
	v_cmp_gt_u32_e32 vcc, s3, v6
                                        ; implicit-def: $vgpr4_vgpr5
	s_and_saveexec_b64 s[10:11], vcc
	s_cbranch_execz .LBB1354_25
; %bb.24:
	v_lshlrev_b32_e32 v4, 3, v6
	global_load_dwordx2 v[4:5], v4, s[4:5]
.LBB1354_25:
	s_or_b64 exec, exec, s[10:11]
	v_or_b32_e32 v8, 0x400, v0
	v_cmp_gt_u32_e32 vcc, s3, v8
                                        ; implicit-def: $vgpr6_vgpr7
	s_and_saveexec_b64 s[10:11], vcc
	s_cbranch_execz .LBB1354_27
; %bb.26:
	v_lshlrev_b32_e32 v6, 3, v8
	global_load_dwordx2 v[6:7], v6, s[4:5]
.LBB1354_27:
	s_or_b64 exec, exec, s[10:11]
	v_or_b32_e32 v10, 0x600, v0
	v_cmp_gt_u32_e32 vcc, s3, v10
                                        ; implicit-def: $vgpr8_vgpr9
	s_and_saveexec_b64 s[10:11], vcc
	s_cbranch_execz .LBB1354_29
; %bb.28:
	v_lshlrev_b32_e32 v8, 3, v10
	global_load_dwordx2 v[8:9], v8, s[4:5]
.LBB1354_29:
	s_or_b64 exec, exec, s[10:11]
	v_or_b32_e32 v12, 0x800, v0
	v_cmp_gt_u32_e32 vcc, s3, v12
                                        ; implicit-def: $vgpr10_vgpr11
	s_and_saveexec_b64 s[10:11], vcc
	s_cbranch_execz .LBB1354_31
; %bb.30:
	v_lshlrev_b32_e32 v10, 3, v12
	global_load_dwordx2 v[10:11], v10, s[4:5]
.LBB1354_31:
	s_or_b64 exec, exec, s[10:11]
	v_or_b32_e32 v26, 0xa00, v0
	v_cmp_gt_u32_e32 vcc, s3, v26
                                        ; implicit-def: $vgpr12_vgpr13
	s_and_saveexec_b64 s[10:11], vcc
	s_cbranch_execz .LBB1354_33
; %bb.32:
	v_lshlrev_b32_e32 v12, 3, v26
	global_load_dwordx2 v[12:13], v12, s[4:5]
.LBB1354_33:
	s_or_b64 exec, exec, s[10:11]
	v_or_b32_e32 v30, 0xc00, v0
	v_cmp_gt_u32_e32 vcc, s3, v30
                                        ; implicit-def: $vgpr26_vgpr27
	s_and_saveexec_b64 s[10:11], vcc
	s_cbranch_execz .LBB1354_35
; %bb.34:
	v_lshlrev_b32_e32 v26, 3, v30
	global_load_dwordx2 v[26:27], v26, s[4:5]
.LBB1354_35:
	s_or_b64 exec, exec, s[10:11]
	s_movk_i32 s4, 0xffd0
	v_mad_i32_i24 v30, v0, s4, v44
	s_waitcnt vmcnt(0)
	ds_write2st64_b64 v30, v[2:3], v[4:5] offset1:8
	ds_write2st64_b64 v30, v[6:7], v[8:9] offset0:16 offset1:24
	ds_write2st64_b64 v30, v[10:11], v[12:13] offset0:32 offset1:40
	ds_write_b64 v30, v[26:27] offset:24576
	s_waitcnt lgkmcnt(0)
	s_barrier
.LBB1354_36:
	ds_read2_b64 v[10:13], v44 offset1:1
	ds_read2_b64 v[6:9], v44 offset0:2 offset1:3
	ds_read2_b64 v[2:5], v44 offset0:4 offset1:5
	ds_read_b64 v[26:27], v44 offset:48
	s_cmp_lg_u32 s2, 0
	s_cselect_b64 s[16:17], -1, 0
	s_cmp_lg_u64 s[6:7], 0
	s_cselect_b64 s[4:5], -1, 0
	s_or_b64 s[4:5], s[16:17], s[4:5]
	v_add_u32_e32 v41, 1, v1
	v_add_u32_e32 v38, 2, v1
	;; [unrolled: 1-line block ×6, first 2 shown]
	s_mov_b64 s[10:11], 0
	s_and_b64 vcc, exec, s[4:5]
	v_cmp_gt_i64_e64 s[4:5], s[26:27], 0
	s_waitcnt lgkmcnt(0)
	s_barrier
	s_cbranch_vccz .LBB1354_45
; %bb.37:
	s_add_u32 s6, s12, -8
	s_addc_u32 s7, s13, -1
	s_load_dwordx2 s[6:7], s[6:7], 0x0
	v_cndmask_b32_e64 v30, 0, 1, s[4:5]
	v_lshlrev_b32_e32 v45, 3, v0
	s_and_b64 vcc, exec, s[34:35]
	v_cmp_ne_u32_e64 s[4:5], 1, v30
	ds_write_b64 v45, v[28:29]
	s_cbranch_vccz .LBB1354_47
; %bb.38:
	v_mul_lo_u32 v32, v17, s26
	v_mul_lo_u32 v33, v16, s27
	v_mad_u64_u32 v[30:31], s[12:13], v16, s26, 0
	v_add3_u32 v31, v31, v33, v32
	s_and_b64 vcc, exec, s[4:5]
	v_lshl_add_u64 v[30:31], v[30:31], 1, s[28:29]
	s_cbranch_vccnz .LBB1354_50
; %bb.39:
	v_mul_lo_u32 v34, v29, s26
	v_mul_lo_u32 v35, v28, s27
	v_mad_u64_u32 v[32:33], s[10:11], v28, s26, 0
	v_add3_u32 v33, v33, v35, v34
	v_lshl_add_u64 v[32:33], v[32:33], 1, s[28:29]
	global_load_ushort v34, v[30:31], off
	global_load_ushort v35, v[32:33], off
	s_mov_b64 s[10:11], -1
	s_waitcnt vmcnt(0)
	v_cmp_eq_f16_e32 vcc, v34, v35
	s_and_saveexec_b64 s[12:13], vcc
	s_cbranch_execz .LBB1354_49
; %bb.40:
	s_add_u32 s10, s26, -1
	v_lshl_add_u64 v[32:33], v[32:33], 0, 2
	v_lshl_add_u64 v[34:35], v[30:31], 0, 2
	s_addc_u32 s11, s27, -1
	s_mov_b64 s[14:15], 0
	s_mov_b64 s[36:37], 0
                                        ; implicit-def: $sgpr18_sgpr19
	s_branch .LBB1354_43
.LBB1354_41:                            ;   in Loop: Header=BB1354_43 Depth=1
	global_load_ushort v36, v[34:35], off
	global_load_ushort v37, v[32:33], off
	s_add_u32 s36, s36, 1
	s_addc_u32 s37, s37, 0
	s_andn2_b64 s[18:19], s[18:19], exec
	v_lshl_add_u64 v[32:33], v[32:33], 0, 2
	v_lshl_add_u64 v[34:35], v[34:35], 0, 2
	s_waitcnt vmcnt(0)
	v_cmp_neq_f16_e32 vcc, v36, v37
	s_and_b64 s[38:39], vcc, exec
	s_or_b64 s[18:19], s[18:19], s[38:39]
.LBB1354_42:                            ;   in Loop: Header=BB1354_43 Depth=1
	s_and_b64 s[38:39], exec, s[18:19]
	s_or_b64 s[14:15], s[38:39], s[14:15]
	v_mov_b64_e32 v[36:37], s[36:37]
	s_andn2_b64 exec, exec, s[14:15]
	s_cbranch_execz .LBB1354_48
.LBB1354_43:                            ; =>This Inner Loop Header: Depth=1
	s_or_b64 s[18:19], s[18:19], exec
	s_cmp_eq_u64 s[10:11], s[36:37]
	s_cbranch_scc0 .LBB1354_41
; %bb.44:                               ;   in Loop: Header=BB1354_43 Depth=1
                                        ; implicit-def: $vgpr32_vgpr33
                                        ; implicit-def: $vgpr34_vgpr35
	s_mov_b64 s[36:37], s[26:27]
	s_branch .LBB1354_42
.LBB1354_45:
                                        ; implicit-def: $sgpr18_sgpr19
                                        ; implicit-def: $vgpr48
                                        ; implicit-def: $vgpr47
                                        ; implicit-def: $vgpr46
                                        ; implicit-def: $vgpr34
	s_branch .LBB1354_188
.LBB1354_46:
                                        ; implicit-def: $vgpr30_vgpr31
	s_branch .LBB1354_336
.LBB1354_47:
                                        ; implicit-def: $sgpr18_sgpr19
                                        ; implicit-def: $vgpr48
                                        ; implicit-def: $vgpr47
                                        ; implicit-def: $vgpr46
                                        ; implicit-def: $vgpr34
	s_cbranch_execnz .LBB1354_107
	s_branch .LBB1354_187
.LBB1354_48:
	s_or_b64 exec, exec, s[14:15]
	v_cmp_gt_i64_e32 vcc, s[26:27], v[36:37]
	s_orn2_b64 s[10:11], vcc, exec
.LBB1354_49:
	s_or_b64 exec, exec, s[12:13]
.LBB1354_50:
	v_mul_lo_u32 v34, v15, s26
	v_mul_lo_u32 v35, v14, s27
	v_mad_u64_u32 v[32:33], s[12:13], v14, s26, 0
	v_add3_u32 v33, v33, v35, v34
	s_mov_b64 s[12:13], 0
	s_and_b64 vcc, exec, s[4:5]
	v_lshl_add_u64 v[32:33], v[32:33], 1, s[28:29]
	s_mov_b64 s[14:15], 0
	s_cbranch_vccnz .LBB1354_59
; %bb.51:
	global_load_ushort v34, v[32:33], off
	global_load_ushort v35, v[30:31], off
	s_mov_b64 s[14:15], -1
	s_waitcnt vmcnt(0)
	v_cmp_eq_f16_e32 vcc, v34, v35
	s_and_saveexec_b64 s[18:19], vcc
	s_cbranch_execz .LBB1354_58
; %bb.52:
	s_add_u32 s14, s26, -1
	v_lshl_add_u64 v[30:31], v[30:31], 0, 2
	v_lshl_add_u64 v[34:35], v[32:33], 0, 2
	s_addc_u32 s15, s27, -1
	s_mov_b64 s[36:37], 0
	s_mov_b64 s[40:41], 0
                                        ; implicit-def: $sgpr38_sgpr39
	s_branch .LBB1354_55
.LBB1354_53:                            ;   in Loop: Header=BB1354_55 Depth=1
	global_load_ushort v36, v[34:35], off
	global_load_ushort v37, v[30:31], off
	s_add_u32 s40, s40, 1
	s_addc_u32 s41, s41, 0
	s_andn2_b64 s[38:39], s[38:39], exec
	v_lshl_add_u64 v[30:31], v[30:31], 0, 2
	v_lshl_add_u64 v[34:35], v[34:35], 0, 2
	s_waitcnt vmcnt(0)
	v_cmp_neq_f16_e32 vcc, v36, v37
	s_and_b64 s[42:43], vcc, exec
	s_or_b64 s[38:39], s[38:39], s[42:43]
.LBB1354_54:                            ;   in Loop: Header=BB1354_55 Depth=1
	s_and_b64 s[42:43], exec, s[38:39]
	s_or_b64 s[36:37], s[42:43], s[36:37]
	v_mov_b64_e32 v[36:37], s[40:41]
	s_andn2_b64 exec, exec, s[36:37]
	s_cbranch_execz .LBB1354_57
.LBB1354_55:                            ; =>This Inner Loop Header: Depth=1
	s_or_b64 s[38:39], s[38:39], exec
	s_cmp_eq_u64 s[14:15], s[40:41]
	s_cbranch_scc0 .LBB1354_53
; %bb.56:                               ;   in Loop: Header=BB1354_55 Depth=1
                                        ; implicit-def: $vgpr30_vgpr31
                                        ; implicit-def: $vgpr34_vgpr35
	s_mov_b64 s[40:41], s[26:27]
	s_branch .LBB1354_54
.LBB1354_57:
	s_or_b64 exec, exec, s[36:37]
	v_cmp_gt_i64_e32 vcc, s[26:27], v[36:37]
	s_orn2_b64 s[14:15], vcc, exec
.LBB1354_58:
	s_or_b64 exec, exec, s[18:19]
.LBB1354_59:
	v_mul_lo_u32 v34, v21, s26
	v_mul_lo_u32 v35, v20, s27
	v_mad_u64_u32 v[30:31], s[18:19], v20, s26, 0
	v_add3_u32 v31, v31, v35, v34
	s_and_b64 vcc, exec, s[4:5]
	v_lshl_add_u64 v[30:31], v[30:31], 1, s[28:29]
	s_cbranch_vccnz .LBB1354_68
; %bb.60:
	global_load_ushort v34, v[30:31], off
	global_load_ushort v35, v[32:33], off
	s_mov_b64 s[12:13], -1
	s_waitcnt vmcnt(0)
	v_cmp_eq_f16_e32 vcc, v34, v35
	s_and_saveexec_b64 s[18:19], vcc
	s_cbranch_execz .LBB1354_67
; %bb.61:
	s_add_u32 s12, s26, -1
	v_lshl_add_u64 v[32:33], v[32:33], 0, 2
	v_lshl_add_u64 v[34:35], v[30:31], 0, 2
	s_addc_u32 s13, s27, -1
	s_mov_b64 s[36:37], 0
	s_mov_b64 s[40:41], 0
                                        ; implicit-def: $sgpr38_sgpr39
	s_branch .LBB1354_64
.LBB1354_62:                            ;   in Loop: Header=BB1354_64 Depth=1
	global_load_ushort v36, v[34:35], off
	global_load_ushort v37, v[32:33], off
	s_add_u32 s40, s40, 1
	s_addc_u32 s41, s41, 0
	s_andn2_b64 s[38:39], s[38:39], exec
	v_lshl_add_u64 v[32:33], v[32:33], 0, 2
	v_lshl_add_u64 v[34:35], v[34:35], 0, 2
	s_waitcnt vmcnt(0)
	v_cmp_neq_f16_e32 vcc, v36, v37
	s_and_b64 s[42:43], vcc, exec
	s_or_b64 s[38:39], s[38:39], s[42:43]
.LBB1354_63:                            ;   in Loop: Header=BB1354_64 Depth=1
	s_and_b64 s[42:43], exec, s[38:39]
	s_or_b64 s[36:37], s[42:43], s[36:37]
	v_mov_b64_e32 v[36:37], s[40:41]
	s_andn2_b64 exec, exec, s[36:37]
	s_cbranch_execz .LBB1354_66
.LBB1354_64:                            ; =>This Inner Loop Header: Depth=1
	s_or_b64 s[38:39], s[38:39], exec
	s_cmp_eq_u64 s[12:13], s[40:41]
	s_cbranch_scc0 .LBB1354_62
; %bb.65:                               ;   in Loop: Header=BB1354_64 Depth=1
                                        ; implicit-def: $vgpr32_vgpr33
                                        ; implicit-def: $vgpr34_vgpr35
	s_mov_b64 s[40:41], s[26:27]
	s_branch .LBB1354_63
.LBB1354_66:
	s_or_b64 exec, exec, s[36:37]
	v_cmp_gt_i64_e32 vcc, s[26:27], v[36:37]
	s_orn2_b64 s[12:13], vcc, exec
.LBB1354_67:
	s_or_b64 exec, exec, s[18:19]
.LBB1354_68:
	v_mul_lo_u32 v34, v19, s26
	v_mul_lo_u32 v35, v18, s27
	v_mad_u64_u32 v[32:33], s[18:19], v18, s26, 0
	v_add3_u32 v33, v33, v35, v34
	s_mov_b64 s[18:19], 0
	s_and_b64 vcc, exec, s[4:5]
	v_lshl_add_u64 v[34:35], v[32:33], 1, s[28:29]
	s_mov_b64 s[36:37], 0
	s_cbranch_vccnz .LBB1354_77
; %bb.69:
	global_load_ushort v32, v[34:35], off
	global_load_ushort v33, v[30:31], off
	s_mov_b64 s[36:37], -1
	s_waitcnt vmcnt(0)
	v_cmp_eq_f16_e32 vcc, v32, v33
	s_and_saveexec_b64 s[38:39], vcc
	s_cbranch_execz .LBB1354_76
; %bb.70:
	s_add_u32 s36, s26, -1
	v_lshl_add_u64 v[30:31], v[30:31], 0, 2
	v_lshl_add_u64 v[32:33], v[34:35], 0, 2
	s_addc_u32 s37, s27, -1
	s_mov_b64 s[40:41], 0
	s_mov_b64 s[44:45], 0
                                        ; implicit-def: $sgpr42_sgpr43
	s_branch .LBB1354_73
.LBB1354_71:                            ;   in Loop: Header=BB1354_73 Depth=1
	global_load_ushort v36, v[32:33], off
	global_load_ushort v37, v[30:31], off
	s_add_u32 s44, s44, 1
	s_addc_u32 s45, s45, 0
	s_andn2_b64 s[42:43], s[42:43], exec
	v_lshl_add_u64 v[30:31], v[30:31], 0, 2
	v_lshl_add_u64 v[32:33], v[32:33], 0, 2
	s_waitcnt vmcnt(0)
	v_cmp_neq_f16_e32 vcc, v36, v37
	s_and_b64 s[46:47], vcc, exec
	s_or_b64 s[42:43], s[42:43], s[46:47]
.LBB1354_72:                            ;   in Loop: Header=BB1354_73 Depth=1
	s_and_b64 s[46:47], exec, s[42:43]
	s_or_b64 s[40:41], s[46:47], s[40:41]
	v_mov_b64_e32 v[36:37], s[44:45]
	s_andn2_b64 exec, exec, s[40:41]
	s_cbranch_execz .LBB1354_75
.LBB1354_73:                            ; =>This Inner Loop Header: Depth=1
	s_or_b64 s[42:43], s[42:43], exec
	s_cmp_eq_u64 s[36:37], s[44:45]
	s_cbranch_scc0 .LBB1354_71
; %bb.74:                               ;   in Loop: Header=BB1354_73 Depth=1
                                        ; implicit-def: $vgpr30_vgpr31
                                        ; implicit-def: $vgpr32_vgpr33
	s_mov_b64 s[44:45], s[26:27]
	s_branch .LBB1354_72
.LBB1354_75:
	s_or_b64 exec, exec, s[40:41]
	v_cmp_gt_i64_e32 vcc, s[26:27], v[36:37]
	s_orn2_b64 s[36:37], vcc, exec
.LBB1354_76:
	s_or_b64 exec, exec, s[38:39]
.LBB1354_77:
	v_mul_lo_u32 v32, v25, s26
	v_mul_lo_u32 v33, v24, s27
	v_mad_u64_u32 v[30:31], s[38:39], v24, s26, 0
	v_add3_u32 v31, v31, v33, v32
	s_and_b64 vcc, exec, s[4:5]
	v_lshl_add_u64 v[32:33], v[30:31], 1, s[28:29]
	s_cbranch_vccnz .LBB1354_86
; %bb.78:
	global_load_ushort v30, v[32:33], off
	global_load_ushort v31, v[34:35], off
	s_mov_b64 s[18:19], -1
	s_waitcnt vmcnt(0)
	v_cmp_eq_f16_e32 vcc, v30, v31
	s_and_saveexec_b64 s[38:39], vcc
	s_cbranch_execz .LBB1354_85
; %bb.79:
	s_add_u32 s18, s26, -1
	v_lshl_add_u64 v[30:31], v[34:35], 0, 2
	v_lshl_add_u64 v[34:35], v[32:33], 0, 2
	s_addc_u32 s19, s27, -1
	s_mov_b64 s[40:41], 0
	s_mov_b64 s[44:45], 0
                                        ; implicit-def: $sgpr42_sgpr43
	s_branch .LBB1354_82
.LBB1354_80:                            ;   in Loop: Header=BB1354_82 Depth=1
	global_load_ushort v36, v[34:35], off
	global_load_ushort v37, v[30:31], off
	s_add_u32 s44, s44, 1
	s_addc_u32 s45, s45, 0
	s_andn2_b64 s[42:43], s[42:43], exec
	v_lshl_add_u64 v[30:31], v[30:31], 0, 2
	v_lshl_add_u64 v[34:35], v[34:35], 0, 2
	s_waitcnt vmcnt(0)
	v_cmp_neq_f16_e32 vcc, v36, v37
	s_and_b64 s[46:47], vcc, exec
	s_or_b64 s[42:43], s[42:43], s[46:47]
.LBB1354_81:                            ;   in Loop: Header=BB1354_82 Depth=1
	s_and_b64 s[46:47], exec, s[42:43]
	s_or_b64 s[40:41], s[46:47], s[40:41]
	v_mov_b64_e32 v[36:37], s[44:45]
	s_andn2_b64 exec, exec, s[40:41]
	s_cbranch_execz .LBB1354_84
.LBB1354_82:                            ; =>This Inner Loop Header: Depth=1
	s_or_b64 s[42:43], s[42:43], exec
	s_cmp_eq_u64 s[18:19], s[44:45]
	s_cbranch_scc0 .LBB1354_80
; %bb.83:                               ;   in Loop: Header=BB1354_82 Depth=1
                                        ; implicit-def: $vgpr30_vgpr31
                                        ; implicit-def: $vgpr34_vgpr35
	s_mov_b64 s[44:45], s[26:27]
	s_branch .LBB1354_81
.LBB1354_84:
	s_or_b64 exec, exec, s[40:41]
	v_cmp_gt_i64_e32 vcc, s[26:27], v[36:37]
	s_orn2_b64 s[18:19], vcc, exec
.LBB1354_85:
	s_or_b64 exec, exec, s[38:39]
.LBB1354_86:
	v_mul_lo_u32 v34, v23, s26
	v_mul_lo_u32 v35, v22, s27
	v_mad_u64_u32 v[30:31], s[38:39], v22, s26, 0
	v_add3_u32 v31, v31, v35, v34
	s_mov_b64 s[40:41], 0
	s_and_b64 vcc, exec, s[4:5]
	v_lshl_add_u64 v[30:31], v[30:31], 1, s[28:29]
	s_cbranch_vccnz .LBB1354_95
; %bb.87:
	global_load_ushort v34, v[30:31], off
	global_load_ushort v35, v[32:33], off
	s_mov_b64 s[40:41], -1
	s_waitcnt vmcnt(0)
	v_cmp_eq_f16_e32 vcc, v34, v35
	s_and_saveexec_b64 s[38:39], vcc
	s_cbranch_execz .LBB1354_94
; %bb.88:
	s_add_u32 s40, s26, -1
	v_lshl_add_u64 v[32:33], v[32:33], 0, 2
	v_lshl_add_u64 v[34:35], v[30:31], 0, 2
	s_addc_u32 s41, s27, -1
	s_mov_b64 s[42:43], 0
	s_mov_b64 s[46:47], 0
                                        ; implicit-def: $sgpr44_sgpr45
	s_branch .LBB1354_91
.LBB1354_89:                            ;   in Loop: Header=BB1354_91 Depth=1
	global_load_ushort v36, v[34:35], off
	global_load_ushort v37, v[32:33], off
	s_add_u32 s46, s46, 1
	s_addc_u32 s47, s47, 0
	s_andn2_b64 s[44:45], s[44:45], exec
	v_lshl_add_u64 v[32:33], v[32:33], 0, 2
	v_lshl_add_u64 v[34:35], v[34:35], 0, 2
	s_waitcnt vmcnt(0)
	v_cmp_neq_f16_e32 vcc, v36, v37
	s_and_b64 s[48:49], vcc, exec
	s_or_b64 s[44:45], s[44:45], s[48:49]
.LBB1354_90:                            ;   in Loop: Header=BB1354_91 Depth=1
	s_and_b64 s[48:49], exec, s[44:45]
	s_or_b64 s[42:43], s[48:49], s[42:43]
	v_mov_b64_e32 v[36:37], s[46:47]
	s_andn2_b64 exec, exec, s[42:43]
	s_cbranch_execz .LBB1354_93
.LBB1354_91:                            ; =>This Inner Loop Header: Depth=1
	s_or_b64 s[44:45], s[44:45], exec
	s_cmp_eq_u64 s[40:41], s[46:47]
	s_cbranch_scc0 .LBB1354_89
; %bb.92:                               ;   in Loop: Header=BB1354_91 Depth=1
                                        ; implicit-def: $vgpr32_vgpr33
                                        ; implicit-def: $vgpr34_vgpr35
	s_mov_b64 s[46:47], s[26:27]
	s_branch .LBB1354_90
.LBB1354_93:
	s_or_b64 exec, exec, s[42:43]
	v_cmp_gt_i64_e32 vcc, s[26:27], v[36:37]
	s_orn2_b64 s[40:41], vcc, exec
.LBB1354_94:
	s_or_b64 exec, exec, s[38:39]
.LBB1354_95:
	v_cmp_ne_u32_e32 vcc, 0, v0
	s_waitcnt lgkmcnt(0)
	v_mov_b64_e32 v[32:33], s[6:7]
	s_barrier
	s_and_saveexec_b64 s[38:39], vcc
	s_cbranch_execz .LBB1354_97
; %bb.96:
	v_add_u32_e32 v32, -8, v45
	ds_read_b64 v[32:33], v32
.LBB1354_97:
	s_or_b64 exec, exec, s[38:39]
	v_cndmask_b32_e64 v35, 0, 1, s[36:37]
	v_cndmask_b32_e64 v34, 0, 1, s[18:19]
	;; [unrolled: 1-line block ×3, first 2 shown]
	v_lshlrev_b16_e32 v35, 8, v35
	v_lshlrev_b16_e32 v36, 8, v36
	v_or_b32_sdwa v37, v34, v35 dst_sel:WORD_1 dst_unused:UNUSED_PAD src0_sel:DWORD src1_sel:DWORD
	s_mov_b64 s[36:37], 0
	s_and_b64 vcc, exec, s[4:5]
	s_mov_b64 s[18:19], 0
	s_cbranch_vccnz .LBB1354_106
; %bb.98:
	s_waitcnt lgkmcnt(0)
	v_mul_lo_u32 v34, v33, s26
	v_mul_lo_u32 v35, v32, s27
	v_mad_u64_u32 v[32:33], s[18:19], v32, s26, 0
	v_add3_u32 v33, v33, v35, v34
	v_lshl_add_u64 v[32:33], v[32:33], 1, s[28:29]
	global_load_ushort v34, v[32:33], off
	global_load_ushort v35, v[30:31], off
	s_mov_b64 s[18:19], -1
	s_waitcnt vmcnt(0)
	v_cmp_eq_f16_e32 vcc, v34, v35
	s_and_saveexec_b64 s[38:39], vcc
	s_cbranch_execz .LBB1354_105
; %bb.99:
	s_add_u32 s18, s26, -1
	v_lshl_add_u64 v[30:31], v[30:31], 0, 2
	v_lshl_add_u64 v[32:33], v[32:33], 0, 2
	s_addc_u32 s19, s27, -1
	s_mov_b64 s[40:41], 0
	s_mov_b64 s[44:45], 0
                                        ; implicit-def: $sgpr42_sgpr43
	s_branch .LBB1354_102
.LBB1354_100:                           ;   in Loop: Header=BB1354_102 Depth=1
	global_load_ushort v34, v[32:33], off
	global_load_ushort v35, v[30:31], off
	s_add_u32 s44, s44, 1
	s_addc_u32 s45, s45, 0
	s_andn2_b64 s[42:43], s[42:43], exec
	v_lshl_add_u64 v[30:31], v[30:31], 0, 2
	v_lshl_add_u64 v[32:33], v[32:33], 0, 2
	s_waitcnt vmcnt(0)
	v_cmp_neq_f16_e32 vcc, v34, v35
	s_and_b64 s[46:47], vcc, exec
	s_or_b64 s[42:43], s[42:43], s[46:47]
.LBB1354_101:                           ;   in Loop: Header=BB1354_102 Depth=1
	s_and_b64 s[46:47], exec, s[42:43]
	s_or_b64 s[40:41], s[46:47], s[40:41]
	v_mov_b64_e32 v[34:35], s[44:45]
	s_andn2_b64 exec, exec, s[40:41]
	s_cbranch_execz .LBB1354_104
.LBB1354_102:                           ; =>This Inner Loop Header: Depth=1
	s_or_b64 s[42:43], s[42:43], exec
	s_cmp_eq_u64 s[18:19], s[44:45]
	s_cbranch_scc0 .LBB1354_100
; %bb.103:                              ;   in Loop: Header=BB1354_102 Depth=1
                                        ; implicit-def: $vgpr30_vgpr31
                                        ; implicit-def: $vgpr32_vgpr33
	s_mov_b64 s[44:45], s[26:27]
	s_branch .LBB1354_101
.LBB1354_104:
	s_or_b64 exec, exec, s[40:41]
	v_cmp_gt_i64_e32 vcc, s[26:27], v[34:35]
	s_orn2_b64 s[18:19], vcc, exec
.LBB1354_105:
	s_or_b64 exec, exec, s[38:39]
.LBB1354_106:
	v_cndmask_b32_e64 v46, 0, 1, s[12:13]
	v_cndmask_b32_e64 v47, 0, 1, s[14:15]
	;; [unrolled: 1-line block ×3, first 2 shown]
	v_or_b32_e32 v34, v36, v37
	s_and_b64 vcc, exec, s[36:37]
	s_cbranch_vccz .LBB1354_187
.LBB1354_107:
	v_cmp_gt_u32_e32 vcc, s3, v40
	s_mov_b64 s[12:13], 0
	s_mov_b64 s[10:11], 0
	s_and_saveexec_b64 s[14:15], vcc
	s_cbranch_execz .LBB1354_118
; %bb.108:
	s_and_b64 vcc, exec, s[4:5]
	s_mov_b64 s[18:19], 0
	s_cbranch_vccnz .LBB1354_117
; %bb.109:
	s_waitcnt lgkmcnt(0)
	v_mul_lo_u32 v32, v17, s26
	v_mul_lo_u32 v33, v16, s27
	v_mad_u64_u32 v[30:31], s[10:11], v16, s26, 0
	v_add3_u32 v31, v31, v33, v32
	v_mul_lo_u32 v32, v29, s26
	v_mul_lo_u32 v33, v28, s27
	v_mad_u64_u32 v[34:35], s[10:11], v28, s26, 0
	v_add3_u32 v35, v35, v33, v32
	v_lshl_add_u64 v[32:33], v[30:31], 1, s[28:29]
	v_lshl_add_u64 v[30:31], v[34:35], 1, s[28:29]
	global_load_ushort v34, v[32:33], off
	global_load_ushort v35, v[30:31], off
	s_mov_b64 s[18:19], -1
	s_waitcnt vmcnt(0)
	v_cmp_eq_f16_e32 vcc, v34, v35
	s_and_saveexec_b64 s[10:11], vcc
	s_cbranch_execz .LBB1354_116
; %bb.110:
	s_add_u32 s18, s26, -1
	v_lshl_add_u64 v[30:31], v[30:31], 0, 2
	v_lshl_add_u64 v[32:33], v[32:33], 0, 2
	s_addc_u32 s19, s27, -1
	s_mov_b64 s[36:37], 0
	s_mov_b64 s[40:41], 0
                                        ; implicit-def: $sgpr38_sgpr39
	s_branch .LBB1354_113
.LBB1354_111:                           ;   in Loop: Header=BB1354_113 Depth=1
	global_load_ushort v34, v[32:33], off
	global_load_ushort v35, v[30:31], off
	s_add_u32 s40, s40, 1
	s_addc_u32 s41, s41, 0
	s_andn2_b64 s[38:39], s[38:39], exec
	v_lshl_add_u64 v[30:31], v[30:31], 0, 2
	v_lshl_add_u64 v[32:33], v[32:33], 0, 2
	s_waitcnt vmcnt(0)
	v_cmp_neq_f16_e32 vcc, v34, v35
	s_and_b64 s[42:43], vcc, exec
	s_or_b64 s[38:39], s[38:39], s[42:43]
.LBB1354_112:                           ;   in Loop: Header=BB1354_113 Depth=1
	s_and_b64 s[42:43], exec, s[38:39]
	s_or_b64 s[36:37], s[42:43], s[36:37]
	v_mov_b64_e32 v[34:35], s[40:41]
	s_andn2_b64 exec, exec, s[36:37]
	s_cbranch_execz .LBB1354_115
.LBB1354_113:                           ; =>This Inner Loop Header: Depth=1
	s_or_b64 s[38:39], s[38:39], exec
	s_cmp_eq_u64 s[18:19], s[40:41]
	s_cbranch_scc0 .LBB1354_111
; %bb.114:                              ;   in Loop: Header=BB1354_113 Depth=1
                                        ; implicit-def: $vgpr30_vgpr31
                                        ; implicit-def: $vgpr32_vgpr33
	s_mov_b64 s[40:41], s[26:27]
	s_branch .LBB1354_112
.LBB1354_115:
	s_or_b64 exec, exec, s[36:37]
	v_cmp_gt_i64_e32 vcc, s[26:27], v[34:35]
	s_orn2_b64 s[18:19], vcc, exec
.LBB1354_116:
	s_or_b64 exec, exec, s[10:11]
.LBB1354_117:
	s_and_b64 s[10:11], s[18:19], exec
.LBB1354_118:
	s_or_b64 exec, exec, s[14:15]
	v_cmp_gt_u32_e32 vcc, s3, v43
	s_and_saveexec_b64 s[14:15], vcc
	s_cbranch_execz .LBB1354_129
; %bb.119:
	s_and_b64 vcc, exec, s[4:5]
	s_mov_b64 s[18:19], 0
	s_cbranch_vccnz .LBB1354_128
; %bb.120:
	s_waitcnt lgkmcnt(0)
	v_mul_lo_u32 v32, v15, s26
	v_mul_lo_u32 v33, v14, s27
	v_mad_u64_u32 v[30:31], s[12:13], v14, s26, 0
	v_add3_u32 v31, v31, v33, v32
	v_mul_lo_u32 v32, v17, s26
	v_mul_lo_u32 v33, v16, s27
	v_mad_u64_u32 v[34:35], s[12:13], v16, s26, 0
	v_add3_u32 v35, v35, v33, v32
	v_lshl_add_u64 v[32:33], v[30:31], 1, s[28:29]
	v_lshl_add_u64 v[30:31], v[34:35], 1, s[28:29]
	global_load_ushort v34, v[32:33], off
	global_load_ushort v35, v[30:31], off
	s_mov_b64 s[18:19], -1
	s_waitcnt vmcnt(0)
	v_cmp_eq_f16_e32 vcc, v34, v35
	s_and_saveexec_b64 s[12:13], vcc
	s_cbranch_execz .LBB1354_127
; %bb.121:
	s_add_u32 s18, s26, -1
	v_lshl_add_u64 v[30:31], v[30:31], 0, 2
	v_lshl_add_u64 v[32:33], v[32:33], 0, 2
	s_addc_u32 s19, s27, -1
	s_mov_b64 s[36:37], 0
	s_mov_b64 s[40:41], 0
                                        ; implicit-def: $sgpr38_sgpr39
	s_branch .LBB1354_124
.LBB1354_122:                           ;   in Loop: Header=BB1354_124 Depth=1
	global_load_ushort v34, v[32:33], off
	global_load_ushort v35, v[30:31], off
	s_add_u32 s40, s40, 1
	s_addc_u32 s41, s41, 0
	s_andn2_b64 s[38:39], s[38:39], exec
	v_lshl_add_u64 v[30:31], v[30:31], 0, 2
	v_lshl_add_u64 v[32:33], v[32:33], 0, 2
	s_waitcnt vmcnt(0)
	v_cmp_neq_f16_e32 vcc, v34, v35
	s_and_b64 s[42:43], vcc, exec
	s_or_b64 s[38:39], s[38:39], s[42:43]
.LBB1354_123:                           ;   in Loop: Header=BB1354_124 Depth=1
	s_and_b64 s[42:43], exec, s[38:39]
	s_or_b64 s[36:37], s[42:43], s[36:37]
	v_mov_b64_e32 v[34:35], s[40:41]
	s_andn2_b64 exec, exec, s[36:37]
	s_cbranch_execz .LBB1354_126
.LBB1354_124:                           ; =>This Inner Loop Header: Depth=1
	s_or_b64 s[38:39], s[38:39], exec
	s_cmp_eq_u64 s[18:19], s[40:41]
	s_cbranch_scc0 .LBB1354_122
; %bb.125:                              ;   in Loop: Header=BB1354_124 Depth=1
                                        ; implicit-def: $vgpr30_vgpr31
                                        ; implicit-def: $vgpr32_vgpr33
	s_mov_b64 s[40:41], s[26:27]
	s_branch .LBB1354_123
.LBB1354_126:
	s_or_b64 exec, exec, s[36:37]
	v_cmp_gt_i64_e32 vcc, s[26:27], v[34:35]
	s_orn2_b64 s[18:19], vcc, exec
.LBB1354_127:
	s_or_b64 exec, exec, s[12:13]
.LBB1354_128:
	s_and_b64 s[12:13], s[18:19], exec
.LBB1354_129:
	s_or_b64 exec, exec, s[14:15]
	v_cmp_gt_u32_e32 vcc, s3, v39
	s_mov_b64 s[18:19], 0
	s_mov_b64 s[14:15], 0
	s_and_saveexec_b64 s[36:37], vcc
	s_cbranch_execz .LBB1354_140
; %bb.130:
	s_and_b64 vcc, exec, s[4:5]
	s_mov_b64 s[38:39], 0
	s_cbranch_vccnz .LBB1354_139
; %bb.131:
	s_waitcnt lgkmcnt(0)
	v_mul_lo_u32 v32, v21, s26
	v_mul_lo_u32 v33, v20, s27
	v_mad_u64_u32 v[30:31], s[14:15], v20, s26, 0
	v_add3_u32 v31, v31, v33, v32
	v_mul_lo_u32 v32, v15, s26
	v_mul_lo_u32 v33, v14, s27
	v_mad_u64_u32 v[34:35], s[14:15], v14, s26, 0
	v_add3_u32 v35, v35, v33, v32
	v_lshl_add_u64 v[32:33], v[30:31], 1, s[28:29]
	v_lshl_add_u64 v[30:31], v[34:35], 1, s[28:29]
	global_load_ushort v34, v[32:33], off
	global_load_ushort v35, v[30:31], off
	s_mov_b64 s[38:39], -1
	s_waitcnt vmcnt(0)
	v_cmp_eq_f16_e32 vcc, v34, v35
	s_and_saveexec_b64 s[14:15], vcc
	s_cbranch_execz .LBB1354_138
; %bb.132:
	s_add_u32 s38, s26, -1
	v_lshl_add_u64 v[30:31], v[30:31], 0, 2
	v_lshl_add_u64 v[32:33], v[32:33], 0, 2
	s_addc_u32 s39, s27, -1
	s_mov_b64 s[40:41], 0
	s_mov_b64 s[44:45], 0
                                        ; implicit-def: $sgpr42_sgpr43
	s_branch .LBB1354_135
.LBB1354_133:                           ;   in Loop: Header=BB1354_135 Depth=1
	global_load_ushort v34, v[32:33], off
	global_load_ushort v35, v[30:31], off
	s_add_u32 s44, s44, 1
	s_addc_u32 s45, s45, 0
	s_andn2_b64 s[42:43], s[42:43], exec
	v_lshl_add_u64 v[30:31], v[30:31], 0, 2
	v_lshl_add_u64 v[32:33], v[32:33], 0, 2
	s_waitcnt vmcnt(0)
	v_cmp_neq_f16_e32 vcc, v34, v35
	s_and_b64 s[46:47], vcc, exec
	s_or_b64 s[42:43], s[42:43], s[46:47]
.LBB1354_134:                           ;   in Loop: Header=BB1354_135 Depth=1
	s_and_b64 s[46:47], exec, s[42:43]
	s_or_b64 s[40:41], s[46:47], s[40:41]
	v_mov_b64_e32 v[34:35], s[44:45]
	s_andn2_b64 exec, exec, s[40:41]
	s_cbranch_execz .LBB1354_137
.LBB1354_135:                           ; =>This Inner Loop Header: Depth=1
	s_or_b64 s[42:43], s[42:43], exec
	s_cmp_eq_u64 s[38:39], s[44:45]
	s_cbranch_scc0 .LBB1354_133
; %bb.136:                              ;   in Loop: Header=BB1354_135 Depth=1
                                        ; implicit-def: $vgpr30_vgpr31
                                        ; implicit-def: $vgpr32_vgpr33
	s_mov_b64 s[44:45], s[26:27]
	s_branch .LBB1354_134
.LBB1354_137:
	s_or_b64 exec, exec, s[40:41]
	v_cmp_gt_i64_e32 vcc, s[26:27], v[34:35]
	s_orn2_b64 s[38:39], vcc, exec
.LBB1354_138:
	s_or_b64 exec, exec, s[14:15]
.LBB1354_139:
	s_and_b64 s[14:15], s[38:39], exec
.LBB1354_140:
	s_or_b64 exec, exec, s[36:37]
	v_cmp_gt_u32_e32 vcc, s3, v42
	s_and_saveexec_b64 s[36:37], vcc
	s_cbranch_execz .LBB1354_151
; %bb.141:
	s_and_b64 vcc, exec, s[4:5]
	s_mov_b64 s[38:39], 0
	s_cbranch_vccnz .LBB1354_150
; %bb.142:
	s_waitcnt lgkmcnt(0)
	v_mul_lo_u32 v32, v19, s26
	v_mul_lo_u32 v33, v18, s27
	v_mad_u64_u32 v[30:31], s[18:19], v18, s26, 0
	v_add3_u32 v31, v31, v33, v32
	v_mul_lo_u32 v32, v21, s26
	v_mul_lo_u32 v33, v20, s27
	v_mad_u64_u32 v[34:35], s[18:19], v20, s26, 0
	v_add3_u32 v35, v35, v33, v32
	v_lshl_add_u64 v[32:33], v[30:31], 1, s[28:29]
	v_lshl_add_u64 v[30:31], v[34:35], 1, s[28:29]
	global_load_ushort v34, v[32:33], off
	global_load_ushort v35, v[30:31], off
	s_mov_b64 s[38:39], -1
	s_waitcnt vmcnt(0)
	v_cmp_eq_f16_e32 vcc, v34, v35
	s_and_saveexec_b64 s[18:19], vcc
	s_cbranch_execz .LBB1354_149
; %bb.143:
	s_add_u32 s38, s26, -1
	v_lshl_add_u64 v[30:31], v[30:31], 0, 2
	v_lshl_add_u64 v[32:33], v[32:33], 0, 2
	s_addc_u32 s39, s27, -1
	s_mov_b64 s[40:41], 0
	s_mov_b64 s[44:45], 0
                                        ; implicit-def: $sgpr42_sgpr43
	s_branch .LBB1354_146
.LBB1354_144:                           ;   in Loop: Header=BB1354_146 Depth=1
	global_load_ushort v34, v[32:33], off
	global_load_ushort v35, v[30:31], off
	s_add_u32 s44, s44, 1
	s_addc_u32 s45, s45, 0
	s_andn2_b64 s[42:43], s[42:43], exec
	v_lshl_add_u64 v[30:31], v[30:31], 0, 2
	v_lshl_add_u64 v[32:33], v[32:33], 0, 2
	s_waitcnt vmcnt(0)
	v_cmp_neq_f16_e32 vcc, v34, v35
	s_and_b64 s[46:47], vcc, exec
	s_or_b64 s[42:43], s[42:43], s[46:47]
.LBB1354_145:                           ;   in Loop: Header=BB1354_146 Depth=1
	s_and_b64 s[46:47], exec, s[42:43]
	s_or_b64 s[40:41], s[46:47], s[40:41]
	v_mov_b64_e32 v[34:35], s[44:45]
	s_andn2_b64 exec, exec, s[40:41]
	s_cbranch_execz .LBB1354_148
.LBB1354_146:                           ; =>This Inner Loop Header: Depth=1
	s_or_b64 s[42:43], s[42:43], exec
	s_cmp_eq_u64 s[38:39], s[44:45]
	s_cbranch_scc0 .LBB1354_144
; %bb.147:                              ;   in Loop: Header=BB1354_146 Depth=1
                                        ; implicit-def: $vgpr30_vgpr31
                                        ; implicit-def: $vgpr32_vgpr33
	s_mov_b64 s[44:45], s[26:27]
	s_branch .LBB1354_145
.LBB1354_148:
	s_or_b64 exec, exec, s[40:41]
	v_cmp_gt_i64_e32 vcc, s[26:27], v[34:35]
	s_orn2_b64 s[38:39], vcc, exec
.LBB1354_149:
	s_or_b64 exec, exec, s[18:19]
.LBB1354_150:
	s_and_b64 s[18:19], s[38:39], exec
.LBB1354_151:
	s_or_b64 exec, exec, s[36:37]
	v_cmp_gt_u32_e32 vcc, s3, v38
	s_mov_b64 s[36:37], 0
	s_mov_b64 s[38:39], 0
	s_and_saveexec_b64 s[40:41], vcc
	s_cbranch_execz .LBB1354_162
; %bb.152:
	s_and_b64 vcc, exec, s[4:5]
	s_mov_b64 s[42:43], 0
	s_cbranch_vccnz .LBB1354_161
; %bb.153:
	s_waitcnt lgkmcnt(0)
	v_mul_lo_u32 v32, v25, s26
	v_mul_lo_u32 v33, v24, s27
	v_mad_u64_u32 v[30:31], s[38:39], v24, s26, 0
	v_add3_u32 v31, v31, v33, v32
	v_mul_lo_u32 v32, v19, s26
	v_mul_lo_u32 v33, v18, s27
	v_mad_u64_u32 v[34:35], s[38:39], v18, s26, 0
	v_add3_u32 v35, v35, v33, v32
	v_lshl_add_u64 v[32:33], v[30:31], 1, s[28:29]
	v_lshl_add_u64 v[30:31], v[34:35], 1, s[28:29]
	global_load_ushort v34, v[32:33], off
	global_load_ushort v35, v[30:31], off
	s_mov_b64 s[42:43], -1
	s_waitcnt vmcnt(0)
	v_cmp_eq_f16_e32 vcc, v34, v35
	s_and_saveexec_b64 s[38:39], vcc
	s_cbranch_execz .LBB1354_160
; %bb.154:
	s_add_u32 s42, s26, -1
	v_lshl_add_u64 v[30:31], v[30:31], 0, 2
	v_lshl_add_u64 v[32:33], v[32:33], 0, 2
	s_addc_u32 s43, s27, -1
	s_mov_b64 s[44:45], 0
	s_mov_b64 s[48:49], 0
                                        ; implicit-def: $sgpr46_sgpr47
	s_branch .LBB1354_157
.LBB1354_155:                           ;   in Loop: Header=BB1354_157 Depth=1
	global_load_ushort v34, v[32:33], off
	global_load_ushort v35, v[30:31], off
	s_add_u32 s48, s48, 1
	s_addc_u32 s49, s49, 0
	s_andn2_b64 s[46:47], s[46:47], exec
	v_lshl_add_u64 v[30:31], v[30:31], 0, 2
	v_lshl_add_u64 v[32:33], v[32:33], 0, 2
	s_waitcnt vmcnt(0)
	v_cmp_neq_f16_e32 vcc, v34, v35
	s_and_b64 s[50:51], vcc, exec
	s_or_b64 s[46:47], s[46:47], s[50:51]
.LBB1354_156:                           ;   in Loop: Header=BB1354_157 Depth=1
	s_and_b64 s[50:51], exec, s[46:47]
	s_or_b64 s[44:45], s[50:51], s[44:45]
	v_mov_b64_e32 v[34:35], s[48:49]
	s_andn2_b64 exec, exec, s[44:45]
	s_cbranch_execz .LBB1354_159
.LBB1354_157:                           ; =>This Inner Loop Header: Depth=1
	s_or_b64 s[46:47], s[46:47], exec
	s_cmp_eq_u64 s[42:43], s[48:49]
	s_cbranch_scc0 .LBB1354_155
; %bb.158:                              ;   in Loop: Header=BB1354_157 Depth=1
                                        ; implicit-def: $vgpr30_vgpr31
                                        ; implicit-def: $vgpr32_vgpr33
	s_mov_b64 s[48:49], s[26:27]
	s_branch .LBB1354_156
.LBB1354_159:
	s_or_b64 exec, exec, s[44:45]
	v_cmp_gt_i64_e32 vcc, s[26:27], v[34:35]
	s_orn2_b64 s[42:43], vcc, exec
.LBB1354_160:
	s_or_b64 exec, exec, s[38:39]
.LBB1354_161:
	s_and_b64 s[38:39], s[42:43], exec
.LBB1354_162:
	s_or_b64 exec, exec, s[40:41]
	v_cmp_gt_u32_e32 vcc, s3, v41
	s_and_saveexec_b64 s[40:41], vcc
	s_cbranch_execz .LBB1354_173
; %bb.163:
	s_and_b64 vcc, exec, s[4:5]
	s_mov_b64 s[42:43], 0
	s_cbranch_vccnz .LBB1354_172
; %bb.164:
	s_waitcnt lgkmcnt(0)
	v_mul_lo_u32 v32, v23, s26
	v_mul_lo_u32 v33, v22, s27
	v_mad_u64_u32 v[30:31], s[36:37], v22, s26, 0
	v_add3_u32 v31, v31, v33, v32
	v_mul_lo_u32 v32, v25, s26
	v_mul_lo_u32 v33, v24, s27
	v_mad_u64_u32 v[34:35], s[36:37], v24, s26, 0
	v_add3_u32 v35, v35, v33, v32
	v_lshl_add_u64 v[32:33], v[30:31], 1, s[28:29]
	v_lshl_add_u64 v[30:31], v[34:35], 1, s[28:29]
	global_load_ushort v34, v[32:33], off
	global_load_ushort v35, v[30:31], off
	s_mov_b64 s[42:43], -1
	s_waitcnt vmcnt(0)
	v_cmp_eq_f16_e32 vcc, v34, v35
	s_and_saveexec_b64 s[36:37], vcc
	s_cbranch_execz .LBB1354_171
; %bb.165:
	s_add_u32 s42, s26, -1
	v_lshl_add_u64 v[30:31], v[30:31], 0, 2
	v_lshl_add_u64 v[32:33], v[32:33], 0, 2
	s_addc_u32 s43, s27, -1
	s_mov_b64 s[44:45], 0
	s_mov_b64 s[48:49], 0
                                        ; implicit-def: $sgpr46_sgpr47
	s_branch .LBB1354_168
.LBB1354_166:                           ;   in Loop: Header=BB1354_168 Depth=1
	global_load_ushort v34, v[32:33], off
	global_load_ushort v35, v[30:31], off
	s_add_u32 s48, s48, 1
	s_addc_u32 s49, s49, 0
	s_andn2_b64 s[46:47], s[46:47], exec
	v_lshl_add_u64 v[30:31], v[30:31], 0, 2
	v_lshl_add_u64 v[32:33], v[32:33], 0, 2
	s_waitcnt vmcnt(0)
	v_cmp_neq_f16_e32 vcc, v34, v35
	s_and_b64 s[50:51], vcc, exec
	s_or_b64 s[46:47], s[46:47], s[50:51]
.LBB1354_167:                           ;   in Loop: Header=BB1354_168 Depth=1
	s_and_b64 s[50:51], exec, s[46:47]
	s_or_b64 s[44:45], s[50:51], s[44:45]
	v_mov_b64_e32 v[34:35], s[48:49]
	s_andn2_b64 exec, exec, s[44:45]
	s_cbranch_execz .LBB1354_170
.LBB1354_168:                           ; =>This Inner Loop Header: Depth=1
	s_or_b64 s[46:47], s[46:47], exec
	s_cmp_eq_u64 s[42:43], s[48:49]
	s_cbranch_scc0 .LBB1354_166
; %bb.169:                              ;   in Loop: Header=BB1354_168 Depth=1
                                        ; implicit-def: $vgpr30_vgpr31
                                        ; implicit-def: $vgpr32_vgpr33
	s_mov_b64 s[48:49], s[26:27]
	s_branch .LBB1354_167
.LBB1354_170:
	s_or_b64 exec, exec, s[44:45]
	v_cmp_gt_i64_e32 vcc, s[26:27], v[34:35]
	s_orn2_b64 s[42:43], vcc, exec
.LBB1354_171:
	s_or_b64 exec, exec, s[36:37]
.LBB1354_172:
	s_and_b64 s[36:37], s[42:43], exec
.LBB1354_173:
	s_or_b64 exec, exec, s[40:41]
	v_cmp_ne_u32_e32 vcc, 0, v0
	s_waitcnt lgkmcnt(0)
	v_mov_b64_e32 v[30:31], s[6:7]
	s_barrier
	s_and_saveexec_b64 s[6:7], vcc
	s_cbranch_execz .LBB1354_175
; %bb.174:
	v_add_u32_e32 v30, -8, v45
	ds_read_b64 v[30:31], v30
.LBB1354_175:
	s_or_b64 exec, exec, s[6:7]
	v_cndmask_b32_e64 v33, 0, 1, s[18:19]
	v_cndmask_b32_e64 v32, 0, 1, s[38:39]
	;; [unrolled: 1-line block ×3, first 2 shown]
	v_lshlrev_b16_e32 v33, 8, v33
	v_cmp_gt_u32_e32 vcc, s3, v1
	v_lshlrev_b16_e32 v36, 8, v34
	v_or_b32_sdwa v37, v32, v33 dst_sel:WORD_1 dst_unused:UNUSED_PAD src0_sel:DWORD src1_sel:DWORD
	s_mov_b64 s[18:19], 0
	s_and_saveexec_b64 s[6:7], vcc
	s_cbranch_execz .LBB1354_186
; %bb.176:
	s_and_b64 vcc, exec, s[4:5]
	s_cbranch_vccnz .LBB1354_185
; %bb.177:
	s_waitcnt lgkmcnt(0)
	v_mul_lo_u32 v32, v31, s26
	v_mul_lo_u32 v33, v30, s27
	v_mad_u64_u32 v[30:31], s[4:5], v30, s26, 0
	v_add3_u32 v31, v31, v33, v32
	v_mul_lo_u32 v32, v23, s26
	v_mul_lo_u32 v33, v22, s27
	v_mad_u64_u32 v[34:35], s[4:5], v22, s26, 0
	v_add3_u32 v35, v35, v33, v32
	v_lshl_add_u64 v[32:33], v[30:31], 1, s[28:29]
	v_lshl_add_u64 v[30:31], v[34:35], 1, s[28:29]
	global_load_ushort v34, v[32:33], off
	global_load_ushort v35, v[30:31], off
	s_mov_b64 s[18:19], -1
	s_waitcnt vmcnt(0)
	v_cmp_eq_f16_e32 vcc, v34, v35
	s_and_saveexec_b64 s[4:5], vcc
	s_cbranch_execz .LBB1354_184
; %bb.178:
	s_add_u32 s18, s26, -1
	v_lshl_add_u64 v[30:31], v[30:31], 0, 2
	v_lshl_add_u64 v[32:33], v[32:33], 0, 2
	s_addc_u32 s19, s27, -1
	s_mov_b64 s[36:37], 0
	s_mov_b64 s[40:41], 0
                                        ; implicit-def: $sgpr38_sgpr39
	s_branch .LBB1354_181
.LBB1354_179:                           ;   in Loop: Header=BB1354_181 Depth=1
	global_load_ushort v34, v[32:33], off
	global_load_ushort v35, v[30:31], off
	s_add_u32 s40, s40, 1
	s_addc_u32 s41, s41, 0
	s_andn2_b64 s[38:39], s[38:39], exec
	v_lshl_add_u64 v[30:31], v[30:31], 0, 2
	v_lshl_add_u64 v[32:33], v[32:33], 0, 2
	s_waitcnt vmcnt(0)
	v_cmp_neq_f16_e32 vcc, v34, v35
	s_and_b64 s[42:43], vcc, exec
	s_or_b64 s[38:39], s[38:39], s[42:43]
.LBB1354_180:                           ;   in Loop: Header=BB1354_181 Depth=1
	s_and_b64 s[42:43], exec, s[38:39]
	s_or_b64 s[36:37], s[42:43], s[36:37]
	v_mov_b64_e32 v[34:35], s[40:41]
	s_andn2_b64 exec, exec, s[36:37]
	s_cbranch_execz .LBB1354_183
.LBB1354_181:                           ; =>This Inner Loop Header: Depth=1
	s_or_b64 s[38:39], s[38:39], exec
	s_cmp_eq_u64 s[18:19], s[40:41]
	s_cbranch_scc0 .LBB1354_179
; %bb.182:                              ;   in Loop: Header=BB1354_181 Depth=1
                                        ; implicit-def: $vgpr30_vgpr31
                                        ; implicit-def: $vgpr32_vgpr33
	s_mov_b64 s[40:41], s[26:27]
	s_branch .LBB1354_180
.LBB1354_183:
	s_or_b64 exec, exec, s[36:37]
	v_cmp_gt_i64_e32 vcc, s[26:27], v[34:35]
	s_orn2_b64 s[18:19], vcc, exec
.LBB1354_184:
	s_or_b64 exec, exec, s[4:5]
.LBB1354_185:
	s_and_b64 s[18:19], s[18:19], exec
.LBB1354_186:
	s_or_b64 exec, exec, s[6:7]
	v_cndmask_b32_e64 v46, 0, 1, s[14:15]
	v_cndmask_b32_e64 v47, 0, 1, s[12:13]
	;; [unrolled: 1-line block ×3, first 2 shown]
	v_or_b32_e32 v34, v36, v37
.LBB1354_187:
	s_mov_b64 s[10:11], -1
	s_cbranch_execnz .LBB1354_46
.LBB1354_188:
	s_movk_i32 s4, 0xffd0
	v_mad_i32_i24 v44, v0, s4, v44
	s_mov_b64 s[12:13], 0
	s_waitcnt lgkmcnt(0)
	v_cmp_gt_i64_e64 s[6:7], s[26:27], 0
	s_and_b64 vcc, exec, s[34:35]
	ds_write_b64 v44, v[28:29]
	s_cbranch_vccz .LBB1354_196
; %bb.189:
	v_mul_lo_u32 v32, v17, s26
	v_mul_lo_u32 v33, v16, s27
	v_mad_u64_u32 v[30:31], s[4:5], v16, s26, 0
	v_add3_u32 v31, v31, v33, v32
	v_cndmask_b32_e64 v32, 0, 1, s[6:7]
	v_cmp_ne_u32_e64 s[4:5], 1, v32
	s_andn2_b64 vcc, exec, s[6:7]
	v_lshl_add_u64 v[30:31], v[30:31], 1, s[28:29]
	s_cbranch_vccnz .LBB1354_199
; %bb.190:
	v_mul_lo_u32 v34, v29, s26
	v_mul_lo_u32 v35, v28, s27
	v_mad_u64_u32 v[32:33], s[12:13], v28, s26, 0
	v_add3_u32 v33, v33, v35, v34
	v_lshl_add_u64 v[32:33], v[32:33], 1, s[28:29]
	global_load_ushort v34, v[30:31], off
	global_load_ushort v35, v[32:33], off
	s_mov_b64 s[12:13], -1
	s_waitcnt vmcnt(0)
	v_cmp_eq_f16_e32 vcc, v34, v35
	s_and_saveexec_b64 s[14:15], vcc
	s_cbranch_execz .LBB1354_198
; %bb.191:
	s_add_u32 s12, s26, -1
	v_lshl_add_u64 v[32:33], v[32:33], 0, 2
	v_lshl_add_u64 v[34:35], v[30:31], 0, 2
	s_addc_u32 s13, s27, -1
	s_mov_b64 s[18:19], 0
	s_mov_b64 s[38:39], 0
                                        ; implicit-def: $sgpr36_sgpr37
	s_branch .LBB1354_194
.LBB1354_192:                           ;   in Loop: Header=BB1354_194 Depth=1
	global_load_ushort v36, v[34:35], off
	global_load_ushort v37, v[32:33], off
	s_add_u32 s38, s38, 1
	s_addc_u32 s39, s39, 0
	s_andn2_b64 s[36:37], s[36:37], exec
	v_lshl_add_u64 v[32:33], v[32:33], 0, 2
	v_lshl_add_u64 v[34:35], v[34:35], 0, 2
	s_waitcnt vmcnt(0)
	v_cmp_neq_f16_e32 vcc, v36, v37
	s_and_b64 s[40:41], vcc, exec
	s_or_b64 s[36:37], s[36:37], s[40:41]
.LBB1354_193:                           ;   in Loop: Header=BB1354_194 Depth=1
	s_and_b64 s[40:41], exec, s[36:37]
	s_or_b64 s[18:19], s[40:41], s[18:19]
	v_mov_b64_e32 v[36:37], s[38:39]
	s_andn2_b64 exec, exec, s[18:19]
	s_cbranch_execz .LBB1354_197
.LBB1354_194:                           ; =>This Inner Loop Header: Depth=1
	s_or_b64 s[36:37], s[36:37], exec
	s_cmp_eq_u64 s[12:13], s[38:39]
	s_cbranch_scc0 .LBB1354_192
; %bb.195:                              ;   in Loop: Header=BB1354_194 Depth=1
                                        ; implicit-def: $vgpr32_vgpr33
                                        ; implicit-def: $vgpr34_vgpr35
	s_mov_b64 s[38:39], s[26:27]
	s_branch .LBB1354_193
.LBB1354_196:
                                        ; implicit-def: $sgpr18_sgpr19
                                        ; implicit-def: $vgpr48
                                        ; implicit-def: $vgpr47
                                        ; implicit-def: $vgpr46
                                        ; implicit-def: $vgpr34
                                        ; implicit-def: $vgpr30_vgpr31
	s_cbranch_execnz .LBB1354_256
	s_branch .LBB1354_336
.LBB1354_197:
	s_or_b64 exec, exec, s[18:19]
	v_cmp_gt_i64_e32 vcc, s[26:27], v[36:37]
	s_orn2_b64 s[12:13], vcc, exec
.LBB1354_198:
	s_or_b64 exec, exec, s[14:15]
.LBB1354_199:
	v_mul_lo_u32 v34, v15, s26
	v_mul_lo_u32 v35, v14, s27
	v_mad_u64_u32 v[32:33], s[14:15], v14, s26, 0
	v_add3_u32 v33, v33, v35, v34
	s_mov_b64 s[14:15], 0
	s_and_b64 vcc, exec, s[4:5]
	v_lshl_add_u64 v[32:33], v[32:33], 1, s[28:29]
	s_mov_b64 s[18:19], 0
	s_cbranch_vccnz .LBB1354_208
; %bb.200:
	global_load_ushort v34, v[32:33], off
	global_load_ushort v35, v[30:31], off
	s_mov_b64 s[18:19], -1
	s_waitcnt vmcnt(0)
	v_cmp_eq_f16_e32 vcc, v34, v35
	s_and_saveexec_b64 s[36:37], vcc
	s_cbranch_execz .LBB1354_207
; %bb.201:
	s_add_u32 s18, s26, -1
	v_lshl_add_u64 v[30:31], v[30:31], 0, 2
	v_lshl_add_u64 v[34:35], v[32:33], 0, 2
	s_addc_u32 s19, s27, -1
	s_mov_b64 s[38:39], 0
	s_mov_b64 s[42:43], 0
                                        ; implicit-def: $sgpr40_sgpr41
	s_branch .LBB1354_204
.LBB1354_202:                           ;   in Loop: Header=BB1354_204 Depth=1
	global_load_ushort v36, v[34:35], off
	global_load_ushort v37, v[30:31], off
	s_add_u32 s42, s42, 1
	s_addc_u32 s43, s43, 0
	s_andn2_b64 s[40:41], s[40:41], exec
	v_lshl_add_u64 v[30:31], v[30:31], 0, 2
	v_lshl_add_u64 v[34:35], v[34:35], 0, 2
	s_waitcnt vmcnt(0)
	v_cmp_neq_f16_e32 vcc, v36, v37
	s_and_b64 s[44:45], vcc, exec
	s_or_b64 s[40:41], s[40:41], s[44:45]
.LBB1354_203:                           ;   in Loop: Header=BB1354_204 Depth=1
	s_and_b64 s[44:45], exec, s[40:41]
	s_or_b64 s[38:39], s[44:45], s[38:39]
	v_mov_b64_e32 v[36:37], s[42:43]
	s_andn2_b64 exec, exec, s[38:39]
	s_cbranch_execz .LBB1354_206
.LBB1354_204:                           ; =>This Inner Loop Header: Depth=1
	s_or_b64 s[40:41], s[40:41], exec
	s_cmp_eq_u64 s[18:19], s[42:43]
	s_cbranch_scc0 .LBB1354_202
; %bb.205:                              ;   in Loop: Header=BB1354_204 Depth=1
                                        ; implicit-def: $vgpr30_vgpr31
                                        ; implicit-def: $vgpr34_vgpr35
	s_mov_b64 s[42:43], s[26:27]
	s_branch .LBB1354_203
.LBB1354_206:
	s_or_b64 exec, exec, s[38:39]
	v_cmp_gt_i64_e32 vcc, s[26:27], v[36:37]
	s_orn2_b64 s[18:19], vcc, exec
.LBB1354_207:
	s_or_b64 exec, exec, s[36:37]
.LBB1354_208:
	v_mul_lo_u32 v34, v21, s26
	v_mul_lo_u32 v35, v20, s27
	v_mad_u64_u32 v[30:31], s[36:37], v20, s26, 0
	v_add3_u32 v31, v31, v35, v34
	s_and_b64 vcc, exec, s[4:5]
	v_lshl_add_u64 v[30:31], v[30:31], 1, s[28:29]
	s_cbranch_vccnz .LBB1354_217
; %bb.209:
	global_load_ushort v34, v[30:31], off
	global_load_ushort v35, v[32:33], off
	s_mov_b64 s[14:15], -1
	s_waitcnt vmcnt(0)
	v_cmp_eq_f16_e32 vcc, v34, v35
	s_and_saveexec_b64 s[36:37], vcc
	s_cbranch_execz .LBB1354_216
; %bb.210:
	s_add_u32 s14, s26, -1
	v_lshl_add_u64 v[32:33], v[32:33], 0, 2
	v_lshl_add_u64 v[34:35], v[30:31], 0, 2
	s_addc_u32 s15, s27, -1
	s_mov_b64 s[38:39], 0
	s_mov_b64 s[42:43], 0
                                        ; implicit-def: $sgpr40_sgpr41
	s_branch .LBB1354_213
.LBB1354_211:                           ;   in Loop: Header=BB1354_213 Depth=1
	global_load_ushort v36, v[34:35], off
	global_load_ushort v37, v[32:33], off
	s_add_u32 s42, s42, 1
	s_addc_u32 s43, s43, 0
	s_andn2_b64 s[40:41], s[40:41], exec
	v_lshl_add_u64 v[32:33], v[32:33], 0, 2
	v_lshl_add_u64 v[34:35], v[34:35], 0, 2
	s_waitcnt vmcnt(0)
	v_cmp_neq_f16_e32 vcc, v36, v37
	s_and_b64 s[44:45], vcc, exec
	s_or_b64 s[40:41], s[40:41], s[44:45]
.LBB1354_212:                           ;   in Loop: Header=BB1354_213 Depth=1
	s_and_b64 s[44:45], exec, s[40:41]
	s_or_b64 s[38:39], s[44:45], s[38:39]
	v_mov_b64_e32 v[36:37], s[42:43]
	s_andn2_b64 exec, exec, s[38:39]
	s_cbranch_execz .LBB1354_215
.LBB1354_213:                           ; =>This Inner Loop Header: Depth=1
	s_or_b64 s[40:41], s[40:41], exec
	s_cmp_eq_u64 s[14:15], s[42:43]
	s_cbranch_scc0 .LBB1354_211
; %bb.214:                              ;   in Loop: Header=BB1354_213 Depth=1
                                        ; implicit-def: $vgpr32_vgpr33
                                        ; implicit-def: $vgpr34_vgpr35
	s_mov_b64 s[42:43], s[26:27]
	s_branch .LBB1354_212
.LBB1354_215:
	s_or_b64 exec, exec, s[38:39]
	v_cmp_gt_i64_e32 vcc, s[26:27], v[36:37]
	s_orn2_b64 s[14:15], vcc, exec
.LBB1354_216:
	s_or_b64 exec, exec, s[36:37]
.LBB1354_217:
	v_mul_lo_u32 v34, v19, s26
	v_mul_lo_u32 v35, v18, s27
	v_mad_u64_u32 v[32:33], s[36:37], v18, s26, 0
	v_add3_u32 v33, v33, v35, v34
	s_mov_b64 s[36:37], 0
	s_and_b64 vcc, exec, s[4:5]
	v_lshl_add_u64 v[32:33], v[32:33], 1, s[28:29]
	s_mov_b64 s[38:39], 0
	s_cbranch_vccnz .LBB1354_226
; %bb.218:
	global_load_ushort v34, v[32:33], off
	global_load_ushort v35, v[30:31], off
	s_mov_b64 s[38:39], -1
	s_waitcnt vmcnt(0)
	v_cmp_eq_f16_e32 vcc, v34, v35
	s_and_saveexec_b64 s[40:41], vcc
	s_cbranch_execz .LBB1354_225
; %bb.219:
	s_add_u32 s38, s26, -1
	v_lshl_add_u64 v[30:31], v[30:31], 0, 2
	v_lshl_add_u64 v[34:35], v[32:33], 0, 2
	s_addc_u32 s39, s27, -1
	s_mov_b64 s[42:43], 0
	s_mov_b64 s[46:47], 0
                                        ; implicit-def: $sgpr44_sgpr45
	s_branch .LBB1354_222
.LBB1354_220:                           ;   in Loop: Header=BB1354_222 Depth=1
	global_load_ushort v36, v[34:35], off
	global_load_ushort v37, v[30:31], off
	s_add_u32 s46, s46, 1
	s_addc_u32 s47, s47, 0
	s_andn2_b64 s[44:45], s[44:45], exec
	v_lshl_add_u64 v[30:31], v[30:31], 0, 2
	v_lshl_add_u64 v[34:35], v[34:35], 0, 2
	s_waitcnt vmcnt(0)
	v_cmp_neq_f16_e32 vcc, v36, v37
	s_and_b64 s[48:49], vcc, exec
	s_or_b64 s[44:45], s[44:45], s[48:49]
.LBB1354_221:                           ;   in Loop: Header=BB1354_222 Depth=1
	s_and_b64 s[48:49], exec, s[44:45]
	s_or_b64 s[42:43], s[48:49], s[42:43]
	v_mov_b64_e32 v[36:37], s[46:47]
	s_andn2_b64 exec, exec, s[42:43]
	s_cbranch_execz .LBB1354_224
.LBB1354_222:                           ; =>This Inner Loop Header: Depth=1
	s_or_b64 s[44:45], s[44:45], exec
	s_cmp_eq_u64 s[38:39], s[46:47]
	s_cbranch_scc0 .LBB1354_220
; %bb.223:                              ;   in Loop: Header=BB1354_222 Depth=1
                                        ; implicit-def: $vgpr30_vgpr31
                                        ; implicit-def: $vgpr34_vgpr35
	s_mov_b64 s[46:47], s[26:27]
	s_branch .LBB1354_221
.LBB1354_224:
	s_or_b64 exec, exec, s[42:43]
	v_cmp_gt_i64_e32 vcc, s[26:27], v[36:37]
	s_orn2_b64 s[38:39], vcc, exec
.LBB1354_225:
	s_or_b64 exec, exec, s[40:41]
.LBB1354_226:
	v_mul_lo_u32 v34, v25, s26
	v_mul_lo_u32 v35, v24, s27
	v_mad_u64_u32 v[30:31], s[40:41], v24, s26, 0
	v_add3_u32 v31, v31, v35, v34
	s_and_b64 vcc, exec, s[4:5]
	v_lshl_add_u64 v[30:31], v[30:31], 1, s[28:29]
	s_cbranch_vccnz .LBB1354_235
; %bb.227:
	global_load_ushort v34, v[30:31], off
	global_load_ushort v35, v[32:33], off
	s_mov_b64 s[36:37], -1
	s_waitcnt vmcnt(0)
	v_cmp_eq_f16_e32 vcc, v34, v35
	s_and_saveexec_b64 s[40:41], vcc
	s_cbranch_execz .LBB1354_234
; %bb.228:
	s_add_u32 s36, s26, -1
	v_lshl_add_u64 v[32:33], v[32:33], 0, 2
	v_lshl_add_u64 v[34:35], v[30:31], 0, 2
	s_addc_u32 s37, s27, -1
	s_mov_b64 s[42:43], 0
	s_mov_b64 s[46:47], 0
                                        ; implicit-def: $sgpr44_sgpr45
	s_branch .LBB1354_231
.LBB1354_229:                           ;   in Loop: Header=BB1354_231 Depth=1
	global_load_ushort v36, v[34:35], off
	global_load_ushort v37, v[32:33], off
	s_add_u32 s46, s46, 1
	s_addc_u32 s47, s47, 0
	s_andn2_b64 s[44:45], s[44:45], exec
	v_lshl_add_u64 v[32:33], v[32:33], 0, 2
	v_lshl_add_u64 v[34:35], v[34:35], 0, 2
	s_waitcnt vmcnt(0)
	v_cmp_neq_f16_e32 vcc, v36, v37
	s_and_b64 s[48:49], vcc, exec
	s_or_b64 s[44:45], s[44:45], s[48:49]
.LBB1354_230:                           ;   in Loop: Header=BB1354_231 Depth=1
	s_and_b64 s[48:49], exec, s[44:45]
	s_or_b64 s[42:43], s[48:49], s[42:43]
	v_mov_b64_e32 v[36:37], s[46:47]
	s_andn2_b64 exec, exec, s[42:43]
	s_cbranch_execz .LBB1354_233
.LBB1354_231:                           ; =>This Inner Loop Header: Depth=1
	s_or_b64 s[44:45], s[44:45], exec
	s_cmp_eq_u64 s[36:37], s[46:47]
	s_cbranch_scc0 .LBB1354_229
; %bb.232:                              ;   in Loop: Header=BB1354_231 Depth=1
                                        ; implicit-def: $vgpr32_vgpr33
                                        ; implicit-def: $vgpr34_vgpr35
	s_mov_b64 s[46:47], s[26:27]
	s_branch .LBB1354_230
.LBB1354_233:
	s_or_b64 exec, exec, s[42:43]
	v_cmp_gt_i64_e32 vcc, s[26:27], v[36:37]
	s_orn2_b64 s[36:37], vcc, exec
.LBB1354_234:
	s_or_b64 exec, exec, s[40:41]
.LBB1354_235:
	v_mul_lo_u32 v34, v23, s26
	v_mul_lo_u32 v35, v22, s27
	v_mad_u64_u32 v[32:33], s[40:41], v22, s26, 0
	v_add3_u32 v33, v33, v35, v34
	s_and_b64 vcc, exec, s[4:5]
	s_mov_b64 s[42:43], 0
	s_cbranch_vccnz .LBB1354_244
; %bb.236:
	v_lshl_add_u64 v[34:35], v[32:33], 1, s[28:29]
	global_load_ushort v36, v[34:35], off
	global_load_ushort v37, v[30:31], off
	s_mov_b64 s[42:43], -1
	s_waitcnt vmcnt(0)
	v_cmp_eq_f16_e32 vcc, v36, v37
	s_and_saveexec_b64 s[40:41], vcc
	s_cbranch_execz .LBB1354_243
; %bb.237:
	s_add_u32 s42, s26, -1
	v_lshl_add_u64 v[30:31], v[30:31], 0, 2
	v_lshl_add_u64 v[34:35], v[34:35], 0, 2
	s_addc_u32 s43, s27, -1
	s_mov_b64 s[44:45], 0
	s_mov_b64 s[48:49], 0
                                        ; implicit-def: $sgpr46_sgpr47
	s_branch .LBB1354_240
.LBB1354_238:                           ;   in Loop: Header=BB1354_240 Depth=1
	global_load_ushort v36, v[34:35], off
	global_load_ushort v37, v[30:31], off
	s_add_u32 s48, s48, 1
	s_addc_u32 s49, s49, 0
	s_andn2_b64 s[46:47], s[46:47], exec
	v_lshl_add_u64 v[30:31], v[30:31], 0, 2
	v_lshl_add_u64 v[34:35], v[34:35], 0, 2
	s_waitcnt vmcnt(0)
	v_cmp_neq_f16_e32 vcc, v36, v37
	s_and_b64 s[50:51], vcc, exec
	s_or_b64 s[46:47], s[46:47], s[50:51]
.LBB1354_239:                           ;   in Loop: Header=BB1354_240 Depth=1
	s_and_b64 s[50:51], exec, s[46:47]
	s_or_b64 s[44:45], s[50:51], s[44:45]
	v_mov_b64_e32 v[36:37], s[48:49]
	s_andn2_b64 exec, exec, s[44:45]
	s_cbranch_execz .LBB1354_242
.LBB1354_240:                           ; =>This Inner Loop Header: Depth=1
	s_or_b64 s[46:47], s[46:47], exec
	s_cmp_eq_u64 s[42:43], s[48:49]
	s_cbranch_scc0 .LBB1354_238
; %bb.241:                              ;   in Loop: Header=BB1354_240 Depth=1
                                        ; implicit-def: $vgpr30_vgpr31
                                        ; implicit-def: $vgpr34_vgpr35
	s_mov_b64 s[48:49], s[26:27]
	s_branch .LBB1354_239
.LBB1354_242:
	s_or_b64 exec, exec, s[44:45]
	v_cmp_gt_i64_e32 vcc, s[26:27], v[36:37]
	s_orn2_b64 s[42:43], vcc, exec
.LBB1354_243:
	s_or_b64 exec, exec, s[40:41]
.LBB1354_244:
	v_cndmask_b32_e64 v31, 0, 1, s[38:39]
	v_cndmask_b32_e64 v30, 0, 1, s[36:37]
	;; [unrolled: 1-line block ×3, first 2 shown]
	v_lshlrev_b16_e32 v31, 8, v31
	v_cndmask_b32_e64 v46, 0, 1, s[14:15]
	v_cndmask_b32_e64 v34, 0, 1, s[42:43]
	v_or_b32_sdwa v30, v30, v31 dst_sel:WORD_1 dst_unused:UNUSED_PAD src0_sel:DWORD src1_sel:DWORD
	v_lshlrev_b16_e32 v31, 8, v47
	v_lshlrev_b16_e32 v34, 8, v34
	v_or_b32_e32 v31, v46, v31
	v_or_b32_e32 v34, 1, v34
	v_and_b32_e32 v31, 0xffff, v31
	v_cndmask_b32_e64 v48, 0, 1, s[12:13]
	v_or_b32_sdwa v30, v34, v30 dst_sel:DWORD dst_unused:UNUSED_PAD src0_sel:WORD_0 src1_sel:DWORD
	v_lshl_or_b32 v31, v48, 16, v31
	v_cmp_ne_u32_e32 vcc, 0, v0
	s_waitcnt lgkmcnt(0)
	s_barrier
	s_waitcnt lgkmcnt(0)
                                        ; implicit-def: $sgpr18_sgpr19
                                        ; implicit-def: $vgpr34
	s_and_saveexec_b64 s[12:13], vcc
	s_xor_b64 s[12:13], exec, s[12:13]
	s_cbranch_execz .LBB1354_255
; %bb.245:
	s_mov_b32 s33, 0x3020104
	s_and_b64 vcc, exec, s[4:5]
	s_mov_b64 s[14:15], 0
	s_cbranch_vccnz .LBB1354_254
; %bb.246:
	v_add_u32_e32 v31, -8, v44
	ds_read_b64 v[34:35], v31
	v_lshl_add_u64 v[32:33], v[32:33], 1, s[28:29]
	s_mov_b64 s[14:15], -1
	s_waitcnt lgkmcnt(0)
	v_mul_lo_u32 v31, v35, s26
	v_mul_lo_u32 v36, v34, s27
	v_mad_u64_u32 v[34:35], s[4:5], v34, s26, 0
	v_add3_u32 v35, v35, v36, v31
	v_lshl_add_u64 v[34:35], v[34:35], 1, s[28:29]
	global_load_ushort v31, v[34:35], off
	global_load_ushort v36, v[32:33], off
	s_waitcnt vmcnt(0)
	v_cmp_eq_f16_e32 vcc, v31, v36
	s_and_saveexec_b64 s[4:5], vcc
	s_cbranch_execz .LBB1354_253
; %bb.247:
	s_add_u32 s14, s26, -1
	v_lshl_add_u64 v[32:33], v[32:33], 0, 2
	v_lshl_add_u64 v[34:35], v[34:35], 0, 2
	s_addc_u32 s15, s27, -1
	s_mov_b64 s[18:19], 0
	s_mov_b64 s[38:39], 0
                                        ; implicit-def: $sgpr36_sgpr37
	s_branch .LBB1354_250
.LBB1354_248:                           ;   in Loop: Header=BB1354_250 Depth=1
	global_load_ushort v31, v[34:35], off
	global_load_ushort v36, v[32:33], off
	s_add_u32 s38, s38, 1
	s_addc_u32 s39, s39, 0
	s_andn2_b64 s[36:37], s[36:37], exec
	v_lshl_add_u64 v[32:33], v[32:33], 0, 2
	v_lshl_add_u64 v[34:35], v[34:35], 0, 2
	s_waitcnt vmcnt(0)
	v_cmp_neq_f16_e32 vcc, v31, v36
	s_and_b64 s[40:41], vcc, exec
	s_or_b64 s[36:37], s[36:37], s[40:41]
.LBB1354_249:                           ;   in Loop: Header=BB1354_250 Depth=1
	s_and_b64 s[40:41], exec, s[36:37]
	s_or_b64 s[18:19], s[40:41], s[18:19]
	v_mov_b64_e32 v[36:37], s[38:39]
	s_andn2_b64 exec, exec, s[18:19]
	s_cbranch_execz .LBB1354_252
.LBB1354_250:                           ; =>This Inner Loop Header: Depth=1
	s_or_b64 s[36:37], s[36:37], exec
	s_cmp_eq_u64 s[14:15], s[38:39]
	s_cbranch_scc0 .LBB1354_248
; %bb.251:                              ;   in Loop: Header=BB1354_250 Depth=1
                                        ; implicit-def: $vgpr32_vgpr33
                                        ; implicit-def: $vgpr34_vgpr35
	s_mov_b64 s[38:39], s[26:27]
	s_branch .LBB1354_249
.LBB1354_252:
	s_or_b64 exec, exec, s[18:19]
	v_cmp_gt_i64_e32 vcc, s[26:27], v[36:37]
	s_orn2_b64 s[14:15], vcc, exec
.LBB1354_253:
	s_or_b64 exec, exec, s[4:5]
.LBB1354_254:
	v_perm_b32 v34, v30, v30, s33
	s_and_b64 s[18:19], s[14:15], exec
	s_or_b64 s[10:11], s[10:11], exec
                                        ; implicit-def: $vgpr30_vgpr31
.LBB1354_255:
	s_or_b64 exec, exec, s[12:13]
	s_branch .LBB1354_336
.LBB1354_256:
	v_cmp_gt_u32_e32 vcc, s3, v40
	s_mov_b64 s[12:13], 0
	s_mov_b64 s[4:5], 0
	s_and_saveexec_b64 s[14:15], vcc
	s_cbranch_execz .LBB1354_267
; %bb.257:
	s_andn2_b64 vcc, exec, s[6:7]
	s_mov_b64 s[18:19], 0
	s_cbranch_vccnz .LBB1354_266
; %bb.258:
	v_mul_lo_u32 v32, v17, s26
	v_mul_lo_u32 v33, v16, s27
	v_mad_u64_u32 v[30:31], s[4:5], v16, s26, 0
	v_add3_u32 v31, v31, v33, v32
	v_mul_lo_u32 v32, v29, s26
	v_mul_lo_u32 v33, v28, s27
	v_mad_u64_u32 v[34:35], s[4:5], v28, s26, 0
	v_add3_u32 v35, v35, v33, v32
	v_lshl_add_u64 v[32:33], v[30:31], 1, s[28:29]
	v_lshl_add_u64 v[30:31], v[34:35], 1, s[28:29]
	global_load_ushort v34, v[32:33], off
	global_load_ushort v35, v[30:31], off
	s_mov_b64 s[18:19], -1
	s_waitcnt vmcnt(0)
	v_cmp_eq_f16_e32 vcc, v34, v35
	s_and_saveexec_b64 s[4:5], vcc
	s_cbranch_execz .LBB1354_265
; %bb.259:
	s_add_u32 s18, s26, -1
	v_lshl_add_u64 v[30:31], v[30:31], 0, 2
	v_lshl_add_u64 v[32:33], v[32:33], 0, 2
	s_addc_u32 s19, s27, -1
	s_mov_b64 s[36:37], 0
	s_mov_b64 s[40:41], 0
                                        ; implicit-def: $sgpr38_sgpr39
	s_branch .LBB1354_262
.LBB1354_260:                           ;   in Loop: Header=BB1354_262 Depth=1
	global_load_ushort v34, v[32:33], off
	global_load_ushort v35, v[30:31], off
	s_add_u32 s40, s40, 1
	s_addc_u32 s41, s41, 0
	s_andn2_b64 s[38:39], s[38:39], exec
	v_lshl_add_u64 v[30:31], v[30:31], 0, 2
	v_lshl_add_u64 v[32:33], v[32:33], 0, 2
	s_waitcnt vmcnt(0)
	v_cmp_neq_f16_e32 vcc, v34, v35
	s_and_b64 s[42:43], vcc, exec
	s_or_b64 s[38:39], s[38:39], s[42:43]
.LBB1354_261:                           ;   in Loop: Header=BB1354_262 Depth=1
	s_and_b64 s[42:43], exec, s[38:39]
	s_or_b64 s[36:37], s[42:43], s[36:37]
	v_mov_b64_e32 v[34:35], s[40:41]
	s_andn2_b64 exec, exec, s[36:37]
	s_cbranch_execz .LBB1354_264
.LBB1354_262:                           ; =>This Inner Loop Header: Depth=1
	s_or_b64 s[38:39], s[38:39], exec
	s_cmp_eq_u64 s[18:19], s[40:41]
	s_cbranch_scc0 .LBB1354_260
; %bb.263:                              ;   in Loop: Header=BB1354_262 Depth=1
                                        ; implicit-def: $vgpr30_vgpr31
                                        ; implicit-def: $vgpr32_vgpr33
	s_mov_b64 s[40:41], s[26:27]
	s_branch .LBB1354_261
.LBB1354_264:
	s_or_b64 exec, exec, s[36:37]
	v_cmp_gt_i64_e32 vcc, s[26:27], v[34:35]
	s_orn2_b64 s[18:19], vcc, exec
.LBB1354_265:
	s_or_b64 exec, exec, s[4:5]
.LBB1354_266:
	s_and_b64 s[4:5], s[18:19], exec
.LBB1354_267:
	s_or_b64 exec, exec, s[14:15]
	v_cmp_gt_u32_e32 vcc, s3, v43
	s_and_saveexec_b64 s[14:15], vcc
	s_cbranch_execz .LBB1354_278
; %bb.268:
	s_andn2_b64 vcc, exec, s[6:7]
	s_mov_b64 s[18:19], 0
	s_cbranch_vccnz .LBB1354_277
; %bb.269:
	v_mul_lo_u32 v32, v15, s26
	v_mul_lo_u32 v33, v14, s27
	v_mad_u64_u32 v[30:31], s[12:13], v14, s26, 0
	v_add3_u32 v31, v31, v33, v32
	v_mul_lo_u32 v32, v17, s26
	v_mul_lo_u32 v33, v16, s27
	v_mad_u64_u32 v[34:35], s[12:13], v16, s26, 0
	v_add3_u32 v35, v35, v33, v32
	v_lshl_add_u64 v[32:33], v[30:31], 1, s[28:29]
	v_lshl_add_u64 v[30:31], v[34:35], 1, s[28:29]
	global_load_ushort v34, v[32:33], off
	global_load_ushort v35, v[30:31], off
	s_mov_b64 s[18:19], -1
	s_waitcnt vmcnt(0)
	v_cmp_eq_f16_e32 vcc, v34, v35
	s_and_saveexec_b64 s[12:13], vcc
	s_cbranch_execz .LBB1354_276
; %bb.270:
	s_add_u32 s18, s26, -1
	v_lshl_add_u64 v[30:31], v[30:31], 0, 2
	v_lshl_add_u64 v[32:33], v[32:33], 0, 2
	s_addc_u32 s19, s27, -1
	s_mov_b64 s[36:37], 0
	s_mov_b64 s[40:41], 0
                                        ; implicit-def: $sgpr38_sgpr39
	s_branch .LBB1354_273
.LBB1354_271:                           ;   in Loop: Header=BB1354_273 Depth=1
	global_load_ushort v34, v[32:33], off
	global_load_ushort v35, v[30:31], off
	s_add_u32 s40, s40, 1
	s_addc_u32 s41, s41, 0
	s_andn2_b64 s[38:39], s[38:39], exec
	v_lshl_add_u64 v[30:31], v[30:31], 0, 2
	v_lshl_add_u64 v[32:33], v[32:33], 0, 2
	s_waitcnt vmcnt(0)
	v_cmp_neq_f16_e32 vcc, v34, v35
	s_and_b64 s[42:43], vcc, exec
	s_or_b64 s[38:39], s[38:39], s[42:43]
.LBB1354_272:                           ;   in Loop: Header=BB1354_273 Depth=1
	s_and_b64 s[42:43], exec, s[38:39]
	s_or_b64 s[36:37], s[42:43], s[36:37]
	v_mov_b64_e32 v[34:35], s[40:41]
	s_andn2_b64 exec, exec, s[36:37]
	s_cbranch_execz .LBB1354_275
.LBB1354_273:                           ; =>This Inner Loop Header: Depth=1
	s_or_b64 s[38:39], s[38:39], exec
	s_cmp_eq_u64 s[18:19], s[40:41]
	s_cbranch_scc0 .LBB1354_271
; %bb.274:                              ;   in Loop: Header=BB1354_273 Depth=1
                                        ; implicit-def: $vgpr30_vgpr31
                                        ; implicit-def: $vgpr32_vgpr33
	s_mov_b64 s[40:41], s[26:27]
	s_branch .LBB1354_272
.LBB1354_275:
	s_or_b64 exec, exec, s[36:37]
	v_cmp_gt_i64_e32 vcc, s[26:27], v[34:35]
	s_orn2_b64 s[18:19], vcc, exec
.LBB1354_276:
	s_or_b64 exec, exec, s[12:13]
.LBB1354_277:
	s_and_b64 s[12:13], s[18:19], exec
.LBB1354_278:
	s_or_b64 exec, exec, s[14:15]
	v_cmp_gt_u32_e32 vcc, s3, v39
	s_mov_b64 s[18:19], 0
	s_mov_b64 s[14:15], 0
	s_and_saveexec_b64 s[36:37], vcc
	s_cbranch_execz .LBB1354_289
; %bb.279:
	s_andn2_b64 vcc, exec, s[6:7]
	s_mov_b64 s[38:39], 0
	s_cbranch_vccnz .LBB1354_288
; %bb.280:
	v_mul_lo_u32 v32, v21, s26
	v_mul_lo_u32 v33, v20, s27
	v_mad_u64_u32 v[30:31], s[14:15], v20, s26, 0
	v_add3_u32 v31, v31, v33, v32
	v_mul_lo_u32 v32, v15, s26
	v_mul_lo_u32 v33, v14, s27
	v_mad_u64_u32 v[34:35], s[14:15], v14, s26, 0
	v_add3_u32 v35, v35, v33, v32
	v_lshl_add_u64 v[32:33], v[30:31], 1, s[28:29]
	v_lshl_add_u64 v[30:31], v[34:35], 1, s[28:29]
	global_load_ushort v34, v[32:33], off
	global_load_ushort v35, v[30:31], off
	s_mov_b64 s[38:39], -1
	s_waitcnt vmcnt(0)
	v_cmp_eq_f16_e32 vcc, v34, v35
	s_and_saveexec_b64 s[14:15], vcc
	s_cbranch_execz .LBB1354_287
; %bb.281:
	s_add_u32 s38, s26, -1
	v_lshl_add_u64 v[30:31], v[30:31], 0, 2
	v_lshl_add_u64 v[32:33], v[32:33], 0, 2
	s_addc_u32 s39, s27, -1
	s_mov_b64 s[40:41], 0
	s_mov_b64 s[44:45], 0
                                        ; implicit-def: $sgpr42_sgpr43
	s_branch .LBB1354_284
.LBB1354_282:                           ;   in Loop: Header=BB1354_284 Depth=1
	global_load_ushort v34, v[32:33], off
	global_load_ushort v35, v[30:31], off
	s_add_u32 s44, s44, 1
	s_addc_u32 s45, s45, 0
	s_andn2_b64 s[42:43], s[42:43], exec
	v_lshl_add_u64 v[30:31], v[30:31], 0, 2
	v_lshl_add_u64 v[32:33], v[32:33], 0, 2
	s_waitcnt vmcnt(0)
	v_cmp_neq_f16_e32 vcc, v34, v35
	s_and_b64 s[46:47], vcc, exec
	s_or_b64 s[42:43], s[42:43], s[46:47]
.LBB1354_283:                           ;   in Loop: Header=BB1354_284 Depth=1
	s_and_b64 s[46:47], exec, s[42:43]
	s_or_b64 s[40:41], s[46:47], s[40:41]
	v_mov_b64_e32 v[34:35], s[44:45]
	s_andn2_b64 exec, exec, s[40:41]
	s_cbranch_execz .LBB1354_286
.LBB1354_284:                           ; =>This Inner Loop Header: Depth=1
	s_or_b64 s[42:43], s[42:43], exec
	s_cmp_eq_u64 s[38:39], s[44:45]
	s_cbranch_scc0 .LBB1354_282
; %bb.285:                              ;   in Loop: Header=BB1354_284 Depth=1
                                        ; implicit-def: $vgpr30_vgpr31
                                        ; implicit-def: $vgpr32_vgpr33
	s_mov_b64 s[44:45], s[26:27]
	s_branch .LBB1354_283
.LBB1354_286:
	s_or_b64 exec, exec, s[40:41]
	v_cmp_gt_i64_e32 vcc, s[26:27], v[34:35]
	s_orn2_b64 s[38:39], vcc, exec
.LBB1354_287:
	s_or_b64 exec, exec, s[14:15]
.LBB1354_288:
	s_and_b64 s[14:15], s[38:39], exec
.LBB1354_289:
	s_or_b64 exec, exec, s[36:37]
	v_cmp_gt_u32_e32 vcc, s3, v42
	s_and_saveexec_b64 s[36:37], vcc
	s_cbranch_execz .LBB1354_300
; %bb.290:
	s_andn2_b64 vcc, exec, s[6:7]
	s_mov_b64 s[38:39], 0
	s_cbranch_vccnz .LBB1354_299
; %bb.291:
	v_mul_lo_u32 v32, v19, s26
	v_mul_lo_u32 v33, v18, s27
	v_mad_u64_u32 v[30:31], s[18:19], v18, s26, 0
	v_add3_u32 v31, v31, v33, v32
	v_mul_lo_u32 v32, v21, s26
	v_mul_lo_u32 v33, v20, s27
	v_mad_u64_u32 v[34:35], s[18:19], v20, s26, 0
	v_add3_u32 v35, v35, v33, v32
	v_lshl_add_u64 v[32:33], v[30:31], 1, s[28:29]
	v_lshl_add_u64 v[30:31], v[34:35], 1, s[28:29]
	global_load_ushort v34, v[32:33], off
	global_load_ushort v35, v[30:31], off
	s_mov_b64 s[38:39], -1
	s_waitcnt vmcnt(0)
	v_cmp_eq_f16_e32 vcc, v34, v35
	s_and_saveexec_b64 s[18:19], vcc
	s_cbranch_execz .LBB1354_298
; %bb.292:
	s_add_u32 s38, s26, -1
	v_lshl_add_u64 v[30:31], v[30:31], 0, 2
	v_lshl_add_u64 v[32:33], v[32:33], 0, 2
	s_addc_u32 s39, s27, -1
	s_mov_b64 s[40:41], 0
	s_mov_b64 s[44:45], 0
                                        ; implicit-def: $sgpr42_sgpr43
	s_branch .LBB1354_295
.LBB1354_293:                           ;   in Loop: Header=BB1354_295 Depth=1
	global_load_ushort v34, v[32:33], off
	global_load_ushort v35, v[30:31], off
	s_add_u32 s44, s44, 1
	s_addc_u32 s45, s45, 0
	s_andn2_b64 s[42:43], s[42:43], exec
	v_lshl_add_u64 v[30:31], v[30:31], 0, 2
	v_lshl_add_u64 v[32:33], v[32:33], 0, 2
	s_waitcnt vmcnt(0)
	v_cmp_neq_f16_e32 vcc, v34, v35
	s_and_b64 s[46:47], vcc, exec
	s_or_b64 s[42:43], s[42:43], s[46:47]
.LBB1354_294:                           ;   in Loop: Header=BB1354_295 Depth=1
	s_and_b64 s[46:47], exec, s[42:43]
	s_or_b64 s[40:41], s[46:47], s[40:41]
	v_mov_b64_e32 v[34:35], s[44:45]
	s_andn2_b64 exec, exec, s[40:41]
	s_cbranch_execz .LBB1354_297
.LBB1354_295:                           ; =>This Inner Loop Header: Depth=1
	s_or_b64 s[42:43], s[42:43], exec
	s_cmp_eq_u64 s[38:39], s[44:45]
	s_cbranch_scc0 .LBB1354_293
; %bb.296:                              ;   in Loop: Header=BB1354_295 Depth=1
                                        ; implicit-def: $vgpr30_vgpr31
                                        ; implicit-def: $vgpr32_vgpr33
	s_mov_b64 s[44:45], s[26:27]
	s_branch .LBB1354_294
.LBB1354_297:
	s_or_b64 exec, exec, s[40:41]
	v_cmp_gt_i64_e32 vcc, s[26:27], v[34:35]
	s_orn2_b64 s[38:39], vcc, exec
.LBB1354_298:
	s_or_b64 exec, exec, s[18:19]
.LBB1354_299:
	s_and_b64 s[18:19], s[38:39], exec
.LBB1354_300:
	s_or_b64 exec, exec, s[36:37]
	v_cmp_gt_u32_e32 vcc, s3, v38
	s_mov_b64 s[36:37], 0
	s_mov_b64 s[38:39], 0
	s_and_saveexec_b64 s[40:41], vcc
	s_cbranch_execz .LBB1354_311
; %bb.301:
	s_andn2_b64 vcc, exec, s[6:7]
	s_mov_b64 s[42:43], 0
	s_cbranch_vccnz .LBB1354_310
; %bb.302:
	v_mul_lo_u32 v32, v25, s26
	v_mul_lo_u32 v33, v24, s27
	v_mad_u64_u32 v[30:31], s[38:39], v24, s26, 0
	v_add3_u32 v31, v31, v33, v32
	v_mul_lo_u32 v32, v19, s26
	v_mul_lo_u32 v33, v18, s27
	v_mad_u64_u32 v[34:35], s[38:39], v18, s26, 0
	v_add3_u32 v35, v35, v33, v32
	v_lshl_add_u64 v[32:33], v[30:31], 1, s[28:29]
	v_lshl_add_u64 v[30:31], v[34:35], 1, s[28:29]
	global_load_ushort v34, v[32:33], off
	global_load_ushort v35, v[30:31], off
	s_mov_b64 s[42:43], -1
	s_waitcnt vmcnt(0)
	v_cmp_eq_f16_e32 vcc, v34, v35
	s_and_saveexec_b64 s[38:39], vcc
	s_cbranch_execz .LBB1354_309
; %bb.303:
	s_add_u32 s42, s26, -1
	v_lshl_add_u64 v[30:31], v[30:31], 0, 2
	v_lshl_add_u64 v[32:33], v[32:33], 0, 2
	s_addc_u32 s43, s27, -1
	s_mov_b64 s[44:45], 0
	s_mov_b64 s[48:49], 0
                                        ; implicit-def: $sgpr46_sgpr47
	s_branch .LBB1354_306
.LBB1354_304:                           ;   in Loop: Header=BB1354_306 Depth=1
	global_load_ushort v34, v[32:33], off
	global_load_ushort v35, v[30:31], off
	s_add_u32 s48, s48, 1
	s_addc_u32 s49, s49, 0
	s_andn2_b64 s[46:47], s[46:47], exec
	v_lshl_add_u64 v[30:31], v[30:31], 0, 2
	v_lshl_add_u64 v[32:33], v[32:33], 0, 2
	s_waitcnt vmcnt(0)
	v_cmp_neq_f16_e32 vcc, v34, v35
	s_and_b64 s[50:51], vcc, exec
	s_or_b64 s[46:47], s[46:47], s[50:51]
.LBB1354_305:                           ;   in Loop: Header=BB1354_306 Depth=1
	s_and_b64 s[50:51], exec, s[46:47]
	s_or_b64 s[44:45], s[50:51], s[44:45]
	v_mov_b64_e32 v[34:35], s[48:49]
	s_andn2_b64 exec, exec, s[44:45]
	s_cbranch_execz .LBB1354_308
.LBB1354_306:                           ; =>This Inner Loop Header: Depth=1
	s_or_b64 s[46:47], s[46:47], exec
	s_cmp_eq_u64 s[42:43], s[48:49]
	s_cbranch_scc0 .LBB1354_304
; %bb.307:                              ;   in Loop: Header=BB1354_306 Depth=1
                                        ; implicit-def: $vgpr30_vgpr31
                                        ; implicit-def: $vgpr32_vgpr33
	s_mov_b64 s[48:49], s[26:27]
	s_branch .LBB1354_305
.LBB1354_308:
	s_or_b64 exec, exec, s[44:45]
	v_cmp_gt_i64_e32 vcc, s[26:27], v[34:35]
	s_orn2_b64 s[42:43], vcc, exec
.LBB1354_309:
	s_or_b64 exec, exec, s[38:39]
.LBB1354_310:
	s_and_b64 s[38:39], s[42:43], exec
.LBB1354_311:
	s_or_b64 exec, exec, s[40:41]
	v_cmp_gt_u32_e32 vcc, s3, v41
	s_and_saveexec_b64 s[40:41], vcc
	s_cbranch_execz .LBB1354_322
; %bb.312:
	s_andn2_b64 vcc, exec, s[6:7]
	s_mov_b64 s[42:43], 0
	s_cbranch_vccnz .LBB1354_321
; %bb.313:
	v_mul_lo_u32 v32, v23, s26
	v_mul_lo_u32 v33, v22, s27
	v_mad_u64_u32 v[30:31], s[36:37], v22, s26, 0
	v_add3_u32 v31, v31, v33, v32
	v_mul_lo_u32 v32, v25, s26
	v_mul_lo_u32 v33, v24, s27
	v_mad_u64_u32 v[34:35], s[36:37], v24, s26, 0
	v_add3_u32 v35, v35, v33, v32
	v_lshl_add_u64 v[32:33], v[30:31], 1, s[28:29]
	v_lshl_add_u64 v[30:31], v[34:35], 1, s[28:29]
	global_load_ushort v34, v[32:33], off
	global_load_ushort v35, v[30:31], off
	s_mov_b64 s[42:43], -1
	s_waitcnt vmcnt(0)
	v_cmp_eq_f16_e32 vcc, v34, v35
	s_and_saveexec_b64 s[36:37], vcc
	s_cbranch_execz .LBB1354_320
; %bb.314:
	s_add_u32 s42, s26, -1
	v_lshl_add_u64 v[30:31], v[30:31], 0, 2
	v_lshl_add_u64 v[32:33], v[32:33], 0, 2
	s_addc_u32 s43, s27, -1
	s_mov_b64 s[44:45], 0
	s_mov_b64 s[48:49], 0
                                        ; implicit-def: $sgpr46_sgpr47
	s_branch .LBB1354_317
.LBB1354_315:                           ;   in Loop: Header=BB1354_317 Depth=1
	global_load_ushort v34, v[32:33], off
	global_load_ushort v35, v[30:31], off
	s_add_u32 s48, s48, 1
	s_addc_u32 s49, s49, 0
	s_andn2_b64 s[46:47], s[46:47], exec
	v_lshl_add_u64 v[30:31], v[30:31], 0, 2
	v_lshl_add_u64 v[32:33], v[32:33], 0, 2
	s_waitcnt vmcnt(0)
	v_cmp_neq_f16_e32 vcc, v34, v35
	s_and_b64 s[50:51], vcc, exec
	s_or_b64 s[46:47], s[46:47], s[50:51]
.LBB1354_316:                           ;   in Loop: Header=BB1354_317 Depth=1
	s_and_b64 s[50:51], exec, s[46:47]
	s_or_b64 s[44:45], s[50:51], s[44:45]
	v_mov_b64_e32 v[34:35], s[48:49]
	s_andn2_b64 exec, exec, s[44:45]
	s_cbranch_execz .LBB1354_319
.LBB1354_317:                           ; =>This Inner Loop Header: Depth=1
	s_or_b64 s[46:47], s[46:47], exec
	s_cmp_eq_u64 s[42:43], s[48:49]
	s_cbranch_scc0 .LBB1354_315
; %bb.318:                              ;   in Loop: Header=BB1354_317 Depth=1
                                        ; implicit-def: $vgpr30_vgpr31
                                        ; implicit-def: $vgpr32_vgpr33
	s_mov_b64 s[48:49], s[26:27]
	s_branch .LBB1354_316
.LBB1354_319:
	s_or_b64 exec, exec, s[44:45]
	v_cmp_gt_i64_e32 vcc, s[26:27], v[34:35]
	s_orn2_b64 s[42:43], vcc, exec
.LBB1354_320:
	s_or_b64 exec, exec, s[36:37]
.LBB1354_321:
	s_and_b64 s[36:37], s[42:43], exec
.LBB1354_322:
	s_or_b64 exec, exec, s[40:41]
	v_cndmask_b32_e64 v31, 0, 1, s[18:19]
	v_cndmask_b32_e64 v30, 0, 1, s[38:39]
	;; [unrolled: 1-line block ×3, first 2 shown]
	v_lshlrev_b16_e32 v31, 8, v31
	v_cndmask_b32_e64 v46, 0, 1, s[14:15]
	v_cndmask_b32_e64 v32, 0, 1, s[36:37]
	v_or_b32_sdwa v30, v30, v31 dst_sel:WORD_1 dst_unused:UNUSED_PAD src0_sel:DWORD src1_sel:DWORD
	v_lshlrev_b16_e32 v31, 8, v47
	v_lshlrev_b16_e32 v32, 8, v32
	v_or_b32_e32 v31, v46, v31
	v_or_b32_e32 v32, 1, v32
	v_and_b32_e32 v31, 0xffff, v31
	v_cndmask_b32_e64 v48, 0, 1, s[4:5]
	v_or_b32_sdwa v30, v32, v30 dst_sel:DWORD dst_unused:UNUSED_PAD src0_sel:WORD_0 src1_sel:DWORD
	v_lshl_or_b32 v31, v48, 16, v31
	v_cmp_ne_u32_e32 vcc, 0, v0
	s_waitcnt lgkmcnt(0)
	s_barrier
	s_waitcnt lgkmcnt(0)
                                        ; implicit-def: $sgpr18_sgpr19
                                        ; implicit-def: $vgpr34
	s_and_saveexec_b64 s[4:5], vcc
	s_cbranch_execz .LBB1354_335
; %bb.323:
	v_cmp_gt_u32_e32 vcc, s3, v1
	s_mov_b32 s33, 0x3020104
	s_mov_b64 s[14:15], 0
	s_and_saveexec_b64 s[12:13], vcc
	s_cbranch_execz .LBB1354_334
; %bb.324:
	s_andn2_b64 vcc, exec, s[6:7]
	s_cbranch_vccnz .LBB1354_333
; %bb.325:
	v_add_u32_e32 v31, -8, v44
	ds_read_b64 v[32:33], v31
	v_mul_lo_u32 v31, v23, s26
	v_mad_u64_u32 v[36:37], s[6:7], v22, s26, 0
	s_mov_b64 s[14:15], -1
	s_waitcnt lgkmcnt(0)
	v_mul_lo_u32 v34, v33, s26
	v_mul_lo_u32 v35, v32, s27
	v_mad_u64_u32 v[32:33], s[6:7], v32, s26, 0
	v_add3_u32 v33, v33, v35, v34
	v_mul_lo_u32 v34, v22, s27
	v_add3_u32 v37, v37, v34, v31
	v_lshl_add_u64 v[34:35], v[32:33], 1, s[28:29]
	v_lshl_add_u64 v[32:33], v[36:37], 1, s[28:29]
	global_load_ushort v31, v[34:35], off
	global_load_ushort v36, v[32:33], off
	s_waitcnt vmcnt(0)
	v_cmp_eq_f16_e32 vcc, v31, v36
	s_and_saveexec_b64 s[6:7], vcc
	s_cbranch_execz .LBB1354_332
; %bb.326:
	s_add_u32 s14, s26, -1
	v_lshl_add_u64 v[32:33], v[32:33], 0, 2
	v_lshl_add_u64 v[34:35], v[34:35], 0, 2
	s_addc_u32 s15, s27, -1
	s_mov_b64 s[18:19], 0
	s_mov_b64 s[36:37], 0
                                        ; implicit-def: $sgpr28_sgpr29
	s_branch .LBB1354_329
.LBB1354_327:                           ;   in Loop: Header=BB1354_329 Depth=1
	global_load_ushort v31, v[34:35], off
	global_load_ushort v36, v[32:33], off
	s_add_u32 s36, s36, 1
	s_addc_u32 s37, s37, 0
	s_andn2_b64 s[28:29], s[28:29], exec
	v_lshl_add_u64 v[32:33], v[32:33], 0, 2
	v_lshl_add_u64 v[34:35], v[34:35], 0, 2
	s_waitcnt vmcnt(0)
	v_cmp_neq_f16_e32 vcc, v31, v36
	s_and_b64 s[38:39], vcc, exec
	s_or_b64 s[28:29], s[28:29], s[38:39]
.LBB1354_328:                           ;   in Loop: Header=BB1354_329 Depth=1
	s_and_b64 s[38:39], exec, s[28:29]
	s_or_b64 s[18:19], s[38:39], s[18:19]
	v_mov_b64_e32 v[36:37], s[36:37]
	s_andn2_b64 exec, exec, s[18:19]
	s_cbranch_execz .LBB1354_331
.LBB1354_329:                           ; =>This Inner Loop Header: Depth=1
	s_or_b64 s[28:29], s[28:29], exec
	s_cmp_eq_u64 s[14:15], s[36:37]
	s_cbranch_scc0 .LBB1354_327
; %bb.330:                              ;   in Loop: Header=BB1354_329 Depth=1
                                        ; implicit-def: $vgpr32_vgpr33
                                        ; implicit-def: $vgpr34_vgpr35
	s_mov_b64 s[36:37], s[26:27]
	s_branch .LBB1354_328
.LBB1354_331:
	s_or_b64 exec, exec, s[18:19]
	v_cmp_gt_i64_e32 vcc, s[26:27], v[36:37]
	s_orn2_b64 s[14:15], vcc, exec
.LBB1354_332:
	s_or_b64 exec, exec, s[6:7]
.LBB1354_333:
	s_and_b64 s[14:15], s[14:15], exec
.LBB1354_334:
	s_or_b64 exec, exec, s[12:13]
	v_perm_b32 v34, v30, v30, s33
	s_and_b64 s[18:19], s[14:15], exec
	s_or_b64 s[10:11], s[10:11], exec
                                        ; implicit-def: $vgpr30_vgpr31
.LBB1354_335:
	s_or_b64 exec, exec, s[4:5]
.LBB1354_336:
	s_and_saveexec_b64 s[4:5], s[10:11]
	s_cbranch_execz .LBB1354_338
; %bb.337:
	s_waitcnt lgkmcnt(0)
	v_lshlrev_b16_e32 v31, 8, v47
	v_and_b32_e32 v32, 0xff, v48
	v_or_b32_sdwa v31, v46, v31 dst_sel:DWORD dst_unused:UNUSED_PAD src0_sel:BYTE_0 src1_sel:DWORD
	v_lshlrev_b32_e32 v32, 16, v32
	s_movk_i32 s6, 0xff
	v_or_b32_sdwa v31, v31, v32 dst_sel:DWORD dst_unused:UNUSED_PAD src0_sel:WORD_0 src1_sel:DWORD
	v_lshrrev_b32_e32 v32, 24, v34
	v_lshlrev_b16_e32 v32, 8, v32
	v_and_b32_sdwa v33, v34, s6 dst_sel:DWORD dst_unused:UNUSED_PAD src0_sel:WORD_1 src1_sel:DWORD
	v_or_b32_sdwa v32, v33, v32 dst_sel:WORD_1 dst_unused:UNUSED_PAD src0_sel:DWORD src1_sel:DWORD
	v_mov_b32_e32 v33, 8
	v_cndmask_b32_e64 v30, 0, 1, s[18:19]
	v_lshrrev_b32_sdwa v33, v33, v34 dst_sel:BYTE_1 dst_unused:UNUSED_PAD src0_sel:DWORD src1_sel:DWORD
	s_nop 0
	v_or_b32_e32 v30, v30, v33
	v_or_b32_sdwa v30, v30, v32 dst_sel:DWORD dst_unused:UNUSED_PAD src0_sel:WORD_0 src1_sel:DWORD
.LBB1354_338:
	s_or_b64 exec, exec, s[4:5]
	s_andn2_b64 vcc, exec, s[8:9]
	s_cbranch_vccnz .LBB1354_340
; %bb.339:
	s_waitcnt lgkmcnt(0)
	v_and_b32_e32 v32, 0xffff0000, v30
	v_cmp_gt_u32_e32 vcc, s3, v1
	s_mov_b32 s4, 0x40c0100
	s_nop 0
	v_cndmask_b32_e32 v1, v32, v30, vcc
	v_and_b32_e32 v1, 0xffff00ff, v1
	v_cmp_gt_u32_e32 vcc, s3, v41
	s_nop 1
	v_cndmask_b32_e32 v1, v1, v30, vcc
	v_lshrrev_b32_e32 v32, 24, v1
	v_perm_b32 v1, v32, v1, s4
	v_cmp_gt_u32_e32 vcc, s3, v38
	v_and_b32_e32 v32, 0xffffff00, v31
	s_nop 0
	v_cndmask_b32_e32 v1, v1, v30, vcc
	v_and_b32_e32 v1, 0xffffff, v1
	v_cmp_gt_u32_e32 vcc, s3, v42
	s_nop 1
	v_cndmask_b32_e32 v1, v1, v30, vcc
	v_cmp_gt_u32_e32 vcc, s3, v39
	s_nop 1
	v_cndmask_b32_e32 v32, v32, v31, vcc
	v_and_b32_e32 v32, 0xffff00ff, v32
	v_cndmask_b32_e32 v1, v1, v30, vcc
	v_cmp_gt_u32_e32 vcc, s3, v43
	s_nop 1
	v_cndmask_b32_e32 v32, v32, v31, vcc
	v_lshrrev_b32_e32 v33, 24, v32
	v_cndmask_b32_e32 v1, v1, v30, vcc
	v_perm_b32 v32, v33, v32, s4
	v_cmp_gt_u32_e32 vcc, s3, v40
	s_mov_b32 s3, 0x3020104
	s_nop 0
	v_cndmask_b32_e32 v1, v1, v30, vcc
	v_cndmask_b32_e32 v30, v32, v31, vcc
	v_mov_b32_e32 v31, 8
	v_lshrrev_b32_sdwa v31, v31, v30 dst_sel:BYTE_1 dst_unused:UNUSED_PAD src0_sel:DWORD src1_sel:DWORD
	s_nop 0
	v_or_b32_sdwa v31, v30, v31 dst_sel:DWORD dst_unused:UNUSED_PAD src0_sel:BYTE_0 src1_sel:DWORD
	v_and_b32_e32 v31, 0xffff, v31
	v_bfe_u32 v30, v30, 16, 8
	v_lshl_or_b32 v31, v30, 16, v31
	v_perm_b32 v30, v1, v1, s3
.LBB1354_340:
	s_waitcnt lgkmcnt(0)
	v_and_b32_e32 v1, 0xff, v30
	v_bfe_u32 v43, v30, 8, 8
	v_bfe_u32 v45, v30, 16, 8
	v_alignbit_b32 v32, v31, v30, 24
	v_and_b32_e32 v47, 0xff, v32
	v_and_b32_e32 v48, 0xff, v31
	v_add3_u32 v33, v43, v1, v45
	v_bfe_u32 v49, v31, 8, 8
	v_bfe_u32 v32, v31, 16, 8
	v_add3_u32 v33, v33, v47, v48
	v_add3_u32 v52, v33, v49, v32
	v_mbcnt_lo_u32_b32 v32, -1, 0
	v_mbcnt_hi_u32_b32 v50, -1, v32
	v_and_b32_e32 v32, 15, v50
	v_cmp_eq_u32_e64 s[14:15], 0, v32
	v_cmp_lt_u32_e64 s[12:13], 1, v32
	v_cmp_lt_u32_e64 s[10:11], 3, v32
	;; [unrolled: 1-line block ×3, first 2 shown]
	v_and_b32_e32 v32, 16, v50
	v_cmp_eq_u32_e64 s[6:7], 0, v32
	v_or_b32_e32 v32, 63, v0
	v_cmp_lt_u32_e64 s[18:19], 31, v50
	v_lshrrev_b32_e32 v51, 6, v0
	v_cmp_eq_u32_e64 s[4:5], v32, v0
	s_and_b64 vcc, exec, s[16:17]
	s_barrier
	s_cbranch_vccz .LBB1354_371
; %bb.341:
	v_mov_b32_dpp v32, v52 row_shr:1 row_mask:0xf bank_mask:0xf
	v_cndmask_b32_e64 v32, v32, 0, s[14:15]
	v_add_u32_e32 v32, v32, v52
	s_nop 1
	v_mov_b32_dpp v33, v32 row_shr:2 row_mask:0xf bank_mask:0xf
	v_cndmask_b32_e64 v33, 0, v33, s[12:13]
	v_add_u32_e32 v32, v32, v33
	s_nop 1
	;; [unrolled: 4-line block ×4, first 2 shown]
	v_mov_b32_dpp v33, v32 row_bcast:15 row_mask:0xf bank_mask:0xf
	v_cndmask_b32_e64 v33, v33, 0, s[6:7]
	v_add_u32_e32 v32, v32, v33
	s_nop 1
	v_mov_b32_dpp v33, v32 row_bcast:31 row_mask:0xf bank_mask:0xf
	v_cndmask_b32_e64 v33, 0, v33, s[18:19]
	v_add_u32_e32 v32, v32, v33
	s_and_saveexec_b64 s[16:17], s[4:5]
	s_cbranch_execz .LBB1354_343
; %bb.342:
	v_lshlrev_b32_e32 v33, 2, v51
	ds_write_b32 v33, v32
.LBB1354_343:
	s_or_b64 exec, exec, s[16:17]
	v_cmp_gt_u32_e32 vcc, 8, v0
	s_waitcnt lgkmcnt(0)
	s_barrier
	s_and_saveexec_b64 s[16:17], vcc
	s_cbranch_execz .LBB1354_345
; %bb.344:
	v_lshlrev_b32_e32 v33, 2, v0
	ds_read_b32 v34, v33
	v_and_b32_e32 v35, 7, v50
	v_cmp_ne_u32_e32 vcc, 0, v35
	s_waitcnt lgkmcnt(0)
	v_mov_b32_dpp v36, v34 row_shr:1 row_mask:0xf bank_mask:0xf
	v_cndmask_b32_e32 v36, 0, v36, vcc
	v_add_u32_e32 v34, v36, v34
	v_cmp_lt_u32_e32 vcc, 1, v35
	s_nop 0
	v_mov_b32_dpp v36, v34 row_shr:2 row_mask:0xf bank_mask:0xf
	v_cndmask_b32_e32 v36, 0, v36, vcc
	v_add_u32_e32 v34, v34, v36
	v_cmp_lt_u32_e32 vcc, 3, v35
	s_nop 0
	v_mov_b32_dpp v36, v34 row_shr:4 row_mask:0xf bank_mask:0xf
	v_cndmask_b32_e32 v35, 0, v36, vcc
	v_add_u32_e32 v34, v34, v35
	ds_write_b32 v33, v34
.LBB1354_345:
	s_or_b64 exec, exec, s[16:17]
	v_cmp_gt_u32_e32 vcc, 64, v0
	v_cmp_lt_u32_e64 s[16:17], 63, v0
	s_waitcnt lgkmcnt(0)
	s_barrier
	s_waitcnt lgkmcnt(0)
                                        ; implicit-def: $vgpr42
	s_and_saveexec_b64 s[26:27], s[16:17]
	s_cbranch_execz .LBB1354_347
; %bb.346:
	v_lshl_add_u32 v33, v51, 2, -4
	ds_read_b32 v42, v33
	s_waitcnt lgkmcnt(0)
	v_add_u32_e32 v32, v42, v32
.LBB1354_347:
	s_or_b64 exec, exec, s[26:27]
	v_add_u32_e32 v33, -1, v50
	v_and_b32_e32 v34, 64, v50
	v_cmp_lt_i32_e64 s[16:17], v33, v34
	s_nop 1
	v_cndmask_b32_e64 v33, v33, v50, s[16:17]
	v_lshlrev_b32_e32 v33, 2, v33
	ds_bpermute_b32 v44, v33, v32
	v_cmp_eq_u32_e64 s[16:17], 0, v50
	s_and_saveexec_b64 s[26:27], vcc
	s_cbranch_execz .LBB1354_370
; %bb.348:
	v_mov_b32_e32 v41, 0
	ds_read_b32 v32, v41 offset:28
	s_and_saveexec_b64 s[28:29], s[16:17]
	s_cbranch_execz .LBB1354_350
; %bb.349:
	s_add_i32 s36, s2, 64
	s_mov_b32 s37, 0
	s_lshl_b64 s[36:37], s[36:37], 3
	s_add_u32 s36, s30, s36
	v_mov_b32_e32 v33, 1
	s_addc_u32 s37, s31, s37
	s_waitcnt lgkmcnt(0)
	global_store_dwordx2 v41, v[32:33], s[36:37] sc1
.LBB1354_350:
	s_or_b64 exec, exec, s[28:29]
	v_xad_u32 v34, v50, -1, s2
	v_add_u32_e32 v40, 64, v34
	v_lshl_add_u64 v[36:37], v[40:41], 3, s[30:31]
	global_load_dwordx2 v[38:39], v[36:37], off sc1
	s_waitcnt vmcnt(0)
	v_cmp_eq_u16_sdwa s[36:37], v39, v41 src0_sel:BYTE_0 src1_sel:DWORD
	s_and_saveexec_b64 s[28:29], s[36:37]
	s_cbranch_execz .LBB1354_356
; %bb.351:
	s_mov_b32 s3, 1
	s_mov_b64 s[36:37], 0
	v_mov_b32_e32 v33, 0
.LBB1354_352:                           ; =>This Loop Header: Depth=1
                                        ;     Child Loop BB1354_353 Depth 2
	s_max_u32 s33, s3, 1
.LBB1354_353:                           ;   Parent Loop BB1354_352 Depth=1
                                        ; =>  This Inner Loop Header: Depth=2
	s_add_i32 s33, s33, -1
	s_cmp_eq_u32 s33, 0
	s_sleep 1
	s_cbranch_scc0 .LBB1354_353
; %bb.354:                              ;   in Loop: Header=BB1354_352 Depth=1
	global_load_dwordx2 v[38:39], v[36:37], off sc1
	s_cmp_lt_u32 s3, 32
	s_cselect_b64 s[38:39], -1, 0
	s_cmp_lg_u64 s[38:39], 0
	s_addc_u32 s3, s3, 0
	s_waitcnt vmcnt(0)
	v_cmp_ne_u16_sdwa s[38:39], v39, v33 src0_sel:BYTE_0 src1_sel:DWORD
	s_or_b64 s[36:37], s[38:39], s[36:37]
	s_andn2_b64 exec, exec, s[36:37]
	s_cbranch_execnz .LBB1354_352
; %bb.355:
	s_or_b64 exec, exec, s[36:37]
.LBB1354_356:
	s_or_b64 exec, exec, s[28:29]
	v_and_b32_e32 v46, 63, v50
	v_mov_b32_e32 v33, 2
	v_cmp_ne_u32_e32 vcc, 63, v46
	v_cmp_eq_u16_sdwa s[28:29], v39, v33 src0_sel:BYTE_0 src1_sel:DWORD
	v_lshlrev_b64 v[36:37], v50, -1
	v_addc_co_u32_e32 v41, vcc, 0, v50, vcc
	v_and_b32_e32 v35, s29, v37
	v_lshlrev_b32_e32 v53, 2, v41
	v_or_b32_e32 v35, 0x80000000, v35
	ds_bpermute_b32 v41, v53, v38
	v_and_b32_e32 v40, s28, v36
	v_ffbl_b32_e32 v35, v35
	v_add_u32_e32 v35, 32, v35
	v_ffbl_b32_e32 v40, v40
	v_min_u32_e32 v35, v40, v35
	v_cmp_lt_u32_e32 vcc, v46, v35
	v_add_u32_e32 v55, 2, v46
	v_add_u32_e32 v57, 4, v46
	s_waitcnt lgkmcnt(0)
	v_cndmask_b32_e32 v40, 0, v41, vcc
	v_cmp_gt_u32_e32 vcc, 62, v46
	v_add_u32_e32 v38, v40, v38
	v_add_u32_e32 v59, 8, v46
	v_cndmask_b32_e64 v40, 0, 1, vcc
	v_lshlrev_b32_e32 v40, 1, v40
	v_add_lshl_u32 v54, v40, v50, 2
	ds_bpermute_b32 v40, v54, v38
	v_cmp_le_u32_e32 vcc, v55, v35
	v_add_u32_e32 v62, 16, v46
	v_add_u32_e32 v64, 32, v46
	s_waitcnt lgkmcnt(0)
	v_cndmask_b32_e32 v40, 0, v40, vcc
	v_cmp_gt_u32_e32 vcc, 60, v46
	v_add_u32_e32 v38, v38, v40
	s_nop 0
	v_cndmask_b32_e64 v40, 0, 1, vcc
	v_lshlrev_b32_e32 v40, 2, v40
	v_add_lshl_u32 v56, v40, v50, 2
	ds_bpermute_b32 v40, v56, v38
	v_cmp_le_u32_e32 vcc, v57, v35
	s_waitcnt lgkmcnt(0)
	s_nop 0
	v_cndmask_b32_e32 v40, 0, v40, vcc
	v_cmp_gt_u32_e32 vcc, 56, v46
	v_add_u32_e32 v38, v38, v40
	s_nop 0
	v_cndmask_b32_e64 v40, 0, 1, vcc
	v_lshlrev_b32_e32 v40, 3, v40
	v_add_lshl_u32 v58, v40, v50, 2
	ds_bpermute_b32 v40, v58, v38
	v_cmp_le_u32_e32 vcc, v59, v35
	s_waitcnt lgkmcnt(0)
	s_nop 0
	;; [unrolled: 11-line block ×4, first 2 shown]
	v_cndmask_b32_e32 v35, 0, v40, vcc
	v_add_u32_e32 v38, v38, v35
	v_mov_b32_e32 v35, 0
	s_branch .LBB1354_358
.LBB1354_357:                           ;   in Loop: Header=BB1354_358 Depth=1
	s_or_b64 exec, exec, s[28:29]
	v_cmp_eq_u16_sdwa s[28:29], v39, v33 src0_sel:BYTE_0 src1_sel:DWORD
	ds_bpermute_b32 v65, v53, v38
	v_subrev_u32_e32 v34, 64, v34
	v_and_b32_e32 v40, s29, v37
	v_or_b32_e32 v40, 0x80000000, v40
	v_and_b32_e32 v41, s28, v36
	v_ffbl_b32_e32 v40, v40
	v_add_u32_e32 v40, 32, v40
	v_ffbl_b32_e32 v41, v41
	v_min_u32_e32 v40, v41, v40
	v_cmp_lt_u32_e32 vcc, v46, v40
	s_waitcnt lgkmcnt(0)
	s_nop 0
	v_cndmask_b32_e32 v41, 0, v65, vcc
	v_add_u32_e32 v38, v41, v38
	ds_bpermute_b32 v41, v54, v38
	v_cmp_le_u32_e32 vcc, v55, v40
	s_waitcnt lgkmcnt(0)
	s_nop 0
	v_cndmask_b32_e32 v41, 0, v41, vcc
	v_add_u32_e32 v38, v38, v41
	ds_bpermute_b32 v41, v56, v38
	v_cmp_le_u32_e32 vcc, v57, v40
	;; [unrolled: 6-line block ×5, first 2 shown]
	s_waitcnt lgkmcnt(0)
	s_nop 0
	v_cndmask_b32_e32 v40, 0, v41, vcc
	v_add3_u32 v38, v40, v60, v38
.LBB1354_358:                           ; =>This Loop Header: Depth=1
                                        ;     Child Loop BB1354_361 Depth 2
                                        ;       Child Loop BB1354_362 Depth 3
	v_cmp_ne_u16_sdwa s[28:29], v39, v33 src0_sel:BYTE_0 src1_sel:DWORD
	v_mov_b32_e32 v60, v38
	s_nop 0
	v_cndmask_b32_e64 v39, 0, 1, s[28:29]
	;;#ASMSTART
	;;#ASMEND
	s_nop 0
	v_cmp_ne_u32_e32 vcc, 0, v39
	s_cmp_lg_u64 vcc, exec
	s_cbranch_scc1 .LBB1354_365
; %bb.359:                              ;   in Loop: Header=BB1354_358 Depth=1
	v_lshl_add_u64 v[40:41], v[34:35], 3, s[30:31]
	global_load_dwordx2 v[38:39], v[40:41], off sc1
	s_waitcnt vmcnt(0)
	v_cmp_eq_u16_sdwa s[36:37], v39, v35 src0_sel:BYTE_0 src1_sel:DWORD
	s_and_saveexec_b64 s[28:29], s[36:37]
	s_cbranch_execz .LBB1354_357
; %bb.360:                              ;   in Loop: Header=BB1354_358 Depth=1
	s_mov_b32 s3, 1
	s_mov_b64 s[36:37], 0
.LBB1354_361:                           ;   Parent Loop BB1354_358 Depth=1
                                        ; =>  This Loop Header: Depth=2
                                        ;       Child Loop BB1354_362 Depth 3
	s_max_u32 s33, s3, 1
.LBB1354_362:                           ;   Parent Loop BB1354_358 Depth=1
                                        ;     Parent Loop BB1354_361 Depth=2
                                        ; =>    This Inner Loop Header: Depth=3
	s_add_i32 s33, s33, -1
	s_cmp_eq_u32 s33, 0
	s_sleep 1
	s_cbranch_scc0 .LBB1354_362
; %bb.363:                              ;   in Loop: Header=BB1354_361 Depth=2
	global_load_dwordx2 v[38:39], v[40:41], off sc1
	s_cmp_lt_u32 s3, 32
	s_cselect_b64 s[38:39], -1, 0
	s_cmp_lg_u64 s[38:39], 0
	s_addc_u32 s3, s3, 0
	s_waitcnt vmcnt(0)
	v_cmp_ne_u16_sdwa s[38:39], v39, v35 src0_sel:BYTE_0 src1_sel:DWORD
	s_or_b64 s[36:37], s[38:39], s[36:37]
	s_andn2_b64 exec, exec, s[36:37]
	s_cbranch_execnz .LBB1354_361
; %bb.364:                              ;   in Loop: Header=BB1354_358 Depth=1
	s_or_b64 exec, exec, s[36:37]
	s_branch .LBB1354_357
.LBB1354_365:                           ;   in Loop: Header=BB1354_358 Depth=1
                                        ; implicit-def: $vgpr38
                                        ; implicit-def: $vgpr39
	s_cbranch_execz .LBB1354_358
; %bb.366:
	s_and_saveexec_b64 s[28:29], s[16:17]
	s_cbranch_execz .LBB1354_368
; %bb.367:
	s_add_i32 s2, s2, 64
	s_mov_b32 s3, 0
	s_lshl_b64 s[2:3], s[2:3], 3
	s_add_u32 s2, s30, s2
	v_add_u32_e32 v34, v60, v32
	v_mov_b32_e32 v35, 2
	s_addc_u32 s3, s31, s3
	v_mov_b32_e32 v33, 0
	global_store_dwordx2 v33, v[34:35], s[2:3] sc1
	s_movk_i32 s2, 0x7000
	v_add_u32_e64 v33, s2, 0
	ds_write2_b32 v33, v32, v60 offset1:2
.LBB1354_368:
	s_or_b64 exec, exec, s[28:29]
	v_cmp_eq_u32_e32 vcc, 0, v0
	s_and_b64 exec, exec, vcc
	s_cbranch_execz .LBB1354_370
; %bb.369:
	v_mov_b32_e32 v32, 0
	ds_write_b32 v32, v60 offset:28
.LBB1354_370:
	s_or_b64 exec, exec, s[26:27]
	v_mov_b32_e32 v32, 0
	s_waitcnt lgkmcnt(0)
	s_barrier
	ds_read_b32 v32, v32 offset:28
	v_cndmask_b32_e64 v33, v44, v42, s[16:17]
	v_cmp_ne_u32_e32 vcc, 0, v0
	s_movk_i32 s2, 0x7000
	s_waitcnt lgkmcnt(0)
	v_cndmask_b32_e32 v33, 0, v33, vcc
	v_add_u32_e32 v46, v32, v33
	v_add_u32_e64 v32, s2, 0
	v_add_u32_e32 v44, v46, v1
	s_barrier
	ds_read2_b32 v[32:33], v32 offset1:2
	v_add_u32_e32 v42, v44, v43
	v_add_u32_e32 v40, v42, v45
	;; [unrolled: 1-line block ×5, first 2 shown]
	s_waitcnt lgkmcnt(0)
	v_readfirstlane_b32 s26, v32
	v_readfirstlane_b32 s16, v33
	v_lshrrev_b64 v[32:33], 24, v[30:31]
	s_branch .LBB1354_381
.LBB1354_371:
                                        ; implicit-def: $vgpr34
                                        ; implicit-def: $vgpr36
                                        ; implicit-def: $vgpr38
                                        ; implicit-def: $vgpr40
                                        ; implicit-def: $vgpr42
                                        ; implicit-def: $vgpr44
                                        ; implicit-def: $vgpr46
                                        ; implicit-def: $sgpr16
                                        ; implicit-def: $sgpr26
	v_lshrrev_b64 v[32:33], 24, v[30:31]
	s_cbranch_execz .LBB1354_381
; %bb.372:
	s_nop 0
	v_mov_b32_dpp v33, v52 row_shr:1 row_mask:0xf bank_mask:0xf
	v_cndmask_b32_e64 v33, v33, 0, s[14:15]
	v_add_u32_e32 v33, v33, v52
	s_nop 1
	v_mov_b32_dpp v34, v33 row_shr:2 row_mask:0xf bank_mask:0xf
	v_cndmask_b32_e64 v34, 0, v34, s[12:13]
	v_add_u32_e32 v33, v33, v34
	;; [unrolled: 4-line block ×4, first 2 shown]
	s_nop 1
	v_mov_b32_dpp v34, v33 row_bcast:15 row_mask:0xf bank_mask:0xf
	v_cndmask_b32_e64 v34, v34, 0, s[6:7]
	v_add_u32_e32 v33, v33, v34
	s_nop 1
	v_mov_b32_dpp v34, v33 row_bcast:31 row_mask:0xf bank_mask:0xf
	v_cndmask_b32_e64 v34, 0, v34, s[18:19]
	v_add_u32_e32 v33, v33, v34
	s_and_saveexec_b64 s[2:3], s[4:5]
	s_cbranch_execz .LBB1354_374
; %bb.373:
	v_lshlrev_b32_e32 v34, 2, v51
	ds_write_b32 v34, v33
.LBB1354_374:
	s_or_b64 exec, exec, s[2:3]
	v_cmp_gt_u32_e32 vcc, 8, v0
	s_waitcnt lgkmcnt(0)
	s_barrier
	s_and_saveexec_b64 s[2:3], vcc
	s_cbranch_execz .LBB1354_376
; %bb.375:
	v_lshlrev_b32_e32 v34, 2, v0
	ds_read_b32 v35, v34
	v_and_b32_e32 v36, 7, v50
	v_cmp_ne_u32_e32 vcc, 0, v36
	s_waitcnt lgkmcnt(0)
	v_mov_b32_dpp v37, v35 row_shr:1 row_mask:0xf bank_mask:0xf
	v_cndmask_b32_e32 v37, 0, v37, vcc
	v_add_u32_e32 v35, v37, v35
	v_cmp_lt_u32_e32 vcc, 1, v36
	s_nop 0
	v_mov_b32_dpp v37, v35 row_shr:2 row_mask:0xf bank_mask:0xf
	v_cndmask_b32_e32 v37, 0, v37, vcc
	v_add_u32_e32 v35, v35, v37
	v_cmp_lt_u32_e32 vcc, 3, v36
	s_nop 0
	v_mov_b32_dpp v37, v35 row_shr:4 row_mask:0xf bank_mask:0xf
	v_cndmask_b32_e32 v36, 0, v37, vcc
	v_add_u32_e32 v35, v35, v36
	ds_write_b32 v34, v35
.LBB1354_376:
	s_or_b64 exec, exec, s[2:3]
	v_cmp_lt_u32_e32 vcc, 63, v0
	v_mov_b32_e32 v35, 0
	v_mov_b32_e32 v34, 0
	s_waitcnt lgkmcnt(0)
	s_barrier
	s_and_saveexec_b64 s[2:3], vcc
	s_cbranch_execz .LBB1354_378
; %bb.377:
	v_lshl_add_u32 v34, v51, 2, -4
	ds_read_b32 v34, v34
.LBB1354_378:
	s_or_b64 exec, exec, s[2:3]
	v_add_u32_e32 v36, -1, v50
	v_and_b32_e32 v37, 64, v50
	v_cmp_lt_i32_e32 vcc, v36, v37
	s_waitcnt lgkmcnt(0)
	v_add_u32_e32 v33, v34, v33
	ds_read_b32 v35, v35 offset:28
	v_cndmask_b32_e32 v36, v36, v50, vcc
	v_lshlrev_b32_e32 v36, 2, v36
	ds_bpermute_b32 v33, v36, v33
	s_mov_b32 s16, 0
	v_cmp_eq_u32_e32 vcc, 0, v0
	s_waitcnt lgkmcnt(1)
	v_readfirstlane_b32 s26, v35
	s_and_saveexec_b64 s[2:3], vcc
	s_cbranch_execz .LBB1354_380
; %bb.379:
	v_mov_b32_e32 v35, 0
	v_mov_b32_e32 v36, s26
	;; [unrolled: 1-line block ×3, first 2 shown]
	global_store_dwordx2 v35, v[36:37], s[30:31] offset:512 sc1
.LBB1354_380:
	s_or_b64 exec, exec, s[2:3]
	v_cmp_eq_u32_e64 s[2:3], 0, v50
	s_waitcnt lgkmcnt(0)
	s_barrier
	v_cndmask_b32_e64 v33, v33, v34, s[2:3]
	v_cndmask_b32_e64 v46, v33, 0, vcc
	v_add_u32_e32 v44, v46, v1
	v_add_u32_e32 v42, v44, v43
	;; [unrolled: 1-line block ×6, first 2 shown]
.LBB1354_381:
	s_load_dwordx4 s[4:7], s[0:1], 0x28
	s_cmpk_lt_u32 s26, 0x201
	s_cselect_b64 s[2:3], -1, 0
	v_lshrrev_b32_e32 v33, 8, v30
	v_lshrrev_b32_e32 v1, 8, v31
	s_mov_b64 s[0:1], -1
	s_and_b64 vcc, exec, s[2:3]
	s_cbranch_vccz .LBB1354_404
; %bb.382:
	s_add_i32 s8, s16, s26
	v_cmp_gt_u32_e32 vcc, s8, v46
	s_or_b64 s[10:11], s[34:35], vcc
	s_and_saveexec_b64 s[0:1], s[10:11]
	s_cbranch_execz .LBB1354_385
; %bb.383:
	v_and_b32_e32 v35, 1, v30
	v_cmp_eq_u32_e32 vcc, 1, v35
	s_and_b64 exec, exec, vcc
	s_cbranch_execz .LBB1354_385
; %bb.384:
	s_lshl_b64 s[10:11], s[22:23], 3
	s_waitcnt lgkmcnt(0)
	s_add_u32 s10, s4, s10
	s_addc_u32 s11, s5, s11
	v_mov_b32_e32 v47, 0
	v_lshl_add_u64 v[48:49], v[46:47], 3, s[10:11]
	global_store_dwordx2 v[48:49], v[22:23], off
.LBB1354_385:
	s_or_b64 exec, exec, s[0:1]
	v_cmp_gt_u32_e32 vcc, s8, v44
	s_or_b64 s[10:11], s[34:35], vcc
	s_and_saveexec_b64 s[0:1], s[10:11]
	s_cbranch_execz .LBB1354_388
; %bb.386:
	v_and_b32_e32 v35, 1, v33
	v_cmp_eq_u32_e32 vcc, 1, v35
	s_and_b64 exec, exec, vcc
	s_cbranch_execz .LBB1354_388
; %bb.387:
	s_lshl_b64 s[10:11], s[22:23], 3
	s_waitcnt lgkmcnt(0)
	s_add_u32 s10, s4, s10
	s_addc_u32 s11, s5, s11
	v_mov_b32_e32 v45, 0
	v_lshl_add_u64 v[48:49], v[44:45], 3, s[10:11]
	global_store_dwordx2 v[48:49], v[24:25], off
.LBB1354_388:
	s_or_b64 exec, exec, s[0:1]
	v_cmp_gt_u32_e32 vcc, s8, v42
	s_or_b64 s[10:11], s[34:35], vcc
	s_and_saveexec_b64 s[0:1], s[10:11]
	s_cbranch_execz .LBB1354_391
; %bb.389:
	v_mov_b32_e32 v35, 1
	v_and_b32_sdwa v35, v35, v30 dst_sel:DWORD dst_unused:UNUSED_PAD src0_sel:DWORD src1_sel:WORD_1
	v_cmp_eq_u32_e32 vcc, 1, v35
	s_and_b64 exec, exec, vcc
	s_cbranch_execz .LBB1354_391
; %bb.390:
	s_lshl_b64 s[10:11], s[22:23], 3
	s_waitcnt lgkmcnt(0)
	s_add_u32 s10, s4, s10
	s_addc_u32 s11, s5, s11
	v_mov_b32_e32 v43, 0
	v_lshl_add_u64 v[48:49], v[42:43], 3, s[10:11]
	global_store_dwordx2 v[48:49], v[18:19], off
.LBB1354_391:
	s_or_b64 exec, exec, s[0:1]
	v_cmp_gt_u32_e32 vcc, s8, v40
	s_or_b64 s[10:11], s[34:35], vcc
	s_and_saveexec_b64 s[0:1], s[10:11]
	s_cbranch_execz .LBB1354_394
; %bb.392:
	v_and_b32_e32 v35, 1, v32
	v_cmp_eq_u32_e32 vcc, 1, v35
	s_and_b64 exec, exec, vcc
	s_cbranch_execz .LBB1354_394
; %bb.393:
	s_lshl_b64 s[10:11], s[22:23], 3
	s_waitcnt lgkmcnt(0)
	s_add_u32 s10, s4, s10
	s_addc_u32 s11, s5, s11
	v_mov_b32_e32 v41, 0
	v_lshl_add_u64 v[48:49], v[40:41], 3, s[10:11]
	global_store_dwordx2 v[48:49], v[20:21], off
.LBB1354_394:
	s_or_b64 exec, exec, s[0:1]
	v_cmp_gt_u32_e32 vcc, s8, v38
	s_or_b64 s[10:11], s[34:35], vcc
	s_and_saveexec_b64 s[0:1], s[10:11]
	s_cbranch_execz .LBB1354_397
; %bb.395:
	v_and_b32_e32 v35, 1, v31
	v_cmp_eq_u32_e32 vcc, 1, v35
	s_and_b64 exec, exec, vcc
	s_cbranch_execz .LBB1354_397
; %bb.396:
	s_lshl_b64 s[10:11], s[22:23], 3
	s_waitcnt lgkmcnt(0)
	s_add_u32 s10, s4, s10
	s_addc_u32 s11, s5, s11
	v_mov_b32_e32 v39, 0
	v_lshl_add_u64 v[48:49], v[38:39], 3, s[10:11]
	global_store_dwordx2 v[48:49], v[14:15], off
.LBB1354_397:
	;; [unrolled: 19-line block ×3, first 2 shown]
	s_or_b64 exec, exec, s[0:1]
	v_cmp_gt_u32_e32 vcc, s8, v34
	s_or_b64 s[8:9], s[34:35], vcc
	s_and_saveexec_b64 s[0:1], s[8:9]
	s_cbranch_execz .LBB1354_403
; %bb.401:
	v_mov_b32_e32 v35, 1
	v_and_b32_sdwa v35, v35, v31 dst_sel:DWORD dst_unused:UNUSED_PAD src0_sel:DWORD src1_sel:WORD_1
	v_cmp_eq_u32_e32 vcc, 1, v35
	s_and_b64 exec, exec, vcc
	s_cbranch_execz .LBB1354_403
; %bb.402:
	s_lshl_b64 s[8:9], s[22:23], 3
	s_waitcnt lgkmcnt(0)
	s_add_u32 s8, s4, s8
	s_addc_u32 s9, s5, s9
	v_mov_b32_e32 v35, 0
	v_lshl_add_u64 v[48:49], v[34:35], 3, s[8:9]
	global_store_dwordx2 v[48:49], v[28:29], off
.LBB1354_403:
	s_or_b64 exec, exec, s[0:1]
	s_mov_b64 s[0:1], 0
.LBB1354_404:
	v_and_b32_e32 v48, 1, v30
	s_and_b64 vcc, exec, s[0:1]
	v_cmp_eq_u32_e64 s[0:1], 1, v48
	s_cbranch_vccz .LBB1354_423
; %bb.405:
	s_and_saveexec_b64 s[8:9], s[0:1]
	s_cbranch_execz .LBB1354_407
; %bb.406:
	v_subrev_u32_e32 v35, s16, v46
	v_lshlrev_b32_e32 v35, 3, v35
	ds_write_b64 v35, v[22:23]
.LBB1354_407:
	s_or_b64 exec, exec, s[8:9]
	v_and_b32_e32 v22, 1, v33
	v_cmp_eq_u32_e32 vcc, 1, v22
	s_and_saveexec_b64 s[0:1], vcc
	s_cbranch_execz .LBB1354_409
; %bb.408:
	v_subrev_u32_e32 v22, s16, v44
	v_lshlrev_b32_e32 v22, 3, v22
	ds_write_b64 v22, v[24:25]
.LBB1354_409:
	s_or_b64 exec, exec, s[0:1]
	v_mov_b32_e32 v22, 1
	v_and_b32_sdwa v22, v22, v30 dst_sel:DWORD dst_unused:UNUSED_PAD src0_sel:DWORD src1_sel:WORD_1
	v_cmp_eq_u32_e32 vcc, 1, v22
	s_and_saveexec_b64 s[0:1], vcc
	s_cbranch_execz .LBB1354_411
; %bb.410:
	v_subrev_u32_e32 v22, s16, v42
	v_lshlrev_b32_e32 v22, 3, v22
	ds_write_b64 v22, v[18:19]
.LBB1354_411:
	s_or_b64 exec, exec, s[0:1]
	v_and_b32_e32 v18, 1, v32
	v_cmp_eq_u32_e32 vcc, 1, v18
	s_and_saveexec_b64 s[0:1], vcc
	s_cbranch_execz .LBB1354_413
; %bb.412:
	v_subrev_u32_e32 v18, s16, v40
	v_lshlrev_b32_e32 v18, 3, v18
	ds_write_b64 v18, v[20:21]
.LBB1354_413:
	s_or_b64 exec, exec, s[0:1]
	v_and_b32_e32 v18, 1, v31
	;; [unrolled: 10-line block ×3, first 2 shown]
	v_cmp_eq_u32_e32 vcc, 1, v14
	s_and_saveexec_b64 s[0:1], vcc
	s_cbranch_execz .LBB1354_417
; %bb.416:
	v_subrev_u32_e32 v14, s16, v36
	v_lshlrev_b32_e32 v14, 3, v14
	ds_write_b64 v14, v[16:17]
.LBB1354_417:
	s_or_b64 exec, exec, s[0:1]
	v_mov_b32_e32 v14, 1
	v_and_b32_sdwa v14, v14, v31 dst_sel:DWORD dst_unused:UNUSED_PAD src0_sel:DWORD src1_sel:WORD_1
	v_cmp_eq_u32_e32 vcc, 1, v14
	s_and_saveexec_b64 s[0:1], vcc
	s_cbranch_execz .LBB1354_419
; %bb.418:
	v_subrev_u32_e32 v14, s16, v34
	v_lshlrev_b32_e32 v14, 3, v14
	ds_write_b64 v14, v[28:29]
.LBB1354_419:
	s_or_b64 exec, exec, s[0:1]
	v_cmp_gt_u32_e32 vcc, s26, v0
	s_waitcnt lgkmcnt(0)
	s_barrier
	s_and_saveexec_b64 s[0:1], vcc
	s_cbranch_execz .LBB1354_422
; %bb.420:
	s_mov_b32 s17, 0
	s_lshl_b64 s[8:9], s[22:23], 3
	s_lshl_b64 s[10:11], s[16:17], 3
	s_add_u32 s8, s8, s10
	s_addc_u32 s9, s9, s11
	s_add_u32 s4, s4, s8
	v_lshlrev_b32_e32 v14, 3, v0
	v_mov_b32_e32 v15, 0
	s_addc_u32 s5, s5, s9
	v_lshl_add_u64 v[16:17], s[4:5], 0, v[14:15]
	s_mov_b64 s[4:5], 0
	s_mov_b64 s[8:9], 0x1000
	v_mov_b32_e32 v15, v0
.LBB1354_421:                           ; =>This Inner Loop Header: Depth=1
	ds_read_b64 v[18:19], v14
	v_add_u32_e32 v15, 0x200, v15
	v_cmp_le_u32_e32 vcc, s26, v15
	v_add_u32_e32 v14, 0x1000, v14
	s_or_b64 s[4:5], vcc, s[4:5]
	s_waitcnt lgkmcnt(0)
	global_store_dwordx2 v[16:17], v[18:19], off
	v_lshl_add_u64 v[16:17], v[16:17], 0, s[8:9]
	s_andn2_b64 exec, exec, s[4:5]
	s_cbranch_execnz .LBB1354_421
.LBB1354_422:
	s_or_b64 exec, exec, s[0:1]
.LBB1354_423:
	s_mov_b64 s[0:1], -1
	s_and_b64 vcc, exec, s[2:3]
	s_waitcnt lgkmcnt(0)
	s_barrier
	s_cbranch_vccnz .LBB1354_427
; %bb.424:
	s_and_b64 vcc, exec, s[0:1]
	s_cbranch_vccnz .LBB1354_449
.LBB1354_425:
	v_cmp_eq_u32_e32 vcc, 0, v0
	s_and_b64 s[0:1], vcc, s[24:25]
	s_and_saveexec_b64 s[2:3], s[0:1]
	s_cbranch_execnz .LBB1354_467
.LBB1354_426:
	s_endpgm
.LBB1354_427:
	s_add_i32 s2, s16, s26
	v_cmp_gt_u32_e32 vcc, s2, v46
	s_or_b64 s[4:5], s[34:35], vcc
	s_and_saveexec_b64 s[0:1], s[4:5]
	s_cbranch_execz .LBB1354_430
; %bb.428:
	v_cmp_eq_u32_e32 vcc, 1, v48
	s_and_b64 exec, exec, vcc
	s_cbranch_execz .LBB1354_430
; %bb.429:
	s_lshl_b64 s[4:5], s[22:23], 3
	s_add_u32 s4, s6, s4
	s_addc_u32 s5, s7, s5
	v_mov_b32_e32 v47, 0
	v_lshl_add_u64 v[14:15], v[46:47], 3, s[4:5]
	global_store_dwordx2 v[14:15], v[10:11], off
.LBB1354_430:
	s_or_b64 exec, exec, s[0:1]
	v_cmp_gt_u32_e32 vcc, s2, v44
	s_or_b64 s[4:5], s[34:35], vcc
	s_and_saveexec_b64 s[0:1], s[4:5]
	s_cbranch_execz .LBB1354_433
; %bb.431:
	v_and_b32_e32 v14, 1, v33
	v_cmp_eq_u32_e32 vcc, 1, v14
	s_and_b64 exec, exec, vcc
	s_cbranch_execz .LBB1354_433
; %bb.432:
	s_lshl_b64 s[4:5], s[22:23], 3
	s_add_u32 s4, s6, s4
	s_addc_u32 s5, s7, s5
	v_mov_b32_e32 v45, 0
	v_lshl_add_u64 v[14:15], v[44:45], 3, s[4:5]
	global_store_dwordx2 v[14:15], v[12:13], off
.LBB1354_433:
	s_or_b64 exec, exec, s[0:1]
	v_cmp_gt_u32_e32 vcc, s2, v42
	s_or_b64 s[4:5], s[34:35], vcc
	s_and_saveexec_b64 s[0:1], s[4:5]
	s_cbranch_execz .LBB1354_436
; %bb.434:
	v_mov_b32_e32 v14, 1
	v_and_b32_sdwa v14, v14, v30 dst_sel:DWORD dst_unused:UNUSED_PAD src0_sel:DWORD src1_sel:WORD_1
	v_cmp_eq_u32_e32 vcc, 1, v14
	s_and_b64 exec, exec, vcc
	s_cbranch_execz .LBB1354_436
; %bb.435:
	s_lshl_b64 s[4:5], s[22:23], 3
	s_add_u32 s4, s6, s4
	s_addc_u32 s5, s7, s5
	v_mov_b32_e32 v43, 0
	v_lshl_add_u64 v[14:15], v[42:43], 3, s[4:5]
	global_store_dwordx2 v[14:15], v[6:7], off
.LBB1354_436:
	s_or_b64 exec, exec, s[0:1]
	v_cmp_gt_u32_e32 vcc, s2, v40
	s_or_b64 s[4:5], s[34:35], vcc
	s_and_saveexec_b64 s[0:1], s[4:5]
	s_cbranch_execz .LBB1354_439
; %bb.437:
	v_and_b32_e32 v14, 1, v32
	v_cmp_eq_u32_e32 vcc, 1, v14
	s_and_b64 exec, exec, vcc
	s_cbranch_execz .LBB1354_439
; %bb.438:
	s_lshl_b64 s[4:5], s[22:23], 3
	s_add_u32 s4, s6, s4
	s_addc_u32 s5, s7, s5
	v_mov_b32_e32 v41, 0
	v_lshl_add_u64 v[14:15], v[40:41], 3, s[4:5]
	global_store_dwordx2 v[14:15], v[8:9], off
.LBB1354_439:
	s_or_b64 exec, exec, s[0:1]
	v_cmp_gt_u32_e32 vcc, s2, v38
	s_or_b64 s[4:5], s[34:35], vcc
	s_and_saveexec_b64 s[0:1], s[4:5]
	s_cbranch_execz .LBB1354_442
; %bb.440:
	v_and_b32_e32 v14, 1, v31
	v_cmp_eq_u32_e32 vcc, 1, v14
	s_and_b64 exec, exec, vcc
	s_cbranch_execz .LBB1354_442
; %bb.441:
	s_lshl_b64 s[4:5], s[22:23], 3
	s_add_u32 s4, s6, s4
	s_addc_u32 s5, s7, s5
	v_mov_b32_e32 v39, 0
	v_lshl_add_u64 v[14:15], v[38:39], 3, s[4:5]
	global_store_dwordx2 v[14:15], v[2:3], off
.LBB1354_442:
	;; [unrolled: 18-line block ×3, first 2 shown]
	s_or_b64 exec, exec, s[0:1]
	v_cmp_gt_u32_e32 vcc, s2, v34
	s_or_b64 s[2:3], s[34:35], vcc
	s_and_saveexec_b64 s[0:1], s[2:3]
	s_cbranch_execz .LBB1354_448
; %bb.446:
	v_mov_b32_e32 v14, 1
	v_and_b32_sdwa v14, v14, v31 dst_sel:DWORD dst_unused:UNUSED_PAD src0_sel:DWORD src1_sel:WORD_1
	v_cmp_eq_u32_e32 vcc, 1, v14
	s_and_b64 exec, exec, vcc
	s_cbranch_execz .LBB1354_448
; %bb.447:
	s_lshl_b64 s[2:3], s[22:23], 3
	s_add_u32 s2, s6, s2
	s_addc_u32 s3, s7, s3
	v_mov_b32_e32 v35, 0
	v_lshl_add_u64 v[14:15], v[34:35], 3, s[2:3]
	global_store_dwordx2 v[14:15], v[26:27], off
.LBB1354_448:
	s_or_b64 exec, exec, s[0:1]
	s_branch .LBB1354_425
.LBB1354_449:
	v_cmp_eq_u32_e32 vcc, 1, v48
	s_and_saveexec_b64 s[0:1], vcc
	s_cbranch_execz .LBB1354_451
; %bb.450:
	v_subrev_u32_e32 v14, s16, v46
	v_lshlrev_b32_e32 v14, 3, v14
	ds_write_b64 v14, v[10:11]
.LBB1354_451:
	s_or_b64 exec, exec, s[0:1]
	v_and_b32_e32 v10, 1, v33
	v_cmp_eq_u32_e32 vcc, 1, v10
	s_and_saveexec_b64 s[0:1], vcc
	s_cbranch_execz .LBB1354_453
; %bb.452:
	v_subrev_u32_e32 v10, s16, v44
	v_lshlrev_b32_e32 v10, 3, v10
	ds_write_b64 v10, v[12:13]
.LBB1354_453:
	s_or_b64 exec, exec, s[0:1]
	v_mov_b32_e32 v10, 1
	v_and_b32_sdwa v10, v10, v30 dst_sel:DWORD dst_unused:UNUSED_PAD src0_sel:DWORD src1_sel:WORD_1
	v_cmp_eq_u32_e32 vcc, 1, v10
	s_and_saveexec_b64 s[0:1], vcc
	s_cbranch_execz .LBB1354_455
; %bb.454:
	v_subrev_u32_e32 v10, s16, v42
	v_lshlrev_b32_e32 v10, 3, v10
	ds_write_b64 v10, v[6:7]
.LBB1354_455:
	s_or_b64 exec, exec, s[0:1]
	v_and_b32_e32 v6, 1, v32
	v_cmp_eq_u32_e32 vcc, 1, v6
	s_and_saveexec_b64 s[0:1], vcc
	s_cbranch_execz .LBB1354_457
; %bb.456:
	v_subrev_u32_e32 v6, s16, v40
	v_lshlrev_b32_e32 v6, 3, v6
	ds_write_b64 v6, v[8:9]
.LBB1354_457:
	s_or_b64 exec, exec, s[0:1]
	v_and_b32_e32 v6, 1, v31
	;; [unrolled: 10-line block ×3, first 2 shown]
	v_cmp_eq_u32_e32 vcc, 1, v1
	s_and_saveexec_b64 s[0:1], vcc
	s_cbranch_execz .LBB1354_461
; %bb.460:
	v_subrev_u32_e32 v1, s16, v36
	v_lshlrev_b32_e32 v1, 3, v1
	ds_write_b64 v1, v[4:5]
.LBB1354_461:
	s_or_b64 exec, exec, s[0:1]
	v_mov_b32_e32 v1, 1
	v_and_b32_sdwa v1, v1, v31 dst_sel:DWORD dst_unused:UNUSED_PAD src0_sel:DWORD src1_sel:WORD_1
	v_cmp_eq_u32_e32 vcc, 1, v1
	s_and_saveexec_b64 s[0:1], vcc
	s_cbranch_execz .LBB1354_463
; %bb.462:
	v_subrev_u32_e32 v1, s16, v34
	v_lshlrev_b32_e32 v1, 3, v1
	ds_write_b64 v1, v[26:27]
.LBB1354_463:
	s_or_b64 exec, exec, s[0:1]
	v_cmp_gt_u32_e32 vcc, s26, v0
	s_waitcnt lgkmcnt(0)
	s_barrier
	s_and_saveexec_b64 s[0:1], vcc
	s_cbranch_execz .LBB1354_466
; %bb.464:
	s_mov_b32 s17, 0
	s_lshl_b64 s[2:3], s[22:23], 3
	s_lshl_b64 s[4:5], s[16:17], 3
	s_add_u32 s2, s2, s4
	s_addc_u32 s3, s3, s5
	s_add_u32 s2, s6, s2
	v_lshlrev_b32_e32 v2, 3, v0
	v_mov_b32_e32 v3, 0
	s_addc_u32 s3, s7, s3
	v_lshl_add_u64 v[4:5], s[2:3], 0, v[2:3]
	s_mov_b64 s[2:3], 0
	s_mov_b64 s[4:5], 0x1000
	v_mov_b32_e32 v1, v0
.LBB1354_465:                           ; =>This Inner Loop Header: Depth=1
	ds_read_b64 v[6:7], v2
	v_add_u32_e32 v1, 0x200, v1
	v_cmp_le_u32_e32 vcc, s26, v1
	v_add_u32_e32 v2, 0x1000, v2
	s_or_b64 s[2:3], vcc, s[2:3]
	s_waitcnt lgkmcnt(0)
	global_store_dwordx2 v[4:5], v[6:7], off
	v_lshl_add_u64 v[4:5], v[4:5], 0, s[4:5]
	s_andn2_b64 exec, exec, s[2:3]
	s_cbranch_execnz .LBB1354_465
.LBB1354_466:
	s_or_b64 exec, exec, s[0:1]
	v_cmp_eq_u32_e32 vcc, 0, v0
	s_and_b64 s[0:1], vcc, s[24:25]
	s_and_saveexec_b64 s[2:3], s[0:1]
	s_cbranch_execz .LBB1354_426
.LBB1354_467:
	s_add_u32 s0, s22, s26
	s_addc_u32 s1, s23, 0
	s_add_u32 s0, s0, s16
	s_addc_u32 s1, s1, 0
	v_mov_b32_e32 v2, 0
	v_mov_b64_e32 v[0:1], s[0:1]
	global_store_dwordx2 v2, v[0:1], s[20:21]
	s_endpgm
	.section	.rodata,"a",@progbits
	.p2align	6, 0x0
	.amdhsa_kernel _ZN7rocprim17ROCPRIM_400000_NS6detail17trampoline_kernelINS0_14default_configENS1_25partition_config_selectorILNS1_17partition_subalgoE9EllbEEZZNS1_14partition_implILS5_9ELb0ES3_jPlS8_PNS0_10empty_typeENS0_5tupleIJS8_S9_EEENSB_IJS8_SA_EEENS0_18inequality_wrapperIZN2at6native12_GLOBAL__N_124unique_dim_cuda_templateIN3c104HalfEEESt5tupleIJNSF_6TensorESM_SM_EERKSM_lbbbEUlllE0_EEPmJS9_EEE10hipError_tPvRmT3_T4_T5_T6_T7_T9_mT8_P12ihipStream_tbDpT10_ENKUlT_T0_E_clISt17integral_constantIbLb1EES1B_IbLb0EEEEDaS17_S18_EUlS17_E_NS1_11comp_targetILNS1_3genE5ELNS1_11target_archE942ELNS1_3gpuE9ELNS1_3repE0EEENS1_30default_config_static_selectorELNS0_4arch9wavefront6targetE1EEEvT1_
		.amdhsa_group_segment_fixed_size 28684
		.amdhsa_private_segment_fixed_size 0
		.amdhsa_kernarg_size 120
		.amdhsa_user_sgpr_count 2
		.amdhsa_user_sgpr_dispatch_ptr 0
		.amdhsa_user_sgpr_queue_ptr 0
		.amdhsa_user_sgpr_kernarg_segment_ptr 1
		.amdhsa_user_sgpr_dispatch_id 0
		.amdhsa_user_sgpr_kernarg_preload_length 0
		.amdhsa_user_sgpr_kernarg_preload_offset 0
		.amdhsa_user_sgpr_private_segment_size 0
		.amdhsa_uses_dynamic_stack 0
		.amdhsa_enable_private_segment 0
		.amdhsa_system_sgpr_workgroup_id_x 1
		.amdhsa_system_sgpr_workgroup_id_y 0
		.amdhsa_system_sgpr_workgroup_id_z 0
		.amdhsa_system_sgpr_workgroup_info 0
		.amdhsa_system_vgpr_workitem_id 0
		.amdhsa_next_free_vgpr 66
		.amdhsa_next_free_sgpr 52
		.amdhsa_accum_offset 68
		.amdhsa_reserve_vcc 1
		.amdhsa_float_round_mode_32 0
		.amdhsa_float_round_mode_16_64 0
		.amdhsa_float_denorm_mode_32 3
		.amdhsa_float_denorm_mode_16_64 3
		.amdhsa_dx10_clamp 1
		.amdhsa_ieee_mode 1
		.amdhsa_fp16_overflow 0
		.amdhsa_tg_split 0
		.amdhsa_exception_fp_ieee_invalid_op 0
		.amdhsa_exception_fp_denorm_src 0
		.amdhsa_exception_fp_ieee_div_zero 0
		.amdhsa_exception_fp_ieee_overflow 0
		.amdhsa_exception_fp_ieee_underflow 0
		.amdhsa_exception_fp_ieee_inexact 0
		.amdhsa_exception_int_div_zero 0
	.end_amdhsa_kernel
	.section	.text._ZN7rocprim17ROCPRIM_400000_NS6detail17trampoline_kernelINS0_14default_configENS1_25partition_config_selectorILNS1_17partition_subalgoE9EllbEEZZNS1_14partition_implILS5_9ELb0ES3_jPlS8_PNS0_10empty_typeENS0_5tupleIJS8_S9_EEENSB_IJS8_SA_EEENS0_18inequality_wrapperIZN2at6native12_GLOBAL__N_124unique_dim_cuda_templateIN3c104HalfEEESt5tupleIJNSF_6TensorESM_SM_EERKSM_lbbbEUlllE0_EEPmJS9_EEE10hipError_tPvRmT3_T4_T5_T6_T7_T9_mT8_P12ihipStream_tbDpT10_ENKUlT_T0_E_clISt17integral_constantIbLb1EES1B_IbLb0EEEEDaS17_S18_EUlS17_E_NS1_11comp_targetILNS1_3genE5ELNS1_11target_archE942ELNS1_3gpuE9ELNS1_3repE0EEENS1_30default_config_static_selectorELNS0_4arch9wavefront6targetE1EEEvT1_,"axG",@progbits,_ZN7rocprim17ROCPRIM_400000_NS6detail17trampoline_kernelINS0_14default_configENS1_25partition_config_selectorILNS1_17partition_subalgoE9EllbEEZZNS1_14partition_implILS5_9ELb0ES3_jPlS8_PNS0_10empty_typeENS0_5tupleIJS8_S9_EEENSB_IJS8_SA_EEENS0_18inequality_wrapperIZN2at6native12_GLOBAL__N_124unique_dim_cuda_templateIN3c104HalfEEESt5tupleIJNSF_6TensorESM_SM_EERKSM_lbbbEUlllE0_EEPmJS9_EEE10hipError_tPvRmT3_T4_T5_T6_T7_T9_mT8_P12ihipStream_tbDpT10_ENKUlT_T0_E_clISt17integral_constantIbLb1EES1B_IbLb0EEEEDaS17_S18_EUlS17_E_NS1_11comp_targetILNS1_3genE5ELNS1_11target_archE942ELNS1_3gpuE9ELNS1_3repE0EEENS1_30default_config_static_selectorELNS0_4arch9wavefront6targetE1EEEvT1_,comdat
.Lfunc_end1354:
	.size	_ZN7rocprim17ROCPRIM_400000_NS6detail17trampoline_kernelINS0_14default_configENS1_25partition_config_selectorILNS1_17partition_subalgoE9EllbEEZZNS1_14partition_implILS5_9ELb0ES3_jPlS8_PNS0_10empty_typeENS0_5tupleIJS8_S9_EEENSB_IJS8_SA_EEENS0_18inequality_wrapperIZN2at6native12_GLOBAL__N_124unique_dim_cuda_templateIN3c104HalfEEESt5tupleIJNSF_6TensorESM_SM_EERKSM_lbbbEUlllE0_EEPmJS9_EEE10hipError_tPvRmT3_T4_T5_T6_T7_T9_mT8_P12ihipStream_tbDpT10_ENKUlT_T0_E_clISt17integral_constantIbLb1EES1B_IbLb0EEEEDaS17_S18_EUlS17_E_NS1_11comp_targetILNS1_3genE5ELNS1_11target_archE942ELNS1_3gpuE9ELNS1_3repE0EEENS1_30default_config_static_selectorELNS0_4arch9wavefront6targetE1EEEvT1_, .Lfunc_end1354-_ZN7rocprim17ROCPRIM_400000_NS6detail17trampoline_kernelINS0_14default_configENS1_25partition_config_selectorILNS1_17partition_subalgoE9EllbEEZZNS1_14partition_implILS5_9ELb0ES3_jPlS8_PNS0_10empty_typeENS0_5tupleIJS8_S9_EEENSB_IJS8_SA_EEENS0_18inequality_wrapperIZN2at6native12_GLOBAL__N_124unique_dim_cuda_templateIN3c104HalfEEESt5tupleIJNSF_6TensorESM_SM_EERKSM_lbbbEUlllE0_EEPmJS9_EEE10hipError_tPvRmT3_T4_T5_T6_T7_T9_mT8_P12ihipStream_tbDpT10_ENKUlT_T0_E_clISt17integral_constantIbLb1EES1B_IbLb0EEEEDaS17_S18_EUlS17_E_NS1_11comp_targetILNS1_3genE5ELNS1_11target_archE942ELNS1_3gpuE9ELNS1_3repE0EEENS1_30default_config_static_selectorELNS0_4arch9wavefront6targetE1EEEvT1_
                                        ; -- End function
	.section	.AMDGPU.csdata,"",@progbits
; Kernel info:
; codeLenInByte = 14472
; NumSgprs: 58
; NumVgprs: 66
; NumAgprs: 0
; TotalNumVgprs: 66
; ScratchSize: 0
; MemoryBound: 0
; FloatMode: 240
; IeeeMode: 1
; LDSByteSize: 28684 bytes/workgroup (compile time only)
; SGPRBlocks: 7
; VGPRBlocks: 8
; NumSGPRsForWavesPerEU: 58
; NumVGPRsForWavesPerEU: 66
; AccumOffset: 68
; Occupancy: 4
; WaveLimiterHint : 1
; COMPUTE_PGM_RSRC2:SCRATCH_EN: 0
; COMPUTE_PGM_RSRC2:USER_SGPR: 2
; COMPUTE_PGM_RSRC2:TRAP_HANDLER: 0
; COMPUTE_PGM_RSRC2:TGID_X_EN: 1
; COMPUTE_PGM_RSRC2:TGID_Y_EN: 0
; COMPUTE_PGM_RSRC2:TGID_Z_EN: 0
; COMPUTE_PGM_RSRC2:TIDIG_COMP_CNT: 0
; COMPUTE_PGM_RSRC3_GFX90A:ACCUM_OFFSET: 16
; COMPUTE_PGM_RSRC3_GFX90A:TG_SPLIT: 0
	.section	.text._ZN7rocprim17ROCPRIM_400000_NS6detail17trampoline_kernelINS0_14default_configENS1_25partition_config_selectorILNS1_17partition_subalgoE9EllbEEZZNS1_14partition_implILS5_9ELb0ES3_jPlS8_PNS0_10empty_typeENS0_5tupleIJS8_S9_EEENSB_IJS8_SA_EEENS0_18inequality_wrapperIZN2at6native12_GLOBAL__N_124unique_dim_cuda_templateIN3c104HalfEEESt5tupleIJNSF_6TensorESM_SM_EERKSM_lbbbEUlllE0_EEPmJS9_EEE10hipError_tPvRmT3_T4_T5_T6_T7_T9_mT8_P12ihipStream_tbDpT10_ENKUlT_T0_E_clISt17integral_constantIbLb1EES1B_IbLb0EEEEDaS17_S18_EUlS17_E_NS1_11comp_targetILNS1_3genE4ELNS1_11target_archE910ELNS1_3gpuE8ELNS1_3repE0EEENS1_30default_config_static_selectorELNS0_4arch9wavefront6targetE1EEEvT1_,"axG",@progbits,_ZN7rocprim17ROCPRIM_400000_NS6detail17trampoline_kernelINS0_14default_configENS1_25partition_config_selectorILNS1_17partition_subalgoE9EllbEEZZNS1_14partition_implILS5_9ELb0ES3_jPlS8_PNS0_10empty_typeENS0_5tupleIJS8_S9_EEENSB_IJS8_SA_EEENS0_18inequality_wrapperIZN2at6native12_GLOBAL__N_124unique_dim_cuda_templateIN3c104HalfEEESt5tupleIJNSF_6TensorESM_SM_EERKSM_lbbbEUlllE0_EEPmJS9_EEE10hipError_tPvRmT3_T4_T5_T6_T7_T9_mT8_P12ihipStream_tbDpT10_ENKUlT_T0_E_clISt17integral_constantIbLb1EES1B_IbLb0EEEEDaS17_S18_EUlS17_E_NS1_11comp_targetILNS1_3genE4ELNS1_11target_archE910ELNS1_3gpuE8ELNS1_3repE0EEENS1_30default_config_static_selectorELNS0_4arch9wavefront6targetE1EEEvT1_,comdat
	.globl	_ZN7rocprim17ROCPRIM_400000_NS6detail17trampoline_kernelINS0_14default_configENS1_25partition_config_selectorILNS1_17partition_subalgoE9EllbEEZZNS1_14partition_implILS5_9ELb0ES3_jPlS8_PNS0_10empty_typeENS0_5tupleIJS8_S9_EEENSB_IJS8_SA_EEENS0_18inequality_wrapperIZN2at6native12_GLOBAL__N_124unique_dim_cuda_templateIN3c104HalfEEESt5tupleIJNSF_6TensorESM_SM_EERKSM_lbbbEUlllE0_EEPmJS9_EEE10hipError_tPvRmT3_T4_T5_T6_T7_T9_mT8_P12ihipStream_tbDpT10_ENKUlT_T0_E_clISt17integral_constantIbLb1EES1B_IbLb0EEEEDaS17_S18_EUlS17_E_NS1_11comp_targetILNS1_3genE4ELNS1_11target_archE910ELNS1_3gpuE8ELNS1_3repE0EEENS1_30default_config_static_selectorELNS0_4arch9wavefront6targetE1EEEvT1_ ; -- Begin function _ZN7rocprim17ROCPRIM_400000_NS6detail17trampoline_kernelINS0_14default_configENS1_25partition_config_selectorILNS1_17partition_subalgoE9EllbEEZZNS1_14partition_implILS5_9ELb0ES3_jPlS8_PNS0_10empty_typeENS0_5tupleIJS8_S9_EEENSB_IJS8_SA_EEENS0_18inequality_wrapperIZN2at6native12_GLOBAL__N_124unique_dim_cuda_templateIN3c104HalfEEESt5tupleIJNSF_6TensorESM_SM_EERKSM_lbbbEUlllE0_EEPmJS9_EEE10hipError_tPvRmT3_T4_T5_T6_T7_T9_mT8_P12ihipStream_tbDpT10_ENKUlT_T0_E_clISt17integral_constantIbLb1EES1B_IbLb0EEEEDaS17_S18_EUlS17_E_NS1_11comp_targetILNS1_3genE4ELNS1_11target_archE910ELNS1_3gpuE8ELNS1_3repE0EEENS1_30default_config_static_selectorELNS0_4arch9wavefront6targetE1EEEvT1_
	.p2align	8
	.type	_ZN7rocprim17ROCPRIM_400000_NS6detail17trampoline_kernelINS0_14default_configENS1_25partition_config_selectorILNS1_17partition_subalgoE9EllbEEZZNS1_14partition_implILS5_9ELb0ES3_jPlS8_PNS0_10empty_typeENS0_5tupleIJS8_S9_EEENSB_IJS8_SA_EEENS0_18inequality_wrapperIZN2at6native12_GLOBAL__N_124unique_dim_cuda_templateIN3c104HalfEEESt5tupleIJNSF_6TensorESM_SM_EERKSM_lbbbEUlllE0_EEPmJS9_EEE10hipError_tPvRmT3_T4_T5_T6_T7_T9_mT8_P12ihipStream_tbDpT10_ENKUlT_T0_E_clISt17integral_constantIbLb1EES1B_IbLb0EEEEDaS17_S18_EUlS17_E_NS1_11comp_targetILNS1_3genE4ELNS1_11target_archE910ELNS1_3gpuE8ELNS1_3repE0EEENS1_30default_config_static_selectorELNS0_4arch9wavefront6targetE1EEEvT1_,@function
_ZN7rocprim17ROCPRIM_400000_NS6detail17trampoline_kernelINS0_14default_configENS1_25partition_config_selectorILNS1_17partition_subalgoE9EllbEEZZNS1_14partition_implILS5_9ELb0ES3_jPlS8_PNS0_10empty_typeENS0_5tupleIJS8_S9_EEENSB_IJS8_SA_EEENS0_18inequality_wrapperIZN2at6native12_GLOBAL__N_124unique_dim_cuda_templateIN3c104HalfEEESt5tupleIJNSF_6TensorESM_SM_EERKSM_lbbbEUlllE0_EEPmJS9_EEE10hipError_tPvRmT3_T4_T5_T6_T7_T9_mT8_P12ihipStream_tbDpT10_ENKUlT_T0_E_clISt17integral_constantIbLb1EES1B_IbLb0EEEEDaS17_S18_EUlS17_E_NS1_11comp_targetILNS1_3genE4ELNS1_11target_archE910ELNS1_3gpuE8ELNS1_3repE0EEENS1_30default_config_static_selectorELNS0_4arch9wavefront6targetE1EEEvT1_: ; @_ZN7rocprim17ROCPRIM_400000_NS6detail17trampoline_kernelINS0_14default_configENS1_25partition_config_selectorILNS1_17partition_subalgoE9EllbEEZZNS1_14partition_implILS5_9ELb0ES3_jPlS8_PNS0_10empty_typeENS0_5tupleIJS8_S9_EEENSB_IJS8_SA_EEENS0_18inequality_wrapperIZN2at6native12_GLOBAL__N_124unique_dim_cuda_templateIN3c104HalfEEESt5tupleIJNSF_6TensorESM_SM_EERKSM_lbbbEUlllE0_EEPmJS9_EEE10hipError_tPvRmT3_T4_T5_T6_T7_T9_mT8_P12ihipStream_tbDpT10_ENKUlT_T0_E_clISt17integral_constantIbLb1EES1B_IbLb0EEEEDaS17_S18_EUlS17_E_NS1_11comp_targetILNS1_3genE4ELNS1_11target_archE910ELNS1_3gpuE8ELNS1_3repE0EEENS1_30default_config_static_selectorELNS0_4arch9wavefront6targetE1EEEvT1_
; %bb.0:
	.section	.rodata,"a",@progbits
	.p2align	6, 0x0
	.amdhsa_kernel _ZN7rocprim17ROCPRIM_400000_NS6detail17trampoline_kernelINS0_14default_configENS1_25partition_config_selectorILNS1_17partition_subalgoE9EllbEEZZNS1_14partition_implILS5_9ELb0ES3_jPlS8_PNS0_10empty_typeENS0_5tupleIJS8_S9_EEENSB_IJS8_SA_EEENS0_18inequality_wrapperIZN2at6native12_GLOBAL__N_124unique_dim_cuda_templateIN3c104HalfEEESt5tupleIJNSF_6TensorESM_SM_EERKSM_lbbbEUlllE0_EEPmJS9_EEE10hipError_tPvRmT3_T4_T5_T6_T7_T9_mT8_P12ihipStream_tbDpT10_ENKUlT_T0_E_clISt17integral_constantIbLb1EES1B_IbLb0EEEEDaS17_S18_EUlS17_E_NS1_11comp_targetILNS1_3genE4ELNS1_11target_archE910ELNS1_3gpuE8ELNS1_3repE0EEENS1_30default_config_static_selectorELNS0_4arch9wavefront6targetE1EEEvT1_
		.amdhsa_group_segment_fixed_size 0
		.amdhsa_private_segment_fixed_size 0
		.amdhsa_kernarg_size 120
		.amdhsa_user_sgpr_count 2
		.amdhsa_user_sgpr_dispatch_ptr 0
		.amdhsa_user_sgpr_queue_ptr 0
		.amdhsa_user_sgpr_kernarg_segment_ptr 1
		.amdhsa_user_sgpr_dispatch_id 0
		.amdhsa_user_sgpr_kernarg_preload_length 0
		.amdhsa_user_sgpr_kernarg_preload_offset 0
		.amdhsa_user_sgpr_private_segment_size 0
		.amdhsa_uses_dynamic_stack 0
		.amdhsa_enable_private_segment 0
		.amdhsa_system_sgpr_workgroup_id_x 1
		.amdhsa_system_sgpr_workgroup_id_y 0
		.amdhsa_system_sgpr_workgroup_id_z 0
		.amdhsa_system_sgpr_workgroup_info 0
		.amdhsa_system_vgpr_workitem_id 0
		.amdhsa_next_free_vgpr 1
		.amdhsa_next_free_sgpr 0
		.amdhsa_accum_offset 4
		.amdhsa_reserve_vcc 0
		.amdhsa_float_round_mode_32 0
		.amdhsa_float_round_mode_16_64 0
		.amdhsa_float_denorm_mode_32 3
		.amdhsa_float_denorm_mode_16_64 3
		.amdhsa_dx10_clamp 1
		.amdhsa_ieee_mode 1
		.amdhsa_fp16_overflow 0
		.amdhsa_tg_split 0
		.amdhsa_exception_fp_ieee_invalid_op 0
		.amdhsa_exception_fp_denorm_src 0
		.amdhsa_exception_fp_ieee_div_zero 0
		.amdhsa_exception_fp_ieee_overflow 0
		.amdhsa_exception_fp_ieee_underflow 0
		.amdhsa_exception_fp_ieee_inexact 0
		.amdhsa_exception_int_div_zero 0
	.end_amdhsa_kernel
	.section	.text._ZN7rocprim17ROCPRIM_400000_NS6detail17trampoline_kernelINS0_14default_configENS1_25partition_config_selectorILNS1_17partition_subalgoE9EllbEEZZNS1_14partition_implILS5_9ELb0ES3_jPlS8_PNS0_10empty_typeENS0_5tupleIJS8_S9_EEENSB_IJS8_SA_EEENS0_18inequality_wrapperIZN2at6native12_GLOBAL__N_124unique_dim_cuda_templateIN3c104HalfEEESt5tupleIJNSF_6TensorESM_SM_EERKSM_lbbbEUlllE0_EEPmJS9_EEE10hipError_tPvRmT3_T4_T5_T6_T7_T9_mT8_P12ihipStream_tbDpT10_ENKUlT_T0_E_clISt17integral_constantIbLb1EES1B_IbLb0EEEEDaS17_S18_EUlS17_E_NS1_11comp_targetILNS1_3genE4ELNS1_11target_archE910ELNS1_3gpuE8ELNS1_3repE0EEENS1_30default_config_static_selectorELNS0_4arch9wavefront6targetE1EEEvT1_,"axG",@progbits,_ZN7rocprim17ROCPRIM_400000_NS6detail17trampoline_kernelINS0_14default_configENS1_25partition_config_selectorILNS1_17partition_subalgoE9EllbEEZZNS1_14partition_implILS5_9ELb0ES3_jPlS8_PNS0_10empty_typeENS0_5tupleIJS8_S9_EEENSB_IJS8_SA_EEENS0_18inequality_wrapperIZN2at6native12_GLOBAL__N_124unique_dim_cuda_templateIN3c104HalfEEESt5tupleIJNSF_6TensorESM_SM_EERKSM_lbbbEUlllE0_EEPmJS9_EEE10hipError_tPvRmT3_T4_T5_T6_T7_T9_mT8_P12ihipStream_tbDpT10_ENKUlT_T0_E_clISt17integral_constantIbLb1EES1B_IbLb0EEEEDaS17_S18_EUlS17_E_NS1_11comp_targetILNS1_3genE4ELNS1_11target_archE910ELNS1_3gpuE8ELNS1_3repE0EEENS1_30default_config_static_selectorELNS0_4arch9wavefront6targetE1EEEvT1_,comdat
.Lfunc_end1355:
	.size	_ZN7rocprim17ROCPRIM_400000_NS6detail17trampoline_kernelINS0_14default_configENS1_25partition_config_selectorILNS1_17partition_subalgoE9EllbEEZZNS1_14partition_implILS5_9ELb0ES3_jPlS8_PNS0_10empty_typeENS0_5tupleIJS8_S9_EEENSB_IJS8_SA_EEENS0_18inequality_wrapperIZN2at6native12_GLOBAL__N_124unique_dim_cuda_templateIN3c104HalfEEESt5tupleIJNSF_6TensorESM_SM_EERKSM_lbbbEUlllE0_EEPmJS9_EEE10hipError_tPvRmT3_T4_T5_T6_T7_T9_mT8_P12ihipStream_tbDpT10_ENKUlT_T0_E_clISt17integral_constantIbLb1EES1B_IbLb0EEEEDaS17_S18_EUlS17_E_NS1_11comp_targetILNS1_3genE4ELNS1_11target_archE910ELNS1_3gpuE8ELNS1_3repE0EEENS1_30default_config_static_selectorELNS0_4arch9wavefront6targetE1EEEvT1_, .Lfunc_end1355-_ZN7rocprim17ROCPRIM_400000_NS6detail17trampoline_kernelINS0_14default_configENS1_25partition_config_selectorILNS1_17partition_subalgoE9EllbEEZZNS1_14partition_implILS5_9ELb0ES3_jPlS8_PNS0_10empty_typeENS0_5tupleIJS8_S9_EEENSB_IJS8_SA_EEENS0_18inequality_wrapperIZN2at6native12_GLOBAL__N_124unique_dim_cuda_templateIN3c104HalfEEESt5tupleIJNSF_6TensorESM_SM_EERKSM_lbbbEUlllE0_EEPmJS9_EEE10hipError_tPvRmT3_T4_T5_T6_T7_T9_mT8_P12ihipStream_tbDpT10_ENKUlT_T0_E_clISt17integral_constantIbLb1EES1B_IbLb0EEEEDaS17_S18_EUlS17_E_NS1_11comp_targetILNS1_3genE4ELNS1_11target_archE910ELNS1_3gpuE8ELNS1_3repE0EEENS1_30default_config_static_selectorELNS0_4arch9wavefront6targetE1EEEvT1_
                                        ; -- End function
	.section	.AMDGPU.csdata,"",@progbits
; Kernel info:
; codeLenInByte = 0
; NumSgprs: 6
; NumVgprs: 0
; NumAgprs: 0
; TotalNumVgprs: 0
; ScratchSize: 0
; MemoryBound: 0
; FloatMode: 240
; IeeeMode: 1
; LDSByteSize: 0 bytes/workgroup (compile time only)
; SGPRBlocks: 0
; VGPRBlocks: 0
; NumSGPRsForWavesPerEU: 6
; NumVGPRsForWavesPerEU: 1
; AccumOffset: 4
; Occupancy: 8
; WaveLimiterHint : 0
; COMPUTE_PGM_RSRC2:SCRATCH_EN: 0
; COMPUTE_PGM_RSRC2:USER_SGPR: 2
; COMPUTE_PGM_RSRC2:TRAP_HANDLER: 0
; COMPUTE_PGM_RSRC2:TGID_X_EN: 1
; COMPUTE_PGM_RSRC2:TGID_Y_EN: 0
; COMPUTE_PGM_RSRC2:TGID_Z_EN: 0
; COMPUTE_PGM_RSRC2:TIDIG_COMP_CNT: 0
; COMPUTE_PGM_RSRC3_GFX90A:ACCUM_OFFSET: 0
; COMPUTE_PGM_RSRC3_GFX90A:TG_SPLIT: 0
	.section	.text._ZN7rocprim17ROCPRIM_400000_NS6detail17trampoline_kernelINS0_14default_configENS1_25partition_config_selectorILNS1_17partition_subalgoE9EllbEEZZNS1_14partition_implILS5_9ELb0ES3_jPlS8_PNS0_10empty_typeENS0_5tupleIJS8_S9_EEENSB_IJS8_SA_EEENS0_18inequality_wrapperIZN2at6native12_GLOBAL__N_124unique_dim_cuda_templateIN3c104HalfEEESt5tupleIJNSF_6TensorESM_SM_EERKSM_lbbbEUlllE0_EEPmJS9_EEE10hipError_tPvRmT3_T4_T5_T6_T7_T9_mT8_P12ihipStream_tbDpT10_ENKUlT_T0_E_clISt17integral_constantIbLb1EES1B_IbLb0EEEEDaS17_S18_EUlS17_E_NS1_11comp_targetILNS1_3genE3ELNS1_11target_archE908ELNS1_3gpuE7ELNS1_3repE0EEENS1_30default_config_static_selectorELNS0_4arch9wavefront6targetE1EEEvT1_,"axG",@progbits,_ZN7rocprim17ROCPRIM_400000_NS6detail17trampoline_kernelINS0_14default_configENS1_25partition_config_selectorILNS1_17partition_subalgoE9EllbEEZZNS1_14partition_implILS5_9ELb0ES3_jPlS8_PNS0_10empty_typeENS0_5tupleIJS8_S9_EEENSB_IJS8_SA_EEENS0_18inequality_wrapperIZN2at6native12_GLOBAL__N_124unique_dim_cuda_templateIN3c104HalfEEESt5tupleIJNSF_6TensorESM_SM_EERKSM_lbbbEUlllE0_EEPmJS9_EEE10hipError_tPvRmT3_T4_T5_T6_T7_T9_mT8_P12ihipStream_tbDpT10_ENKUlT_T0_E_clISt17integral_constantIbLb1EES1B_IbLb0EEEEDaS17_S18_EUlS17_E_NS1_11comp_targetILNS1_3genE3ELNS1_11target_archE908ELNS1_3gpuE7ELNS1_3repE0EEENS1_30default_config_static_selectorELNS0_4arch9wavefront6targetE1EEEvT1_,comdat
	.globl	_ZN7rocprim17ROCPRIM_400000_NS6detail17trampoline_kernelINS0_14default_configENS1_25partition_config_selectorILNS1_17partition_subalgoE9EllbEEZZNS1_14partition_implILS5_9ELb0ES3_jPlS8_PNS0_10empty_typeENS0_5tupleIJS8_S9_EEENSB_IJS8_SA_EEENS0_18inequality_wrapperIZN2at6native12_GLOBAL__N_124unique_dim_cuda_templateIN3c104HalfEEESt5tupleIJNSF_6TensorESM_SM_EERKSM_lbbbEUlllE0_EEPmJS9_EEE10hipError_tPvRmT3_T4_T5_T6_T7_T9_mT8_P12ihipStream_tbDpT10_ENKUlT_T0_E_clISt17integral_constantIbLb1EES1B_IbLb0EEEEDaS17_S18_EUlS17_E_NS1_11comp_targetILNS1_3genE3ELNS1_11target_archE908ELNS1_3gpuE7ELNS1_3repE0EEENS1_30default_config_static_selectorELNS0_4arch9wavefront6targetE1EEEvT1_ ; -- Begin function _ZN7rocprim17ROCPRIM_400000_NS6detail17trampoline_kernelINS0_14default_configENS1_25partition_config_selectorILNS1_17partition_subalgoE9EllbEEZZNS1_14partition_implILS5_9ELb0ES3_jPlS8_PNS0_10empty_typeENS0_5tupleIJS8_S9_EEENSB_IJS8_SA_EEENS0_18inequality_wrapperIZN2at6native12_GLOBAL__N_124unique_dim_cuda_templateIN3c104HalfEEESt5tupleIJNSF_6TensorESM_SM_EERKSM_lbbbEUlllE0_EEPmJS9_EEE10hipError_tPvRmT3_T4_T5_T6_T7_T9_mT8_P12ihipStream_tbDpT10_ENKUlT_T0_E_clISt17integral_constantIbLb1EES1B_IbLb0EEEEDaS17_S18_EUlS17_E_NS1_11comp_targetILNS1_3genE3ELNS1_11target_archE908ELNS1_3gpuE7ELNS1_3repE0EEENS1_30default_config_static_selectorELNS0_4arch9wavefront6targetE1EEEvT1_
	.p2align	8
	.type	_ZN7rocprim17ROCPRIM_400000_NS6detail17trampoline_kernelINS0_14default_configENS1_25partition_config_selectorILNS1_17partition_subalgoE9EllbEEZZNS1_14partition_implILS5_9ELb0ES3_jPlS8_PNS0_10empty_typeENS0_5tupleIJS8_S9_EEENSB_IJS8_SA_EEENS0_18inequality_wrapperIZN2at6native12_GLOBAL__N_124unique_dim_cuda_templateIN3c104HalfEEESt5tupleIJNSF_6TensorESM_SM_EERKSM_lbbbEUlllE0_EEPmJS9_EEE10hipError_tPvRmT3_T4_T5_T6_T7_T9_mT8_P12ihipStream_tbDpT10_ENKUlT_T0_E_clISt17integral_constantIbLb1EES1B_IbLb0EEEEDaS17_S18_EUlS17_E_NS1_11comp_targetILNS1_3genE3ELNS1_11target_archE908ELNS1_3gpuE7ELNS1_3repE0EEENS1_30default_config_static_selectorELNS0_4arch9wavefront6targetE1EEEvT1_,@function
_ZN7rocprim17ROCPRIM_400000_NS6detail17trampoline_kernelINS0_14default_configENS1_25partition_config_selectorILNS1_17partition_subalgoE9EllbEEZZNS1_14partition_implILS5_9ELb0ES3_jPlS8_PNS0_10empty_typeENS0_5tupleIJS8_S9_EEENSB_IJS8_SA_EEENS0_18inequality_wrapperIZN2at6native12_GLOBAL__N_124unique_dim_cuda_templateIN3c104HalfEEESt5tupleIJNSF_6TensorESM_SM_EERKSM_lbbbEUlllE0_EEPmJS9_EEE10hipError_tPvRmT3_T4_T5_T6_T7_T9_mT8_P12ihipStream_tbDpT10_ENKUlT_T0_E_clISt17integral_constantIbLb1EES1B_IbLb0EEEEDaS17_S18_EUlS17_E_NS1_11comp_targetILNS1_3genE3ELNS1_11target_archE908ELNS1_3gpuE7ELNS1_3repE0EEENS1_30default_config_static_selectorELNS0_4arch9wavefront6targetE1EEEvT1_: ; @_ZN7rocprim17ROCPRIM_400000_NS6detail17trampoline_kernelINS0_14default_configENS1_25partition_config_selectorILNS1_17partition_subalgoE9EllbEEZZNS1_14partition_implILS5_9ELb0ES3_jPlS8_PNS0_10empty_typeENS0_5tupleIJS8_S9_EEENSB_IJS8_SA_EEENS0_18inequality_wrapperIZN2at6native12_GLOBAL__N_124unique_dim_cuda_templateIN3c104HalfEEESt5tupleIJNSF_6TensorESM_SM_EERKSM_lbbbEUlllE0_EEPmJS9_EEE10hipError_tPvRmT3_T4_T5_T6_T7_T9_mT8_P12ihipStream_tbDpT10_ENKUlT_T0_E_clISt17integral_constantIbLb1EES1B_IbLb0EEEEDaS17_S18_EUlS17_E_NS1_11comp_targetILNS1_3genE3ELNS1_11target_archE908ELNS1_3gpuE7ELNS1_3repE0EEENS1_30default_config_static_selectorELNS0_4arch9wavefront6targetE1EEEvT1_
; %bb.0:
	.section	.rodata,"a",@progbits
	.p2align	6, 0x0
	.amdhsa_kernel _ZN7rocprim17ROCPRIM_400000_NS6detail17trampoline_kernelINS0_14default_configENS1_25partition_config_selectorILNS1_17partition_subalgoE9EllbEEZZNS1_14partition_implILS5_9ELb0ES3_jPlS8_PNS0_10empty_typeENS0_5tupleIJS8_S9_EEENSB_IJS8_SA_EEENS0_18inequality_wrapperIZN2at6native12_GLOBAL__N_124unique_dim_cuda_templateIN3c104HalfEEESt5tupleIJNSF_6TensorESM_SM_EERKSM_lbbbEUlllE0_EEPmJS9_EEE10hipError_tPvRmT3_T4_T5_T6_T7_T9_mT8_P12ihipStream_tbDpT10_ENKUlT_T0_E_clISt17integral_constantIbLb1EES1B_IbLb0EEEEDaS17_S18_EUlS17_E_NS1_11comp_targetILNS1_3genE3ELNS1_11target_archE908ELNS1_3gpuE7ELNS1_3repE0EEENS1_30default_config_static_selectorELNS0_4arch9wavefront6targetE1EEEvT1_
		.amdhsa_group_segment_fixed_size 0
		.amdhsa_private_segment_fixed_size 0
		.amdhsa_kernarg_size 120
		.amdhsa_user_sgpr_count 2
		.amdhsa_user_sgpr_dispatch_ptr 0
		.amdhsa_user_sgpr_queue_ptr 0
		.amdhsa_user_sgpr_kernarg_segment_ptr 1
		.amdhsa_user_sgpr_dispatch_id 0
		.amdhsa_user_sgpr_kernarg_preload_length 0
		.amdhsa_user_sgpr_kernarg_preload_offset 0
		.amdhsa_user_sgpr_private_segment_size 0
		.amdhsa_uses_dynamic_stack 0
		.amdhsa_enable_private_segment 0
		.amdhsa_system_sgpr_workgroup_id_x 1
		.amdhsa_system_sgpr_workgroup_id_y 0
		.amdhsa_system_sgpr_workgroup_id_z 0
		.amdhsa_system_sgpr_workgroup_info 0
		.amdhsa_system_vgpr_workitem_id 0
		.amdhsa_next_free_vgpr 1
		.amdhsa_next_free_sgpr 0
		.amdhsa_accum_offset 4
		.amdhsa_reserve_vcc 0
		.amdhsa_float_round_mode_32 0
		.amdhsa_float_round_mode_16_64 0
		.amdhsa_float_denorm_mode_32 3
		.amdhsa_float_denorm_mode_16_64 3
		.amdhsa_dx10_clamp 1
		.amdhsa_ieee_mode 1
		.amdhsa_fp16_overflow 0
		.amdhsa_tg_split 0
		.amdhsa_exception_fp_ieee_invalid_op 0
		.amdhsa_exception_fp_denorm_src 0
		.amdhsa_exception_fp_ieee_div_zero 0
		.amdhsa_exception_fp_ieee_overflow 0
		.amdhsa_exception_fp_ieee_underflow 0
		.amdhsa_exception_fp_ieee_inexact 0
		.amdhsa_exception_int_div_zero 0
	.end_amdhsa_kernel
	.section	.text._ZN7rocprim17ROCPRIM_400000_NS6detail17trampoline_kernelINS0_14default_configENS1_25partition_config_selectorILNS1_17partition_subalgoE9EllbEEZZNS1_14partition_implILS5_9ELb0ES3_jPlS8_PNS0_10empty_typeENS0_5tupleIJS8_S9_EEENSB_IJS8_SA_EEENS0_18inequality_wrapperIZN2at6native12_GLOBAL__N_124unique_dim_cuda_templateIN3c104HalfEEESt5tupleIJNSF_6TensorESM_SM_EERKSM_lbbbEUlllE0_EEPmJS9_EEE10hipError_tPvRmT3_T4_T5_T6_T7_T9_mT8_P12ihipStream_tbDpT10_ENKUlT_T0_E_clISt17integral_constantIbLb1EES1B_IbLb0EEEEDaS17_S18_EUlS17_E_NS1_11comp_targetILNS1_3genE3ELNS1_11target_archE908ELNS1_3gpuE7ELNS1_3repE0EEENS1_30default_config_static_selectorELNS0_4arch9wavefront6targetE1EEEvT1_,"axG",@progbits,_ZN7rocprim17ROCPRIM_400000_NS6detail17trampoline_kernelINS0_14default_configENS1_25partition_config_selectorILNS1_17partition_subalgoE9EllbEEZZNS1_14partition_implILS5_9ELb0ES3_jPlS8_PNS0_10empty_typeENS0_5tupleIJS8_S9_EEENSB_IJS8_SA_EEENS0_18inequality_wrapperIZN2at6native12_GLOBAL__N_124unique_dim_cuda_templateIN3c104HalfEEESt5tupleIJNSF_6TensorESM_SM_EERKSM_lbbbEUlllE0_EEPmJS9_EEE10hipError_tPvRmT3_T4_T5_T6_T7_T9_mT8_P12ihipStream_tbDpT10_ENKUlT_T0_E_clISt17integral_constantIbLb1EES1B_IbLb0EEEEDaS17_S18_EUlS17_E_NS1_11comp_targetILNS1_3genE3ELNS1_11target_archE908ELNS1_3gpuE7ELNS1_3repE0EEENS1_30default_config_static_selectorELNS0_4arch9wavefront6targetE1EEEvT1_,comdat
.Lfunc_end1356:
	.size	_ZN7rocprim17ROCPRIM_400000_NS6detail17trampoline_kernelINS0_14default_configENS1_25partition_config_selectorILNS1_17partition_subalgoE9EllbEEZZNS1_14partition_implILS5_9ELb0ES3_jPlS8_PNS0_10empty_typeENS0_5tupleIJS8_S9_EEENSB_IJS8_SA_EEENS0_18inequality_wrapperIZN2at6native12_GLOBAL__N_124unique_dim_cuda_templateIN3c104HalfEEESt5tupleIJNSF_6TensorESM_SM_EERKSM_lbbbEUlllE0_EEPmJS9_EEE10hipError_tPvRmT3_T4_T5_T6_T7_T9_mT8_P12ihipStream_tbDpT10_ENKUlT_T0_E_clISt17integral_constantIbLb1EES1B_IbLb0EEEEDaS17_S18_EUlS17_E_NS1_11comp_targetILNS1_3genE3ELNS1_11target_archE908ELNS1_3gpuE7ELNS1_3repE0EEENS1_30default_config_static_selectorELNS0_4arch9wavefront6targetE1EEEvT1_, .Lfunc_end1356-_ZN7rocprim17ROCPRIM_400000_NS6detail17trampoline_kernelINS0_14default_configENS1_25partition_config_selectorILNS1_17partition_subalgoE9EllbEEZZNS1_14partition_implILS5_9ELb0ES3_jPlS8_PNS0_10empty_typeENS0_5tupleIJS8_S9_EEENSB_IJS8_SA_EEENS0_18inequality_wrapperIZN2at6native12_GLOBAL__N_124unique_dim_cuda_templateIN3c104HalfEEESt5tupleIJNSF_6TensorESM_SM_EERKSM_lbbbEUlllE0_EEPmJS9_EEE10hipError_tPvRmT3_T4_T5_T6_T7_T9_mT8_P12ihipStream_tbDpT10_ENKUlT_T0_E_clISt17integral_constantIbLb1EES1B_IbLb0EEEEDaS17_S18_EUlS17_E_NS1_11comp_targetILNS1_3genE3ELNS1_11target_archE908ELNS1_3gpuE7ELNS1_3repE0EEENS1_30default_config_static_selectorELNS0_4arch9wavefront6targetE1EEEvT1_
                                        ; -- End function
	.section	.AMDGPU.csdata,"",@progbits
; Kernel info:
; codeLenInByte = 0
; NumSgprs: 6
; NumVgprs: 0
; NumAgprs: 0
; TotalNumVgprs: 0
; ScratchSize: 0
; MemoryBound: 0
; FloatMode: 240
; IeeeMode: 1
; LDSByteSize: 0 bytes/workgroup (compile time only)
; SGPRBlocks: 0
; VGPRBlocks: 0
; NumSGPRsForWavesPerEU: 6
; NumVGPRsForWavesPerEU: 1
; AccumOffset: 4
; Occupancy: 8
; WaveLimiterHint : 0
; COMPUTE_PGM_RSRC2:SCRATCH_EN: 0
; COMPUTE_PGM_RSRC2:USER_SGPR: 2
; COMPUTE_PGM_RSRC2:TRAP_HANDLER: 0
; COMPUTE_PGM_RSRC2:TGID_X_EN: 1
; COMPUTE_PGM_RSRC2:TGID_Y_EN: 0
; COMPUTE_PGM_RSRC2:TGID_Z_EN: 0
; COMPUTE_PGM_RSRC2:TIDIG_COMP_CNT: 0
; COMPUTE_PGM_RSRC3_GFX90A:ACCUM_OFFSET: 0
; COMPUTE_PGM_RSRC3_GFX90A:TG_SPLIT: 0
	.section	.text._ZN7rocprim17ROCPRIM_400000_NS6detail17trampoline_kernelINS0_14default_configENS1_25partition_config_selectorILNS1_17partition_subalgoE9EllbEEZZNS1_14partition_implILS5_9ELb0ES3_jPlS8_PNS0_10empty_typeENS0_5tupleIJS8_S9_EEENSB_IJS8_SA_EEENS0_18inequality_wrapperIZN2at6native12_GLOBAL__N_124unique_dim_cuda_templateIN3c104HalfEEESt5tupleIJNSF_6TensorESM_SM_EERKSM_lbbbEUlllE0_EEPmJS9_EEE10hipError_tPvRmT3_T4_T5_T6_T7_T9_mT8_P12ihipStream_tbDpT10_ENKUlT_T0_E_clISt17integral_constantIbLb1EES1B_IbLb0EEEEDaS17_S18_EUlS17_E_NS1_11comp_targetILNS1_3genE2ELNS1_11target_archE906ELNS1_3gpuE6ELNS1_3repE0EEENS1_30default_config_static_selectorELNS0_4arch9wavefront6targetE1EEEvT1_,"axG",@progbits,_ZN7rocprim17ROCPRIM_400000_NS6detail17trampoline_kernelINS0_14default_configENS1_25partition_config_selectorILNS1_17partition_subalgoE9EllbEEZZNS1_14partition_implILS5_9ELb0ES3_jPlS8_PNS0_10empty_typeENS0_5tupleIJS8_S9_EEENSB_IJS8_SA_EEENS0_18inequality_wrapperIZN2at6native12_GLOBAL__N_124unique_dim_cuda_templateIN3c104HalfEEESt5tupleIJNSF_6TensorESM_SM_EERKSM_lbbbEUlllE0_EEPmJS9_EEE10hipError_tPvRmT3_T4_T5_T6_T7_T9_mT8_P12ihipStream_tbDpT10_ENKUlT_T0_E_clISt17integral_constantIbLb1EES1B_IbLb0EEEEDaS17_S18_EUlS17_E_NS1_11comp_targetILNS1_3genE2ELNS1_11target_archE906ELNS1_3gpuE6ELNS1_3repE0EEENS1_30default_config_static_selectorELNS0_4arch9wavefront6targetE1EEEvT1_,comdat
	.globl	_ZN7rocprim17ROCPRIM_400000_NS6detail17trampoline_kernelINS0_14default_configENS1_25partition_config_selectorILNS1_17partition_subalgoE9EllbEEZZNS1_14partition_implILS5_9ELb0ES3_jPlS8_PNS0_10empty_typeENS0_5tupleIJS8_S9_EEENSB_IJS8_SA_EEENS0_18inequality_wrapperIZN2at6native12_GLOBAL__N_124unique_dim_cuda_templateIN3c104HalfEEESt5tupleIJNSF_6TensorESM_SM_EERKSM_lbbbEUlllE0_EEPmJS9_EEE10hipError_tPvRmT3_T4_T5_T6_T7_T9_mT8_P12ihipStream_tbDpT10_ENKUlT_T0_E_clISt17integral_constantIbLb1EES1B_IbLb0EEEEDaS17_S18_EUlS17_E_NS1_11comp_targetILNS1_3genE2ELNS1_11target_archE906ELNS1_3gpuE6ELNS1_3repE0EEENS1_30default_config_static_selectorELNS0_4arch9wavefront6targetE1EEEvT1_ ; -- Begin function _ZN7rocprim17ROCPRIM_400000_NS6detail17trampoline_kernelINS0_14default_configENS1_25partition_config_selectorILNS1_17partition_subalgoE9EllbEEZZNS1_14partition_implILS5_9ELb0ES3_jPlS8_PNS0_10empty_typeENS0_5tupleIJS8_S9_EEENSB_IJS8_SA_EEENS0_18inequality_wrapperIZN2at6native12_GLOBAL__N_124unique_dim_cuda_templateIN3c104HalfEEESt5tupleIJNSF_6TensorESM_SM_EERKSM_lbbbEUlllE0_EEPmJS9_EEE10hipError_tPvRmT3_T4_T5_T6_T7_T9_mT8_P12ihipStream_tbDpT10_ENKUlT_T0_E_clISt17integral_constantIbLb1EES1B_IbLb0EEEEDaS17_S18_EUlS17_E_NS1_11comp_targetILNS1_3genE2ELNS1_11target_archE906ELNS1_3gpuE6ELNS1_3repE0EEENS1_30default_config_static_selectorELNS0_4arch9wavefront6targetE1EEEvT1_
	.p2align	8
	.type	_ZN7rocprim17ROCPRIM_400000_NS6detail17trampoline_kernelINS0_14default_configENS1_25partition_config_selectorILNS1_17partition_subalgoE9EllbEEZZNS1_14partition_implILS5_9ELb0ES3_jPlS8_PNS0_10empty_typeENS0_5tupleIJS8_S9_EEENSB_IJS8_SA_EEENS0_18inequality_wrapperIZN2at6native12_GLOBAL__N_124unique_dim_cuda_templateIN3c104HalfEEESt5tupleIJNSF_6TensorESM_SM_EERKSM_lbbbEUlllE0_EEPmJS9_EEE10hipError_tPvRmT3_T4_T5_T6_T7_T9_mT8_P12ihipStream_tbDpT10_ENKUlT_T0_E_clISt17integral_constantIbLb1EES1B_IbLb0EEEEDaS17_S18_EUlS17_E_NS1_11comp_targetILNS1_3genE2ELNS1_11target_archE906ELNS1_3gpuE6ELNS1_3repE0EEENS1_30default_config_static_selectorELNS0_4arch9wavefront6targetE1EEEvT1_,@function
_ZN7rocprim17ROCPRIM_400000_NS6detail17trampoline_kernelINS0_14default_configENS1_25partition_config_selectorILNS1_17partition_subalgoE9EllbEEZZNS1_14partition_implILS5_9ELb0ES3_jPlS8_PNS0_10empty_typeENS0_5tupleIJS8_S9_EEENSB_IJS8_SA_EEENS0_18inequality_wrapperIZN2at6native12_GLOBAL__N_124unique_dim_cuda_templateIN3c104HalfEEESt5tupleIJNSF_6TensorESM_SM_EERKSM_lbbbEUlllE0_EEPmJS9_EEE10hipError_tPvRmT3_T4_T5_T6_T7_T9_mT8_P12ihipStream_tbDpT10_ENKUlT_T0_E_clISt17integral_constantIbLb1EES1B_IbLb0EEEEDaS17_S18_EUlS17_E_NS1_11comp_targetILNS1_3genE2ELNS1_11target_archE906ELNS1_3gpuE6ELNS1_3repE0EEENS1_30default_config_static_selectorELNS0_4arch9wavefront6targetE1EEEvT1_: ; @_ZN7rocprim17ROCPRIM_400000_NS6detail17trampoline_kernelINS0_14default_configENS1_25partition_config_selectorILNS1_17partition_subalgoE9EllbEEZZNS1_14partition_implILS5_9ELb0ES3_jPlS8_PNS0_10empty_typeENS0_5tupleIJS8_S9_EEENSB_IJS8_SA_EEENS0_18inequality_wrapperIZN2at6native12_GLOBAL__N_124unique_dim_cuda_templateIN3c104HalfEEESt5tupleIJNSF_6TensorESM_SM_EERKSM_lbbbEUlllE0_EEPmJS9_EEE10hipError_tPvRmT3_T4_T5_T6_T7_T9_mT8_P12ihipStream_tbDpT10_ENKUlT_T0_E_clISt17integral_constantIbLb1EES1B_IbLb0EEEEDaS17_S18_EUlS17_E_NS1_11comp_targetILNS1_3genE2ELNS1_11target_archE906ELNS1_3gpuE6ELNS1_3repE0EEENS1_30default_config_static_selectorELNS0_4arch9wavefront6targetE1EEEvT1_
; %bb.0:
	.section	.rodata,"a",@progbits
	.p2align	6, 0x0
	.amdhsa_kernel _ZN7rocprim17ROCPRIM_400000_NS6detail17trampoline_kernelINS0_14default_configENS1_25partition_config_selectorILNS1_17partition_subalgoE9EllbEEZZNS1_14partition_implILS5_9ELb0ES3_jPlS8_PNS0_10empty_typeENS0_5tupleIJS8_S9_EEENSB_IJS8_SA_EEENS0_18inequality_wrapperIZN2at6native12_GLOBAL__N_124unique_dim_cuda_templateIN3c104HalfEEESt5tupleIJNSF_6TensorESM_SM_EERKSM_lbbbEUlllE0_EEPmJS9_EEE10hipError_tPvRmT3_T4_T5_T6_T7_T9_mT8_P12ihipStream_tbDpT10_ENKUlT_T0_E_clISt17integral_constantIbLb1EES1B_IbLb0EEEEDaS17_S18_EUlS17_E_NS1_11comp_targetILNS1_3genE2ELNS1_11target_archE906ELNS1_3gpuE6ELNS1_3repE0EEENS1_30default_config_static_selectorELNS0_4arch9wavefront6targetE1EEEvT1_
		.amdhsa_group_segment_fixed_size 0
		.amdhsa_private_segment_fixed_size 0
		.amdhsa_kernarg_size 120
		.amdhsa_user_sgpr_count 2
		.amdhsa_user_sgpr_dispatch_ptr 0
		.amdhsa_user_sgpr_queue_ptr 0
		.amdhsa_user_sgpr_kernarg_segment_ptr 1
		.amdhsa_user_sgpr_dispatch_id 0
		.amdhsa_user_sgpr_kernarg_preload_length 0
		.amdhsa_user_sgpr_kernarg_preload_offset 0
		.amdhsa_user_sgpr_private_segment_size 0
		.amdhsa_uses_dynamic_stack 0
		.amdhsa_enable_private_segment 0
		.amdhsa_system_sgpr_workgroup_id_x 1
		.amdhsa_system_sgpr_workgroup_id_y 0
		.amdhsa_system_sgpr_workgroup_id_z 0
		.amdhsa_system_sgpr_workgroup_info 0
		.amdhsa_system_vgpr_workitem_id 0
		.amdhsa_next_free_vgpr 1
		.amdhsa_next_free_sgpr 0
		.amdhsa_accum_offset 4
		.amdhsa_reserve_vcc 0
		.amdhsa_float_round_mode_32 0
		.amdhsa_float_round_mode_16_64 0
		.amdhsa_float_denorm_mode_32 3
		.amdhsa_float_denorm_mode_16_64 3
		.amdhsa_dx10_clamp 1
		.amdhsa_ieee_mode 1
		.amdhsa_fp16_overflow 0
		.amdhsa_tg_split 0
		.amdhsa_exception_fp_ieee_invalid_op 0
		.amdhsa_exception_fp_denorm_src 0
		.amdhsa_exception_fp_ieee_div_zero 0
		.amdhsa_exception_fp_ieee_overflow 0
		.amdhsa_exception_fp_ieee_underflow 0
		.amdhsa_exception_fp_ieee_inexact 0
		.amdhsa_exception_int_div_zero 0
	.end_amdhsa_kernel
	.section	.text._ZN7rocprim17ROCPRIM_400000_NS6detail17trampoline_kernelINS0_14default_configENS1_25partition_config_selectorILNS1_17partition_subalgoE9EllbEEZZNS1_14partition_implILS5_9ELb0ES3_jPlS8_PNS0_10empty_typeENS0_5tupleIJS8_S9_EEENSB_IJS8_SA_EEENS0_18inequality_wrapperIZN2at6native12_GLOBAL__N_124unique_dim_cuda_templateIN3c104HalfEEESt5tupleIJNSF_6TensorESM_SM_EERKSM_lbbbEUlllE0_EEPmJS9_EEE10hipError_tPvRmT3_T4_T5_T6_T7_T9_mT8_P12ihipStream_tbDpT10_ENKUlT_T0_E_clISt17integral_constantIbLb1EES1B_IbLb0EEEEDaS17_S18_EUlS17_E_NS1_11comp_targetILNS1_3genE2ELNS1_11target_archE906ELNS1_3gpuE6ELNS1_3repE0EEENS1_30default_config_static_selectorELNS0_4arch9wavefront6targetE1EEEvT1_,"axG",@progbits,_ZN7rocprim17ROCPRIM_400000_NS6detail17trampoline_kernelINS0_14default_configENS1_25partition_config_selectorILNS1_17partition_subalgoE9EllbEEZZNS1_14partition_implILS5_9ELb0ES3_jPlS8_PNS0_10empty_typeENS0_5tupleIJS8_S9_EEENSB_IJS8_SA_EEENS0_18inequality_wrapperIZN2at6native12_GLOBAL__N_124unique_dim_cuda_templateIN3c104HalfEEESt5tupleIJNSF_6TensorESM_SM_EERKSM_lbbbEUlllE0_EEPmJS9_EEE10hipError_tPvRmT3_T4_T5_T6_T7_T9_mT8_P12ihipStream_tbDpT10_ENKUlT_T0_E_clISt17integral_constantIbLb1EES1B_IbLb0EEEEDaS17_S18_EUlS17_E_NS1_11comp_targetILNS1_3genE2ELNS1_11target_archE906ELNS1_3gpuE6ELNS1_3repE0EEENS1_30default_config_static_selectorELNS0_4arch9wavefront6targetE1EEEvT1_,comdat
.Lfunc_end1357:
	.size	_ZN7rocprim17ROCPRIM_400000_NS6detail17trampoline_kernelINS0_14default_configENS1_25partition_config_selectorILNS1_17partition_subalgoE9EllbEEZZNS1_14partition_implILS5_9ELb0ES3_jPlS8_PNS0_10empty_typeENS0_5tupleIJS8_S9_EEENSB_IJS8_SA_EEENS0_18inequality_wrapperIZN2at6native12_GLOBAL__N_124unique_dim_cuda_templateIN3c104HalfEEESt5tupleIJNSF_6TensorESM_SM_EERKSM_lbbbEUlllE0_EEPmJS9_EEE10hipError_tPvRmT3_T4_T5_T6_T7_T9_mT8_P12ihipStream_tbDpT10_ENKUlT_T0_E_clISt17integral_constantIbLb1EES1B_IbLb0EEEEDaS17_S18_EUlS17_E_NS1_11comp_targetILNS1_3genE2ELNS1_11target_archE906ELNS1_3gpuE6ELNS1_3repE0EEENS1_30default_config_static_selectorELNS0_4arch9wavefront6targetE1EEEvT1_, .Lfunc_end1357-_ZN7rocprim17ROCPRIM_400000_NS6detail17trampoline_kernelINS0_14default_configENS1_25partition_config_selectorILNS1_17partition_subalgoE9EllbEEZZNS1_14partition_implILS5_9ELb0ES3_jPlS8_PNS0_10empty_typeENS0_5tupleIJS8_S9_EEENSB_IJS8_SA_EEENS0_18inequality_wrapperIZN2at6native12_GLOBAL__N_124unique_dim_cuda_templateIN3c104HalfEEESt5tupleIJNSF_6TensorESM_SM_EERKSM_lbbbEUlllE0_EEPmJS9_EEE10hipError_tPvRmT3_T4_T5_T6_T7_T9_mT8_P12ihipStream_tbDpT10_ENKUlT_T0_E_clISt17integral_constantIbLb1EES1B_IbLb0EEEEDaS17_S18_EUlS17_E_NS1_11comp_targetILNS1_3genE2ELNS1_11target_archE906ELNS1_3gpuE6ELNS1_3repE0EEENS1_30default_config_static_selectorELNS0_4arch9wavefront6targetE1EEEvT1_
                                        ; -- End function
	.section	.AMDGPU.csdata,"",@progbits
; Kernel info:
; codeLenInByte = 0
; NumSgprs: 6
; NumVgprs: 0
; NumAgprs: 0
; TotalNumVgprs: 0
; ScratchSize: 0
; MemoryBound: 0
; FloatMode: 240
; IeeeMode: 1
; LDSByteSize: 0 bytes/workgroup (compile time only)
; SGPRBlocks: 0
; VGPRBlocks: 0
; NumSGPRsForWavesPerEU: 6
; NumVGPRsForWavesPerEU: 1
; AccumOffset: 4
; Occupancy: 8
; WaveLimiterHint : 0
; COMPUTE_PGM_RSRC2:SCRATCH_EN: 0
; COMPUTE_PGM_RSRC2:USER_SGPR: 2
; COMPUTE_PGM_RSRC2:TRAP_HANDLER: 0
; COMPUTE_PGM_RSRC2:TGID_X_EN: 1
; COMPUTE_PGM_RSRC2:TGID_Y_EN: 0
; COMPUTE_PGM_RSRC2:TGID_Z_EN: 0
; COMPUTE_PGM_RSRC2:TIDIG_COMP_CNT: 0
; COMPUTE_PGM_RSRC3_GFX90A:ACCUM_OFFSET: 0
; COMPUTE_PGM_RSRC3_GFX90A:TG_SPLIT: 0
	.section	.text._ZN7rocprim17ROCPRIM_400000_NS6detail17trampoline_kernelINS0_14default_configENS1_25partition_config_selectorILNS1_17partition_subalgoE9EllbEEZZNS1_14partition_implILS5_9ELb0ES3_jPlS8_PNS0_10empty_typeENS0_5tupleIJS8_S9_EEENSB_IJS8_SA_EEENS0_18inequality_wrapperIZN2at6native12_GLOBAL__N_124unique_dim_cuda_templateIN3c104HalfEEESt5tupleIJNSF_6TensorESM_SM_EERKSM_lbbbEUlllE0_EEPmJS9_EEE10hipError_tPvRmT3_T4_T5_T6_T7_T9_mT8_P12ihipStream_tbDpT10_ENKUlT_T0_E_clISt17integral_constantIbLb1EES1B_IbLb0EEEEDaS17_S18_EUlS17_E_NS1_11comp_targetILNS1_3genE10ELNS1_11target_archE1200ELNS1_3gpuE4ELNS1_3repE0EEENS1_30default_config_static_selectorELNS0_4arch9wavefront6targetE1EEEvT1_,"axG",@progbits,_ZN7rocprim17ROCPRIM_400000_NS6detail17trampoline_kernelINS0_14default_configENS1_25partition_config_selectorILNS1_17partition_subalgoE9EllbEEZZNS1_14partition_implILS5_9ELb0ES3_jPlS8_PNS0_10empty_typeENS0_5tupleIJS8_S9_EEENSB_IJS8_SA_EEENS0_18inequality_wrapperIZN2at6native12_GLOBAL__N_124unique_dim_cuda_templateIN3c104HalfEEESt5tupleIJNSF_6TensorESM_SM_EERKSM_lbbbEUlllE0_EEPmJS9_EEE10hipError_tPvRmT3_T4_T5_T6_T7_T9_mT8_P12ihipStream_tbDpT10_ENKUlT_T0_E_clISt17integral_constantIbLb1EES1B_IbLb0EEEEDaS17_S18_EUlS17_E_NS1_11comp_targetILNS1_3genE10ELNS1_11target_archE1200ELNS1_3gpuE4ELNS1_3repE0EEENS1_30default_config_static_selectorELNS0_4arch9wavefront6targetE1EEEvT1_,comdat
	.globl	_ZN7rocprim17ROCPRIM_400000_NS6detail17trampoline_kernelINS0_14default_configENS1_25partition_config_selectorILNS1_17partition_subalgoE9EllbEEZZNS1_14partition_implILS5_9ELb0ES3_jPlS8_PNS0_10empty_typeENS0_5tupleIJS8_S9_EEENSB_IJS8_SA_EEENS0_18inequality_wrapperIZN2at6native12_GLOBAL__N_124unique_dim_cuda_templateIN3c104HalfEEESt5tupleIJNSF_6TensorESM_SM_EERKSM_lbbbEUlllE0_EEPmJS9_EEE10hipError_tPvRmT3_T4_T5_T6_T7_T9_mT8_P12ihipStream_tbDpT10_ENKUlT_T0_E_clISt17integral_constantIbLb1EES1B_IbLb0EEEEDaS17_S18_EUlS17_E_NS1_11comp_targetILNS1_3genE10ELNS1_11target_archE1200ELNS1_3gpuE4ELNS1_3repE0EEENS1_30default_config_static_selectorELNS0_4arch9wavefront6targetE1EEEvT1_ ; -- Begin function _ZN7rocprim17ROCPRIM_400000_NS6detail17trampoline_kernelINS0_14default_configENS1_25partition_config_selectorILNS1_17partition_subalgoE9EllbEEZZNS1_14partition_implILS5_9ELb0ES3_jPlS8_PNS0_10empty_typeENS0_5tupleIJS8_S9_EEENSB_IJS8_SA_EEENS0_18inequality_wrapperIZN2at6native12_GLOBAL__N_124unique_dim_cuda_templateIN3c104HalfEEESt5tupleIJNSF_6TensorESM_SM_EERKSM_lbbbEUlllE0_EEPmJS9_EEE10hipError_tPvRmT3_T4_T5_T6_T7_T9_mT8_P12ihipStream_tbDpT10_ENKUlT_T0_E_clISt17integral_constantIbLb1EES1B_IbLb0EEEEDaS17_S18_EUlS17_E_NS1_11comp_targetILNS1_3genE10ELNS1_11target_archE1200ELNS1_3gpuE4ELNS1_3repE0EEENS1_30default_config_static_selectorELNS0_4arch9wavefront6targetE1EEEvT1_
	.p2align	8
	.type	_ZN7rocprim17ROCPRIM_400000_NS6detail17trampoline_kernelINS0_14default_configENS1_25partition_config_selectorILNS1_17partition_subalgoE9EllbEEZZNS1_14partition_implILS5_9ELb0ES3_jPlS8_PNS0_10empty_typeENS0_5tupleIJS8_S9_EEENSB_IJS8_SA_EEENS0_18inequality_wrapperIZN2at6native12_GLOBAL__N_124unique_dim_cuda_templateIN3c104HalfEEESt5tupleIJNSF_6TensorESM_SM_EERKSM_lbbbEUlllE0_EEPmJS9_EEE10hipError_tPvRmT3_T4_T5_T6_T7_T9_mT8_P12ihipStream_tbDpT10_ENKUlT_T0_E_clISt17integral_constantIbLb1EES1B_IbLb0EEEEDaS17_S18_EUlS17_E_NS1_11comp_targetILNS1_3genE10ELNS1_11target_archE1200ELNS1_3gpuE4ELNS1_3repE0EEENS1_30default_config_static_selectorELNS0_4arch9wavefront6targetE1EEEvT1_,@function
_ZN7rocprim17ROCPRIM_400000_NS6detail17trampoline_kernelINS0_14default_configENS1_25partition_config_selectorILNS1_17partition_subalgoE9EllbEEZZNS1_14partition_implILS5_9ELb0ES3_jPlS8_PNS0_10empty_typeENS0_5tupleIJS8_S9_EEENSB_IJS8_SA_EEENS0_18inequality_wrapperIZN2at6native12_GLOBAL__N_124unique_dim_cuda_templateIN3c104HalfEEESt5tupleIJNSF_6TensorESM_SM_EERKSM_lbbbEUlllE0_EEPmJS9_EEE10hipError_tPvRmT3_T4_T5_T6_T7_T9_mT8_P12ihipStream_tbDpT10_ENKUlT_T0_E_clISt17integral_constantIbLb1EES1B_IbLb0EEEEDaS17_S18_EUlS17_E_NS1_11comp_targetILNS1_3genE10ELNS1_11target_archE1200ELNS1_3gpuE4ELNS1_3repE0EEENS1_30default_config_static_selectorELNS0_4arch9wavefront6targetE1EEEvT1_: ; @_ZN7rocprim17ROCPRIM_400000_NS6detail17trampoline_kernelINS0_14default_configENS1_25partition_config_selectorILNS1_17partition_subalgoE9EllbEEZZNS1_14partition_implILS5_9ELb0ES3_jPlS8_PNS0_10empty_typeENS0_5tupleIJS8_S9_EEENSB_IJS8_SA_EEENS0_18inequality_wrapperIZN2at6native12_GLOBAL__N_124unique_dim_cuda_templateIN3c104HalfEEESt5tupleIJNSF_6TensorESM_SM_EERKSM_lbbbEUlllE0_EEPmJS9_EEE10hipError_tPvRmT3_T4_T5_T6_T7_T9_mT8_P12ihipStream_tbDpT10_ENKUlT_T0_E_clISt17integral_constantIbLb1EES1B_IbLb0EEEEDaS17_S18_EUlS17_E_NS1_11comp_targetILNS1_3genE10ELNS1_11target_archE1200ELNS1_3gpuE4ELNS1_3repE0EEENS1_30default_config_static_selectorELNS0_4arch9wavefront6targetE1EEEvT1_
; %bb.0:
	.section	.rodata,"a",@progbits
	.p2align	6, 0x0
	.amdhsa_kernel _ZN7rocprim17ROCPRIM_400000_NS6detail17trampoline_kernelINS0_14default_configENS1_25partition_config_selectorILNS1_17partition_subalgoE9EllbEEZZNS1_14partition_implILS5_9ELb0ES3_jPlS8_PNS0_10empty_typeENS0_5tupleIJS8_S9_EEENSB_IJS8_SA_EEENS0_18inequality_wrapperIZN2at6native12_GLOBAL__N_124unique_dim_cuda_templateIN3c104HalfEEESt5tupleIJNSF_6TensorESM_SM_EERKSM_lbbbEUlllE0_EEPmJS9_EEE10hipError_tPvRmT3_T4_T5_T6_T7_T9_mT8_P12ihipStream_tbDpT10_ENKUlT_T0_E_clISt17integral_constantIbLb1EES1B_IbLb0EEEEDaS17_S18_EUlS17_E_NS1_11comp_targetILNS1_3genE10ELNS1_11target_archE1200ELNS1_3gpuE4ELNS1_3repE0EEENS1_30default_config_static_selectorELNS0_4arch9wavefront6targetE1EEEvT1_
		.amdhsa_group_segment_fixed_size 0
		.amdhsa_private_segment_fixed_size 0
		.amdhsa_kernarg_size 120
		.amdhsa_user_sgpr_count 2
		.amdhsa_user_sgpr_dispatch_ptr 0
		.amdhsa_user_sgpr_queue_ptr 0
		.amdhsa_user_sgpr_kernarg_segment_ptr 1
		.amdhsa_user_sgpr_dispatch_id 0
		.amdhsa_user_sgpr_kernarg_preload_length 0
		.amdhsa_user_sgpr_kernarg_preload_offset 0
		.amdhsa_user_sgpr_private_segment_size 0
		.amdhsa_uses_dynamic_stack 0
		.amdhsa_enable_private_segment 0
		.amdhsa_system_sgpr_workgroup_id_x 1
		.amdhsa_system_sgpr_workgroup_id_y 0
		.amdhsa_system_sgpr_workgroup_id_z 0
		.amdhsa_system_sgpr_workgroup_info 0
		.amdhsa_system_vgpr_workitem_id 0
		.amdhsa_next_free_vgpr 1
		.amdhsa_next_free_sgpr 0
		.amdhsa_accum_offset 4
		.amdhsa_reserve_vcc 0
		.amdhsa_float_round_mode_32 0
		.amdhsa_float_round_mode_16_64 0
		.amdhsa_float_denorm_mode_32 3
		.amdhsa_float_denorm_mode_16_64 3
		.amdhsa_dx10_clamp 1
		.amdhsa_ieee_mode 1
		.amdhsa_fp16_overflow 0
		.amdhsa_tg_split 0
		.amdhsa_exception_fp_ieee_invalid_op 0
		.amdhsa_exception_fp_denorm_src 0
		.amdhsa_exception_fp_ieee_div_zero 0
		.amdhsa_exception_fp_ieee_overflow 0
		.amdhsa_exception_fp_ieee_underflow 0
		.amdhsa_exception_fp_ieee_inexact 0
		.amdhsa_exception_int_div_zero 0
	.end_amdhsa_kernel
	.section	.text._ZN7rocprim17ROCPRIM_400000_NS6detail17trampoline_kernelINS0_14default_configENS1_25partition_config_selectorILNS1_17partition_subalgoE9EllbEEZZNS1_14partition_implILS5_9ELb0ES3_jPlS8_PNS0_10empty_typeENS0_5tupleIJS8_S9_EEENSB_IJS8_SA_EEENS0_18inequality_wrapperIZN2at6native12_GLOBAL__N_124unique_dim_cuda_templateIN3c104HalfEEESt5tupleIJNSF_6TensorESM_SM_EERKSM_lbbbEUlllE0_EEPmJS9_EEE10hipError_tPvRmT3_T4_T5_T6_T7_T9_mT8_P12ihipStream_tbDpT10_ENKUlT_T0_E_clISt17integral_constantIbLb1EES1B_IbLb0EEEEDaS17_S18_EUlS17_E_NS1_11comp_targetILNS1_3genE10ELNS1_11target_archE1200ELNS1_3gpuE4ELNS1_3repE0EEENS1_30default_config_static_selectorELNS0_4arch9wavefront6targetE1EEEvT1_,"axG",@progbits,_ZN7rocprim17ROCPRIM_400000_NS6detail17trampoline_kernelINS0_14default_configENS1_25partition_config_selectorILNS1_17partition_subalgoE9EllbEEZZNS1_14partition_implILS5_9ELb0ES3_jPlS8_PNS0_10empty_typeENS0_5tupleIJS8_S9_EEENSB_IJS8_SA_EEENS0_18inequality_wrapperIZN2at6native12_GLOBAL__N_124unique_dim_cuda_templateIN3c104HalfEEESt5tupleIJNSF_6TensorESM_SM_EERKSM_lbbbEUlllE0_EEPmJS9_EEE10hipError_tPvRmT3_T4_T5_T6_T7_T9_mT8_P12ihipStream_tbDpT10_ENKUlT_T0_E_clISt17integral_constantIbLb1EES1B_IbLb0EEEEDaS17_S18_EUlS17_E_NS1_11comp_targetILNS1_3genE10ELNS1_11target_archE1200ELNS1_3gpuE4ELNS1_3repE0EEENS1_30default_config_static_selectorELNS0_4arch9wavefront6targetE1EEEvT1_,comdat
.Lfunc_end1358:
	.size	_ZN7rocprim17ROCPRIM_400000_NS6detail17trampoline_kernelINS0_14default_configENS1_25partition_config_selectorILNS1_17partition_subalgoE9EllbEEZZNS1_14partition_implILS5_9ELb0ES3_jPlS8_PNS0_10empty_typeENS0_5tupleIJS8_S9_EEENSB_IJS8_SA_EEENS0_18inequality_wrapperIZN2at6native12_GLOBAL__N_124unique_dim_cuda_templateIN3c104HalfEEESt5tupleIJNSF_6TensorESM_SM_EERKSM_lbbbEUlllE0_EEPmJS9_EEE10hipError_tPvRmT3_T4_T5_T6_T7_T9_mT8_P12ihipStream_tbDpT10_ENKUlT_T0_E_clISt17integral_constantIbLb1EES1B_IbLb0EEEEDaS17_S18_EUlS17_E_NS1_11comp_targetILNS1_3genE10ELNS1_11target_archE1200ELNS1_3gpuE4ELNS1_3repE0EEENS1_30default_config_static_selectorELNS0_4arch9wavefront6targetE1EEEvT1_, .Lfunc_end1358-_ZN7rocprim17ROCPRIM_400000_NS6detail17trampoline_kernelINS0_14default_configENS1_25partition_config_selectorILNS1_17partition_subalgoE9EllbEEZZNS1_14partition_implILS5_9ELb0ES3_jPlS8_PNS0_10empty_typeENS0_5tupleIJS8_S9_EEENSB_IJS8_SA_EEENS0_18inequality_wrapperIZN2at6native12_GLOBAL__N_124unique_dim_cuda_templateIN3c104HalfEEESt5tupleIJNSF_6TensorESM_SM_EERKSM_lbbbEUlllE0_EEPmJS9_EEE10hipError_tPvRmT3_T4_T5_T6_T7_T9_mT8_P12ihipStream_tbDpT10_ENKUlT_T0_E_clISt17integral_constantIbLb1EES1B_IbLb0EEEEDaS17_S18_EUlS17_E_NS1_11comp_targetILNS1_3genE10ELNS1_11target_archE1200ELNS1_3gpuE4ELNS1_3repE0EEENS1_30default_config_static_selectorELNS0_4arch9wavefront6targetE1EEEvT1_
                                        ; -- End function
	.section	.AMDGPU.csdata,"",@progbits
; Kernel info:
; codeLenInByte = 0
; NumSgprs: 6
; NumVgprs: 0
; NumAgprs: 0
; TotalNumVgprs: 0
; ScratchSize: 0
; MemoryBound: 0
; FloatMode: 240
; IeeeMode: 1
; LDSByteSize: 0 bytes/workgroup (compile time only)
; SGPRBlocks: 0
; VGPRBlocks: 0
; NumSGPRsForWavesPerEU: 6
; NumVGPRsForWavesPerEU: 1
; AccumOffset: 4
; Occupancy: 8
; WaveLimiterHint : 0
; COMPUTE_PGM_RSRC2:SCRATCH_EN: 0
; COMPUTE_PGM_RSRC2:USER_SGPR: 2
; COMPUTE_PGM_RSRC2:TRAP_HANDLER: 0
; COMPUTE_PGM_RSRC2:TGID_X_EN: 1
; COMPUTE_PGM_RSRC2:TGID_Y_EN: 0
; COMPUTE_PGM_RSRC2:TGID_Z_EN: 0
; COMPUTE_PGM_RSRC2:TIDIG_COMP_CNT: 0
; COMPUTE_PGM_RSRC3_GFX90A:ACCUM_OFFSET: 0
; COMPUTE_PGM_RSRC3_GFX90A:TG_SPLIT: 0
	.section	.text._ZN7rocprim17ROCPRIM_400000_NS6detail17trampoline_kernelINS0_14default_configENS1_25partition_config_selectorILNS1_17partition_subalgoE9EllbEEZZNS1_14partition_implILS5_9ELb0ES3_jPlS8_PNS0_10empty_typeENS0_5tupleIJS8_S9_EEENSB_IJS8_SA_EEENS0_18inequality_wrapperIZN2at6native12_GLOBAL__N_124unique_dim_cuda_templateIN3c104HalfEEESt5tupleIJNSF_6TensorESM_SM_EERKSM_lbbbEUlllE0_EEPmJS9_EEE10hipError_tPvRmT3_T4_T5_T6_T7_T9_mT8_P12ihipStream_tbDpT10_ENKUlT_T0_E_clISt17integral_constantIbLb1EES1B_IbLb0EEEEDaS17_S18_EUlS17_E_NS1_11comp_targetILNS1_3genE9ELNS1_11target_archE1100ELNS1_3gpuE3ELNS1_3repE0EEENS1_30default_config_static_selectorELNS0_4arch9wavefront6targetE1EEEvT1_,"axG",@progbits,_ZN7rocprim17ROCPRIM_400000_NS6detail17trampoline_kernelINS0_14default_configENS1_25partition_config_selectorILNS1_17partition_subalgoE9EllbEEZZNS1_14partition_implILS5_9ELb0ES3_jPlS8_PNS0_10empty_typeENS0_5tupleIJS8_S9_EEENSB_IJS8_SA_EEENS0_18inequality_wrapperIZN2at6native12_GLOBAL__N_124unique_dim_cuda_templateIN3c104HalfEEESt5tupleIJNSF_6TensorESM_SM_EERKSM_lbbbEUlllE0_EEPmJS9_EEE10hipError_tPvRmT3_T4_T5_T6_T7_T9_mT8_P12ihipStream_tbDpT10_ENKUlT_T0_E_clISt17integral_constantIbLb1EES1B_IbLb0EEEEDaS17_S18_EUlS17_E_NS1_11comp_targetILNS1_3genE9ELNS1_11target_archE1100ELNS1_3gpuE3ELNS1_3repE0EEENS1_30default_config_static_selectorELNS0_4arch9wavefront6targetE1EEEvT1_,comdat
	.globl	_ZN7rocprim17ROCPRIM_400000_NS6detail17trampoline_kernelINS0_14default_configENS1_25partition_config_selectorILNS1_17partition_subalgoE9EllbEEZZNS1_14partition_implILS5_9ELb0ES3_jPlS8_PNS0_10empty_typeENS0_5tupleIJS8_S9_EEENSB_IJS8_SA_EEENS0_18inequality_wrapperIZN2at6native12_GLOBAL__N_124unique_dim_cuda_templateIN3c104HalfEEESt5tupleIJNSF_6TensorESM_SM_EERKSM_lbbbEUlllE0_EEPmJS9_EEE10hipError_tPvRmT3_T4_T5_T6_T7_T9_mT8_P12ihipStream_tbDpT10_ENKUlT_T0_E_clISt17integral_constantIbLb1EES1B_IbLb0EEEEDaS17_S18_EUlS17_E_NS1_11comp_targetILNS1_3genE9ELNS1_11target_archE1100ELNS1_3gpuE3ELNS1_3repE0EEENS1_30default_config_static_selectorELNS0_4arch9wavefront6targetE1EEEvT1_ ; -- Begin function _ZN7rocprim17ROCPRIM_400000_NS6detail17trampoline_kernelINS0_14default_configENS1_25partition_config_selectorILNS1_17partition_subalgoE9EllbEEZZNS1_14partition_implILS5_9ELb0ES3_jPlS8_PNS0_10empty_typeENS0_5tupleIJS8_S9_EEENSB_IJS8_SA_EEENS0_18inequality_wrapperIZN2at6native12_GLOBAL__N_124unique_dim_cuda_templateIN3c104HalfEEESt5tupleIJNSF_6TensorESM_SM_EERKSM_lbbbEUlllE0_EEPmJS9_EEE10hipError_tPvRmT3_T4_T5_T6_T7_T9_mT8_P12ihipStream_tbDpT10_ENKUlT_T0_E_clISt17integral_constantIbLb1EES1B_IbLb0EEEEDaS17_S18_EUlS17_E_NS1_11comp_targetILNS1_3genE9ELNS1_11target_archE1100ELNS1_3gpuE3ELNS1_3repE0EEENS1_30default_config_static_selectorELNS0_4arch9wavefront6targetE1EEEvT1_
	.p2align	8
	.type	_ZN7rocprim17ROCPRIM_400000_NS6detail17trampoline_kernelINS0_14default_configENS1_25partition_config_selectorILNS1_17partition_subalgoE9EllbEEZZNS1_14partition_implILS5_9ELb0ES3_jPlS8_PNS0_10empty_typeENS0_5tupleIJS8_S9_EEENSB_IJS8_SA_EEENS0_18inequality_wrapperIZN2at6native12_GLOBAL__N_124unique_dim_cuda_templateIN3c104HalfEEESt5tupleIJNSF_6TensorESM_SM_EERKSM_lbbbEUlllE0_EEPmJS9_EEE10hipError_tPvRmT3_T4_T5_T6_T7_T9_mT8_P12ihipStream_tbDpT10_ENKUlT_T0_E_clISt17integral_constantIbLb1EES1B_IbLb0EEEEDaS17_S18_EUlS17_E_NS1_11comp_targetILNS1_3genE9ELNS1_11target_archE1100ELNS1_3gpuE3ELNS1_3repE0EEENS1_30default_config_static_selectorELNS0_4arch9wavefront6targetE1EEEvT1_,@function
_ZN7rocprim17ROCPRIM_400000_NS6detail17trampoline_kernelINS0_14default_configENS1_25partition_config_selectorILNS1_17partition_subalgoE9EllbEEZZNS1_14partition_implILS5_9ELb0ES3_jPlS8_PNS0_10empty_typeENS0_5tupleIJS8_S9_EEENSB_IJS8_SA_EEENS0_18inequality_wrapperIZN2at6native12_GLOBAL__N_124unique_dim_cuda_templateIN3c104HalfEEESt5tupleIJNSF_6TensorESM_SM_EERKSM_lbbbEUlllE0_EEPmJS9_EEE10hipError_tPvRmT3_T4_T5_T6_T7_T9_mT8_P12ihipStream_tbDpT10_ENKUlT_T0_E_clISt17integral_constantIbLb1EES1B_IbLb0EEEEDaS17_S18_EUlS17_E_NS1_11comp_targetILNS1_3genE9ELNS1_11target_archE1100ELNS1_3gpuE3ELNS1_3repE0EEENS1_30default_config_static_selectorELNS0_4arch9wavefront6targetE1EEEvT1_: ; @_ZN7rocprim17ROCPRIM_400000_NS6detail17trampoline_kernelINS0_14default_configENS1_25partition_config_selectorILNS1_17partition_subalgoE9EllbEEZZNS1_14partition_implILS5_9ELb0ES3_jPlS8_PNS0_10empty_typeENS0_5tupleIJS8_S9_EEENSB_IJS8_SA_EEENS0_18inequality_wrapperIZN2at6native12_GLOBAL__N_124unique_dim_cuda_templateIN3c104HalfEEESt5tupleIJNSF_6TensorESM_SM_EERKSM_lbbbEUlllE0_EEPmJS9_EEE10hipError_tPvRmT3_T4_T5_T6_T7_T9_mT8_P12ihipStream_tbDpT10_ENKUlT_T0_E_clISt17integral_constantIbLb1EES1B_IbLb0EEEEDaS17_S18_EUlS17_E_NS1_11comp_targetILNS1_3genE9ELNS1_11target_archE1100ELNS1_3gpuE3ELNS1_3repE0EEENS1_30default_config_static_selectorELNS0_4arch9wavefront6targetE1EEEvT1_
; %bb.0:
	.section	.rodata,"a",@progbits
	.p2align	6, 0x0
	.amdhsa_kernel _ZN7rocprim17ROCPRIM_400000_NS6detail17trampoline_kernelINS0_14default_configENS1_25partition_config_selectorILNS1_17partition_subalgoE9EllbEEZZNS1_14partition_implILS5_9ELb0ES3_jPlS8_PNS0_10empty_typeENS0_5tupleIJS8_S9_EEENSB_IJS8_SA_EEENS0_18inequality_wrapperIZN2at6native12_GLOBAL__N_124unique_dim_cuda_templateIN3c104HalfEEESt5tupleIJNSF_6TensorESM_SM_EERKSM_lbbbEUlllE0_EEPmJS9_EEE10hipError_tPvRmT3_T4_T5_T6_T7_T9_mT8_P12ihipStream_tbDpT10_ENKUlT_T0_E_clISt17integral_constantIbLb1EES1B_IbLb0EEEEDaS17_S18_EUlS17_E_NS1_11comp_targetILNS1_3genE9ELNS1_11target_archE1100ELNS1_3gpuE3ELNS1_3repE0EEENS1_30default_config_static_selectorELNS0_4arch9wavefront6targetE1EEEvT1_
		.amdhsa_group_segment_fixed_size 0
		.amdhsa_private_segment_fixed_size 0
		.amdhsa_kernarg_size 120
		.amdhsa_user_sgpr_count 2
		.amdhsa_user_sgpr_dispatch_ptr 0
		.amdhsa_user_sgpr_queue_ptr 0
		.amdhsa_user_sgpr_kernarg_segment_ptr 1
		.amdhsa_user_sgpr_dispatch_id 0
		.amdhsa_user_sgpr_kernarg_preload_length 0
		.amdhsa_user_sgpr_kernarg_preload_offset 0
		.amdhsa_user_sgpr_private_segment_size 0
		.amdhsa_uses_dynamic_stack 0
		.amdhsa_enable_private_segment 0
		.amdhsa_system_sgpr_workgroup_id_x 1
		.amdhsa_system_sgpr_workgroup_id_y 0
		.amdhsa_system_sgpr_workgroup_id_z 0
		.amdhsa_system_sgpr_workgroup_info 0
		.amdhsa_system_vgpr_workitem_id 0
		.amdhsa_next_free_vgpr 1
		.amdhsa_next_free_sgpr 0
		.amdhsa_accum_offset 4
		.amdhsa_reserve_vcc 0
		.amdhsa_float_round_mode_32 0
		.amdhsa_float_round_mode_16_64 0
		.amdhsa_float_denorm_mode_32 3
		.amdhsa_float_denorm_mode_16_64 3
		.amdhsa_dx10_clamp 1
		.amdhsa_ieee_mode 1
		.amdhsa_fp16_overflow 0
		.amdhsa_tg_split 0
		.amdhsa_exception_fp_ieee_invalid_op 0
		.amdhsa_exception_fp_denorm_src 0
		.amdhsa_exception_fp_ieee_div_zero 0
		.amdhsa_exception_fp_ieee_overflow 0
		.amdhsa_exception_fp_ieee_underflow 0
		.amdhsa_exception_fp_ieee_inexact 0
		.amdhsa_exception_int_div_zero 0
	.end_amdhsa_kernel
	.section	.text._ZN7rocprim17ROCPRIM_400000_NS6detail17trampoline_kernelINS0_14default_configENS1_25partition_config_selectorILNS1_17partition_subalgoE9EllbEEZZNS1_14partition_implILS5_9ELb0ES3_jPlS8_PNS0_10empty_typeENS0_5tupleIJS8_S9_EEENSB_IJS8_SA_EEENS0_18inequality_wrapperIZN2at6native12_GLOBAL__N_124unique_dim_cuda_templateIN3c104HalfEEESt5tupleIJNSF_6TensorESM_SM_EERKSM_lbbbEUlllE0_EEPmJS9_EEE10hipError_tPvRmT3_T4_T5_T6_T7_T9_mT8_P12ihipStream_tbDpT10_ENKUlT_T0_E_clISt17integral_constantIbLb1EES1B_IbLb0EEEEDaS17_S18_EUlS17_E_NS1_11comp_targetILNS1_3genE9ELNS1_11target_archE1100ELNS1_3gpuE3ELNS1_3repE0EEENS1_30default_config_static_selectorELNS0_4arch9wavefront6targetE1EEEvT1_,"axG",@progbits,_ZN7rocprim17ROCPRIM_400000_NS6detail17trampoline_kernelINS0_14default_configENS1_25partition_config_selectorILNS1_17partition_subalgoE9EllbEEZZNS1_14partition_implILS5_9ELb0ES3_jPlS8_PNS0_10empty_typeENS0_5tupleIJS8_S9_EEENSB_IJS8_SA_EEENS0_18inequality_wrapperIZN2at6native12_GLOBAL__N_124unique_dim_cuda_templateIN3c104HalfEEESt5tupleIJNSF_6TensorESM_SM_EERKSM_lbbbEUlllE0_EEPmJS9_EEE10hipError_tPvRmT3_T4_T5_T6_T7_T9_mT8_P12ihipStream_tbDpT10_ENKUlT_T0_E_clISt17integral_constantIbLb1EES1B_IbLb0EEEEDaS17_S18_EUlS17_E_NS1_11comp_targetILNS1_3genE9ELNS1_11target_archE1100ELNS1_3gpuE3ELNS1_3repE0EEENS1_30default_config_static_selectorELNS0_4arch9wavefront6targetE1EEEvT1_,comdat
.Lfunc_end1359:
	.size	_ZN7rocprim17ROCPRIM_400000_NS6detail17trampoline_kernelINS0_14default_configENS1_25partition_config_selectorILNS1_17partition_subalgoE9EllbEEZZNS1_14partition_implILS5_9ELb0ES3_jPlS8_PNS0_10empty_typeENS0_5tupleIJS8_S9_EEENSB_IJS8_SA_EEENS0_18inequality_wrapperIZN2at6native12_GLOBAL__N_124unique_dim_cuda_templateIN3c104HalfEEESt5tupleIJNSF_6TensorESM_SM_EERKSM_lbbbEUlllE0_EEPmJS9_EEE10hipError_tPvRmT3_T4_T5_T6_T7_T9_mT8_P12ihipStream_tbDpT10_ENKUlT_T0_E_clISt17integral_constantIbLb1EES1B_IbLb0EEEEDaS17_S18_EUlS17_E_NS1_11comp_targetILNS1_3genE9ELNS1_11target_archE1100ELNS1_3gpuE3ELNS1_3repE0EEENS1_30default_config_static_selectorELNS0_4arch9wavefront6targetE1EEEvT1_, .Lfunc_end1359-_ZN7rocprim17ROCPRIM_400000_NS6detail17trampoline_kernelINS0_14default_configENS1_25partition_config_selectorILNS1_17partition_subalgoE9EllbEEZZNS1_14partition_implILS5_9ELb0ES3_jPlS8_PNS0_10empty_typeENS0_5tupleIJS8_S9_EEENSB_IJS8_SA_EEENS0_18inequality_wrapperIZN2at6native12_GLOBAL__N_124unique_dim_cuda_templateIN3c104HalfEEESt5tupleIJNSF_6TensorESM_SM_EERKSM_lbbbEUlllE0_EEPmJS9_EEE10hipError_tPvRmT3_T4_T5_T6_T7_T9_mT8_P12ihipStream_tbDpT10_ENKUlT_T0_E_clISt17integral_constantIbLb1EES1B_IbLb0EEEEDaS17_S18_EUlS17_E_NS1_11comp_targetILNS1_3genE9ELNS1_11target_archE1100ELNS1_3gpuE3ELNS1_3repE0EEENS1_30default_config_static_selectorELNS0_4arch9wavefront6targetE1EEEvT1_
                                        ; -- End function
	.section	.AMDGPU.csdata,"",@progbits
; Kernel info:
; codeLenInByte = 0
; NumSgprs: 6
; NumVgprs: 0
; NumAgprs: 0
; TotalNumVgprs: 0
; ScratchSize: 0
; MemoryBound: 0
; FloatMode: 240
; IeeeMode: 1
; LDSByteSize: 0 bytes/workgroup (compile time only)
; SGPRBlocks: 0
; VGPRBlocks: 0
; NumSGPRsForWavesPerEU: 6
; NumVGPRsForWavesPerEU: 1
; AccumOffset: 4
; Occupancy: 8
; WaveLimiterHint : 0
; COMPUTE_PGM_RSRC2:SCRATCH_EN: 0
; COMPUTE_PGM_RSRC2:USER_SGPR: 2
; COMPUTE_PGM_RSRC2:TRAP_HANDLER: 0
; COMPUTE_PGM_RSRC2:TGID_X_EN: 1
; COMPUTE_PGM_RSRC2:TGID_Y_EN: 0
; COMPUTE_PGM_RSRC2:TGID_Z_EN: 0
; COMPUTE_PGM_RSRC2:TIDIG_COMP_CNT: 0
; COMPUTE_PGM_RSRC3_GFX90A:ACCUM_OFFSET: 0
; COMPUTE_PGM_RSRC3_GFX90A:TG_SPLIT: 0
	.section	.text._ZN7rocprim17ROCPRIM_400000_NS6detail17trampoline_kernelINS0_14default_configENS1_25partition_config_selectorILNS1_17partition_subalgoE9EllbEEZZNS1_14partition_implILS5_9ELb0ES3_jPlS8_PNS0_10empty_typeENS0_5tupleIJS8_S9_EEENSB_IJS8_SA_EEENS0_18inequality_wrapperIZN2at6native12_GLOBAL__N_124unique_dim_cuda_templateIN3c104HalfEEESt5tupleIJNSF_6TensorESM_SM_EERKSM_lbbbEUlllE0_EEPmJS9_EEE10hipError_tPvRmT3_T4_T5_T6_T7_T9_mT8_P12ihipStream_tbDpT10_ENKUlT_T0_E_clISt17integral_constantIbLb1EES1B_IbLb0EEEEDaS17_S18_EUlS17_E_NS1_11comp_targetILNS1_3genE8ELNS1_11target_archE1030ELNS1_3gpuE2ELNS1_3repE0EEENS1_30default_config_static_selectorELNS0_4arch9wavefront6targetE1EEEvT1_,"axG",@progbits,_ZN7rocprim17ROCPRIM_400000_NS6detail17trampoline_kernelINS0_14default_configENS1_25partition_config_selectorILNS1_17partition_subalgoE9EllbEEZZNS1_14partition_implILS5_9ELb0ES3_jPlS8_PNS0_10empty_typeENS0_5tupleIJS8_S9_EEENSB_IJS8_SA_EEENS0_18inequality_wrapperIZN2at6native12_GLOBAL__N_124unique_dim_cuda_templateIN3c104HalfEEESt5tupleIJNSF_6TensorESM_SM_EERKSM_lbbbEUlllE0_EEPmJS9_EEE10hipError_tPvRmT3_T4_T5_T6_T7_T9_mT8_P12ihipStream_tbDpT10_ENKUlT_T0_E_clISt17integral_constantIbLb1EES1B_IbLb0EEEEDaS17_S18_EUlS17_E_NS1_11comp_targetILNS1_3genE8ELNS1_11target_archE1030ELNS1_3gpuE2ELNS1_3repE0EEENS1_30default_config_static_selectorELNS0_4arch9wavefront6targetE1EEEvT1_,comdat
	.globl	_ZN7rocprim17ROCPRIM_400000_NS6detail17trampoline_kernelINS0_14default_configENS1_25partition_config_selectorILNS1_17partition_subalgoE9EllbEEZZNS1_14partition_implILS5_9ELb0ES3_jPlS8_PNS0_10empty_typeENS0_5tupleIJS8_S9_EEENSB_IJS8_SA_EEENS0_18inequality_wrapperIZN2at6native12_GLOBAL__N_124unique_dim_cuda_templateIN3c104HalfEEESt5tupleIJNSF_6TensorESM_SM_EERKSM_lbbbEUlllE0_EEPmJS9_EEE10hipError_tPvRmT3_T4_T5_T6_T7_T9_mT8_P12ihipStream_tbDpT10_ENKUlT_T0_E_clISt17integral_constantIbLb1EES1B_IbLb0EEEEDaS17_S18_EUlS17_E_NS1_11comp_targetILNS1_3genE8ELNS1_11target_archE1030ELNS1_3gpuE2ELNS1_3repE0EEENS1_30default_config_static_selectorELNS0_4arch9wavefront6targetE1EEEvT1_ ; -- Begin function _ZN7rocprim17ROCPRIM_400000_NS6detail17trampoline_kernelINS0_14default_configENS1_25partition_config_selectorILNS1_17partition_subalgoE9EllbEEZZNS1_14partition_implILS5_9ELb0ES3_jPlS8_PNS0_10empty_typeENS0_5tupleIJS8_S9_EEENSB_IJS8_SA_EEENS0_18inequality_wrapperIZN2at6native12_GLOBAL__N_124unique_dim_cuda_templateIN3c104HalfEEESt5tupleIJNSF_6TensorESM_SM_EERKSM_lbbbEUlllE0_EEPmJS9_EEE10hipError_tPvRmT3_T4_T5_T6_T7_T9_mT8_P12ihipStream_tbDpT10_ENKUlT_T0_E_clISt17integral_constantIbLb1EES1B_IbLb0EEEEDaS17_S18_EUlS17_E_NS1_11comp_targetILNS1_3genE8ELNS1_11target_archE1030ELNS1_3gpuE2ELNS1_3repE0EEENS1_30default_config_static_selectorELNS0_4arch9wavefront6targetE1EEEvT1_
	.p2align	8
	.type	_ZN7rocprim17ROCPRIM_400000_NS6detail17trampoline_kernelINS0_14default_configENS1_25partition_config_selectorILNS1_17partition_subalgoE9EllbEEZZNS1_14partition_implILS5_9ELb0ES3_jPlS8_PNS0_10empty_typeENS0_5tupleIJS8_S9_EEENSB_IJS8_SA_EEENS0_18inequality_wrapperIZN2at6native12_GLOBAL__N_124unique_dim_cuda_templateIN3c104HalfEEESt5tupleIJNSF_6TensorESM_SM_EERKSM_lbbbEUlllE0_EEPmJS9_EEE10hipError_tPvRmT3_T4_T5_T6_T7_T9_mT8_P12ihipStream_tbDpT10_ENKUlT_T0_E_clISt17integral_constantIbLb1EES1B_IbLb0EEEEDaS17_S18_EUlS17_E_NS1_11comp_targetILNS1_3genE8ELNS1_11target_archE1030ELNS1_3gpuE2ELNS1_3repE0EEENS1_30default_config_static_selectorELNS0_4arch9wavefront6targetE1EEEvT1_,@function
_ZN7rocprim17ROCPRIM_400000_NS6detail17trampoline_kernelINS0_14default_configENS1_25partition_config_selectorILNS1_17partition_subalgoE9EllbEEZZNS1_14partition_implILS5_9ELb0ES3_jPlS8_PNS0_10empty_typeENS0_5tupleIJS8_S9_EEENSB_IJS8_SA_EEENS0_18inequality_wrapperIZN2at6native12_GLOBAL__N_124unique_dim_cuda_templateIN3c104HalfEEESt5tupleIJNSF_6TensorESM_SM_EERKSM_lbbbEUlllE0_EEPmJS9_EEE10hipError_tPvRmT3_T4_T5_T6_T7_T9_mT8_P12ihipStream_tbDpT10_ENKUlT_T0_E_clISt17integral_constantIbLb1EES1B_IbLb0EEEEDaS17_S18_EUlS17_E_NS1_11comp_targetILNS1_3genE8ELNS1_11target_archE1030ELNS1_3gpuE2ELNS1_3repE0EEENS1_30default_config_static_selectorELNS0_4arch9wavefront6targetE1EEEvT1_: ; @_ZN7rocprim17ROCPRIM_400000_NS6detail17trampoline_kernelINS0_14default_configENS1_25partition_config_selectorILNS1_17partition_subalgoE9EllbEEZZNS1_14partition_implILS5_9ELb0ES3_jPlS8_PNS0_10empty_typeENS0_5tupleIJS8_S9_EEENSB_IJS8_SA_EEENS0_18inequality_wrapperIZN2at6native12_GLOBAL__N_124unique_dim_cuda_templateIN3c104HalfEEESt5tupleIJNSF_6TensorESM_SM_EERKSM_lbbbEUlllE0_EEPmJS9_EEE10hipError_tPvRmT3_T4_T5_T6_T7_T9_mT8_P12ihipStream_tbDpT10_ENKUlT_T0_E_clISt17integral_constantIbLb1EES1B_IbLb0EEEEDaS17_S18_EUlS17_E_NS1_11comp_targetILNS1_3genE8ELNS1_11target_archE1030ELNS1_3gpuE2ELNS1_3repE0EEENS1_30default_config_static_selectorELNS0_4arch9wavefront6targetE1EEEvT1_
; %bb.0:
	.section	.rodata,"a",@progbits
	.p2align	6, 0x0
	.amdhsa_kernel _ZN7rocprim17ROCPRIM_400000_NS6detail17trampoline_kernelINS0_14default_configENS1_25partition_config_selectorILNS1_17partition_subalgoE9EllbEEZZNS1_14partition_implILS5_9ELb0ES3_jPlS8_PNS0_10empty_typeENS0_5tupleIJS8_S9_EEENSB_IJS8_SA_EEENS0_18inequality_wrapperIZN2at6native12_GLOBAL__N_124unique_dim_cuda_templateIN3c104HalfEEESt5tupleIJNSF_6TensorESM_SM_EERKSM_lbbbEUlllE0_EEPmJS9_EEE10hipError_tPvRmT3_T4_T5_T6_T7_T9_mT8_P12ihipStream_tbDpT10_ENKUlT_T0_E_clISt17integral_constantIbLb1EES1B_IbLb0EEEEDaS17_S18_EUlS17_E_NS1_11comp_targetILNS1_3genE8ELNS1_11target_archE1030ELNS1_3gpuE2ELNS1_3repE0EEENS1_30default_config_static_selectorELNS0_4arch9wavefront6targetE1EEEvT1_
		.amdhsa_group_segment_fixed_size 0
		.amdhsa_private_segment_fixed_size 0
		.amdhsa_kernarg_size 120
		.amdhsa_user_sgpr_count 2
		.amdhsa_user_sgpr_dispatch_ptr 0
		.amdhsa_user_sgpr_queue_ptr 0
		.amdhsa_user_sgpr_kernarg_segment_ptr 1
		.amdhsa_user_sgpr_dispatch_id 0
		.amdhsa_user_sgpr_kernarg_preload_length 0
		.amdhsa_user_sgpr_kernarg_preload_offset 0
		.amdhsa_user_sgpr_private_segment_size 0
		.amdhsa_uses_dynamic_stack 0
		.amdhsa_enable_private_segment 0
		.amdhsa_system_sgpr_workgroup_id_x 1
		.amdhsa_system_sgpr_workgroup_id_y 0
		.amdhsa_system_sgpr_workgroup_id_z 0
		.amdhsa_system_sgpr_workgroup_info 0
		.amdhsa_system_vgpr_workitem_id 0
		.amdhsa_next_free_vgpr 1
		.amdhsa_next_free_sgpr 0
		.amdhsa_accum_offset 4
		.amdhsa_reserve_vcc 0
		.amdhsa_float_round_mode_32 0
		.amdhsa_float_round_mode_16_64 0
		.amdhsa_float_denorm_mode_32 3
		.amdhsa_float_denorm_mode_16_64 3
		.amdhsa_dx10_clamp 1
		.amdhsa_ieee_mode 1
		.amdhsa_fp16_overflow 0
		.amdhsa_tg_split 0
		.amdhsa_exception_fp_ieee_invalid_op 0
		.amdhsa_exception_fp_denorm_src 0
		.amdhsa_exception_fp_ieee_div_zero 0
		.amdhsa_exception_fp_ieee_overflow 0
		.amdhsa_exception_fp_ieee_underflow 0
		.amdhsa_exception_fp_ieee_inexact 0
		.amdhsa_exception_int_div_zero 0
	.end_amdhsa_kernel
	.section	.text._ZN7rocprim17ROCPRIM_400000_NS6detail17trampoline_kernelINS0_14default_configENS1_25partition_config_selectorILNS1_17partition_subalgoE9EllbEEZZNS1_14partition_implILS5_9ELb0ES3_jPlS8_PNS0_10empty_typeENS0_5tupleIJS8_S9_EEENSB_IJS8_SA_EEENS0_18inequality_wrapperIZN2at6native12_GLOBAL__N_124unique_dim_cuda_templateIN3c104HalfEEESt5tupleIJNSF_6TensorESM_SM_EERKSM_lbbbEUlllE0_EEPmJS9_EEE10hipError_tPvRmT3_T4_T5_T6_T7_T9_mT8_P12ihipStream_tbDpT10_ENKUlT_T0_E_clISt17integral_constantIbLb1EES1B_IbLb0EEEEDaS17_S18_EUlS17_E_NS1_11comp_targetILNS1_3genE8ELNS1_11target_archE1030ELNS1_3gpuE2ELNS1_3repE0EEENS1_30default_config_static_selectorELNS0_4arch9wavefront6targetE1EEEvT1_,"axG",@progbits,_ZN7rocprim17ROCPRIM_400000_NS6detail17trampoline_kernelINS0_14default_configENS1_25partition_config_selectorILNS1_17partition_subalgoE9EllbEEZZNS1_14partition_implILS5_9ELb0ES3_jPlS8_PNS0_10empty_typeENS0_5tupleIJS8_S9_EEENSB_IJS8_SA_EEENS0_18inequality_wrapperIZN2at6native12_GLOBAL__N_124unique_dim_cuda_templateIN3c104HalfEEESt5tupleIJNSF_6TensorESM_SM_EERKSM_lbbbEUlllE0_EEPmJS9_EEE10hipError_tPvRmT3_T4_T5_T6_T7_T9_mT8_P12ihipStream_tbDpT10_ENKUlT_T0_E_clISt17integral_constantIbLb1EES1B_IbLb0EEEEDaS17_S18_EUlS17_E_NS1_11comp_targetILNS1_3genE8ELNS1_11target_archE1030ELNS1_3gpuE2ELNS1_3repE0EEENS1_30default_config_static_selectorELNS0_4arch9wavefront6targetE1EEEvT1_,comdat
.Lfunc_end1360:
	.size	_ZN7rocprim17ROCPRIM_400000_NS6detail17trampoline_kernelINS0_14default_configENS1_25partition_config_selectorILNS1_17partition_subalgoE9EllbEEZZNS1_14partition_implILS5_9ELb0ES3_jPlS8_PNS0_10empty_typeENS0_5tupleIJS8_S9_EEENSB_IJS8_SA_EEENS0_18inequality_wrapperIZN2at6native12_GLOBAL__N_124unique_dim_cuda_templateIN3c104HalfEEESt5tupleIJNSF_6TensorESM_SM_EERKSM_lbbbEUlllE0_EEPmJS9_EEE10hipError_tPvRmT3_T4_T5_T6_T7_T9_mT8_P12ihipStream_tbDpT10_ENKUlT_T0_E_clISt17integral_constantIbLb1EES1B_IbLb0EEEEDaS17_S18_EUlS17_E_NS1_11comp_targetILNS1_3genE8ELNS1_11target_archE1030ELNS1_3gpuE2ELNS1_3repE0EEENS1_30default_config_static_selectorELNS0_4arch9wavefront6targetE1EEEvT1_, .Lfunc_end1360-_ZN7rocprim17ROCPRIM_400000_NS6detail17trampoline_kernelINS0_14default_configENS1_25partition_config_selectorILNS1_17partition_subalgoE9EllbEEZZNS1_14partition_implILS5_9ELb0ES3_jPlS8_PNS0_10empty_typeENS0_5tupleIJS8_S9_EEENSB_IJS8_SA_EEENS0_18inequality_wrapperIZN2at6native12_GLOBAL__N_124unique_dim_cuda_templateIN3c104HalfEEESt5tupleIJNSF_6TensorESM_SM_EERKSM_lbbbEUlllE0_EEPmJS9_EEE10hipError_tPvRmT3_T4_T5_T6_T7_T9_mT8_P12ihipStream_tbDpT10_ENKUlT_T0_E_clISt17integral_constantIbLb1EES1B_IbLb0EEEEDaS17_S18_EUlS17_E_NS1_11comp_targetILNS1_3genE8ELNS1_11target_archE1030ELNS1_3gpuE2ELNS1_3repE0EEENS1_30default_config_static_selectorELNS0_4arch9wavefront6targetE1EEEvT1_
                                        ; -- End function
	.section	.AMDGPU.csdata,"",@progbits
; Kernel info:
; codeLenInByte = 0
; NumSgprs: 6
; NumVgprs: 0
; NumAgprs: 0
; TotalNumVgprs: 0
; ScratchSize: 0
; MemoryBound: 0
; FloatMode: 240
; IeeeMode: 1
; LDSByteSize: 0 bytes/workgroup (compile time only)
; SGPRBlocks: 0
; VGPRBlocks: 0
; NumSGPRsForWavesPerEU: 6
; NumVGPRsForWavesPerEU: 1
; AccumOffset: 4
; Occupancy: 8
; WaveLimiterHint : 0
; COMPUTE_PGM_RSRC2:SCRATCH_EN: 0
; COMPUTE_PGM_RSRC2:USER_SGPR: 2
; COMPUTE_PGM_RSRC2:TRAP_HANDLER: 0
; COMPUTE_PGM_RSRC2:TGID_X_EN: 1
; COMPUTE_PGM_RSRC2:TGID_Y_EN: 0
; COMPUTE_PGM_RSRC2:TGID_Z_EN: 0
; COMPUTE_PGM_RSRC2:TIDIG_COMP_CNT: 0
; COMPUTE_PGM_RSRC3_GFX90A:ACCUM_OFFSET: 0
; COMPUTE_PGM_RSRC3_GFX90A:TG_SPLIT: 0
	.section	.text._ZN7rocprim17ROCPRIM_400000_NS6detail17trampoline_kernelINS0_14default_configENS1_25partition_config_selectorILNS1_17partition_subalgoE9EllbEEZZNS1_14partition_implILS5_9ELb0ES3_jPlS8_PNS0_10empty_typeENS0_5tupleIJS8_S9_EEENSB_IJS8_SA_EEENS0_18inequality_wrapperIZN2at6native12_GLOBAL__N_124unique_dim_cuda_templateIN3c104HalfEEESt5tupleIJNSF_6TensorESM_SM_EERKSM_lbbbEUlllE0_EEPmJS9_EEE10hipError_tPvRmT3_T4_T5_T6_T7_T9_mT8_P12ihipStream_tbDpT10_ENKUlT_T0_E_clISt17integral_constantIbLb0EES1B_IbLb1EEEEDaS17_S18_EUlS17_E_NS1_11comp_targetILNS1_3genE0ELNS1_11target_archE4294967295ELNS1_3gpuE0ELNS1_3repE0EEENS1_30default_config_static_selectorELNS0_4arch9wavefront6targetE1EEEvT1_,"axG",@progbits,_ZN7rocprim17ROCPRIM_400000_NS6detail17trampoline_kernelINS0_14default_configENS1_25partition_config_selectorILNS1_17partition_subalgoE9EllbEEZZNS1_14partition_implILS5_9ELb0ES3_jPlS8_PNS0_10empty_typeENS0_5tupleIJS8_S9_EEENSB_IJS8_SA_EEENS0_18inequality_wrapperIZN2at6native12_GLOBAL__N_124unique_dim_cuda_templateIN3c104HalfEEESt5tupleIJNSF_6TensorESM_SM_EERKSM_lbbbEUlllE0_EEPmJS9_EEE10hipError_tPvRmT3_T4_T5_T6_T7_T9_mT8_P12ihipStream_tbDpT10_ENKUlT_T0_E_clISt17integral_constantIbLb0EES1B_IbLb1EEEEDaS17_S18_EUlS17_E_NS1_11comp_targetILNS1_3genE0ELNS1_11target_archE4294967295ELNS1_3gpuE0ELNS1_3repE0EEENS1_30default_config_static_selectorELNS0_4arch9wavefront6targetE1EEEvT1_,comdat
	.globl	_ZN7rocprim17ROCPRIM_400000_NS6detail17trampoline_kernelINS0_14default_configENS1_25partition_config_selectorILNS1_17partition_subalgoE9EllbEEZZNS1_14partition_implILS5_9ELb0ES3_jPlS8_PNS0_10empty_typeENS0_5tupleIJS8_S9_EEENSB_IJS8_SA_EEENS0_18inequality_wrapperIZN2at6native12_GLOBAL__N_124unique_dim_cuda_templateIN3c104HalfEEESt5tupleIJNSF_6TensorESM_SM_EERKSM_lbbbEUlllE0_EEPmJS9_EEE10hipError_tPvRmT3_T4_T5_T6_T7_T9_mT8_P12ihipStream_tbDpT10_ENKUlT_T0_E_clISt17integral_constantIbLb0EES1B_IbLb1EEEEDaS17_S18_EUlS17_E_NS1_11comp_targetILNS1_3genE0ELNS1_11target_archE4294967295ELNS1_3gpuE0ELNS1_3repE0EEENS1_30default_config_static_selectorELNS0_4arch9wavefront6targetE1EEEvT1_ ; -- Begin function _ZN7rocprim17ROCPRIM_400000_NS6detail17trampoline_kernelINS0_14default_configENS1_25partition_config_selectorILNS1_17partition_subalgoE9EllbEEZZNS1_14partition_implILS5_9ELb0ES3_jPlS8_PNS0_10empty_typeENS0_5tupleIJS8_S9_EEENSB_IJS8_SA_EEENS0_18inequality_wrapperIZN2at6native12_GLOBAL__N_124unique_dim_cuda_templateIN3c104HalfEEESt5tupleIJNSF_6TensorESM_SM_EERKSM_lbbbEUlllE0_EEPmJS9_EEE10hipError_tPvRmT3_T4_T5_T6_T7_T9_mT8_P12ihipStream_tbDpT10_ENKUlT_T0_E_clISt17integral_constantIbLb0EES1B_IbLb1EEEEDaS17_S18_EUlS17_E_NS1_11comp_targetILNS1_3genE0ELNS1_11target_archE4294967295ELNS1_3gpuE0ELNS1_3repE0EEENS1_30default_config_static_selectorELNS0_4arch9wavefront6targetE1EEEvT1_
	.p2align	8
	.type	_ZN7rocprim17ROCPRIM_400000_NS6detail17trampoline_kernelINS0_14default_configENS1_25partition_config_selectorILNS1_17partition_subalgoE9EllbEEZZNS1_14partition_implILS5_9ELb0ES3_jPlS8_PNS0_10empty_typeENS0_5tupleIJS8_S9_EEENSB_IJS8_SA_EEENS0_18inequality_wrapperIZN2at6native12_GLOBAL__N_124unique_dim_cuda_templateIN3c104HalfEEESt5tupleIJNSF_6TensorESM_SM_EERKSM_lbbbEUlllE0_EEPmJS9_EEE10hipError_tPvRmT3_T4_T5_T6_T7_T9_mT8_P12ihipStream_tbDpT10_ENKUlT_T0_E_clISt17integral_constantIbLb0EES1B_IbLb1EEEEDaS17_S18_EUlS17_E_NS1_11comp_targetILNS1_3genE0ELNS1_11target_archE4294967295ELNS1_3gpuE0ELNS1_3repE0EEENS1_30default_config_static_selectorELNS0_4arch9wavefront6targetE1EEEvT1_,@function
_ZN7rocprim17ROCPRIM_400000_NS6detail17trampoline_kernelINS0_14default_configENS1_25partition_config_selectorILNS1_17partition_subalgoE9EllbEEZZNS1_14partition_implILS5_9ELb0ES3_jPlS8_PNS0_10empty_typeENS0_5tupleIJS8_S9_EEENSB_IJS8_SA_EEENS0_18inequality_wrapperIZN2at6native12_GLOBAL__N_124unique_dim_cuda_templateIN3c104HalfEEESt5tupleIJNSF_6TensorESM_SM_EERKSM_lbbbEUlllE0_EEPmJS9_EEE10hipError_tPvRmT3_T4_T5_T6_T7_T9_mT8_P12ihipStream_tbDpT10_ENKUlT_T0_E_clISt17integral_constantIbLb0EES1B_IbLb1EEEEDaS17_S18_EUlS17_E_NS1_11comp_targetILNS1_3genE0ELNS1_11target_archE4294967295ELNS1_3gpuE0ELNS1_3repE0EEENS1_30default_config_static_selectorELNS0_4arch9wavefront6targetE1EEEvT1_: ; @_ZN7rocprim17ROCPRIM_400000_NS6detail17trampoline_kernelINS0_14default_configENS1_25partition_config_selectorILNS1_17partition_subalgoE9EllbEEZZNS1_14partition_implILS5_9ELb0ES3_jPlS8_PNS0_10empty_typeENS0_5tupleIJS8_S9_EEENSB_IJS8_SA_EEENS0_18inequality_wrapperIZN2at6native12_GLOBAL__N_124unique_dim_cuda_templateIN3c104HalfEEESt5tupleIJNSF_6TensorESM_SM_EERKSM_lbbbEUlllE0_EEPmJS9_EEE10hipError_tPvRmT3_T4_T5_T6_T7_T9_mT8_P12ihipStream_tbDpT10_ENKUlT_T0_E_clISt17integral_constantIbLb0EES1B_IbLb1EEEEDaS17_S18_EUlS17_E_NS1_11comp_targetILNS1_3genE0ELNS1_11target_archE4294967295ELNS1_3gpuE0ELNS1_3repE0EEENS1_30default_config_static_selectorELNS0_4arch9wavefront6targetE1EEEvT1_
; %bb.0:
	.section	.rodata,"a",@progbits
	.p2align	6, 0x0
	.amdhsa_kernel _ZN7rocprim17ROCPRIM_400000_NS6detail17trampoline_kernelINS0_14default_configENS1_25partition_config_selectorILNS1_17partition_subalgoE9EllbEEZZNS1_14partition_implILS5_9ELb0ES3_jPlS8_PNS0_10empty_typeENS0_5tupleIJS8_S9_EEENSB_IJS8_SA_EEENS0_18inequality_wrapperIZN2at6native12_GLOBAL__N_124unique_dim_cuda_templateIN3c104HalfEEESt5tupleIJNSF_6TensorESM_SM_EERKSM_lbbbEUlllE0_EEPmJS9_EEE10hipError_tPvRmT3_T4_T5_T6_T7_T9_mT8_P12ihipStream_tbDpT10_ENKUlT_T0_E_clISt17integral_constantIbLb0EES1B_IbLb1EEEEDaS17_S18_EUlS17_E_NS1_11comp_targetILNS1_3genE0ELNS1_11target_archE4294967295ELNS1_3gpuE0ELNS1_3repE0EEENS1_30default_config_static_selectorELNS0_4arch9wavefront6targetE1EEEvT1_
		.amdhsa_group_segment_fixed_size 0
		.amdhsa_private_segment_fixed_size 0
		.amdhsa_kernarg_size 136
		.amdhsa_user_sgpr_count 2
		.amdhsa_user_sgpr_dispatch_ptr 0
		.amdhsa_user_sgpr_queue_ptr 0
		.amdhsa_user_sgpr_kernarg_segment_ptr 1
		.amdhsa_user_sgpr_dispatch_id 0
		.amdhsa_user_sgpr_kernarg_preload_length 0
		.amdhsa_user_sgpr_kernarg_preload_offset 0
		.amdhsa_user_sgpr_private_segment_size 0
		.amdhsa_uses_dynamic_stack 0
		.amdhsa_enable_private_segment 0
		.amdhsa_system_sgpr_workgroup_id_x 1
		.amdhsa_system_sgpr_workgroup_id_y 0
		.amdhsa_system_sgpr_workgroup_id_z 0
		.amdhsa_system_sgpr_workgroup_info 0
		.amdhsa_system_vgpr_workitem_id 0
		.amdhsa_next_free_vgpr 1
		.amdhsa_next_free_sgpr 0
		.amdhsa_accum_offset 4
		.amdhsa_reserve_vcc 0
		.amdhsa_float_round_mode_32 0
		.amdhsa_float_round_mode_16_64 0
		.amdhsa_float_denorm_mode_32 3
		.amdhsa_float_denorm_mode_16_64 3
		.amdhsa_dx10_clamp 1
		.amdhsa_ieee_mode 1
		.amdhsa_fp16_overflow 0
		.amdhsa_tg_split 0
		.amdhsa_exception_fp_ieee_invalid_op 0
		.amdhsa_exception_fp_denorm_src 0
		.amdhsa_exception_fp_ieee_div_zero 0
		.amdhsa_exception_fp_ieee_overflow 0
		.amdhsa_exception_fp_ieee_underflow 0
		.amdhsa_exception_fp_ieee_inexact 0
		.amdhsa_exception_int_div_zero 0
	.end_amdhsa_kernel
	.section	.text._ZN7rocprim17ROCPRIM_400000_NS6detail17trampoline_kernelINS0_14default_configENS1_25partition_config_selectorILNS1_17partition_subalgoE9EllbEEZZNS1_14partition_implILS5_9ELb0ES3_jPlS8_PNS0_10empty_typeENS0_5tupleIJS8_S9_EEENSB_IJS8_SA_EEENS0_18inequality_wrapperIZN2at6native12_GLOBAL__N_124unique_dim_cuda_templateIN3c104HalfEEESt5tupleIJNSF_6TensorESM_SM_EERKSM_lbbbEUlllE0_EEPmJS9_EEE10hipError_tPvRmT3_T4_T5_T6_T7_T9_mT8_P12ihipStream_tbDpT10_ENKUlT_T0_E_clISt17integral_constantIbLb0EES1B_IbLb1EEEEDaS17_S18_EUlS17_E_NS1_11comp_targetILNS1_3genE0ELNS1_11target_archE4294967295ELNS1_3gpuE0ELNS1_3repE0EEENS1_30default_config_static_selectorELNS0_4arch9wavefront6targetE1EEEvT1_,"axG",@progbits,_ZN7rocprim17ROCPRIM_400000_NS6detail17trampoline_kernelINS0_14default_configENS1_25partition_config_selectorILNS1_17partition_subalgoE9EllbEEZZNS1_14partition_implILS5_9ELb0ES3_jPlS8_PNS0_10empty_typeENS0_5tupleIJS8_S9_EEENSB_IJS8_SA_EEENS0_18inequality_wrapperIZN2at6native12_GLOBAL__N_124unique_dim_cuda_templateIN3c104HalfEEESt5tupleIJNSF_6TensorESM_SM_EERKSM_lbbbEUlllE0_EEPmJS9_EEE10hipError_tPvRmT3_T4_T5_T6_T7_T9_mT8_P12ihipStream_tbDpT10_ENKUlT_T0_E_clISt17integral_constantIbLb0EES1B_IbLb1EEEEDaS17_S18_EUlS17_E_NS1_11comp_targetILNS1_3genE0ELNS1_11target_archE4294967295ELNS1_3gpuE0ELNS1_3repE0EEENS1_30default_config_static_selectorELNS0_4arch9wavefront6targetE1EEEvT1_,comdat
.Lfunc_end1361:
	.size	_ZN7rocprim17ROCPRIM_400000_NS6detail17trampoline_kernelINS0_14default_configENS1_25partition_config_selectorILNS1_17partition_subalgoE9EllbEEZZNS1_14partition_implILS5_9ELb0ES3_jPlS8_PNS0_10empty_typeENS0_5tupleIJS8_S9_EEENSB_IJS8_SA_EEENS0_18inequality_wrapperIZN2at6native12_GLOBAL__N_124unique_dim_cuda_templateIN3c104HalfEEESt5tupleIJNSF_6TensorESM_SM_EERKSM_lbbbEUlllE0_EEPmJS9_EEE10hipError_tPvRmT3_T4_T5_T6_T7_T9_mT8_P12ihipStream_tbDpT10_ENKUlT_T0_E_clISt17integral_constantIbLb0EES1B_IbLb1EEEEDaS17_S18_EUlS17_E_NS1_11comp_targetILNS1_3genE0ELNS1_11target_archE4294967295ELNS1_3gpuE0ELNS1_3repE0EEENS1_30default_config_static_selectorELNS0_4arch9wavefront6targetE1EEEvT1_, .Lfunc_end1361-_ZN7rocprim17ROCPRIM_400000_NS6detail17trampoline_kernelINS0_14default_configENS1_25partition_config_selectorILNS1_17partition_subalgoE9EllbEEZZNS1_14partition_implILS5_9ELb0ES3_jPlS8_PNS0_10empty_typeENS0_5tupleIJS8_S9_EEENSB_IJS8_SA_EEENS0_18inequality_wrapperIZN2at6native12_GLOBAL__N_124unique_dim_cuda_templateIN3c104HalfEEESt5tupleIJNSF_6TensorESM_SM_EERKSM_lbbbEUlllE0_EEPmJS9_EEE10hipError_tPvRmT3_T4_T5_T6_T7_T9_mT8_P12ihipStream_tbDpT10_ENKUlT_T0_E_clISt17integral_constantIbLb0EES1B_IbLb1EEEEDaS17_S18_EUlS17_E_NS1_11comp_targetILNS1_3genE0ELNS1_11target_archE4294967295ELNS1_3gpuE0ELNS1_3repE0EEENS1_30default_config_static_selectorELNS0_4arch9wavefront6targetE1EEEvT1_
                                        ; -- End function
	.section	.AMDGPU.csdata,"",@progbits
; Kernel info:
; codeLenInByte = 0
; NumSgprs: 6
; NumVgprs: 0
; NumAgprs: 0
; TotalNumVgprs: 0
; ScratchSize: 0
; MemoryBound: 0
; FloatMode: 240
; IeeeMode: 1
; LDSByteSize: 0 bytes/workgroup (compile time only)
; SGPRBlocks: 0
; VGPRBlocks: 0
; NumSGPRsForWavesPerEU: 6
; NumVGPRsForWavesPerEU: 1
; AccumOffset: 4
; Occupancy: 8
; WaveLimiterHint : 0
; COMPUTE_PGM_RSRC2:SCRATCH_EN: 0
; COMPUTE_PGM_RSRC2:USER_SGPR: 2
; COMPUTE_PGM_RSRC2:TRAP_HANDLER: 0
; COMPUTE_PGM_RSRC2:TGID_X_EN: 1
; COMPUTE_PGM_RSRC2:TGID_Y_EN: 0
; COMPUTE_PGM_RSRC2:TGID_Z_EN: 0
; COMPUTE_PGM_RSRC2:TIDIG_COMP_CNT: 0
; COMPUTE_PGM_RSRC3_GFX90A:ACCUM_OFFSET: 0
; COMPUTE_PGM_RSRC3_GFX90A:TG_SPLIT: 0
	.section	.text._ZN7rocprim17ROCPRIM_400000_NS6detail17trampoline_kernelINS0_14default_configENS1_25partition_config_selectorILNS1_17partition_subalgoE9EllbEEZZNS1_14partition_implILS5_9ELb0ES3_jPlS8_PNS0_10empty_typeENS0_5tupleIJS8_S9_EEENSB_IJS8_SA_EEENS0_18inequality_wrapperIZN2at6native12_GLOBAL__N_124unique_dim_cuda_templateIN3c104HalfEEESt5tupleIJNSF_6TensorESM_SM_EERKSM_lbbbEUlllE0_EEPmJS9_EEE10hipError_tPvRmT3_T4_T5_T6_T7_T9_mT8_P12ihipStream_tbDpT10_ENKUlT_T0_E_clISt17integral_constantIbLb0EES1B_IbLb1EEEEDaS17_S18_EUlS17_E_NS1_11comp_targetILNS1_3genE5ELNS1_11target_archE942ELNS1_3gpuE9ELNS1_3repE0EEENS1_30default_config_static_selectorELNS0_4arch9wavefront6targetE1EEEvT1_,"axG",@progbits,_ZN7rocprim17ROCPRIM_400000_NS6detail17trampoline_kernelINS0_14default_configENS1_25partition_config_selectorILNS1_17partition_subalgoE9EllbEEZZNS1_14partition_implILS5_9ELb0ES3_jPlS8_PNS0_10empty_typeENS0_5tupleIJS8_S9_EEENSB_IJS8_SA_EEENS0_18inequality_wrapperIZN2at6native12_GLOBAL__N_124unique_dim_cuda_templateIN3c104HalfEEESt5tupleIJNSF_6TensorESM_SM_EERKSM_lbbbEUlllE0_EEPmJS9_EEE10hipError_tPvRmT3_T4_T5_T6_T7_T9_mT8_P12ihipStream_tbDpT10_ENKUlT_T0_E_clISt17integral_constantIbLb0EES1B_IbLb1EEEEDaS17_S18_EUlS17_E_NS1_11comp_targetILNS1_3genE5ELNS1_11target_archE942ELNS1_3gpuE9ELNS1_3repE0EEENS1_30default_config_static_selectorELNS0_4arch9wavefront6targetE1EEEvT1_,comdat
	.globl	_ZN7rocprim17ROCPRIM_400000_NS6detail17trampoline_kernelINS0_14default_configENS1_25partition_config_selectorILNS1_17partition_subalgoE9EllbEEZZNS1_14partition_implILS5_9ELb0ES3_jPlS8_PNS0_10empty_typeENS0_5tupleIJS8_S9_EEENSB_IJS8_SA_EEENS0_18inequality_wrapperIZN2at6native12_GLOBAL__N_124unique_dim_cuda_templateIN3c104HalfEEESt5tupleIJNSF_6TensorESM_SM_EERKSM_lbbbEUlllE0_EEPmJS9_EEE10hipError_tPvRmT3_T4_T5_T6_T7_T9_mT8_P12ihipStream_tbDpT10_ENKUlT_T0_E_clISt17integral_constantIbLb0EES1B_IbLb1EEEEDaS17_S18_EUlS17_E_NS1_11comp_targetILNS1_3genE5ELNS1_11target_archE942ELNS1_3gpuE9ELNS1_3repE0EEENS1_30default_config_static_selectorELNS0_4arch9wavefront6targetE1EEEvT1_ ; -- Begin function _ZN7rocprim17ROCPRIM_400000_NS6detail17trampoline_kernelINS0_14default_configENS1_25partition_config_selectorILNS1_17partition_subalgoE9EllbEEZZNS1_14partition_implILS5_9ELb0ES3_jPlS8_PNS0_10empty_typeENS0_5tupleIJS8_S9_EEENSB_IJS8_SA_EEENS0_18inequality_wrapperIZN2at6native12_GLOBAL__N_124unique_dim_cuda_templateIN3c104HalfEEESt5tupleIJNSF_6TensorESM_SM_EERKSM_lbbbEUlllE0_EEPmJS9_EEE10hipError_tPvRmT3_T4_T5_T6_T7_T9_mT8_P12ihipStream_tbDpT10_ENKUlT_T0_E_clISt17integral_constantIbLb0EES1B_IbLb1EEEEDaS17_S18_EUlS17_E_NS1_11comp_targetILNS1_3genE5ELNS1_11target_archE942ELNS1_3gpuE9ELNS1_3repE0EEENS1_30default_config_static_selectorELNS0_4arch9wavefront6targetE1EEEvT1_
	.p2align	8
	.type	_ZN7rocprim17ROCPRIM_400000_NS6detail17trampoline_kernelINS0_14default_configENS1_25partition_config_selectorILNS1_17partition_subalgoE9EllbEEZZNS1_14partition_implILS5_9ELb0ES3_jPlS8_PNS0_10empty_typeENS0_5tupleIJS8_S9_EEENSB_IJS8_SA_EEENS0_18inequality_wrapperIZN2at6native12_GLOBAL__N_124unique_dim_cuda_templateIN3c104HalfEEESt5tupleIJNSF_6TensorESM_SM_EERKSM_lbbbEUlllE0_EEPmJS9_EEE10hipError_tPvRmT3_T4_T5_T6_T7_T9_mT8_P12ihipStream_tbDpT10_ENKUlT_T0_E_clISt17integral_constantIbLb0EES1B_IbLb1EEEEDaS17_S18_EUlS17_E_NS1_11comp_targetILNS1_3genE5ELNS1_11target_archE942ELNS1_3gpuE9ELNS1_3repE0EEENS1_30default_config_static_selectorELNS0_4arch9wavefront6targetE1EEEvT1_,@function
_ZN7rocprim17ROCPRIM_400000_NS6detail17trampoline_kernelINS0_14default_configENS1_25partition_config_selectorILNS1_17partition_subalgoE9EllbEEZZNS1_14partition_implILS5_9ELb0ES3_jPlS8_PNS0_10empty_typeENS0_5tupleIJS8_S9_EEENSB_IJS8_SA_EEENS0_18inequality_wrapperIZN2at6native12_GLOBAL__N_124unique_dim_cuda_templateIN3c104HalfEEESt5tupleIJNSF_6TensorESM_SM_EERKSM_lbbbEUlllE0_EEPmJS9_EEE10hipError_tPvRmT3_T4_T5_T6_T7_T9_mT8_P12ihipStream_tbDpT10_ENKUlT_T0_E_clISt17integral_constantIbLb0EES1B_IbLb1EEEEDaS17_S18_EUlS17_E_NS1_11comp_targetILNS1_3genE5ELNS1_11target_archE942ELNS1_3gpuE9ELNS1_3repE0EEENS1_30default_config_static_selectorELNS0_4arch9wavefront6targetE1EEEvT1_: ; @_ZN7rocprim17ROCPRIM_400000_NS6detail17trampoline_kernelINS0_14default_configENS1_25partition_config_selectorILNS1_17partition_subalgoE9EllbEEZZNS1_14partition_implILS5_9ELb0ES3_jPlS8_PNS0_10empty_typeENS0_5tupleIJS8_S9_EEENSB_IJS8_SA_EEENS0_18inequality_wrapperIZN2at6native12_GLOBAL__N_124unique_dim_cuda_templateIN3c104HalfEEESt5tupleIJNSF_6TensorESM_SM_EERKSM_lbbbEUlllE0_EEPmJS9_EEE10hipError_tPvRmT3_T4_T5_T6_T7_T9_mT8_P12ihipStream_tbDpT10_ENKUlT_T0_E_clISt17integral_constantIbLb0EES1B_IbLb1EEEEDaS17_S18_EUlS17_E_NS1_11comp_targetILNS1_3genE5ELNS1_11target_archE942ELNS1_3gpuE9ELNS1_3repE0EEENS1_30default_config_static_selectorELNS0_4arch9wavefront6targetE1EEEvT1_
; %bb.0:
	s_load_dwordx4 s[4:7], s[0:1], 0x8
	s_load_dwordx2 s[10:11], s[0:1], 0x18
	s_load_dwordx8 s[20:27], s[0:1], 0x40
	s_load_dwordx4 s[36:39], s[0:1], 0x60
	v_cmp_ne_u32_e64 s[2:3], 0, v0
	v_cmp_eq_u32_e64 s[18:19], 0, v0
	s_and_saveexec_b64 s[8:9], s[18:19]
	s_cbranch_execz .LBB1362_4
; %bb.1:
	s_mov_b64 s[14:15], exec
	v_mbcnt_lo_u32_b32 v1, s14, 0
	v_mbcnt_hi_u32_b32 v1, s15, v1
	v_cmp_eq_u32_e32 vcc, 0, v1
                                        ; implicit-def: $vgpr2
	s_and_saveexec_b64 s[12:13], vcc
	s_cbranch_execz .LBB1362_3
; %bb.2:
	s_load_dwordx2 s[16:17], s[0:1], 0x78
	s_bcnt1_i32_b64 s14, s[14:15]
	v_mov_b32_e32 v2, 0
	v_mov_b32_e32 v3, s14
	s_waitcnt lgkmcnt(0)
	global_atomic_add v2, v2, v3, s[16:17] sc0
.LBB1362_3:
	s_or_b64 exec, exec, s[12:13]
	s_waitcnt vmcnt(0)
	v_readfirstlane_b32 s12, v2
	v_mov_b32_e32 v2, 0
	s_nop 0
	v_add_u32_e32 v1, s12, v1
	ds_write_b32 v2, v1
.LBB1362_4:
	s_or_b64 exec, exec, s[8:9]
	v_mov_b32_e32 v3, 0
	s_load_dwordx4 s[28:31], s[0:1], 0x28
	s_load_dword s8, s[0:1], 0x70
	s_waitcnt lgkmcnt(0)
	s_barrier
	ds_read_b32 v1, v3
	s_waitcnt lgkmcnt(0)
	s_barrier
	global_load_dwordx2 v[4:5], v3, s[22:23]
	s_lshl_b64 s[12:13], s[6:7], 3
	s_mul_i32 s14, s8, 0xe00
	s_add_u32 s16, s4, s12
	s_addc_u32 s17, s5, s13
	s_add_i32 s4, s14, s6
	s_sub_i32 s54, s24, s4
	s_add_i32 s15, s8, -1
	s_addk_i32 s54, 0xe00
	s_add_u32 s4, s6, s14
	v_readfirstlane_b32 s33, v1
	s_addc_u32 s5, s7, 0
	v_mov_b32_e32 v6, s24
	v_mov_b32_e32 v7, s25
	s_cmp_eq_u32 s33, s15
	s_mov_b32 s9, 0
	s_mul_i32 s8, s33, 0xe00
	v_cmp_ge_u64_e32 vcc, s[4:5], v[6:7]
	s_cselect_b64 s[24:25], -1, 0
	s_lshl_b64 s[14:15], s[8:9], 3
	s_and_b64 s[8:9], vcc, s[24:25]
	s_xor_b64 s[34:35], s[8:9], -1
	s_add_u32 s4, s16, s14
	s_mov_b64 s[0:1], -1
	s_addc_u32 s5, s17, s15
	s_and_b64 vcc, exec, s[34:35]
	s_waitcnt vmcnt(0)
	v_readfirstlane_b32 s22, v4
	v_readfirstlane_b32 s23, v5
	s_cbranch_vccz .LBB1362_6
; %bb.5:
	v_lshlrev_b32_e32 v2, 3, v0
	v_lshl_add_u64 v[4:5], s[4:5], 0, v[2:3]
	v_add_co_u32_e32 v8, vcc, 0x1000, v4
	global_load_dwordx2 v[6:7], v2, s[4:5]
	s_nop 0
	v_addc_co_u32_e32 v9, vcc, 0, v5, vcc
	v_add_co_u32_e32 v10, vcc, 0x2000, v4
	s_mov_b64 s[0:1], 0
	s_nop 0
	v_addc_co_u32_e32 v11, vcc, 0, v5, vcc
	v_add_co_u32_e32 v12, vcc, 0x3000, v4
	s_nop 1
	v_addc_co_u32_e32 v13, vcc, 0, v5, vcc
	v_add_co_u32_e32 v14, vcc, 0x4000, v4
	s_nop 1
	v_addc_co_u32_e32 v15, vcc, 0, v5, vcc
	global_load_dwordx2 v[16:17], v[8:9], off
	global_load_dwordx2 v[18:19], v[10:11], off
	;; [unrolled: 1-line block ×4, first 2 shown]
	v_add_co_u32_e32 v8, vcc, 0x5000, v4
	s_nop 1
	v_addc_co_u32_e32 v9, vcc, 0, v5, vcc
	v_add_co_u32_e32 v4, vcc, 0x6000, v4
	global_load_dwordx2 v[8:9], v[8:9], off
	s_nop 0
	v_addc_co_u32_e32 v5, vcc, 0, v5, vcc
	global_load_dwordx2 v[4:5], v[4:5], off
	s_waitcnt vmcnt(5)
	ds_write2st64_b64 v2, v[6:7], v[16:17] offset1:8
	s_waitcnt vmcnt(3)
	ds_write2st64_b64 v2, v[18:19], v[20:21] offset0:16 offset1:24
	s_waitcnt vmcnt(1)
	ds_write2st64_b64 v2, v[22:23], v[8:9] offset0:32 offset1:40
	s_waitcnt vmcnt(0)
	ds_write_b64 v2, v[4:5] offset:24576
	s_waitcnt lgkmcnt(0)
	s_barrier
.LBB1362_6:
	s_andn2_b64 vcc, exec, s[0:1]
	v_cmp_gt_u32_e64 s[0:1], s54, v0
	s_cbranch_vccnz .LBB1362_22
; %bb.7:
                                        ; implicit-def: $vgpr2_vgpr3_vgpr4_vgpr5_vgpr6_vgpr7_vgpr8_vgpr9_vgpr10_vgpr11_vgpr12_vgpr13_vgpr14_vgpr15_vgpr16_vgpr17
	s_and_saveexec_b64 s[16:17], s[0:1]
	s_cbranch_execz .LBB1362_9
; %bb.8:
	v_lshlrev_b32_e32 v1, 3, v0
	global_load_dwordx2 v[2:3], v1, s[4:5]
.LBB1362_9:
	s_or_b64 exec, exec, s[16:17]
	v_or_b32_e32 v1, 0x200, v0
	v_cmp_gt_u32_e32 vcc, s54, v1
	s_and_saveexec_b64 s[0:1], vcc
	s_cbranch_execz .LBB1362_11
; %bb.10:
	v_lshlrev_b32_e32 v1, 3, v1
	global_load_dwordx2 v[4:5], v1, s[4:5]
.LBB1362_11:
	s_or_b64 exec, exec, s[0:1]
	v_or_b32_e32 v1, 0x400, v0
	v_cmp_gt_u32_e32 vcc, s54, v1
	s_and_saveexec_b64 s[0:1], vcc
	;; [unrolled: 9-line block ×6, first 2 shown]
	s_cbranch_execz .LBB1362_21
; %bb.20:
	v_lshlrev_b32_e32 v1, 3, v1
	global_load_dwordx2 v[14:15], v1, s[4:5]
.LBB1362_21:
	s_or_b64 exec, exec, s[0:1]
	v_lshlrev_b32_e32 v1, 3, v0
	s_waitcnt vmcnt(0)
	ds_write2st64_b64 v1, v[2:3], v[4:5] offset1:8
	ds_write2st64_b64 v1, v[6:7], v[8:9] offset0:16 offset1:24
	ds_write2st64_b64 v1, v[10:11], v[12:13] offset0:32 offset1:40
	ds_write_b64 v1, v[14:15] offset:24576
	s_waitcnt lgkmcnt(0)
	s_barrier
.LBB1362_22:
	v_mul_u32_u24_e32 v1, 7, v0
	v_lshlrev_b32_e32 v46, 3, v1
	ds_read2_b64 v[22:25], v46 offset1:1
	ds_read2_b64 v[18:21], v46 offset0:2 offset1:3
	ds_read2_b64 v[14:17], v46 offset0:4 offset1:5
	ds_read_b64 v[28:29], v46 offset:48
	s_add_u32 s0, s10, s12
	s_addc_u32 s1, s11, s13
	s_add_u32 s0, s0, s14
	s_addc_u32 s1, s1, s15
	s_mov_b64 s[10:11], -1
	s_and_b64 vcc, exec, s[34:35]
	s_waitcnt lgkmcnt(0)
	s_barrier
	s_cbranch_vccz .LBB1362_24
; %bb.23:
	v_lshlrev_b32_e32 v2, 3, v0
	v_mov_b32_e32 v3, 0
	v_lshl_add_u64 v[4:5], s[0:1], 0, v[2:3]
	v_add_co_u32_e32 v8, vcc, 0x1000, v4
	global_load_dwordx2 v[6:7], v2, s[0:1]
	s_nop 0
	v_addc_co_u32_e32 v9, vcc, 0, v5, vcc
	v_add_co_u32_e32 v10, vcc, 0x2000, v4
	s_mov_b64 s[10:11], 0
	s_nop 0
	v_addc_co_u32_e32 v11, vcc, 0, v5, vcc
	v_add_co_u32_e32 v12, vcc, 0x3000, v4
	s_nop 1
	v_addc_co_u32_e32 v13, vcc, 0, v5, vcc
	v_add_co_u32_e32 v26, vcc, 0x4000, v4
	s_nop 1
	v_addc_co_u32_e32 v27, vcc, 0, v5, vcc
	global_load_dwordx2 v[30:31], v[8:9], off
	global_load_dwordx2 v[32:33], v[10:11], off
	;; [unrolled: 1-line block ×4, first 2 shown]
	v_add_co_u32_e32 v8, vcc, 0x5000, v4
	s_nop 1
	v_addc_co_u32_e32 v9, vcc, 0, v5, vcc
	v_add_co_u32_e32 v4, vcc, 0x6000, v4
	global_load_dwordx2 v[8:9], v[8:9], off
	s_nop 0
	v_addc_co_u32_e32 v5, vcc, 0, v5, vcc
	global_load_dwordx2 v[4:5], v[4:5], off
	s_waitcnt vmcnt(5)
	ds_write2st64_b64 v2, v[6:7], v[30:31] offset1:8
	s_waitcnt vmcnt(3)
	ds_write2st64_b64 v2, v[32:33], v[34:35] offset0:16 offset1:24
	s_waitcnt vmcnt(1)
	ds_write2st64_b64 v2, v[36:37], v[8:9] offset0:32 offset1:40
	s_waitcnt vmcnt(0)
	ds_write_b64 v2, v[4:5] offset:24576
	s_waitcnt lgkmcnt(0)
	s_barrier
.LBB1362_24:
	s_andn2_b64 vcc, exec, s[10:11]
	s_cbranch_vccnz .LBB1362_40
; %bb.25:
	v_cmp_gt_u32_e32 vcc, s54, v0
                                        ; implicit-def: $vgpr2_vgpr3
	s_and_saveexec_b64 s[10:11], vcc
	s_cbranch_execz .LBB1362_27
; %bb.26:
	v_lshlrev_b32_e32 v2, 3, v0
	global_load_dwordx2 v[2:3], v2, s[0:1]
.LBB1362_27:
	s_or_b64 exec, exec, s[10:11]
	v_or_b32_e32 v6, 0x200, v0
	v_cmp_gt_u32_e32 vcc, s54, v6
                                        ; implicit-def: $vgpr4_vgpr5
	s_and_saveexec_b64 s[10:11], vcc
	s_cbranch_execz .LBB1362_29
; %bb.28:
	v_lshlrev_b32_e32 v4, 3, v6
	global_load_dwordx2 v[4:5], v4, s[0:1]
.LBB1362_29:
	s_or_b64 exec, exec, s[10:11]
	v_or_b32_e32 v8, 0x400, v0
	v_cmp_gt_u32_e32 vcc, s54, v8
                                        ; implicit-def: $vgpr6_vgpr7
	s_and_saveexec_b64 s[10:11], vcc
	s_cbranch_execz .LBB1362_31
; %bb.30:
	v_lshlrev_b32_e32 v6, 3, v8
	global_load_dwordx2 v[6:7], v6, s[0:1]
.LBB1362_31:
	s_or_b64 exec, exec, s[10:11]
	v_or_b32_e32 v10, 0x600, v0
	v_cmp_gt_u32_e32 vcc, s54, v10
                                        ; implicit-def: $vgpr8_vgpr9
	s_and_saveexec_b64 s[10:11], vcc
	s_cbranch_execz .LBB1362_33
; %bb.32:
	v_lshlrev_b32_e32 v8, 3, v10
	global_load_dwordx2 v[8:9], v8, s[0:1]
.LBB1362_33:
	s_or_b64 exec, exec, s[10:11]
	v_or_b32_e32 v12, 0x800, v0
	v_cmp_gt_u32_e32 vcc, s54, v12
                                        ; implicit-def: $vgpr10_vgpr11
	s_and_saveexec_b64 s[10:11], vcc
	s_cbranch_execz .LBB1362_35
; %bb.34:
	v_lshlrev_b32_e32 v10, 3, v12
	global_load_dwordx2 v[10:11], v10, s[0:1]
.LBB1362_35:
	s_or_b64 exec, exec, s[10:11]
	v_or_b32_e32 v26, 0xa00, v0
	v_cmp_gt_u32_e32 vcc, s54, v26
                                        ; implicit-def: $vgpr12_vgpr13
	s_and_saveexec_b64 s[10:11], vcc
	s_cbranch_execz .LBB1362_37
; %bb.36:
	v_lshlrev_b32_e32 v12, 3, v26
	global_load_dwordx2 v[12:13], v12, s[0:1]
.LBB1362_37:
	s_or_b64 exec, exec, s[10:11]
	v_or_b32_e32 v30, 0xc00, v0
	v_cmp_gt_u32_e32 vcc, s54, v30
                                        ; implicit-def: $vgpr26_vgpr27
	s_and_saveexec_b64 s[10:11], vcc
	s_cbranch_execz .LBB1362_39
; %bb.38:
	v_lshlrev_b32_e32 v26, 3, v30
	global_load_dwordx2 v[26:27], v26, s[0:1]
.LBB1362_39:
	s_or_b64 exec, exec, s[10:11]
	s_movk_i32 s0, 0xffd0
	v_mad_i32_i24 v30, v0, s0, v46
	s_waitcnt vmcnt(0)
	ds_write2st64_b64 v30, v[2:3], v[4:5] offset1:8
	ds_write2st64_b64 v30, v[6:7], v[8:9] offset0:16 offset1:24
	ds_write2st64_b64 v30, v[10:11], v[12:13] offset0:32 offset1:40
	ds_write_b64 v30, v[26:27] offset:24576
	s_waitcnt lgkmcnt(0)
	s_barrier
.LBB1362_40:
	ds_read2_b64 v[10:13], v46 offset1:1
	ds_read2_b64 v[6:9], v46 offset0:2 offset1:3
	ds_read2_b64 v[2:5], v46 offset0:4 offset1:5
	ds_read_b64 v[26:27], v46 offset:48
	s_cmp_lg_u32 s33, 0
	s_cselect_b64 s[0:1], -1, 0
	s_cmp_lg_u64 s[6:7], 0
	s_cselect_b64 s[6:7], -1, 0
	s_or_b64 s[6:7], s[6:7], s[0:1]
	v_add_u32_e32 v43, 1, v1
	v_add_u32_e32 v40, 2, v1
	;; [unrolled: 1-line block ×6, first 2 shown]
	s_mov_b64 s[10:11], 0
	s_and_b64 vcc, exec, s[6:7]
	v_cmp_gt_i64_e64 s[12:13], s[26:27], 0
	s_waitcnt lgkmcnt(0)
	s_barrier
	s_cbranch_vccz .LBB1362_49
; %bb.41:
	v_mov_b32_e32 v30, 0
	global_load_dwordx2 v[30:31], v30, s[4:5] offset:-8
	v_cndmask_b32_e64 v32, 0, 1, s[12:13]
	v_lshlrev_b32_e32 v47, 3, v0
	s_mov_b64 s[6:7], 0
	s_and_b64 vcc, exec, s[34:35]
	v_cmp_ne_u32_e64 s[4:5], 1, v32
	ds_write_b64 v47, v[28:29]
	s_cbranch_vccz .LBB1362_51
; %bb.42:
	v_mul_lo_u32 v34, v17, s26
	v_mul_lo_u32 v35, v16, s27
	v_mad_u64_u32 v[32:33], s[10:11], v16, s26, 0
	v_add3_u32 v33, v33, v35, v34
	s_and_b64 vcc, exec, s[4:5]
	v_lshl_add_u64 v[32:33], v[32:33], 1, s[36:37]
	s_cbranch_vccnz .LBB1362_54
; %bb.43:
	v_mul_lo_u32 v36, v29, s26
	v_mul_lo_u32 v37, v28, s27
	v_mad_u64_u32 v[34:35], s[6:7], v28, s26, 0
	v_add3_u32 v35, v35, v37, v36
	v_lshl_add_u64 v[34:35], v[34:35], 1, s[36:37]
	global_load_ushort v36, v[32:33], off
	global_load_ushort v37, v[34:35], off
	s_mov_b64 s[6:7], -1
	s_waitcnt vmcnt(0)
	v_cmp_eq_f16_e32 vcc, v36, v37
	s_and_saveexec_b64 s[10:11], vcc
	s_cbranch_execz .LBB1362_53
; %bb.44:
	s_add_u32 s6, s26, -1
	v_lshl_add_u64 v[34:35], v[34:35], 0, 2
	v_lshl_add_u64 v[36:37], v[32:33], 0, 2
	s_addc_u32 s7, s27, -1
	s_mov_b64 s[12:13], 0
	s_mov_b64 s[16:17], 0
                                        ; implicit-def: $sgpr14_sgpr15
	s_branch .LBB1362_47
.LBB1362_45:                            ;   in Loop: Header=BB1362_47 Depth=1
	global_load_ushort v38, v[36:37], off
	global_load_ushort v39, v[34:35], off
	s_add_u32 s16, s16, 1
	s_addc_u32 s17, s17, 0
	s_andn2_b64 s[14:15], s[14:15], exec
	v_lshl_add_u64 v[34:35], v[34:35], 0, 2
	v_lshl_add_u64 v[36:37], v[36:37], 0, 2
	s_waitcnt vmcnt(0)
	v_cmp_neq_f16_e32 vcc, v38, v39
	s_and_b64 s[40:41], vcc, exec
	s_or_b64 s[14:15], s[14:15], s[40:41]
.LBB1362_46:                            ;   in Loop: Header=BB1362_47 Depth=1
	s_and_b64 s[40:41], exec, s[14:15]
	s_or_b64 s[12:13], s[40:41], s[12:13]
	v_mov_b64_e32 v[38:39], s[16:17]
	s_andn2_b64 exec, exec, s[12:13]
	s_cbranch_execz .LBB1362_52
.LBB1362_47:                            ; =>This Inner Loop Header: Depth=1
	s_or_b64 s[14:15], s[14:15], exec
	s_cmp_eq_u64 s[6:7], s[16:17]
	s_cbranch_scc0 .LBB1362_45
; %bb.48:                               ;   in Loop: Header=BB1362_47 Depth=1
                                        ; implicit-def: $vgpr34_vgpr35
                                        ; implicit-def: $vgpr36_vgpr37
	s_mov_b64 s[16:17], s[26:27]
	s_branch .LBB1362_46
.LBB1362_49:
                                        ; implicit-def: $sgpr14_sgpr15
                                        ; implicit-def: $vgpr49
                                        ; implicit-def: $vgpr48
                                        ; implicit-def: $vgpr39
                                        ; implicit-def: $vgpr34
	s_branch .LBB1362_192
.LBB1362_50:
                                        ; implicit-def: $vgpr30_vgpr31
	s_branch .LBB1362_340
.LBB1362_51:
                                        ; implicit-def: $sgpr14_sgpr15
                                        ; implicit-def: $vgpr49
                                        ; implicit-def: $vgpr48
                                        ; implicit-def: $vgpr39
                                        ; implicit-def: $vgpr34
	s_cbranch_execnz .LBB1362_111
	s_branch .LBB1362_191
.LBB1362_52:
	s_or_b64 exec, exec, s[12:13]
	v_cmp_gt_i64_e32 vcc, s[26:27], v[38:39]
	s_orn2_b64 s[6:7], vcc, exec
.LBB1362_53:
	s_or_b64 exec, exec, s[10:11]
.LBB1362_54:
	v_mul_lo_u32 v36, v15, s26
	v_mul_lo_u32 v37, v14, s27
	v_mad_u64_u32 v[34:35], s[10:11], v14, s26, 0
	v_add3_u32 v35, v35, v37, v36
	s_mov_b64 s[10:11], 0
	s_and_b64 vcc, exec, s[4:5]
	v_lshl_add_u64 v[34:35], v[34:35], 1, s[36:37]
	s_mov_b64 s[12:13], 0
	s_cbranch_vccnz .LBB1362_63
; %bb.55:
	global_load_ushort v36, v[34:35], off
	global_load_ushort v37, v[32:33], off
	s_mov_b64 s[12:13], -1
	s_waitcnt vmcnt(0)
	v_cmp_eq_f16_e32 vcc, v36, v37
	s_and_saveexec_b64 s[14:15], vcc
	s_cbranch_execz .LBB1362_62
; %bb.56:
	s_add_u32 s12, s26, -1
	v_lshl_add_u64 v[32:33], v[32:33], 0, 2
	v_lshl_add_u64 v[36:37], v[34:35], 0, 2
	s_addc_u32 s13, s27, -1
	s_mov_b64 s[16:17], 0
	s_mov_b64 s[42:43], 0
                                        ; implicit-def: $sgpr40_sgpr41
	s_branch .LBB1362_59
.LBB1362_57:                            ;   in Loop: Header=BB1362_59 Depth=1
	global_load_ushort v38, v[36:37], off
	global_load_ushort v39, v[32:33], off
	s_add_u32 s42, s42, 1
	s_addc_u32 s43, s43, 0
	s_andn2_b64 s[40:41], s[40:41], exec
	v_lshl_add_u64 v[32:33], v[32:33], 0, 2
	v_lshl_add_u64 v[36:37], v[36:37], 0, 2
	s_waitcnt vmcnt(0)
	v_cmp_neq_f16_e32 vcc, v38, v39
	s_and_b64 s[44:45], vcc, exec
	s_or_b64 s[40:41], s[40:41], s[44:45]
.LBB1362_58:                            ;   in Loop: Header=BB1362_59 Depth=1
	s_and_b64 s[44:45], exec, s[40:41]
	s_or_b64 s[16:17], s[44:45], s[16:17]
	v_mov_b64_e32 v[38:39], s[42:43]
	s_andn2_b64 exec, exec, s[16:17]
	s_cbranch_execz .LBB1362_61
.LBB1362_59:                            ; =>This Inner Loop Header: Depth=1
	s_or_b64 s[40:41], s[40:41], exec
	s_cmp_eq_u64 s[12:13], s[42:43]
	s_cbranch_scc0 .LBB1362_57
; %bb.60:                               ;   in Loop: Header=BB1362_59 Depth=1
                                        ; implicit-def: $vgpr32_vgpr33
                                        ; implicit-def: $vgpr36_vgpr37
	s_mov_b64 s[42:43], s[26:27]
	s_branch .LBB1362_58
.LBB1362_61:
	s_or_b64 exec, exec, s[16:17]
	v_cmp_gt_i64_e32 vcc, s[26:27], v[38:39]
	s_orn2_b64 s[12:13], vcc, exec
.LBB1362_62:
	s_or_b64 exec, exec, s[14:15]
.LBB1362_63:
	v_mul_lo_u32 v36, v21, s26
	v_mul_lo_u32 v37, v20, s27
	v_mad_u64_u32 v[32:33], s[14:15], v20, s26, 0
	v_add3_u32 v33, v33, v37, v36
	s_and_b64 vcc, exec, s[4:5]
	v_lshl_add_u64 v[32:33], v[32:33], 1, s[36:37]
	s_cbranch_vccnz .LBB1362_72
; %bb.64:
	global_load_ushort v36, v[32:33], off
	global_load_ushort v37, v[34:35], off
	s_mov_b64 s[10:11], -1
	s_waitcnt vmcnt(0)
	v_cmp_eq_f16_e32 vcc, v36, v37
	s_and_saveexec_b64 s[14:15], vcc
	s_cbranch_execz .LBB1362_71
; %bb.65:
	s_add_u32 s10, s26, -1
	v_lshl_add_u64 v[34:35], v[34:35], 0, 2
	v_lshl_add_u64 v[36:37], v[32:33], 0, 2
	s_addc_u32 s11, s27, -1
	s_mov_b64 s[16:17], 0
	s_mov_b64 s[42:43], 0
                                        ; implicit-def: $sgpr40_sgpr41
	s_branch .LBB1362_68
.LBB1362_66:                            ;   in Loop: Header=BB1362_68 Depth=1
	global_load_ushort v38, v[36:37], off
	global_load_ushort v39, v[34:35], off
	s_add_u32 s42, s42, 1
	s_addc_u32 s43, s43, 0
	s_andn2_b64 s[40:41], s[40:41], exec
	v_lshl_add_u64 v[34:35], v[34:35], 0, 2
	v_lshl_add_u64 v[36:37], v[36:37], 0, 2
	s_waitcnt vmcnt(0)
	v_cmp_neq_f16_e32 vcc, v38, v39
	s_and_b64 s[44:45], vcc, exec
	s_or_b64 s[40:41], s[40:41], s[44:45]
.LBB1362_67:                            ;   in Loop: Header=BB1362_68 Depth=1
	s_and_b64 s[44:45], exec, s[40:41]
	s_or_b64 s[16:17], s[44:45], s[16:17]
	v_mov_b64_e32 v[38:39], s[42:43]
	s_andn2_b64 exec, exec, s[16:17]
	s_cbranch_execz .LBB1362_70
.LBB1362_68:                            ; =>This Inner Loop Header: Depth=1
	s_or_b64 s[40:41], s[40:41], exec
	s_cmp_eq_u64 s[10:11], s[42:43]
	s_cbranch_scc0 .LBB1362_66
; %bb.69:                               ;   in Loop: Header=BB1362_68 Depth=1
                                        ; implicit-def: $vgpr34_vgpr35
                                        ; implicit-def: $vgpr36_vgpr37
	s_mov_b64 s[42:43], s[26:27]
	s_branch .LBB1362_67
.LBB1362_70:
	s_or_b64 exec, exec, s[16:17]
	v_cmp_gt_i64_e32 vcc, s[26:27], v[38:39]
	s_orn2_b64 s[10:11], vcc, exec
.LBB1362_71:
	s_or_b64 exec, exec, s[14:15]
.LBB1362_72:
	v_mul_lo_u32 v36, v19, s26
	v_mul_lo_u32 v37, v18, s27
	v_mad_u64_u32 v[34:35], s[14:15], v18, s26, 0
	v_add3_u32 v35, v35, v37, v36
	s_mov_b64 s[14:15], 0
	s_and_b64 vcc, exec, s[4:5]
	v_lshl_add_u64 v[36:37], v[34:35], 1, s[36:37]
	s_mov_b64 s[16:17], 0
	s_cbranch_vccnz .LBB1362_81
; %bb.73:
	global_load_ushort v34, v[36:37], off
	global_load_ushort v35, v[32:33], off
	s_mov_b64 s[16:17], -1
	s_waitcnt vmcnt(0)
	v_cmp_eq_f16_e32 vcc, v34, v35
	s_and_saveexec_b64 s[40:41], vcc
	s_cbranch_execz .LBB1362_80
; %bb.74:
	s_add_u32 s16, s26, -1
	v_lshl_add_u64 v[32:33], v[32:33], 0, 2
	v_lshl_add_u64 v[34:35], v[36:37], 0, 2
	s_addc_u32 s17, s27, -1
	s_mov_b64 s[42:43], 0
	s_mov_b64 s[46:47], 0
                                        ; implicit-def: $sgpr44_sgpr45
	s_branch .LBB1362_77
.LBB1362_75:                            ;   in Loop: Header=BB1362_77 Depth=1
	global_load_ushort v38, v[34:35], off
	global_load_ushort v39, v[32:33], off
	s_add_u32 s46, s46, 1
	s_addc_u32 s47, s47, 0
	s_andn2_b64 s[44:45], s[44:45], exec
	v_lshl_add_u64 v[32:33], v[32:33], 0, 2
	v_lshl_add_u64 v[34:35], v[34:35], 0, 2
	s_waitcnt vmcnt(0)
	v_cmp_neq_f16_e32 vcc, v38, v39
	s_and_b64 s[48:49], vcc, exec
	s_or_b64 s[44:45], s[44:45], s[48:49]
.LBB1362_76:                            ;   in Loop: Header=BB1362_77 Depth=1
	s_and_b64 s[48:49], exec, s[44:45]
	s_or_b64 s[42:43], s[48:49], s[42:43]
	v_mov_b64_e32 v[38:39], s[46:47]
	s_andn2_b64 exec, exec, s[42:43]
	s_cbranch_execz .LBB1362_79
.LBB1362_77:                            ; =>This Inner Loop Header: Depth=1
	s_or_b64 s[44:45], s[44:45], exec
	s_cmp_eq_u64 s[16:17], s[46:47]
	s_cbranch_scc0 .LBB1362_75
; %bb.78:                               ;   in Loop: Header=BB1362_77 Depth=1
                                        ; implicit-def: $vgpr32_vgpr33
                                        ; implicit-def: $vgpr34_vgpr35
	s_mov_b64 s[46:47], s[26:27]
	s_branch .LBB1362_76
.LBB1362_79:
	s_or_b64 exec, exec, s[42:43]
	v_cmp_gt_i64_e32 vcc, s[26:27], v[38:39]
	s_orn2_b64 s[16:17], vcc, exec
.LBB1362_80:
	s_or_b64 exec, exec, s[40:41]
.LBB1362_81:
	v_mul_lo_u32 v34, v25, s26
	v_mul_lo_u32 v35, v24, s27
	v_mad_u64_u32 v[32:33], s[40:41], v24, s26, 0
	v_add3_u32 v33, v33, v35, v34
	s_and_b64 vcc, exec, s[4:5]
	v_lshl_add_u64 v[34:35], v[32:33], 1, s[36:37]
	s_cbranch_vccnz .LBB1362_90
; %bb.82:
	global_load_ushort v32, v[34:35], off
	global_load_ushort v33, v[36:37], off
	s_mov_b64 s[14:15], -1
	s_waitcnt vmcnt(0)
	v_cmp_eq_f16_e32 vcc, v32, v33
	s_and_saveexec_b64 s[40:41], vcc
	s_cbranch_execz .LBB1362_89
; %bb.83:
	s_add_u32 s14, s26, -1
	v_lshl_add_u64 v[32:33], v[36:37], 0, 2
	v_lshl_add_u64 v[36:37], v[34:35], 0, 2
	s_addc_u32 s15, s27, -1
	s_mov_b64 s[42:43], 0
	s_mov_b64 s[46:47], 0
                                        ; implicit-def: $sgpr44_sgpr45
	s_branch .LBB1362_86
.LBB1362_84:                            ;   in Loop: Header=BB1362_86 Depth=1
	global_load_ushort v38, v[36:37], off
	global_load_ushort v39, v[32:33], off
	s_add_u32 s46, s46, 1
	s_addc_u32 s47, s47, 0
	s_andn2_b64 s[44:45], s[44:45], exec
	v_lshl_add_u64 v[32:33], v[32:33], 0, 2
	v_lshl_add_u64 v[36:37], v[36:37], 0, 2
	s_waitcnt vmcnt(0)
	v_cmp_neq_f16_e32 vcc, v38, v39
	s_and_b64 s[48:49], vcc, exec
	s_or_b64 s[44:45], s[44:45], s[48:49]
.LBB1362_85:                            ;   in Loop: Header=BB1362_86 Depth=1
	s_and_b64 s[48:49], exec, s[44:45]
	s_or_b64 s[42:43], s[48:49], s[42:43]
	v_mov_b64_e32 v[38:39], s[46:47]
	s_andn2_b64 exec, exec, s[42:43]
	s_cbranch_execz .LBB1362_88
.LBB1362_86:                            ; =>This Inner Loop Header: Depth=1
	s_or_b64 s[44:45], s[44:45], exec
	s_cmp_eq_u64 s[14:15], s[46:47]
	s_cbranch_scc0 .LBB1362_84
; %bb.87:                               ;   in Loop: Header=BB1362_86 Depth=1
                                        ; implicit-def: $vgpr32_vgpr33
                                        ; implicit-def: $vgpr36_vgpr37
	s_mov_b64 s[46:47], s[26:27]
	s_branch .LBB1362_85
.LBB1362_88:
	s_or_b64 exec, exec, s[42:43]
	v_cmp_gt_i64_e32 vcc, s[26:27], v[38:39]
	s_orn2_b64 s[14:15], vcc, exec
.LBB1362_89:
	s_or_b64 exec, exec, s[40:41]
.LBB1362_90:
	v_mul_lo_u32 v36, v23, s26
	v_mul_lo_u32 v37, v22, s27
	v_mad_u64_u32 v[32:33], s[40:41], v22, s26, 0
	v_add3_u32 v33, v33, v37, v36
	s_mov_b64 s[42:43], 0
	s_and_b64 vcc, exec, s[4:5]
	v_lshl_add_u64 v[32:33], v[32:33], 1, s[36:37]
	s_cbranch_vccnz .LBB1362_99
; %bb.91:
	global_load_ushort v36, v[32:33], off
	global_load_ushort v37, v[34:35], off
	s_mov_b64 s[42:43], -1
	s_waitcnt vmcnt(0)
	v_cmp_eq_f16_e32 vcc, v36, v37
	s_and_saveexec_b64 s[40:41], vcc
	s_cbranch_execz .LBB1362_98
; %bb.92:
	s_add_u32 s42, s26, -1
	v_lshl_add_u64 v[34:35], v[34:35], 0, 2
	v_lshl_add_u64 v[36:37], v[32:33], 0, 2
	s_addc_u32 s43, s27, -1
	s_mov_b64 s[44:45], 0
	s_mov_b64 s[48:49], 0
                                        ; implicit-def: $sgpr46_sgpr47
	s_branch .LBB1362_95
.LBB1362_93:                            ;   in Loop: Header=BB1362_95 Depth=1
	global_load_ushort v38, v[36:37], off
	global_load_ushort v39, v[34:35], off
	s_add_u32 s48, s48, 1
	s_addc_u32 s49, s49, 0
	s_andn2_b64 s[46:47], s[46:47], exec
	v_lshl_add_u64 v[34:35], v[34:35], 0, 2
	v_lshl_add_u64 v[36:37], v[36:37], 0, 2
	s_waitcnt vmcnt(0)
	v_cmp_neq_f16_e32 vcc, v38, v39
	s_and_b64 s[50:51], vcc, exec
	s_or_b64 s[46:47], s[46:47], s[50:51]
.LBB1362_94:                            ;   in Loop: Header=BB1362_95 Depth=1
	s_and_b64 s[50:51], exec, s[46:47]
	s_or_b64 s[44:45], s[50:51], s[44:45]
	v_mov_b64_e32 v[38:39], s[48:49]
	s_andn2_b64 exec, exec, s[44:45]
	s_cbranch_execz .LBB1362_97
.LBB1362_95:                            ; =>This Inner Loop Header: Depth=1
	s_or_b64 s[46:47], s[46:47], exec
	s_cmp_eq_u64 s[42:43], s[48:49]
	s_cbranch_scc0 .LBB1362_93
; %bb.96:                               ;   in Loop: Header=BB1362_95 Depth=1
                                        ; implicit-def: $vgpr34_vgpr35
                                        ; implicit-def: $vgpr36_vgpr37
	s_mov_b64 s[48:49], s[26:27]
	s_branch .LBB1362_94
.LBB1362_97:
	s_or_b64 exec, exec, s[44:45]
	v_cmp_gt_i64_e32 vcc, s[26:27], v[38:39]
	s_orn2_b64 s[42:43], vcc, exec
.LBB1362_98:
	s_or_b64 exec, exec, s[40:41]
.LBB1362_99:
	s_waitcnt vmcnt(0)
	v_mov_b64_e32 v[34:35], v[30:31]
	s_waitcnt lgkmcnt(0)
	s_barrier
	s_and_saveexec_b64 s[40:41], s[2:3]
	s_cbranch_execz .LBB1362_101
; %bb.100:
	v_add_u32_e32 v34, -8, v47
	ds_read_b64 v[34:35], v34
.LBB1362_101:
	s_or_b64 exec, exec, s[40:41]
	v_cndmask_b32_e64 v37, 0, 1, s[16:17]
	v_cndmask_b32_e64 v36, 0, 1, s[14:15]
	;; [unrolled: 1-line block ×3, first 2 shown]
	v_lshlrev_b16_e32 v37, 8, v37
	v_lshlrev_b16_e32 v38, 8, v38
	v_or_b32_sdwa v50, v36, v37 dst_sel:WORD_1 dst_unused:UNUSED_PAD src0_sel:DWORD src1_sel:DWORD
	s_mov_b64 s[16:17], 0
	s_and_b64 vcc, exec, s[4:5]
	s_mov_b64 s[14:15], 0
	s_cbranch_vccnz .LBB1362_110
; %bb.102:
	s_waitcnt lgkmcnt(0)
	v_mul_lo_u32 v36, v35, s26
	v_mul_lo_u32 v37, v34, s27
	v_mad_u64_u32 v[34:35], s[14:15], v34, s26, 0
	v_add3_u32 v35, v35, v37, v36
	v_lshl_add_u64 v[34:35], v[34:35], 1, s[36:37]
	global_load_ushort v36, v[34:35], off
	global_load_ushort v37, v[32:33], off
	s_mov_b64 s[14:15], -1
	s_waitcnt vmcnt(0)
	v_cmp_eq_f16_e32 vcc, v36, v37
	s_and_saveexec_b64 s[40:41], vcc
	s_cbranch_execz .LBB1362_109
; %bb.103:
	s_add_u32 s14, s26, -1
	v_lshl_add_u64 v[32:33], v[32:33], 0, 2
	v_lshl_add_u64 v[34:35], v[34:35], 0, 2
	s_addc_u32 s15, s27, -1
	s_mov_b64 s[42:43], 0
	s_mov_b64 s[46:47], 0
                                        ; implicit-def: $sgpr44_sgpr45
	s_branch .LBB1362_106
.LBB1362_104:                           ;   in Loop: Header=BB1362_106 Depth=1
	global_load_ushort v36, v[34:35], off
	global_load_ushort v37, v[32:33], off
	s_add_u32 s46, s46, 1
	s_addc_u32 s47, s47, 0
	s_andn2_b64 s[44:45], s[44:45], exec
	v_lshl_add_u64 v[32:33], v[32:33], 0, 2
	v_lshl_add_u64 v[34:35], v[34:35], 0, 2
	s_waitcnt vmcnt(0)
	v_cmp_neq_f16_e32 vcc, v36, v37
	s_and_b64 s[48:49], vcc, exec
	s_or_b64 s[44:45], s[44:45], s[48:49]
.LBB1362_105:                           ;   in Loop: Header=BB1362_106 Depth=1
	s_and_b64 s[48:49], exec, s[44:45]
	s_or_b64 s[42:43], s[48:49], s[42:43]
	v_mov_b64_e32 v[36:37], s[46:47]
	s_andn2_b64 exec, exec, s[42:43]
	s_cbranch_execz .LBB1362_108
.LBB1362_106:                           ; =>This Inner Loop Header: Depth=1
	s_or_b64 s[44:45], s[44:45], exec
	s_cmp_eq_u64 s[14:15], s[46:47]
	s_cbranch_scc0 .LBB1362_104
; %bb.107:                              ;   in Loop: Header=BB1362_106 Depth=1
                                        ; implicit-def: $vgpr32_vgpr33
                                        ; implicit-def: $vgpr34_vgpr35
	s_mov_b64 s[46:47], s[26:27]
	s_branch .LBB1362_105
.LBB1362_108:
	s_or_b64 exec, exec, s[42:43]
	v_cmp_gt_i64_e32 vcc, s[26:27], v[36:37]
	s_orn2_b64 s[14:15], vcc, exec
.LBB1362_109:
	s_or_b64 exec, exec, s[40:41]
.LBB1362_110:
	v_cndmask_b32_e64 v39, 0, 1, s[10:11]
	v_cndmask_b32_e64 v48, 0, 1, s[12:13]
	;; [unrolled: 1-line block ×3, first 2 shown]
	s_waitcnt lgkmcnt(0)
	v_or_b32_e32 v34, v38, v50
	s_and_b64 vcc, exec, s[16:17]
	s_cbranch_vccz .LBB1362_191
.LBB1362_111:
	v_cmp_gt_u32_e32 vcc, s54, v42
	s_mov_b64 s[10:11], 0
	s_mov_b64 s[6:7], 0
	s_and_saveexec_b64 s[12:13], vcc
	s_cbranch_execz .LBB1362_122
; %bb.112:
	s_and_b64 vcc, exec, s[4:5]
	s_mov_b64 s[14:15], 0
	s_cbranch_vccnz .LBB1362_121
; %bb.113:
	v_mul_lo_u32 v34, v17, s26
	v_mul_lo_u32 v35, v16, s27
	v_mad_u64_u32 v[32:33], s[6:7], v16, s26, 0
	v_add3_u32 v33, v33, v35, v34
	v_mul_lo_u32 v34, v29, s26
	v_mul_lo_u32 v35, v28, s27
	v_mad_u64_u32 v[36:37], s[6:7], v28, s26, 0
	v_add3_u32 v37, v37, v35, v34
	v_lshl_add_u64 v[34:35], v[32:33], 1, s[36:37]
	v_lshl_add_u64 v[32:33], v[36:37], 1, s[36:37]
	global_load_ushort v36, v[34:35], off
	global_load_ushort v37, v[32:33], off
	s_mov_b64 s[14:15], -1
	s_waitcnt vmcnt(0)
	v_cmp_eq_f16_e32 vcc, v36, v37
	s_and_saveexec_b64 s[6:7], vcc
	s_cbranch_execz .LBB1362_120
; %bb.114:
	s_add_u32 s14, s26, -1
	v_lshl_add_u64 v[32:33], v[32:33], 0, 2
	v_lshl_add_u64 v[34:35], v[34:35], 0, 2
	s_addc_u32 s15, s27, -1
	s_mov_b64 s[16:17], 0
	s_mov_b64 s[42:43], 0
                                        ; implicit-def: $sgpr40_sgpr41
	s_branch .LBB1362_117
.LBB1362_115:                           ;   in Loop: Header=BB1362_117 Depth=1
	global_load_ushort v36, v[34:35], off
	global_load_ushort v37, v[32:33], off
	s_add_u32 s42, s42, 1
	s_addc_u32 s43, s43, 0
	s_andn2_b64 s[40:41], s[40:41], exec
	v_lshl_add_u64 v[32:33], v[32:33], 0, 2
	v_lshl_add_u64 v[34:35], v[34:35], 0, 2
	s_waitcnt vmcnt(0)
	v_cmp_neq_f16_e32 vcc, v36, v37
	s_and_b64 s[44:45], vcc, exec
	s_or_b64 s[40:41], s[40:41], s[44:45]
.LBB1362_116:                           ;   in Loop: Header=BB1362_117 Depth=1
	s_and_b64 s[44:45], exec, s[40:41]
	s_or_b64 s[16:17], s[44:45], s[16:17]
	v_mov_b64_e32 v[36:37], s[42:43]
	s_andn2_b64 exec, exec, s[16:17]
	s_cbranch_execz .LBB1362_119
.LBB1362_117:                           ; =>This Inner Loop Header: Depth=1
	s_or_b64 s[40:41], s[40:41], exec
	s_cmp_eq_u64 s[14:15], s[42:43]
	s_cbranch_scc0 .LBB1362_115
; %bb.118:                              ;   in Loop: Header=BB1362_117 Depth=1
                                        ; implicit-def: $vgpr32_vgpr33
                                        ; implicit-def: $vgpr34_vgpr35
	s_mov_b64 s[42:43], s[26:27]
	s_branch .LBB1362_116
.LBB1362_119:
	s_or_b64 exec, exec, s[16:17]
	v_cmp_gt_i64_e32 vcc, s[26:27], v[36:37]
	s_orn2_b64 s[14:15], vcc, exec
.LBB1362_120:
	s_or_b64 exec, exec, s[6:7]
.LBB1362_121:
	s_and_b64 s[6:7], s[14:15], exec
.LBB1362_122:
	s_or_b64 exec, exec, s[12:13]
	v_cmp_gt_u32_e32 vcc, s54, v45
	s_and_saveexec_b64 s[12:13], vcc
	s_cbranch_execz .LBB1362_133
; %bb.123:
	s_and_b64 vcc, exec, s[4:5]
	s_mov_b64 s[14:15], 0
	s_cbranch_vccnz .LBB1362_132
; %bb.124:
	v_mul_lo_u32 v34, v15, s26
	v_mul_lo_u32 v35, v14, s27
	v_mad_u64_u32 v[32:33], s[10:11], v14, s26, 0
	v_add3_u32 v33, v33, v35, v34
	v_mul_lo_u32 v34, v17, s26
	v_mul_lo_u32 v35, v16, s27
	v_mad_u64_u32 v[36:37], s[10:11], v16, s26, 0
	v_add3_u32 v37, v37, v35, v34
	v_lshl_add_u64 v[34:35], v[32:33], 1, s[36:37]
	v_lshl_add_u64 v[32:33], v[36:37], 1, s[36:37]
	global_load_ushort v36, v[34:35], off
	global_load_ushort v37, v[32:33], off
	s_mov_b64 s[14:15], -1
	s_waitcnt vmcnt(0)
	v_cmp_eq_f16_e32 vcc, v36, v37
	s_and_saveexec_b64 s[10:11], vcc
	s_cbranch_execz .LBB1362_131
; %bb.125:
	s_add_u32 s14, s26, -1
	v_lshl_add_u64 v[32:33], v[32:33], 0, 2
	v_lshl_add_u64 v[34:35], v[34:35], 0, 2
	s_addc_u32 s15, s27, -1
	s_mov_b64 s[16:17], 0
	s_mov_b64 s[42:43], 0
                                        ; implicit-def: $sgpr40_sgpr41
	s_branch .LBB1362_128
.LBB1362_126:                           ;   in Loop: Header=BB1362_128 Depth=1
	global_load_ushort v36, v[34:35], off
	global_load_ushort v37, v[32:33], off
	s_add_u32 s42, s42, 1
	s_addc_u32 s43, s43, 0
	s_andn2_b64 s[40:41], s[40:41], exec
	v_lshl_add_u64 v[32:33], v[32:33], 0, 2
	v_lshl_add_u64 v[34:35], v[34:35], 0, 2
	s_waitcnt vmcnt(0)
	v_cmp_neq_f16_e32 vcc, v36, v37
	s_and_b64 s[44:45], vcc, exec
	s_or_b64 s[40:41], s[40:41], s[44:45]
.LBB1362_127:                           ;   in Loop: Header=BB1362_128 Depth=1
	s_and_b64 s[44:45], exec, s[40:41]
	s_or_b64 s[16:17], s[44:45], s[16:17]
	v_mov_b64_e32 v[36:37], s[42:43]
	s_andn2_b64 exec, exec, s[16:17]
	s_cbranch_execz .LBB1362_130
.LBB1362_128:                           ; =>This Inner Loop Header: Depth=1
	s_or_b64 s[40:41], s[40:41], exec
	s_cmp_eq_u64 s[14:15], s[42:43]
	s_cbranch_scc0 .LBB1362_126
; %bb.129:                              ;   in Loop: Header=BB1362_128 Depth=1
                                        ; implicit-def: $vgpr32_vgpr33
                                        ; implicit-def: $vgpr34_vgpr35
	s_mov_b64 s[42:43], s[26:27]
	s_branch .LBB1362_127
.LBB1362_130:
	s_or_b64 exec, exec, s[16:17]
	v_cmp_gt_i64_e32 vcc, s[26:27], v[36:37]
	s_orn2_b64 s[14:15], vcc, exec
.LBB1362_131:
	s_or_b64 exec, exec, s[10:11]
.LBB1362_132:
	s_and_b64 s[10:11], s[14:15], exec
.LBB1362_133:
	s_or_b64 exec, exec, s[12:13]
	v_cmp_gt_u32_e32 vcc, s54, v41
	s_mov_b64 s[14:15], 0
	s_mov_b64 s[12:13], 0
	s_and_saveexec_b64 s[16:17], vcc
	s_cbranch_execz .LBB1362_144
; %bb.134:
	s_and_b64 vcc, exec, s[4:5]
	s_mov_b64 s[40:41], 0
	s_cbranch_vccnz .LBB1362_143
; %bb.135:
	v_mul_lo_u32 v34, v21, s26
	v_mul_lo_u32 v35, v20, s27
	v_mad_u64_u32 v[32:33], s[12:13], v20, s26, 0
	v_add3_u32 v33, v33, v35, v34
	v_mul_lo_u32 v34, v15, s26
	v_mul_lo_u32 v35, v14, s27
	v_mad_u64_u32 v[36:37], s[12:13], v14, s26, 0
	v_add3_u32 v37, v37, v35, v34
	v_lshl_add_u64 v[34:35], v[32:33], 1, s[36:37]
	v_lshl_add_u64 v[32:33], v[36:37], 1, s[36:37]
	global_load_ushort v36, v[34:35], off
	global_load_ushort v37, v[32:33], off
	s_mov_b64 s[40:41], -1
	s_waitcnt vmcnt(0)
	v_cmp_eq_f16_e32 vcc, v36, v37
	s_and_saveexec_b64 s[12:13], vcc
	s_cbranch_execz .LBB1362_142
; %bb.136:
	s_add_u32 s40, s26, -1
	v_lshl_add_u64 v[32:33], v[32:33], 0, 2
	v_lshl_add_u64 v[34:35], v[34:35], 0, 2
	s_addc_u32 s41, s27, -1
	s_mov_b64 s[42:43], 0
	s_mov_b64 s[46:47], 0
                                        ; implicit-def: $sgpr44_sgpr45
	s_branch .LBB1362_139
.LBB1362_137:                           ;   in Loop: Header=BB1362_139 Depth=1
	global_load_ushort v36, v[34:35], off
	global_load_ushort v37, v[32:33], off
	s_add_u32 s46, s46, 1
	s_addc_u32 s47, s47, 0
	s_andn2_b64 s[44:45], s[44:45], exec
	v_lshl_add_u64 v[32:33], v[32:33], 0, 2
	v_lshl_add_u64 v[34:35], v[34:35], 0, 2
	s_waitcnt vmcnt(0)
	v_cmp_neq_f16_e32 vcc, v36, v37
	s_and_b64 s[48:49], vcc, exec
	s_or_b64 s[44:45], s[44:45], s[48:49]
.LBB1362_138:                           ;   in Loop: Header=BB1362_139 Depth=1
	s_and_b64 s[48:49], exec, s[44:45]
	s_or_b64 s[42:43], s[48:49], s[42:43]
	v_mov_b64_e32 v[36:37], s[46:47]
	s_andn2_b64 exec, exec, s[42:43]
	s_cbranch_execz .LBB1362_141
.LBB1362_139:                           ; =>This Inner Loop Header: Depth=1
	s_or_b64 s[44:45], s[44:45], exec
	s_cmp_eq_u64 s[40:41], s[46:47]
	s_cbranch_scc0 .LBB1362_137
; %bb.140:                              ;   in Loop: Header=BB1362_139 Depth=1
                                        ; implicit-def: $vgpr32_vgpr33
                                        ; implicit-def: $vgpr34_vgpr35
	s_mov_b64 s[46:47], s[26:27]
	s_branch .LBB1362_138
.LBB1362_141:
	s_or_b64 exec, exec, s[42:43]
	v_cmp_gt_i64_e32 vcc, s[26:27], v[36:37]
	s_orn2_b64 s[40:41], vcc, exec
.LBB1362_142:
	s_or_b64 exec, exec, s[12:13]
.LBB1362_143:
	s_and_b64 s[12:13], s[40:41], exec
.LBB1362_144:
	s_or_b64 exec, exec, s[16:17]
	v_cmp_gt_u32_e32 vcc, s54, v44
	s_and_saveexec_b64 s[16:17], vcc
	s_cbranch_execz .LBB1362_155
; %bb.145:
	s_and_b64 vcc, exec, s[4:5]
	s_mov_b64 s[40:41], 0
	s_cbranch_vccnz .LBB1362_154
; %bb.146:
	v_mul_lo_u32 v34, v19, s26
	v_mul_lo_u32 v35, v18, s27
	v_mad_u64_u32 v[32:33], s[14:15], v18, s26, 0
	v_add3_u32 v33, v33, v35, v34
	v_mul_lo_u32 v34, v21, s26
	v_mul_lo_u32 v35, v20, s27
	v_mad_u64_u32 v[36:37], s[14:15], v20, s26, 0
	v_add3_u32 v37, v37, v35, v34
	v_lshl_add_u64 v[34:35], v[32:33], 1, s[36:37]
	v_lshl_add_u64 v[32:33], v[36:37], 1, s[36:37]
	global_load_ushort v36, v[34:35], off
	global_load_ushort v37, v[32:33], off
	s_mov_b64 s[40:41], -1
	s_waitcnt vmcnt(0)
	v_cmp_eq_f16_e32 vcc, v36, v37
	s_and_saveexec_b64 s[14:15], vcc
	s_cbranch_execz .LBB1362_153
; %bb.147:
	s_add_u32 s40, s26, -1
	v_lshl_add_u64 v[32:33], v[32:33], 0, 2
	v_lshl_add_u64 v[34:35], v[34:35], 0, 2
	s_addc_u32 s41, s27, -1
	s_mov_b64 s[42:43], 0
	s_mov_b64 s[46:47], 0
                                        ; implicit-def: $sgpr44_sgpr45
	s_branch .LBB1362_150
.LBB1362_148:                           ;   in Loop: Header=BB1362_150 Depth=1
	global_load_ushort v36, v[34:35], off
	global_load_ushort v37, v[32:33], off
	s_add_u32 s46, s46, 1
	s_addc_u32 s47, s47, 0
	s_andn2_b64 s[44:45], s[44:45], exec
	v_lshl_add_u64 v[32:33], v[32:33], 0, 2
	v_lshl_add_u64 v[34:35], v[34:35], 0, 2
	s_waitcnt vmcnt(0)
	v_cmp_neq_f16_e32 vcc, v36, v37
	s_and_b64 s[48:49], vcc, exec
	s_or_b64 s[44:45], s[44:45], s[48:49]
.LBB1362_149:                           ;   in Loop: Header=BB1362_150 Depth=1
	s_and_b64 s[48:49], exec, s[44:45]
	s_or_b64 s[42:43], s[48:49], s[42:43]
	v_mov_b64_e32 v[36:37], s[46:47]
	s_andn2_b64 exec, exec, s[42:43]
	s_cbranch_execz .LBB1362_152
.LBB1362_150:                           ; =>This Inner Loop Header: Depth=1
	s_or_b64 s[44:45], s[44:45], exec
	s_cmp_eq_u64 s[40:41], s[46:47]
	s_cbranch_scc0 .LBB1362_148
; %bb.151:                              ;   in Loop: Header=BB1362_150 Depth=1
                                        ; implicit-def: $vgpr32_vgpr33
                                        ; implicit-def: $vgpr34_vgpr35
	s_mov_b64 s[46:47], s[26:27]
	s_branch .LBB1362_149
.LBB1362_152:
	s_or_b64 exec, exec, s[42:43]
	v_cmp_gt_i64_e32 vcc, s[26:27], v[36:37]
	s_orn2_b64 s[40:41], vcc, exec
.LBB1362_153:
	s_or_b64 exec, exec, s[14:15]
.LBB1362_154:
	s_and_b64 s[14:15], s[40:41], exec
.LBB1362_155:
	s_or_b64 exec, exec, s[16:17]
	v_cmp_gt_u32_e32 vcc, s54, v40
	s_mov_b64 s[16:17], 0
	s_mov_b64 s[40:41], 0
	s_and_saveexec_b64 s[42:43], vcc
	s_cbranch_execz .LBB1362_166
; %bb.156:
	s_and_b64 vcc, exec, s[4:5]
	s_mov_b64 s[44:45], 0
	s_cbranch_vccnz .LBB1362_165
; %bb.157:
	v_mul_lo_u32 v34, v25, s26
	v_mul_lo_u32 v35, v24, s27
	v_mad_u64_u32 v[32:33], s[40:41], v24, s26, 0
	v_add3_u32 v33, v33, v35, v34
	v_mul_lo_u32 v34, v19, s26
	v_mul_lo_u32 v35, v18, s27
	v_mad_u64_u32 v[36:37], s[40:41], v18, s26, 0
	v_add3_u32 v37, v37, v35, v34
	v_lshl_add_u64 v[34:35], v[32:33], 1, s[36:37]
	v_lshl_add_u64 v[32:33], v[36:37], 1, s[36:37]
	global_load_ushort v36, v[34:35], off
	global_load_ushort v37, v[32:33], off
	s_mov_b64 s[44:45], -1
	s_waitcnt vmcnt(0)
	v_cmp_eq_f16_e32 vcc, v36, v37
	s_and_saveexec_b64 s[40:41], vcc
	s_cbranch_execz .LBB1362_164
; %bb.158:
	s_add_u32 s44, s26, -1
	v_lshl_add_u64 v[32:33], v[32:33], 0, 2
	v_lshl_add_u64 v[34:35], v[34:35], 0, 2
	s_addc_u32 s45, s27, -1
	s_mov_b64 s[46:47], 0
	s_mov_b64 s[50:51], 0
                                        ; implicit-def: $sgpr48_sgpr49
	s_branch .LBB1362_161
.LBB1362_159:                           ;   in Loop: Header=BB1362_161 Depth=1
	global_load_ushort v36, v[34:35], off
	global_load_ushort v37, v[32:33], off
	s_add_u32 s50, s50, 1
	s_addc_u32 s51, s51, 0
	s_andn2_b64 s[48:49], s[48:49], exec
	v_lshl_add_u64 v[32:33], v[32:33], 0, 2
	v_lshl_add_u64 v[34:35], v[34:35], 0, 2
	s_waitcnt vmcnt(0)
	v_cmp_neq_f16_e32 vcc, v36, v37
	s_and_b64 s[52:53], vcc, exec
	s_or_b64 s[48:49], s[48:49], s[52:53]
.LBB1362_160:                           ;   in Loop: Header=BB1362_161 Depth=1
	s_and_b64 s[52:53], exec, s[48:49]
	s_or_b64 s[46:47], s[52:53], s[46:47]
	v_mov_b64_e32 v[36:37], s[50:51]
	s_andn2_b64 exec, exec, s[46:47]
	s_cbranch_execz .LBB1362_163
.LBB1362_161:                           ; =>This Inner Loop Header: Depth=1
	s_or_b64 s[48:49], s[48:49], exec
	s_cmp_eq_u64 s[44:45], s[50:51]
	s_cbranch_scc0 .LBB1362_159
; %bb.162:                              ;   in Loop: Header=BB1362_161 Depth=1
                                        ; implicit-def: $vgpr32_vgpr33
                                        ; implicit-def: $vgpr34_vgpr35
	s_mov_b64 s[50:51], s[26:27]
	s_branch .LBB1362_160
.LBB1362_163:
	s_or_b64 exec, exec, s[46:47]
	v_cmp_gt_i64_e32 vcc, s[26:27], v[36:37]
	s_orn2_b64 s[44:45], vcc, exec
.LBB1362_164:
	s_or_b64 exec, exec, s[40:41]
.LBB1362_165:
	s_and_b64 s[40:41], s[44:45], exec
.LBB1362_166:
	s_or_b64 exec, exec, s[42:43]
	v_cmp_gt_u32_e32 vcc, s54, v43
	s_and_saveexec_b64 s[42:43], vcc
	s_cbranch_execz .LBB1362_177
; %bb.167:
	s_and_b64 vcc, exec, s[4:5]
	s_mov_b64 s[44:45], 0
	s_cbranch_vccnz .LBB1362_176
; %bb.168:
	v_mul_lo_u32 v34, v23, s26
	v_mul_lo_u32 v35, v22, s27
	v_mad_u64_u32 v[32:33], s[16:17], v22, s26, 0
	v_add3_u32 v33, v33, v35, v34
	v_mul_lo_u32 v34, v25, s26
	v_mul_lo_u32 v35, v24, s27
	v_mad_u64_u32 v[36:37], s[16:17], v24, s26, 0
	v_add3_u32 v37, v37, v35, v34
	v_lshl_add_u64 v[34:35], v[32:33], 1, s[36:37]
	v_lshl_add_u64 v[32:33], v[36:37], 1, s[36:37]
	global_load_ushort v36, v[34:35], off
	global_load_ushort v37, v[32:33], off
	s_mov_b64 s[44:45], -1
	s_waitcnt vmcnt(0)
	v_cmp_eq_f16_e32 vcc, v36, v37
	s_and_saveexec_b64 s[16:17], vcc
	s_cbranch_execz .LBB1362_175
; %bb.169:
	s_add_u32 s44, s26, -1
	v_lshl_add_u64 v[32:33], v[32:33], 0, 2
	v_lshl_add_u64 v[34:35], v[34:35], 0, 2
	s_addc_u32 s45, s27, -1
	s_mov_b64 s[46:47], 0
	s_mov_b64 s[50:51], 0
                                        ; implicit-def: $sgpr48_sgpr49
	s_branch .LBB1362_172
.LBB1362_170:                           ;   in Loop: Header=BB1362_172 Depth=1
	global_load_ushort v36, v[34:35], off
	global_load_ushort v37, v[32:33], off
	s_add_u32 s50, s50, 1
	s_addc_u32 s51, s51, 0
	s_andn2_b64 s[48:49], s[48:49], exec
	v_lshl_add_u64 v[32:33], v[32:33], 0, 2
	v_lshl_add_u64 v[34:35], v[34:35], 0, 2
	s_waitcnt vmcnt(0)
	v_cmp_neq_f16_e32 vcc, v36, v37
	s_and_b64 s[52:53], vcc, exec
	s_or_b64 s[48:49], s[48:49], s[52:53]
.LBB1362_171:                           ;   in Loop: Header=BB1362_172 Depth=1
	s_and_b64 s[52:53], exec, s[48:49]
	s_or_b64 s[46:47], s[52:53], s[46:47]
	v_mov_b64_e32 v[36:37], s[50:51]
	s_andn2_b64 exec, exec, s[46:47]
	s_cbranch_execz .LBB1362_174
.LBB1362_172:                           ; =>This Inner Loop Header: Depth=1
	s_or_b64 s[48:49], s[48:49], exec
	s_cmp_eq_u64 s[44:45], s[50:51]
	s_cbranch_scc0 .LBB1362_170
; %bb.173:                              ;   in Loop: Header=BB1362_172 Depth=1
                                        ; implicit-def: $vgpr32_vgpr33
                                        ; implicit-def: $vgpr34_vgpr35
	s_mov_b64 s[50:51], s[26:27]
	s_branch .LBB1362_171
.LBB1362_174:
	s_or_b64 exec, exec, s[46:47]
	v_cmp_gt_i64_e32 vcc, s[26:27], v[36:37]
	s_orn2_b64 s[44:45], vcc, exec
.LBB1362_175:
	s_or_b64 exec, exec, s[16:17]
.LBB1362_176:
	s_and_b64 s[16:17], s[44:45], exec
.LBB1362_177:
	s_or_b64 exec, exec, s[42:43]
	s_waitcnt lgkmcnt(0)
	s_barrier
	s_and_saveexec_b64 s[42:43], s[2:3]
	s_cbranch_execz .LBB1362_179
; %bb.178:
	s_waitcnt vmcnt(0)
	v_add_u32_e32 v30, -8, v47
	ds_read_b64 v[30:31], v30
.LBB1362_179:
	s_or_b64 exec, exec, s[42:43]
	v_cndmask_b32_e64 v33, 0, 1, s[14:15]
	v_cndmask_b32_e64 v32, 0, 1, s[40:41]
	;; [unrolled: 1-line block ×3, first 2 shown]
	v_lshlrev_b16_e32 v33, 8, v33
	v_cmp_gt_u32_e32 vcc, s54, v1
	v_lshlrev_b16_e32 v36, 8, v34
	v_or_b32_sdwa v37, v32, v33 dst_sel:WORD_1 dst_unused:UNUSED_PAD src0_sel:DWORD src1_sel:DWORD
	s_mov_b64 s[14:15], 0
	s_and_saveexec_b64 s[16:17], vcc
	s_cbranch_execz .LBB1362_190
; %bb.180:
	s_and_b64 vcc, exec, s[4:5]
	s_cbranch_vccnz .LBB1362_189
; %bb.181:
	s_waitcnt vmcnt(0) lgkmcnt(0)
	v_mul_lo_u32 v32, v31, s26
	v_mul_lo_u32 v33, v30, s27
	v_mad_u64_u32 v[30:31], s[4:5], v30, s26, 0
	v_add3_u32 v31, v31, v33, v32
	v_mul_lo_u32 v32, v23, s26
	v_mul_lo_u32 v33, v22, s27
	v_mad_u64_u32 v[34:35], s[4:5], v22, s26, 0
	v_add3_u32 v35, v35, v33, v32
	v_lshl_add_u64 v[32:33], v[30:31], 1, s[36:37]
	v_lshl_add_u64 v[30:31], v[34:35], 1, s[36:37]
	global_load_ushort v34, v[32:33], off
	global_load_ushort v35, v[30:31], off
	s_mov_b64 s[14:15], -1
	s_waitcnt vmcnt(0)
	v_cmp_eq_f16_e32 vcc, v34, v35
	s_and_saveexec_b64 s[4:5], vcc
	s_cbranch_execz .LBB1362_188
; %bb.182:
	s_add_u32 s14, s26, -1
	v_lshl_add_u64 v[30:31], v[30:31], 0, 2
	v_lshl_add_u64 v[32:33], v[32:33], 0, 2
	s_addc_u32 s15, s27, -1
	s_mov_b64 s[40:41], 0
	s_mov_b64 s[44:45], 0
                                        ; implicit-def: $sgpr42_sgpr43
	s_branch .LBB1362_185
.LBB1362_183:                           ;   in Loop: Header=BB1362_185 Depth=1
	global_load_ushort v34, v[32:33], off
	global_load_ushort v35, v[30:31], off
	s_add_u32 s44, s44, 1
	s_addc_u32 s45, s45, 0
	s_andn2_b64 s[42:43], s[42:43], exec
	v_lshl_add_u64 v[30:31], v[30:31], 0, 2
	v_lshl_add_u64 v[32:33], v[32:33], 0, 2
	s_waitcnt vmcnt(0)
	v_cmp_neq_f16_e32 vcc, v34, v35
	s_and_b64 s[46:47], vcc, exec
	s_or_b64 s[42:43], s[42:43], s[46:47]
.LBB1362_184:                           ;   in Loop: Header=BB1362_185 Depth=1
	s_and_b64 s[46:47], exec, s[42:43]
	s_or_b64 s[40:41], s[46:47], s[40:41]
	v_mov_b64_e32 v[34:35], s[44:45]
	s_andn2_b64 exec, exec, s[40:41]
	s_cbranch_execz .LBB1362_187
.LBB1362_185:                           ; =>This Inner Loop Header: Depth=1
	s_or_b64 s[42:43], s[42:43], exec
	s_cmp_eq_u64 s[14:15], s[44:45]
	s_cbranch_scc0 .LBB1362_183
; %bb.186:                              ;   in Loop: Header=BB1362_185 Depth=1
                                        ; implicit-def: $vgpr30_vgpr31
                                        ; implicit-def: $vgpr32_vgpr33
	s_mov_b64 s[44:45], s[26:27]
	s_branch .LBB1362_184
.LBB1362_187:
	s_or_b64 exec, exec, s[40:41]
	v_cmp_gt_i64_e32 vcc, s[26:27], v[34:35]
	s_orn2_b64 s[14:15], vcc, exec
.LBB1362_188:
	s_or_b64 exec, exec, s[4:5]
.LBB1362_189:
	s_and_b64 s[14:15], s[14:15], exec
.LBB1362_190:
	s_or_b64 exec, exec, s[16:17]
	v_cndmask_b32_e64 v39, 0, 1, s[12:13]
	v_cndmask_b32_e64 v48, 0, 1, s[10:11]
	v_cndmask_b32_e64 v49, 0, 1, s[6:7]
	v_or_b32_e32 v34, v36, v37
.LBB1362_191:
	s_mov_b64 s[10:11], -1
	s_cbranch_execnz .LBB1362_50
.LBB1362_192:
	s_movk_i32 s4, 0xffd0
	v_mad_i32_i24 v38, v0, s4, v46
	s_mov_b64 s[12:13], 0
	v_cmp_gt_i64_e64 s[6:7], s[26:27], 0
	s_and_b64 vcc, exec, s[34:35]
	ds_write_b64 v38, v[28:29]
	s_cbranch_vccz .LBB1362_200
; %bb.193:
	v_mul_lo_u32 v32, v17, s26
	v_mul_lo_u32 v33, v16, s27
	s_waitcnt vmcnt(0) lgkmcnt(1)
	v_mad_u64_u32 v[30:31], s[4:5], v16, s26, 0
	v_add3_u32 v31, v31, v33, v32
	v_cndmask_b32_e64 v32, 0, 1, s[6:7]
	v_cmp_ne_u32_e64 s[4:5], 1, v32
	s_andn2_b64 vcc, exec, s[6:7]
	v_lshl_add_u64 v[30:31], v[30:31], 1, s[36:37]
	s_cbranch_vccnz .LBB1362_203
; %bb.194:
	v_mul_lo_u32 v34, v29, s26
	v_mul_lo_u32 v35, v28, s27
	v_mad_u64_u32 v[32:33], s[12:13], v28, s26, 0
	v_add3_u32 v33, v33, v35, v34
	v_lshl_add_u64 v[32:33], v[32:33], 1, s[36:37]
	global_load_ushort v34, v[30:31], off
	global_load_ushort v35, v[32:33], off
	s_mov_b64 s[12:13], -1
	s_waitcnt vmcnt(0)
	v_cmp_eq_f16_e32 vcc, v34, v35
	s_and_saveexec_b64 s[14:15], vcc
	s_cbranch_execz .LBB1362_202
; %bb.195:
	s_add_u32 s12, s26, -1
	v_lshl_add_u64 v[32:33], v[32:33], 0, 2
	v_lshl_add_u64 v[34:35], v[30:31], 0, 2
	s_addc_u32 s13, s27, -1
	s_mov_b64 s[16:17], 0
	s_mov_b64 s[42:43], 0
                                        ; implicit-def: $sgpr40_sgpr41
	s_branch .LBB1362_198
.LBB1362_196:                           ;   in Loop: Header=BB1362_198 Depth=1
	global_load_ushort v36, v[34:35], off
	global_load_ushort v37, v[32:33], off
	s_add_u32 s42, s42, 1
	s_addc_u32 s43, s43, 0
	s_andn2_b64 s[40:41], s[40:41], exec
	v_lshl_add_u64 v[32:33], v[32:33], 0, 2
	v_lshl_add_u64 v[34:35], v[34:35], 0, 2
	s_waitcnt vmcnt(0)
	v_cmp_neq_f16_e32 vcc, v36, v37
	s_and_b64 s[44:45], vcc, exec
	s_or_b64 s[40:41], s[40:41], s[44:45]
.LBB1362_197:                           ;   in Loop: Header=BB1362_198 Depth=1
	s_and_b64 s[44:45], exec, s[40:41]
	s_or_b64 s[16:17], s[44:45], s[16:17]
	v_mov_b64_e32 v[36:37], s[42:43]
	s_andn2_b64 exec, exec, s[16:17]
	s_cbranch_execz .LBB1362_201
.LBB1362_198:                           ; =>This Inner Loop Header: Depth=1
	s_or_b64 s[40:41], s[40:41], exec
	s_cmp_eq_u64 s[12:13], s[42:43]
	s_cbranch_scc0 .LBB1362_196
; %bb.199:                              ;   in Loop: Header=BB1362_198 Depth=1
                                        ; implicit-def: $vgpr32_vgpr33
                                        ; implicit-def: $vgpr34_vgpr35
	s_mov_b64 s[42:43], s[26:27]
	s_branch .LBB1362_197
.LBB1362_200:
                                        ; implicit-def: $sgpr14_sgpr15
                                        ; implicit-def: $vgpr49
                                        ; implicit-def: $vgpr48
                                        ; implicit-def: $vgpr39
                                        ; implicit-def: $vgpr34
                                        ; implicit-def: $vgpr30_vgpr31
	s_cbranch_execnz .LBB1362_260
	s_branch .LBB1362_340
.LBB1362_201:
	s_or_b64 exec, exec, s[16:17]
	v_cmp_gt_i64_e32 vcc, s[26:27], v[36:37]
	s_orn2_b64 s[12:13], vcc, exec
.LBB1362_202:
	s_or_b64 exec, exec, s[14:15]
.LBB1362_203:
	v_mul_lo_u32 v34, v15, s26
	v_mul_lo_u32 v35, v14, s27
	v_mad_u64_u32 v[32:33], s[14:15], v14, s26, 0
	v_add3_u32 v33, v33, v35, v34
	s_mov_b64 s[14:15], 0
	s_and_b64 vcc, exec, s[4:5]
	v_lshl_add_u64 v[32:33], v[32:33], 1, s[36:37]
	s_mov_b64 s[16:17], 0
	s_cbranch_vccnz .LBB1362_212
; %bb.204:
	global_load_ushort v34, v[32:33], off
	global_load_ushort v35, v[30:31], off
	s_mov_b64 s[16:17], -1
	s_waitcnt vmcnt(0)
	v_cmp_eq_f16_e32 vcc, v34, v35
	s_and_saveexec_b64 s[40:41], vcc
	s_cbranch_execz .LBB1362_211
; %bb.205:
	s_add_u32 s16, s26, -1
	v_lshl_add_u64 v[30:31], v[30:31], 0, 2
	v_lshl_add_u64 v[34:35], v[32:33], 0, 2
	s_addc_u32 s17, s27, -1
	s_mov_b64 s[42:43], 0
	s_mov_b64 s[46:47], 0
                                        ; implicit-def: $sgpr44_sgpr45
	s_branch .LBB1362_208
.LBB1362_206:                           ;   in Loop: Header=BB1362_208 Depth=1
	global_load_ushort v36, v[34:35], off
	global_load_ushort v37, v[30:31], off
	s_add_u32 s46, s46, 1
	s_addc_u32 s47, s47, 0
	s_andn2_b64 s[44:45], s[44:45], exec
	v_lshl_add_u64 v[30:31], v[30:31], 0, 2
	v_lshl_add_u64 v[34:35], v[34:35], 0, 2
	s_waitcnt vmcnt(0)
	v_cmp_neq_f16_e32 vcc, v36, v37
	s_and_b64 s[48:49], vcc, exec
	s_or_b64 s[44:45], s[44:45], s[48:49]
.LBB1362_207:                           ;   in Loop: Header=BB1362_208 Depth=1
	s_and_b64 s[48:49], exec, s[44:45]
	s_or_b64 s[42:43], s[48:49], s[42:43]
	v_mov_b64_e32 v[36:37], s[46:47]
	s_andn2_b64 exec, exec, s[42:43]
	s_cbranch_execz .LBB1362_210
.LBB1362_208:                           ; =>This Inner Loop Header: Depth=1
	s_or_b64 s[44:45], s[44:45], exec
	s_cmp_eq_u64 s[16:17], s[46:47]
	s_cbranch_scc0 .LBB1362_206
; %bb.209:                              ;   in Loop: Header=BB1362_208 Depth=1
                                        ; implicit-def: $vgpr30_vgpr31
                                        ; implicit-def: $vgpr34_vgpr35
	s_mov_b64 s[46:47], s[26:27]
	s_branch .LBB1362_207
.LBB1362_210:
	s_or_b64 exec, exec, s[42:43]
	v_cmp_gt_i64_e32 vcc, s[26:27], v[36:37]
	s_orn2_b64 s[16:17], vcc, exec
.LBB1362_211:
	s_or_b64 exec, exec, s[40:41]
.LBB1362_212:
	v_mul_lo_u32 v34, v21, s26
	v_mul_lo_u32 v35, v20, s27
	v_mad_u64_u32 v[30:31], s[40:41], v20, s26, 0
	v_add3_u32 v31, v31, v35, v34
	s_and_b64 vcc, exec, s[4:5]
	v_lshl_add_u64 v[30:31], v[30:31], 1, s[36:37]
	s_cbranch_vccnz .LBB1362_221
; %bb.213:
	global_load_ushort v34, v[30:31], off
	global_load_ushort v35, v[32:33], off
	s_mov_b64 s[14:15], -1
	s_waitcnt vmcnt(0)
	v_cmp_eq_f16_e32 vcc, v34, v35
	s_and_saveexec_b64 s[40:41], vcc
	s_cbranch_execz .LBB1362_220
; %bb.214:
	s_add_u32 s14, s26, -1
	v_lshl_add_u64 v[32:33], v[32:33], 0, 2
	v_lshl_add_u64 v[34:35], v[30:31], 0, 2
	s_addc_u32 s15, s27, -1
	s_mov_b64 s[42:43], 0
	s_mov_b64 s[46:47], 0
                                        ; implicit-def: $sgpr44_sgpr45
	s_branch .LBB1362_217
.LBB1362_215:                           ;   in Loop: Header=BB1362_217 Depth=1
	global_load_ushort v36, v[34:35], off
	global_load_ushort v37, v[32:33], off
	s_add_u32 s46, s46, 1
	s_addc_u32 s47, s47, 0
	s_andn2_b64 s[44:45], s[44:45], exec
	v_lshl_add_u64 v[32:33], v[32:33], 0, 2
	v_lshl_add_u64 v[34:35], v[34:35], 0, 2
	s_waitcnt vmcnt(0)
	v_cmp_neq_f16_e32 vcc, v36, v37
	s_and_b64 s[48:49], vcc, exec
	s_or_b64 s[44:45], s[44:45], s[48:49]
.LBB1362_216:                           ;   in Loop: Header=BB1362_217 Depth=1
	s_and_b64 s[48:49], exec, s[44:45]
	s_or_b64 s[42:43], s[48:49], s[42:43]
	v_mov_b64_e32 v[36:37], s[46:47]
	s_andn2_b64 exec, exec, s[42:43]
	s_cbranch_execz .LBB1362_219
.LBB1362_217:                           ; =>This Inner Loop Header: Depth=1
	s_or_b64 s[44:45], s[44:45], exec
	s_cmp_eq_u64 s[14:15], s[46:47]
	s_cbranch_scc0 .LBB1362_215
; %bb.218:                              ;   in Loop: Header=BB1362_217 Depth=1
                                        ; implicit-def: $vgpr32_vgpr33
                                        ; implicit-def: $vgpr34_vgpr35
	s_mov_b64 s[46:47], s[26:27]
	s_branch .LBB1362_216
.LBB1362_219:
	s_or_b64 exec, exec, s[42:43]
	v_cmp_gt_i64_e32 vcc, s[26:27], v[36:37]
	s_orn2_b64 s[14:15], vcc, exec
.LBB1362_220:
	s_or_b64 exec, exec, s[40:41]
.LBB1362_221:
	v_mul_lo_u32 v34, v19, s26
	v_mul_lo_u32 v35, v18, s27
	v_mad_u64_u32 v[32:33], s[40:41], v18, s26, 0
	v_add3_u32 v33, v33, v35, v34
	s_mov_b64 s[40:41], 0
	s_and_b64 vcc, exec, s[4:5]
	v_lshl_add_u64 v[32:33], v[32:33], 1, s[36:37]
	s_mov_b64 s[42:43], 0
	s_cbranch_vccnz .LBB1362_230
; %bb.222:
	global_load_ushort v34, v[32:33], off
	global_load_ushort v35, v[30:31], off
	s_mov_b64 s[42:43], -1
	s_waitcnt vmcnt(0)
	v_cmp_eq_f16_e32 vcc, v34, v35
	s_and_saveexec_b64 s[44:45], vcc
	s_cbranch_execz .LBB1362_229
; %bb.223:
	s_add_u32 s42, s26, -1
	v_lshl_add_u64 v[30:31], v[30:31], 0, 2
	v_lshl_add_u64 v[34:35], v[32:33], 0, 2
	s_addc_u32 s43, s27, -1
	s_mov_b64 s[46:47], 0
	s_mov_b64 s[50:51], 0
                                        ; implicit-def: $sgpr48_sgpr49
	s_branch .LBB1362_226
.LBB1362_224:                           ;   in Loop: Header=BB1362_226 Depth=1
	global_load_ushort v36, v[34:35], off
	global_load_ushort v37, v[30:31], off
	s_add_u32 s50, s50, 1
	s_addc_u32 s51, s51, 0
	s_andn2_b64 s[48:49], s[48:49], exec
	v_lshl_add_u64 v[30:31], v[30:31], 0, 2
	v_lshl_add_u64 v[34:35], v[34:35], 0, 2
	s_waitcnt vmcnt(0)
	v_cmp_neq_f16_e32 vcc, v36, v37
	s_and_b64 s[52:53], vcc, exec
	s_or_b64 s[48:49], s[48:49], s[52:53]
.LBB1362_225:                           ;   in Loop: Header=BB1362_226 Depth=1
	s_and_b64 s[52:53], exec, s[48:49]
	s_or_b64 s[46:47], s[52:53], s[46:47]
	v_mov_b64_e32 v[36:37], s[50:51]
	s_andn2_b64 exec, exec, s[46:47]
	s_cbranch_execz .LBB1362_228
.LBB1362_226:                           ; =>This Inner Loop Header: Depth=1
	s_or_b64 s[48:49], s[48:49], exec
	s_cmp_eq_u64 s[42:43], s[50:51]
	s_cbranch_scc0 .LBB1362_224
; %bb.227:                              ;   in Loop: Header=BB1362_226 Depth=1
                                        ; implicit-def: $vgpr30_vgpr31
                                        ; implicit-def: $vgpr34_vgpr35
	s_mov_b64 s[50:51], s[26:27]
	s_branch .LBB1362_225
.LBB1362_228:
	s_or_b64 exec, exec, s[46:47]
	v_cmp_gt_i64_e32 vcc, s[26:27], v[36:37]
	s_orn2_b64 s[42:43], vcc, exec
.LBB1362_229:
	s_or_b64 exec, exec, s[44:45]
.LBB1362_230:
	v_mul_lo_u32 v34, v25, s26
	v_mul_lo_u32 v35, v24, s27
	v_mad_u64_u32 v[30:31], s[44:45], v24, s26, 0
	v_add3_u32 v31, v31, v35, v34
	s_and_b64 vcc, exec, s[4:5]
	v_lshl_add_u64 v[30:31], v[30:31], 1, s[36:37]
	s_cbranch_vccnz .LBB1362_239
; %bb.231:
	global_load_ushort v34, v[30:31], off
	global_load_ushort v35, v[32:33], off
	s_mov_b64 s[40:41], -1
	s_waitcnt vmcnt(0)
	v_cmp_eq_f16_e32 vcc, v34, v35
	s_and_saveexec_b64 s[44:45], vcc
	s_cbranch_execz .LBB1362_238
; %bb.232:
	s_add_u32 s40, s26, -1
	v_lshl_add_u64 v[32:33], v[32:33], 0, 2
	v_lshl_add_u64 v[34:35], v[30:31], 0, 2
	s_addc_u32 s41, s27, -1
	s_mov_b64 s[46:47], 0
	s_mov_b64 s[50:51], 0
                                        ; implicit-def: $sgpr48_sgpr49
	s_branch .LBB1362_235
.LBB1362_233:                           ;   in Loop: Header=BB1362_235 Depth=1
	global_load_ushort v36, v[34:35], off
	global_load_ushort v37, v[32:33], off
	s_add_u32 s50, s50, 1
	s_addc_u32 s51, s51, 0
	s_andn2_b64 s[48:49], s[48:49], exec
	v_lshl_add_u64 v[32:33], v[32:33], 0, 2
	v_lshl_add_u64 v[34:35], v[34:35], 0, 2
	s_waitcnt vmcnt(0)
	v_cmp_neq_f16_e32 vcc, v36, v37
	s_and_b64 s[52:53], vcc, exec
	s_or_b64 s[48:49], s[48:49], s[52:53]
.LBB1362_234:                           ;   in Loop: Header=BB1362_235 Depth=1
	s_and_b64 s[52:53], exec, s[48:49]
	s_or_b64 s[46:47], s[52:53], s[46:47]
	v_mov_b64_e32 v[36:37], s[50:51]
	s_andn2_b64 exec, exec, s[46:47]
	s_cbranch_execz .LBB1362_237
.LBB1362_235:                           ; =>This Inner Loop Header: Depth=1
	s_or_b64 s[48:49], s[48:49], exec
	s_cmp_eq_u64 s[40:41], s[50:51]
	s_cbranch_scc0 .LBB1362_233
; %bb.236:                              ;   in Loop: Header=BB1362_235 Depth=1
                                        ; implicit-def: $vgpr32_vgpr33
                                        ; implicit-def: $vgpr34_vgpr35
	s_mov_b64 s[50:51], s[26:27]
	s_branch .LBB1362_234
.LBB1362_237:
	s_or_b64 exec, exec, s[46:47]
	v_cmp_gt_i64_e32 vcc, s[26:27], v[36:37]
	s_orn2_b64 s[40:41], vcc, exec
.LBB1362_238:
	s_or_b64 exec, exec, s[44:45]
.LBB1362_239:
	v_mul_lo_u32 v34, v23, s26
	v_mul_lo_u32 v35, v22, s27
	v_mad_u64_u32 v[32:33], s[44:45], v22, s26, 0
	v_add3_u32 v33, v33, v35, v34
	s_and_b64 vcc, exec, s[4:5]
	s_mov_b64 s[46:47], 0
	s_cbranch_vccnz .LBB1362_248
; %bb.240:
	v_lshl_add_u64 v[34:35], v[32:33], 1, s[36:37]
	global_load_ushort v36, v[34:35], off
	global_load_ushort v37, v[30:31], off
	s_mov_b64 s[46:47], -1
	s_waitcnt vmcnt(0)
	v_cmp_eq_f16_e32 vcc, v36, v37
	s_and_saveexec_b64 s[44:45], vcc
	s_cbranch_execz .LBB1362_247
; %bb.241:
	s_add_u32 s46, s26, -1
	v_lshl_add_u64 v[30:31], v[30:31], 0, 2
	v_lshl_add_u64 v[34:35], v[34:35], 0, 2
	s_addc_u32 s47, s27, -1
	s_mov_b64 s[48:49], 0
	s_mov_b64 s[52:53], 0
                                        ; implicit-def: $sgpr50_sgpr51
	s_branch .LBB1362_244
.LBB1362_242:                           ;   in Loop: Header=BB1362_244 Depth=1
	global_load_ushort v36, v[34:35], off
	global_load_ushort v37, v[30:31], off
	s_add_u32 s52, s52, 1
	s_addc_u32 s53, s53, 0
	s_andn2_b64 s[50:51], s[50:51], exec
	v_lshl_add_u64 v[30:31], v[30:31], 0, 2
	v_lshl_add_u64 v[34:35], v[34:35], 0, 2
	s_waitcnt vmcnt(0)
	v_cmp_neq_f16_e32 vcc, v36, v37
	s_and_b64 s[56:57], vcc, exec
	s_or_b64 s[50:51], s[50:51], s[56:57]
.LBB1362_243:                           ;   in Loop: Header=BB1362_244 Depth=1
	s_and_b64 s[56:57], exec, s[50:51]
	s_or_b64 s[48:49], s[56:57], s[48:49]
	v_mov_b64_e32 v[36:37], s[52:53]
	s_andn2_b64 exec, exec, s[48:49]
	s_cbranch_execz .LBB1362_246
.LBB1362_244:                           ; =>This Inner Loop Header: Depth=1
	s_or_b64 s[50:51], s[50:51], exec
	s_cmp_eq_u64 s[46:47], s[52:53]
	s_cbranch_scc0 .LBB1362_242
; %bb.245:                              ;   in Loop: Header=BB1362_244 Depth=1
                                        ; implicit-def: $vgpr30_vgpr31
                                        ; implicit-def: $vgpr34_vgpr35
	s_mov_b64 s[52:53], s[26:27]
	s_branch .LBB1362_243
.LBB1362_246:
	s_or_b64 exec, exec, s[48:49]
	v_cmp_gt_i64_e32 vcc, s[26:27], v[36:37]
	s_orn2_b64 s[46:47], vcc, exec
.LBB1362_247:
	s_or_b64 exec, exec, s[44:45]
.LBB1362_248:
	v_cndmask_b32_e64 v31, 0, 1, s[42:43]
	v_cndmask_b32_e64 v30, 0, 1, s[40:41]
	v_cndmask_b32_e64 v48, 0, 1, s[16:17]
	v_lshlrev_b16_e32 v31, 8, v31
	v_cndmask_b32_e64 v39, 0, 1, s[14:15]
	v_cndmask_b32_e64 v34, 0, 1, s[46:47]
	v_or_b32_sdwa v30, v30, v31 dst_sel:WORD_1 dst_unused:UNUSED_PAD src0_sel:DWORD src1_sel:DWORD
	v_lshlrev_b16_e32 v31, 8, v48
	v_lshlrev_b16_e32 v34, 8, v34
	v_or_b32_e32 v31, v39, v31
	v_or_b32_e32 v34, 1, v34
	v_and_b32_e32 v31, 0xffff, v31
	v_cndmask_b32_e64 v49, 0, 1, s[12:13]
	v_or_b32_sdwa v30, v34, v30 dst_sel:DWORD dst_unused:UNUSED_PAD src0_sel:WORD_0 src1_sel:DWORD
	v_lshl_or_b32 v31, v49, 16, v31
	s_waitcnt lgkmcnt(0)
	s_barrier
	s_waitcnt lgkmcnt(0)
                                        ; implicit-def: $sgpr14_sgpr15
                                        ; implicit-def: $vgpr34
	s_and_saveexec_b64 s[12:13], s[2:3]
	s_xor_b64 s[12:13], exec, s[12:13]
	s_cbranch_execz .LBB1362_259
; %bb.249:
	s_mov_b32 s44, 0x3020104
	s_and_b64 vcc, exec, s[4:5]
	s_mov_b64 s[14:15], 0
	s_cbranch_vccnz .LBB1362_258
; %bb.250:
	v_add_u32_e32 v31, -8, v38
	ds_read_b64 v[34:35], v31
	v_lshl_add_u64 v[32:33], v[32:33], 1, s[36:37]
	s_mov_b64 s[14:15], -1
	s_waitcnt lgkmcnt(0)
	v_mul_lo_u32 v31, v35, s26
	v_mul_lo_u32 v36, v34, s27
	v_mad_u64_u32 v[34:35], s[4:5], v34, s26, 0
	v_add3_u32 v35, v35, v36, v31
	v_lshl_add_u64 v[34:35], v[34:35], 1, s[36:37]
	global_load_ushort v31, v[34:35], off
	global_load_ushort v36, v[32:33], off
	s_waitcnt vmcnt(0)
	v_cmp_eq_f16_e32 vcc, v31, v36
	s_and_saveexec_b64 s[4:5], vcc
	s_cbranch_execz .LBB1362_257
; %bb.251:
	s_add_u32 s14, s26, -1
	v_lshl_add_u64 v[32:33], v[32:33], 0, 2
	v_lshl_add_u64 v[34:35], v[34:35], 0, 2
	s_addc_u32 s15, s27, -1
	s_mov_b64 s[16:17], 0
	s_mov_b64 s[42:43], 0
                                        ; implicit-def: $sgpr40_sgpr41
	s_branch .LBB1362_254
.LBB1362_252:                           ;   in Loop: Header=BB1362_254 Depth=1
	global_load_ushort v31, v[34:35], off
	global_load_ushort v36, v[32:33], off
	s_add_u32 s42, s42, 1
	s_addc_u32 s43, s43, 0
	s_andn2_b64 s[40:41], s[40:41], exec
	v_lshl_add_u64 v[32:33], v[32:33], 0, 2
	v_lshl_add_u64 v[34:35], v[34:35], 0, 2
	s_waitcnt vmcnt(0)
	v_cmp_neq_f16_e32 vcc, v31, v36
	s_and_b64 s[46:47], vcc, exec
	s_or_b64 s[40:41], s[40:41], s[46:47]
.LBB1362_253:                           ;   in Loop: Header=BB1362_254 Depth=1
	s_and_b64 s[46:47], exec, s[40:41]
	s_or_b64 s[16:17], s[46:47], s[16:17]
	v_mov_b64_e32 v[36:37], s[42:43]
	s_andn2_b64 exec, exec, s[16:17]
	s_cbranch_execz .LBB1362_256
.LBB1362_254:                           ; =>This Inner Loop Header: Depth=1
	s_or_b64 s[40:41], s[40:41], exec
	s_cmp_eq_u64 s[14:15], s[42:43]
	s_cbranch_scc0 .LBB1362_252
; %bb.255:                              ;   in Loop: Header=BB1362_254 Depth=1
                                        ; implicit-def: $vgpr32_vgpr33
                                        ; implicit-def: $vgpr34_vgpr35
	s_mov_b64 s[42:43], s[26:27]
	s_branch .LBB1362_253
.LBB1362_256:
	s_or_b64 exec, exec, s[16:17]
	v_cmp_gt_i64_e32 vcc, s[26:27], v[36:37]
	s_orn2_b64 s[14:15], vcc, exec
.LBB1362_257:
	s_or_b64 exec, exec, s[4:5]
.LBB1362_258:
	v_perm_b32 v34, v30, v30, s44
	s_and_b64 s[14:15], s[14:15], exec
	s_or_b64 s[10:11], s[10:11], exec
                                        ; implicit-def: $vgpr30_vgpr31
.LBB1362_259:
	s_or_b64 exec, exec, s[12:13]
	s_branch .LBB1362_340
.LBB1362_260:
	v_cmp_gt_u32_e32 vcc, s54, v42
	s_mov_b64 s[12:13], 0
	s_mov_b64 s[4:5], 0
	s_and_saveexec_b64 s[14:15], vcc
	s_cbranch_execz .LBB1362_271
; %bb.261:
	s_andn2_b64 vcc, exec, s[6:7]
	s_mov_b64 s[16:17], 0
	s_cbranch_vccnz .LBB1362_270
; %bb.262:
	v_mul_lo_u32 v32, v17, s26
	v_mul_lo_u32 v33, v16, s27
	s_waitcnt vmcnt(0) lgkmcnt(1)
	v_mad_u64_u32 v[30:31], s[4:5], v16, s26, 0
	v_add3_u32 v31, v31, v33, v32
	v_mul_lo_u32 v32, v29, s26
	v_mul_lo_u32 v33, v28, s27
	v_mad_u64_u32 v[34:35], s[4:5], v28, s26, 0
	v_add3_u32 v35, v35, v33, v32
	v_lshl_add_u64 v[32:33], v[30:31], 1, s[36:37]
	v_lshl_add_u64 v[30:31], v[34:35], 1, s[36:37]
	global_load_ushort v34, v[32:33], off
	global_load_ushort v35, v[30:31], off
	s_mov_b64 s[16:17], -1
	s_waitcnt vmcnt(0)
	v_cmp_eq_f16_e32 vcc, v34, v35
	s_and_saveexec_b64 s[4:5], vcc
	s_cbranch_execz .LBB1362_269
; %bb.263:
	s_add_u32 s16, s26, -1
	v_lshl_add_u64 v[30:31], v[30:31], 0, 2
	v_lshl_add_u64 v[32:33], v[32:33], 0, 2
	s_addc_u32 s17, s27, -1
	s_mov_b64 s[40:41], 0
	s_mov_b64 s[44:45], 0
                                        ; implicit-def: $sgpr42_sgpr43
	s_branch .LBB1362_266
.LBB1362_264:                           ;   in Loop: Header=BB1362_266 Depth=1
	global_load_ushort v34, v[32:33], off
	global_load_ushort v35, v[30:31], off
	s_add_u32 s44, s44, 1
	s_addc_u32 s45, s45, 0
	s_andn2_b64 s[42:43], s[42:43], exec
	v_lshl_add_u64 v[30:31], v[30:31], 0, 2
	v_lshl_add_u64 v[32:33], v[32:33], 0, 2
	s_waitcnt vmcnt(0)
	v_cmp_neq_f16_e32 vcc, v34, v35
	s_and_b64 s[46:47], vcc, exec
	s_or_b64 s[42:43], s[42:43], s[46:47]
.LBB1362_265:                           ;   in Loop: Header=BB1362_266 Depth=1
	s_and_b64 s[46:47], exec, s[42:43]
	s_or_b64 s[40:41], s[46:47], s[40:41]
	v_mov_b64_e32 v[34:35], s[44:45]
	s_andn2_b64 exec, exec, s[40:41]
	s_cbranch_execz .LBB1362_268
.LBB1362_266:                           ; =>This Inner Loop Header: Depth=1
	s_or_b64 s[42:43], s[42:43], exec
	s_cmp_eq_u64 s[16:17], s[44:45]
	s_cbranch_scc0 .LBB1362_264
; %bb.267:                              ;   in Loop: Header=BB1362_266 Depth=1
                                        ; implicit-def: $vgpr30_vgpr31
                                        ; implicit-def: $vgpr32_vgpr33
	s_mov_b64 s[44:45], s[26:27]
	s_branch .LBB1362_265
.LBB1362_268:
	s_or_b64 exec, exec, s[40:41]
	v_cmp_gt_i64_e32 vcc, s[26:27], v[34:35]
	s_orn2_b64 s[16:17], vcc, exec
.LBB1362_269:
	s_or_b64 exec, exec, s[4:5]
.LBB1362_270:
	s_and_b64 s[4:5], s[16:17], exec
.LBB1362_271:
	s_or_b64 exec, exec, s[14:15]
	v_cmp_gt_u32_e32 vcc, s54, v45
	s_and_saveexec_b64 s[14:15], vcc
	s_cbranch_execz .LBB1362_282
; %bb.272:
	s_andn2_b64 vcc, exec, s[6:7]
	s_mov_b64 s[16:17], 0
	s_cbranch_vccnz .LBB1362_281
; %bb.273:
	v_mul_lo_u32 v32, v15, s26
	v_mul_lo_u32 v33, v14, s27
	s_waitcnt vmcnt(0) lgkmcnt(1)
	v_mad_u64_u32 v[30:31], s[12:13], v14, s26, 0
	v_add3_u32 v31, v31, v33, v32
	v_mul_lo_u32 v32, v17, s26
	v_mul_lo_u32 v33, v16, s27
	v_mad_u64_u32 v[34:35], s[12:13], v16, s26, 0
	v_add3_u32 v35, v35, v33, v32
	v_lshl_add_u64 v[32:33], v[30:31], 1, s[36:37]
	v_lshl_add_u64 v[30:31], v[34:35], 1, s[36:37]
	global_load_ushort v34, v[32:33], off
	global_load_ushort v35, v[30:31], off
	s_mov_b64 s[16:17], -1
	s_waitcnt vmcnt(0)
	v_cmp_eq_f16_e32 vcc, v34, v35
	s_and_saveexec_b64 s[12:13], vcc
	s_cbranch_execz .LBB1362_280
; %bb.274:
	s_add_u32 s16, s26, -1
	v_lshl_add_u64 v[30:31], v[30:31], 0, 2
	v_lshl_add_u64 v[32:33], v[32:33], 0, 2
	s_addc_u32 s17, s27, -1
	s_mov_b64 s[40:41], 0
	s_mov_b64 s[44:45], 0
                                        ; implicit-def: $sgpr42_sgpr43
	s_branch .LBB1362_277
.LBB1362_275:                           ;   in Loop: Header=BB1362_277 Depth=1
	global_load_ushort v34, v[32:33], off
	global_load_ushort v35, v[30:31], off
	s_add_u32 s44, s44, 1
	s_addc_u32 s45, s45, 0
	s_andn2_b64 s[42:43], s[42:43], exec
	v_lshl_add_u64 v[30:31], v[30:31], 0, 2
	v_lshl_add_u64 v[32:33], v[32:33], 0, 2
	s_waitcnt vmcnt(0)
	v_cmp_neq_f16_e32 vcc, v34, v35
	s_and_b64 s[46:47], vcc, exec
	s_or_b64 s[42:43], s[42:43], s[46:47]
.LBB1362_276:                           ;   in Loop: Header=BB1362_277 Depth=1
	s_and_b64 s[46:47], exec, s[42:43]
	s_or_b64 s[40:41], s[46:47], s[40:41]
	v_mov_b64_e32 v[34:35], s[44:45]
	s_andn2_b64 exec, exec, s[40:41]
	s_cbranch_execz .LBB1362_279
.LBB1362_277:                           ; =>This Inner Loop Header: Depth=1
	s_or_b64 s[42:43], s[42:43], exec
	s_cmp_eq_u64 s[16:17], s[44:45]
	s_cbranch_scc0 .LBB1362_275
; %bb.278:                              ;   in Loop: Header=BB1362_277 Depth=1
                                        ; implicit-def: $vgpr30_vgpr31
                                        ; implicit-def: $vgpr32_vgpr33
	s_mov_b64 s[44:45], s[26:27]
	s_branch .LBB1362_276
.LBB1362_279:
	s_or_b64 exec, exec, s[40:41]
	v_cmp_gt_i64_e32 vcc, s[26:27], v[34:35]
	s_orn2_b64 s[16:17], vcc, exec
.LBB1362_280:
	s_or_b64 exec, exec, s[12:13]
.LBB1362_281:
	s_and_b64 s[12:13], s[16:17], exec
.LBB1362_282:
	s_or_b64 exec, exec, s[14:15]
	v_cmp_gt_u32_e32 vcc, s54, v41
	s_mov_b64 s[16:17], 0
	s_mov_b64 s[14:15], 0
	s_and_saveexec_b64 s[40:41], vcc
	s_cbranch_execz .LBB1362_293
; %bb.283:
	s_andn2_b64 vcc, exec, s[6:7]
	s_mov_b64 s[42:43], 0
	s_cbranch_vccnz .LBB1362_292
; %bb.284:
	v_mul_lo_u32 v32, v21, s26
	v_mul_lo_u32 v33, v20, s27
	s_waitcnt vmcnt(0) lgkmcnt(1)
	v_mad_u64_u32 v[30:31], s[14:15], v20, s26, 0
	v_add3_u32 v31, v31, v33, v32
	v_mul_lo_u32 v32, v15, s26
	v_mul_lo_u32 v33, v14, s27
	v_mad_u64_u32 v[34:35], s[14:15], v14, s26, 0
	v_add3_u32 v35, v35, v33, v32
	v_lshl_add_u64 v[32:33], v[30:31], 1, s[36:37]
	v_lshl_add_u64 v[30:31], v[34:35], 1, s[36:37]
	global_load_ushort v34, v[32:33], off
	global_load_ushort v35, v[30:31], off
	s_mov_b64 s[42:43], -1
	s_waitcnt vmcnt(0)
	v_cmp_eq_f16_e32 vcc, v34, v35
	s_and_saveexec_b64 s[14:15], vcc
	s_cbranch_execz .LBB1362_291
; %bb.285:
	s_add_u32 s42, s26, -1
	v_lshl_add_u64 v[30:31], v[30:31], 0, 2
	v_lshl_add_u64 v[32:33], v[32:33], 0, 2
	s_addc_u32 s43, s27, -1
	s_mov_b64 s[44:45], 0
	s_mov_b64 s[48:49], 0
                                        ; implicit-def: $sgpr46_sgpr47
	s_branch .LBB1362_288
.LBB1362_286:                           ;   in Loop: Header=BB1362_288 Depth=1
	global_load_ushort v34, v[32:33], off
	global_load_ushort v35, v[30:31], off
	s_add_u32 s48, s48, 1
	s_addc_u32 s49, s49, 0
	s_andn2_b64 s[46:47], s[46:47], exec
	v_lshl_add_u64 v[30:31], v[30:31], 0, 2
	v_lshl_add_u64 v[32:33], v[32:33], 0, 2
	s_waitcnt vmcnt(0)
	v_cmp_neq_f16_e32 vcc, v34, v35
	s_and_b64 s[50:51], vcc, exec
	s_or_b64 s[46:47], s[46:47], s[50:51]
.LBB1362_287:                           ;   in Loop: Header=BB1362_288 Depth=1
	s_and_b64 s[50:51], exec, s[46:47]
	s_or_b64 s[44:45], s[50:51], s[44:45]
	v_mov_b64_e32 v[34:35], s[48:49]
	s_andn2_b64 exec, exec, s[44:45]
	s_cbranch_execz .LBB1362_290
.LBB1362_288:                           ; =>This Inner Loop Header: Depth=1
	s_or_b64 s[46:47], s[46:47], exec
	s_cmp_eq_u64 s[42:43], s[48:49]
	s_cbranch_scc0 .LBB1362_286
; %bb.289:                              ;   in Loop: Header=BB1362_288 Depth=1
                                        ; implicit-def: $vgpr30_vgpr31
                                        ; implicit-def: $vgpr32_vgpr33
	s_mov_b64 s[48:49], s[26:27]
	s_branch .LBB1362_287
.LBB1362_290:
	s_or_b64 exec, exec, s[44:45]
	v_cmp_gt_i64_e32 vcc, s[26:27], v[34:35]
	s_orn2_b64 s[42:43], vcc, exec
.LBB1362_291:
	s_or_b64 exec, exec, s[14:15]
.LBB1362_292:
	s_and_b64 s[14:15], s[42:43], exec
.LBB1362_293:
	s_or_b64 exec, exec, s[40:41]
	v_cmp_gt_u32_e32 vcc, s54, v44
	s_and_saveexec_b64 s[40:41], vcc
	s_cbranch_execz .LBB1362_304
; %bb.294:
	s_andn2_b64 vcc, exec, s[6:7]
	s_mov_b64 s[42:43], 0
	s_cbranch_vccnz .LBB1362_303
; %bb.295:
	v_mul_lo_u32 v32, v19, s26
	v_mul_lo_u32 v33, v18, s27
	s_waitcnt vmcnt(0) lgkmcnt(1)
	v_mad_u64_u32 v[30:31], s[16:17], v18, s26, 0
	v_add3_u32 v31, v31, v33, v32
	v_mul_lo_u32 v32, v21, s26
	v_mul_lo_u32 v33, v20, s27
	v_mad_u64_u32 v[34:35], s[16:17], v20, s26, 0
	v_add3_u32 v35, v35, v33, v32
	v_lshl_add_u64 v[32:33], v[30:31], 1, s[36:37]
	v_lshl_add_u64 v[30:31], v[34:35], 1, s[36:37]
	global_load_ushort v34, v[32:33], off
	global_load_ushort v35, v[30:31], off
	s_mov_b64 s[42:43], -1
	s_waitcnt vmcnt(0)
	v_cmp_eq_f16_e32 vcc, v34, v35
	s_and_saveexec_b64 s[16:17], vcc
	s_cbranch_execz .LBB1362_302
; %bb.296:
	s_add_u32 s42, s26, -1
	v_lshl_add_u64 v[30:31], v[30:31], 0, 2
	v_lshl_add_u64 v[32:33], v[32:33], 0, 2
	s_addc_u32 s43, s27, -1
	s_mov_b64 s[44:45], 0
	s_mov_b64 s[48:49], 0
                                        ; implicit-def: $sgpr46_sgpr47
	s_branch .LBB1362_299
.LBB1362_297:                           ;   in Loop: Header=BB1362_299 Depth=1
	global_load_ushort v34, v[32:33], off
	global_load_ushort v35, v[30:31], off
	s_add_u32 s48, s48, 1
	s_addc_u32 s49, s49, 0
	s_andn2_b64 s[46:47], s[46:47], exec
	v_lshl_add_u64 v[30:31], v[30:31], 0, 2
	v_lshl_add_u64 v[32:33], v[32:33], 0, 2
	s_waitcnt vmcnt(0)
	v_cmp_neq_f16_e32 vcc, v34, v35
	s_and_b64 s[50:51], vcc, exec
	s_or_b64 s[46:47], s[46:47], s[50:51]
.LBB1362_298:                           ;   in Loop: Header=BB1362_299 Depth=1
	s_and_b64 s[50:51], exec, s[46:47]
	s_or_b64 s[44:45], s[50:51], s[44:45]
	v_mov_b64_e32 v[34:35], s[48:49]
	s_andn2_b64 exec, exec, s[44:45]
	s_cbranch_execz .LBB1362_301
.LBB1362_299:                           ; =>This Inner Loop Header: Depth=1
	s_or_b64 s[46:47], s[46:47], exec
	s_cmp_eq_u64 s[42:43], s[48:49]
	s_cbranch_scc0 .LBB1362_297
; %bb.300:                              ;   in Loop: Header=BB1362_299 Depth=1
                                        ; implicit-def: $vgpr30_vgpr31
                                        ; implicit-def: $vgpr32_vgpr33
	s_mov_b64 s[48:49], s[26:27]
	s_branch .LBB1362_298
.LBB1362_301:
	s_or_b64 exec, exec, s[44:45]
	v_cmp_gt_i64_e32 vcc, s[26:27], v[34:35]
	s_orn2_b64 s[42:43], vcc, exec
.LBB1362_302:
	s_or_b64 exec, exec, s[16:17]
.LBB1362_303:
	s_and_b64 s[16:17], s[42:43], exec
.LBB1362_304:
	s_or_b64 exec, exec, s[40:41]
	v_cmp_gt_u32_e32 vcc, s54, v40
	s_mov_b64 s[40:41], 0
	s_mov_b64 s[42:43], 0
	s_and_saveexec_b64 s[44:45], vcc
	s_cbranch_execz .LBB1362_315
; %bb.305:
	s_andn2_b64 vcc, exec, s[6:7]
	s_mov_b64 s[46:47], 0
	s_cbranch_vccnz .LBB1362_314
; %bb.306:
	v_mul_lo_u32 v32, v25, s26
	v_mul_lo_u32 v33, v24, s27
	s_waitcnt vmcnt(0) lgkmcnt(1)
	v_mad_u64_u32 v[30:31], s[42:43], v24, s26, 0
	v_add3_u32 v31, v31, v33, v32
	v_mul_lo_u32 v32, v19, s26
	v_mul_lo_u32 v33, v18, s27
	v_mad_u64_u32 v[34:35], s[42:43], v18, s26, 0
	v_add3_u32 v35, v35, v33, v32
	v_lshl_add_u64 v[32:33], v[30:31], 1, s[36:37]
	v_lshl_add_u64 v[30:31], v[34:35], 1, s[36:37]
	global_load_ushort v34, v[32:33], off
	global_load_ushort v35, v[30:31], off
	s_mov_b64 s[46:47], -1
	s_waitcnt vmcnt(0)
	v_cmp_eq_f16_e32 vcc, v34, v35
	s_and_saveexec_b64 s[42:43], vcc
	s_cbranch_execz .LBB1362_313
; %bb.307:
	s_add_u32 s46, s26, -1
	v_lshl_add_u64 v[30:31], v[30:31], 0, 2
	v_lshl_add_u64 v[32:33], v[32:33], 0, 2
	s_addc_u32 s47, s27, -1
	s_mov_b64 s[48:49], 0
	s_mov_b64 s[52:53], 0
                                        ; implicit-def: $sgpr50_sgpr51
	s_branch .LBB1362_310
.LBB1362_308:                           ;   in Loop: Header=BB1362_310 Depth=1
	global_load_ushort v34, v[32:33], off
	global_load_ushort v35, v[30:31], off
	s_add_u32 s52, s52, 1
	s_addc_u32 s53, s53, 0
	s_andn2_b64 s[50:51], s[50:51], exec
	v_lshl_add_u64 v[30:31], v[30:31], 0, 2
	v_lshl_add_u64 v[32:33], v[32:33], 0, 2
	s_waitcnt vmcnt(0)
	v_cmp_neq_f16_e32 vcc, v34, v35
	s_and_b64 s[56:57], vcc, exec
	s_or_b64 s[50:51], s[50:51], s[56:57]
.LBB1362_309:                           ;   in Loop: Header=BB1362_310 Depth=1
	s_and_b64 s[56:57], exec, s[50:51]
	s_or_b64 s[48:49], s[56:57], s[48:49]
	v_mov_b64_e32 v[34:35], s[52:53]
	s_andn2_b64 exec, exec, s[48:49]
	s_cbranch_execz .LBB1362_312
.LBB1362_310:                           ; =>This Inner Loop Header: Depth=1
	s_or_b64 s[50:51], s[50:51], exec
	s_cmp_eq_u64 s[46:47], s[52:53]
	s_cbranch_scc0 .LBB1362_308
; %bb.311:                              ;   in Loop: Header=BB1362_310 Depth=1
                                        ; implicit-def: $vgpr30_vgpr31
                                        ; implicit-def: $vgpr32_vgpr33
	s_mov_b64 s[52:53], s[26:27]
	s_branch .LBB1362_309
.LBB1362_312:
	s_or_b64 exec, exec, s[48:49]
	v_cmp_gt_i64_e32 vcc, s[26:27], v[34:35]
	s_orn2_b64 s[46:47], vcc, exec
.LBB1362_313:
	s_or_b64 exec, exec, s[42:43]
.LBB1362_314:
	s_and_b64 s[42:43], s[46:47], exec
.LBB1362_315:
	s_or_b64 exec, exec, s[44:45]
	v_cmp_gt_u32_e32 vcc, s54, v43
	s_and_saveexec_b64 s[44:45], vcc
	s_cbranch_execz .LBB1362_326
; %bb.316:
	s_andn2_b64 vcc, exec, s[6:7]
	s_mov_b64 s[46:47], 0
	s_cbranch_vccnz .LBB1362_325
; %bb.317:
	v_mul_lo_u32 v32, v23, s26
	v_mul_lo_u32 v33, v22, s27
	s_waitcnt vmcnt(0) lgkmcnt(1)
	v_mad_u64_u32 v[30:31], s[40:41], v22, s26, 0
	v_add3_u32 v31, v31, v33, v32
	v_mul_lo_u32 v32, v25, s26
	v_mul_lo_u32 v33, v24, s27
	v_mad_u64_u32 v[34:35], s[40:41], v24, s26, 0
	v_add3_u32 v35, v35, v33, v32
	v_lshl_add_u64 v[32:33], v[30:31], 1, s[36:37]
	v_lshl_add_u64 v[30:31], v[34:35], 1, s[36:37]
	global_load_ushort v34, v[32:33], off
	global_load_ushort v35, v[30:31], off
	s_mov_b64 s[46:47], -1
	s_waitcnt vmcnt(0)
	v_cmp_eq_f16_e32 vcc, v34, v35
	s_and_saveexec_b64 s[40:41], vcc
	s_cbranch_execz .LBB1362_324
; %bb.318:
	s_add_u32 s46, s26, -1
	v_lshl_add_u64 v[30:31], v[30:31], 0, 2
	v_lshl_add_u64 v[32:33], v[32:33], 0, 2
	s_addc_u32 s47, s27, -1
	s_mov_b64 s[48:49], 0
	s_mov_b64 s[52:53], 0
                                        ; implicit-def: $sgpr50_sgpr51
	s_branch .LBB1362_321
.LBB1362_319:                           ;   in Loop: Header=BB1362_321 Depth=1
	global_load_ushort v34, v[32:33], off
	global_load_ushort v35, v[30:31], off
	s_add_u32 s52, s52, 1
	s_addc_u32 s53, s53, 0
	s_andn2_b64 s[50:51], s[50:51], exec
	v_lshl_add_u64 v[30:31], v[30:31], 0, 2
	v_lshl_add_u64 v[32:33], v[32:33], 0, 2
	s_waitcnt vmcnt(0)
	v_cmp_neq_f16_e32 vcc, v34, v35
	s_and_b64 s[56:57], vcc, exec
	s_or_b64 s[50:51], s[50:51], s[56:57]
.LBB1362_320:                           ;   in Loop: Header=BB1362_321 Depth=1
	s_and_b64 s[56:57], exec, s[50:51]
	s_or_b64 s[48:49], s[56:57], s[48:49]
	v_mov_b64_e32 v[34:35], s[52:53]
	s_andn2_b64 exec, exec, s[48:49]
	s_cbranch_execz .LBB1362_323
.LBB1362_321:                           ; =>This Inner Loop Header: Depth=1
	s_or_b64 s[50:51], s[50:51], exec
	s_cmp_eq_u64 s[46:47], s[52:53]
	s_cbranch_scc0 .LBB1362_319
; %bb.322:                              ;   in Loop: Header=BB1362_321 Depth=1
                                        ; implicit-def: $vgpr30_vgpr31
                                        ; implicit-def: $vgpr32_vgpr33
	s_mov_b64 s[52:53], s[26:27]
	s_branch .LBB1362_320
.LBB1362_323:
	s_or_b64 exec, exec, s[48:49]
	v_cmp_gt_i64_e32 vcc, s[26:27], v[34:35]
	s_orn2_b64 s[46:47], vcc, exec
.LBB1362_324:
	s_or_b64 exec, exec, s[40:41]
.LBB1362_325:
	s_and_b64 s[40:41], s[46:47], exec
.LBB1362_326:
	s_or_b64 exec, exec, s[44:45]
	s_waitcnt vmcnt(0) lgkmcnt(1)
	v_cndmask_b32_e64 v31, 0, 1, s[16:17]
	v_cndmask_b32_e64 v30, 0, 1, s[42:43]
	;; [unrolled: 1-line block ×3, first 2 shown]
	v_lshlrev_b16_e32 v31, 8, v31
	v_cndmask_b32_e64 v39, 0, 1, s[14:15]
	v_cndmask_b32_e64 v32, 0, 1, s[40:41]
	v_or_b32_sdwa v30, v30, v31 dst_sel:WORD_1 dst_unused:UNUSED_PAD src0_sel:DWORD src1_sel:DWORD
	v_lshlrev_b16_e32 v31, 8, v48
	v_lshlrev_b16_e32 v32, 8, v32
	v_or_b32_e32 v31, v39, v31
	v_or_b32_e32 v32, 1, v32
	v_and_b32_e32 v31, 0xffff, v31
	v_cndmask_b32_e64 v49, 0, 1, s[4:5]
	v_or_b32_sdwa v30, v32, v30 dst_sel:DWORD dst_unused:UNUSED_PAD src0_sel:WORD_0 src1_sel:DWORD
	v_lshl_or_b32 v31, v49, 16, v31
	s_waitcnt lgkmcnt(0)
	s_barrier
	s_waitcnt lgkmcnt(0)
                                        ; implicit-def: $sgpr14_sgpr15
                                        ; implicit-def: $vgpr34
	s_and_saveexec_b64 s[4:5], s[2:3]
	s_cbranch_execz .LBB1362_339
; %bb.327:
	v_cmp_gt_u32_e32 vcc, s54, v1
	s_mov_b32 s40, 0x3020104
	s_mov_b64 s[12:13], 0
	s_and_saveexec_b64 s[2:3], vcc
	s_cbranch_execz .LBB1362_338
; %bb.328:
	s_andn2_b64 vcc, exec, s[6:7]
	s_cbranch_vccnz .LBB1362_337
; %bb.329:
	v_add_u32_e32 v31, -8, v38
	ds_read_b64 v[32:33], v31
	v_mul_lo_u32 v31, v23, s26
	v_mad_u64_u32 v[36:37], s[6:7], v22, s26, 0
	s_mov_b64 s[12:13], -1
	s_waitcnt lgkmcnt(0)
	v_mul_lo_u32 v34, v33, s26
	v_mul_lo_u32 v35, v32, s27
	v_mad_u64_u32 v[32:33], s[6:7], v32, s26, 0
	v_add3_u32 v33, v33, v35, v34
	v_mul_lo_u32 v34, v22, s27
	v_add3_u32 v37, v37, v34, v31
	v_lshl_add_u64 v[34:35], v[32:33], 1, s[36:37]
	v_lshl_add_u64 v[32:33], v[36:37], 1, s[36:37]
	global_load_ushort v31, v[34:35], off
	global_load_ushort v36, v[32:33], off
	s_waitcnt vmcnt(0)
	v_cmp_eq_f16_e32 vcc, v31, v36
	s_and_saveexec_b64 s[6:7], vcc
	s_cbranch_execz .LBB1362_336
; %bb.330:
	s_add_u32 s12, s26, -1
	v_lshl_add_u64 v[32:33], v[32:33], 0, 2
	v_lshl_add_u64 v[34:35], v[34:35], 0, 2
	s_addc_u32 s13, s27, -1
	s_mov_b64 s[14:15], 0
	s_mov_b64 s[36:37], 0
                                        ; implicit-def: $sgpr16_sgpr17
	s_branch .LBB1362_333
.LBB1362_331:                           ;   in Loop: Header=BB1362_333 Depth=1
	global_load_ushort v31, v[34:35], off
	global_load_ushort v36, v[32:33], off
	s_add_u32 s36, s36, 1
	s_addc_u32 s37, s37, 0
	s_andn2_b64 s[16:17], s[16:17], exec
	v_lshl_add_u64 v[32:33], v[32:33], 0, 2
	v_lshl_add_u64 v[34:35], v[34:35], 0, 2
	s_waitcnt vmcnt(0)
	v_cmp_neq_f16_e32 vcc, v31, v36
	s_and_b64 s[42:43], vcc, exec
	s_or_b64 s[16:17], s[16:17], s[42:43]
.LBB1362_332:                           ;   in Loop: Header=BB1362_333 Depth=1
	s_and_b64 s[42:43], exec, s[16:17]
	s_or_b64 s[14:15], s[42:43], s[14:15]
	v_mov_b64_e32 v[36:37], s[36:37]
	s_andn2_b64 exec, exec, s[14:15]
	s_cbranch_execz .LBB1362_335
.LBB1362_333:                           ; =>This Inner Loop Header: Depth=1
	s_or_b64 s[16:17], s[16:17], exec
	s_cmp_eq_u64 s[12:13], s[36:37]
	s_cbranch_scc0 .LBB1362_331
; %bb.334:                              ;   in Loop: Header=BB1362_333 Depth=1
                                        ; implicit-def: $vgpr32_vgpr33
                                        ; implicit-def: $vgpr34_vgpr35
	s_mov_b64 s[36:37], s[26:27]
	s_branch .LBB1362_332
.LBB1362_335:
	s_or_b64 exec, exec, s[14:15]
	v_cmp_gt_i64_e32 vcc, s[26:27], v[36:37]
	s_orn2_b64 s[12:13], vcc, exec
.LBB1362_336:
	s_or_b64 exec, exec, s[6:7]
.LBB1362_337:
	s_and_b64 s[12:13], s[12:13], exec
.LBB1362_338:
	s_or_b64 exec, exec, s[2:3]
	v_perm_b32 v34, v30, v30, s40
	s_and_b64 s[14:15], s[12:13], exec
	s_or_b64 s[10:11], s[10:11], exec
                                        ; implicit-def: $vgpr30_vgpr31
.LBB1362_339:
	s_or_b64 exec, exec, s[4:5]
.LBB1362_340:
	s_and_saveexec_b64 s[2:3], s[10:11]
	s_cbranch_execz .LBB1362_342
; %bb.341:
	s_waitcnt vmcnt(0) lgkmcnt(0)
	v_lshlrev_b16_e32 v31, 8, v48
	v_and_b32_e32 v32, 0xff, v49
	v_or_b32_sdwa v31, v39, v31 dst_sel:DWORD dst_unused:UNUSED_PAD src0_sel:BYTE_0 src1_sel:DWORD
	v_lshlrev_b32_e32 v32, 16, v32
	s_movk_i32 s4, 0xff
	v_or_b32_sdwa v31, v31, v32 dst_sel:DWORD dst_unused:UNUSED_PAD src0_sel:WORD_0 src1_sel:DWORD
	v_lshrrev_b32_e32 v32, 24, v34
	v_lshlrev_b16_e32 v32, 8, v32
	v_and_b32_sdwa v33, v34, s4 dst_sel:DWORD dst_unused:UNUSED_PAD src0_sel:WORD_1 src1_sel:DWORD
	v_or_b32_sdwa v32, v33, v32 dst_sel:WORD_1 dst_unused:UNUSED_PAD src0_sel:DWORD src1_sel:DWORD
	v_mov_b32_e32 v33, 8
	v_cndmask_b32_e64 v30, 0, 1, s[14:15]
	v_lshrrev_b32_sdwa v33, v33, v34 dst_sel:BYTE_1 dst_unused:UNUSED_PAD src0_sel:DWORD src1_sel:DWORD
	s_nop 0
	v_or_b32_e32 v30, v30, v33
	v_or_b32_sdwa v30, v30, v32 dst_sel:DWORD dst_unused:UNUSED_PAD src0_sel:WORD_0 src1_sel:DWORD
.LBB1362_342:
	s_or_b64 exec, exec, s[2:3]
	s_andn2_b64 vcc, exec, s[8:9]
	s_cbranch_vccnz .LBB1362_344
; %bb.343:
	s_waitcnt vmcnt(0) lgkmcnt(0)
	v_and_b32_e32 v32, 0xffff0000, v30
	v_cmp_gt_u32_e32 vcc, s54, v1
	s_mov_b32 s2, 0x40c0100
	s_nop 0
	v_cndmask_b32_e32 v1, v32, v30, vcc
	v_and_b32_e32 v1, 0xffff00ff, v1
	v_cmp_gt_u32_e32 vcc, s54, v43
	s_nop 1
	v_cndmask_b32_e32 v1, v1, v30, vcc
	v_lshrrev_b32_e32 v32, 24, v1
	v_perm_b32 v1, v32, v1, s2
	v_cmp_gt_u32_e32 vcc, s54, v40
	v_and_b32_e32 v32, 0xffffff00, v31
	s_nop 0
	v_cndmask_b32_e32 v1, v1, v30, vcc
	v_and_b32_e32 v1, 0xffffff, v1
	v_cmp_gt_u32_e32 vcc, s54, v44
	s_nop 1
	v_cndmask_b32_e32 v1, v1, v30, vcc
	v_cmp_gt_u32_e32 vcc, s54, v41
	s_nop 1
	v_cndmask_b32_e32 v32, v32, v31, vcc
	v_and_b32_e32 v32, 0xffff00ff, v32
	v_cndmask_b32_e32 v1, v1, v30, vcc
	v_cmp_gt_u32_e32 vcc, s54, v45
	s_nop 1
	v_cndmask_b32_e32 v32, v32, v31, vcc
	v_lshrrev_b32_e32 v33, 24, v32
	v_cndmask_b32_e32 v1, v1, v30, vcc
	v_perm_b32 v32, v33, v32, s2
	v_cmp_gt_u32_e32 vcc, s54, v42
	s_mov_b32 s2, 0x3020104
	s_nop 0
	v_cndmask_b32_e32 v1, v1, v30, vcc
	v_cndmask_b32_e32 v30, v32, v31, vcc
	v_mov_b32_e32 v31, 8
	v_lshrrev_b32_sdwa v31, v31, v30 dst_sel:BYTE_1 dst_unused:UNUSED_PAD src0_sel:DWORD src1_sel:DWORD
	s_nop 0
	v_or_b32_sdwa v31, v30, v31 dst_sel:DWORD dst_unused:UNUSED_PAD src0_sel:BYTE_0 src1_sel:DWORD
	v_and_b32_e32 v31, 0xffff, v31
	v_bfe_u32 v30, v30, 16, 8
	v_lshl_or_b32 v31, v30, 16, v31
	v_perm_b32 v30, v1, v1, s2
.LBB1362_344:
	s_waitcnt vmcnt(0) lgkmcnt(0)
	v_and_b32_e32 v1, 0xff, v30
	v_bfe_u32 v43, v30, 8, 8
	v_bfe_u32 v45, v30, 16, 8
	v_alignbit_b32 v32, v31, v30, 24
	v_and_b32_e32 v47, 0xff, v32
	v_and_b32_e32 v48, 0xff, v31
	v_add3_u32 v33, v43, v1, v45
	v_bfe_u32 v49, v31, 8, 8
	v_bfe_u32 v32, v31, 16, 8
	v_add3_u32 v33, v33, v47, v48
	v_add3_u32 v52, v33, v49, v32
	v_mbcnt_lo_u32_b32 v32, -1, 0
	v_mbcnt_hi_u32_b32 v50, -1, v32
	v_and_b32_e32 v32, 15, v50
	v_cmp_eq_u32_e64 s[14:15], 0, v32
	v_cmp_lt_u32_e64 s[12:13], 1, v32
	v_cmp_lt_u32_e64 s[10:11], 3, v32
	;; [unrolled: 1-line block ×3, first 2 shown]
	v_and_b32_e32 v32, 16, v50
	v_cmp_eq_u32_e64 s[6:7], 0, v32
	v_or_b32_e32 v32, 63, v0
	v_cmp_lt_u32_e64 s[2:3], 31, v50
	v_lshrrev_b32_e32 v51, 6, v0
	v_cmp_eq_u32_e64 s[4:5], v32, v0
	s_and_b64 vcc, exec, s[0:1]
	s_barrier
	s_cbranch_vccz .LBB1362_371
; %bb.345:
	v_mov_b32_dpp v32, v52 row_shr:1 row_mask:0xf bank_mask:0xf
	v_cndmask_b32_e64 v32, v32, 0, s[14:15]
	v_add_u32_e32 v32, v32, v52
	s_nop 1
	v_mov_b32_dpp v33, v32 row_shr:2 row_mask:0xf bank_mask:0xf
	v_cndmask_b32_e64 v33, 0, v33, s[12:13]
	v_add_u32_e32 v32, v32, v33
	s_nop 1
	;; [unrolled: 4-line block ×4, first 2 shown]
	v_mov_b32_dpp v33, v32 row_bcast:15 row_mask:0xf bank_mask:0xf
	v_cndmask_b32_e64 v33, v33, 0, s[6:7]
	v_add_u32_e32 v32, v32, v33
	s_nop 1
	v_mov_b32_dpp v33, v32 row_bcast:31 row_mask:0xf bank_mask:0xf
	v_cndmask_b32_e64 v33, 0, v33, s[2:3]
	v_add_u32_e32 v32, v32, v33
	s_and_saveexec_b64 s[0:1], s[4:5]
	s_cbranch_execz .LBB1362_347
; %bb.346:
	v_lshlrev_b32_e32 v33, 2, v51
	ds_write_b32 v33, v32
.LBB1362_347:
	s_or_b64 exec, exec, s[0:1]
	v_cmp_gt_u32_e32 vcc, 8, v0
	s_waitcnt lgkmcnt(0)
	s_barrier
	s_and_saveexec_b64 s[0:1], vcc
	s_cbranch_execz .LBB1362_349
; %bb.348:
	v_lshlrev_b32_e32 v33, 2, v0
	ds_read_b32 v34, v33
	v_and_b32_e32 v35, 7, v50
	v_cmp_ne_u32_e32 vcc, 0, v35
	s_waitcnt lgkmcnt(0)
	v_mov_b32_dpp v36, v34 row_shr:1 row_mask:0xf bank_mask:0xf
	v_cndmask_b32_e32 v36, 0, v36, vcc
	v_add_u32_e32 v34, v36, v34
	v_cmp_lt_u32_e32 vcc, 1, v35
	s_nop 0
	v_mov_b32_dpp v36, v34 row_shr:2 row_mask:0xf bank_mask:0xf
	v_cndmask_b32_e32 v36, 0, v36, vcc
	v_add_u32_e32 v34, v34, v36
	v_cmp_lt_u32_e32 vcc, 3, v35
	s_nop 0
	v_mov_b32_dpp v36, v34 row_shr:4 row_mask:0xf bank_mask:0xf
	v_cndmask_b32_e32 v35, 0, v36, vcc
	v_add_u32_e32 v34, v34, v35
	ds_write_b32 v33, v34
.LBB1362_349:
	s_or_b64 exec, exec, s[0:1]
	v_cmp_gt_u32_e32 vcc, 64, v0
	v_cmp_lt_u32_e64 s[0:1], 63, v0
	s_waitcnt lgkmcnt(0)
	s_barrier
	s_waitcnt lgkmcnt(0)
                                        ; implicit-def: $vgpr42
	s_and_saveexec_b64 s[16:17], s[0:1]
	s_cbranch_execz .LBB1362_351
; %bb.350:
	v_lshl_add_u32 v33, v51, 2, -4
	ds_read_b32 v42, v33
	s_waitcnt lgkmcnt(0)
	v_add_u32_e32 v32, v42, v32
.LBB1362_351:
	s_or_b64 exec, exec, s[16:17]
	v_add_u32_e32 v33, -1, v50
	v_and_b32_e32 v34, 64, v50
	v_cmp_lt_i32_e64 s[0:1], v33, v34
	v_cmp_eq_u32_e64 s[16:17], 0, v50
	s_nop 0
	v_cndmask_b32_e64 v33, v33, v50, s[0:1]
	v_lshlrev_b32_e32 v33, 2, v33
	ds_bpermute_b32 v44, v33, v32
	s_and_saveexec_b64 s[0:1], vcc
	s_cbranch_execz .LBB1362_370
; %bb.352:
	v_mov_b32_e32 v39, 0
	ds_read_b32 v32, v39 offset:28
	s_and_saveexec_b64 s[26:27], s[16:17]
	s_cbranch_execz .LBB1362_354
; %bb.353:
	s_add_i32 s36, s33, 64
	s_mov_b32 s37, 0
	s_lshl_b64 s[36:37], s[36:37], 3
	s_add_u32 s36, s38, s36
	v_mov_b32_e32 v33, 1
	s_addc_u32 s37, s39, s37
	s_waitcnt lgkmcnt(0)
	global_store_dwordx2 v39, v[32:33], s[36:37] sc1
.LBB1362_354:
	s_or_b64 exec, exec, s[26:27]
	v_xad_u32 v34, v50, -1, s33
	v_add_u32_e32 v38, 64, v34
	v_lshl_add_u64 v[40:41], v[38:39], 3, s[38:39]
	global_load_dwordx2 v[36:37], v[40:41], off sc1
	s_waitcnt vmcnt(0)
	v_cmp_eq_u16_sdwa s[36:37], v37, v39 src0_sel:BYTE_0 src1_sel:DWORD
	s_and_saveexec_b64 s[26:27], s[36:37]
	s_cbranch_execz .LBB1362_358
; %bb.355:
	s_mov_b64 s[36:37], 0
	v_mov_b32_e32 v33, 0
.LBB1362_356:                           ; =>This Inner Loop Header: Depth=1
	global_load_dwordx2 v[36:37], v[40:41], off sc1
	s_waitcnt vmcnt(0)
	v_cmp_ne_u16_sdwa s[40:41], v37, v33 src0_sel:BYTE_0 src1_sel:DWORD
	s_or_b64 s[36:37], s[40:41], s[36:37]
	s_andn2_b64 exec, exec, s[36:37]
	s_cbranch_execnz .LBB1362_356
; %bb.357:
	s_or_b64 exec, exec, s[36:37]
.LBB1362_358:
	s_or_b64 exec, exec, s[26:27]
	v_and_b32_e32 v46, 63, v50
	v_mov_b32_e32 v33, 2
	v_cmp_ne_u32_e32 vcc, 63, v46
	v_cmp_eq_u16_sdwa s[26:27], v37, v33 src0_sel:BYTE_0 src1_sel:DWORD
	v_lshlrev_b64 v[38:39], v50, -1
	v_addc_co_u32_e32 v41, vcc, 0, v50, vcc
	v_and_b32_e32 v35, s27, v39
	v_lshlrev_b32_e32 v53, 2, v41
	v_or_b32_e32 v35, 0x80000000, v35
	ds_bpermute_b32 v41, v53, v36
	v_and_b32_e32 v40, s26, v38
	v_ffbl_b32_e32 v35, v35
	v_add_u32_e32 v35, 32, v35
	v_ffbl_b32_e32 v40, v40
	v_min_u32_e32 v35, v40, v35
	v_cmp_lt_u32_e32 vcc, v46, v35
	v_add_u32_e32 v55, 2, v46
	v_add_u32_e32 v57, 4, v46
	s_waitcnt lgkmcnt(0)
	v_cndmask_b32_e32 v40, 0, v41, vcc
	v_cmp_gt_u32_e32 vcc, 62, v46
	v_add_u32_e32 v36, v40, v36
	v_add_u32_e32 v59, 8, v46
	v_cndmask_b32_e64 v40, 0, 1, vcc
	v_lshlrev_b32_e32 v40, 1, v40
	v_add_lshl_u32 v54, v40, v50, 2
	ds_bpermute_b32 v40, v54, v36
	v_cmp_le_u32_e32 vcc, v55, v35
	v_add_u32_e32 v62, 16, v46
	v_add_u32_e32 v64, 32, v46
	s_waitcnt lgkmcnt(0)
	v_cndmask_b32_e32 v40, 0, v40, vcc
	v_cmp_gt_u32_e32 vcc, 60, v46
	v_add_u32_e32 v36, v36, v40
	s_nop 0
	v_cndmask_b32_e64 v40, 0, 1, vcc
	v_lshlrev_b32_e32 v40, 2, v40
	v_add_lshl_u32 v56, v40, v50, 2
	ds_bpermute_b32 v40, v56, v36
	v_cmp_le_u32_e32 vcc, v57, v35
	s_waitcnt lgkmcnt(0)
	s_nop 0
	v_cndmask_b32_e32 v40, 0, v40, vcc
	v_cmp_gt_u32_e32 vcc, 56, v46
	v_add_u32_e32 v36, v36, v40
	s_nop 0
	v_cndmask_b32_e64 v40, 0, 1, vcc
	v_lshlrev_b32_e32 v40, 3, v40
	v_add_lshl_u32 v58, v40, v50, 2
	ds_bpermute_b32 v40, v58, v36
	v_cmp_le_u32_e32 vcc, v59, v35
	s_waitcnt lgkmcnt(0)
	s_nop 0
	;; [unrolled: 11-line block ×4, first 2 shown]
	v_cndmask_b32_e32 v35, 0, v40, vcc
	v_add_u32_e32 v36, v36, v35
	v_mov_b32_e32 v35, 0
	s_branch .LBB1362_360
.LBB1362_359:                           ;   in Loop: Header=BB1362_360 Depth=1
	s_or_b64 exec, exec, s[26:27]
	v_cmp_eq_u16_sdwa s[26:27], v37, v33 src0_sel:BYTE_0 src1_sel:DWORD
	ds_bpermute_b32 v65, v53, v36
	v_subrev_u32_e32 v34, 64, v34
	v_and_b32_e32 v40, s27, v39
	v_or_b32_e32 v40, 0x80000000, v40
	v_and_b32_e32 v41, s26, v38
	v_ffbl_b32_e32 v40, v40
	v_add_u32_e32 v40, 32, v40
	v_ffbl_b32_e32 v41, v41
	v_min_u32_e32 v40, v41, v40
	v_cmp_lt_u32_e32 vcc, v46, v40
	s_waitcnt lgkmcnt(0)
	s_nop 0
	v_cndmask_b32_e32 v41, 0, v65, vcc
	v_add_u32_e32 v36, v41, v36
	ds_bpermute_b32 v41, v54, v36
	v_cmp_le_u32_e32 vcc, v55, v40
	s_waitcnt lgkmcnt(0)
	s_nop 0
	v_cndmask_b32_e32 v41, 0, v41, vcc
	v_add_u32_e32 v36, v36, v41
	ds_bpermute_b32 v41, v56, v36
	v_cmp_le_u32_e32 vcc, v57, v40
	;; [unrolled: 6-line block ×5, first 2 shown]
	s_waitcnt lgkmcnt(0)
	s_nop 0
	v_cndmask_b32_e32 v40, 0, v41, vcc
	v_add3_u32 v36, v40, v60, v36
.LBB1362_360:                           ; =>This Loop Header: Depth=1
                                        ;     Child Loop BB1362_363 Depth 2
	v_cmp_ne_u16_sdwa s[26:27], v37, v33 src0_sel:BYTE_0 src1_sel:DWORD
	v_mov_b32_e32 v60, v36
	s_nop 0
	v_cndmask_b32_e64 v37, 0, 1, s[26:27]
	;;#ASMSTART
	;;#ASMEND
	s_nop 0
	v_cmp_ne_u32_e32 vcc, 0, v37
	s_cmp_lg_u64 vcc, exec
	s_cbranch_scc1 .LBB1362_365
; %bb.361:                              ;   in Loop: Header=BB1362_360 Depth=1
	v_lshl_add_u64 v[40:41], v[34:35], 3, s[38:39]
	global_load_dwordx2 v[36:37], v[40:41], off sc1
	s_waitcnt vmcnt(0)
	v_cmp_eq_u16_sdwa s[36:37], v37, v35 src0_sel:BYTE_0 src1_sel:DWORD
	s_and_saveexec_b64 s[26:27], s[36:37]
	s_cbranch_execz .LBB1362_359
; %bb.362:                              ;   in Loop: Header=BB1362_360 Depth=1
	s_mov_b64 s[36:37], 0
.LBB1362_363:                           ;   Parent Loop BB1362_360 Depth=1
                                        ; =>  This Inner Loop Header: Depth=2
	global_load_dwordx2 v[36:37], v[40:41], off sc1
	s_waitcnt vmcnt(0)
	v_cmp_ne_u16_sdwa s[40:41], v37, v35 src0_sel:BYTE_0 src1_sel:DWORD
	s_or_b64 s[36:37], s[40:41], s[36:37]
	s_andn2_b64 exec, exec, s[36:37]
	s_cbranch_execnz .LBB1362_363
; %bb.364:                              ;   in Loop: Header=BB1362_360 Depth=1
	s_or_b64 exec, exec, s[36:37]
	s_branch .LBB1362_359
.LBB1362_365:                           ;   in Loop: Header=BB1362_360 Depth=1
                                        ; implicit-def: $vgpr36
                                        ; implicit-def: $vgpr37
	s_cbranch_execz .LBB1362_360
; %bb.366:
	s_and_saveexec_b64 s[26:27], s[16:17]
	s_cbranch_execz .LBB1362_368
; %bb.367:
	s_add_i32 s36, s33, 64
	s_mov_b32 s37, 0
	s_lshl_b64 s[36:37], s[36:37], 3
	s_add_u32 s36, s38, s36
	v_add_u32_e32 v34, v60, v32
	v_mov_b32_e32 v35, 2
	s_addc_u32 s37, s39, s37
	v_mov_b32_e32 v33, 0
	s_movk_i32 s33, 0x7000
	global_store_dwordx2 v33, v[34:35], s[36:37] sc1
	v_add_u32_e64 v33, s33, 0
	ds_write2_b32 v33, v32, v60 offset1:2
.LBB1362_368:
	s_or_b64 exec, exec, s[26:27]
	s_and_b64 exec, exec, s[18:19]
	s_cbranch_execz .LBB1362_370
; %bb.369:
	v_mov_b32_e32 v32, 0
	ds_write_b32 v32, v60 offset:28
.LBB1362_370:
	s_or_b64 exec, exec, s[0:1]
	v_mov_b32_e32 v32, 0
	s_waitcnt lgkmcnt(0)
	s_barrier
	ds_read_b32 v32, v32 offset:28
	v_cndmask_b32_e64 v33, v44, v42, s[16:17]
	v_cndmask_b32_e64 v33, v33, 0, s[18:19]
	s_movk_i32 s0, 0x7000
	s_waitcnt lgkmcnt(0)
	v_add_u32_e32 v46, v32, v33
	v_add_u32_e64 v32, s0, 0
	v_add_u32_e32 v44, v46, v1
	s_barrier
	ds_read2_b32 v[32:33], v32 offset1:2
	v_add_u32_e32 v42, v44, v43
	v_add_u32_e32 v40, v42, v45
	;; [unrolled: 1-line block ×5, first 2 shown]
	s_waitcnt lgkmcnt(0)
	v_readfirstlane_b32 s26, v32
	v_readfirstlane_b32 s16, v33
	v_lshrrev_b64 v[32:33], 24, v[30:31]
	s_branch .LBB1362_381
.LBB1362_371:
                                        ; implicit-def: $vgpr34
                                        ; implicit-def: $vgpr36
                                        ; implicit-def: $vgpr38
                                        ; implicit-def: $vgpr40
                                        ; implicit-def: $vgpr42
                                        ; implicit-def: $vgpr44
                                        ; implicit-def: $vgpr46
                                        ; implicit-def: $sgpr16
                                        ; implicit-def: $sgpr26
	v_lshrrev_b64 v[32:33], 24, v[30:31]
	s_cbranch_execz .LBB1362_381
; %bb.372:
	s_nop 0
	v_mov_b32_dpp v33, v52 row_shr:1 row_mask:0xf bank_mask:0xf
	v_cndmask_b32_e64 v33, v33, 0, s[14:15]
	v_add_u32_e32 v33, v33, v52
	s_nop 1
	v_mov_b32_dpp v34, v33 row_shr:2 row_mask:0xf bank_mask:0xf
	v_cndmask_b32_e64 v34, 0, v34, s[12:13]
	v_add_u32_e32 v33, v33, v34
	;; [unrolled: 4-line block ×4, first 2 shown]
	s_nop 1
	v_mov_b32_dpp v34, v33 row_bcast:15 row_mask:0xf bank_mask:0xf
	v_cndmask_b32_e64 v34, v34, 0, s[6:7]
	v_add_u32_e32 v33, v33, v34
	s_nop 1
	v_mov_b32_dpp v34, v33 row_bcast:31 row_mask:0xf bank_mask:0xf
	v_cndmask_b32_e64 v34, 0, v34, s[2:3]
	v_add_u32_e32 v33, v33, v34
	s_and_saveexec_b64 s[0:1], s[4:5]
	s_cbranch_execz .LBB1362_374
; %bb.373:
	v_lshlrev_b32_e32 v34, 2, v51
	ds_write_b32 v34, v33
.LBB1362_374:
	s_or_b64 exec, exec, s[0:1]
	v_cmp_gt_u32_e32 vcc, 8, v0
	s_waitcnt lgkmcnt(0)
	s_barrier
	s_and_saveexec_b64 s[0:1], vcc
	s_cbranch_execz .LBB1362_376
; %bb.375:
	v_lshlrev_b32_e32 v34, 2, v0
	ds_read_b32 v35, v34
	v_and_b32_e32 v36, 7, v50
	v_cmp_ne_u32_e32 vcc, 0, v36
	s_waitcnt lgkmcnt(0)
	v_mov_b32_dpp v37, v35 row_shr:1 row_mask:0xf bank_mask:0xf
	v_cndmask_b32_e32 v37, 0, v37, vcc
	v_add_u32_e32 v35, v37, v35
	v_cmp_lt_u32_e32 vcc, 1, v36
	s_nop 0
	v_mov_b32_dpp v37, v35 row_shr:2 row_mask:0xf bank_mask:0xf
	v_cndmask_b32_e32 v37, 0, v37, vcc
	v_add_u32_e32 v35, v35, v37
	v_cmp_lt_u32_e32 vcc, 3, v36
	s_nop 0
	v_mov_b32_dpp v37, v35 row_shr:4 row_mask:0xf bank_mask:0xf
	v_cndmask_b32_e32 v36, 0, v37, vcc
	v_add_u32_e32 v35, v35, v36
	ds_write_b32 v34, v35
.LBB1362_376:
	s_or_b64 exec, exec, s[0:1]
	v_cmp_lt_u32_e32 vcc, 63, v0
	v_mov_b32_e32 v35, 0
	v_mov_b32_e32 v34, 0
	s_waitcnt lgkmcnt(0)
	s_barrier
	s_and_saveexec_b64 s[0:1], vcc
	s_cbranch_execz .LBB1362_378
; %bb.377:
	v_lshl_add_u32 v34, v51, 2, -4
	ds_read_b32 v34, v34
.LBB1362_378:
	s_or_b64 exec, exec, s[0:1]
	v_add_u32_e32 v36, -1, v50
	v_and_b32_e32 v37, 64, v50
	v_cmp_lt_i32_e32 vcc, v36, v37
	s_waitcnt lgkmcnt(0)
	v_add_u32_e32 v33, v34, v33
	ds_read_b32 v35, v35 offset:28
	v_cndmask_b32_e32 v36, v36, v50, vcc
	v_lshlrev_b32_e32 v36, 2, v36
	ds_bpermute_b32 v33, v36, v33
	s_waitcnt lgkmcnt(1)
	v_readfirstlane_b32 s26, v35
	s_and_saveexec_b64 s[0:1], s[18:19]
	s_cbranch_execz .LBB1362_380
; %bb.379:
	v_mov_b32_e32 v35, 0
	v_mov_b32_e32 v36, s26
	;; [unrolled: 1-line block ×3, first 2 shown]
	global_store_dwordx2 v35, v[36:37], s[38:39] offset:512 sc1
.LBB1362_380:
	s_or_b64 exec, exec, s[0:1]
	v_cmp_eq_u32_e32 vcc, 0, v50
	s_mov_b32 s16, 0
	s_waitcnt lgkmcnt(0)
	v_cndmask_b32_e32 v33, v33, v34, vcc
	v_cndmask_b32_e64 v46, v33, 0, s[18:19]
	v_add_u32_e32 v44, v46, v1
	v_add_u32_e32 v42, v44, v43
	;; [unrolled: 1-line block ×6, first 2 shown]
	s_barrier
.LBB1362_381:
	s_cmpk_lt_u32 s26, 0x201
	s_cselect_b64 s[2:3], -1, 0
	v_lshrrev_b32_e32 v33, 8, v30
	v_lshrrev_b32_e32 v1, 8, v31
	s_mov_b64 s[0:1], -1
	s_and_b64 vcc, exec, s[2:3]
	s_cbranch_vccz .LBB1362_404
; %bb.382:
	s_add_i32 s4, s16, s26
	v_cmp_gt_u32_e32 vcc, s4, v46
	s_or_b64 s[6:7], s[34:35], vcc
	s_and_saveexec_b64 s[0:1], s[6:7]
	s_cbranch_execz .LBB1362_385
; %bb.383:
	v_and_b32_e32 v35, 1, v30
	v_cmp_eq_u32_e32 vcc, 1, v35
	s_and_b64 exec, exec, vcc
	s_cbranch_execz .LBB1362_385
; %bb.384:
	s_lshl_b64 s[6:7], s[22:23], 3
	s_add_u32 s6, s28, s6
	s_addc_u32 s7, s29, s7
	v_mov_b32_e32 v47, 0
	v_lshl_add_u64 v[48:49], v[46:47], 3, s[6:7]
	global_store_dwordx2 v[48:49], v[22:23], off
.LBB1362_385:
	s_or_b64 exec, exec, s[0:1]
	v_cmp_gt_u32_e32 vcc, s4, v44
	s_or_b64 s[6:7], s[34:35], vcc
	s_and_saveexec_b64 s[0:1], s[6:7]
	s_cbranch_execz .LBB1362_388
; %bb.386:
	v_and_b32_e32 v35, 1, v33
	v_cmp_eq_u32_e32 vcc, 1, v35
	s_and_b64 exec, exec, vcc
	s_cbranch_execz .LBB1362_388
; %bb.387:
	s_lshl_b64 s[6:7], s[22:23], 3
	s_add_u32 s6, s28, s6
	s_addc_u32 s7, s29, s7
	v_mov_b32_e32 v45, 0
	v_lshl_add_u64 v[48:49], v[44:45], 3, s[6:7]
	global_store_dwordx2 v[48:49], v[24:25], off
.LBB1362_388:
	s_or_b64 exec, exec, s[0:1]
	v_cmp_gt_u32_e32 vcc, s4, v42
	s_or_b64 s[6:7], s[34:35], vcc
	s_and_saveexec_b64 s[0:1], s[6:7]
	s_cbranch_execz .LBB1362_391
; %bb.389:
	v_mov_b32_e32 v35, 1
	v_and_b32_sdwa v35, v35, v30 dst_sel:DWORD dst_unused:UNUSED_PAD src0_sel:DWORD src1_sel:WORD_1
	v_cmp_eq_u32_e32 vcc, 1, v35
	s_and_b64 exec, exec, vcc
	s_cbranch_execz .LBB1362_391
; %bb.390:
	s_lshl_b64 s[6:7], s[22:23], 3
	s_add_u32 s6, s28, s6
	s_addc_u32 s7, s29, s7
	v_mov_b32_e32 v43, 0
	v_lshl_add_u64 v[48:49], v[42:43], 3, s[6:7]
	global_store_dwordx2 v[48:49], v[18:19], off
.LBB1362_391:
	s_or_b64 exec, exec, s[0:1]
	v_cmp_gt_u32_e32 vcc, s4, v40
	s_or_b64 s[6:7], s[34:35], vcc
	s_and_saveexec_b64 s[0:1], s[6:7]
	s_cbranch_execz .LBB1362_394
; %bb.392:
	v_and_b32_e32 v35, 1, v32
	v_cmp_eq_u32_e32 vcc, 1, v35
	s_and_b64 exec, exec, vcc
	s_cbranch_execz .LBB1362_394
; %bb.393:
	s_lshl_b64 s[6:7], s[22:23], 3
	s_add_u32 s6, s28, s6
	s_addc_u32 s7, s29, s7
	v_mov_b32_e32 v41, 0
	v_lshl_add_u64 v[48:49], v[40:41], 3, s[6:7]
	global_store_dwordx2 v[48:49], v[20:21], off
.LBB1362_394:
	s_or_b64 exec, exec, s[0:1]
	v_cmp_gt_u32_e32 vcc, s4, v38
	s_or_b64 s[6:7], s[34:35], vcc
	s_and_saveexec_b64 s[0:1], s[6:7]
	s_cbranch_execz .LBB1362_397
; %bb.395:
	v_and_b32_e32 v35, 1, v31
	v_cmp_eq_u32_e32 vcc, 1, v35
	s_and_b64 exec, exec, vcc
	s_cbranch_execz .LBB1362_397
; %bb.396:
	s_lshl_b64 s[6:7], s[22:23], 3
	s_add_u32 s6, s28, s6
	s_addc_u32 s7, s29, s7
	v_mov_b32_e32 v39, 0
	v_lshl_add_u64 v[48:49], v[38:39], 3, s[6:7]
	global_store_dwordx2 v[48:49], v[14:15], off
.LBB1362_397:
	;; [unrolled: 18-line block ×3, first 2 shown]
	s_or_b64 exec, exec, s[0:1]
	v_cmp_gt_u32_e32 vcc, s4, v34
	s_or_b64 s[4:5], s[34:35], vcc
	s_and_saveexec_b64 s[0:1], s[4:5]
	s_cbranch_execz .LBB1362_403
; %bb.401:
	v_mov_b32_e32 v35, 1
	v_and_b32_sdwa v35, v35, v31 dst_sel:DWORD dst_unused:UNUSED_PAD src0_sel:DWORD src1_sel:WORD_1
	v_cmp_eq_u32_e32 vcc, 1, v35
	s_and_b64 exec, exec, vcc
	s_cbranch_execz .LBB1362_403
; %bb.402:
	s_lshl_b64 s[4:5], s[22:23], 3
	s_add_u32 s4, s28, s4
	s_addc_u32 s5, s29, s5
	v_mov_b32_e32 v35, 0
	v_lshl_add_u64 v[48:49], v[34:35], 3, s[4:5]
	global_store_dwordx2 v[48:49], v[28:29], off
.LBB1362_403:
	s_or_b64 exec, exec, s[0:1]
	s_mov_b64 s[0:1], 0
.LBB1362_404:
	v_and_b32_e32 v48, 1, v30
	s_and_b64 vcc, exec, s[0:1]
	v_cmp_eq_u32_e64 s[0:1], 1, v48
	s_cbranch_vccz .LBB1362_423
; %bb.405:
	s_and_saveexec_b64 s[4:5], s[0:1]
	s_cbranch_execz .LBB1362_407
; %bb.406:
	v_subrev_u32_e32 v35, s16, v46
	v_lshlrev_b32_e32 v35, 3, v35
	ds_write_b64 v35, v[22:23]
.LBB1362_407:
	s_or_b64 exec, exec, s[4:5]
	v_and_b32_e32 v22, 1, v33
	v_cmp_eq_u32_e32 vcc, 1, v22
	s_and_saveexec_b64 s[0:1], vcc
	s_cbranch_execz .LBB1362_409
; %bb.408:
	v_subrev_u32_e32 v22, s16, v44
	v_lshlrev_b32_e32 v22, 3, v22
	ds_write_b64 v22, v[24:25]
.LBB1362_409:
	s_or_b64 exec, exec, s[0:1]
	v_mov_b32_e32 v22, 1
	v_and_b32_sdwa v22, v22, v30 dst_sel:DWORD dst_unused:UNUSED_PAD src0_sel:DWORD src1_sel:WORD_1
	v_cmp_eq_u32_e32 vcc, 1, v22
	s_and_saveexec_b64 s[0:1], vcc
	s_cbranch_execz .LBB1362_411
; %bb.410:
	v_subrev_u32_e32 v22, s16, v42
	v_lshlrev_b32_e32 v22, 3, v22
	ds_write_b64 v22, v[18:19]
.LBB1362_411:
	s_or_b64 exec, exec, s[0:1]
	v_and_b32_e32 v18, 1, v32
	v_cmp_eq_u32_e32 vcc, 1, v18
	s_and_saveexec_b64 s[0:1], vcc
	s_cbranch_execz .LBB1362_413
; %bb.412:
	v_subrev_u32_e32 v18, s16, v40
	v_lshlrev_b32_e32 v18, 3, v18
	ds_write_b64 v18, v[20:21]
.LBB1362_413:
	s_or_b64 exec, exec, s[0:1]
	v_and_b32_e32 v18, 1, v31
	;; [unrolled: 10-line block ×3, first 2 shown]
	v_cmp_eq_u32_e32 vcc, 1, v14
	s_and_saveexec_b64 s[0:1], vcc
	s_cbranch_execz .LBB1362_417
; %bb.416:
	v_subrev_u32_e32 v14, s16, v36
	v_lshlrev_b32_e32 v14, 3, v14
	ds_write_b64 v14, v[16:17]
.LBB1362_417:
	s_or_b64 exec, exec, s[0:1]
	v_mov_b32_e32 v14, 1
	v_and_b32_sdwa v14, v14, v31 dst_sel:DWORD dst_unused:UNUSED_PAD src0_sel:DWORD src1_sel:WORD_1
	v_cmp_eq_u32_e32 vcc, 1, v14
	s_and_saveexec_b64 s[0:1], vcc
	s_cbranch_execz .LBB1362_419
; %bb.418:
	v_subrev_u32_e32 v14, s16, v34
	v_lshlrev_b32_e32 v14, 3, v14
	ds_write_b64 v14, v[28:29]
.LBB1362_419:
	s_or_b64 exec, exec, s[0:1]
	v_cmp_gt_u32_e32 vcc, s26, v0
	s_waitcnt lgkmcnt(0)
	s_barrier
	s_and_saveexec_b64 s[0:1], vcc
	s_cbranch_execz .LBB1362_422
; %bb.420:
	s_mov_b32 s17, 0
	s_lshl_b64 s[4:5], s[22:23], 3
	s_lshl_b64 s[6:7], s[16:17], 3
	s_add_u32 s4, s4, s6
	s_addc_u32 s5, s5, s7
	s_add_u32 s4, s28, s4
	v_lshlrev_b32_e32 v14, 3, v0
	v_mov_b32_e32 v15, 0
	s_addc_u32 s5, s29, s5
	v_lshl_add_u64 v[16:17], s[4:5], 0, v[14:15]
	s_mov_b64 s[4:5], 0
	s_mov_b64 s[6:7], 0x1000
	v_mov_b32_e32 v15, v0
.LBB1362_421:                           ; =>This Inner Loop Header: Depth=1
	ds_read_b64 v[18:19], v14
	v_add_u32_e32 v15, 0x200, v15
	v_cmp_le_u32_e32 vcc, s26, v15
	v_add_u32_e32 v14, 0x1000, v14
	s_or_b64 s[4:5], vcc, s[4:5]
	s_waitcnt lgkmcnt(0)
	global_store_dwordx2 v[16:17], v[18:19], off
	v_lshl_add_u64 v[16:17], v[16:17], 0, s[6:7]
	s_andn2_b64 exec, exec, s[4:5]
	s_cbranch_execnz .LBB1362_421
.LBB1362_422:
	s_or_b64 exec, exec, s[0:1]
.LBB1362_423:
	s_mov_b64 s[0:1], -1
	s_and_b64 vcc, exec, s[2:3]
	s_barrier
	s_cbranch_vccnz .LBB1362_427
; %bb.424:
	s_and_b64 vcc, exec, s[0:1]
	s_cbranch_vccnz .LBB1362_449
.LBB1362_425:
	s_and_b64 s[0:1], s[18:19], s[24:25]
	s_and_saveexec_b64 s[2:3], s[0:1]
	s_cbranch_execnz .LBB1362_467
.LBB1362_426:
	s_endpgm
.LBB1362_427:
	s_add_i32 s2, s16, s26
	v_cmp_gt_u32_e32 vcc, s2, v46
	s_or_b64 s[4:5], s[34:35], vcc
	s_and_saveexec_b64 s[0:1], s[4:5]
	s_cbranch_execz .LBB1362_430
; %bb.428:
	v_cmp_eq_u32_e32 vcc, 1, v48
	s_and_b64 exec, exec, vcc
	s_cbranch_execz .LBB1362_430
; %bb.429:
	s_lshl_b64 s[4:5], s[22:23], 3
	s_add_u32 s4, s30, s4
	s_addc_u32 s5, s31, s5
	v_mov_b32_e32 v47, 0
	v_lshl_add_u64 v[14:15], v[46:47], 3, s[4:5]
	global_store_dwordx2 v[14:15], v[10:11], off
.LBB1362_430:
	s_or_b64 exec, exec, s[0:1]
	v_cmp_gt_u32_e32 vcc, s2, v44
	s_or_b64 s[4:5], s[34:35], vcc
	s_and_saveexec_b64 s[0:1], s[4:5]
	s_cbranch_execz .LBB1362_433
; %bb.431:
	v_and_b32_e32 v14, 1, v33
	v_cmp_eq_u32_e32 vcc, 1, v14
	s_and_b64 exec, exec, vcc
	s_cbranch_execz .LBB1362_433
; %bb.432:
	s_lshl_b64 s[4:5], s[22:23], 3
	s_add_u32 s4, s30, s4
	s_addc_u32 s5, s31, s5
	v_mov_b32_e32 v45, 0
	v_lshl_add_u64 v[14:15], v[44:45], 3, s[4:5]
	global_store_dwordx2 v[14:15], v[12:13], off
.LBB1362_433:
	s_or_b64 exec, exec, s[0:1]
	v_cmp_gt_u32_e32 vcc, s2, v42
	s_or_b64 s[4:5], s[34:35], vcc
	s_and_saveexec_b64 s[0:1], s[4:5]
	s_cbranch_execz .LBB1362_436
; %bb.434:
	v_mov_b32_e32 v14, 1
	v_and_b32_sdwa v14, v14, v30 dst_sel:DWORD dst_unused:UNUSED_PAD src0_sel:DWORD src1_sel:WORD_1
	v_cmp_eq_u32_e32 vcc, 1, v14
	s_and_b64 exec, exec, vcc
	s_cbranch_execz .LBB1362_436
; %bb.435:
	s_lshl_b64 s[4:5], s[22:23], 3
	s_add_u32 s4, s30, s4
	s_addc_u32 s5, s31, s5
	v_mov_b32_e32 v43, 0
	v_lshl_add_u64 v[14:15], v[42:43], 3, s[4:5]
	global_store_dwordx2 v[14:15], v[6:7], off
.LBB1362_436:
	s_or_b64 exec, exec, s[0:1]
	v_cmp_gt_u32_e32 vcc, s2, v40
	s_or_b64 s[4:5], s[34:35], vcc
	s_and_saveexec_b64 s[0:1], s[4:5]
	s_cbranch_execz .LBB1362_439
; %bb.437:
	v_and_b32_e32 v14, 1, v32
	v_cmp_eq_u32_e32 vcc, 1, v14
	s_and_b64 exec, exec, vcc
	s_cbranch_execz .LBB1362_439
; %bb.438:
	s_lshl_b64 s[4:5], s[22:23], 3
	s_add_u32 s4, s30, s4
	s_addc_u32 s5, s31, s5
	v_mov_b32_e32 v41, 0
	v_lshl_add_u64 v[14:15], v[40:41], 3, s[4:5]
	global_store_dwordx2 v[14:15], v[8:9], off
.LBB1362_439:
	s_or_b64 exec, exec, s[0:1]
	v_cmp_gt_u32_e32 vcc, s2, v38
	s_or_b64 s[4:5], s[34:35], vcc
	s_and_saveexec_b64 s[0:1], s[4:5]
	s_cbranch_execz .LBB1362_442
; %bb.440:
	v_and_b32_e32 v14, 1, v31
	v_cmp_eq_u32_e32 vcc, 1, v14
	s_and_b64 exec, exec, vcc
	s_cbranch_execz .LBB1362_442
; %bb.441:
	s_lshl_b64 s[4:5], s[22:23], 3
	s_add_u32 s4, s30, s4
	s_addc_u32 s5, s31, s5
	v_mov_b32_e32 v39, 0
	v_lshl_add_u64 v[14:15], v[38:39], 3, s[4:5]
	global_store_dwordx2 v[14:15], v[2:3], off
.LBB1362_442:
	;; [unrolled: 18-line block ×3, first 2 shown]
	s_or_b64 exec, exec, s[0:1]
	v_cmp_gt_u32_e32 vcc, s2, v34
	s_or_b64 s[2:3], s[34:35], vcc
	s_and_saveexec_b64 s[0:1], s[2:3]
	s_cbranch_execz .LBB1362_448
; %bb.446:
	v_mov_b32_e32 v14, 1
	v_and_b32_sdwa v14, v14, v31 dst_sel:DWORD dst_unused:UNUSED_PAD src0_sel:DWORD src1_sel:WORD_1
	v_cmp_eq_u32_e32 vcc, 1, v14
	s_and_b64 exec, exec, vcc
	s_cbranch_execz .LBB1362_448
; %bb.447:
	s_lshl_b64 s[2:3], s[22:23], 3
	s_add_u32 s2, s30, s2
	s_addc_u32 s3, s31, s3
	v_mov_b32_e32 v35, 0
	v_lshl_add_u64 v[14:15], v[34:35], 3, s[2:3]
	global_store_dwordx2 v[14:15], v[26:27], off
.LBB1362_448:
	s_or_b64 exec, exec, s[0:1]
	s_branch .LBB1362_425
.LBB1362_449:
	v_cmp_eq_u32_e32 vcc, 1, v48
	s_and_saveexec_b64 s[0:1], vcc
	s_cbranch_execz .LBB1362_451
; %bb.450:
	v_subrev_u32_e32 v14, s16, v46
	v_lshlrev_b32_e32 v14, 3, v14
	ds_write_b64 v14, v[10:11]
.LBB1362_451:
	s_or_b64 exec, exec, s[0:1]
	v_and_b32_e32 v10, 1, v33
	v_cmp_eq_u32_e32 vcc, 1, v10
	s_and_saveexec_b64 s[0:1], vcc
	s_cbranch_execz .LBB1362_453
; %bb.452:
	v_subrev_u32_e32 v10, s16, v44
	v_lshlrev_b32_e32 v10, 3, v10
	ds_write_b64 v10, v[12:13]
.LBB1362_453:
	s_or_b64 exec, exec, s[0:1]
	v_mov_b32_e32 v10, 1
	v_and_b32_sdwa v10, v10, v30 dst_sel:DWORD dst_unused:UNUSED_PAD src0_sel:DWORD src1_sel:WORD_1
	v_cmp_eq_u32_e32 vcc, 1, v10
	s_and_saveexec_b64 s[0:1], vcc
	s_cbranch_execz .LBB1362_455
; %bb.454:
	v_subrev_u32_e32 v10, s16, v42
	v_lshlrev_b32_e32 v10, 3, v10
	ds_write_b64 v10, v[6:7]
.LBB1362_455:
	s_or_b64 exec, exec, s[0:1]
	v_and_b32_e32 v6, 1, v32
	v_cmp_eq_u32_e32 vcc, 1, v6
	s_and_saveexec_b64 s[0:1], vcc
	s_cbranch_execz .LBB1362_457
; %bb.456:
	v_subrev_u32_e32 v6, s16, v40
	v_lshlrev_b32_e32 v6, 3, v6
	ds_write_b64 v6, v[8:9]
.LBB1362_457:
	s_or_b64 exec, exec, s[0:1]
	v_and_b32_e32 v6, 1, v31
	;; [unrolled: 10-line block ×3, first 2 shown]
	v_cmp_eq_u32_e32 vcc, 1, v1
	s_and_saveexec_b64 s[0:1], vcc
	s_cbranch_execz .LBB1362_461
; %bb.460:
	v_subrev_u32_e32 v1, s16, v36
	v_lshlrev_b32_e32 v1, 3, v1
	ds_write_b64 v1, v[4:5]
.LBB1362_461:
	s_or_b64 exec, exec, s[0:1]
	v_mov_b32_e32 v1, 1
	v_and_b32_sdwa v1, v1, v31 dst_sel:DWORD dst_unused:UNUSED_PAD src0_sel:DWORD src1_sel:WORD_1
	v_cmp_eq_u32_e32 vcc, 1, v1
	s_and_saveexec_b64 s[0:1], vcc
	s_cbranch_execz .LBB1362_463
; %bb.462:
	v_subrev_u32_e32 v1, s16, v34
	v_lshlrev_b32_e32 v1, 3, v1
	ds_write_b64 v1, v[26:27]
.LBB1362_463:
	s_or_b64 exec, exec, s[0:1]
	v_cmp_gt_u32_e32 vcc, s26, v0
	s_waitcnt lgkmcnt(0)
	s_barrier
	s_and_saveexec_b64 s[0:1], vcc
	s_cbranch_execz .LBB1362_466
; %bb.464:
	s_mov_b32 s17, 0
	s_lshl_b64 s[2:3], s[22:23], 3
	s_lshl_b64 s[4:5], s[16:17], 3
	s_add_u32 s2, s2, s4
	s_addc_u32 s3, s3, s5
	s_add_u32 s2, s30, s2
	v_lshlrev_b32_e32 v2, 3, v0
	v_mov_b32_e32 v3, 0
	s_addc_u32 s3, s31, s3
	v_lshl_add_u64 v[4:5], s[2:3], 0, v[2:3]
	s_mov_b64 s[2:3], 0
	s_mov_b64 s[4:5], 0x1000
.LBB1362_465:                           ; =>This Inner Loop Header: Depth=1
	ds_read_b64 v[6:7], v2
	v_add_u32_e32 v0, 0x200, v0
	v_cmp_le_u32_e32 vcc, s26, v0
	v_add_u32_e32 v2, 0x1000, v2
	s_or_b64 s[2:3], vcc, s[2:3]
	s_waitcnt lgkmcnt(0)
	global_store_dwordx2 v[4:5], v[6:7], off
	v_lshl_add_u64 v[4:5], v[4:5], 0, s[4:5]
	s_andn2_b64 exec, exec, s[2:3]
	s_cbranch_execnz .LBB1362_465
.LBB1362_466:
	s_or_b64 exec, exec, s[0:1]
	s_and_b64 s[0:1], s[18:19], s[24:25]
	s_and_saveexec_b64 s[2:3], s[0:1]
	s_cbranch_execz .LBB1362_426
.LBB1362_467:
	s_add_u32 s0, s22, s26
	s_addc_u32 s1, s23, 0
	s_add_u32 s0, s0, s16
	s_addc_u32 s1, s1, 0
	v_mov_b32_e32 v2, 0
	v_mov_b64_e32 v[0:1], s[0:1]
	global_store_dwordx2 v2, v[0:1], s[20:21]
	s_endpgm
	.section	.rodata,"a",@progbits
	.p2align	6, 0x0
	.amdhsa_kernel _ZN7rocprim17ROCPRIM_400000_NS6detail17trampoline_kernelINS0_14default_configENS1_25partition_config_selectorILNS1_17partition_subalgoE9EllbEEZZNS1_14partition_implILS5_9ELb0ES3_jPlS8_PNS0_10empty_typeENS0_5tupleIJS8_S9_EEENSB_IJS8_SA_EEENS0_18inequality_wrapperIZN2at6native12_GLOBAL__N_124unique_dim_cuda_templateIN3c104HalfEEESt5tupleIJNSF_6TensorESM_SM_EERKSM_lbbbEUlllE0_EEPmJS9_EEE10hipError_tPvRmT3_T4_T5_T6_T7_T9_mT8_P12ihipStream_tbDpT10_ENKUlT_T0_E_clISt17integral_constantIbLb0EES1B_IbLb1EEEEDaS17_S18_EUlS17_E_NS1_11comp_targetILNS1_3genE5ELNS1_11target_archE942ELNS1_3gpuE9ELNS1_3repE0EEENS1_30default_config_static_selectorELNS0_4arch9wavefront6targetE1EEEvT1_
		.amdhsa_group_segment_fixed_size 28684
		.amdhsa_private_segment_fixed_size 0
		.amdhsa_kernarg_size 136
		.amdhsa_user_sgpr_count 2
		.amdhsa_user_sgpr_dispatch_ptr 0
		.amdhsa_user_sgpr_queue_ptr 0
		.amdhsa_user_sgpr_kernarg_segment_ptr 1
		.amdhsa_user_sgpr_dispatch_id 0
		.amdhsa_user_sgpr_kernarg_preload_length 0
		.amdhsa_user_sgpr_kernarg_preload_offset 0
		.amdhsa_user_sgpr_private_segment_size 0
		.amdhsa_uses_dynamic_stack 0
		.amdhsa_enable_private_segment 0
		.amdhsa_system_sgpr_workgroup_id_x 1
		.amdhsa_system_sgpr_workgroup_id_y 0
		.amdhsa_system_sgpr_workgroup_id_z 0
		.amdhsa_system_sgpr_workgroup_info 0
		.amdhsa_system_vgpr_workitem_id 0
		.amdhsa_next_free_vgpr 66
		.amdhsa_next_free_sgpr 58
		.amdhsa_accum_offset 68
		.amdhsa_reserve_vcc 1
		.amdhsa_float_round_mode_32 0
		.amdhsa_float_round_mode_16_64 0
		.amdhsa_float_denorm_mode_32 3
		.amdhsa_float_denorm_mode_16_64 3
		.amdhsa_dx10_clamp 1
		.amdhsa_ieee_mode 1
		.amdhsa_fp16_overflow 0
		.amdhsa_tg_split 0
		.amdhsa_exception_fp_ieee_invalid_op 0
		.amdhsa_exception_fp_denorm_src 0
		.amdhsa_exception_fp_ieee_div_zero 0
		.amdhsa_exception_fp_ieee_overflow 0
		.amdhsa_exception_fp_ieee_underflow 0
		.amdhsa_exception_fp_ieee_inexact 0
		.amdhsa_exception_int_div_zero 0
	.end_amdhsa_kernel
	.section	.text._ZN7rocprim17ROCPRIM_400000_NS6detail17trampoline_kernelINS0_14default_configENS1_25partition_config_selectorILNS1_17partition_subalgoE9EllbEEZZNS1_14partition_implILS5_9ELb0ES3_jPlS8_PNS0_10empty_typeENS0_5tupleIJS8_S9_EEENSB_IJS8_SA_EEENS0_18inequality_wrapperIZN2at6native12_GLOBAL__N_124unique_dim_cuda_templateIN3c104HalfEEESt5tupleIJNSF_6TensorESM_SM_EERKSM_lbbbEUlllE0_EEPmJS9_EEE10hipError_tPvRmT3_T4_T5_T6_T7_T9_mT8_P12ihipStream_tbDpT10_ENKUlT_T0_E_clISt17integral_constantIbLb0EES1B_IbLb1EEEEDaS17_S18_EUlS17_E_NS1_11comp_targetILNS1_3genE5ELNS1_11target_archE942ELNS1_3gpuE9ELNS1_3repE0EEENS1_30default_config_static_selectorELNS0_4arch9wavefront6targetE1EEEvT1_,"axG",@progbits,_ZN7rocprim17ROCPRIM_400000_NS6detail17trampoline_kernelINS0_14default_configENS1_25partition_config_selectorILNS1_17partition_subalgoE9EllbEEZZNS1_14partition_implILS5_9ELb0ES3_jPlS8_PNS0_10empty_typeENS0_5tupleIJS8_S9_EEENSB_IJS8_SA_EEENS0_18inequality_wrapperIZN2at6native12_GLOBAL__N_124unique_dim_cuda_templateIN3c104HalfEEESt5tupleIJNSF_6TensorESM_SM_EERKSM_lbbbEUlllE0_EEPmJS9_EEE10hipError_tPvRmT3_T4_T5_T6_T7_T9_mT8_P12ihipStream_tbDpT10_ENKUlT_T0_E_clISt17integral_constantIbLb0EES1B_IbLb1EEEEDaS17_S18_EUlS17_E_NS1_11comp_targetILNS1_3genE5ELNS1_11target_archE942ELNS1_3gpuE9ELNS1_3repE0EEENS1_30default_config_static_selectorELNS0_4arch9wavefront6targetE1EEEvT1_,comdat
.Lfunc_end1362:
	.size	_ZN7rocprim17ROCPRIM_400000_NS6detail17trampoline_kernelINS0_14default_configENS1_25partition_config_selectorILNS1_17partition_subalgoE9EllbEEZZNS1_14partition_implILS5_9ELb0ES3_jPlS8_PNS0_10empty_typeENS0_5tupleIJS8_S9_EEENSB_IJS8_SA_EEENS0_18inequality_wrapperIZN2at6native12_GLOBAL__N_124unique_dim_cuda_templateIN3c104HalfEEESt5tupleIJNSF_6TensorESM_SM_EERKSM_lbbbEUlllE0_EEPmJS9_EEE10hipError_tPvRmT3_T4_T5_T6_T7_T9_mT8_P12ihipStream_tbDpT10_ENKUlT_T0_E_clISt17integral_constantIbLb0EES1B_IbLb1EEEEDaS17_S18_EUlS17_E_NS1_11comp_targetILNS1_3genE5ELNS1_11target_archE942ELNS1_3gpuE9ELNS1_3repE0EEENS1_30default_config_static_selectorELNS0_4arch9wavefront6targetE1EEEvT1_, .Lfunc_end1362-_ZN7rocprim17ROCPRIM_400000_NS6detail17trampoline_kernelINS0_14default_configENS1_25partition_config_selectorILNS1_17partition_subalgoE9EllbEEZZNS1_14partition_implILS5_9ELb0ES3_jPlS8_PNS0_10empty_typeENS0_5tupleIJS8_S9_EEENSB_IJS8_SA_EEENS0_18inequality_wrapperIZN2at6native12_GLOBAL__N_124unique_dim_cuda_templateIN3c104HalfEEESt5tupleIJNSF_6TensorESM_SM_EERKSM_lbbbEUlllE0_EEPmJS9_EEE10hipError_tPvRmT3_T4_T5_T6_T7_T9_mT8_P12ihipStream_tbDpT10_ENKUlT_T0_E_clISt17integral_constantIbLb0EES1B_IbLb1EEEEDaS17_S18_EUlS17_E_NS1_11comp_targetILNS1_3genE5ELNS1_11target_archE942ELNS1_3gpuE9ELNS1_3repE0EEENS1_30default_config_static_selectorELNS0_4arch9wavefront6targetE1EEEvT1_
                                        ; -- End function
	.section	.AMDGPU.csdata,"",@progbits
; Kernel info:
; codeLenInByte = 14484
; NumSgprs: 64
; NumVgprs: 66
; NumAgprs: 0
; TotalNumVgprs: 66
; ScratchSize: 0
; MemoryBound: 0
; FloatMode: 240
; IeeeMode: 1
; LDSByteSize: 28684 bytes/workgroup (compile time only)
; SGPRBlocks: 7
; VGPRBlocks: 8
; NumSGPRsForWavesPerEU: 64
; NumVGPRsForWavesPerEU: 66
; AccumOffset: 68
; Occupancy: 4
; WaveLimiterHint : 1
; COMPUTE_PGM_RSRC2:SCRATCH_EN: 0
; COMPUTE_PGM_RSRC2:USER_SGPR: 2
; COMPUTE_PGM_RSRC2:TRAP_HANDLER: 0
; COMPUTE_PGM_RSRC2:TGID_X_EN: 1
; COMPUTE_PGM_RSRC2:TGID_Y_EN: 0
; COMPUTE_PGM_RSRC2:TGID_Z_EN: 0
; COMPUTE_PGM_RSRC2:TIDIG_COMP_CNT: 0
; COMPUTE_PGM_RSRC3_GFX90A:ACCUM_OFFSET: 16
; COMPUTE_PGM_RSRC3_GFX90A:TG_SPLIT: 0
	.section	.text._ZN7rocprim17ROCPRIM_400000_NS6detail17trampoline_kernelINS0_14default_configENS1_25partition_config_selectorILNS1_17partition_subalgoE9EllbEEZZNS1_14partition_implILS5_9ELb0ES3_jPlS8_PNS0_10empty_typeENS0_5tupleIJS8_S9_EEENSB_IJS8_SA_EEENS0_18inequality_wrapperIZN2at6native12_GLOBAL__N_124unique_dim_cuda_templateIN3c104HalfEEESt5tupleIJNSF_6TensorESM_SM_EERKSM_lbbbEUlllE0_EEPmJS9_EEE10hipError_tPvRmT3_T4_T5_T6_T7_T9_mT8_P12ihipStream_tbDpT10_ENKUlT_T0_E_clISt17integral_constantIbLb0EES1B_IbLb1EEEEDaS17_S18_EUlS17_E_NS1_11comp_targetILNS1_3genE4ELNS1_11target_archE910ELNS1_3gpuE8ELNS1_3repE0EEENS1_30default_config_static_selectorELNS0_4arch9wavefront6targetE1EEEvT1_,"axG",@progbits,_ZN7rocprim17ROCPRIM_400000_NS6detail17trampoline_kernelINS0_14default_configENS1_25partition_config_selectorILNS1_17partition_subalgoE9EllbEEZZNS1_14partition_implILS5_9ELb0ES3_jPlS8_PNS0_10empty_typeENS0_5tupleIJS8_S9_EEENSB_IJS8_SA_EEENS0_18inequality_wrapperIZN2at6native12_GLOBAL__N_124unique_dim_cuda_templateIN3c104HalfEEESt5tupleIJNSF_6TensorESM_SM_EERKSM_lbbbEUlllE0_EEPmJS9_EEE10hipError_tPvRmT3_T4_T5_T6_T7_T9_mT8_P12ihipStream_tbDpT10_ENKUlT_T0_E_clISt17integral_constantIbLb0EES1B_IbLb1EEEEDaS17_S18_EUlS17_E_NS1_11comp_targetILNS1_3genE4ELNS1_11target_archE910ELNS1_3gpuE8ELNS1_3repE0EEENS1_30default_config_static_selectorELNS0_4arch9wavefront6targetE1EEEvT1_,comdat
	.globl	_ZN7rocprim17ROCPRIM_400000_NS6detail17trampoline_kernelINS0_14default_configENS1_25partition_config_selectorILNS1_17partition_subalgoE9EllbEEZZNS1_14partition_implILS5_9ELb0ES3_jPlS8_PNS0_10empty_typeENS0_5tupleIJS8_S9_EEENSB_IJS8_SA_EEENS0_18inequality_wrapperIZN2at6native12_GLOBAL__N_124unique_dim_cuda_templateIN3c104HalfEEESt5tupleIJNSF_6TensorESM_SM_EERKSM_lbbbEUlllE0_EEPmJS9_EEE10hipError_tPvRmT3_T4_T5_T6_T7_T9_mT8_P12ihipStream_tbDpT10_ENKUlT_T0_E_clISt17integral_constantIbLb0EES1B_IbLb1EEEEDaS17_S18_EUlS17_E_NS1_11comp_targetILNS1_3genE4ELNS1_11target_archE910ELNS1_3gpuE8ELNS1_3repE0EEENS1_30default_config_static_selectorELNS0_4arch9wavefront6targetE1EEEvT1_ ; -- Begin function _ZN7rocprim17ROCPRIM_400000_NS6detail17trampoline_kernelINS0_14default_configENS1_25partition_config_selectorILNS1_17partition_subalgoE9EllbEEZZNS1_14partition_implILS5_9ELb0ES3_jPlS8_PNS0_10empty_typeENS0_5tupleIJS8_S9_EEENSB_IJS8_SA_EEENS0_18inequality_wrapperIZN2at6native12_GLOBAL__N_124unique_dim_cuda_templateIN3c104HalfEEESt5tupleIJNSF_6TensorESM_SM_EERKSM_lbbbEUlllE0_EEPmJS9_EEE10hipError_tPvRmT3_T4_T5_T6_T7_T9_mT8_P12ihipStream_tbDpT10_ENKUlT_T0_E_clISt17integral_constantIbLb0EES1B_IbLb1EEEEDaS17_S18_EUlS17_E_NS1_11comp_targetILNS1_3genE4ELNS1_11target_archE910ELNS1_3gpuE8ELNS1_3repE0EEENS1_30default_config_static_selectorELNS0_4arch9wavefront6targetE1EEEvT1_
	.p2align	8
	.type	_ZN7rocprim17ROCPRIM_400000_NS6detail17trampoline_kernelINS0_14default_configENS1_25partition_config_selectorILNS1_17partition_subalgoE9EllbEEZZNS1_14partition_implILS5_9ELb0ES3_jPlS8_PNS0_10empty_typeENS0_5tupleIJS8_S9_EEENSB_IJS8_SA_EEENS0_18inequality_wrapperIZN2at6native12_GLOBAL__N_124unique_dim_cuda_templateIN3c104HalfEEESt5tupleIJNSF_6TensorESM_SM_EERKSM_lbbbEUlllE0_EEPmJS9_EEE10hipError_tPvRmT3_T4_T5_T6_T7_T9_mT8_P12ihipStream_tbDpT10_ENKUlT_T0_E_clISt17integral_constantIbLb0EES1B_IbLb1EEEEDaS17_S18_EUlS17_E_NS1_11comp_targetILNS1_3genE4ELNS1_11target_archE910ELNS1_3gpuE8ELNS1_3repE0EEENS1_30default_config_static_selectorELNS0_4arch9wavefront6targetE1EEEvT1_,@function
_ZN7rocprim17ROCPRIM_400000_NS6detail17trampoline_kernelINS0_14default_configENS1_25partition_config_selectorILNS1_17partition_subalgoE9EllbEEZZNS1_14partition_implILS5_9ELb0ES3_jPlS8_PNS0_10empty_typeENS0_5tupleIJS8_S9_EEENSB_IJS8_SA_EEENS0_18inequality_wrapperIZN2at6native12_GLOBAL__N_124unique_dim_cuda_templateIN3c104HalfEEESt5tupleIJNSF_6TensorESM_SM_EERKSM_lbbbEUlllE0_EEPmJS9_EEE10hipError_tPvRmT3_T4_T5_T6_T7_T9_mT8_P12ihipStream_tbDpT10_ENKUlT_T0_E_clISt17integral_constantIbLb0EES1B_IbLb1EEEEDaS17_S18_EUlS17_E_NS1_11comp_targetILNS1_3genE4ELNS1_11target_archE910ELNS1_3gpuE8ELNS1_3repE0EEENS1_30default_config_static_selectorELNS0_4arch9wavefront6targetE1EEEvT1_: ; @_ZN7rocprim17ROCPRIM_400000_NS6detail17trampoline_kernelINS0_14default_configENS1_25partition_config_selectorILNS1_17partition_subalgoE9EllbEEZZNS1_14partition_implILS5_9ELb0ES3_jPlS8_PNS0_10empty_typeENS0_5tupleIJS8_S9_EEENSB_IJS8_SA_EEENS0_18inequality_wrapperIZN2at6native12_GLOBAL__N_124unique_dim_cuda_templateIN3c104HalfEEESt5tupleIJNSF_6TensorESM_SM_EERKSM_lbbbEUlllE0_EEPmJS9_EEE10hipError_tPvRmT3_T4_T5_T6_T7_T9_mT8_P12ihipStream_tbDpT10_ENKUlT_T0_E_clISt17integral_constantIbLb0EES1B_IbLb1EEEEDaS17_S18_EUlS17_E_NS1_11comp_targetILNS1_3genE4ELNS1_11target_archE910ELNS1_3gpuE8ELNS1_3repE0EEENS1_30default_config_static_selectorELNS0_4arch9wavefront6targetE1EEEvT1_
; %bb.0:
	.section	.rodata,"a",@progbits
	.p2align	6, 0x0
	.amdhsa_kernel _ZN7rocprim17ROCPRIM_400000_NS6detail17trampoline_kernelINS0_14default_configENS1_25partition_config_selectorILNS1_17partition_subalgoE9EllbEEZZNS1_14partition_implILS5_9ELb0ES3_jPlS8_PNS0_10empty_typeENS0_5tupleIJS8_S9_EEENSB_IJS8_SA_EEENS0_18inequality_wrapperIZN2at6native12_GLOBAL__N_124unique_dim_cuda_templateIN3c104HalfEEESt5tupleIJNSF_6TensorESM_SM_EERKSM_lbbbEUlllE0_EEPmJS9_EEE10hipError_tPvRmT3_T4_T5_T6_T7_T9_mT8_P12ihipStream_tbDpT10_ENKUlT_T0_E_clISt17integral_constantIbLb0EES1B_IbLb1EEEEDaS17_S18_EUlS17_E_NS1_11comp_targetILNS1_3genE4ELNS1_11target_archE910ELNS1_3gpuE8ELNS1_3repE0EEENS1_30default_config_static_selectorELNS0_4arch9wavefront6targetE1EEEvT1_
		.amdhsa_group_segment_fixed_size 0
		.amdhsa_private_segment_fixed_size 0
		.amdhsa_kernarg_size 136
		.amdhsa_user_sgpr_count 2
		.amdhsa_user_sgpr_dispatch_ptr 0
		.amdhsa_user_sgpr_queue_ptr 0
		.amdhsa_user_sgpr_kernarg_segment_ptr 1
		.amdhsa_user_sgpr_dispatch_id 0
		.amdhsa_user_sgpr_kernarg_preload_length 0
		.amdhsa_user_sgpr_kernarg_preload_offset 0
		.amdhsa_user_sgpr_private_segment_size 0
		.amdhsa_uses_dynamic_stack 0
		.amdhsa_enable_private_segment 0
		.amdhsa_system_sgpr_workgroup_id_x 1
		.amdhsa_system_sgpr_workgroup_id_y 0
		.amdhsa_system_sgpr_workgroup_id_z 0
		.amdhsa_system_sgpr_workgroup_info 0
		.amdhsa_system_vgpr_workitem_id 0
		.amdhsa_next_free_vgpr 1
		.amdhsa_next_free_sgpr 0
		.amdhsa_accum_offset 4
		.amdhsa_reserve_vcc 0
		.amdhsa_float_round_mode_32 0
		.amdhsa_float_round_mode_16_64 0
		.amdhsa_float_denorm_mode_32 3
		.amdhsa_float_denorm_mode_16_64 3
		.amdhsa_dx10_clamp 1
		.amdhsa_ieee_mode 1
		.amdhsa_fp16_overflow 0
		.amdhsa_tg_split 0
		.amdhsa_exception_fp_ieee_invalid_op 0
		.amdhsa_exception_fp_denorm_src 0
		.amdhsa_exception_fp_ieee_div_zero 0
		.amdhsa_exception_fp_ieee_overflow 0
		.amdhsa_exception_fp_ieee_underflow 0
		.amdhsa_exception_fp_ieee_inexact 0
		.amdhsa_exception_int_div_zero 0
	.end_amdhsa_kernel
	.section	.text._ZN7rocprim17ROCPRIM_400000_NS6detail17trampoline_kernelINS0_14default_configENS1_25partition_config_selectorILNS1_17partition_subalgoE9EllbEEZZNS1_14partition_implILS5_9ELb0ES3_jPlS8_PNS0_10empty_typeENS0_5tupleIJS8_S9_EEENSB_IJS8_SA_EEENS0_18inequality_wrapperIZN2at6native12_GLOBAL__N_124unique_dim_cuda_templateIN3c104HalfEEESt5tupleIJNSF_6TensorESM_SM_EERKSM_lbbbEUlllE0_EEPmJS9_EEE10hipError_tPvRmT3_T4_T5_T6_T7_T9_mT8_P12ihipStream_tbDpT10_ENKUlT_T0_E_clISt17integral_constantIbLb0EES1B_IbLb1EEEEDaS17_S18_EUlS17_E_NS1_11comp_targetILNS1_3genE4ELNS1_11target_archE910ELNS1_3gpuE8ELNS1_3repE0EEENS1_30default_config_static_selectorELNS0_4arch9wavefront6targetE1EEEvT1_,"axG",@progbits,_ZN7rocprim17ROCPRIM_400000_NS6detail17trampoline_kernelINS0_14default_configENS1_25partition_config_selectorILNS1_17partition_subalgoE9EllbEEZZNS1_14partition_implILS5_9ELb0ES3_jPlS8_PNS0_10empty_typeENS0_5tupleIJS8_S9_EEENSB_IJS8_SA_EEENS0_18inequality_wrapperIZN2at6native12_GLOBAL__N_124unique_dim_cuda_templateIN3c104HalfEEESt5tupleIJNSF_6TensorESM_SM_EERKSM_lbbbEUlllE0_EEPmJS9_EEE10hipError_tPvRmT3_T4_T5_T6_T7_T9_mT8_P12ihipStream_tbDpT10_ENKUlT_T0_E_clISt17integral_constantIbLb0EES1B_IbLb1EEEEDaS17_S18_EUlS17_E_NS1_11comp_targetILNS1_3genE4ELNS1_11target_archE910ELNS1_3gpuE8ELNS1_3repE0EEENS1_30default_config_static_selectorELNS0_4arch9wavefront6targetE1EEEvT1_,comdat
.Lfunc_end1363:
	.size	_ZN7rocprim17ROCPRIM_400000_NS6detail17trampoline_kernelINS0_14default_configENS1_25partition_config_selectorILNS1_17partition_subalgoE9EllbEEZZNS1_14partition_implILS5_9ELb0ES3_jPlS8_PNS0_10empty_typeENS0_5tupleIJS8_S9_EEENSB_IJS8_SA_EEENS0_18inequality_wrapperIZN2at6native12_GLOBAL__N_124unique_dim_cuda_templateIN3c104HalfEEESt5tupleIJNSF_6TensorESM_SM_EERKSM_lbbbEUlllE0_EEPmJS9_EEE10hipError_tPvRmT3_T4_T5_T6_T7_T9_mT8_P12ihipStream_tbDpT10_ENKUlT_T0_E_clISt17integral_constantIbLb0EES1B_IbLb1EEEEDaS17_S18_EUlS17_E_NS1_11comp_targetILNS1_3genE4ELNS1_11target_archE910ELNS1_3gpuE8ELNS1_3repE0EEENS1_30default_config_static_selectorELNS0_4arch9wavefront6targetE1EEEvT1_, .Lfunc_end1363-_ZN7rocprim17ROCPRIM_400000_NS6detail17trampoline_kernelINS0_14default_configENS1_25partition_config_selectorILNS1_17partition_subalgoE9EllbEEZZNS1_14partition_implILS5_9ELb0ES3_jPlS8_PNS0_10empty_typeENS0_5tupleIJS8_S9_EEENSB_IJS8_SA_EEENS0_18inequality_wrapperIZN2at6native12_GLOBAL__N_124unique_dim_cuda_templateIN3c104HalfEEESt5tupleIJNSF_6TensorESM_SM_EERKSM_lbbbEUlllE0_EEPmJS9_EEE10hipError_tPvRmT3_T4_T5_T6_T7_T9_mT8_P12ihipStream_tbDpT10_ENKUlT_T0_E_clISt17integral_constantIbLb0EES1B_IbLb1EEEEDaS17_S18_EUlS17_E_NS1_11comp_targetILNS1_3genE4ELNS1_11target_archE910ELNS1_3gpuE8ELNS1_3repE0EEENS1_30default_config_static_selectorELNS0_4arch9wavefront6targetE1EEEvT1_
                                        ; -- End function
	.section	.AMDGPU.csdata,"",@progbits
; Kernel info:
; codeLenInByte = 0
; NumSgprs: 6
; NumVgprs: 0
; NumAgprs: 0
; TotalNumVgprs: 0
; ScratchSize: 0
; MemoryBound: 0
; FloatMode: 240
; IeeeMode: 1
; LDSByteSize: 0 bytes/workgroup (compile time only)
; SGPRBlocks: 0
; VGPRBlocks: 0
; NumSGPRsForWavesPerEU: 6
; NumVGPRsForWavesPerEU: 1
; AccumOffset: 4
; Occupancy: 8
; WaveLimiterHint : 0
; COMPUTE_PGM_RSRC2:SCRATCH_EN: 0
; COMPUTE_PGM_RSRC2:USER_SGPR: 2
; COMPUTE_PGM_RSRC2:TRAP_HANDLER: 0
; COMPUTE_PGM_RSRC2:TGID_X_EN: 1
; COMPUTE_PGM_RSRC2:TGID_Y_EN: 0
; COMPUTE_PGM_RSRC2:TGID_Z_EN: 0
; COMPUTE_PGM_RSRC2:TIDIG_COMP_CNT: 0
; COMPUTE_PGM_RSRC3_GFX90A:ACCUM_OFFSET: 0
; COMPUTE_PGM_RSRC3_GFX90A:TG_SPLIT: 0
	.section	.text._ZN7rocprim17ROCPRIM_400000_NS6detail17trampoline_kernelINS0_14default_configENS1_25partition_config_selectorILNS1_17partition_subalgoE9EllbEEZZNS1_14partition_implILS5_9ELb0ES3_jPlS8_PNS0_10empty_typeENS0_5tupleIJS8_S9_EEENSB_IJS8_SA_EEENS0_18inequality_wrapperIZN2at6native12_GLOBAL__N_124unique_dim_cuda_templateIN3c104HalfEEESt5tupleIJNSF_6TensorESM_SM_EERKSM_lbbbEUlllE0_EEPmJS9_EEE10hipError_tPvRmT3_T4_T5_T6_T7_T9_mT8_P12ihipStream_tbDpT10_ENKUlT_T0_E_clISt17integral_constantIbLb0EES1B_IbLb1EEEEDaS17_S18_EUlS17_E_NS1_11comp_targetILNS1_3genE3ELNS1_11target_archE908ELNS1_3gpuE7ELNS1_3repE0EEENS1_30default_config_static_selectorELNS0_4arch9wavefront6targetE1EEEvT1_,"axG",@progbits,_ZN7rocprim17ROCPRIM_400000_NS6detail17trampoline_kernelINS0_14default_configENS1_25partition_config_selectorILNS1_17partition_subalgoE9EllbEEZZNS1_14partition_implILS5_9ELb0ES3_jPlS8_PNS0_10empty_typeENS0_5tupleIJS8_S9_EEENSB_IJS8_SA_EEENS0_18inequality_wrapperIZN2at6native12_GLOBAL__N_124unique_dim_cuda_templateIN3c104HalfEEESt5tupleIJNSF_6TensorESM_SM_EERKSM_lbbbEUlllE0_EEPmJS9_EEE10hipError_tPvRmT3_T4_T5_T6_T7_T9_mT8_P12ihipStream_tbDpT10_ENKUlT_T0_E_clISt17integral_constantIbLb0EES1B_IbLb1EEEEDaS17_S18_EUlS17_E_NS1_11comp_targetILNS1_3genE3ELNS1_11target_archE908ELNS1_3gpuE7ELNS1_3repE0EEENS1_30default_config_static_selectorELNS0_4arch9wavefront6targetE1EEEvT1_,comdat
	.globl	_ZN7rocprim17ROCPRIM_400000_NS6detail17trampoline_kernelINS0_14default_configENS1_25partition_config_selectorILNS1_17partition_subalgoE9EllbEEZZNS1_14partition_implILS5_9ELb0ES3_jPlS8_PNS0_10empty_typeENS0_5tupleIJS8_S9_EEENSB_IJS8_SA_EEENS0_18inequality_wrapperIZN2at6native12_GLOBAL__N_124unique_dim_cuda_templateIN3c104HalfEEESt5tupleIJNSF_6TensorESM_SM_EERKSM_lbbbEUlllE0_EEPmJS9_EEE10hipError_tPvRmT3_T4_T5_T6_T7_T9_mT8_P12ihipStream_tbDpT10_ENKUlT_T0_E_clISt17integral_constantIbLb0EES1B_IbLb1EEEEDaS17_S18_EUlS17_E_NS1_11comp_targetILNS1_3genE3ELNS1_11target_archE908ELNS1_3gpuE7ELNS1_3repE0EEENS1_30default_config_static_selectorELNS0_4arch9wavefront6targetE1EEEvT1_ ; -- Begin function _ZN7rocprim17ROCPRIM_400000_NS6detail17trampoline_kernelINS0_14default_configENS1_25partition_config_selectorILNS1_17partition_subalgoE9EllbEEZZNS1_14partition_implILS5_9ELb0ES3_jPlS8_PNS0_10empty_typeENS0_5tupleIJS8_S9_EEENSB_IJS8_SA_EEENS0_18inequality_wrapperIZN2at6native12_GLOBAL__N_124unique_dim_cuda_templateIN3c104HalfEEESt5tupleIJNSF_6TensorESM_SM_EERKSM_lbbbEUlllE0_EEPmJS9_EEE10hipError_tPvRmT3_T4_T5_T6_T7_T9_mT8_P12ihipStream_tbDpT10_ENKUlT_T0_E_clISt17integral_constantIbLb0EES1B_IbLb1EEEEDaS17_S18_EUlS17_E_NS1_11comp_targetILNS1_3genE3ELNS1_11target_archE908ELNS1_3gpuE7ELNS1_3repE0EEENS1_30default_config_static_selectorELNS0_4arch9wavefront6targetE1EEEvT1_
	.p2align	8
	.type	_ZN7rocprim17ROCPRIM_400000_NS6detail17trampoline_kernelINS0_14default_configENS1_25partition_config_selectorILNS1_17partition_subalgoE9EllbEEZZNS1_14partition_implILS5_9ELb0ES3_jPlS8_PNS0_10empty_typeENS0_5tupleIJS8_S9_EEENSB_IJS8_SA_EEENS0_18inequality_wrapperIZN2at6native12_GLOBAL__N_124unique_dim_cuda_templateIN3c104HalfEEESt5tupleIJNSF_6TensorESM_SM_EERKSM_lbbbEUlllE0_EEPmJS9_EEE10hipError_tPvRmT3_T4_T5_T6_T7_T9_mT8_P12ihipStream_tbDpT10_ENKUlT_T0_E_clISt17integral_constantIbLb0EES1B_IbLb1EEEEDaS17_S18_EUlS17_E_NS1_11comp_targetILNS1_3genE3ELNS1_11target_archE908ELNS1_3gpuE7ELNS1_3repE0EEENS1_30default_config_static_selectorELNS0_4arch9wavefront6targetE1EEEvT1_,@function
_ZN7rocprim17ROCPRIM_400000_NS6detail17trampoline_kernelINS0_14default_configENS1_25partition_config_selectorILNS1_17partition_subalgoE9EllbEEZZNS1_14partition_implILS5_9ELb0ES3_jPlS8_PNS0_10empty_typeENS0_5tupleIJS8_S9_EEENSB_IJS8_SA_EEENS0_18inequality_wrapperIZN2at6native12_GLOBAL__N_124unique_dim_cuda_templateIN3c104HalfEEESt5tupleIJNSF_6TensorESM_SM_EERKSM_lbbbEUlllE0_EEPmJS9_EEE10hipError_tPvRmT3_T4_T5_T6_T7_T9_mT8_P12ihipStream_tbDpT10_ENKUlT_T0_E_clISt17integral_constantIbLb0EES1B_IbLb1EEEEDaS17_S18_EUlS17_E_NS1_11comp_targetILNS1_3genE3ELNS1_11target_archE908ELNS1_3gpuE7ELNS1_3repE0EEENS1_30default_config_static_selectorELNS0_4arch9wavefront6targetE1EEEvT1_: ; @_ZN7rocprim17ROCPRIM_400000_NS6detail17trampoline_kernelINS0_14default_configENS1_25partition_config_selectorILNS1_17partition_subalgoE9EllbEEZZNS1_14partition_implILS5_9ELb0ES3_jPlS8_PNS0_10empty_typeENS0_5tupleIJS8_S9_EEENSB_IJS8_SA_EEENS0_18inequality_wrapperIZN2at6native12_GLOBAL__N_124unique_dim_cuda_templateIN3c104HalfEEESt5tupleIJNSF_6TensorESM_SM_EERKSM_lbbbEUlllE0_EEPmJS9_EEE10hipError_tPvRmT3_T4_T5_T6_T7_T9_mT8_P12ihipStream_tbDpT10_ENKUlT_T0_E_clISt17integral_constantIbLb0EES1B_IbLb1EEEEDaS17_S18_EUlS17_E_NS1_11comp_targetILNS1_3genE3ELNS1_11target_archE908ELNS1_3gpuE7ELNS1_3repE0EEENS1_30default_config_static_selectorELNS0_4arch9wavefront6targetE1EEEvT1_
; %bb.0:
	.section	.rodata,"a",@progbits
	.p2align	6, 0x0
	.amdhsa_kernel _ZN7rocprim17ROCPRIM_400000_NS6detail17trampoline_kernelINS0_14default_configENS1_25partition_config_selectorILNS1_17partition_subalgoE9EllbEEZZNS1_14partition_implILS5_9ELb0ES3_jPlS8_PNS0_10empty_typeENS0_5tupleIJS8_S9_EEENSB_IJS8_SA_EEENS0_18inequality_wrapperIZN2at6native12_GLOBAL__N_124unique_dim_cuda_templateIN3c104HalfEEESt5tupleIJNSF_6TensorESM_SM_EERKSM_lbbbEUlllE0_EEPmJS9_EEE10hipError_tPvRmT3_T4_T5_T6_T7_T9_mT8_P12ihipStream_tbDpT10_ENKUlT_T0_E_clISt17integral_constantIbLb0EES1B_IbLb1EEEEDaS17_S18_EUlS17_E_NS1_11comp_targetILNS1_3genE3ELNS1_11target_archE908ELNS1_3gpuE7ELNS1_3repE0EEENS1_30default_config_static_selectorELNS0_4arch9wavefront6targetE1EEEvT1_
		.amdhsa_group_segment_fixed_size 0
		.amdhsa_private_segment_fixed_size 0
		.amdhsa_kernarg_size 136
		.amdhsa_user_sgpr_count 2
		.amdhsa_user_sgpr_dispatch_ptr 0
		.amdhsa_user_sgpr_queue_ptr 0
		.amdhsa_user_sgpr_kernarg_segment_ptr 1
		.amdhsa_user_sgpr_dispatch_id 0
		.amdhsa_user_sgpr_kernarg_preload_length 0
		.amdhsa_user_sgpr_kernarg_preload_offset 0
		.amdhsa_user_sgpr_private_segment_size 0
		.amdhsa_uses_dynamic_stack 0
		.amdhsa_enable_private_segment 0
		.amdhsa_system_sgpr_workgroup_id_x 1
		.amdhsa_system_sgpr_workgroup_id_y 0
		.amdhsa_system_sgpr_workgroup_id_z 0
		.amdhsa_system_sgpr_workgroup_info 0
		.amdhsa_system_vgpr_workitem_id 0
		.amdhsa_next_free_vgpr 1
		.amdhsa_next_free_sgpr 0
		.amdhsa_accum_offset 4
		.amdhsa_reserve_vcc 0
		.amdhsa_float_round_mode_32 0
		.amdhsa_float_round_mode_16_64 0
		.amdhsa_float_denorm_mode_32 3
		.amdhsa_float_denorm_mode_16_64 3
		.amdhsa_dx10_clamp 1
		.amdhsa_ieee_mode 1
		.amdhsa_fp16_overflow 0
		.amdhsa_tg_split 0
		.amdhsa_exception_fp_ieee_invalid_op 0
		.amdhsa_exception_fp_denorm_src 0
		.amdhsa_exception_fp_ieee_div_zero 0
		.amdhsa_exception_fp_ieee_overflow 0
		.amdhsa_exception_fp_ieee_underflow 0
		.amdhsa_exception_fp_ieee_inexact 0
		.amdhsa_exception_int_div_zero 0
	.end_amdhsa_kernel
	.section	.text._ZN7rocprim17ROCPRIM_400000_NS6detail17trampoline_kernelINS0_14default_configENS1_25partition_config_selectorILNS1_17partition_subalgoE9EllbEEZZNS1_14partition_implILS5_9ELb0ES3_jPlS8_PNS0_10empty_typeENS0_5tupleIJS8_S9_EEENSB_IJS8_SA_EEENS0_18inequality_wrapperIZN2at6native12_GLOBAL__N_124unique_dim_cuda_templateIN3c104HalfEEESt5tupleIJNSF_6TensorESM_SM_EERKSM_lbbbEUlllE0_EEPmJS9_EEE10hipError_tPvRmT3_T4_T5_T6_T7_T9_mT8_P12ihipStream_tbDpT10_ENKUlT_T0_E_clISt17integral_constantIbLb0EES1B_IbLb1EEEEDaS17_S18_EUlS17_E_NS1_11comp_targetILNS1_3genE3ELNS1_11target_archE908ELNS1_3gpuE7ELNS1_3repE0EEENS1_30default_config_static_selectorELNS0_4arch9wavefront6targetE1EEEvT1_,"axG",@progbits,_ZN7rocprim17ROCPRIM_400000_NS6detail17trampoline_kernelINS0_14default_configENS1_25partition_config_selectorILNS1_17partition_subalgoE9EllbEEZZNS1_14partition_implILS5_9ELb0ES3_jPlS8_PNS0_10empty_typeENS0_5tupleIJS8_S9_EEENSB_IJS8_SA_EEENS0_18inequality_wrapperIZN2at6native12_GLOBAL__N_124unique_dim_cuda_templateIN3c104HalfEEESt5tupleIJNSF_6TensorESM_SM_EERKSM_lbbbEUlllE0_EEPmJS9_EEE10hipError_tPvRmT3_T4_T5_T6_T7_T9_mT8_P12ihipStream_tbDpT10_ENKUlT_T0_E_clISt17integral_constantIbLb0EES1B_IbLb1EEEEDaS17_S18_EUlS17_E_NS1_11comp_targetILNS1_3genE3ELNS1_11target_archE908ELNS1_3gpuE7ELNS1_3repE0EEENS1_30default_config_static_selectorELNS0_4arch9wavefront6targetE1EEEvT1_,comdat
.Lfunc_end1364:
	.size	_ZN7rocprim17ROCPRIM_400000_NS6detail17trampoline_kernelINS0_14default_configENS1_25partition_config_selectorILNS1_17partition_subalgoE9EllbEEZZNS1_14partition_implILS5_9ELb0ES3_jPlS8_PNS0_10empty_typeENS0_5tupleIJS8_S9_EEENSB_IJS8_SA_EEENS0_18inequality_wrapperIZN2at6native12_GLOBAL__N_124unique_dim_cuda_templateIN3c104HalfEEESt5tupleIJNSF_6TensorESM_SM_EERKSM_lbbbEUlllE0_EEPmJS9_EEE10hipError_tPvRmT3_T4_T5_T6_T7_T9_mT8_P12ihipStream_tbDpT10_ENKUlT_T0_E_clISt17integral_constantIbLb0EES1B_IbLb1EEEEDaS17_S18_EUlS17_E_NS1_11comp_targetILNS1_3genE3ELNS1_11target_archE908ELNS1_3gpuE7ELNS1_3repE0EEENS1_30default_config_static_selectorELNS0_4arch9wavefront6targetE1EEEvT1_, .Lfunc_end1364-_ZN7rocprim17ROCPRIM_400000_NS6detail17trampoline_kernelINS0_14default_configENS1_25partition_config_selectorILNS1_17partition_subalgoE9EllbEEZZNS1_14partition_implILS5_9ELb0ES3_jPlS8_PNS0_10empty_typeENS0_5tupleIJS8_S9_EEENSB_IJS8_SA_EEENS0_18inequality_wrapperIZN2at6native12_GLOBAL__N_124unique_dim_cuda_templateIN3c104HalfEEESt5tupleIJNSF_6TensorESM_SM_EERKSM_lbbbEUlllE0_EEPmJS9_EEE10hipError_tPvRmT3_T4_T5_T6_T7_T9_mT8_P12ihipStream_tbDpT10_ENKUlT_T0_E_clISt17integral_constantIbLb0EES1B_IbLb1EEEEDaS17_S18_EUlS17_E_NS1_11comp_targetILNS1_3genE3ELNS1_11target_archE908ELNS1_3gpuE7ELNS1_3repE0EEENS1_30default_config_static_selectorELNS0_4arch9wavefront6targetE1EEEvT1_
                                        ; -- End function
	.section	.AMDGPU.csdata,"",@progbits
; Kernel info:
; codeLenInByte = 0
; NumSgprs: 6
; NumVgprs: 0
; NumAgprs: 0
; TotalNumVgprs: 0
; ScratchSize: 0
; MemoryBound: 0
; FloatMode: 240
; IeeeMode: 1
; LDSByteSize: 0 bytes/workgroup (compile time only)
; SGPRBlocks: 0
; VGPRBlocks: 0
; NumSGPRsForWavesPerEU: 6
; NumVGPRsForWavesPerEU: 1
; AccumOffset: 4
; Occupancy: 8
; WaveLimiterHint : 0
; COMPUTE_PGM_RSRC2:SCRATCH_EN: 0
; COMPUTE_PGM_RSRC2:USER_SGPR: 2
; COMPUTE_PGM_RSRC2:TRAP_HANDLER: 0
; COMPUTE_PGM_RSRC2:TGID_X_EN: 1
; COMPUTE_PGM_RSRC2:TGID_Y_EN: 0
; COMPUTE_PGM_RSRC2:TGID_Z_EN: 0
; COMPUTE_PGM_RSRC2:TIDIG_COMP_CNT: 0
; COMPUTE_PGM_RSRC3_GFX90A:ACCUM_OFFSET: 0
; COMPUTE_PGM_RSRC3_GFX90A:TG_SPLIT: 0
	.section	.text._ZN7rocprim17ROCPRIM_400000_NS6detail17trampoline_kernelINS0_14default_configENS1_25partition_config_selectorILNS1_17partition_subalgoE9EllbEEZZNS1_14partition_implILS5_9ELb0ES3_jPlS8_PNS0_10empty_typeENS0_5tupleIJS8_S9_EEENSB_IJS8_SA_EEENS0_18inequality_wrapperIZN2at6native12_GLOBAL__N_124unique_dim_cuda_templateIN3c104HalfEEESt5tupleIJNSF_6TensorESM_SM_EERKSM_lbbbEUlllE0_EEPmJS9_EEE10hipError_tPvRmT3_T4_T5_T6_T7_T9_mT8_P12ihipStream_tbDpT10_ENKUlT_T0_E_clISt17integral_constantIbLb0EES1B_IbLb1EEEEDaS17_S18_EUlS17_E_NS1_11comp_targetILNS1_3genE2ELNS1_11target_archE906ELNS1_3gpuE6ELNS1_3repE0EEENS1_30default_config_static_selectorELNS0_4arch9wavefront6targetE1EEEvT1_,"axG",@progbits,_ZN7rocprim17ROCPRIM_400000_NS6detail17trampoline_kernelINS0_14default_configENS1_25partition_config_selectorILNS1_17partition_subalgoE9EllbEEZZNS1_14partition_implILS5_9ELb0ES3_jPlS8_PNS0_10empty_typeENS0_5tupleIJS8_S9_EEENSB_IJS8_SA_EEENS0_18inequality_wrapperIZN2at6native12_GLOBAL__N_124unique_dim_cuda_templateIN3c104HalfEEESt5tupleIJNSF_6TensorESM_SM_EERKSM_lbbbEUlllE0_EEPmJS9_EEE10hipError_tPvRmT3_T4_T5_T6_T7_T9_mT8_P12ihipStream_tbDpT10_ENKUlT_T0_E_clISt17integral_constantIbLb0EES1B_IbLb1EEEEDaS17_S18_EUlS17_E_NS1_11comp_targetILNS1_3genE2ELNS1_11target_archE906ELNS1_3gpuE6ELNS1_3repE0EEENS1_30default_config_static_selectorELNS0_4arch9wavefront6targetE1EEEvT1_,comdat
	.globl	_ZN7rocprim17ROCPRIM_400000_NS6detail17trampoline_kernelINS0_14default_configENS1_25partition_config_selectorILNS1_17partition_subalgoE9EllbEEZZNS1_14partition_implILS5_9ELb0ES3_jPlS8_PNS0_10empty_typeENS0_5tupleIJS8_S9_EEENSB_IJS8_SA_EEENS0_18inequality_wrapperIZN2at6native12_GLOBAL__N_124unique_dim_cuda_templateIN3c104HalfEEESt5tupleIJNSF_6TensorESM_SM_EERKSM_lbbbEUlllE0_EEPmJS9_EEE10hipError_tPvRmT3_T4_T5_T6_T7_T9_mT8_P12ihipStream_tbDpT10_ENKUlT_T0_E_clISt17integral_constantIbLb0EES1B_IbLb1EEEEDaS17_S18_EUlS17_E_NS1_11comp_targetILNS1_3genE2ELNS1_11target_archE906ELNS1_3gpuE6ELNS1_3repE0EEENS1_30default_config_static_selectorELNS0_4arch9wavefront6targetE1EEEvT1_ ; -- Begin function _ZN7rocprim17ROCPRIM_400000_NS6detail17trampoline_kernelINS0_14default_configENS1_25partition_config_selectorILNS1_17partition_subalgoE9EllbEEZZNS1_14partition_implILS5_9ELb0ES3_jPlS8_PNS0_10empty_typeENS0_5tupleIJS8_S9_EEENSB_IJS8_SA_EEENS0_18inequality_wrapperIZN2at6native12_GLOBAL__N_124unique_dim_cuda_templateIN3c104HalfEEESt5tupleIJNSF_6TensorESM_SM_EERKSM_lbbbEUlllE0_EEPmJS9_EEE10hipError_tPvRmT3_T4_T5_T6_T7_T9_mT8_P12ihipStream_tbDpT10_ENKUlT_T0_E_clISt17integral_constantIbLb0EES1B_IbLb1EEEEDaS17_S18_EUlS17_E_NS1_11comp_targetILNS1_3genE2ELNS1_11target_archE906ELNS1_3gpuE6ELNS1_3repE0EEENS1_30default_config_static_selectorELNS0_4arch9wavefront6targetE1EEEvT1_
	.p2align	8
	.type	_ZN7rocprim17ROCPRIM_400000_NS6detail17trampoline_kernelINS0_14default_configENS1_25partition_config_selectorILNS1_17partition_subalgoE9EllbEEZZNS1_14partition_implILS5_9ELb0ES3_jPlS8_PNS0_10empty_typeENS0_5tupleIJS8_S9_EEENSB_IJS8_SA_EEENS0_18inequality_wrapperIZN2at6native12_GLOBAL__N_124unique_dim_cuda_templateIN3c104HalfEEESt5tupleIJNSF_6TensorESM_SM_EERKSM_lbbbEUlllE0_EEPmJS9_EEE10hipError_tPvRmT3_T4_T5_T6_T7_T9_mT8_P12ihipStream_tbDpT10_ENKUlT_T0_E_clISt17integral_constantIbLb0EES1B_IbLb1EEEEDaS17_S18_EUlS17_E_NS1_11comp_targetILNS1_3genE2ELNS1_11target_archE906ELNS1_3gpuE6ELNS1_3repE0EEENS1_30default_config_static_selectorELNS0_4arch9wavefront6targetE1EEEvT1_,@function
_ZN7rocprim17ROCPRIM_400000_NS6detail17trampoline_kernelINS0_14default_configENS1_25partition_config_selectorILNS1_17partition_subalgoE9EllbEEZZNS1_14partition_implILS5_9ELb0ES3_jPlS8_PNS0_10empty_typeENS0_5tupleIJS8_S9_EEENSB_IJS8_SA_EEENS0_18inequality_wrapperIZN2at6native12_GLOBAL__N_124unique_dim_cuda_templateIN3c104HalfEEESt5tupleIJNSF_6TensorESM_SM_EERKSM_lbbbEUlllE0_EEPmJS9_EEE10hipError_tPvRmT3_T4_T5_T6_T7_T9_mT8_P12ihipStream_tbDpT10_ENKUlT_T0_E_clISt17integral_constantIbLb0EES1B_IbLb1EEEEDaS17_S18_EUlS17_E_NS1_11comp_targetILNS1_3genE2ELNS1_11target_archE906ELNS1_3gpuE6ELNS1_3repE0EEENS1_30default_config_static_selectorELNS0_4arch9wavefront6targetE1EEEvT1_: ; @_ZN7rocprim17ROCPRIM_400000_NS6detail17trampoline_kernelINS0_14default_configENS1_25partition_config_selectorILNS1_17partition_subalgoE9EllbEEZZNS1_14partition_implILS5_9ELb0ES3_jPlS8_PNS0_10empty_typeENS0_5tupleIJS8_S9_EEENSB_IJS8_SA_EEENS0_18inequality_wrapperIZN2at6native12_GLOBAL__N_124unique_dim_cuda_templateIN3c104HalfEEESt5tupleIJNSF_6TensorESM_SM_EERKSM_lbbbEUlllE0_EEPmJS9_EEE10hipError_tPvRmT3_T4_T5_T6_T7_T9_mT8_P12ihipStream_tbDpT10_ENKUlT_T0_E_clISt17integral_constantIbLb0EES1B_IbLb1EEEEDaS17_S18_EUlS17_E_NS1_11comp_targetILNS1_3genE2ELNS1_11target_archE906ELNS1_3gpuE6ELNS1_3repE0EEENS1_30default_config_static_selectorELNS0_4arch9wavefront6targetE1EEEvT1_
; %bb.0:
	.section	.rodata,"a",@progbits
	.p2align	6, 0x0
	.amdhsa_kernel _ZN7rocprim17ROCPRIM_400000_NS6detail17trampoline_kernelINS0_14default_configENS1_25partition_config_selectorILNS1_17partition_subalgoE9EllbEEZZNS1_14partition_implILS5_9ELb0ES3_jPlS8_PNS0_10empty_typeENS0_5tupleIJS8_S9_EEENSB_IJS8_SA_EEENS0_18inequality_wrapperIZN2at6native12_GLOBAL__N_124unique_dim_cuda_templateIN3c104HalfEEESt5tupleIJNSF_6TensorESM_SM_EERKSM_lbbbEUlllE0_EEPmJS9_EEE10hipError_tPvRmT3_T4_T5_T6_T7_T9_mT8_P12ihipStream_tbDpT10_ENKUlT_T0_E_clISt17integral_constantIbLb0EES1B_IbLb1EEEEDaS17_S18_EUlS17_E_NS1_11comp_targetILNS1_3genE2ELNS1_11target_archE906ELNS1_3gpuE6ELNS1_3repE0EEENS1_30default_config_static_selectorELNS0_4arch9wavefront6targetE1EEEvT1_
		.amdhsa_group_segment_fixed_size 0
		.amdhsa_private_segment_fixed_size 0
		.amdhsa_kernarg_size 136
		.amdhsa_user_sgpr_count 2
		.amdhsa_user_sgpr_dispatch_ptr 0
		.amdhsa_user_sgpr_queue_ptr 0
		.amdhsa_user_sgpr_kernarg_segment_ptr 1
		.amdhsa_user_sgpr_dispatch_id 0
		.amdhsa_user_sgpr_kernarg_preload_length 0
		.amdhsa_user_sgpr_kernarg_preload_offset 0
		.amdhsa_user_sgpr_private_segment_size 0
		.amdhsa_uses_dynamic_stack 0
		.amdhsa_enable_private_segment 0
		.amdhsa_system_sgpr_workgroup_id_x 1
		.amdhsa_system_sgpr_workgroup_id_y 0
		.amdhsa_system_sgpr_workgroup_id_z 0
		.amdhsa_system_sgpr_workgroup_info 0
		.amdhsa_system_vgpr_workitem_id 0
		.amdhsa_next_free_vgpr 1
		.amdhsa_next_free_sgpr 0
		.amdhsa_accum_offset 4
		.amdhsa_reserve_vcc 0
		.amdhsa_float_round_mode_32 0
		.amdhsa_float_round_mode_16_64 0
		.amdhsa_float_denorm_mode_32 3
		.amdhsa_float_denorm_mode_16_64 3
		.amdhsa_dx10_clamp 1
		.amdhsa_ieee_mode 1
		.amdhsa_fp16_overflow 0
		.amdhsa_tg_split 0
		.amdhsa_exception_fp_ieee_invalid_op 0
		.amdhsa_exception_fp_denorm_src 0
		.amdhsa_exception_fp_ieee_div_zero 0
		.amdhsa_exception_fp_ieee_overflow 0
		.amdhsa_exception_fp_ieee_underflow 0
		.amdhsa_exception_fp_ieee_inexact 0
		.amdhsa_exception_int_div_zero 0
	.end_amdhsa_kernel
	.section	.text._ZN7rocprim17ROCPRIM_400000_NS6detail17trampoline_kernelINS0_14default_configENS1_25partition_config_selectorILNS1_17partition_subalgoE9EllbEEZZNS1_14partition_implILS5_9ELb0ES3_jPlS8_PNS0_10empty_typeENS0_5tupleIJS8_S9_EEENSB_IJS8_SA_EEENS0_18inequality_wrapperIZN2at6native12_GLOBAL__N_124unique_dim_cuda_templateIN3c104HalfEEESt5tupleIJNSF_6TensorESM_SM_EERKSM_lbbbEUlllE0_EEPmJS9_EEE10hipError_tPvRmT3_T4_T5_T6_T7_T9_mT8_P12ihipStream_tbDpT10_ENKUlT_T0_E_clISt17integral_constantIbLb0EES1B_IbLb1EEEEDaS17_S18_EUlS17_E_NS1_11comp_targetILNS1_3genE2ELNS1_11target_archE906ELNS1_3gpuE6ELNS1_3repE0EEENS1_30default_config_static_selectorELNS0_4arch9wavefront6targetE1EEEvT1_,"axG",@progbits,_ZN7rocprim17ROCPRIM_400000_NS6detail17trampoline_kernelINS0_14default_configENS1_25partition_config_selectorILNS1_17partition_subalgoE9EllbEEZZNS1_14partition_implILS5_9ELb0ES3_jPlS8_PNS0_10empty_typeENS0_5tupleIJS8_S9_EEENSB_IJS8_SA_EEENS0_18inequality_wrapperIZN2at6native12_GLOBAL__N_124unique_dim_cuda_templateIN3c104HalfEEESt5tupleIJNSF_6TensorESM_SM_EERKSM_lbbbEUlllE0_EEPmJS9_EEE10hipError_tPvRmT3_T4_T5_T6_T7_T9_mT8_P12ihipStream_tbDpT10_ENKUlT_T0_E_clISt17integral_constantIbLb0EES1B_IbLb1EEEEDaS17_S18_EUlS17_E_NS1_11comp_targetILNS1_3genE2ELNS1_11target_archE906ELNS1_3gpuE6ELNS1_3repE0EEENS1_30default_config_static_selectorELNS0_4arch9wavefront6targetE1EEEvT1_,comdat
.Lfunc_end1365:
	.size	_ZN7rocprim17ROCPRIM_400000_NS6detail17trampoline_kernelINS0_14default_configENS1_25partition_config_selectorILNS1_17partition_subalgoE9EllbEEZZNS1_14partition_implILS5_9ELb0ES3_jPlS8_PNS0_10empty_typeENS0_5tupleIJS8_S9_EEENSB_IJS8_SA_EEENS0_18inequality_wrapperIZN2at6native12_GLOBAL__N_124unique_dim_cuda_templateIN3c104HalfEEESt5tupleIJNSF_6TensorESM_SM_EERKSM_lbbbEUlllE0_EEPmJS9_EEE10hipError_tPvRmT3_T4_T5_T6_T7_T9_mT8_P12ihipStream_tbDpT10_ENKUlT_T0_E_clISt17integral_constantIbLb0EES1B_IbLb1EEEEDaS17_S18_EUlS17_E_NS1_11comp_targetILNS1_3genE2ELNS1_11target_archE906ELNS1_3gpuE6ELNS1_3repE0EEENS1_30default_config_static_selectorELNS0_4arch9wavefront6targetE1EEEvT1_, .Lfunc_end1365-_ZN7rocprim17ROCPRIM_400000_NS6detail17trampoline_kernelINS0_14default_configENS1_25partition_config_selectorILNS1_17partition_subalgoE9EllbEEZZNS1_14partition_implILS5_9ELb0ES3_jPlS8_PNS0_10empty_typeENS0_5tupleIJS8_S9_EEENSB_IJS8_SA_EEENS0_18inequality_wrapperIZN2at6native12_GLOBAL__N_124unique_dim_cuda_templateIN3c104HalfEEESt5tupleIJNSF_6TensorESM_SM_EERKSM_lbbbEUlllE0_EEPmJS9_EEE10hipError_tPvRmT3_T4_T5_T6_T7_T9_mT8_P12ihipStream_tbDpT10_ENKUlT_T0_E_clISt17integral_constantIbLb0EES1B_IbLb1EEEEDaS17_S18_EUlS17_E_NS1_11comp_targetILNS1_3genE2ELNS1_11target_archE906ELNS1_3gpuE6ELNS1_3repE0EEENS1_30default_config_static_selectorELNS0_4arch9wavefront6targetE1EEEvT1_
                                        ; -- End function
	.section	.AMDGPU.csdata,"",@progbits
; Kernel info:
; codeLenInByte = 0
; NumSgprs: 6
; NumVgprs: 0
; NumAgprs: 0
; TotalNumVgprs: 0
; ScratchSize: 0
; MemoryBound: 0
; FloatMode: 240
; IeeeMode: 1
; LDSByteSize: 0 bytes/workgroup (compile time only)
; SGPRBlocks: 0
; VGPRBlocks: 0
; NumSGPRsForWavesPerEU: 6
; NumVGPRsForWavesPerEU: 1
; AccumOffset: 4
; Occupancy: 8
; WaveLimiterHint : 0
; COMPUTE_PGM_RSRC2:SCRATCH_EN: 0
; COMPUTE_PGM_RSRC2:USER_SGPR: 2
; COMPUTE_PGM_RSRC2:TRAP_HANDLER: 0
; COMPUTE_PGM_RSRC2:TGID_X_EN: 1
; COMPUTE_PGM_RSRC2:TGID_Y_EN: 0
; COMPUTE_PGM_RSRC2:TGID_Z_EN: 0
; COMPUTE_PGM_RSRC2:TIDIG_COMP_CNT: 0
; COMPUTE_PGM_RSRC3_GFX90A:ACCUM_OFFSET: 0
; COMPUTE_PGM_RSRC3_GFX90A:TG_SPLIT: 0
	.section	.text._ZN7rocprim17ROCPRIM_400000_NS6detail17trampoline_kernelINS0_14default_configENS1_25partition_config_selectorILNS1_17partition_subalgoE9EllbEEZZNS1_14partition_implILS5_9ELb0ES3_jPlS8_PNS0_10empty_typeENS0_5tupleIJS8_S9_EEENSB_IJS8_SA_EEENS0_18inequality_wrapperIZN2at6native12_GLOBAL__N_124unique_dim_cuda_templateIN3c104HalfEEESt5tupleIJNSF_6TensorESM_SM_EERKSM_lbbbEUlllE0_EEPmJS9_EEE10hipError_tPvRmT3_T4_T5_T6_T7_T9_mT8_P12ihipStream_tbDpT10_ENKUlT_T0_E_clISt17integral_constantIbLb0EES1B_IbLb1EEEEDaS17_S18_EUlS17_E_NS1_11comp_targetILNS1_3genE10ELNS1_11target_archE1200ELNS1_3gpuE4ELNS1_3repE0EEENS1_30default_config_static_selectorELNS0_4arch9wavefront6targetE1EEEvT1_,"axG",@progbits,_ZN7rocprim17ROCPRIM_400000_NS6detail17trampoline_kernelINS0_14default_configENS1_25partition_config_selectorILNS1_17partition_subalgoE9EllbEEZZNS1_14partition_implILS5_9ELb0ES3_jPlS8_PNS0_10empty_typeENS0_5tupleIJS8_S9_EEENSB_IJS8_SA_EEENS0_18inequality_wrapperIZN2at6native12_GLOBAL__N_124unique_dim_cuda_templateIN3c104HalfEEESt5tupleIJNSF_6TensorESM_SM_EERKSM_lbbbEUlllE0_EEPmJS9_EEE10hipError_tPvRmT3_T4_T5_T6_T7_T9_mT8_P12ihipStream_tbDpT10_ENKUlT_T0_E_clISt17integral_constantIbLb0EES1B_IbLb1EEEEDaS17_S18_EUlS17_E_NS1_11comp_targetILNS1_3genE10ELNS1_11target_archE1200ELNS1_3gpuE4ELNS1_3repE0EEENS1_30default_config_static_selectorELNS0_4arch9wavefront6targetE1EEEvT1_,comdat
	.globl	_ZN7rocprim17ROCPRIM_400000_NS6detail17trampoline_kernelINS0_14default_configENS1_25partition_config_selectorILNS1_17partition_subalgoE9EllbEEZZNS1_14partition_implILS5_9ELb0ES3_jPlS8_PNS0_10empty_typeENS0_5tupleIJS8_S9_EEENSB_IJS8_SA_EEENS0_18inequality_wrapperIZN2at6native12_GLOBAL__N_124unique_dim_cuda_templateIN3c104HalfEEESt5tupleIJNSF_6TensorESM_SM_EERKSM_lbbbEUlllE0_EEPmJS9_EEE10hipError_tPvRmT3_T4_T5_T6_T7_T9_mT8_P12ihipStream_tbDpT10_ENKUlT_T0_E_clISt17integral_constantIbLb0EES1B_IbLb1EEEEDaS17_S18_EUlS17_E_NS1_11comp_targetILNS1_3genE10ELNS1_11target_archE1200ELNS1_3gpuE4ELNS1_3repE0EEENS1_30default_config_static_selectorELNS0_4arch9wavefront6targetE1EEEvT1_ ; -- Begin function _ZN7rocprim17ROCPRIM_400000_NS6detail17trampoline_kernelINS0_14default_configENS1_25partition_config_selectorILNS1_17partition_subalgoE9EllbEEZZNS1_14partition_implILS5_9ELb0ES3_jPlS8_PNS0_10empty_typeENS0_5tupleIJS8_S9_EEENSB_IJS8_SA_EEENS0_18inequality_wrapperIZN2at6native12_GLOBAL__N_124unique_dim_cuda_templateIN3c104HalfEEESt5tupleIJNSF_6TensorESM_SM_EERKSM_lbbbEUlllE0_EEPmJS9_EEE10hipError_tPvRmT3_T4_T5_T6_T7_T9_mT8_P12ihipStream_tbDpT10_ENKUlT_T0_E_clISt17integral_constantIbLb0EES1B_IbLb1EEEEDaS17_S18_EUlS17_E_NS1_11comp_targetILNS1_3genE10ELNS1_11target_archE1200ELNS1_3gpuE4ELNS1_3repE0EEENS1_30default_config_static_selectorELNS0_4arch9wavefront6targetE1EEEvT1_
	.p2align	8
	.type	_ZN7rocprim17ROCPRIM_400000_NS6detail17trampoline_kernelINS0_14default_configENS1_25partition_config_selectorILNS1_17partition_subalgoE9EllbEEZZNS1_14partition_implILS5_9ELb0ES3_jPlS8_PNS0_10empty_typeENS0_5tupleIJS8_S9_EEENSB_IJS8_SA_EEENS0_18inequality_wrapperIZN2at6native12_GLOBAL__N_124unique_dim_cuda_templateIN3c104HalfEEESt5tupleIJNSF_6TensorESM_SM_EERKSM_lbbbEUlllE0_EEPmJS9_EEE10hipError_tPvRmT3_T4_T5_T6_T7_T9_mT8_P12ihipStream_tbDpT10_ENKUlT_T0_E_clISt17integral_constantIbLb0EES1B_IbLb1EEEEDaS17_S18_EUlS17_E_NS1_11comp_targetILNS1_3genE10ELNS1_11target_archE1200ELNS1_3gpuE4ELNS1_3repE0EEENS1_30default_config_static_selectorELNS0_4arch9wavefront6targetE1EEEvT1_,@function
_ZN7rocprim17ROCPRIM_400000_NS6detail17trampoline_kernelINS0_14default_configENS1_25partition_config_selectorILNS1_17partition_subalgoE9EllbEEZZNS1_14partition_implILS5_9ELb0ES3_jPlS8_PNS0_10empty_typeENS0_5tupleIJS8_S9_EEENSB_IJS8_SA_EEENS0_18inequality_wrapperIZN2at6native12_GLOBAL__N_124unique_dim_cuda_templateIN3c104HalfEEESt5tupleIJNSF_6TensorESM_SM_EERKSM_lbbbEUlllE0_EEPmJS9_EEE10hipError_tPvRmT3_T4_T5_T6_T7_T9_mT8_P12ihipStream_tbDpT10_ENKUlT_T0_E_clISt17integral_constantIbLb0EES1B_IbLb1EEEEDaS17_S18_EUlS17_E_NS1_11comp_targetILNS1_3genE10ELNS1_11target_archE1200ELNS1_3gpuE4ELNS1_3repE0EEENS1_30default_config_static_selectorELNS0_4arch9wavefront6targetE1EEEvT1_: ; @_ZN7rocprim17ROCPRIM_400000_NS6detail17trampoline_kernelINS0_14default_configENS1_25partition_config_selectorILNS1_17partition_subalgoE9EllbEEZZNS1_14partition_implILS5_9ELb0ES3_jPlS8_PNS0_10empty_typeENS0_5tupleIJS8_S9_EEENSB_IJS8_SA_EEENS0_18inequality_wrapperIZN2at6native12_GLOBAL__N_124unique_dim_cuda_templateIN3c104HalfEEESt5tupleIJNSF_6TensorESM_SM_EERKSM_lbbbEUlllE0_EEPmJS9_EEE10hipError_tPvRmT3_T4_T5_T6_T7_T9_mT8_P12ihipStream_tbDpT10_ENKUlT_T0_E_clISt17integral_constantIbLb0EES1B_IbLb1EEEEDaS17_S18_EUlS17_E_NS1_11comp_targetILNS1_3genE10ELNS1_11target_archE1200ELNS1_3gpuE4ELNS1_3repE0EEENS1_30default_config_static_selectorELNS0_4arch9wavefront6targetE1EEEvT1_
; %bb.0:
	.section	.rodata,"a",@progbits
	.p2align	6, 0x0
	.amdhsa_kernel _ZN7rocprim17ROCPRIM_400000_NS6detail17trampoline_kernelINS0_14default_configENS1_25partition_config_selectorILNS1_17partition_subalgoE9EllbEEZZNS1_14partition_implILS5_9ELb0ES3_jPlS8_PNS0_10empty_typeENS0_5tupleIJS8_S9_EEENSB_IJS8_SA_EEENS0_18inequality_wrapperIZN2at6native12_GLOBAL__N_124unique_dim_cuda_templateIN3c104HalfEEESt5tupleIJNSF_6TensorESM_SM_EERKSM_lbbbEUlllE0_EEPmJS9_EEE10hipError_tPvRmT3_T4_T5_T6_T7_T9_mT8_P12ihipStream_tbDpT10_ENKUlT_T0_E_clISt17integral_constantIbLb0EES1B_IbLb1EEEEDaS17_S18_EUlS17_E_NS1_11comp_targetILNS1_3genE10ELNS1_11target_archE1200ELNS1_3gpuE4ELNS1_3repE0EEENS1_30default_config_static_selectorELNS0_4arch9wavefront6targetE1EEEvT1_
		.amdhsa_group_segment_fixed_size 0
		.amdhsa_private_segment_fixed_size 0
		.amdhsa_kernarg_size 136
		.amdhsa_user_sgpr_count 2
		.amdhsa_user_sgpr_dispatch_ptr 0
		.amdhsa_user_sgpr_queue_ptr 0
		.amdhsa_user_sgpr_kernarg_segment_ptr 1
		.amdhsa_user_sgpr_dispatch_id 0
		.amdhsa_user_sgpr_kernarg_preload_length 0
		.amdhsa_user_sgpr_kernarg_preload_offset 0
		.amdhsa_user_sgpr_private_segment_size 0
		.amdhsa_uses_dynamic_stack 0
		.amdhsa_enable_private_segment 0
		.amdhsa_system_sgpr_workgroup_id_x 1
		.amdhsa_system_sgpr_workgroup_id_y 0
		.amdhsa_system_sgpr_workgroup_id_z 0
		.amdhsa_system_sgpr_workgroup_info 0
		.amdhsa_system_vgpr_workitem_id 0
		.amdhsa_next_free_vgpr 1
		.amdhsa_next_free_sgpr 0
		.amdhsa_accum_offset 4
		.amdhsa_reserve_vcc 0
		.amdhsa_float_round_mode_32 0
		.amdhsa_float_round_mode_16_64 0
		.amdhsa_float_denorm_mode_32 3
		.amdhsa_float_denorm_mode_16_64 3
		.amdhsa_dx10_clamp 1
		.amdhsa_ieee_mode 1
		.amdhsa_fp16_overflow 0
		.amdhsa_tg_split 0
		.amdhsa_exception_fp_ieee_invalid_op 0
		.amdhsa_exception_fp_denorm_src 0
		.amdhsa_exception_fp_ieee_div_zero 0
		.amdhsa_exception_fp_ieee_overflow 0
		.amdhsa_exception_fp_ieee_underflow 0
		.amdhsa_exception_fp_ieee_inexact 0
		.amdhsa_exception_int_div_zero 0
	.end_amdhsa_kernel
	.section	.text._ZN7rocprim17ROCPRIM_400000_NS6detail17trampoline_kernelINS0_14default_configENS1_25partition_config_selectorILNS1_17partition_subalgoE9EllbEEZZNS1_14partition_implILS5_9ELb0ES3_jPlS8_PNS0_10empty_typeENS0_5tupleIJS8_S9_EEENSB_IJS8_SA_EEENS0_18inequality_wrapperIZN2at6native12_GLOBAL__N_124unique_dim_cuda_templateIN3c104HalfEEESt5tupleIJNSF_6TensorESM_SM_EERKSM_lbbbEUlllE0_EEPmJS9_EEE10hipError_tPvRmT3_T4_T5_T6_T7_T9_mT8_P12ihipStream_tbDpT10_ENKUlT_T0_E_clISt17integral_constantIbLb0EES1B_IbLb1EEEEDaS17_S18_EUlS17_E_NS1_11comp_targetILNS1_3genE10ELNS1_11target_archE1200ELNS1_3gpuE4ELNS1_3repE0EEENS1_30default_config_static_selectorELNS0_4arch9wavefront6targetE1EEEvT1_,"axG",@progbits,_ZN7rocprim17ROCPRIM_400000_NS6detail17trampoline_kernelINS0_14default_configENS1_25partition_config_selectorILNS1_17partition_subalgoE9EllbEEZZNS1_14partition_implILS5_9ELb0ES3_jPlS8_PNS0_10empty_typeENS0_5tupleIJS8_S9_EEENSB_IJS8_SA_EEENS0_18inequality_wrapperIZN2at6native12_GLOBAL__N_124unique_dim_cuda_templateIN3c104HalfEEESt5tupleIJNSF_6TensorESM_SM_EERKSM_lbbbEUlllE0_EEPmJS9_EEE10hipError_tPvRmT3_T4_T5_T6_T7_T9_mT8_P12ihipStream_tbDpT10_ENKUlT_T0_E_clISt17integral_constantIbLb0EES1B_IbLb1EEEEDaS17_S18_EUlS17_E_NS1_11comp_targetILNS1_3genE10ELNS1_11target_archE1200ELNS1_3gpuE4ELNS1_3repE0EEENS1_30default_config_static_selectorELNS0_4arch9wavefront6targetE1EEEvT1_,comdat
.Lfunc_end1366:
	.size	_ZN7rocprim17ROCPRIM_400000_NS6detail17trampoline_kernelINS0_14default_configENS1_25partition_config_selectorILNS1_17partition_subalgoE9EllbEEZZNS1_14partition_implILS5_9ELb0ES3_jPlS8_PNS0_10empty_typeENS0_5tupleIJS8_S9_EEENSB_IJS8_SA_EEENS0_18inequality_wrapperIZN2at6native12_GLOBAL__N_124unique_dim_cuda_templateIN3c104HalfEEESt5tupleIJNSF_6TensorESM_SM_EERKSM_lbbbEUlllE0_EEPmJS9_EEE10hipError_tPvRmT3_T4_T5_T6_T7_T9_mT8_P12ihipStream_tbDpT10_ENKUlT_T0_E_clISt17integral_constantIbLb0EES1B_IbLb1EEEEDaS17_S18_EUlS17_E_NS1_11comp_targetILNS1_3genE10ELNS1_11target_archE1200ELNS1_3gpuE4ELNS1_3repE0EEENS1_30default_config_static_selectorELNS0_4arch9wavefront6targetE1EEEvT1_, .Lfunc_end1366-_ZN7rocprim17ROCPRIM_400000_NS6detail17trampoline_kernelINS0_14default_configENS1_25partition_config_selectorILNS1_17partition_subalgoE9EllbEEZZNS1_14partition_implILS5_9ELb0ES3_jPlS8_PNS0_10empty_typeENS0_5tupleIJS8_S9_EEENSB_IJS8_SA_EEENS0_18inequality_wrapperIZN2at6native12_GLOBAL__N_124unique_dim_cuda_templateIN3c104HalfEEESt5tupleIJNSF_6TensorESM_SM_EERKSM_lbbbEUlllE0_EEPmJS9_EEE10hipError_tPvRmT3_T4_T5_T6_T7_T9_mT8_P12ihipStream_tbDpT10_ENKUlT_T0_E_clISt17integral_constantIbLb0EES1B_IbLb1EEEEDaS17_S18_EUlS17_E_NS1_11comp_targetILNS1_3genE10ELNS1_11target_archE1200ELNS1_3gpuE4ELNS1_3repE0EEENS1_30default_config_static_selectorELNS0_4arch9wavefront6targetE1EEEvT1_
                                        ; -- End function
	.section	.AMDGPU.csdata,"",@progbits
; Kernel info:
; codeLenInByte = 0
; NumSgprs: 6
; NumVgprs: 0
; NumAgprs: 0
; TotalNumVgprs: 0
; ScratchSize: 0
; MemoryBound: 0
; FloatMode: 240
; IeeeMode: 1
; LDSByteSize: 0 bytes/workgroup (compile time only)
; SGPRBlocks: 0
; VGPRBlocks: 0
; NumSGPRsForWavesPerEU: 6
; NumVGPRsForWavesPerEU: 1
; AccumOffset: 4
; Occupancy: 8
; WaveLimiterHint : 0
; COMPUTE_PGM_RSRC2:SCRATCH_EN: 0
; COMPUTE_PGM_RSRC2:USER_SGPR: 2
; COMPUTE_PGM_RSRC2:TRAP_HANDLER: 0
; COMPUTE_PGM_RSRC2:TGID_X_EN: 1
; COMPUTE_PGM_RSRC2:TGID_Y_EN: 0
; COMPUTE_PGM_RSRC2:TGID_Z_EN: 0
; COMPUTE_PGM_RSRC2:TIDIG_COMP_CNT: 0
; COMPUTE_PGM_RSRC3_GFX90A:ACCUM_OFFSET: 0
; COMPUTE_PGM_RSRC3_GFX90A:TG_SPLIT: 0
	.section	.text._ZN7rocprim17ROCPRIM_400000_NS6detail17trampoline_kernelINS0_14default_configENS1_25partition_config_selectorILNS1_17partition_subalgoE9EllbEEZZNS1_14partition_implILS5_9ELb0ES3_jPlS8_PNS0_10empty_typeENS0_5tupleIJS8_S9_EEENSB_IJS8_SA_EEENS0_18inequality_wrapperIZN2at6native12_GLOBAL__N_124unique_dim_cuda_templateIN3c104HalfEEESt5tupleIJNSF_6TensorESM_SM_EERKSM_lbbbEUlllE0_EEPmJS9_EEE10hipError_tPvRmT3_T4_T5_T6_T7_T9_mT8_P12ihipStream_tbDpT10_ENKUlT_T0_E_clISt17integral_constantIbLb0EES1B_IbLb1EEEEDaS17_S18_EUlS17_E_NS1_11comp_targetILNS1_3genE9ELNS1_11target_archE1100ELNS1_3gpuE3ELNS1_3repE0EEENS1_30default_config_static_selectorELNS0_4arch9wavefront6targetE1EEEvT1_,"axG",@progbits,_ZN7rocprim17ROCPRIM_400000_NS6detail17trampoline_kernelINS0_14default_configENS1_25partition_config_selectorILNS1_17partition_subalgoE9EllbEEZZNS1_14partition_implILS5_9ELb0ES3_jPlS8_PNS0_10empty_typeENS0_5tupleIJS8_S9_EEENSB_IJS8_SA_EEENS0_18inequality_wrapperIZN2at6native12_GLOBAL__N_124unique_dim_cuda_templateIN3c104HalfEEESt5tupleIJNSF_6TensorESM_SM_EERKSM_lbbbEUlllE0_EEPmJS9_EEE10hipError_tPvRmT3_T4_T5_T6_T7_T9_mT8_P12ihipStream_tbDpT10_ENKUlT_T0_E_clISt17integral_constantIbLb0EES1B_IbLb1EEEEDaS17_S18_EUlS17_E_NS1_11comp_targetILNS1_3genE9ELNS1_11target_archE1100ELNS1_3gpuE3ELNS1_3repE0EEENS1_30default_config_static_selectorELNS0_4arch9wavefront6targetE1EEEvT1_,comdat
	.globl	_ZN7rocprim17ROCPRIM_400000_NS6detail17trampoline_kernelINS0_14default_configENS1_25partition_config_selectorILNS1_17partition_subalgoE9EllbEEZZNS1_14partition_implILS5_9ELb0ES3_jPlS8_PNS0_10empty_typeENS0_5tupleIJS8_S9_EEENSB_IJS8_SA_EEENS0_18inequality_wrapperIZN2at6native12_GLOBAL__N_124unique_dim_cuda_templateIN3c104HalfEEESt5tupleIJNSF_6TensorESM_SM_EERKSM_lbbbEUlllE0_EEPmJS9_EEE10hipError_tPvRmT3_T4_T5_T6_T7_T9_mT8_P12ihipStream_tbDpT10_ENKUlT_T0_E_clISt17integral_constantIbLb0EES1B_IbLb1EEEEDaS17_S18_EUlS17_E_NS1_11comp_targetILNS1_3genE9ELNS1_11target_archE1100ELNS1_3gpuE3ELNS1_3repE0EEENS1_30default_config_static_selectorELNS0_4arch9wavefront6targetE1EEEvT1_ ; -- Begin function _ZN7rocprim17ROCPRIM_400000_NS6detail17trampoline_kernelINS0_14default_configENS1_25partition_config_selectorILNS1_17partition_subalgoE9EllbEEZZNS1_14partition_implILS5_9ELb0ES3_jPlS8_PNS0_10empty_typeENS0_5tupleIJS8_S9_EEENSB_IJS8_SA_EEENS0_18inequality_wrapperIZN2at6native12_GLOBAL__N_124unique_dim_cuda_templateIN3c104HalfEEESt5tupleIJNSF_6TensorESM_SM_EERKSM_lbbbEUlllE0_EEPmJS9_EEE10hipError_tPvRmT3_T4_T5_T6_T7_T9_mT8_P12ihipStream_tbDpT10_ENKUlT_T0_E_clISt17integral_constantIbLb0EES1B_IbLb1EEEEDaS17_S18_EUlS17_E_NS1_11comp_targetILNS1_3genE9ELNS1_11target_archE1100ELNS1_3gpuE3ELNS1_3repE0EEENS1_30default_config_static_selectorELNS0_4arch9wavefront6targetE1EEEvT1_
	.p2align	8
	.type	_ZN7rocprim17ROCPRIM_400000_NS6detail17trampoline_kernelINS0_14default_configENS1_25partition_config_selectorILNS1_17partition_subalgoE9EllbEEZZNS1_14partition_implILS5_9ELb0ES3_jPlS8_PNS0_10empty_typeENS0_5tupleIJS8_S9_EEENSB_IJS8_SA_EEENS0_18inequality_wrapperIZN2at6native12_GLOBAL__N_124unique_dim_cuda_templateIN3c104HalfEEESt5tupleIJNSF_6TensorESM_SM_EERKSM_lbbbEUlllE0_EEPmJS9_EEE10hipError_tPvRmT3_T4_T5_T6_T7_T9_mT8_P12ihipStream_tbDpT10_ENKUlT_T0_E_clISt17integral_constantIbLb0EES1B_IbLb1EEEEDaS17_S18_EUlS17_E_NS1_11comp_targetILNS1_3genE9ELNS1_11target_archE1100ELNS1_3gpuE3ELNS1_3repE0EEENS1_30default_config_static_selectorELNS0_4arch9wavefront6targetE1EEEvT1_,@function
_ZN7rocprim17ROCPRIM_400000_NS6detail17trampoline_kernelINS0_14default_configENS1_25partition_config_selectorILNS1_17partition_subalgoE9EllbEEZZNS1_14partition_implILS5_9ELb0ES3_jPlS8_PNS0_10empty_typeENS0_5tupleIJS8_S9_EEENSB_IJS8_SA_EEENS0_18inequality_wrapperIZN2at6native12_GLOBAL__N_124unique_dim_cuda_templateIN3c104HalfEEESt5tupleIJNSF_6TensorESM_SM_EERKSM_lbbbEUlllE0_EEPmJS9_EEE10hipError_tPvRmT3_T4_T5_T6_T7_T9_mT8_P12ihipStream_tbDpT10_ENKUlT_T0_E_clISt17integral_constantIbLb0EES1B_IbLb1EEEEDaS17_S18_EUlS17_E_NS1_11comp_targetILNS1_3genE9ELNS1_11target_archE1100ELNS1_3gpuE3ELNS1_3repE0EEENS1_30default_config_static_selectorELNS0_4arch9wavefront6targetE1EEEvT1_: ; @_ZN7rocprim17ROCPRIM_400000_NS6detail17trampoline_kernelINS0_14default_configENS1_25partition_config_selectorILNS1_17partition_subalgoE9EllbEEZZNS1_14partition_implILS5_9ELb0ES3_jPlS8_PNS0_10empty_typeENS0_5tupleIJS8_S9_EEENSB_IJS8_SA_EEENS0_18inequality_wrapperIZN2at6native12_GLOBAL__N_124unique_dim_cuda_templateIN3c104HalfEEESt5tupleIJNSF_6TensorESM_SM_EERKSM_lbbbEUlllE0_EEPmJS9_EEE10hipError_tPvRmT3_T4_T5_T6_T7_T9_mT8_P12ihipStream_tbDpT10_ENKUlT_T0_E_clISt17integral_constantIbLb0EES1B_IbLb1EEEEDaS17_S18_EUlS17_E_NS1_11comp_targetILNS1_3genE9ELNS1_11target_archE1100ELNS1_3gpuE3ELNS1_3repE0EEENS1_30default_config_static_selectorELNS0_4arch9wavefront6targetE1EEEvT1_
; %bb.0:
	.section	.rodata,"a",@progbits
	.p2align	6, 0x0
	.amdhsa_kernel _ZN7rocprim17ROCPRIM_400000_NS6detail17trampoline_kernelINS0_14default_configENS1_25partition_config_selectorILNS1_17partition_subalgoE9EllbEEZZNS1_14partition_implILS5_9ELb0ES3_jPlS8_PNS0_10empty_typeENS0_5tupleIJS8_S9_EEENSB_IJS8_SA_EEENS0_18inequality_wrapperIZN2at6native12_GLOBAL__N_124unique_dim_cuda_templateIN3c104HalfEEESt5tupleIJNSF_6TensorESM_SM_EERKSM_lbbbEUlllE0_EEPmJS9_EEE10hipError_tPvRmT3_T4_T5_T6_T7_T9_mT8_P12ihipStream_tbDpT10_ENKUlT_T0_E_clISt17integral_constantIbLb0EES1B_IbLb1EEEEDaS17_S18_EUlS17_E_NS1_11comp_targetILNS1_3genE9ELNS1_11target_archE1100ELNS1_3gpuE3ELNS1_3repE0EEENS1_30default_config_static_selectorELNS0_4arch9wavefront6targetE1EEEvT1_
		.amdhsa_group_segment_fixed_size 0
		.amdhsa_private_segment_fixed_size 0
		.amdhsa_kernarg_size 136
		.amdhsa_user_sgpr_count 2
		.amdhsa_user_sgpr_dispatch_ptr 0
		.amdhsa_user_sgpr_queue_ptr 0
		.amdhsa_user_sgpr_kernarg_segment_ptr 1
		.amdhsa_user_sgpr_dispatch_id 0
		.amdhsa_user_sgpr_kernarg_preload_length 0
		.amdhsa_user_sgpr_kernarg_preload_offset 0
		.amdhsa_user_sgpr_private_segment_size 0
		.amdhsa_uses_dynamic_stack 0
		.amdhsa_enable_private_segment 0
		.amdhsa_system_sgpr_workgroup_id_x 1
		.amdhsa_system_sgpr_workgroup_id_y 0
		.amdhsa_system_sgpr_workgroup_id_z 0
		.amdhsa_system_sgpr_workgroup_info 0
		.amdhsa_system_vgpr_workitem_id 0
		.amdhsa_next_free_vgpr 1
		.amdhsa_next_free_sgpr 0
		.amdhsa_accum_offset 4
		.amdhsa_reserve_vcc 0
		.amdhsa_float_round_mode_32 0
		.amdhsa_float_round_mode_16_64 0
		.amdhsa_float_denorm_mode_32 3
		.amdhsa_float_denorm_mode_16_64 3
		.amdhsa_dx10_clamp 1
		.amdhsa_ieee_mode 1
		.amdhsa_fp16_overflow 0
		.amdhsa_tg_split 0
		.amdhsa_exception_fp_ieee_invalid_op 0
		.amdhsa_exception_fp_denorm_src 0
		.amdhsa_exception_fp_ieee_div_zero 0
		.amdhsa_exception_fp_ieee_overflow 0
		.amdhsa_exception_fp_ieee_underflow 0
		.amdhsa_exception_fp_ieee_inexact 0
		.amdhsa_exception_int_div_zero 0
	.end_amdhsa_kernel
	.section	.text._ZN7rocprim17ROCPRIM_400000_NS6detail17trampoline_kernelINS0_14default_configENS1_25partition_config_selectorILNS1_17partition_subalgoE9EllbEEZZNS1_14partition_implILS5_9ELb0ES3_jPlS8_PNS0_10empty_typeENS0_5tupleIJS8_S9_EEENSB_IJS8_SA_EEENS0_18inequality_wrapperIZN2at6native12_GLOBAL__N_124unique_dim_cuda_templateIN3c104HalfEEESt5tupleIJNSF_6TensorESM_SM_EERKSM_lbbbEUlllE0_EEPmJS9_EEE10hipError_tPvRmT3_T4_T5_T6_T7_T9_mT8_P12ihipStream_tbDpT10_ENKUlT_T0_E_clISt17integral_constantIbLb0EES1B_IbLb1EEEEDaS17_S18_EUlS17_E_NS1_11comp_targetILNS1_3genE9ELNS1_11target_archE1100ELNS1_3gpuE3ELNS1_3repE0EEENS1_30default_config_static_selectorELNS0_4arch9wavefront6targetE1EEEvT1_,"axG",@progbits,_ZN7rocprim17ROCPRIM_400000_NS6detail17trampoline_kernelINS0_14default_configENS1_25partition_config_selectorILNS1_17partition_subalgoE9EllbEEZZNS1_14partition_implILS5_9ELb0ES3_jPlS8_PNS0_10empty_typeENS0_5tupleIJS8_S9_EEENSB_IJS8_SA_EEENS0_18inequality_wrapperIZN2at6native12_GLOBAL__N_124unique_dim_cuda_templateIN3c104HalfEEESt5tupleIJNSF_6TensorESM_SM_EERKSM_lbbbEUlllE0_EEPmJS9_EEE10hipError_tPvRmT3_T4_T5_T6_T7_T9_mT8_P12ihipStream_tbDpT10_ENKUlT_T0_E_clISt17integral_constantIbLb0EES1B_IbLb1EEEEDaS17_S18_EUlS17_E_NS1_11comp_targetILNS1_3genE9ELNS1_11target_archE1100ELNS1_3gpuE3ELNS1_3repE0EEENS1_30default_config_static_selectorELNS0_4arch9wavefront6targetE1EEEvT1_,comdat
.Lfunc_end1367:
	.size	_ZN7rocprim17ROCPRIM_400000_NS6detail17trampoline_kernelINS0_14default_configENS1_25partition_config_selectorILNS1_17partition_subalgoE9EllbEEZZNS1_14partition_implILS5_9ELb0ES3_jPlS8_PNS0_10empty_typeENS0_5tupleIJS8_S9_EEENSB_IJS8_SA_EEENS0_18inequality_wrapperIZN2at6native12_GLOBAL__N_124unique_dim_cuda_templateIN3c104HalfEEESt5tupleIJNSF_6TensorESM_SM_EERKSM_lbbbEUlllE0_EEPmJS9_EEE10hipError_tPvRmT3_T4_T5_T6_T7_T9_mT8_P12ihipStream_tbDpT10_ENKUlT_T0_E_clISt17integral_constantIbLb0EES1B_IbLb1EEEEDaS17_S18_EUlS17_E_NS1_11comp_targetILNS1_3genE9ELNS1_11target_archE1100ELNS1_3gpuE3ELNS1_3repE0EEENS1_30default_config_static_selectorELNS0_4arch9wavefront6targetE1EEEvT1_, .Lfunc_end1367-_ZN7rocprim17ROCPRIM_400000_NS6detail17trampoline_kernelINS0_14default_configENS1_25partition_config_selectorILNS1_17partition_subalgoE9EllbEEZZNS1_14partition_implILS5_9ELb0ES3_jPlS8_PNS0_10empty_typeENS0_5tupleIJS8_S9_EEENSB_IJS8_SA_EEENS0_18inequality_wrapperIZN2at6native12_GLOBAL__N_124unique_dim_cuda_templateIN3c104HalfEEESt5tupleIJNSF_6TensorESM_SM_EERKSM_lbbbEUlllE0_EEPmJS9_EEE10hipError_tPvRmT3_T4_T5_T6_T7_T9_mT8_P12ihipStream_tbDpT10_ENKUlT_T0_E_clISt17integral_constantIbLb0EES1B_IbLb1EEEEDaS17_S18_EUlS17_E_NS1_11comp_targetILNS1_3genE9ELNS1_11target_archE1100ELNS1_3gpuE3ELNS1_3repE0EEENS1_30default_config_static_selectorELNS0_4arch9wavefront6targetE1EEEvT1_
                                        ; -- End function
	.section	.AMDGPU.csdata,"",@progbits
; Kernel info:
; codeLenInByte = 0
; NumSgprs: 6
; NumVgprs: 0
; NumAgprs: 0
; TotalNumVgprs: 0
; ScratchSize: 0
; MemoryBound: 0
; FloatMode: 240
; IeeeMode: 1
; LDSByteSize: 0 bytes/workgroup (compile time only)
; SGPRBlocks: 0
; VGPRBlocks: 0
; NumSGPRsForWavesPerEU: 6
; NumVGPRsForWavesPerEU: 1
; AccumOffset: 4
; Occupancy: 8
; WaveLimiterHint : 0
; COMPUTE_PGM_RSRC2:SCRATCH_EN: 0
; COMPUTE_PGM_RSRC2:USER_SGPR: 2
; COMPUTE_PGM_RSRC2:TRAP_HANDLER: 0
; COMPUTE_PGM_RSRC2:TGID_X_EN: 1
; COMPUTE_PGM_RSRC2:TGID_Y_EN: 0
; COMPUTE_PGM_RSRC2:TGID_Z_EN: 0
; COMPUTE_PGM_RSRC2:TIDIG_COMP_CNT: 0
; COMPUTE_PGM_RSRC3_GFX90A:ACCUM_OFFSET: 0
; COMPUTE_PGM_RSRC3_GFX90A:TG_SPLIT: 0
	.section	.text._ZN7rocprim17ROCPRIM_400000_NS6detail17trampoline_kernelINS0_14default_configENS1_25partition_config_selectorILNS1_17partition_subalgoE9EllbEEZZNS1_14partition_implILS5_9ELb0ES3_jPlS8_PNS0_10empty_typeENS0_5tupleIJS8_S9_EEENSB_IJS8_SA_EEENS0_18inequality_wrapperIZN2at6native12_GLOBAL__N_124unique_dim_cuda_templateIN3c104HalfEEESt5tupleIJNSF_6TensorESM_SM_EERKSM_lbbbEUlllE0_EEPmJS9_EEE10hipError_tPvRmT3_T4_T5_T6_T7_T9_mT8_P12ihipStream_tbDpT10_ENKUlT_T0_E_clISt17integral_constantIbLb0EES1B_IbLb1EEEEDaS17_S18_EUlS17_E_NS1_11comp_targetILNS1_3genE8ELNS1_11target_archE1030ELNS1_3gpuE2ELNS1_3repE0EEENS1_30default_config_static_selectorELNS0_4arch9wavefront6targetE1EEEvT1_,"axG",@progbits,_ZN7rocprim17ROCPRIM_400000_NS6detail17trampoline_kernelINS0_14default_configENS1_25partition_config_selectorILNS1_17partition_subalgoE9EllbEEZZNS1_14partition_implILS5_9ELb0ES3_jPlS8_PNS0_10empty_typeENS0_5tupleIJS8_S9_EEENSB_IJS8_SA_EEENS0_18inequality_wrapperIZN2at6native12_GLOBAL__N_124unique_dim_cuda_templateIN3c104HalfEEESt5tupleIJNSF_6TensorESM_SM_EERKSM_lbbbEUlllE0_EEPmJS9_EEE10hipError_tPvRmT3_T4_T5_T6_T7_T9_mT8_P12ihipStream_tbDpT10_ENKUlT_T0_E_clISt17integral_constantIbLb0EES1B_IbLb1EEEEDaS17_S18_EUlS17_E_NS1_11comp_targetILNS1_3genE8ELNS1_11target_archE1030ELNS1_3gpuE2ELNS1_3repE0EEENS1_30default_config_static_selectorELNS0_4arch9wavefront6targetE1EEEvT1_,comdat
	.globl	_ZN7rocprim17ROCPRIM_400000_NS6detail17trampoline_kernelINS0_14default_configENS1_25partition_config_selectorILNS1_17partition_subalgoE9EllbEEZZNS1_14partition_implILS5_9ELb0ES3_jPlS8_PNS0_10empty_typeENS0_5tupleIJS8_S9_EEENSB_IJS8_SA_EEENS0_18inequality_wrapperIZN2at6native12_GLOBAL__N_124unique_dim_cuda_templateIN3c104HalfEEESt5tupleIJNSF_6TensorESM_SM_EERKSM_lbbbEUlllE0_EEPmJS9_EEE10hipError_tPvRmT3_T4_T5_T6_T7_T9_mT8_P12ihipStream_tbDpT10_ENKUlT_T0_E_clISt17integral_constantIbLb0EES1B_IbLb1EEEEDaS17_S18_EUlS17_E_NS1_11comp_targetILNS1_3genE8ELNS1_11target_archE1030ELNS1_3gpuE2ELNS1_3repE0EEENS1_30default_config_static_selectorELNS0_4arch9wavefront6targetE1EEEvT1_ ; -- Begin function _ZN7rocprim17ROCPRIM_400000_NS6detail17trampoline_kernelINS0_14default_configENS1_25partition_config_selectorILNS1_17partition_subalgoE9EllbEEZZNS1_14partition_implILS5_9ELb0ES3_jPlS8_PNS0_10empty_typeENS0_5tupleIJS8_S9_EEENSB_IJS8_SA_EEENS0_18inequality_wrapperIZN2at6native12_GLOBAL__N_124unique_dim_cuda_templateIN3c104HalfEEESt5tupleIJNSF_6TensorESM_SM_EERKSM_lbbbEUlllE0_EEPmJS9_EEE10hipError_tPvRmT3_T4_T5_T6_T7_T9_mT8_P12ihipStream_tbDpT10_ENKUlT_T0_E_clISt17integral_constantIbLb0EES1B_IbLb1EEEEDaS17_S18_EUlS17_E_NS1_11comp_targetILNS1_3genE8ELNS1_11target_archE1030ELNS1_3gpuE2ELNS1_3repE0EEENS1_30default_config_static_selectorELNS0_4arch9wavefront6targetE1EEEvT1_
	.p2align	8
	.type	_ZN7rocprim17ROCPRIM_400000_NS6detail17trampoline_kernelINS0_14default_configENS1_25partition_config_selectorILNS1_17partition_subalgoE9EllbEEZZNS1_14partition_implILS5_9ELb0ES3_jPlS8_PNS0_10empty_typeENS0_5tupleIJS8_S9_EEENSB_IJS8_SA_EEENS0_18inequality_wrapperIZN2at6native12_GLOBAL__N_124unique_dim_cuda_templateIN3c104HalfEEESt5tupleIJNSF_6TensorESM_SM_EERKSM_lbbbEUlllE0_EEPmJS9_EEE10hipError_tPvRmT3_T4_T5_T6_T7_T9_mT8_P12ihipStream_tbDpT10_ENKUlT_T0_E_clISt17integral_constantIbLb0EES1B_IbLb1EEEEDaS17_S18_EUlS17_E_NS1_11comp_targetILNS1_3genE8ELNS1_11target_archE1030ELNS1_3gpuE2ELNS1_3repE0EEENS1_30default_config_static_selectorELNS0_4arch9wavefront6targetE1EEEvT1_,@function
_ZN7rocprim17ROCPRIM_400000_NS6detail17trampoline_kernelINS0_14default_configENS1_25partition_config_selectorILNS1_17partition_subalgoE9EllbEEZZNS1_14partition_implILS5_9ELb0ES3_jPlS8_PNS0_10empty_typeENS0_5tupleIJS8_S9_EEENSB_IJS8_SA_EEENS0_18inequality_wrapperIZN2at6native12_GLOBAL__N_124unique_dim_cuda_templateIN3c104HalfEEESt5tupleIJNSF_6TensorESM_SM_EERKSM_lbbbEUlllE0_EEPmJS9_EEE10hipError_tPvRmT3_T4_T5_T6_T7_T9_mT8_P12ihipStream_tbDpT10_ENKUlT_T0_E_clISt17integral_constantIbLb0EES1B_IbLb1EEEEDaS17_S18_EUlS17_E_NS1_11comp_targetILNS1_3genE8ELNS1_11target_archE1030ELNS1_3gpuE2ELNS1_3repE0EEENS1_30default_config_static_selectorELNS0_4arch9wavefront6targetE1EEEvT1_: ; @_ZN7rocprim17ROCPRIM_400000_NS6detail17trampoline_kernelINS0_14default_configENS1_25partition_config_selectorILNS1_17partition_subalgoE9EllbEEZZNS1_14partition_implILS5_9ELb0ES3_jPlS8_PNS0_10empty_typeENS0_5tupleIJS8_S9_EEENSB_IJS8_SA_EEENS0_18inequality_wrapperIZN2at6native12_GLOBAL__N_124unique_dim_cuda_templateIN3c104HalfEEESt5tupleIJNSF_6TensorESM_SM_EERKSM_lbbbEUlllE0_EEPmJS9_EEE10hipError_tPvRmT3_T4_T5_T6_T7_T9_mT8_P12ihipStream_tbDpT10_ENKUlT_T0_E_clISt17integral_constantIbLb0EES1B_IbLb1EEEEDaS17_S18_EUlS17_E_NS1_11comp_targetILNS1_3genE8ELNS1_11target_archE1030ELNS1_3gpuE2ELNS1_3repE0EEENS1_30default_config_static_selectorELNS0_4arch9wavefront6targetE1EEEvT1_
; %bb.0:
	.section	.rodata,"a",@progbits
	.p2align	6, 0x0
	.amdhsa_kernel _ZN7rocprim17ROCPRIM_400000_NS6detail17trampoline_kernelINS0_14default_configENS1_25partition_config_selectorILNS1_17partition_subalgoE9EllbEEZZNS1_14partition_implILS5_9ELb0ES3_jPlS8_PNS0_10empty_typeENS0_5tupleIJS8_S9_EEENSB_IJS8_SA_EEENS0_18inequality_wrapperIZN2at6native12_GLOBAL__N_124unique_dim_cuda_templateIN3c104HalfEEESt5tupleIJNSF_6TensorESM_SM_EERKSM_lbbbEUlllE0_EEPmJS9_EEE10hipError_tPvRmT3_T4_T5_T6_T7_T9_mT8_P12ihipStream_tbDpT10_ENKUlT_T0_E_clISt17integral_constantIbLb0EES1B_IbLb1EEEEDaS17_S18_EUlS17_E_NS1_11comp_targetILNS1_3genE8ELNS1_11target_archE1030ELNS1_3gpuE2ELNS1_3repE0EEENS1_30default_config_static_selectorELNS0_4arch9wavefront6targetE1EEEvT1_
		.amdhsa_group_segment_fixed_size 0
		.amdhsa_private_segment_fixed_size 0
		.amdhsa_kernarg_size 136
		.amdhsa_user_sgpr_count 2
		.amdhsa_user_sgpr_dispatch_ptr 0
		.amdhsa_user_sgpr_queue_ptr 0
		.amdhsa_user_sgpr_kernarg_segment_ptr 1
		.amdhsa_user_sgpr_dispatch_id 0
		.amdhsa_user_sgpr_kernarg_preload_length 0
		.amdhsa_user_sgpr_kernarg_preload_offset 0
		.amdhsa_user_sgpr_private_segment_size 0
		.amdhsa_uses_dynamic_stack 0
		.amdhsa_enable_private_segment 0
		.amdhsa_system_sgpr_workgroup_id_x 1
		.amdhsa_system_sgpr_workgroup_id_y 0
		.amdhsa_system_sgpr_workgroup_id_z 0
		.amdhsa_system_sgpr_workgroup_info 0
		.amdhsa_system_vgpr_workitem_id 0
		.amdhsa_next_free_vgpr 1
		.amdhsa_next_free_sgpr 0
		.amdhsa_accum_offset 4
		.amdhsa_reserve_vcc 0
		.amdhsa_float_round_mode_32 0
		.amdhsa_float_round_mode_16_64 0
		.amdhsa_float_denorm_mode_32 3
		.amdhsa_float_denorm_mode_16_64 3
		.amdhsa_dx10_clamp 1
		.amdhsa_ieee_mode 1
		.amdhsa_fp16_overflow 0
		.amdhsa_tg_split 0
		.amdhsa_exception_fp_ieee_invalid_op 0
		.amdhsa_exception_fp_denorm_src 0
		.amdhsa_exception_fp_ieee_div_zero 0
		.amdhsa_exception_fp_ieee_overflow 0
		.amdhsa_exception_fp_ieee_underflow 0
		.amdhsa_exception_fp_ieee_inexact 0
		.amdhsa_exception_int_div_zero 0
	.end_amdhsa_kernel
	.section	.text._ZN7rocprim17ROCPRIM_400000_NS6detail17trampoline_kernelINS0_14default_configENS1_25partition_config_selectorILNS1_17partition_subalgoE9EllbEEZZNS1_14partition_implILS5_9ELb0ES3_jPlS8_PNS0_10empty_typeENS0_5tupleIJS8_S9_EEENSB_IJS8_SA_EEENS0_18inequality_wrapperIZN2at6native12_GLOBAL__N_124unique_dim_cuda_templateIN3c104HalfEEESt5tupleIJNSF_6TensorESM_SM_EERKSM_lbbbEUlllE0_EEPmJS9_EEE10hipError_tPvRmT3_T4_T5_T6_T7_T9_mT8_P12ihipStream_tbDpT10_ENKUlT_T0_E_clISt17integral_constantIbLb0EES1B_IbLb1EEEEDaS17_S18_EUlS17_E_NS1_11comp_targetILNS1_3genE8ELNS1_11target_archE1030ELNS1_3gpuE2ELNS1_3repE0EEENS1_30default_config_static_selectorELNS0_4arch9wavefront6targetE1EEEvT1_,"axG",@progbits,_ZN7rocprim17ROCPRIM_400000_NS6detail17trampoline_kernelINS0_14default_configENS1_25partition_config_selectorILNS1_17partition_subalgoE9EllbEEZZNS1_14partition_implILS5_9ELb0ES3_jPlS8_PNS0_10empty_typeENS0_5tupleIJS8_S9_EEENSB_IJS8_SA_EEENS0_18inequality_wrapperIZN2at6native12_GLOBAL__N_124unique_dim_cuda_templateIN3c104HalfEEESt5tupleIJNSF_6TensorESM_SM_EERKSM_lbbbEUlllE0_EEPmJS9_EEE10hipError_tPvRmT3_T4_T5_T6_T7_T9_mT8_P12ihipStream_tbDpT10_ENKUlT_T0_E_clISt17integral_constantIbLb0EES1B_IbLb1EEEEDaS17_S18_EUlS17_E_NS1_11comp_targetILNS1_3genE8ELNS1_11target_archE1030ELNS1_3gpuE2ELNS1_3repE0EEENS1_30default_config_static_selectorELNS0_4arch9wavefront6targetE1EEEvT1_,comdat
.Lfunc_end1368:
	.size	_ZN7rocprim17ROCPRIM_400000_NS6detail17trampoline_kernelINS0_14default_configENS1_25partition_config_selectorILNS1_17partition_subalgoE9EllbEEZZNS1_14partition_implILS5_9ELb0ES3_jPlS8_PNS0_10empty_typeENS0_5tupleIJS8_S9_EEENSB_IJS8_SA_EEENS0_18inequality_wrapperIZN2at6native12_GLOBAL__N_124unique_dim_cuda_templateIN3c104HalfEEESt5tupleIJNSF_6TensorESM_SM_EERKSM_lbbbEUlllE0_EEPmJS9_EEE10hipError_tPvRmT3_T4_T5_T6_T7_T9_mT8_P12ihipStream_tbDpT10_ENKUlT_T0_E_clISt17integral_constantIbLb0EES1B_IbLb1EEEEDaS17_S18_EUlS17_E_NS1_11comp_targetILNS1_3genE8ELNS1_11target_archE1030ELNS1_3gpuE2ELNS1_3repE0EEENS1_30default_config_static_selectorELNS0_4arch9wavefront6targetE1EEEvT1_, .Lfunc_end1368-_ZN7rocprim17ROCPRIM_400000_NS6detail17trampoline_kernelINS0_14default_configENS1_25partition_config_selectorILNS1_17partition_subalgoE9EllbEEZZNS1_14partition_implILS5_9ELb0ES3_jPlS8_PNS0_10empty_typeENS0_5tupleIJS8_S9_EEENSB_IJS8_SA_EEENS0_18inequality_wrapperIZN2at6native12_GLOBAL__N_124unique_dim_cuda_templateIN3c104HalfEEESt5tupleIJNSF_6TensorESM_SM_EERKSM_lbbbEUlllE0_EEPmJS9_EEE10hipError_tPvRmT3_T4_T5_T6_T7_T9_mT8_P12ihipStream_tbDpT10_ENKUlT_T0_E_clISt17integral_constantIbLb0EES1B_IbLb1EEEEDaS17_S18_EUlS17_E_NS1_11comp_targetILNS1_3genE8ELNS1_11target_archE1030ELNS1_3gpuE2ELNS1_3repE0EEENS1_30default_config_static_selectorELNS0_4arch9wavefront6targetE1EEEvT1_
                                        ; -- End function
	.section	.AMDGPU.csdata,"",@progbits
; Kernel info:
; codeLenInByte = 0
; NumSgprs: 6
; NumVgprs: 0
; NumAgprs: 0
; TotalNumVgprs: 0
; ScratchSize: 0
; MemoryBound: 0
; FloatMode: 240
; IeeeMode: 1
; LDSByteSize: 0 bytes/workgroup (compile time only)
; SGPRBlocks: 0
; VGPRBlocks: 0
; NumSGPRsForWavesPerEU: 6
; NumVGPRsForWavesPerEU: 1
; AccumOffset: 4
; Occupancy: 8
; WaveLimiterHint : 0
; COMPUTE_PGM_RSRC2:SCRATCH_EN: 0
; COMPUTE_PGM_RSRC2:USER_SGPR: 2
; COMPUTE_PGM_RSRC2:TRAP_HANDLER: 0
; COMPUTE_PGM_RSRC2:TGID_X_EN: 1
; COMPUTE_PGM_RSRC2:TGID_Y_EN: 0
; COMPUTE_PGM_RSRC2:TGID_Z_EN: 0
; COMPUTE_PGM_RSRC2:TIDIG_COMP_CNT: 0
; COMPUTE_PGM_RSRC3_GFX90A:ACCUM_OFFSET: 0
; COMPUTE_PGM_RSRC3_GFX90A:TG_SPLIT: 0
	.section	.text._ZN7rocprim17ROCPRIM_400000_NS6detail17trampoline_kernelINS0_14default_configENS1_37merge_sort_block_sort_config_selectorIlNS0_10empty_typeEEEZNS1_21merge_sort_block_sortIS3_PlS8_PS5_S9_ZN2at6native12_GLOBAL__N_124unique_dim_cuda_templateItEESt5tupleIJNSA_6TensorESF_SF_EERKSF_lbbbEUlllE_EE10hipError_tT0_T1_T2_T3_mRjT4_P12ihipStream_tbNS1_7vsmem_tEEUlT_E_NS1_11comp_targetILNS1_3genE0ELNS1_11target_archE4294967295ELNS1_3gpuE0ELNS1_3repE0EEENS1_30default_config_static_selectorELNS0_4arch9wavefront6targetE1EEEvSM_,"axG",@progbits,_ZN7rocprim17ROCPRIM_400000_NS6detail17trampoline_kernelINS0_14default_configENS1_37merge_sort_block_sort_config_selectorIlNS0_10empty_typeEEEZNS1_21merge_sort_block_sortIS3_PlS8_PS5_S9_ZN2at6native12_GLOBAL__N_124unique_dim_cuda_templateItEESt5tupleIJNSA_6TensorESF_SF_EERKSF_lbbbEUlllE_EE10hipError_tT0_T1_T2_T3_mRjT4_P12ihipStream_tbNS1_7vsmem_tEEUlT_E_NS1_11comp_targetILNS1_3genE0ELNS1_11target_archE4294967295ELNS1_3gpuE0ELNS1_3repE0EEENS1_30default_config_static_selectorELNS0_4arch9wavefront6targetE1EEEvSM_,comdat
	.globl	_ZN7rocprim17ROCPRIM_400000_NS6detail17trampoline_kernelINS0_14default_configENS1_37merge_sort_block_sort_config_selectorIlNS0_10empty_typeEEEZNS1_21merge_sort_block_sortIS3_PlS8_PS5_S9_ZN2at6native12_GLOBAL__N_124unique_dim_cuda_templateItEESt5tupleIJNSA_6TensorESF_SF_EERKSF_lbbbEUlllE_EE10hipError_tT0_T1_T2_T3_mRjT4_P12ihipStream_tbNS1_7vsmem_tEEUlT_E_NS1_11comp_targetILNS1_3genE0ELNS1_11target_archE4294967295ELNS1_3gpuE0ELNS1_3repE0EEENS1_30default_config_static_selectorELNS0_4arch9wavefront6targetE1EEEvSM_ ; -- Begin function _ZN7rocprim17ROCPRIM_400000_NS6detail17trampoline_kernelINS0_14default_configENS1_37merge_sort_block_sort_config_selectorIlNS0_10empty_typeEEEZNS1_21merge_sort_block_sortIS3_PlS8_PS5_S9_ZN2at6native12_GLOBAL__N_124unique_dim_cuda_templateItEESt5tupleIJNSA_6TensorESF_SF_EERKSF_lbbbEUlllE_EE10hipError_tT0_T1_T2_T3_mRjT4_P12ihipStream_tbNS1_7vsmem_tEEUlT_E_NS1_11comp_targetILNS1_3genE0ELNS1_11target_archE4294967295ELNS1_3gpuE0ELNS1_3repE0EEENS1_30default_config_static_selectorELNS0_4arch9wavefront6targetE1EEEvSM_
	.p2align	8
	.type	_ZN7rocprim17ROCPRIM_400000_NS6detail17trampoline_kernelINS0_14default_configENS1_37merge_sort_block_sort_config_selectorIlNS0_10empty_typeEEEZNS1_21merge_sort_block_sortIS3_PlS8_PS5_S9_ZN2at6native12_GLOBAL__N_124unique_dim_cuda_templateItEESt5tupleIJNSA_6TensorESF_SF_EERKSF_lbbbEUlllE_EE10hipError_tT0_T1_T2_T3_mRjT4_P12ihipStream_tbNS1_7vsmem_tEEUlT_E_NS1_11comp_targetILNS1_3genE0ELNS1_11target_archE4294967295ELNS1_3gpuE0ELNS1_3repE0EEENS1_30default_config_static_selectorELNS0_4arch9wavefront6targetE1EEEvSM_,@function
_ZN7rocprim17ROCPRIM_400000_NS6detail17trampoline_kernelINS0_14default_configENS1_37merge_sort_block_sort_config_selectorIlNS0_10empty_typeEEEZNS1_21merge_sort_block_sortIS3_PlS8_PS5_S9_ZN2at6native12_GLOBAL__N_124unique_dim_cuda_templateItEESt5tupleIJNSA_6TensorESF_SF_EERKSF_lbbbEUlllE_EE10hipError_tT0_T1_T2_T3_mRjT4_P12ihipStream_tbNS1_7vsmem_tEEUlT_E_NS1_11comp_targetILNS1_3genE0ELNS1_11target_archE4294967295ELNS1_3gpuE0ELNS1_3repE0EEENS1_30default_config_static_selectorELNS0_4arch9wavefront6targetE1EEEvSM_: ; @_ZN7rocprim17ROCPRIM_400000_NS6detail17trampoline_kernelINS0_14default_configENS1_37merge_sort_block_sort_config_selectorIlNS0_10empty_typeEEEZNS1_21merge_sort_block_sortIS3_PlS8_PS5_S9_ZN2at6native12_GLOBAL__N_124unique_dim_cuda_templateItEESt5tupleIJNSA_6TensorESF_SF_EERKSF_lbbbEUlllE_EE10hipError_tT0_T1_T2_T3_mRjT4_P12ihipStream_tbNS1_7vsmem_tEEUlT_E_NS1_11comp_targetILNS1_3genE0ELNS1_11target_archE4294967295ELNS1_3gpuE0ELNS1_3repE0EEENS1_30default_config_static_selectorELNS0_4arch9wavefront6targetE1EEEvSM_
; %bb.0:
	.section	.rodata,"a",@progbits
	.p2align	6, 0x0
	.amdhsa_kernel _ZN7rocprim17ROCPRIM_400000_NS6detail17trampoline_kernelINS0_14default_configENS1_37merge_sort_block_sort_config_selectorIlNS0_10empty_typeEEEZNS1_21merge_sort_block_sortIS3_PlS8_PS5_S9_ZN2at6native12_GLOBAL__N_124unique_dim_cuda_templateItEESt5tupleIJNSA_6TensorESF_SF_EERKSF_lbbbEUlllE_EE10hipError_tT0_T1_T2_T3_mRjT4_P12ihipStream_tbNS1_7vsmem_tEEUlT_E_NS1_11comp_targetILNS1_3genE0ELNS1_11target_archE4294967295ELNS1_3gpuE0ELNS1_3repE0EEENS1_30default_config_static_selectorELNS0_4arch9wavefront6targetE1EEEvSM_
		.amdhsa_group_segment_fixed_size 0
		.amdhsa_private_segment_fixed_size 0
		.amdhsa_kernarg_size 72
		.amdhsa_user_sgpr_count 2
		.amdhsa_user_sgpr_dispatch_ptr 0
		.amdhsa_user_sgpr_queue_ptr 0
		.amdhsa_user_sgpr_kernarg_segment_ptr 1
		.amdhsa_user_sgpr_dispatch_id 0
		.amdhsa_user_sgpr_kernarg_preload_length 0
		.amdhsa_user_sgpr_kernarg_preload_offset 0
		.amdhsa_user_sgpr_private_segment_size 0
		.amdhsa_uses_dynamic_stack 0
		.amdhsa_enable_private_segment 0
		.amdhsa_system_sgpr_workgroup_id_x 1
		.amdhsa_system_sgpr_workgroup_id_y 0
		.amdhsa_system_sgpr_workgroup_id_z 0
		.amdhsa_system_sgpr_workgroup_info 0
		.amdhsa_system_vgpr_workitem_id 0
		.amdhsa_next_free_vgpr 1
		.amdhsa_next_free_sgpr 0
		.amdhsa_accum_offset 4
		.amdhsa_reserve_vcc 0
		.amdhsa_float_round_mode_32 0
		.amdhsa_float_round_mode_16_64 0
		.amdhsa_float_denorm_mode_32 3
		.amdhsa_float_denorm_mode_16_64 3
		.amdhsa_dx10_clamp 1
		.amdhsa_ieee_mode 1
		.amdhsa_fp16_overflow 0
		.amdhsa_tg_split 0
		.amdhsa_exception_fp_ieee_invalid_op 0
		.amdhsa_exception_fp_denorm_src 0
		.amdhsa_exception_fp_ieee_div_zero 0
		.amdhsa_exception_fp_ieee_overflow 0
		.amdhsa_exception_fp_ieee_underflow 0
		.amdhsa_exception_fp_ieee_inexact 0
		.amdhsa_exception_int_div_zero 0
	.end_amdhsa_kernel
	.section	.text._ZN7rocprim17ROCPRIM_400000_NS6detail17trampoline_kernelINS0_14default_configENS1_37merge_sort_block_sort_config_selectorIlNS0_10empty_typeEEEZNS1_21merge_sort_block_sortIS3_PlS8_PS5_S9_ZN2at6native12_GLOBAL__N_124unique_dim_cuda_templateItEESt5tupleIJNSA_6TensorESF_SF_EERKSF_lbbbEUlllE_EE10hipError_tT0_T1_T2_T3_mRjT4_P12ihipStream_tbNS1_7vsmem_tEEUlT_E_NS1_11comp_targetILNS1_3genE0ELNS1_11target_archE4294967295ELNS1_3gpuE0ELNS1_3repE0EEENS1_30default_config_static_selectorELNS0_4arch9wavefront6targetE1EEEvSM_,"axG",@progbits,_ZN7rocprim17ROCPRIM_400000_NS6detail17trampoline_kernelINS0_14default_configENS1_37merge_sort_block_sort_config_selectorIlNS0_10empty_typeEEEZNS1_21merge_sort_block_sortIS3_PlS8_PS5_S9_ZN2at6native12_GLOBAL__N_124unique_dim_cuda_templateItEESt5tupleIJNSA_6TensorESF_SF_EERKSF_lbbbEUlllE_EE10hipError_tT0_T1_T2_T3_mRjT4_P12ihipStream_tbNS1_7vsmem_tEEUlT_E_NS1_11comp_targetILNS1_3genE0ELNS1_11target_archE4294967295ELNS1_3gpuE0ELNS1_3repE0EEENS1_30default_config_static_selectorELNS0_4arch9wavefront6targetE1EEEvSM_,comdat
.Lfunc_end1369:
	.size	_ZN7rocprim17ROCPRIM_400000_NS6detail17trampoline_kernelINS0_14default_configENS1_37merge_sort_block_sort_config_selectorIlNS0_10empty_typeEEEZNS1_21merge_sort_block_sortIS3_PlS8_PS5_S9_ZN2at6native12_GLOBAL__N_124unique_dim_cuda_templateItEESt5tupleIJNSA_6TensorESF_SF_EERKSF_lbbbEUlllE_EE10hipError_tT0_T1_T2_T3_mRjT4_P12ihipStream_tbNS1_7vsmem_tEEUlT_E_NS1_11comp_targetILNS1_3genE0ELNS1_11target_archE4294967295ELNS1_3gpuE0ELNS1_3repE0EEENS1_30default_config_static_selectorELNS0_4arch9wavefront6targetE1EEEvSM_, .Lfunc_end1369-_ZN7rocprim17ROCPRIM_400000_NS6detail17trampoline_kernelINS0_14default_configENS1_37merge_sort_block_sort_config_selectorIlNS0_10empty_typeEEEZNS1_21merge_sort_block_sortIS3_PlS8_PS5_S9_ZN2at6native12_GLOBAL__N_124unique_dim_cuda_templateItEESt5tupleIJNSA_6TensorESF_SF_EERKSF_lbbbEUlllE_EE10hipError_tT0_T1_T2_T3_mRjT4_P12ihipStream_tbNS1_7vsmem_tEEUlT_E_NS1_11comp_targetILNS1_3genE0ELNS1_11target_archE4294967295ELNS1_3gpuE0ELNS1_3repE0EEENS1_30default_config_static_selectorELNS0_4arch9wavefront6targetE1EEEvSM_
                                        ; -- End function
	.section	.AMDGPU.csdata,"",@progbits
; Kernel info:
; codeLenInByte = 0
; NumSgprs: 6
; NumVgprs: 0
; NumAgprs: 0
; TotalNumVgprs: 0
; ScratchSize: 0
; MemoryBound: 0
; FloatMode: 240
; IeeeMode: 1
; LDSByteSize: 0 bytes/workgroup (compile time only)
; SGPRBlocks: 0
; VGPRBlocks: 0
; NumSGPRsForWavesPerEU: 6
; NumVGPRsForWavesPerEU: 1
; AccumOffset: 4
; Occupancy: 8
; WaveLimiterHint : 0
; COMPUTE_PGM_RSRC2:SCRATCH_EN: 0
; COMPUTE_PGM_RSRC2:USER_SGPR: 2
; COMPUTE_PGM_RSRC2:TRAP_HANDLER: 0
; COMPUTE_PGM_RSRC2:TGID_X_EN: 1
; COMPUTE_PGM_RSRC2:TGID_Y_EN: 0
; COMPUTE_PGM_RSRC2:TGID_Z_EN: 0
; COMPUTE_PGM_RSRC2:TIDIG_COMP_CNT: 0
; COMPUTE_PGM_RSRC3_GFX90A:ACCUM_OFFSET: 0
; COMPUTE_PGM_RSRC3_GFX90A:TG_SPLIT: 0
	.text
	.p2align	2                               ; -- Begin function _ZN7rocprim17ROCPRIM_400000_NS6detail15block_sort_implIlNS0_10empty_typeELj256ELj8ELNS0_4arch9wavefront6targetE1EvE4sortIPlS9_PS3_SA_ZN2at6native12_GLOBAL__N_124unique_dim_cuda_templateItEESt5tupleIJNSB_6TensorESG_SG_EERKSG_lbbbEUlllE_EEvjbT_T0_T1_T2_T3_RNS7_12storage_typeE
	.type	_ZN7rocprim17ROCPRIM_400000_NS6detail15block_sort_implIlNS0_10empty_typeELj256ELj8ELNS0_4arch9wavefront6targetE1EvE4sortIPlS9_PS3_SA_ZN2at6native12_GLOBAL__N_124unique_dim_cuda_templateItEESt5tupleIJNSB_6TensorESG_SG_EERKSG_lbbbEUlllE_EEvjbT_T0_T1_T2_T3_RNS7_12storage_typeE,@function
_ZN7rocprim17ROCPRIM_400000_NS6detail15block_sort_implIlNS0_10empty_typeELj256ELj8ELNS0_4arch9wavefront6targetE1EvE4sortIPlS9_PS3_SA_ZN2at6native12_GLOBAL__N_124unique_dim_cuda_templateItEESt5tupleIJNSB_6TensorESG_SG_EERKSG_lbbbEUlllE_EEvjbT_T0_T1_T2_T3_RNS7_12storage_typeE: ; @_ZN7rocprim17ROCPRIM_400000_NS6detail15block_sort_implIlNS0_10empty_typeELj256ELj8ELNS0_4arch9wavefront6targetE1EvE4sortIPlS9_PS3_SA_ZN2at6native12_GLOBAL__N_124unique_dim_cuda_templateItEESt5tupleIJNSB_6TensorESG_SG_EERKSG_lbbbEUlllE_EEvjbT_T0_T1_T2_T3_RNS7_12storage_typeE
; %bb.0:
	s_waitcnt vmcnt(0) expcnt(0) lgkmcnt(0)
	s_or_saveexec_b64 s[0:1], -1
	scratch_store_dword off, v40, s32       ; 4-byte Folded Spill
	s_mov_b64 exec, s[0:1]
	v_writelane_b32 v40, s34, 0
	v_writelane_b32 v40, s35, 1
	;; [unrolled: 1-line block ×36, first 2 shown]
	s_nop 1
	v_writelane_b32 v40, s31, 36
	v_and_b32_e32 v1, 1, v1
	v_cmp_eq_u32_e32 vcc, 1, v1
	v_and_b32_e32 v28, 0x3ff, v31
	s_xor_b64 s[0:1], vcc, -1
	s_mov_b64 s[38:39], 0
	v_bfe_u32 v64, v31, 10, 10
	v_bfe_u32 v65, v31, 20, 10
	v_lshlrev_b32_e32 v30, 3, v28
	v_lshrrev_b32_e32 v32, 5, v28
	v_lshrrev_b32_e32 v1, 2, v28
                                        ; implicit-def: $vgpr12_vgpr13
	s_and_saveexec_b64 s[2:3], s[0:1]
	s_xor_b64 s[6:7], exec, s[2:3]
	s_cbranch_execnz .LBB1370_5
; %bb.1:
	s_andn2_saveexec_b64 s[40:41], s[6:7]
	s_cbranch_execnz .LBB1370_705
.LBB1370_2:
	s_or_b64 exec, exec, s[40:41]
	s_and_saveexec_b64 s[0:1], s[38:39]
	s_cbranch_execz .LBB1370_4
.LBB1370_3:
	s_waitcnt vmcnt(0) lgkmcnt(0)
	v_lshl_add_u64 v[0:1], v[28:29], 3, v[4:5]
	v_add_co_u32_e32 v0, vcc, 0x3000, v0
	s_nop 1
	v_addc_co_u32_e32 v1, vcc, 0, v1, vcc
	flat_store_dwordx2 v[0:1], v[12:13] offset:2048
.LBB1370_4:
	s_or_b64 exec, exec, s[0:1]
	v_readlane_b32 s30, v40, 35
	v_readlane_b32 s31, v40, 36
	;; [unrolled: 1-line block ×37, first 2 shown]
	s_or_saveexec_b64 s[0:1], -1
	scratch_load_dword v40, off, s32        ; 4-byte Folded Reload
	s_mov_b64 exec, s[0:1]
	s_waitcnt vmcnt(0) lgkmcnt(0)
	s_setpc_b64 s[30:31]
.LBB1370_5:
	v_mov_b32_e32 v29, 0
	v_mov_b32_e32 v31, v29
	v_lshl_add_u64 v[2:3], v[2:3], 0, v[30:31]
	v_add_co_u32_e32 v12, vcc, 0x1000, v2
	v_add_u32_e32 v26, 0x200, v28
	s_nop 0
	v_addc_co_u32_e32 v13, vcc, 0, v3, vcc
	flat_load_dwordx2 v[14:15], v[2:3]
	flat_load_dwordx2 v[16:17], v[2:3] offset:2048
	flat_load_dwordx2 v[18:19], v[12:13]
	flat_load_dwordx2 v[20:21], v[12:13] offset:2048
	v_add_co_u32_e32 v12, vcc, 0x2000, v2
	v_add_u32_e32 v27, 0x300, v28
	s_nop 0
	v_addc_co_u32_e32 v13, vcc, 0, v3, vcc
	v_add_co_u32_e32 v2, vcc, 0x3000, v2
	v_or_b32_e32 v31, 0x400, v28
	s_nop 0
	v_addc_co_u32_e32 v3, vcc, 0, v3, vcc
	flat_load_dwordx2 v[22:23], v[12:13]
	flat_load_dwordx2 v[54:55], v[12:13] offset:2048
	flat_load_dwordx2 v[66:67], v[2:3]
	flat_load_dwordx2 v[68:69], v[2:3] offset:2048
	v_add_u32_e32 v3, 0x100, v28
	v_add_u32_e32 v34, 0x500, v28
	;; [unrolled: 1-line block ×4, first 2 shown]
	v_add_lshl_u32 v0, v32, v28, 3
	v_add_lshl_u32 v2, v1, v30, 3
	v_mov_b32_e32 v1, v29
	v_lshrrev_b32_e32 v12, 5, v3
	v_lshrrev_b32_e32 v32, 5, v26
	;; [unrolled: 1-line block ×7, first 2 shown]
	v_mov_b32_e32 v3, v29
	v_mov_b32_e32 v13, v29
	;; [unrolled: 1-line block ×8, first 2 shown]
	v_lshl_add_u64 v[24:25], v[10:11], 0, v[0:1]
	v_add_lshl_u32 v12, v12, v28, 3
	v_add_lshl_u32 v32, v32, v26, 3
	;; [unrolled: 1-line block ×7, first 2 shown]
	v_lshl_add_u64 v[52:53], v[10:11], 0, v[2:3]
	v_lshl_add_u64 v[26:27], v[10:11], 0, v[12:13]
	;; [unrolled: 1-line block ×8, first 2 shown]
	v_cmp_lt_i64_e32 vcc, 0, v[6:7]
	s_waitcnt vmcnt(0) lgkmcnt(0)
	flat_store_dwordx2 v[24:25], v[14:15]
	flat_store_dwordx2 v[26:27], v[16:17] offset:2048
	flat_store_dwordx2 v[34:35], v[18:19]
	flat_store_dwordx2 v[32:33], v[20:21]
	;; [unrolled: 1-line block ×6, first 2 shown]
	s_waitcnt lgkmcnt(0)
	s_barrier
	flat_load_dwordx4 v[20:23], v[52:53]
	flat_load_dwordx4 v[16:19], v[52:53] offset:16
	flat_load_dwordx4 v[12:15], v[52:53] offset:32
	;; [unrolled: 1-line block ×3, first 2 shown]
	s_waitcnt lgkmcnt(0)
	s_barrier
	s_load_dwordx2 s[0:1], s[8:9], 0x0
	s_waitcnt lgkmcnt(0)
	s_cmp_lt_u32 s12, s0
	s_cselect_b32 s2, 12, 18
	s_cmp_lt_u32 s13, s1
	s_cselect_b32 s0, 14, 20
	s_add_u32 s0, s8, s0
	s_addc_u32 s1, s9, 0
	s_add_u32 s2, s8, s2
	s_addc_u32 s3, s9, 0
	global_load_ushort v31, v29, s[0:1]
	global_load_ushort v54, v29, s[2:3]
	s_movk_i32 s0, 0x800
	s_waitcnt vmcnt(0)
	v_mad_u32_u24 v31, v65, v31, v64
	v_mul_lo_u32 v31, v31, v54
	v_add_lshl_u32 v31, v31, v28, 3
	v_cmp_gt_u32_e64 s[0:1], s0, v31
	s_and_saveexec_b64 s[10:11], s[0:1]
	s_cbranch_execz .LBB1370_231
; %bb.6:
	s_and_saveexec_b64 s[14:15], vcc
	s_cbranch_execnz .LBB1370_34
; %bb.7:
	s_or_b64 exec, exec, s[14:15]
	s_and_saveexec_b64 s[14:15], vcc
	s_cbranch_execnz .LBB1370_41
.LBB1370_8:
	s_or_b64 exec, exec, s[14:15]
	s_and_saveexec_b64 s[14:15], vcc
	s_cbranch_execnz .LBB1370_48
.LBB1370_9:
	s_or_b64 exec, exec, s[14:15]
	s_and_saveexec_b64 s[14:15], vcc
	s_cbranch_execnz .LBB1370_55
.LBB1370_10:
	s_or_b64 exec, exec, s[14:15]
	s_and_saveexec_b64 s[0:1], vcc
	s_xor_b64 s[14:15], exec, s[0:1]
	s_cbranch_execnz .LBB1370_62
.LBB1370_11:
	s_or_b64 exec, exec, s[14:15]
	s_and_saveexec_b64 s[14:15], vcc
	s_cbranch_execnz .LBB1370_69
.LBB1370_12:
	s_or_b64 exec, exec, s[14:15]
	s_and_saveexec_b64 s[14:15], vcc
	s_cbranch_execnz .LBB1370_76
.LBB1370_13:
	s_or_b64 exec, exec, s[14:15]
	s_and_saveexec_b64 s[14:15], vcc
	s_cbranch_execnz .LBB1370_83
.LBB1370_14:
	s_or_b64 exec, exec, s[14:15]
	s_and_saveexec_b64 s[14:15], vcc
	s_cbranch_execnz .LBB1370_90
.LBB1370_15:
	s_or_b64 exec, exec, s[14:15]
	s_and_saveexec_b64 s[14:15], vcc
	s_cbranch_execnz .LBB1370_97
.LBB1370_16:
	s_or_b64 exec, exec, s[14:15]
	s_and_saveexec_b64 s[14:15], vcc
	s_cbranch_execnz .LBB1370_104
.LBB1370_17:
	s_or_b64 exec, exec, s[14:15]
	s_and_saveexec_b64 s[14:15], vcc
	s_cbranch_execnz .LBB1370_111
.LBB1370_18:
	s_or_b64 exec, exec, s[14:15]
	s_and_saveexec_b64 s[14:15], vcc
	s_cbranch_execnz .LBB1370_118
.LBB1370_19:
	s_or_b64 exec, exec, s[14:15]
	s_and_saveexec_b64 s[14:15], vcc
	s_cbranch_execnz .LBB1370_125
.LBB1370_20:
	s_or_b64 exec, exec, s[14:15]
	s_and_saveexec_b64 s[14:15], vcc
	s_cbranch_execnz .LBB1370_132
.LBB1370_21:
	s_or_b64 exec, exec, s[14:15]
	s_and_saveexec_b64 s[14:15], vcc
	s_cbranch_execnz .LBB1370_139
.LBB1370_22:
	s_or_b64 exec, exec, s[14:15]
	s_and_saveexec_b64 s[14:15], vcc
	s_cbranch_execnz .LBB1370_146
.LBB1370_23:
	s_or_b64 exec, exec, s[14:15]
	s_and_saveexec_b64 s[14:15], vcc
	s_cbranch_execnz .LBB1370_153
.LBB1370_24:
	s_or_b64 exec, exec, s[14:15]
	s_and_saveexec_b64 s[14:15], vcc
	s_cbranch_execnz .LBB1370_160
.LBB1370_25:
	s_or_b64 exec, exec, s[14:15]
	s_and_saveexec_b64 s[14:15], vcc
	s_cbranch_execnz .LBB1370_167
.LBB1370_26:
	s_or_b64 exec, exec, s[14:15]
	s_and_saveexec_b64 s[14:15], vcc
	s_cbranch_execnz .LBB1370_174
.LBB1370_27:
	s_or_b64 exec, exec, s[14:15]
	s_and_saveexec_b64 s[14:15], vcc
	s_cbranch_execnz .LBB1370_181
.LBB1370_28:
	s_or_b64 exec, exec, s[14:15]
	s_and_saveexec_b64 s[14:15], vcc
	s_cbranch_execnz .LBB1370_188
.LBB1370_29:
	s_or_b64 exec, exec, s[14:15]
	s_and_saveexec_b64 s[14:15], vcc
	s_cbranch_execnz .LBB1370_195
.LBB1370_30:
	s_or_b64 exec, exec, s[14:15]
	s_and_saveexec_b64 s[14:15], vcc
	s_cbranch_execnz .LBB1370_202
.LBB1370_31:
	s_or_b64 exec, exec, s[14:15]
	s_and_saveexec_b64 s[14:15], vcc
	s_cbranch_execnz .LBB1370_209
.LBB1370_32:
	s_or_b64 exec, exec, s[14:15]
	s_and_saveexec_b64 s[14:15], vcc
	s_cbranch_execnz .LBB1370_216
.LBB1370_33:
	s_or_b64 exec, exec, s[14:15]
	s_and_saveexec_b64 s[14:15], vcc
	s_cbranch_execnz .LBB1370_223
	s_branch .LBB1370_230
.LBB1370_34:
	v_mul_lo_u32 v64, v21, v6
	v_mul_lo_u32 v65, v20, v7
	v_mad_u64_u32 v[54:55], s[0:1], v20, v6, 0
	v_add3_u32 v55, v55, v65, v64
	v_mul_lo_u32 v66, v23, v6
	v_mul_lo_u32 v67, v22, v7
	v_mad_u64_u32 v[64:65], s[0:1], v22, v6, 0
	v_add3_u32 v65, v65, v67, v66
	v_lshl_add_u64 v[54:55], v[54:55], 1, v[8:9]
	v_lshl_add_u64 v[64:65], v[64:65], 1, v[8:9]
	s_mov_b64 s[18:19], 0
	v_mov_b64_e32 v[66:67], v[6:7]
                                        ; implicit-def: $sgpr16_sgpr17
                                        ; implicit-def: $sgpr20_sgpr21
                                        ; implicit-def: $sgpr24_sgpr25
                                        ; implicit-def: $sgpr22_sgpr23
                                        ; implicit-def: $sgpr26_sgpr27
                                        ; implicit-def: $sgpr28_sgpr29
	s_branch .LBB1370_36
.LBB1370_35:                            ;   in Loop: Header=BB1370_36 Depth=1
	s_or_b64 exec, exec, s[30:31]
	s_and_b64 s[0:1], exec, s[24:25]
	s_or_b64 s[18:19], s[0:1], s[18:19]
	s_andn2_b64 s[0:1], s[28:29], exec
	s_and_b64 s[4:5], s[26:27], exec
	s_or_b64 s[28:29], s[0:1], s[4:5]
	s_andn2_b64 s[0:1], s[20:21], exec
	s_and_b64 s[4:5], s[22:23], exec
	;; [unrolled: 3-line block ×3, first 2 shown]
	s_or_b64 s[16:17], s[0:1], s[2:3]
	s_andn2_b64 exec, exec, s[18:19]
	s_cbranch_execz .LBB1370_38
.LBB1370_36:                            ; =>This Inner Loop Header: Depth=1
	flat_load_ushort v68, v[64:65]
	flat_load_ushort v69, v[54:55]
	s_andn2_b64 s[26:27], s[26:27], exec
	s_or_b64 s[22:23], s[22:23], exec
	s_or_b64 s[24:25], s[24:25], exec
	s_waitcnt vmcnt(0) lgkmcnt(0)
	v_cmp_le_u16_e64 s[2:3], v68, v69
	v_cmp_lt_u16_e64 s[0:1], v68, v69
	s_and_b64 s[2:3], s[2:3], s[28:29]
	v_cmp_eq_u16_e64 s[4:5], v68, v69
	s_or_b64 s[2:3], s[0:1], s[2:3]
	s_and_saveexec_b64 s[30:31], s[4:5]
	s_cbranch_execz .LBB1370_35
; %bb.37:                               ;   in Loop: Header=BB1370_36 Depth=1
	v_lshl_add_u64 v[66:67], v[66:67], 0, -1
	v_cmp_eq_u64_e64 s[0:1], 0, v[66:67]
	s_andn2_b64 s[4:5], s[26:27], exec
	s_and_b64 s[26:27], s[2:3], exec
	s_or_b64 s[26:27], s[4:5], s[26:27]
	s_andn2_b64 s[4:5], s[24:25], exec
	s_and_b64 s[0:1], s[0:1], exec
	v_lshl_add_u64 v[54:55], v[54:55], 0, 2
	v_lshl_add_u64 v[64:65], v[64:65], 0, 2
	s_andn2_b64 s[22:23], s[22:23], exec
	s_or_b64 s[24:25], s[4:5], s[0:1]
                                        ; implicit-def: $sgpr28_sgpr29
	s_branch .LBB1370_35
.LBB1370_38:
	s_or_b64 exec, exec, s[18:19]
	s_and_saveexec_b64 s[0:1], s[20:21]
	s_xor_b64 s[0:1], exec, s[0:1]
; %bb.39:
	v_cndmask_b32_e64 v55, v23, v21, s[16:17]
	v_cndmask_b32_e64 v54, v22, v20, s[16:17]
	;; [unrolled: 1-line block ×4, first 2 shown]
	v_mov_b64_e32 v[22:23], v[54:55]
; %bb.40:
	s_or_b64 exec, exec, s[0:1]
	s_or_b64 exec, exec, s[14:15]
	s_and_saveexec_b64 s[14:15], vcc
	s_cbranch_execz .LBB1370_8
.LBB1370_41:
	v_mul_lo_u32 v64, v17, v6
	v_mul_lo_u32 v65, v16, v7
	v_mad_u64_u32 v[54:55], s[0:1], v16, v6, 0
	v_add3_u32 v55, v55, v65, v64
	v_mul_lo_u32 v66, v19, v6
	v_mul_lo_u32 v67, v18, v7
	v_mad_u64_u32 v[64:65], s[0:1], v18, v6, 0
	v_add3_u32 v65, v65, v67, v66
	v_lshl_add_u64 v[54:55], v[54:55], 1, v[8:9]
	v_lshl_add_u64 v[64:65], v[64:65], 1, v[8:9]
	s_mov_b64 s[18:19], 0
	v_mov_b64_e32 v[66:67], v[6:7]
                                        ; implicit-def: $sgpr16_sgpr17
                                        ; implicit-def: $sgpr20_sgpr21
                                        ; implicit-def: $sgpr24_sgpr25
                                        ; implicit-def: $sgpr22_sgpr23
                                        ; implicit-def: $sgpr26_sgpr27
                                        ; implicit-def: $sgpr28_sgpr29
	s_branch .LBB1370_43
.LBB1370_42:                            ;   in Loop: Header=BB1370_43 Depth=1
	s_or_b64 exec, exec, s[30:31]
	s_and_b64 s[0:1], exec, s[24:25]
	s_or_b64 s[18:19], s[0:1], s[18:19]
	s_andn2_b64 s[0:1], s[28:29], exec
	s_and_b64 s[4:5], s[26:27], exec
	s_or_b64 s[28:29], s[0:1], s[4:5]
	s_andn2_b64 s[0:1], s[20:21], exec
	s_and_b64 s[4:5], s[22:23], exec
	;; [unrolled: 3-line block ×3, first 2 shown]
	s_or_b64 s[16:17], s[0:1], s[2:3]
	s_andn2_b64 exec, exec, s[18:19]
	s_cbranch_execz .LBB1370_45
.LBB1370_43:                            ; =>This Inner Loop Header: Depth=1
	flat_load_ushort v68, v[64:65]
	flat_load_ushort v69, v[54:55]
	s_andn2_b64 s[26:27], s[26:27], exec
	s_or_b64 s[22:23], s[22:23], exec
	s_or_b64 s[24:25], s[24:25], exec
	s_waitcnt vmcnt(0) lgkmcnt(0)
	v_cmp_le_u16_e64 s[2:3], v68, v69
	v_cmp_lt_u16_e64 s[0:1], v68, v69
	s_and_b64 s[2:3], s[2:3], s[28:29]
	v_cmp_eq_u16_e64 s[4:5], v68, v69
	s_or_b64 s[2:3], s[0:1], s[2:3]
	s_and_saveexec_b64 s[30:31], s[4:5]
	s_cbranch_execz .LBB1370_42
; %bb.44:                               ;   in Loop: Header=BB1370_43 Depth=1
	v_lshl_add_u64 v[66:67], v[66:67], 0, -1
	v_cmp_eq_u64_e64 s[0:1], 0, v[66:67]
	s_andn2_b64 s[4:5], s[26:27], exec
	s_and_b64 s[26:27], s[2:3], exec
	s_or_b64 s[26:27], s[4:5], s[26:27]
	s_andn2_b64 s[4:5], s[24:25], exec
	s_and_b64 s[0:1], s[0:1], exec
	v_lshl_add_u64 v[54:55], v[54:55], 0, 2
	v_lshl_add_u64 v[64:65], v[64:65], 0, 2
	s_andn2_b64 s[22:23], s[22:23], exec
	s_or_b64 s[24:25], s[4:5], s[0:1]
                                        ; implicit-def: $sgpr28_sgpr29
	s_branch .LBB1370_42
.LBB1370_45:
	s_or_b64 exec, exec, s[18:19]
	s_and_saveexec_b64 s[0:1], s[20:21]
	s_xor_b64 s[0:1], exec, s[0:1]
; %bb.46:
	v_cndmask_b32_e64 v55, v17, v19, s[16:17]
	v_cndmask_b32_e64 v54, v16, v18, s[16:17]
	;; [unrolled: 1-line block ×4, first 2 shown]
	v_mov_b64_e32 v[16:17], v[54:55]
; %bb.47:
	s_or_b64 exec, exec, s[0:1]
	s_or_b64 exec, exec, s[14:15]
	s_and_saveexec_b64 s[14:15], vcc
	s_cbranch_execz .LBB1370_9
.LBB1370_48:
	v_mul_lo_u32 v64, v13, v6
	v_mul_lo_u32 v65, v12, v7
	v_mad_u64_u32 v[54:55], s[0:1], v12, v6, 0
	v_add3_u32 v55, v55, v65, v64
	v_mul_lo_u32 v66, v15, v6
	v_mul_lo_u32 v67, v14, v7
	v_mad_u64_u32 v[64:65], s[0:1], v14, v6, 0
	v_add3_u32 v65, v65, v67, v66
	v_lshl_add_u64 v[54:55], v[54:55], 1, v[8:9]
	v_lshl_add_u64 v[64:65], v[64:65], 1, v[8:9]
	s_mov_b64 s[18:19], 0
	v_mov_b64_e32 v[66:67], v[6:7]
                                        ; implicit-def: $sgpr16_sgpr17
                                        ; implicit-def: $sgpr20_sgpr21
                                        ; implicit-def: $sgpr24_sgpr25
                                        ; implicit-def: $sgpr22_sgpr23
                                        ; implicit-def: $sgpr26_sgpr27
                                        ; implicit-def: $sgpr28_sgpr29
	s_branch .LBB1370_50
.LBB1370_49:                            ;   in Loop: Header=BB1370_50 Depth=1
	s_or_b64 exec, exec, s[30:31]
	s_and_b64 s[0:1], exec, s[24:25]
	s_or_b64 s[18:19], s[0:1], s[18:19]
	s_andn2_b64 s[0:1], s[28:29], exec
	s_and_b64 s[4:5], s[26:27], exec
	s_or_b64 s[28:29], s[0:1], s[4:5]
	s_andn2_b64 s[0:1], s[20:21], exec
	s_and_b64 s[4:5], s[22:23], exec
	;; [unrolled: 3-line block ×3, first 2 shown]
	s_or_b64 s[16:17], s[0:1], s[2:3]
	s_andn2_b64 exec, exec, s[18:19]
	s_cbranch_execz .LBB1370_52
.LBB1370_50:                            ; =>This Inner Loop Header: Depth=1
	flat_load_ushort v68, v[64:65]
	flat_load_ushort v69, v[54:55]
	s_andn2_b64 s[26:27], s[26:27], exec
	s_or_b64 s[22:23], s[22:23], exec
	s_or_b64 s[24:25], s[24:25], exec
	s_waitcnt vmcnt(0) lgkmcnt(0)
	v_cmp_le_u16_e64 s[2:3], v68, v69
	v_cmp_lt_u16_e64 s[0:1], v68, v69
	s_and_b64 s[2:3], s[2:3], s[28:29]
	v_cmp_eq_u16_e64 s[4:5], v68, v69
	s_or_b64 s[2:3], s[0:1], s[2:3]
	s_and_saveexec_b64 s[30:31], s[4:5]
	s_cbranch_execz .LBB1370_49
; %bb.51:                               ;   in Loop: Header=BB1370_50 Depth=1
	v_lshl_add_u64 v[66:67], v[66:67], 0, -1
	v_cmp_eq_u64_e64 s[0:1], 0, v[66:67]
	s_andn2_b64 s[4:5], s[26:27], exec
	s_and_b64 s[26:27], s[2:3], exec
	s_or_b64 s[26:27], s[4:5], s[26:27]
	s_andn2_b64 s[4:5], s[24:25], exec
	s_and_b64 s[0:1], s[0:1], exec
	v_lshl_add_u64 v[54:55], v[54:55], 0, 2
	v_lshl_add_u64 v[64:65], v[64:65], 0, 2
	s_andn2_b64 s[22:23], s[22:23], exec
	s_or_b64 s[24:25], s[4:5], s[0:1]
                                        ; implicit-def: $sgpr28_sgpr29
	s_branch .LBB1370_49
.LBB1370_52:
	s_or_b64 exec, exec, s[18:19]
	s_and_saveexec_b64 s[0:1], s[20:21]
	s_xor_b64 s[0:1], exec, s[0:1]
; %bb.53:
	v_cndmask_b32_e64 v55, v13, v15, s[16:17]
	v_cndmask_b32_e64 v54, v12, v14, s[16:17]
	v_cndmask_b32_e64 v15, v15, v13, s[16:17]
	v_cndmask_b32_e64 v14, v14, v12, s[16:17]
	v_mov_b64_e32 v[12:13], v[54:55]
; %bb.54:
	s_or_b64 exec, exec, s[0:1]
	s_or_b64 exec, exec, s[14:15]
	s_and_saveexec_b64 s[14:15], vcc
	s_cbranch_execz .LBB1370_10
.LBB1370_55:
	v_mul_lo_u32 v64, v1, v6
	v_mul_lo_u32 v65, v0, v7
	v_mad_u64_u32 v[54:55], s[0:1], v0, v6, 0
	v_add3_u32 v55, v55, v65, v64
	v_mul_lo_u32 v66, v3, v6
	v_mul_lo_u32 v67, v2, v7
	v_mad_u64_u32 v[64:65], s[0:1], v2, v6, 0
	v_add3_u32 v65, v65, v67, v66
	v_lshl_add_u64 v[54:55], v[54:55], 1, v[8:9]
	v_lshl_add_u64 v[64:65], v[64:65], 1, v[8:9]
	s_mov_b64 s[18:19], 0
	v_mov_b64_e32 v[66:67], v[6:7]
                                        ; implicit-def: $sgpr16_sgpr17
                                        ; implicit-def: $sgpr20_sgpr21
                                        ; implicit-def: $sgpr24_sgpr25
                                        ; implicit-def: $sgpr22_sgpr23
                                        ; implicit-def: $sgpr26_sgpr27
                                        ; implicit-def: $sgpr28_sgpr29
	s_branch .LBB1370_57
.LBB1370_56:                            ;   in Loop: Header=BB1370_57 Depth=1
	s_or_b64 exec, exec, s[30:31]
	s_and_b64 s[0:1], exec, s[24:25]
	s_or_b64 s[18:19], s[0:1], s[18:19]
	s_andn2_b64 s[0:1], s[28:29], exec
	s_and_b64 s[4:5], s[26:27], exec
	s_or_b64 s[28:29], s[0:1], s[4:5]
	s_andn2_b64 s[0:1], s[20:21], exec
	s_and_b64 s[4:5], s[22:23], exec
	;; [unrolled: 3-line block ×3, first 2 shown]
	s_or_b64 s[16:17], s[0:1], s[2:3]
	s_andn2_b64 exec, exec, s[18:19]
	s_cbranch_execz .LBB1370_59
.LBB1370_57:                            ; =>This Inner Loop Header: Depth=1
	flat_load_ushort v68, v[64:65]
	flat_load_ushort v69, v[54:55]
	s_andn2_b64 s[26:27], s[26:27], exec
	s_or_b64 s[22:23], s[22:23], exec
	s_or_b64 s[24:25], s[24:25], exec
	s_waitcnt vmcnt(0) lgkmcnt(0)
	v_cmp_le_u16_e64 s[2:3], v68, v69
	v_cmp_lt_u16_e64 s[0:1], v68, v69
	s_and_b64 s[2:3], s[2:3], s[28:29]
	v_cmp_eq_u16_e64 s[4:5], v68, v69
	s_or_b64 s[2:3], s[0:1], s[2:3]
	s_and_saveexec_b64 s[30:31], s[4:5]
	s_cbranch_execz .LBB1370_56
; %bb.58:                               ;   in Loop: Header=BB1370_57 Depth=1
	v_lshl_add_u64 v[66:67], v[66:67], 0, -1
	v_cmp_eq_u64_e64 s[0:1], 0, v[66:67]
	s_andn2_b64 s[4:5], s[26:27], exec
	s_and_b64 s[26:27], s[2:3], exec
	s_or_b64 s[26:27], s[4:5], s[26:27]
	s_andn2_b64 s[4:5], s[24:25], exec
	s_and_b64 s[0:1], s[0:1], exec
	v_lshl_add_u64 v[54:55], v[54:55], 0, 2
	v_lshl_add_u64 v[64:65], v[64:65], 0, 2
	s_andn2_b64 s[22:23], s[22:23], exec
	s_or_b64 s[24:25], s[4:5], s[0:1]
                                        ; implicit-def: $sgpr28_sgpr29
	s_branch .LBB1370_56
.LBB1370_59:
	s_or_b64 exec, exec, s[18:19]
	s_and_saveexec_b64 s[0:1], s[20:21]
	s_xor_b64 s[0:1], exec, s[0:1]
; %bb.60:
	v_cndmask_b32_e64 v55, v1, v3, s[16:17]
	v_cndmask_b32_e64 v54, v0, v2, s[16:17]
	;; [unrolled: 1-line block ×4, first 2 shown]
	v_mov_b64_e32 v[0:1], v[54:55]
; %bb.61:
	s_or_b64 exec, exec, s[0:1]
	s_or_b64 exec, exec, s[14:15]
	s_and_saveexec_b64 s[0:1], vcc
	s_xor_b64 s[14:15], exec, s[0:1]
	s_cbranch_execz .LBB1370_11
.LBB1370_62:
	v_mul_lo_u32 v64, v23, v6
	v_mul_lo_u32 v65, v22, v7
	v_mad_u64_u32 v[54:55], s[0:1], v22, v6, 0
	v_add3_u32 v55, v55, v65, v64
	v_mul_lo_u32 v66, v17, v6
	v_mul_lo_u32 v67, v16, v7
	v_mad_u64_u32 v[64:65], s[0:1], v16, v6, 0
	v_add3_u32 v65, v65, v67, v66
	v_lshl_add_u64 v[54:55], v[54:55], 1, v[8:9]
	v_lshl_add_u64 v[64:65], v[64:65], 1, v[8:9]
	s_mov_b64 s[18:19], 0
	v_mov_b64_e32 v[66:67], v[6:7]
                                        ; implicit-def: $sgpr16_sgpr17
                                        ; implicit-def: $sgpr20_sgpr21
                                        ; implicit-def: $sgpr24_sgpr25
                                        ; implicit-def: $sgpr22_sgpr23
                                        ; implicit-def: $sgpr26_sgpr27
                                        ; implicit-def: $sgpr28_sgpr29
	s_branch .LBB1370_64
.LBB1370_63:                            ;   in Loop: Header=BB1370_64 Depth=1
	s_or_b64 exec, exec, s[30:31]
	s_and_b64 s[0:1], exec, s[24:25]
	s_or_b64 s[18:19], s[0:1], s[18:19]
	s_andn2_b64 s[0:1], s[28:29], exec
	s_and_b64 s[4:5], s[26:27], exec
	s_or_b64 s[28:29], s[0:1], s[4:5]
	s_andn2_b64 s[0:1], s[20:21], exec
	s_and_b64 s[4:5], s[22:23], exec
	;; [unrolled: 3-line block ×3, first 2 shown]
	s_or_b64 s[16:17], s[0:1], s[2:3]
	s_andn2_b64 exec, exec, s[18:19]
	s_cbranch_execz .LBB1370_66
.LBB1370_64:                            ; =>This Inner Loop Header: Depth=1
	flat_load_ushort v68, v[64:65]
	flat_load_ushort v69, v[54:55]
	s_andn2_b64 s[26:27], s[26:27], exec
	s_or_b64 s[22:23], s[22:23], exec
	s_or_b64 s[24:25], s[24:25], exec
	s_waitcnt vmcnt(0) lgkmcnt(0)
	v_cmp_le_u16_e64 s[2:3], v68, v69
	v_cmp_lt_u16_e64 s[0:1], v68, v69
	s_and_b64 s[2:3], s[2:3], s[28:29]
	v_cmp_eq_u16_e64 s[4:5], v68, v69
	s_or_b64 s[2:3], s[0:1], s[2:3]
	s_and_saveexec_b64 s[30:31], s[4:5]
	s_cbranch_execz .LBB1370_63
; %bb.65:                               ;   in Loop: Header=BB1370_64 Depth=1
	v_lshl_add_u64 v[66:67], v[66:67], 0, -1
	v_cmp_eq_u64_e64 s[0:1], 0, v[66:67]
	s_andn2_b64 s[4:5], s[26:27], exec
	s_and_b64 s[26:27], s[2:3], exec
	s_or_b64 s[26:27], s[4:5], s[26:27]
	s_andn2_b64 s[4:5], s[24:25], exec
	s_and_b64 s[0:1], s[0:1], exec
	v_lshl_add_u64 v[54:55], v[54:55], 0, 2
	v_lshl_add_u64 v[64:65], v[64:65], 0, 2
	s_andn2_b64 s[22:23], s[22:23], exec
	s_or_b64 s[24:25], s[4:5], s[0:1]
                                        ; implicit-def: $sgpr28_sgpr29
	s_branch .LBB1370_63
.LBB1370_66:
	s_or_b64 exec, exec, s[18:19]
	s_and_saveexec_b64 s[0:1], s[20:21]
	s_xor_b64 s[0:1], exec, s[0:1]
; %bb.67:
	v_cndmask_b32_e64 v55, v23, v17, s[16:17]
	v_cndmask_b32_e64 v54, v22, v16, s[16:17]
	;; [unrolled: 1-line block ×4, first 2 shown]
	v_mov_b64_e32 v[22:23], v[54:55]
; %bb.68:
	s_or_b64 exec, exec, s[0:1]
	s_or_b64 exec, exec, s[14:15]
	s_and_saveexec_b64 s[14:15], vcc
	s_cbranch_execz .LBB1370_12
.LBB1370_69:
	v_mul_lo_u32 v64, v19, v6
	v_mul_lo_u32 v65, v18, v7
	v_mad_u64_u32 v[54:55], s[0:1], v18, v6, 0
	v_add3_u32 v55, v55, v65, v64
	v_mul_lo_u32 v66, v13, v6
	v_mul_lo_u32 v67, v12, v7
	v_mad_u64_u32 v[64:65], s[0:1], v12, v6, 0
	v_add3_u32 v65, v65, v67, v66
	v_lshl_add_u64 v[54:55], v[54:55], 1, v[8:9]
	v_lshl_add_u64 v[64:65], v[64:65], 1, v[8:9]
	s_mov_b64 s[18:19], 0
	v_mov_b64_e32 v[66:67], v[6:7]
                                        ; implicit-def: $sgpr16_sgpr17
                                        ; implicit-def: $sgpr20_sgpr21
                                        ; implicit-def: $sgpr24_sgpr25
                                        ; implicit-def: $sgpr22_sgpr23
                                        ; implicit-def: $sgpr26_sgpr27
                                        ; implicit-def: $sgpr28_sgpr29
	s_branch .LBB1370_71
.LBB1370_70:                            ;   in Loop: Header=BB1370_71 Depth=1
	s_or_b64 exec, exec, s[30:31]
	s_and_b64 s[0:1], exec, s[24:25]
	s_or_b64 s[18:19], s[0:1], s[18:19]
	s_andn2_b64 s[0:1], s[28:29], exec
	s_and_b64 s[4:5], s[26:27], exec
	s_or_b64 s[28:29], s[0:1], s[4:5]
	s_andn2_b64 s[0:1], s[20:21], exec
	s_and_b64 s[4:5], s[22:23], exec
	;; [unrolled: 3-line block ×3, first 2 shown]
	s_or_b64 s[16:17], s[0:1], s[2:3]
	s_andn2_b64 exec, exec, s[18:19]
	s_cbranch_execz .LBB1370_73
.LBB1370_71:                            ; =>This Inner Loop Header: Depth=1
	flat_load_ushort v68, v[64:65]
	flat_load_ushort v69, v[54:55]
	s_andn2_b64 s[26:27], s[26:27], exec
	s_or_b64 s[22:23], s[22:23], exec
	s_or_b64 s[24:25], s[24:25], exec
	s_waitcnt vmcnt(0) lgkmcnt(0)
	v_cmp_le_u16_e64 s[2:3], v68, v69
	v_cmp_lt_u16_e64 s[0:1], v68, v69
	s_and_b64 s[2:3], s[2:3], s[28:29]
	v_cmp_eq_u16_e64 s[4:5], v68, v69
	s_or_b64 s[2:3], s[0:1], s[2:3]
	s_and_saveexec_b64 s[30:31], s[4:5]
	s_cbranch_execz .LBB1370_70
; %bb.72:                               ;   in Loop: Header=BB1370_71 Depth=1
	v_lshl_add_u64 v[66:67], v[66:67], 0, -1
	v_cmp_eq_u64_e64 s[0:1], 0, v[66:67]
	s_andn2_b64 s[4:5], s[26:27], exec
	s_and_b64 s[26:27], s[2:3], exec
	s_or_b64 s[26:27], s[4:5], s[26:27]
	s_andn2_b64 s[4:5], s[24:25], exec
	s_and_b64 s[0:1], s[0:1], exec
	v_lshl_add_u64 v[54:55], v[54:55], 0, 2
	v_lshl_add_u64 v[64:65], v[64:65], 0, 2
	s_andn2_b64 s[22:23], s[22:23], exec
	s_or_b64 s[24:25], s[4:5], s[0:1]
                                        ; implicit-def: $sgpr28_sgpr29
	s_branch .LBB1370_70
.LBB1370_73:
	s_or_b64 exec, exec, s[18:19]
	s_and_saveexec_b64 s[0:1], s[20:21]
	s_xor_b64 s[0:1], exec, s[0:1]
; %bb.74:
	v_cndmask_b32_e64 v55, v19, v13, s[16:17]
	v_cndmask_b32_e64 v54, v18, v12, s[16:17]
	;; [unrolled: 1-line block ×4, first 2 shown]
	v_mov_b64_e32 v[18:19], v[54:55]
; %bb.75:
	s_or_b64 exec, exec, s[0:1]
	s_or_b64 exec, exec, s[14:15]
	s_and_saveexec_b64 s[14:15], vcc
	s_cbranch_execz .LBB1370_13
.LBB1370_76:
	v_mul_lo_u32 v64, v15, v6
	v_mul_lo_u32 v65, v14, v7
	v_mad_u64_u32 v[54:55], s[0:1], v14, v6, 0
	v_add3_u32 v55, v55, v65, v64
	v_mul_lo_u32 v66, v1, v6
	v_mul_lo_u32 v67, v0, v7
	v_mad_u64_u32 v[64:65], s[0:1], v0, v6, 0
	v_add3_u32 v65, v65, v67, v66
	v_lshl_add_u64 v[54:55], v[54:55], 1, v[8:9]
	v_lshl_add_u64 v[64:65], v[64:65], 1, v[8:9]
	s_mov_b64 s[18:19], 0
	v_mov_b64_e32 v[66:67], v[6:7]
                                        ; implicit-def: $sgpr16_sgpr17
                                        ; implicit-def: $sgpr20_sgpr21
                                        ; implicit-def: $sgpr24_sgpr25
                                        ; implicit-def: $sgpr22_sgpr23
                                        ; implicit-def: $sgpr26_sgpr27
                                        ; implicit-def: $sgpr28_sgpr29
	s_branch .LBB1370_78
.LBB1370_77:                            ;   in Loop: Header=BB1370_78 Depth=1
	s_or_b64 exec, exec, s[30:31]
	s_and_b64 s[0:1], exec, s[24:25]
	s_or_b64 s[18:19], s[0:1], s[18:19]
	s_andn2_b64 s[0:1], s[28:29], exec
	s_and_b64 s[4:5], s[26:27], exec
	s_or_b64 s[28:29], s[0:1], s[4:5]
	s_andn2_b64 s[0:1], s[20:21], exec
	s_and_b64 s[4:5], s[22:23], exec
	;; [unrolled: 3-line block ×3, first 2 shown]
	s_or_b64 s[16:17], s[0:1], s[2:3]
	s_andn2_b64 exec, exec, s[18:19]
	s_cbranch_execz .LBB1370_80
.LBB1370_78:                            ; =>This Inner Loop Header: Depth=1
	flat_load_ushort v68, v[64:65]
	flat_load_ushort v69, v[54:55]
	s_andn2_b64 s[26:27], s[26:27], exec
	s_or_b64 s[22:23], s[22:23], exec
	s_or_b64 s[24:25], s[24:25], exec
	s_waitcnt vmcnt(0) lgkmcnt(0)
	v_cmp_le_u16_e64 s[2:3], v68, v69
	v_cmp_lt_u16_e64 s[0:1], v68, v69
	s_and_b64 s[2:3], s[2:3], s[28:29]
	v_cmp_eq_u16_e64 s[4:5], v68, v69
	s_or_b64 s[2:3], s[0:1], s[2:3]
	s_and_saveexec_b64 s[30:31], s[4:5]
	s_cbranch_execz .LBB1370_77
; %bb.79:                               ;   in Loop: Header=BB1370_78 Depth=1
	v_lshl_add_u64 v[66:67], v[66:67], 0, -1
	v_cmp_eq_u64_e64 s[0:1], 0, v[66:67]
	s_andn2_b64 s[4:5], s[26:27], exec
	s_and_b64 s[26:27], s[2:3], exec
	s_or_b64 s[26:27], s[4:5], s[26:27]
	s_andn2_b64 s[4:5], s[24:25], exec
	s_and_b64 s[0:1], s[0:1], exec
	v_lshl_add_u64 v[54:55], v[54:55], 0, 2
	v_lshl_add_u64 v[64:65], v[64:65], 0, 2
	s_andn2_b64 s[22:23], s[22:23], exec
	s_or_b64 s[24:25], s[4:5], s[0:1]
                                        ; implicit-def: $sgpr28_sgpr29
	s_branch .LBB1370_77
.LBB1370_80:
	s_or_b64 exec, exec, s[18:19]
	s_and_saveexec_b64 s[0:1], s[20:21]
	s_xor_b64 s[0:1], exec, s[0:1]
; %bb.81:
	v_cndmask_b32_e64 v55, v15, v1, s[16:17]
	v_cndmask_b32_e64 v54, v14, v0, s[16:17]
	;; [unrolled: 1-line block ×4, first 2 shown]
	v_mov_b64_e32 v[14:15], v[54:55]
; %bb.82:
	s_or_b64 exec, exec, s[0:1]
	s_or_b64 exec, exec, s[14:15]
	s_and_saveexec_b64 s[14:15], vcc
	s_cbranch_execz .LBB1370_14
.LBB1370_83:
	v_mul_lo_u32 v64, v21, v6
	v_mul_lo_u32 v65, v20, v7
	v_mad_u64_u32 v[54:55], s[0:1], v20, v6, 0
	v_add3_u32 v55, v55, v65, v64
	v_mul_lo_u32 v66, v23, v6
	v_mul_lo_u32 v67, v22, v7
	v_mad_u64_u32 v[64:65], s[0:1], v22, v6, 0
	v_add3_u32 v65, v65, v67, v66
	v_lshl_add_u64 v[54:55], v[54:55], 1, v[8:9]
	v_lshl_add_u64 v[64:65], v[64:65], 1, v[8:9]
	s_mov_b64 s[18:19], 0
	v_mov_b64_e32 v[66:67], v[6:7]
                                        ; implicit-def: $sgpr16_sgpr17
                                        ; implicit-def: $sgpr20_sgpr21
                                        ; implicit-def: $sgpr24_sgpr25
                                        ; implicit-def: $sgpr22_sgpr23
                                        ; implicit-def: $sgpr26_sgpr27
                                        ; implicit-def: $sgpr28_sgpr29
	s_branch .LBB1370_85
.LBB1370_84:                            ;   in Loop: Header=BB1370_85 Depth=1
	s_or_b64 exec, exec, s[30:31]
	s_and_b64 s[0:1], exec, s[24:25]
	s_or_b64 s[18:19], s[0:1], s[18:19]
	s_andn2_b64 s[0:1], s[28:29], exec
	s_and_b64 s[4:5], s[26:27], exec
	s_or_b64 s[28:29], s[0:1], s[4:5]
	s_andn2_b64 s[0:1], s[20:21], exec
	s_and_b64 s[4:5], s[22:23], exec
	;; [unrolled: 3-line block ×3, first 2 shown]
	s_or_b64 s[16:17], s[0:1], s[2:3]
	s_andn2_b64 exec, exec, s[18:19]
	s_cbranch_execz .LBB1370_87
.LBB1370_85:                            ; =>This Inner Loop Header: Depth=1
	flat_load_ushort v68, v[64:65]
	flat_load_ushort v69, v[54:55]
	s_andn2_b64 s[26:27], s[26:27], exec
	s_or_b64 s[22:23], s[22:23], exec
	s_or_b64 s[24:25], s[24:25], exec
	s_waitcnt vmcnt(0) lgkmcnt(0)
	v_cmp_le_u16_e64 s[2:3], v68, v69
	v_cmp_lt_u16_e64 s[0:1], v68, v69
	s_and_b64 s[2:3], s[2:3], s[28:29]
	v_cmp_eq_u16_e64 s[4:5], v68, v69
	s_or_b64 s[2:3], s[0:1], s[2:3]
	s_and_saveexec_b64 s[30:31], s[4:5]
	s_cbranch_execz .LBB1370_84
; %bb.86:                               ;   in Loop: Header=BB1370_85 Depth=1
	v_lshl_add_u64 v[66:67], v[66:67], 0, -1
	v_cmp_eq_u64_e64 s[0:1], 0, v[66:67]
	s_andn2_b64 s[4:5], s[26:27], exec
	s_and_b64 s[26:27], s[2:3], exec
	s_or_b64 s[26:27], s[4:5], s[26:27]
	s_andn2_b64 s[4:5], s[24:25], exec
	s_and_b64 s[0:1], s[0:1], exec
	v_lshl_add_u64 v[54:55], v[54:55], 0, 2
	v_lshl_add_u64 v[64:65], v[64:65], 0, 2
	s_andn2_b64 s[22:23], s[22:23], exec
	s_or_b64 s[24:25], s[4:5], s[0:1]
                                        ; implicit-def: $sgpr28_sgpr29
	s_branch .LBB1370_84
.LBB1370_87:
	s_or_b64 exec, exec, s[18:19]
	s_and_saveexec_b64 s[0:1], s[20:21]
	s_xor_b64 s[0:1], exec, s[0:1]
; %bb.88:
	v_cndmask_b32_e64 v55, v23, v21, s[16:17]
	v_cndmask_b32_e64 v54, v22, v20, s[16:17]
	;; [unrolled: 1-line block ×4, first 2 shown]
	v_mov_b64_e32 v[22:23], v[54:55]
; %bb.89:
	s_or_b64 exec, exec, s[0:1]
	s_or_b64 exec, exec, s[14:15]
	s_and_saveexec_b64 s[14:15], vcc
	s_cbranch_execz .LBB1370_15
.LBB1370_90:
	v_mul_lo_u32 v64, v17, v6
	v_mul_lo_u32 v65, v16, v7
	v_mad_u64_u32 v[54:55], s[0:1], v16, v6, 0
	v_add3_u32 v55, v55, v65, v64
	v_mul_lo_u32 v66, v19, v6
	v_mul_lo_u32 v67, v18, v7
	v_mad_u64_u32 v[64:65], s[0:1], v18, v6, 0
	v_add3_u32 v65, v65, v67, v66
	v_lshl_add_u64 v[54:55], v[54:55], 1, v[8:9]
	v_lshl_add_u64 v[64:65], v[64:65], 1, v[8:9]
	s_mov_b64 s[18:19], 0
	v_mov_b64_e32 v[66:67], v[6:7]
                                        ; implicit-def: $sgpr16_sgpr17
                                        ; implicit-def: $sgpr20_sgpr21
                                        ; implicit-def: $sgpr24_sgpr25
                                        ; implicit-def: $sgpr22_sgpr23
                                        ; implicit-def: $sgpr26_sgpr27
                                        ; implicit-def: $sgpr28_sgpr29
	s_branch .LBB1370_92
.LBB1370_91:                            ;   in Loop: Header=BB1370_92 Depth=1
	s_or_b64 exec, exec, s[30:31]
	s_and_b64 s[0:1], exec, s[24:25]
	s_or_b64 s[18:19], s[0:1], s[18:19]
	s_andn2_b64 s[0:1], s[28:29], exec
	s_and_b64 s[4:5], s[26:27], exec
	s_or_b64 s[28:29], s[0:1], s[4:5]
	s_andn2_b64 s[0:1], s[20:21], exec
	s_and_b64 s[4:5], s[22:23], exec
	;; [unrolled: 3-line block ×3, first 2 shown]
	s_or_b64 s[16:17], s[0:1], s[2:3]
	s_andn2_b64 exec, exec, s[18:19]
	s_cbranch_execz .LBB1370_94
.LBB1370_92:                            ; =>This Inner Loop Header: Depth=1
	flat_load_ushort v68, v[64:65]
	flat_load_ushort v69, v[54:55]
	s_andn2_b64 s[26:27], s[26:27], exec
	s_or_b64 s[22:23], s[22:23], exec
	s_or_b64 s[24:25], s[24:25], exec
	s_waitcnt vmcnt(0) lgkmcnt(0)
	v_cmp_le_u16_e64 s[2:3], v68, v69
	v_cmp_lt_u16_e64 s[0:1], v68, v69
	s_and_b64 s[2:3], s[2:3], s[28:29]
	v_cmp_eq_u16_e64 s[4:5], v68, v69
	s_or_b64 s[2:3], s[0:1], s[2:3]
	s_and_saveexec_b64 s[30:31], s[4:5]
	s_cbranch_execz .LBB1370_91
; %bb.93:                               ;   in Loop: Header=BB1370_92 Depth=1
	v_lshl_add_u64 v[66:67], v[66:67], 0, -1
	v_cmp_eq_u64_e64 s[0:1], 0, v[66:67]
	s_andn2_b64 s[4:5], s[26:27], exec
	s_and_b64 s[26:27], s[2:3], exec
	s_or_b64 s[26:27], s[4:5], s[26:27]
	s_andn2_b64 s[4:5], s[24:25], exec
	s_and_b64 s[0:1], s[0:1], exec
	v_lshl_add_u64 v[54:55], v[54:55], 0, 2
	v_lshl_add_u64 v[64:65], v[64:65], 0, 2
	s_andn2_b64 s[22:23], s[22:23], exec
	s_or_b64 s[24:25], s[4:5], s[0:1]
                                        ; implicit-def: $sgpr28_sgpr29
	s_branch .LBB1370_91
.LBB1370_94:
	s_or_b64 exec, exec, s[18:19]
	s_and_saveexec_b64 s[0:1], s[20:21]
	s_xor_b64 s[0:1], exec, s[0:1]
; %bb.95:
	v_cndmask_b32_e64 v55, v17, v19, s[16:17]
	v_cndmask_b32_e64 v54, v16, v18, s[16:17]
	;; [unrolled: 1-line block ×4, first 2 shown]
	v_mov_b64_e32 v[16:17], v[54:55]
; %bb.96:
	s_or_b64 exec, exec, s[0:1]
	s_or_b64 exec, exec, s[14:15]
	s_and_saveexec_b64 s[14:15], vcc
	s_cbranch_execz .LBB1370_16
.LBB1370_97:
	v_mul_lo_u32 v64, v13, v6
	v_mul_lo_u32 v65, v12, v7
	v_mad_u64_u32 v[54:55], s[0:1], v12, v6, 0
	v_add3_u32 v55, v55, v65, v64
	v_mul_lo_u32 v66, v15, v6
	v_mul_lo_u32 v67, v14, v7
	v_mad_u64_u32 v[64:65], s[0:1], v14, v6, 0
	v_add3_u32 v65, v65, v67, v66
	v_lshl_add_u64 v[54:55], v[54:55], 1, v[8:9]
	v_lshl_add_u64 v[64:65], v[64:65], 1, v[8:9]
	s_mov_b64 s[18:19], 0
	v_mov_b64_e32 v[66:67], v[6:7]
                                        ; implicit-def: $sgpr16_sgpr17
                                        ; implicit-def: $sgpr20_sgpr21
                                        ; implicit-def: $sgpr24_sgpr25
                                        ; implicit-def: $sgpr22_sgpr23
                                        ; implicit-def: $sgpr26_sgpr27
                                        ; implicit-def: $sgpr28_sgpr29
	s_branch .LBB1370_99
.LBB1370_98:                            ;   in Loop: Header=BB1370_99 Depth=1
	s_or_b64 exec, exec, s[30:31]
	s_and_b64 s[0:1], exec, s[24:25]
	s_or_b64 s[18:19], s[0:1], s[18:19]
	s_andn2_b64 s[0:1], s[28:29], exec
	s_and_b64 s[4:5], s[26:27], exec
	s_or_b64 s[28:29], s[0:1], s[4:5]
	s_andn2_b64 s[0:1], s[20:21], exec
	s_and_b64 s[4:5], s[22:23], exec
	;; [unrolled: 3-line block ×3, first 2 shown]
	s_or_b64 s[16:17], s[0:1], s[2:3]
	s_andn2_b64 exec, exec, s[18:19]
	s_cbranch_execz .LBB1370_101
.LBB1370_99:                            ; =>This Inner Loop Header: Depth=1
	flat_load_ushort v68, v[64:65]
	flat_load_ushort v69, v[54:55]
	s_andn2_b64 s[26:27], s[26:27], exec
	s_or_b64 s[22:23], s[22:23], exec
	s_or_b64 s[24:25], s[24:25], exec
	s_waitcnt vmcnt(0) lgkmcnt(0)
	v_cmp_le_u16_e64 s[2:3], v68, v69
	v_cmp_lt_u16_e64 s[0:1], v68, v69
	s_and_b64 s[2:3], s[2:3], s[28:29]
	v_cmp_eq_u16_e64 s[4:5], v68, v69
	s_or_b64 s[2:3], s[0:1], s[2:3]
	s_and_saveexec_b64 s[30:31], s[4:5]
	s_cbranch_execz .LBB1370_98
; %bb.100:                              ;   in Loop: Header=BB1370_99 Depth=1
	v_lshl_add_u64 v[66:67], v[66:67], 0, -1
	v_cmp_eq_u64_e64 s[0:1], 0, v[66:67]
	s_andn2_b64 s[4:5], s[26:27], exec
	s_and_b64 s[26:27], s[2:3], exec
	s_or_b64 s[26:27], s[4:5], s[26:27]
	s_andn2_b64 s[4:5], s[24:25], exec
	s_and_b64 s[0:1], s[0:1], exec
	v_lshl_add_u64 v[54:55], v[54:55], 0, 2
	v_lshl_add_u64 v[64:65], v[64:65], 0, 2
	s_andn2_b64 s[22:23], s[22:23], exec
	s_or_b64 s[24:25], s[4:5], s[0:1]
                                        ; implicit-def: $sgpr28_sgpr29
	s_branch .LBB1370_98
.LBB1370_101:
	s_or_b64 exec, exec, s[18:19]
	s_and_saveexec_b64 s[0:1], s[20:21]
	s_xor_b64 s[0:1], exec, s[0:1]
; %bb.102:
	v_cndmask_b32_e64 v55, v13, v15, s[16:17]
	v_cndmask_b32_e64 v54, v12, v14, s[16:17]
	;; [unrolled: 1-line block ×4, first 2 shown]
	v_mov_b64_e32 v[12:13], v[54:55]
; %bb.103:
	s_or_b64 exec, exec, s[0:1]
	s_or_b64 exec, exec, s[14:15]
	s_and_saveexec_b64 s[14:15], vcc
	s_cbranch_execz .LBB1370_17
.LBB1370_104:
	v_mul_lo_u32 v64, v1, v6
	v_mul_lo_u32 v65, v0, v7
	v_mad_u64_u32 v[54:55], s[0:1], v0, v6, 0
	v_add3_u32 v55, v55, v65, v64
	v_mul_lo_u32 v66, v3, v6
	v_mul_lo_u32 v67, v2, v7
	v_mad_u64_u32 v[64:65], s[0:1], v2, v6, 0
	v_add3_u32 v65, v65, v67, v66
	v_lshl_add_u64 v[54:55], v[54:55], 1, v[8:9]
	v_lshl_add_u64 v[64:65], v[64:65], 1, v[8:9]
	s_mov_b64 s[18:19], 0
	v_mov_b64_e32 v[66:67], v[6:7]
                                        ; implicit-def: $sgpr16_sgpr17
                                        ; implicit-def: $sgpr20_sgpr21
                                        ; implicit-def: $sgpr24_sgpr25
                                        ; implicit-def: $sgpr22_sgpr23
                                        ; implicit-def: $sgpr26_sgpr27
                                        ; implicit-def: $sgpr28_sgpr29
	s_branch .LBB1370_106
.LBB1370_105:                           ;   in Loop: Header=BB1370_106 Depth=1
	s_or_b64 exec, exec, s[30:31]
	s_and_b64 s[0:1], exec, s[24:25]
	s_or_b64 s[18:19], s[0:1], s[18:19]
	s_andn2_b64 s[0:1], s[28:29], exec
	s_and_b64 s[4:5], s[26:27], exec
	s_or_b64 s[28:29], s[0:1], s[4:5]
	s_andn2_b64 s[0:1], s[20:21], exec
	s_and_b64 s[4:5], s[22:23], exec
	;; [unrolled: 3-line block ×3, first 2 shown]
	s_or_b64 s[16:17], s[0:1], s[2:3]
	s_andn2_b64 exec, exec, s[18:19]
	s_cbranch_execz .LBB1370_108
.LBB1370_106:                           ; =>This Inner Loop Header: Depth=1
	flat_load_ushort v68, v[64:65]
	flat_load_ushort v69, v[54:55]
	s_andn2_b64 s[26:27], s[26:27], exec
	s_or_b64 s[22:23], s[22:23], exec
	s_or_b64 s[24:25], s[24:25], exec
	s_waitcnt vmcnt(0) lgkmcnt(0)
	v_cmp_le_u16_e64 s[2:3], v68, v69
	v_cmp_lt_u16_e64 s[0:1], v68, v69
	s_and_b64 s[2:3], s[2:3], s[28:29]
	v_cmp_eq_u16_e64 s[4:5], v68, v69
	s_or_b64 s[2:3], s[0:1], s[2:3]
	s_and_saveexec_b64 s[30:31], s[4:5]
	s_cbranch_execz .LBB1370_105
; %bb.107:                              ;   in Loop: Header=BB1370_106 Depth=1
	v_lshl_add_u64 v[66:67], v[66:67], 0, -1
	v_cmp_eq_u64_e64 s[0:1], 0, v[66:67]
	s_andn2_b64 s[4:5], s[26:27], exec
	s_and_b64 s[26:27], s[2:3], exec
	s_or_b64 s[26:27], s[4:5], s[26:27]
	s_andn2_b64 s[4:5], s[24:25], exec
	s_and_b64 s[0:1], s[0:1], exec
	v_lshl_add_u64 v[54:55], v[54:55], 0, 2
	v_lshl_add_u64 v[64:65], v[64:65], 0, 2
	s_andn2_b64 s[22:23], s[22:23], exec
	s_or_b64 s[24:25], s[4:5], s[0:1]
                                        ; implicit-def: $sgpr28_sgpr29
	s_branch .LBB1370_105
.LBB1370_108:
	s_or_b64 exec, exec, s[18:19]
	s_and_saveexec_b64 s[0:1], s[20:21]
	s_xor_b64 s[0:1], exec, s[0:1]
; %bb.109:
	v_cndmask_b32_e64 v55, v1, v3, s[16:17]
	v_cndmask_b32_e64 v54, v0, v2, s[16:17]
	;; [unrolled: 1-line block ×4, first 2 shown]
	v_mov_b64_e32 v[0:1], v[54:55]
; %bb.110:
	s_or_b64 exec, exec, s[0:1]
	s_or_b64 exec, exec, s[14:15]
	s_and_saveexec_b64 s[14:15], vcc
	s_cbranch_execz .LBB1370_18
.LBB1370_111:
	v_mul_lo_u32 v64, v23, v6
	v_mul_lo_u32 v65, v22, v7
	v_mad_u64_u32 v[54:55], s[0:1], v22, v6, 0
	v_add3_u32 v55, v55, v65, v64
	v_mul_lo_u32 v66, v17, v6
	v_mul_lo_u32 v67, v16, v7
	v_mad_u64_u32 v[64:65], s[0:1], v16, v6, 0
	v_add3_u32 v65, v65, v67, v66
	v_lshl_add_u64 v[54:55], v[54:55], 1, v[8:9]
	v_lshl_add_u64 v[64:65], v[64:65], 1, v[8:9]
	s_mov_b64 s[18:19], 0
	v_mov_b64_e32 v[66:67], v[6:7]
                                        ; implicit-def: $sgpr16_sgpr17
                                        ; implicit-def: $sgpr20_sgpr21
                                        ; implicit-def: $sgpr24_sgpr25
                                        ; implicit-def: $sgpr22_sgpr23
                                        ; implicit-def: $sgpr26_sgpr27
                                        ; implicit-def: $sgpr28_sgpr29
	s_branch .LBB1370_113
.LBB1370_112:                           ;   in Loop: Header=BB1370_113 Depth=1
	s_or_b64 exec, exec, s[30:31]
	s_and_b64 s[0:1], exec, s[24:25]
	s_or_b64 s[18:19], s[0:1], s[18:19]
	s_andn2_b64 s[0:1], s[28:29], exec
	s_and_b64 s[4:5], s[26:27], exec
	s_or_b64 s[28:29], s[0:1], s[4:5]
	s_andn2_b64 s[0:1], s[20:21], exec
	s_and_b64 s[4:5], s[22:23], exec
	;; [unrolled: 3-line block ×3, first 2 shown]
	s_or_b64 s[16:17], s[0:1], s[2:3]
	s_andn2_b64 exec, exec, s[18:19]
	s_cbranch_execz .LBB1370_115
.LBB1370_113:                           ; =>This Inner Loop Header: Depth=1
	flat_load_ushort v68, v[64:65]
	flat_load_ushort v69, v[54:55]
	s_andn2_b64 s[26:27], s[26:27], exec
	s_or_b64 s[22:23], s[22:23], exec
	s_or_b64 s[24:25], s[24:25], exec
	s_waitcnt vmcnt(0) lgkmcnt(0)
	v_cmp_le_u16_e64 s[2:3], v68, v69
	v_cmp_lt_u16_e64 s[0:1], v68, v69
	s_and_b64 s[2:3], s[2:3], s[28:29]
	v_cmp_eq_u16_e64 s[4:5], v68, v69
	s_or_b64 s[2:3], s[0:1], s[2:3]
	s_and_saveexec_b64 s[30:31], s[4:5]
	s_cbranch_execz .LBB1370_112
; %bb.114:                              ;   in Loop: Header=BB1370_113 Depth=1
	v_lshl_add_u64 v[66:67], v[66:67], 0, -1
	v_cmp_eq_u64_e64 s[0:1], 0, v[66:67]
	s_andn2_b64 s[4:5], s[26:27], exec
	s_and_b64 s[26:27], s[2:3], exec
	s_or_b64 s[26:27], s[4:5], s[26:27]
	s_andn2_b64 s[4:5], s[24:25], exec
	s_and_b64 s[0:1], s[0:1], exec
	v_lshl_add_u64 v[54:55], v[54:55], 0, 2
	v_lshl_add_u64 v[64:65], v[64:65], 0, 2
	s_andn2_b64 s[22:23], s[22:23], exec
	s_or_b64 s[24:25], s[4:5], s[0:1]
                                        ; implicit-def: $sgpr28_sgpr29
	s_branch .LBB1370_112
.LBB1370_115:
	s_or_b64 exec, exec, s[18:19]
	s_and_saveexec_b64 s[0:1], s[20:21]
	s_xor_b64 s[0:1], exec, s[0:1]
; %bb.116:
	v_cndmask_b32_e64 v55, v23, v17, s[16:17]
	v_cndmask_b32_e64 v54, v22, v16, s[16:17]
	;; [unrolled: 1-line block ×4, first 2 shown]
	v_mov_b64_e32 v[22:23], v[54:55]
; %bb.117:
	s_or_b64 exec, exec, s[0:1]
	s_or_b64 exec, exec, s[14:15]
	s_and_saveexec_b64 s[14:15], vcc
	s_cbranch_execz .LBB1370_19
.LBB1370_118:
	v_mul_lo_u32 v64, v19, v6
	v_mul_lo_u32 v65, v18, v7
	v_mad_u64_u32 v[54:55], s[0:1], v18, v6, 0
	v_add3_u32 v55, v55, v65, v64
	v_mul_lo_u32 v66, v13, v6
	v_mul_lo_u32 v67, v12, v7
	v_mad_u64_u32 v[64:65], s[0:1], v12, v6, 0
	v_add3_u32 v65, v65, v67, v66
	v_lshl_add_u64 v[54:55], v[54:55], 1, v[8:9]
	v_lshl_add_u64 v[64:65], v[64:65], 1, v[8:9]
	s_mov_b64 s[18:19], 0
	v_mov_b64_e32 v[66:67], v[6:7]
                                        ; implicit-def: $sgpr16_sgpr17
                                        ; implicit-def: $sgpr20_sgpr21
                                        ; implicit-def: $sgpr24_sgpr25
                                        ; implicit-def: $sgpr22_sgpr23
                                        ; implicit-def: $sgpr26_sgpr27
                                        ; implicit-def: $sgpr28_sgpr29
	s_branch .LBB1370_120
.LBB1370_119:                           ;   in Loop: Header=BB1370_120 Depth=1
	s_or_b64 exec, exec, s[30:31]
	s_and_b64 s[0:1], exec, s[24:25]
	s_or_b64 s[18:19], s[0:1], s[18:19]
	s_andn2_b64 s[0:1], s[28:29], exec
	s_and_b64 s[4:5], s[26:27], exec
	s_or_b64 s[28:29], s[0:1], s[4:5]
	s_andn2_b64 s[0:1], s[20:21], exec
	s_and_b64 s[4:5], s[22:23], exec
	;; [unrolled: 3-line block ×3, first 2 shown]
	s_or_b64 s[16:17], s[0:1], s[2:3]
	s_andn2_b64 exec, exec, s[18:19]
	s_cbranch_execz .LBB1370_122
.LBB1370_120:                           ; =>This Inner Loop Header: Depth=1
	flat_load_ushort v68, v[64:65]
	flat_load_ushort v69, v[54:55]
	s_andn2_b64 s[26:27], s[26:27], exec
	s_or_b64 s[22:23], s[22:23], exec
	s_or_b64 s[24:25], s[24:25], exec
	s_waitcnt vmcnt(0) lgkmcnt(0)
	v_cmp_le_u16_e64 s[2:3], v68, v69
	v_cmp_lt_u16_e64 s[0:1], v68, v69
	s_and_b64 s[2:3], s[2:3], s[28:29]
	v_cmp_eq_u16_e64 s[4:5], v68, v69
	s_or_b64 s[2:3], s[0:1], s[2:3]
	s_and_saveexec_b64 s[30:31], s[4:5]
	s_cbranch_execz .LBB1370_119
; %bb.121:                              ;   in Loop: Header=BB1370_120 Depth=1
	v_lshl_add_u64 v[66:67], v[66:67], 0, -1
	v_cmp_eq_u64_e64 s[0:1], 0, v[66:67]
	s_andn2_b64 s[4:5], s[26:27], exec
	s_and_b64 s[26:27], s[2:3], exec
	s_or_b64 s[26:27], s[4:5], s[26:27]
	s_andn2_b64 s[4:5], s[24:25], exec
	s_and_b64 s[0:1], s[0:1], exec
	v_lshl_add_u64 v[54:55], v[54:55], 0, 2
	v_lshl_add_u64 v[64:65], v[64:65], 0, 2
	s_andn2_b64 s[22:23], s[22:23], exec
	s_or_b64 s[24:25], s[4:5], s[0:1]
                                        ; implicit-def: $sgpr28_sgpr29
	s_branch .LBB1370_119
.LBB1370_122:
	s_or_b64 exec, exec, s[18:19]
	s_and_saveexec_b64 s[0:1], s[20:21]
	s_xor_b64 s[0:1], exec, s[0:1]
; %bb.123:
	v_cndmask_b32_e64 v55, v19, v13, s[16:17]
	v_cndmask_b32_e64 v54, v18, v12, s[16:17]
	;; [unrolled: 1-line block ×4, first 2 shown]
	v_mov_b64_e32 v[18:19], v[54:55]
; %bb.124:
	s_or_b64 exec, exec, s[0:1]
	s_or_b64 exec, exec, s[14:15]
	s_and_saveexec_b64 s[14:15], vcc
	s_cbranch_execz .LBB1370_20
.LBB1370_125:
	v_mul_lo_u32 v64, v15, v6
	v_mul_lo_u32 v65, v14, v7
	v_mad_u64_u32 v[54:55], s[0:1], v14, v6, 0
	v_add3_u32 v55, v55, v65, v64
	v_mul_lo_u32 v66, v1, v6
	v_mul_lo_u32 v67, v0, v7
	v_mad_u64_u32 v[64:65], s[0:1], v0, v6, 0
	v_add3_u32 v65, v65, v67, v66
	v_lshl_add_u64 v[54:55], v[54:55], 1, v[8:9]
	v_lshl_add_u64 v[64:65], v[64:65], 1, v[8:9]
	s_mov_b64 s[18:19], 0
	v_mov_b64_e32 v[66:67], v[6:7]
                                        ; implicit-def: $sgpr16_sgpr17
                                        ; implicit-def: $sgpr20_sgpr21
                                        ; implicit-def: $sgpr24_sgpr25
                                        ; implicit-def: $sgpr22_sgpr23
                                        ; implicit-def: $sgpr26_sgpr27
                                        ; implicit-def: $sgpr28_sgpr29
	s_branch .LBB1370_127
.LBB1370_126:                           ;   in Loop: Header=BB1370_127 Depth=1
	s_or_b64 exec, exec, s[30:31]
	s_and_b64 s[0:1], exec, s[24:25]
	s_or_b64 s[18:19], s[0:1], s[18:19]
	s_andn2_b64 s[0:1], s[28:29], exec
	s_and_b64 s[4:5], s[26:27], exec
	s_or_b64 s[28:29], s[0:1], s[4:5]
	s_andn2_b64 s[0:1], s[20:21], exec
	s_and_b64 s[4:5], s[22:23], exec
	;; [unrolled: 3-line block ×3, first 2 shown]
	s_or_b64 s[16:17], s[0:1], s[2:3]
	s_andn2_b64 exec, exec, s[18:19]
	s_cbranch_execz .LBB1370_129
.LBB1370_127:                           ; =>This Inner Loop Header: Depth=1
	flat_load_ushort v68, v[64:65]
	flat_load_ushort v69, v[54:55]
	s_andn2_b64 s[26:27], s[26:27], exec
	s_or_b64 s[22:23], s[22:23], exec
	s_or_b64 s[24:25], s[24:25], exec
	s_waitcnt vmcnt(0) lgkmcnt(0)
	v_cmp_le_u16_e64 s[2:3], v68, v69
	v_cmp_lt_u16_e64 s[0:1], v68, v69
	s_and_b64 s[2:3], s[2:3], s[28:29]
	v_cmp_eq_u16_e64 s[4:5], v68, v69
	s_or_b64 s[2:3], s[0:1], s[2:3]
	s_and_saveexec_b64 s[30:31], s[4:5]
	s_cbranch_execz .LBB1370_126
; %bb.128:                              ;   in Loop: Header=BB1370_127 Depth=1
	v_lshl_add_u64 v[66:67], v[66:67], 0, -1
	v_cmp_eq_u64_e64 s[0:1], 0, v[66:67]
	s_andn2_b64 s[4:5], s[26:27], exec
	s_and_b64 s[26:27], s[2:3], exec
	s_or_b64 s[26:27], s[4:5], s[26:27]
	s_andn2_b64 s[4:5], s[24:25], exec
	s_and_b64 s[0:1], s[0:1], exec
	v_lshl_add_u64 v[54:55], v[54:55], 0, 2
	v_lshl_add_u64 v[64:65], v[64:65], 0, 2
	s_andn2_b64 s[22:23], s[22:23], exec
	s_or_b64 s[24:25], s[4:5], s[0:1]
                                        ; implicit-def: $sgpr28_sgpr29
	s_branch .LBB1370_126
.LBB1370_129:
	s_or_b64 exec, exec, s[18:19]
	s_and_saveexec_b64 s[0:1], s[20:21]
	s_xor_b64 s[0:1], exec, s[0:1]
; %bb.130:
	v_cndmask_b32_e64 v55, v15, v1, s[16:17]
	v_cndmask_b32_e64 v54, v14, v0, s[16:17]
	;; [unrolled: 1-line block ×4, first 2 shown]
	v_mov_b64_e32 v[14:15], v[54:55]
; %bb.131:
	s_or_b64 exec, exec, s[0:1]
	s_or_b64 exec, exec, s[14:15]
	s_and_saveexec_b64 s[14:15], vcc
	s_cbranch_execz .LBB1370_21
.LBB1370_132:
	v_mul_lo_u32 v64, v21, v6
	v_mul_lo_u32 v65, v20, v7
	v_mad_u64_u32 v[54:55], s[0:1], v20, v6, 0
	v_add3_u32 v55, v55, v65, v64
	v_mul_lo_u32 v66, v23, v6
	v_mul_lo_u32 v67, v22, v7
	v_mad_u64_u32 v[64:65], s[0:1], v22, v6, 0
	v_add3_u32 v65, v65, v67, v66
	v_lshl_add_u64 v[54:55], v[54:55], 1, v[8:9]
	v_lshl_add_u64 v[64:65], v[64:65], 1, v[8:9]
	s_mov_b64 s[18:19], 0
	v_mov_b64_e32 v[66:67], v[6:7]
                                        ; implicit-def: $sgpr16_sgpr17
                                        ; implicit-def: $sgpr20_sgpr21
                                        ; implicit-def: $sgpr24_sgpr25
                                        ; implicit-def: $sgpr22_sgpr23
                                        ; implicit-def: $sgpr26_sgpr27
                                        ; implicit-def: $sgpr28_sgpr29
	s_branch .LBB1370_134
.LBB1370_133:                           ;   in Loop: Header=BB1370_134 Depth=1
	s_or_b64 exec, exec, s[30:31]
	s_and_b64 s[0:1], exec, s[24:25]
	s_or_b64 s[18:19], s[0:1], s[18:19]
	s_andn2_b64 s[0:1], s[28:29], exec
	s_and_b64 s[4:5], s[26:27], exec
	s_or_b64 s[28:29], s[0:1], s[4:5]
	s_andn2_b64 s[0:1], s[20:21], exec
	s_and_b64 s[4:5], s[22:23], exec
	;; [unrolled: 3-line block ×3, first 2 shown]
	s_or_b64 s[16:17], s[0:1], s[2:3]
	s_andn2_b64 exec, exec, s[18:19]
	s_cbranch_execz .LBB1370_136
.LBB1370_134:                           ; =>This Inner Loop Header: Depth=1
	flat_load_ushort v68, v[64:65]
	flat_load_ushort v69, v[54:55]
	s_andn2_b64 s[26:27], s[26:27], exec
	s_or_b64 s[22:23], s[22:23], exec
	s_or_b64 s[24:25], s[24:25], exec
	s_waitcnt vmcnt(0) lgkmcnt(0)
	v_cmp_le_u16_e64 s[2:3], v68, v69
	v_cmp_lt_u16_e64 s[0:1], v68, v69
	s_and_b64 s[2:3], s[2:3], s[28:29]
	v_cmp_eq_u16_e64 s[4:5], v68, v69
	s_or_b64 s[2:3], s[0:1], s[2:3]
	s_and_saveexec_b64 s[30:31], s[4:5]
	s_cbranch_execz .LBB1370_133
; %bb.135:                              ;   in Loop: Header=BB1370_134 Depth=1
	v_lshl_add_u64 v[66:67], v[66:67], 0, -1
	v_cmp_eq_u64_e64 s[0:1], 0, v[66:67]
	s_andn2_b64 s[4:5], s[26:27], exec
	s_and_b64 s[26:27], s[2:3], exec
	s_or_b64 s[26:27], s[4:5], s[26:27]
	s_andn2_b64 s[4:5], s[24:25], exec
	s_and_b64 s[0:1], s[0:1], exec
	v_lshl_add_u64 v[54:55], v[54:55], 0, 2
	v_lshl_add_u64 v[64:65], v[64:65], 0, 2
	s_andn2_b64 s[22:23], s[22:23], exec
	s_or_b64 s[24:25], s[4:5], s[0:1]
                                        ; implicit-def: $sgpr28_sgpr29
	s_branch .LBB1370_133
.LBB1370_136:
	s_or_b64 exec, exec, s[18:19]
	s_and_saveexec_b64 s[0:1], s[20:21]
	s_xor_b64 s[0:1], exec, s[0:1]
; %bb.137:
	v_cndmask_b32_e64 v55, v23, v21, s[16:17]
	v_cndmask_b32_e64 v54, v22, v20, s[16:17]
	;; [unrolled: 1-line block ×4, first 2 shown]
	v_mov_b64_e32 v[22:23], v[54:55]
; %bb.138:
	s_or_b64 exec, exec, s[0:1]
	s_or_b64 exec, exec, s[14:15]
	s_and_saveexec_b64 s[14:15], vcc
	s_cbranch_execz .LBB1370_22
.LBB1370_139:
	v_mul_lo_u32 v64, v17, v6
	v_mul_lo_u32 v65, v16, v7
	v_mad_u64_u32 v[54:55], s[0:1], v16, v6, 0
	v_add3_u32 v55, v55, v65, v64
	v_mul_lo_u32 v66, v19, v6
	v_mul_lo_u32 v67, v18, v7
	v_mad_u64_u32 v[64:65], s[0:1], v18, v6, 0
	v_add3_u32 v65, v65, v67, v66
	v_lshl_add_u64 v[54:55], v[54:55], 1, v[8:9]
	v_lshl_add_u64 v[64:65], v[64:65], 1, v[8:9]
	s_mov_b64 s[18:19], 0
	v_mov_b64_e32 v[66:67], v[6:7]
                                        ; implicit-def: $sgpr16_sgpr17
                                        ; implicit-def: $sgpr20_sgpr21
                                        ; implicit-def: $sgpr24_sgpr25
                                        ; implicit-def: $sgpr22_sgpr23
                                        ; implicit-def: $sgpr26_sgpr27
                                        ; implicit-def: $sgpr28_sgpr29
	s_branch .LBB1370_141
.LBB1370_140:                           ;   in Loop: Header=BB1370_141 Depth=1
	s_or_b64 exec, exec, s[30:31]
	s_and_b64 s[0:1], exec, s[24:25]
	s_or_b64 s[18:19], s[0:1], s[18:19]
	s_andn2_b64 s[0:1], s[28:29], exec
	s_and_b64 s[4:5], s[26:27], exec
	s_or_b64 s[28:29], s[0:1], s[4:5]
	s_andn2_b64 s[0:1], s[20:21], exec
	s_and_b64 s[4:5], s[22:23], exec
	s_or_b64 s[20:21], s[0:1], s[4:5]
	s_andn2_b64 s[0:1], s[16:17], exec
	s_and_b64 s[2:3], s[2:3], exec
	s_or_b64 s[16:17], s[0:1], s[2:3]
	s_andn2_b64 exec, exec, s[18:19]
	s_cbranch_execz .LBB1370_143
.LBB1370_141:                           ; =>This Inner Loop Header: Depth=1
	flat_load_ushort v68, v[64:65]
	flat_load_ushort v69, v[54:55]
	s_andn2_b64 s[26:27], s[26:27], exec
	s_or_b64 s[22:23], s[22:23], exec
	s_or_b64 s[24:25], s[24:25], exec
	s_waitcnt vmcnt(0) lgkmcnt(0)
	v_cmp_le_u16_e64 s[2:3], v68, v69
	v_cmp_lt_u16_e64 s[0:1], v68, v69
	s_and_b64 s[2:3], s[2:3], s[28:29]
	v_cmp_eq_u16_e64 s[4:5], v68, v69
	s_or_b64 s[2:3], s[0:1], s[2:3]
	s_and_saveexec_b64 s[30:31], s[4:5]
	s_cbranch_execz .LBB1370_140
; %bb.142:                              ;   in Loop: Header=BB1370_141 Depth=1
	v_lshl_add_u64 v[66:67], v[66:67], 0, -1
	v_cmp_eq_u64_e64 s[0:1], 0, v[66:67]
	s_andn2_b64 s[4:5], s[26:27], exec
	s_and_b64 s[26:27], s[2:3], exec
	s_or_b64 s[26:27], s[4:5], s[26:27]
	s_andn2_b64 s[4:5], s[24:25], exec
	s_and_b64 s[0:1], s[0:1], exec
	v_lshl_add_u64 v[54:55], v[54:55], 0, 2
	v_lshl_add_u64 v[64:65], v[64:65], 0, 2
	s_andn2_b64 s[22:23], s[22:23], exec
	s_or_b64 s[24:25], s[4:5], s[0:1]
                                        ; implicit-def: $sgpr28_sgpr29
	s_branch .LBB1370_140
.LBB1370_143:
	s_or_b64 exec, exec, s[18:19]
	s_and_saveexec_b64 s[0:1], s[20:21]
	s_xor_b64 s[0:1], exec, s[0:1]
; %bb.144:
	v_cndmask_b32_e64 v55, v17, v19, s[16:17]
	v_cndmask_b32_e64 v54, v16, v18, s[16:17]
	;; [unrolled: 1-line block ×4, first 2 shown]
	v_mov_b64_e32 v[16:17], v[54:55]
; %bb.145:
	s_or_b64 exec, exec, s[0:1]
	s_or_b64 exec, exec, s[14:15]
	s_and_saveexec_b64 s[14:15], vcc
	s_cbranch_execz .LBB1370_23
.LBB1370_146:
	v_mul_lo_u32 v64, v13, v6
	v_mul_lo_u32 v65, v12, v7
	v_mad_u64_u32 v[54:55], s[0:1], v12, v6, 0
	v_add3_u32 v55, v55, v65, v64
	v_mul_lo_u32 v66, v15, v6
	v_mul_lo_u32 v67, v14, v7
	v_mad_u64_u32 v[64:65], s[0:1], v14, v6, 0
	v_add3_u32 v65, v65, v67, v66
	v_lshl_add_u64 v[54:55], v[54:55], 1, v[8:9]
	v_lshl_add_u64 v[64:65], v[64:65], 1, v[8:9]
	s_mov_b64 s[18:19], 0
	v_mov_b64_e32 v[66:67], v[6:7]
                                        ; implicit-def: $sgpr16_sgpr17
                                        ; implicit-def: $sgpr20_sgpr21
                                        ; implicit-def: $sgpr24_sgpr25
                                        ; implicit-def: $sgpr22_sgpr23
                                        ; implicit-def: $sgpr26_sgpr27
                                        ; implicit-def: $sgpr28_sgpr29
	s_branch .LBB1370_148
.LBB1370_147:                           ;   in Loop: Header=BB1370_148 Depth=1
	s_or_b64 exec, exec, s[30:31]
	s_and_b64 s[0:1], exec, s[24:25]
	s_or_b64 s[18:19], s[0:1], s[18:19]
	s_andn2_b64 s[0:1], s[28:29], exec
	s_and_b64 s[4:5], s[26:27], exec
	s_or_b64 s[28:29], s[0:1], s[4:5]
	s_andn2_b64 s[0:1], s[20:21], exec
	s_and_b64 s[4:5], s[22:23], exec
	;; [unrolled: 3-line block ×3, first 2 shown]
	s_or_b64 s[16:17], s[0:1], s[2:3]
	s_andn2_b64 exec, exec, s[18:19]
	s_cbranch_execz .LBB1370_150
.LBB1370_148:                           ; =>This Inner Loop Header: Depth=1
	flat_load_ushort v68, v[64:65]
	flat_load_ushort v69, v[54:55]
	s_andn2_b64 s[26:27], s[26:27], exec
	s_or_b64 s[22:23], s[22:23], exec
	s_or_b64 s[24:25], s[24:25], exec
	s_waitcnt vmcnt(0) lgkmcnt(0)
	v_cmp_le_u16_e64 s[2:3], v68, v69
	v_cmp_lt_u16_e64 s[0:1], v68, v69
	s_and_b64 s[2:3], s[2:3], s[28:29]
	v_cmp_eq_u16_e64 s[4:5], v68, v69
	s_or_b64 s[2:3], s[0:1], s[2:3]
	s_and_saveexec_b64 s[30:31], s[4:5]
	s_cbranch_execz .LBB1370_147
; %bb.149:                              ;   in Loop: Header=BB1370_148 Depth=1
	v_lshl_add_u64 v[66:67], v[66:67], 0, -1
	v_cmp_eq_u64_e64 s[0:1], 0, v[66:67]
	s_andn2_b64 s[4:5], s[26:27], exec
	s_and_b64 s[26:27], s[2:3], exec
	s_or_b64 s[26:27], s[4:5], s[26:27]
	s_andn2_b64 s[4:5], s[24:25], exec
	s_and_b64 s[0:1], s[0:1], exec
	v_lshl_add_u64 v[54:55], v[54:55], 0, 2
	v_lshl_add_u64 v[64:65], v[64:65], 0, 2
	s_andn2_b64 s[22:23], s[22:23], exec
	s_or_b64 s[24:25], s[4:5], s[0:1]
                                        ; implicit-def: $sgpr28_sgpr29
	s_branch .LBB1370_147
.LBB1370_150:
	s_or_b64 exec, exec, s[18:19]
	s_and_saveexec_b64 s[0:1], s[20:21]
	s_xor_b64 s[0:1], exec, s[0:1]
; %bb.151:
	v_cndmask_b32_e64 v55, v13, v15, s[16:17]
	v_cndmask_b32_e64 v54, v12, v14, s[16:17]
	v_cndmask_b32_e64 v15, v15, v13, s[16:17]
	v_cndmask_b32_e64 v14, v14, v12, s[16:17]
	v_mov_b64_e32 v[12:13], v[54:55]
; %bb.152:
	s_or_b64 exec, exec, s[0:1]
	s_or_b64 exec, exec, s[14:15]
	s_and_saveexec_b64 s[14:15], vcc
	s_cbranch_execz .LBB1370_24
.LBB1370_153:
	v_mul_lo_u32 v64, v1, v6
	v_mul_lo_u32 v65, v0, v7
	v_mad_u64_u32 v[54:55], s[0:1], v0, v6, 0
	v_add3_u32 v55, v55, v65, v64
	v_mul_lo_u32 v66, v3, v6
	v_mul_lo_u32 v67, v2, v7
	v_mad_u64_u32 v[64:65], s[0:1], v2, v6, 0
	v_add3_u32 v65, v65, v67, v66
	v_lshl_add_u64 v[54:55], v[54:55], 1, v[8:9]
	v_lshl_add_u64 v[64:65], v[64:65], 1, v[8:9]
	s_mov_b64 s[18:19], 0
	v_mov_b64_e32 v[66:67], v[6:7]
                                        ; implicit-def: $sgpr16_sgpr17
                                        ; implicit-def: $sgpr20_sgpr21
                                        ; implicit-def: $sgpr24_sgpr25
                                        ; implicit-def: $sgpr22_sgpr23
                                        ; implicit-def: $sgpr26_sgpr27
                                        ; implicit-def: $sgpr28_sgpr29
	s_branch .LBB1370_155
.LBB1370_154:                           ;   in Loop: Header=BB1370_155 Depth=1
	s_or_b64 exec, exec, s[30:31]
	s_and_b64 s[0:1], exec, s[24:25]
	s_or_b64 s[18:19], s[0:1], s[18:19]
	s_andn2_b64 s[0:1], s[28:29], exec
	s_and_b64 s[4:5], s[26:27], exec
	s_or_b64 s[28:29], s[0:1], s[4:5]
	s_andn2_b64 s[0:1], s[20:21], exec
	s_and_b64 s[4:5], s[22:23], exec
	;; [unrolled: 3-line block ×3, first 2 shown]
	s_or_b64 s[16:17], s[0:1], s[2:3]
	s_andn2_b64 exec, exec, s[18:19]
	s_cbranch_execz .LBB1370_157
.LBB1370_155:                           ; =>This Inner Loop Header: Depth=1
	flat_load_ushort v68, v[64:65]
	flat_load_ushort v69, v[54:55]
	s_andn2_b64 s[26:27], s[26:27], exec
	s_or_b64 s[22:23], s[22:23], exec
	s_or_b64 s[24:25], s[24:25], exec
	s_waitcnt vmcnt(0) lgkmcnt(0)
	v_cmp_le_u16_e64 s[2:3], v68, v69
	v_cmp_lt_u16_e64 s[0:1], v68, v69
	s_and_b64 s[2:3], s[2:3], s[28:29]
	v_cmp_eq_u16_e64 s[4:5], v68, v69
	s_or_b64 s[2:3], s[0:1], s[2:3]
	s_and_saveexec_b64 s[30:31], s[4:5]
	s_cbranch_execz .LBB1370_154
; %bb.156:                              ;   in Loop: Header=BB1370_155 Depth=1
	v_lshl_add_u64 v[66:67], v[66:67], 0, -1
	v_cmp_eq_u64_e64 s[0:1], 0, v[66:67]
	s_andn2_b64 s[4:5], s[26:27], exec
	s_and_b64 s[26:27], s[2:3], exec
	s_or_b64 s[26:27], s[4:5], s[26:27]
	s_andn2_b64 s[4:5], s[24:25], exec
	s_and_b64 s[0:1], s[0:1], exec
	v_lshl_add_u64 v[54:55], v[54:55], 0, 2
	v_lshl_add_u64 v[64:65], v[64:65], 0, 2
	s_andn2_b64 s[22:23], s[22:23], exec
	s_or_b64 s[24:25], s[4:5], s[0:1]
                                        ; implicit-def: $sgpr28_sgpr29
	s_branch .LBB1370_154
.LBB1370_157:
	s_or_b64 exec, exec, s[18:19]
	s_and_saveexec_b64 s[0:1], s[20:21]
	s_xor_b64 s[0:1], exec, s[0:1]
; %bb.158:
	v_cndmask_b32_e64 v55, v1, v3, s[16:17]
	v_cndmask_b32_e64 v54, v0, v2, s[16:17]
	;; [unrolled: 1-line block ×4, first 2 shown]
	v_mov_b64_e32 v[0:1], v[54:55]
; %bb.159:
	s_or_b64 exec, exec, s[0:1]
	s_or_b64 exec, exec, s[14:15]
	s_and_saveexec_b64 s[14:15], vcc
	s_cbranch_execz .LBB1370_25
.LBB1370_160:
	v_mul_lo_u32 v64, v23, v6
	v_mul_lo_u32 v65, v22, v7
	v_mad_u64_u32 v[54:55], s[0:1], v22, v6, 0
	v_add3_u32 v55, v55, v65, v64
	v_mul_lo_u32 v66, v17, v6
	v_mul_lo_u32 v67, v16, v7
	v_mad_u64_u32 v[64:65], s[0:1], v16, v6, 0
	v_add3_u32 v65, v65, v67, v66
	v_lshl_add_u64 v[54:55], v[54:55], 1, v[8:9]
	v_lshl_add_u64 v[64:65], v[64:65], 1, v[8:9]
	s_mov_b64 s[18:19], 0
	v_mov_b64_e32 v[66:67], v[6:7]
                                        ; implicit-def: $sgpr16_sgpr17
                                        ; implicit-def: $sgpr20_sgpr21
                                        ; implicit-def: $sgpr24_sgpr25
                                        ; implicit-def: $sgpr22_sgpr23
                                        ; implicit-def: $sgpr26_sgpr27
                                        ; implicit-def: $sgpr28_sgpr29
	s_branch .LBB1370_162
.LBB1370_161:                           ;   in Loop: Header=BB1370_162 Depth=1
	s_or_b64 exec, exec, s[30:31]
	s_and_b64 s[0:1], exec, s[24:25]
	s_or_b64 s[18:19], s[0:1], s[18:19]
	s_andn2_b64 s[0:1], s[28:29], exec
	s_and_b64 s[4:5], s[26:27], exec
	s_or_b64 s[28:29], s[0:1], s[4:5]
	s_andn2_b64 s[0:1], s[20:21], exec
	s_and_b64 s[4:5], s[22:23], exec
	;; [unrolled: 3-line block ×3, first 2 shown]
	s_or_b64 s[16:17], s[0:1], s[2:3]
	s_andn2_b64 exec, exec, s[18:19]
	s_cbranch_execz .LBB1370_164
.LBB1370_162:                           ; =>This Inner Loop Header: Depth=1
	flat_load_ushort v68, v[64:65]
	flat_load_ushort v69, v[54:55]
	s_andn2_b64 s[26:27], s[26:27], exec
	s_or_b64 s[22:23], s[22:23], exec
	s_or_b64 s[24:25], s[24:25], exec
	s_waitcnt vmcnt(0) lgkmcnt(0)
	v_cmp_le_u16_e64 s[2:3], v68, v69
	v_cmp_lt_u16_e64 s[0:1], v68, v69
	s_and_b64 s[2:3], s[2:3], s[28:29]
	v_cmp_eq_u16_e64 s[4:5], v68, v69
	s_or_b64 s[2:3], s[0:1], s[2:3]
	s_and_saveexec_b64 s[30:31], s[4:5]
	s_cbranch_execz .LBB1370_161
; %bb.163:                              ;   in Loop: Header=BB1370_162 Depth=1
	v_lshl_add_u64 v[66:67], v[66:67], 0, -1
	v_cmp_eq_u64_e64 s[0:1], 0, v[66:67]
	s_andn2_b64 s[4:5], s[26:27], exec
	s_and_b64 s[26:27], s[2:3], exec
	s_or_b64 s[26:27], s[4:5], s[26:27]
	s_andn2_b64 s[4:5], s[24:25], exec
	s_and_b64 s[0:1], s[0:1], exec
	v_lshl_add_u64 v[54:55], v[54:55], 0, 2
	v_lshl_add_u64 v[64:65], v[64:65], 0, 2
	s_andn2_b64 s[22:23], s[22:23], exec
	s_or_b64 s[24:25], s[4:5], s[0:1]
                                        ; implicit-def: $sgpr28_sgpr29
	s_branch .LBB1370_161
.LBB1370_164:
	s_or_b64 exec, exec, s[18:19]
	s_and_saveexec_b64 s[0:1], s[20:21]
	s_xor_b64 s[0:1], exec, s[0:1]
; %bb.165:
	v_cndmask_b32_e64 v55, v23, v17, s[16:17]
	v_cndmask_b32_e64 v54, v22, v16, s[16:17]
	;; [unrolled: 1-line block ×4, first 2 shown]
	v_mov_b64_e32 v[22:23], v[54:55]
; %bb.166:
	s_or_b64 exec, exec, s[0:1]
	s_or_b64 exec, exec, s[14:15]
	s_and_saveexec_b64 s[14:15], vcc
	s_cbranch_execz .LBB1370_26
.LBB1370_167:
	v_mul_lo_u32 v64, v19, v6
	v_mul_lo_u32 v65, v18, v7
	v_mad_u64_u32 v[54:55], s[0:1], v18, v6, 0
	v_add3_u32 v55, v55, v65, v64
	v_mul_lo_u32 v66, v13, v6
	v_mul_lo_u32 v67, v12, v7
	v_mad_u64_u32 v[64:65], s[0:1], v12, v6, 0
	v_add3_u32 v65, v65, v67, v66
	v_lshl_add_u64 v[54:55], v[54:55], 1, v[8:9]
	v_lshl_add_u64 v[64:65], v[64:65], 1, v[8:9]
	s_mov_b64 s[18:19], 0
	v_mov_b64_e32 v[66:67], v[6:7]
                                        ; implicit-def: $sgpr16_sgpr17
                                        ; implicit-def: $sgpr20_sgpr21
                                        ; implicit-def: $sgpr24_sgpr25
                                        ; implicit-def: $sgpr22_sgpr23
                                        ; implicit-def: $sgpr26_sgpr27
                                        ; implicit-def: $sgpr28_sgpr29
	s_branch .LBB1370_169
.LBB1370_168:                           ;   in Loop: Header=BB1370_169 Depth=1
	s_or_b64 exec, exec, s[30:31]
	s_and_b64 s[0:1], exec, s[24:25]
	s_or_b64 s[18:19], s[0:1], s[18:19]
	s_andn2_b64 s[0:1], s[28:29], exec
	s_and_b64 s[4:5], s[26:27], exec
	s_or_b64 s[28:29], s[0:1], s[4:5]
	s_andn2_b64 s[0:1], s[20:21], exec
	s_and_b64 s[4:5], s[22:23], exec
	;; [unrolled: 3-line block ×3, first 2 shown]
	s_or_b64 s[16:17], s[0:1], s[2:3]
	s_andn2_b64 exec, exec, s[18:19]
	s_cbranch_execz .LBB1370_171
.LBB1370_169:                           ; =>This Inner Loop Header: Depth=1
	flat_load_ushort v68, v[64:65]
	flat_load_ushort v69, v[54:55]
	s_andn2_b64 s[26:27], s[26:27], exec
	s_or_b64 s[22:23], s[22:23], exec
	s_or_b64 s[24:25], s[24:25], exec
	s_waitcnt vmcnt(0) lgkmcnt(0)
	v_cmp_le_u16_e64 s[2:3], v68, v69
	v_cmp_lt_u16_e64 s[0:1], v68, v69
	s_and_b64 s[2:3], s[2:3], s[28:29]
	v_cmp_eq_u16_e64 s[4:5], v68, v69
	s_or_b64 s[2:3], s[0:1], s[2:3]
	s_and_saveexec_b64 s[30:31], s[4:5]
	s_cbranch_execz .LBB1370_168
; %bb.170:                              ;   in Loop: Header=BB1370_169 Depth=1
	v_lshl_add_u64 v[66:67], v[66:67], 0, -1
	v_cmp_eq_u64_e64 s[0:1], 0, v[66:67]
	s_andn2_b64 s[4:5], s[26:27], exec
	s_and_b64 s[26:27], s[2:3], exec
	s_or_b64 s[26:27], s[4:5], s[26:27]
	s_andn2_b64 s[4:5], s[24:25], exec
	s_and_b64 s[0:1], s[0:1], exec
	v_lshl_add_u64 v[54:55], v[54:55], 0, 2
	v_lshl_add_u64 v[64:65], v[64:65], 0, 2
	s_andn2_b64 s[22:23], s[22:23], exec
	s_or_b64 s[24:25], s[4:5], s[0:1]
                                        ; implicit-def: $sgpr28_sgpr29
	s_branch .LBB1370_168
.LBB1370_171:
	s_or_b64 exec, exec, s[18:19]
	s_and_saveexec_b64 s[0:1], s[20:21]
	s_xor_b64 s[0:1], exec, s[0:1]
; %bb.172:
	v_cndmask_b32_e64 v55, v19, v13, s[16:17]
	v_cndmask_b32_e64 v54, v18, v12, s[16:17]
	;; [unrolled: 1-line block ×4, first 2 shown]
	v_mov_b64_e32 v[18:19], v[54:55]
; %bb.173:
	s_or_b64 exec, exec, s[0:1]
	s_or_b64 exec, exec, s[14:15]
	s_and_saveexec_b64 s[14:15], vcc
	s_cbranch_execz .LBB1370_27
.LBB1370_174:
	v_mul_lo_u32 v64, v15, v6
	v_mul_lo_u32 v65, v14, v7
	v_mad_u64_u32 v[54:55], s[0:1], v14, v6, 0
	v_add3_u32 v55, v55, v65, v64
	v_mul_lo_u32 v66, v1, v6
	v_mul_lo_u32 v67, v0, v7
	v_mad_u64_u32 v[64:65], s[0:1], v0, v6, 0
	v_add3_u32 v65, v65, v67, v66
	v_lshl_add_u64 v[54:55], v[54:55], 1, v[8:9]
	v_lshl_add_u64 v[64:65], v[64:65], 1, v[8:9]
	s_mov_b64 s[18:19], 0
	v_mov_b64_e32 v[66:67], v[6:7]
                                        ; implicit-def: $sgpr16_sgpr17
                                        ; implicit-def: $sgpr20_sgpr21
                                        ; implicit-def: $sgpr24_sgpr25
                                        ; implicit-def: $sgpr22_sgpr23
                                        ; implicit-def: $sgpr26_sgpr27
                                        ; implicit-def: $sgpr28_sgpr29
	s_branch .LBB1370_176
.LBB1370_175:                           ;   in Loop: Header=BB1370_176 Depth=1
	s_or_b64 exec, exec, s[30:31]
	s_and_b64 s[0:1], exec, s[24:25]
	s_or_b64 s[18:19], s[0:1], s[18:19]
	s_andn2_b64 s[0:1], s[28:29], exec
	s_and_b64 s[4:5], s[26:27], exec
	s_or_b64 s[28:29], s[0:1], s[4:5]
	s_andn2_b64 s[0:1], s[20:21], exec
	s_and_b64 s[4:5], s[22:23], exec
	s_or_b64 s[20:21], s[0:1], s[4:5]
	s_andn2_b64 s[0:1], s[16:17], exec
	s_and_b64 s[2:3], s[2:3], exec
	s_or_b64 s[16:17], s[0:1], s[2:3]
	s_andn2_b64 exec, exec, s[18:19]
	s_cbranch_execz .LBB1370_178
.LBB1370_176:                           ; =>This Inner Loop Header: Depth=1
	flat_load_ushort v68, v[64:65]
	flat_load_ushort v69, v[54:55]
	s_andn2_b64 s[26:27], s[26:27], exec
	s_or_b64 s[22:23], s[22:23], exec
	s_or_b64 s[24:25], s[24:25], exec
	s_waitcnt vmcnt(0) lgkmcnt(0)
	v_cmp_le_u16_e64 s[2:3], v68, v69
	v_cmp_lt_u16_e64 s[0:1], v68, v69
	s_and_b64 s[2:3], s[2:3], s[28:29]
	v_cmp_eq_u16_e64 s[4:5], v68, v69
	s_or_b64 s[2:3], s[0:1], s[2:3]
	s_and_saveexec_b64 s[30:31], s[4:5]
	s_cbranch_execz .LBB1370_175
; %bb.177:                              ;   in Loop: Header=BB1370_176 Depth=1
	v_lshl_add_u64 v[66:67], v[66:67], 0, -1
	v_cmp_eq_u64_e64 s[0:1], 0, v[66:67]
	s_andn2_b64 s[4:5], s[26:27], exec
	s_and_b64 s[26:27], s[2:3], exec
	s_or_b64 s[26:27], s[4:5], s[26:27]
	s_andn2_b64 s[4:5], s[24:25], exec
	s_and_b64 s[0:1], s[0:1], exec
	v_lshl_add_u64 v[54:55], v[54:55], 0, 2
	v_lshl_add_u64 v[64:65], v[64:65], 0, 2
	s_andn2_b64 s[22:23], s[22:23], exec
	s_or_b64 s[24:25], s[4:5], s[0:1]
                                        ; implicit-def: $sgpr28_sgpr29
	s_branch .LBB1370_175
.LBB1370_178:
	s_or_b64 exec, exec, s[18:19]
	s_and_saveexec_b64 s[0:1], s[20:21]
	s_xor_b64 s[0:1], exec, s[0:1]
; %bb.179:
	v_cndmask_b32_e64 v55, v15, v1, s[16:17]
	v_cndmask_b32_e64 v54, v14, v0, s[16:17]
	;; [unrolled: 1-line block ×4, first 2 shown]
	v_mov_b64_e32 v[14:15], v[54:55]
; %bb.180:
	s_or_b64 exec, exec, s[0:1]
	s_or_b64 exec, exec, s[14:15]
	s_and_saveexec_b64 s[14:15], vcc
	s_cbranch_execz .LBB1370_28
.LBB1370_181:
	v_mul_lo_u32 v64, v21, v6
	v_mul_lo_u32 v65, v20, v7
	v_mad_u64_u32 v[54:55], s[0:1], v20, v6, 0
	v_add3_u32 v55, v55, v65, v64
	v_mul_lo_u32 v66, v23, v6
	v_mul_lo_u32 v67, v22, v7
	v_mad_u64_u32 v[64:65], s[0:1], v22, v6, 0
	v_add3_u32 v65, v65, v67, v66
	v_lshl_add_u64 v[54:55], v[54:55], 1, v[8:9]
	v_lshl_add_u64 v[64:65], v[64:65], 1, v[8:9]
	s_mov_b64 s[18:19], 0
	v_mov_b64_e32 v[66:67], v[6:7]
                                        ; implicit-def: $sgpr16_sgpr17
                                        ; implicit-def: $sgpr20_sgpr21
                                        ; implicit-def: $sgpr24_sgpr25
                                        ; implicit-def: $sgpr22_sgpr23
                                        ; implicit-def: $sgpr26_sgpr27
                                        ; implicit-def: $sgpr28_sgpr29
	s_branch .LBB1370_183
.LBB1370_182:                           ;   in Loop: Header=BB1370_183 Depth=1
	s_or_b64 exec, exec, s[30:31]
	s_and_b64 s[0:1], exec, s[24:25]
	s_or_b64 s[18:19], s[0:1], s[18:19]
	s_andn2_b64 s[0:1], s[28:29], exec
	s_and_b64 s[4:5], s[26:27], exec
	s_or_b64 s[28:29], s[0:1], s[4:5]
	s_andn2_b64 s[0:1], s[20:21], exec
	s_and_b64 s[4:5], s[22:23], exec
	;; [unrolled: 3-line block ×3, first 2 shown]
	s_or_b64 s[16:17], s[0:1], s[2:3]
	s_andn2_b64 exec, exec, s[18:19]
	s_cbranch_execz .LBB1370_185
.LBB1370_183:                           ; =>This Inner Loop Header: Depth=1
	flat_load_ushort v68, v[64:65]
	flat_load_ushort v69, v[54:55]
	s_andn2_b64 s[26:27], s[26:27], exec
	s_or_b64 s[22:23], s[22:23], exec
	s_or_b64 s[24:25], s[24:25], exec
	s_waitcnt vmcnt(0) lgkmcnt(0)
	v_cmp_le_u16_e64 s[2:3], v68, v69
	v_cmp_lt_u16_e64 s[0:1], v68, v69
	s_and_b64 s[2:3], s[2:3], s[28:29]
	v_cmp_eq_u16_e64 s[4:5], v68, v69
	s_or_b64 s[2:3], s[0:1], s[2:3]
	s_and_saveexec_b64 s[30:31], s[4:5]
	s_cbranch_execz .LBB1370_182
; %bb.184:                              ;   in Loop: Header=BB1370_183 Depth=1
	v_lshl_add_u64 v[66:67], v[66:67], 0, -1
	v_cmp_eq_u64_e64 s[0:1], 0, v[66:67]
	s_andn2_b64 s[4:5], s[26:27], exec
	s_and_b64 s[26:27], s[2:3], exec
	s_or_b64 s[26:27], s[4:5], s[26:27]
	s_andn2_b64 s[4:5], s[24:25], exec
	s_and_b64 s[0:1], s[0:1], exec
	v_lshl_add_u64 v[54:55], v[54:55], 0, 2
	v_lshl_add_u64 v[64:65], v[64:65], 0, 2
	s_andn2_b64 s[22:23], s[22:23], exec
	s_or_b64 s[24:25], s[4:5], s[0:1]
                                        ; implicit-def: $sgpr28_sgpr29
	s_branch .LBB1370_182
.LBB1370_185:
	s_or_b64 exec, exec, s[18:19]
	s_and_saveexec_b64 s[0:1], s[20:21]
	s_xor_b64 s[0:1], exec, s[0:1]
; %bb.186:
	v_cndmask_b32_e64 v55, v23, v21, s[16:17]
	v_cndmask_b32_e64 v54, v22, v20, s[16:17]
	;; [unrolled: 1-line block ×4, first 2 shown]
	v_mov_b64_e32 v[22:23], v[54:55]
; %bb.187:
	s_or_b64 exec, exec, s[0:1]
	s_or_b64 exec, exec, s[14:15]
	s_and_saveexec_b64 s[14:15], vcc
	s_cbranch_execz .LBB1370_29
.LBB1370_188:
	v_mul_lo_u32 v64, v17, v6
	v_mul_lo_u32 v65, v16, v7
	v_mad_u64_u32 v[54:55], s[0:1], v16, v6, 0
	v_add3_u32 v55, v55, v65, v64
	v_mul_lo_u32 v66, v19, v6
	v_mul_lo_u32 v67, v18, v7
	v_mad_u64_u32 v[64:65], s[0:1], v18, v6, 0
	v_add3_u32 v65, v65, v67, v66
	v_lshl_add_u64 v[54:55], v[54:55], 1, v[8:9]
	v_lshl_add_u64 v[64:65], v[64:65], 1, v[8:9]
	s_mov_b64 s[18:19], 0
	v_mov_b64_e32 v[66:67], v[6:7]
                                        ; implicit-def: $sgpr16_sgpr17
                                        ; implicit-def: $sgpr20_sgpr21
                                        ; implicit-def: $sgpr24_sgpr25
                                        ; implicit-def: $sgpr22_sgpr23
                                        ; implicit-def: $sgpr26_sgpr27
                                        ; implicit-def: $sgpr28_sgpr29
	s_branch .LBB1370_190
.LBB1370_189:                           ;   in Loop: Header=BB1370_190 Depth=1
	s_or_b64 exec, exec, s[30:31]
	s_and_b64 s[0:1], exec, s[24:25]
	s_or_b64 s[18:19], s[0:1], s[18:19]
	s_andn2_b64 s[0:1], s[28:29], exec
	s_and_b64 s[4:5], s[26:27], exec
	s_or_b64 s[28:29], s[0:1], s[4:5]
	s_andn2_b64 s[0:1], s[20:21], exec
	s_and_b64 s[4:5], s[22:23], exec
	;; [unrolled: 3-line block ×3, first 2 shown]
	s_or_b64 s[16:17], s[0:1], s[2:3]
	s_andn2_b64 exec, exec, s[18:19]
	s_cbranch_execz .LBB1370_192
.LBB1370_190:                           ; =>This Inner Loop Header: Depth=1
	flat_load_ushort v68, v[64:65]
	flat_load_ushort v69, v[54:55]
	s_andn2_b64 s[26:27], s[26:27], exec
	s_or_b64 s[22:23], s[22:23], exec
	s_or_b64 s[24:25], s[24:25], exec
	s_waitcnt vmcnt(0) lgkmcnt(0)
	v_cmp_le_u16_e64 s[2:3], v68, v69
	v_cmp_lt_u16_e64 s[0:1], v68, v69
	s_and_b64 s[2:3], s[2:3], s[28:29]
	v_cmp_eq_u16_e64 s[4:5], v68, v69
	s_or_b64 s[2:3], s[0:1], s[2:3]
	s_and_saveexec_b64 s[30:31], s[4:5]
	s_cbranch_execz .LBB1370_189
; %bb.191:                              ;   in Loop: Header=BB1370_190 Depth=1
	v_lshl_add_u64 v[66:67], v[66:67], 0, -1
	v_cmp_eq_u64_e64 s[0:1], 0, v[66:67]
	s_andn2_b64 s[4:5], s[26:27], exec
	s_and_b64 s[26:27], s[2:3], exec
	s_or_b64 s[26:27], s[4:5], s[26:27]
	s_andn2_b64 s[4:5], s[24:25], exec
	s_and_b64 s[0:1], s[0:1], exec
	v_lshl_add_u64 v[54:55], v[54:55], 0, 2
	v_lshl_add_u64 v[64:65], v[64:65], 0, 2
	s_andn2_b64 s[22:23], s[22:23], exec
	s_or_b64 s[24:25], s[4:5], s[0:1]
                                        ; implicit-def: $sgpr28_sgpr29
	s_branch .LBB1370_189
.LBB1370_192:
	s_or_b64 exec, exec, s[18:19]
	s_and_saveexec_b64 s[0:1], s[20:21]
	s_xor_b64 s[0:1], exec, s[0:1]
; %bb.193:
	v_cndmask_b32_e64 v55, v17, v19, s[16:17]
	v_cndmask_b32_e64 v54, v16, v18, s[16:17]
	;; [unrolled: 1-line block ×4, first 2 shown]
	v_mov_b64_e32 v[16:17], v[54:55]
; %bb.194:
	s_or_b64 exec, exec, s[0:1]
	s_or_b64 exec, exec, s[14:15]
	s_and_saveexec_b64 s[14:15], vcc
	s_cbranch_execz .LBB1370_30
.LBB1370_195:
	v_mul_lo_u32 v64, v13, v6
	v_mul_lo_u32 v65, v12, v7
	v_mad_u64_u32 v[54:55], s[0:1], v12, v6, 0
	v_add3_u32 v55, v55, v65, v64
	v_mul_lo_u32 v66, v15, v6
	v_mul_lo_u32 v67, v14, v7
	v_mad_u64_u32 v[64:65], s[0:1], v14, v6, 0
	v_add3_u32 v65, v65, v67, v66
	v_lshl_add_u64 v[54:55], v[54:55], 1, v[8:9]
	v_lshl_add_u64 v[64:65], v[64:65], 1, v[8:9]
	s_mov_b64 s[18:19], 0
	v_mov_b64_e32 v[66:67], v[6:7]
                                        ; implicit-def: $sgpr16_sgpr17
                                        ; implicit-def: $sgpr20_sgpr21
                                        ; implicit-def: $sgpr24_sgpr25
                                        ; implicit-def: $sgpr22_sgpr23
                                        ; implicit-def: $sgpr26_sgpr27
                                        ; implicit-def: $sgpr28_sgpr29
	s_branch .LBB1370_197
.LBB1370_196:                           ;   in Loop: Header=BB1370_197 Depth=1
	s_or_b64 exec, exec, s[30:31]
	s_and_b64 s[0:1], exec, s[24:25]
	s_or_b64 s[18:19], s[0:1], s[18:19]
	s_andn2_b64 s[0:1], s[28:29], exec
	s_and_b64 s[4:5], s[26:27], exec
	s_or_b64 s[28:29], s[0:1], s[4:5]
	s_andn2_b64 s[0:1], s[20:21], exec
	s_and_b64 s[4:5], s[22:23], exec
	;; [unrolled: 3-line block ×3, first 2 shown]
	s_or_b64 s[16:17], s[0:1], s[2:3]
	s_andn2_b64 exec, exec, s[18:19]
	s_cbranch_execz .LBB1370_199
.LBB1370_197:                           ; =>This Inner Loop Header: Depth=1
	flat_load_ushort v68, v[64:65]
	flat_load_ushort v69, v[54:55]
	s_andn2_b64 s[26:27], s[26:27], exec
	s_or_b64 s[22:23], s[22:23], exec
	s_or_b64 s[24:25], s[24:25], exec
	s_waitcnt vmcnt(0) lgkmcnt(0)
	v_cmp_le_u16_e64 s[2:3], v68, v69
	v_cmp_lt_u16_e64 s[0:1], v68, v69
	s_and_b64 s[2:3], s[2:3], s[28:29]
	v_cmp_eq_u16_e64 s[4:5], v68, v69
	s_or_b64 s[2:3], s[0:1], s[2:3]
	s_and_saveexec_b64 s[30:31], s[4:5]
	s_cbranch_execz .LBB1370_196
; %bb.198:                              ;   in Loop: Header=BB1370_197 Depth=1
	v_lshl_add_u64 v[66:67], v[66:67], 0, -1
	v_cmp_eq_u64_e64 s[0:1], 0, v[66:67]
	s_andn2_b64 s[4:5], s[26:27], exec
	s_and_b64 s[26:27], s[2:3], exec
	s_or_b64 s[26:27], s[4:5], s[26:27]
	s_andn2_b64 s[4:5], s[24:25], exec
	s_and_b64 s[0:1], s[0:1], exec
	v_lshl_add_u64 v[54:55], v[54:55], 0, 2
	v_lshl_add_u64 v[64:65], v[64:65], 0, 2
	s_andn2_b64 s[22:23], s[22:23], exec
	s_or_b64 s[24:25], s[4:5], s[0:1]
                                        ; implicit-def: $sgpr28_sgpr29
	s_branch .LBB1370_196
.LBB1370_199:
	s_or_b64 exec, exec, s[18:19]
	s_and_saveexec_b64 s[0:1], s[20:21]
	s_xor_b64 s[0:1], exec, s[0:1]
; %bb.200:
	v_cndmask_b32_e64 v55, v13, v15, s[16:17]
	v_cndmask_b32_e64 v54, v12, v14, s[16:17]
	;; [unrolled: 1-line block ×4, first 2 shown]
	v_mov_b64_e32 v[12:13], v[54:55]
; %bb.201:
	s_or_b64 exec, exec, s[0:1]
	s_or_b64 exec, exec, s[14:15]
	s_and_saveexec_b64 s[14:15], vcc
	s_cbranch_execz .LBB1370_31
.LBB1370_202:
	v_mul_lo_u32 v64, v1, v6
	v_mul_lo_u32 v65, v0, v7
	v_mad_u64_u32 v[54:55], s[0:1], v0, v6, 0
	v_add3_u32 v55, v55, v65, v64
	v_mul_lo_u32 v66, v3, v6
	v_mul_lo_u32 v67, v2, v7
	v_mad_u64_u32 v[64:65], s[0:1], v2, v6, 0
	v_add3_u32 v65, v65, v67, v66
	v_lshl_add_u64 v[54:55], v[54:55], 1, v[8:9]
	v_lshl_add_u64 v[64:65], v[64:65], 1, v[8:9]
	s_mov_b64 s[18:19], 0
	v_mov_b64_e32 v[66:67], v[6:7]
                                        ; implicit-def: $sgpr16_sgpr17
                                        ; implicit-def: $sgpr20_sgpr21
                                        ; implicit-def: $sgpr24_sgpr25
                                        ; implicit-def: $sgpr22_sgpr23
                                        ; implicit-def: $sgpr26_sgpr27
                                        ; implicit-def: $sgpr28_sgpr29
	s_branch .LBB1370_204
.LBB1370_203:                           ;   in Loop: Header=BB1370_204 Depth=1
	s_or_b64 exec, exec, s[30:31]
	s_and_b64 s[0:1], exec, s[24:25]
	s_or_b64 s[18:19], s[0:1], s[18:19]
	s_andn2_b64 s[0:1], s[28:29], exec
	s_and_b64 s[4:5], s[26:27], exec
	s_or_b64 s[28:29], s[0:1], s[4:5]
	s_andn2_b64 s[0:1], s[20:21], exec
	s_and_b64 s[4:5], s[22:23], exec
	;; [unrolled: 3-line block ×3, first 2 shown]
	s_or_b64 s[16:17], s[0:1], s[2:3]
	s_andn2_b64 exec, exec, s[18:19]
	s_cbranch_execz .LBB1370_206
.LBB1370_204:                           ; =>This Inner Loop Header: Depth=1
	flat_load_ushort v68, v[64:65]
	flat_load_ushort v69, v[54:55]
	s_andn2_b64 s[26:27], s[26:27], exec
	s_or_b64 s[22:23], s[22:23], exec
	s_or_b64 s[24:25], s[24:25], exec
	s_waitcnt vmcnt(0) lgkmcnt(0)
	v_cmp_le_u16_e64 s[2:3], v68, v69
	v_cmp_lt_u16_e64 s[0:1], v68, v69
	s_and_b64 s[2:3], s[2:3], s[28:29]
	v_cmp_eq_u16_e64 s[4:5], v68, v69
	s_or_b64 s[2:3], s[0:1], s[2:3]
	s_and_saveexec_b64 s[30:31], s[4:5]
	s_cbranch_execz .LBB1370_203
; %bb.205:                              ;   in Loop: Header=BB1370_204 Depth=1
	v_lshl_add_u64 v[66:67], v[66:67], 0, -1
	v_cmp_eq_u64_e64 s[0:1], 0, v[66:67]
	s_andn2_b64 s[4:5], s[26:27], exec
	s_and_b64 s[26:27], s[2:3], exec
	s_or_b64 s[26:27], s[4:5], s[26:27]
	s_andn2_b64 s[4:5], s[24:25], exec
	s_and_b64 s[0:1], s[0:1], exec
	v_lshl_add_u64 v[54:55], v[54:55], 0, 2
	v_lshl_add_u64 v[64:65], v[64:65], 0, 2
	s_andn2_b64 s[22:23], s[22:23], exec
	s_or_b64 s[24:25], s[4:5], s[0:1]
                                        ; implicit-def: $sgpr28_sgpr29
	s_branch .LBB1370_203
.LBB1370_206:
	s_or_b64 exec, exec, s[18:19]
	s_and_saveexec_b64 s[0:1], s[20:21]
	s_xor_b64 s[0:1], exec, s[0:1]
; %bb.207:
	v_cndmask_b32_e64 v55, v1, v3, s[16:17]
	v_cndmask_b32_e64 v54, v0, v2, s[16:17]
	;; [unrolled: 1-line block ×4, first 2 shown]
	v_mov_b64_e32 v[0:1], v[54:55]
; %bb.208:
	s_or_b64 exec, exec, s[0:1]
	s_or_b64 exec, exec, s[14:15]
	s_and_saveexec_b64 s[14:15], vcc
	s_cbranch_execz .LBB1370_32
.LBB1370_209:
	v_mul_lo_u32 v64, v23, v6
	v_mul_lo_u32 v65, v22, v7
	v_mad_u64_u32 v[54:55], s[0:1], v22, v6, 0
	v_add3_u32 v55, v55, v65, v64
	v_mul_lo_u32 v66, v17, v6
	v_mul_lo_u32 v67, v16, v7
	v_mad_u64_u32 v[64:65], s[0:1], v16, v6, 0
	v_add3_u32 v65, v65, v67, v66
	v_lshl_add_u64 v[54:55], v[54:55], 1, v[8:9]
	v_lshl_add_u64 v[64:65], v[64:65], 1, v[8:9]
	s_mov_b64 s[18:19], 0
	v_mov_b64_e32 v[66:67], v[6:7]
                                        ; implicit-def: $sgpr16_sgpr17
                                        ; implicit-def: $sgpr20_sgpr21
                                        ; implicit-def: $sgpr24_sgpr25
                                        ; implicit-def: $sgpr22_sgpr23
                                        ; implicit-def: $sgpr26_sgpr27
                                        ; implicit-def: $sgpr28_sgpr29
	s_branch .LBB1370_211
.LBB1370_210:                           ;   in Loop: Header=BB1370_211 Depth=1
	s_or_b64 exec, exec, s[30:31]
	s_and_b64 s[0:1], exec, s[24:25]
	s_or_b64 s[18:19], s[0:1], s[18:19]
	s_andn2_b64 s[0:1], s[28:29], exec
	s_and_b64 s[4:5], s[26:27], exec
	s_or_b64 s[28:29], s[0:1], s[4:5]
	s_andn2_b64 s[0:1], s[20:21], exec
	s_and_b64 s[4:5], s[22:23], exec
	s_or_b64 s[20:21], s[0:1], s[4:5]
	s_andn2_b64 s[0:1], s[16:17], exec
	s_and_b64 s[2:3], s[2:3], exec
	s_or_b64 s[16:17], s[0:1], s[2:3]
	s_andn2_b64 exec, exec, s[18:19]
	s_cbranch_execz .LBB1370_213
.LBB1370_211:                           ; =>This Inner Loop Header: Depth=1
	flat_load_ushort v68, v[64:65]
	flat_load_ushort v69, v[54:55]
	s_andn2_b64 s[26:27], s[26:27], exec
	s_or_b64 s[22:23], s[22:23], exec
	s_or_b64 s[24:25], s[24:25], exec
	s_waitcnt vmcnt(0) lgkmcnt(0)
	v_cmp_le_u16_e64 s[2:3], v68, v69
	v_cmp_lt_u16_e64 s[0:1], v68, v69
	s_and_b64 s[2:3], s[2:3], s[28:29]
	v_cmp_eq_u16_e64 s[4:5], v68, v69
	s_or_b64 s[2:3], s[0:1], s[2:3]
	s_and_saveexec_b64 s[30:31], s[4:5]
	s_cbranch_execz .LBB1370_210
; %bb.212:                              ;   in Loop: Header=BB1370_211 Depth=1
	v_lshl_add_u64 v[66:67], v[66:67], 0, -1
	v_cmp_eq_u64_e64 s[0:1], 0, v[66:67]
	s_andn2_b64 s[4:5], s[26:27], exec
	s_and_b64 s[26:27], s[2:3], exec
	s_or_b64 s[26:27], s[4:5], s[26:27]
	s_andn2_b64 s[4:5], s[24:25], exec
	s_and_b64 s[0:1], s[0:1], exec
	v_lshl_add_u64 v[54:55], v[54:55], 0, 2
	v_lshl_add_u64 v[64:65], v[64:65], 0, 2
	s_andn2_b64 s[22:23], s[22:23], exec
	s_or_b64 s[24:25], s[4:5], s[0:1]
                                        ; implicit-def: $sgpr28_sgpr29
	s_branch .LBB1370_210
.LBB1370_213:
	s_or_b64 exec, exec, s[18:19]
	s_and_saveexec_b64 s[0:1], s[20:21]
	s_xor_b64 s[0:1], exec, s[0:1]
; %bb.214:
	v_cndmask_b32_e64 v55, v23, v17, s[16:17]
	v_cndmask_b32_e64 v54, v22, v16, s[16:17]
	v_cndmask_b32_e64 v17, v17, v23, s[16:17]
	v_cndmask_b32_e64 v16, v16, v22, s[16:17]
	v_mov_b64_e32 v[22:23], v[54:55]
; %bb.215:
	s_or_b64 exec, exec, s[0:1]
	s_or_b64 exec, exec, s[14:15]
	s_and_saveexec_b64 s[14:15], vcc
	s_cbranch_execz .LBB1370_33
.LBB1370_216:
	v_mul_lo_u32 v64, v19, v6
	v_mul_lo_u32 v65, v18, v7
	v_mad_u64_u32 v[54:55], s[0:1], v18, v6, 0
	v_add3_u32 v55, v55, v65, v64
	v_mul_lo_u32 v66, v13, v6
	v_mul_lo_u32 v67, v12, v7
	v_mad_u64_u32 v[64:65], s[0:1], v12, v6, 0
	v_add3_u32 v65, v65, v67, v66
	v_lshl_add_u64 v[54:55], v[54:55], 1, v[8:9]
	v_lshl_add_u64 v[64:65], v[64:65], 1, v[8:9]
	s_mov_b64 s[18:19], 0
	v_mov_b64_e32 v[66:67], v[6:7]
                                        ; implicit-def: $sgpr16_sgpr17
                                        ; implicit-def: $sgpr20_sgpr21
                                        ; implicit-def: $sgpr24_sgpr25
                                        ; implicit-def: $sgpr22_sgpr23
                                        ; implicit-def: $sgpr26_sgpr27
                                        ; implicit-def: $sgpr28_sgpr29
	s_branch .LBB1370_218
.LBB1370_217:                           ;   in Loop: Header=BB1370_218 Depth=1
	s_or_b64 exec, exec, s[30:31]
	s_and_b64 s[0:1], exec, s[24:25]
	s_or_b64 s[18:19], s[0:1], s[18:19]
	s_andn2_b64 s[0:1], s[28:29], exec
	s_and_b64 s[4:5], s[26:27], exec
	s_or_b64 s[28:29], s[0:1], s[4:5]
	s_andn2_b64 s[0:1], s[20:21], exec
	s_and_b64 s[4:5], s[22:23], exec
	;; [unrolled: 3-line block ×3, first 2 shown]
	s_or_b64 s[16:17], s[0:1], s[2:3]
	s_andn2_b64 exec, exec, s[18:19]
	s_cbranch_execz .LBB1370_220
.LBB1370_218:                           ; =>This Inner Loop Header: Depth=1
	flat_load_ushort v68, v[64:65]
	flat_load_ushort v69, v[54:55]
	s_andn2_b64 s[26:27], s[26:27], exec
	s_or_b64 s[22:23], s[22:23], exec
	s_or_b64 s[24:25], s[24:25], exec
	s_waitcnt vmcnt(0) lgkmcnt(0)
	v_cmp_le_u16_e64 s[2:3], v68, v69
	v_cmp_lt_u16_e64 s[0:1], v68, v69
	s_and_b64 s[2:3], s[2:3], s[28:29]
	v_cmp_eq_u16_e64 s[4:5], v68, v69
	s_or_b64 s[2:3], s[0:1], s[2:3]
	s_and_saveexec_b64 s[30:31], s[4:5]
	s_cbranch_execz .LBB1370_217
; %bb.219:                              ;   in Loop: Header=BB1370_218 Depth=1
	v_lshl_add_u64 v[66:67], v[66:67], 0, -1
	v_cmp_eq_u64_e64 s[0:1], 0, v[66:67]
	s_andn2_b64 s[4:5], s[26:27], exec
	s_and_b64 s[26:27], s[2:3], exec
	s_or_b64 s[26:27], s[4:5], s[26:27]
	s_andn2_b64 s[4:5], s[24:25], exec
	s_and_b64 s[0:1], s[0:1], exec
	v_lshl_add_u64 v[54:55], v[54:55], 0, 2
	v_lshl_add_u64 v[64:65], v[64:65], 0, 2
	s_andn2_b64 s[22:23], s[22:23], exec
	s_or_b64 s[24:25], s[4:5], s[0:1]
                                        ; implicit-def: $sgpr28_sgpr29
	s_branch .LBB1370_217
.LBB1370_220:
	s_or_b64 exec, exec, s[18:19]
	s_and_saveexec_b64 s[0:1], s[20:21]
	s_xor_b64 s[0:1], exec, s[0:1]
; %bb.221:
	v_cndmask_b32_e64 v55, v19, v13, s[16:17]
	v_cndmask_b32_e64 v54, v18, v12, s[16:17]
	;; [unrolled: 1-line block ×4, first 2 shown]
	v_mov_b64_e32 v[18:19], v[54:55]
; %bb.222:
	s_or_b64 exec, exec, s[0:1]
	s_or_b64 exec, exec, s[14:15]
	s_and_saveexec_b64 s[14:15], vcc
	s_cbranch_execz .LBB1370_230
.LBB1370_223:
	v_mul_lo_u32 v64, v15, v6
	v_mul_lo_u32 v65, v14, v7
	v_mad_u64_u32 v[54:55], s[0:1], v14, v6, 0
	v_add3_u32 v55, v55, v65, v64
	v_mul_lo_u32 v66, v1, v6
	v_mul_lo_u32 v67, v0, v7
	v_mad_u64_u32 v[64:65], s[0:1], v0, v6, 0
	v_add3_u32 v65, v65, v67, v66
	v_lshl_add_u64 v[54:55], v[54:55], 1, v[8:9]
	v_lshl_add_u64 v[64:65], v[64:65], 1, v[8:9]
	s_mov_b64 s[20:21], 0
	v_mov_b64_e32 v[66:67], v[6:7]
                                        ; implicit-def: $sgpr16_sgpr17
                                        ; implicit-def: $sgpr18_sgpr19
                                        ; implicit-def: $sgpr24_sgpr25
                                        ; implicit-def: $sgpr22_sgpr23
                                        ; implicit-def: $sgpr26_sgpr27
                                        ; implicit-def: $sgpr28_sgpr29
	s_branch .LBB1370_225
.LBB1370_224:                           ;   in Loop: Header=BB1370_225 Depth=1
	s_or_b64 exec, exec, s[30:31]
	s_and_b64 s[0:1], exec, s[24:25]
	s_or_b64 s[20:21], s[0:1], s[20:21]
	s_andn2_b64 s[0:1], s[28:29], exec
	s_and_b64 s[4:5], s[26:27], exec
	s_or_b64 s[28:29], s[0:1], s[4:5]
	s_andn2_b64 s[0:1], s[18:19], exec
	s_and_b64 s[4:5], s[22:23], exec
	;; [unrolled: 3-line block ×3, first 2 shown]
	s_or_b64 s[16:17], s[0:1], s[2:3]
	s_andn2_b64 exec, exec, s[20:21]
	s_cbranch_execz .LBB1370_227
.LBB1370_225:                           ; =>This Inner Loop Header: Depth=1
	flat_load_ushort v68, v[64:65]
	flat_load_ushort v69, v[54:55]
	s_andn2_b64 s[26:27], s[26:27], exec
	s_or_b64 s[22:23], s[22:23], exec
	s_or_b64 s[24:25], s[24:25], exec
	s_waitcnt vmcnt(0) lgkmcnt(0)
	v_cmp_le_u16_e64 s[2:3], v68, v69
	v_cmp_lt_u16_e64 s[0:1], v68, v69
	s_and_b64 s[2:3], s[2:3], s[28:29]
	v_cmp_eq_u16_e64 s[4:5], v68, v69
	s_or_b64 s[2:3], s[0:1], s[2:3]
	s_and_saveexec_b64 s[30:31], s[4:5]
	s_cbranch_execz .LBB1370_224
; %bb.226:                              ;   in Loop: Header=BB1370_225 Depth=1
	v_lshl_add_u64 v[66:67], v[66:67], 0, -1
	v_cmp_eq_u64_e64 s[0:1], 0, v[66:67]
	s_andn2_b64 s[4:5], s[26:27], exec
	s_and_b64 s[26:27], s[2:3], exec
	s_or_b64 s[26:27], s[4:5], s[26:27]
	s_andn2_b64 s[4:5], s[24:25], exec
	s_and_b64 s[0:1], s[0:1], exec
	v_lshl_add_u64 v[54:55], v[54:55], 0, 2
	v_lshl_add_u64 v[64:65], v[64:65], 0, 2
	s_andn2_b64 s[22:23], s[22:23], exec
	s_or_b64 s[24:25], s[4:5], s[0:1]
                                        ; implicit-def: $sgpr28_sgpr29
	s_branch .LBB1370_224
.LBB1370_227:
	s_or_b64 exec, exec, s[20:21]
	s_and_saveexec_b64 s[0:1], s[18:19]
	s_xor_b64 s[0:1], exec, s[0:1]
; %bb.228:
	v_cndmask_b32_e64 v55, v15, v1, s[16:17]
	v_cndmask_b32_e64 v54, v14, v0, s[16:17]
	;; [unrolled: 1-line block ×4, first 2 shown]
	v_mov_b64_e32 v[14:15], v[54:55]
; %bb.229:
	s_or_b64 exec, exec, s[0:1]
.LBB1370_230:
	s_or_b64 exec, exec, s[14:15]
.LBB1370_231:
	s_or_b64 exec, exec, s[10:11]
	v_mbcnt_lo_u32_b32 v54, -1, 0
	v_mbcnt_hi_u32_b32 v64, -1, v54
	v_and_b32_e32 v66, 0xfffffe00, v31
	s_movk_i32 s0, 0x800
	v_mov_b32_e32 v67, 0
	v_sub_u32_e64 v31, s0, v66 clamp
	v_lshl_add_u64 v[54:55], v[66:67], 3, v[10:11]
	v_lshlrev_b32_e32 v98, 3, v64
	v_lshlrev_b32_e32 v66, 6, v64
	v_lshl_add_u64 v[64:65], v[54:55], 0, v[66:67]
	v_or_b32_e32 v66, 8, v98
	v_min_u32_e32 v99, v31, v66
	v_add_u32_e32 v66, 8, v99
	v_and_b32_e32 v101, 0x3f0, v98
	v_min_u32_e32 v100, v31, v66
	v_and_b32_e32 v66, 8, v98
	v_min_u32_e32 v102, v31, v66
	v_sub_u32_e32 v66, v99, v101
	v_sub_u32_e32 v68, v100, v99
	v_sub_u32_e64 v103, v102, v68 clamp
	v_min_u32_e32 v112, v102, v66
	v_cmp_lt_u32_e64 s[0:1], v103, v112
	flat_store_dwordx4 v[64:65], v[20:23]
	flat_store_dwordx4 v[64:65], v[16:19] offset:16
	flat_store_dwordx4 v[64:65], v[12:15] offset:32
	;; [unrolled: 1-line block ×3, first 2 shown]
	; wave barrier
	s_and_saveexec_b64 s[10:11], s[0:1]
	s_cbranch_execz .LBB1370_241
; %bb.232:
	v_lshlrev_b32_e32 v66, 3, v101
	v_lshl_add_u64 v[68:69], v[54:55], 0, v[66:67]
	v_lshlrev_b32_e32 v66, 3, v99
	v_lshl_add_u64 v[70:71], v[54:55], 0, v[66:67]
	v_lshlrev_b64 v[80:81], 1, v[6:7]
	s_mov_b64 s[14:15], 0
	s_branch .LBB1370_235
.LBB1370_233:                           ;   in Loop: Header=BB1370_235 Depth=1
	s_or_b64 exec, exec, s[18:19]
	s_and_b64 s[0:1], s[20:21], exec
.LBB1370_234:                           ;   in Loop: Header=BB1370_235 Depth=1
	s_or_b64 exec, exec, s[16:17]
	v_add_u32_e32 v66, 1, v82
	v_cndmask_b32_e64 v112, v112, v82, s[0:1]
	v_cndmask_b32_e64 v103, v66, v103, s[0:1]
	v_cmp_ge_u32_e64 s[0:1], v103, v112
	s_or_b64 s[14:15], s[0:1], s[14:15]
	s_andn2_b64 exec, exec, s[14:15]
	s_cbranch_execz .LBB1370_240
.LBB1370_235:                           ; =>This Loop Header: Depth=1
                                        ;     Child Loop BB1370_238 Depth 2
	v_add_u32_e32 v66, v112, v103
	v_lshrrev_b32_e32 v82, 1, v66
	s_mov_b64 s[0:1], 0
	s_and_saveexec_b64 s[16:17], vcc
	s_cbranch_execz .LBB1370_234
; %bb.236:                              ;   in Loop: Header=BB1370_235 Depth=1
	v_mov_b32_e32 v83, v67
	v_xad_u32 v66, v82, -1, v102
	v_lshl_add_u64 v[84:85], v[82:83], 3, v[68:69]
	v_lshl_add_u64 v[86:87], v[66:67], 3, v[70:71]
	flat_load_dwordx2 v[84:85], v[84:85]
	s_mov_b64 s[18:19], 0
	flat_load_dwordx2 v[86:87], v[86:87]
                                        ; implicit-def: $sgpr20_sgpr21
                                        ; implicit-def: $sgpr22_sgpr23
                                        ; implicit-def: $sgpr24_sgpr25
                                        ; implicit-def: $sgpr2_sgpr3
                                        ; implicit-def: $sgpr26_sgpr27
	s_waitcnt vmcnt(0) lgkmcnt(0)
	v_mul_lo_u32 v66, v80, v85
	v_mul_lo_u32 v83, v81, v84
	v_mad_u64_u32 v[84:85], s[0:1], v80, v84, v[8:9]
	v_mul_lo_u32 v96, v80, v87
	v_mul_lo_u32 v97, v81, v86
	v_mad_u64_u32 v[86:87], s[0:1], v80, v86, v[8:9]
	v_add3_u32 v85, v83, v85, v66
	v_add3_u32 v87, v97, v87, v96
	v_mov_b64_e32 v[96:97], v[6:7]
	s_branch .LBB1370_238
.LBB1370_237:                           ;   in Loop: Header=BB1370_238 Depth=2
	s_or_b64 exec, exec, s[28:29]
	s_and_b64 s[0:1], exec, s[22:23]
	s_or_b64 s[18:19], s[0:1], s[18:19]
	s_andn2_b64 s[0:1], s[26:27], exec
	s_and_b64 s[4:5], s[24:25], exec
	s_or_b64 s[26:27], s[0:1], s[4:5]
	s_andn2_b64 s[0:1], s[20:21], exec
	s_and_b64 s[4:5], s[2:3], exec
	s_or_b64 s[20:21], s[0:1], s[4:5]
	s_andn2_b64 exec, exec, s[18:19]
	s_cbranch_execz .LBB1370_233
.LBB1370_238:                           ;   Parent Loop BB1370_235 Depth=1
                                        ; =>  This Inner Loop Header: Depth=2
	flat_load_ushort v66, v[86:87]
	flat_load_ushort v83, v[84:85]
	s_andn2_b64 s[28:29], s[2:3], exec
	s_andn2_b64 s[24:25], s[24:25], exec
	s_or_b64 s[22:23], s[22:23], exec
	s_waitcnt vmcnt(0) lgkmcnt(0)
	v_cmp_le_u16_e64 s[2:3], v66, v83
	v_cmp_lt_u16_e64 s[0:1], v66, v83
	s_and_b64 s[2:3], s[2:3], s[26:27]
	s_or_b64 s[30:31], s[0:1], s[2:3]
	s_and_b64 s[0:1], s[30:31], exec
	v_cmp_eq_u16_e64 s[4:5], v66, v83
	s_or_b64 s[2:3], s[28:29], s[0:1]
	s_and_saveexec_b64 s[28:29], s[4:5]
	s_cbranch_execz .LBB1370_237
; %bb.239:                              ;   in Loop: Header=BB1370_238 Depth=2
	v_lshl_add_u64 v[96:97], v[96:97], 0, -1
	v_cmp_eq_u64_e64 s[0:1], 0, v[96:97]
	s_andn2_b64 s[4:5], s[24:25], exec
	s_and_b64 s[24:25], s[30:31], exec
	s_or_b64 s[24:25], s[4:5], s[24:25]
	s_andn2_b64 s[4:5], s[22:23], exec
	s_and_b64 s[0:1], s[0:1], exec
	v_lshl_add_u64 v[84:85], v[84:85], 0, 2
	v_lshl_add_u64 v[86:87], v[86:87], 0, 2
	s_andn2_b64 s[2:3], s[2:3], exec
	s_or_b64 s[22:23], s[4:5], s[0:1]
                                        ; implicit-def: $sgpr26_sgpr27
	s_branch .LBB1370_237
.LBB1370_240:
	s_or_b64 exec, exec, s[14:15]
.LBB1370_241:
	s_or_b64 exec, exec, s[10:11]
	v_add_u32_e32 v67, v99, v102
	v_add_u32_e32 v66, v103, v101
	v_sub_u32_e32 v68, v67, v103
	v_cmp_le_u32_e64 s[0:1], v66, v99
	v_cmp_le_u32_e64 s[2:3], v68, v100
	s_or_b64 s[0:1], s[0:1], s[2:3]
	s_and_saveexec_b64 s[10:11], s[0:1]
	s_cbranch_execz .LBB1370_325
; %bb.242:
	v_cmp_ge_u32_e64 s[0:1], v66, v99
	v_cmp_lt_u32_e64 s[2:3], v66, v99
                                        ; implicit-def: $vgpr0_vgpr1
	s_and_saveexec_b64 s[4:5], s[2:3]
	s_cbranch_execz .LBB1370_244
; %bb.243:
	v_mov_b32_e32 v67, 0
	v_lshl_add_u64 v[0:1], v[66:67], 3, v[54:55]
	flat_load_dwordx2 v[0:1], v[0:1]
.LBB1370_244:
	s_or_b64 exec, exec, s[4:5]
	v_cmp_ge_u32_e64 s[14:15], v68, v100
	v_cmp_lt_u32_e64 s[2:3], v68, v100
                                        ; implicit-def: $vgpr2_vgpr3
	s_and_saveexec_b64 s[4:5], s[2:3]
	s_cbranch_execz .LBB1370_246
; %bb.245:
	v_mov_b32_e32 v69, 0
	v_lshl_add_u64 v[2:3], v[68:69], 3, v[54:55]
	flat_load_dwordx2 v[2:3], v[2:3]
.LBB1370_246:
	s_or_b64 exec, exec, s[4:5]
	s_or_b64 s[0:1], s[0:1], s[14:15]
	s_xor_b64 s[0:1], s[0:1], -1
	s_and_saveexec_b64 s[16:17], s[0:1]
	s_cbranch_execz .LBB1370_254
; %bb.247:
	s_mov_b64 s[0:1], 0
	s_and_saveexec_b64 s[18:19], vcc
	s_cbranch_execz .LBB1370_253
; %bb.248:
	s_waitcnt vmcnt(0) lgkmcnt(0)
	v_mul_lo_u32 v14, v1, v6
	v_mul_lo_u32 v15, v0, v7
	v_mad_u64_u32 v[12:13], s[0:1], v0, v6, 0
	v_add3_u32 v13, v13, v15, v14
	v_mul_lo_u32 v16, v3, v6
	v_mul_lo_u32 v17, v2, v7
	v_mad_u64_u32 v[14:15], s[0:1], v2, v6, 0
	v_add3_u32 v15, v15, v17, v16
	v_lshl_add_u64 v[12:13], v[12:13], 1, v[8:9]
	v_lshl_add_u64 v[14:15], v[14:15], 1, v[8:9]
	s_mov_b64 s[20:21], 0
	v_mov_b64_e32 v[16:17], v[6:7]
                                        ; implicit-def: $sgpr22_sgpr23
                                        ; implicit-def: $sgpr24_sgpr25
                                        ; implicit-def: $sgpr26_sgpr27
                                        ; implicit-def: $sgpr2_sgpr3
                                        ; implicit-def: $sgpr28_sgpr29
	s_branch .LBB1370_250
.LBB1370_249:                           ;   in Loop: Header=BB1370_250 Depth=1
	s_or_b64 exec, exec, s[30:31]
	s_and_b64 s[0:1], exec, s[24:25]
	s_or_b64 s[20:21], s[0:1], s[20:21]
	s_andn2_b64 s[0:1], s[28:29], exec
	s_and_b64 s[4:5], s[26:27], exec
	s_or_b64 s[28:29], s[0:1], s[4:5]
	s_andn2_b64 s[0:1], s[22:23], exec
	s_and_b64 s[4:5], s[2:3], exec
	s_or_b64 s[22:23], s[0:1], s[4:5]
	s_andn2_b64 exec, exec, s[20:21]
	s_cbranch_execz .LBB1370_252
.LBB1370_250:                           ; =>This Inner Loop Header: Depth=1
	flat_load_ushort v18, v[14:15]
	flat_load_ushort v19, v[12:13]
	s_andn2_b64 s[30:31], s[2:3], exec
	s_andn2_b64 s[26:27], s[26:27], exec
	s_or_b64 s[24:25], s[24:25], exec
	s_waitcnt vmcnt(0) lgkmcnt(0)
	v_cmp_le_u16_e64 s[2:3], v18, v19
	v_cmp_lt_u16_e64 s[0:1], v18, v19
	s_and_b64 s[2:3], s[2:3], s[28:29]
	s_or_b64 s[34:35], s[0:1], s[2:3]
	s_and_b64 s[0:1], s[34:35], exec
	v_cmp_eq_u16_e64 s[4:5], v18, v19
	s_or_b64 s[2:3], s[30:31], s[0:1]
	s_and_saveexec_b64 s[30:31], s[4:5]
	s_cbranch_execz .LBB1370_249
; %bb.251:                              ;   in Loop: Header=BB1370_250 Depth=1
	v_lshl_add_u64 v[16:17], v[16:17], 0, -1
	v_cmp_eq_u64_e64 s[0:1], 0, v[16:17]
	s_andn2_b64 s[4:5], s[26:27], exec
	s_and_b64 s[26:27], s[34:35], exec
	s_or_b64 s[26:27], s[4:5], s[26:27]
	s_andn2_b64 s[4:5], s[24:25], exec
	s_and_b64 s[0:1], s[0:1], exec
	v_lshl_add_u64 v[12:13], v[12:13], 0, 2
	v_lshl_add_u64 v[14:15], v[14:15], 0, 2
	s_andn2_b64 s[2:3], s[2:3], exec
	s_or_b64 s[24:25], s[4:5], s[0:1]
                                        ; implicit-def: $sgpr28_sgpr29
	s_branch .LBB1370_249
.LBB1370_252:
	s_or_b64 exec, exec, s[20:21]
	s_and_b64 s[0:1], s[22:23], exec
.LBB1370_253:
	s_or_b64 exec, exec, s[18:19]
	s_xor_b64 s[0:1], s[0:1], -1
	s_andn2_b64 s[2:3], s[14:15], exec
	s_and_b64 s[0:1], s[0:1], exec
	s_or_b64 s[14:15], s[2:3], s[0:1]
.LBB1370_254:
	s_or_b64 exec, exec, s[16:17]
	v_cndmask_b32_e64 v12, v68, v66, s[14:15]
	v_cndmask_b32_e64 v13, v100, v99, s[14:15]
	v_add_u32_e32 v16, 1, v12
	v_add_u32_e32 v12, -1, v13
	v_min_u32_e32 v12, v16, v12
	v_mov_b32_e32 v13, 0
	v_lshl_add_u64 v[14:15], v[12:13], 3, v[54:55]
	flat_load_dwordx2 v[14:15], v[14:15]
	v_cndmask_b32_e64 v23, v16, v68, s[14:15]
	s_mov_b64 s[16:17], -1
	v_cndmask_b32_e64 v66, v66, v16, s[14:15]
	v_cmp_lt_u32_e64 s[0:1], v23, v100
	s_mov_b64 s[18:19], -1
	s_waitcnt vmcnt(0) lgkmcnt(0)
	v_cndmask_b32_e64 v20, v15, v3, s[14:15]
	v_cndmask_b32_e64 v21, v14, v2, s[14:15]
	;; [unrolled: 1-line block ×4, first 2 shown]
	s_and_saveexec_b64 s[20:21], s[0:1]
	s_cbranch_execz .LBB1370_264
; %bb.255:
	v_cmp_lt_u32_e64 s[0:1], v66, v99
	s_mov_b64 s[2:3], 0
	s_and_saveexec_b64 s[18:19], s[0:1]
	s_cbranch_execz .LBB1370_263
; %bb.256:
	s_mov_b64 s[0:1], 0
	s_and_saveexec_b64 s[22:23], vcc
	s_cbranch_execz .LBB1370_262
; %bb.257:
	v_mul_lo_u32 v12, v22, v6
	v_mul_lo_u32 v16, v68, v7
	v_mad_u64_u32 v[14:15], s[0:1], v68, v6, 0
	v_add3_u32 v15, v15, v16, v12
	v_mul_lo_u32 v12, v20, v6
	v_mul_lo_u32 v18, v21, v7
	v_mad_u64_u32 v[16:17], s[0:1], v21, v6, 0
	v_add3_u32 v17, v17, v18, v12
	v_lshl_add_u64 v[14:15], v[14:15], 1, v[8:9]
	v_lshl_add_u64 v[16:17], v[16:17], 1, v[8:9]
	s_mov_b64 s[24:25], 0
	v_mov_b64_e32 v[18:19], v[6:7]
                                        ; implicit-def: $sgpr26_sgpr27
                                        ; implicit-def: $sgpr28_sgpr29
                                        ; implicit-def: $sgpr30_sgpr31
                                        ; implicit-def: $sgpr2_sgpr3
                                        ; implicit-def: $sgpr34_sgpr35
	s_branch .LBB1370_259
.LBB1370_258:                           ;   in Loop: Header=BB1370_259 Depth=1
	s_or_b64 exec, exec, s[36:37]
	s_and_b64 s[0:1], exec, s[28:29]
	s_or_b64 s[24:25], s[0:1], s[24:25]
	s_andn2_b64 s[0:1], s[34:35], exec
	s_and_b64 s[4:5], s[30:31], exec
	s_or_b64 s[34:35], s[0:1], s[4:5]
	s_andn2_b64 s[0:1], s[26:27], exec
	s_and_b64 s[4:5], s[2:3], exec
	s_or_b64 s[26:27], s[0:1], s[4:5]
	s_andn2_b64 exec, exec, s[24:25]
	s_cbranch_execz .LBB1370_261
.LBB1370_259:                           ; =>This Inner Loop Header: Depth=1
	flat_load_ushort v12, v[16:17]
	flat_load_ushort v67, v[14:15]
	s_andn2_b64 s[36:37], s[2:3], exec
	s_andn2_b64 s[30:31], s[30:31], exec
	s_or_b64 s[28:29], s[28:29], exec
	s_waitcnt vmcnt(0) lgkmcnt(0)
	v_cmp_le_u16_e64 s[2:3], v12, v67
	v_cmp_lt_u16_e64 s[0:1], v12, v67
	s_and_b64 s[2:3], s[2:3], s[34:35]
	s_or_b64 s[38:39], s[0:1], s[2:3]
	s_and_b64 s[0:1], s[38:39], exec
	v_cmp_eq_u16_e64 s[4:5], v12, v67
	s_or_b64 s[2:3], s[36:37], s[0:1]
	s_and_saveexec_b64 s[36:37], s[4:5]
	s_cbranch_execz .LBB1370_258
; %bb.260:                              ;   in Loop: Header=BB1370_259 Depth=1
	v_lshl_add_u64 v[18:19], v[18:19], 0, -1
	v_cmp_eq_u64_e64 s[0:1], 0, v[18:19]
	s_andn2_b64 s[4:5], s[30:31], exec
	s_and_b64 s[30:31], s[38:39], exec
	s_or_b64 s[30:31], s[4:5], s[30:31]
	s_andn2_b64 s[4:5], s[28:29], exec
	s_and_b64 s[0:1], s[0:1], exec
	v_lshl_add_u64 v[14:15], v[14:15], 0, 2
	v_lshl_add_u64 v[16:17], v[16:17], 0, 2
	s_andn2_b64 s[2:3], s[2:3], exec
	s_or_b64 s[28:29], s[4:5], s[0:1]
                                        ; implicit-def: $sgpr34_sgpr35
	s_branch .LBB1370_258
.LBB1370_261:
	s_or_b64 exec, exec, s[24:25]
	s_and_b64 s[0:1], s[26:27], exec
.LBB1370_262:
	s_or_b64 exec, exec, s[22:23]
	s_xor_b64 s[0:1], s[0:1], -1
	s_and_b64 s[2:3], s[0:1], exec
.LBB1370_263:
	s_or_b64 exec, exec, s[18:19]
	s_orn2_b64 s[18:19], s[2:3], exec
.LBB1370_264:
	s_or_b64 exec, exec, s[20:21]
	v_cndmask_b32_e64 v12, v23, v66, s[18:19]
	v_cndmask_b32_e64 v14, v100, v99, s[18:19]
	v_add_u32_e32 v15, 1, v12
	v_add_u32_e32 v12, -1, v14
	v_min_u32_e32 v12, v15, v12
	v_lshl_add_u64 v[12:13], v[12:13], 3, v[54:55]
	flat_load_dwordx2 v[12:13], v[12:13]
	v_cndmask_b32_e64 v18, v15, v23, s[18:19]
	v_cndmask_b32_e64 v19, v66, v15, s[18:19]
	v_cmp_lt_u32_e64 s[0:1], v18, v100
	s_waitcnt vmcnt(0) lgkmcnt(0)
	v_cndmask_b32_e64 v23, v13, v20, s[18:19]
	v_cndmask_b32_e64 v69, v12, v21, s[18:19]
	;; [unrolled: 1-line block ×4, first 2 shown]
	s_and_saveexec_b64 s[20:21], s[0:1]
	s_cbranch_execz .LBB1370_274
; %bb.265:
	v_cmp_lt_u32_e64 s[0:1], v19, v99
	s_mov_b64 s[2:3], 0
	s_and_saveexec_b64 s[16:17], s[0:1]
	s_cbranch_execz .LBB1370_273
; %bb.266:
	s_mov_b64 s[0:1], 0
	s_and_saveexec_b64 s[22:23], vcc
	s_cbranch_execz .LBB1370_272
; %bb.267:
	v_mul_lo_u32 v14, v70, v6
	v_mul_lo_u32 v15, v71, v7
	v_mad_u64_u32 v[12:13], s[0:1], v71, v6, 0
	v_add3_u32 v13, v13, v15, v14
	v_mul_lo_u32 v16, v23, v6
	v_mul_lo_u32 v17, v69, v7
	v_mad_u64_u32 v[14:15], s[0:1], v69, v6, 0
	v_add3_u32 v15, v15, v17, v16
	v_lshl_add_u64 v[12:13], v[12:13], 1, v[8:9]
	v_lshl_add_u64 v[14:15], v[14:15], 1, v[8:9]
	s_mov_b64 s[24:25], 0
	v_mov_b64_e32 v[16:17], v[6:7]
                                        ; implicit-def: $sgpr26_sgpr27
                                        ; implicit-def: $sgpr28_sgpr29
                                        ; implicit-def: $sgpr30_sgpr31
                                        ; implicit-def: $sgpr2_sgpr3
                                        ; implicit-def: $sgpr34_sgpr35
	s_branch .LBB1370_269
.LBB1370_268:                           ;   in Loop: Header=BB1370_269 Depth=1
	s_or_b64 exec, exec, s[36:37]
	s_and_b64 s[0:1], exec, s[28:29]
	s_or_b64 s[24:25], s[0:1], s[24:25]
	s_andn2_b64 s[0:1], s[34:35], exec
	s_and_b64 s[4:5], s[30:31], exec
	s_or_b64 s[34:35], s[0:1], s[4:5]
	s_andn2_b64 s[0:1], s[26:27], exec
	s_and_b64 s[4:5], s[2:3], exec
	s_or_b64 s[26:27], s[0:1], s[4:5]
	s_andn2_b64 exec, exec, s[24:25]
	s_cbranch_execz .LBB1370_271
.LBB1370_269:                           ; =>This Inner Loop Header: Depth=1
	flat_load_ushort v66, v[14:15]
	flat_load_ushort v67, v[12:13]
	s_andn2_b64 s[36:37], s[2:3], exec
	s_andn2_b64 s[30:31], s[30:31], exec
	s_or_b64 s[28:29], s[28:29], exec
	s_waitcnt vmcnt(0) lgkmcnt(0)
	v_cmp_le_u16_e64 s[2:3], v66, v67
	v_cmp_lt_u16_e64 s[0:1], v66, v67
	s_and_b64 s[2:3], s[2:3], s[34:35]
	s_or_b64 s[38:39], s[0:1], s[2:3]
	s_and_b64 s[0:1], s[38:39], exec
	v_cmp_eq_u16_e64 s[4:5], v66, v67
	s_or_b64 s[2:3], s[36:37], s[0:1]
	s_and_saveexec_b64 s[36:37], s[4:5]
	s_cbranch_execz .LBB1370_268
; %bb.270:                              ;   in Loop: Header=BB1370_269 Depth=1
	v_lshl_add_u64 v[16:17], v[16:17], 0, -1
	v_cmp_eq_u64_e64 s[0:1], 0, v[16:17]
	s_andn2_b64 s[4:5], s[30:31], exec
	s_and_b64 s[30:31], s[38:39], exec
	s_or_b64 s[30:31], s[4:5], s[30:31]
	s_andn2_b64 s[4:5], s[28:29], exec
	s_and_b64 s[0:1], s[0:1], exec
	v_lshl_add_u64 v[12:13], v[12:13], 0, 2
	v_lshl_add_u64 v[14:15], v[14:15], 0, 2
	s_andn2_b64 s[2:3], s[2:3], exec
	s_or_b64 s[28:29], s[4:5], s[0:1]
                                        ; implicit-def: $sgpr34_sgpr35
	s_branch .LBB1370_268
.LBB1370_271:
	s_or_b64 exec, exec, s[24:25]
	s_and_b64 s[0:1], s[26:27], exec
.LBB1370_272:
	s_or_b64 exec, exec, s[22:23]
	s_xor_b64 s[0:1], s[0:1], -1
	s_and_b64 s[2:3], s[0:1], exec
.LBB1370_273:
	s_or_b64 exec, exec, s[16:17]
	s_orn2_b64 s[16:17], s[2:3], exec
.LBB1370_274:
	s_or_b64 exec, exec, s[20:21]
	v_cndmask_b32_e64 v12, v18, v19, s[16:17]
	v_cndmask_b32_e64 v13, v100, v99, s[16:17]
	v_add_u32_e32 v16, 1, v12
	v_add_u32_e32 v12, -1, v13
	v_min_u32_e32 v12, v16, v12
	v_mov_b32_e32 v13, 0
	v_lshl_add_u64 v[14:15], v[12:13], 3, v[54:55]
	flat_load_dwordx2 v[14:15], v[14:15]
	v_cndmask_b32_e64 v66, v16, v18, s[16:17]
	s_mov_b64 s[20:21], -1
	v_cndmask_b32_e64 v67, v19, v16, s[16:17]
	v_cmp_lt_u32_e64 s[0:1], v66, v100
	s_mov_b64 s[22:23], -1
	s_waitcnt vmcnt(0) lgkmcnt(0)
	v_cndmask_b32_e64 v80, v15, v23, s[16:17]
	v_cndmask_b32_e64 v81, v14, v69, s[16:17]
	;; [unrolled: 1-line block ×4, first 2 shown]
	s_and_saveexec_b64 s[24:25], s[0:1]
	s_cbranch_execz .LBB1370_284
; %bb.275:
	v_cmp_lt_u32_e64 s[0:1], v67, v99
	s_mov_b64 s[2:3], 0
	s_and_saveexec_b64 s[22:23], s[0:1]
	s_cbranch_execz .LBB1370_283
; %bb.276:
	s_mov_b64 s[0:1], -1
	s_and_saveexec_b64 s[26:27], vcc
	s_cbranch_execz .LBB1370_282
; %bb.277:
	v_mul_lo_u32 v12, v82, v6
	v_mul_lo_u32 v16, v83, v7
	v_mad_u64_u32 v[14:15], s[0:1], v83, v6, 0
	v_add3_u32 v15, v15, v16, v12
	v_mul_lo_u32 v12, v80, v6
	v_mul_lo_u32 v18, v81, v7
	v_mad_u64_u32 v[16:17], s[0:1], v81, v6, 0
	v_add3_u32 v17, v17, v18, v12
	v_lshl_add_u64 v[14:15], v[14:15], 1, v[8:9]
	v_lshl_add_u64 v[16:17], v[16:17], 1, v[8:9]
	s_mov_b64 s[28:29], 0
	v_mov_b64_e32 v[18:19], v[6:7]
                                        ; implicit-def: $sgpr30_sgpr31
                                        ; implicit-def: $sgpr34_sgpr35
                                        ; implicit-def: $sgpr2_sgpr3
                                        ; implicit-def: $sgpr36_sgpr37
                                        ; implicit-def: $sgpr38_sgpr39
	s_branch .LBB1370_279
.LBB1370_278:                           ;   in Loop: Header=BB1370_279 Depth=1
	s_or_b64 exec, exec, s[40:41]
	s_and_b64 s[0:1], exec, s[34:35]
	s_or_b64 s[28:29], s[0:1], s[28:29]
	s_andn2_b64 s[0:1], s[38:39], exec
	s_and_b64 s[4:5], s[36:37], exec
	s_or_b64 s[38:39], s[0:1], s[4:5]
	s_andn2_b64 s[0:1], s[30:31], exec
	s_and_b64 s[4:5], s[2:3], exec
	s_or_b64 s[30:31], s[0:1], s[4:5]
	s_andn2_b64 exec, exec, s[28:29]
	s_cbranch_execz .LBB1370_281
.LBB1370_279:                           ; =>This Inner Loop Header: Depth=1
	flat_load_ushort v12, v[16:17]
	flat_load_ushort v84, v[14:15]
	s_andn2_b64 s[40:41], s[2:3], exec
	s_andn2_b64 s[36:37], s[36:37], exec
	s_or_b64 s[34:35], s[34:35], exec
	s_waitcnt vmcnt(0) lgkmcnt(0)
	v_cmp_le_u16_e64 s[2:3], v12, v84
	v_cmp_lt_u16_e64 s[0:1], v12, v84
	s_and_b64 s[2:3], s[2:3], s[38:39]
	s_or_b64 s[42:43], s[0:1], s[2:3]
	s_and_b64 s[0:1], s[42:43], exec
	v_cmp_eq_u16_e64 s[4:5], v12, v84
	s_or_b64 s[2:3], s[40:41], s[0:1]
	s_and_saveexec_b64 s[40:41], s[4:5]
	s_cbranch_execz .LBB1370_278
; %bb.280:                              ;   in Loop: Header=BB1370_279 Depth=1
	v_lshl_add_u64 v[18:19], v[18:19], 0, -1
	v_cmp_eq_u64_e64 s[0:1], 0, v[18:19]
	s_andn2_b64 s[4:5], s[36:37], exec
	s_and_b64 s[36:37], s[42:43], exec
	s_or_b64 s[36:37], s[4:5], s[36:37]
	s_andn2_b64 s[4:5], s[34:35], exec
	s_and_b64 s[0:1], s[0:1], exec
	v_lshl_add_u64 v[14:15], v[14:15], 0, 2
	v_lshl_add_u64 v[16:17], v[16:17], 0, 2
	s_andn2_b64 s[2:3], s[2:3], exec
	s_or_b64 s[34:35], s[4:5], s[0:1]
                                        ; implicit-def: $sgpr38_sgpr39
	s_branch .LBB1370_278
.LBB1370_281:
	s_or_b64 exec, exec, s[28:29]
	s_xor_b64 s[0:1], s[30:31], -1
	s_orn2_b64 s[0:1], s[0:1], exec
.LBB1370_282:
	s_or_b64 exec, exec, s[26:27]
	s_and_b64 s[2:3], s[0:1], exec
.LBB1370_283:
	s_or_b64 exec, exec, s[22:23]
	s_orn2_b64 s[22:23], s[2:3], exec
.LBB1370_284:
	s_or_b64 exec, exec, s[24:25]
	v_cndmask_b32_e64 v12, v66, v67, s[22:23]
	v_cndmask_b32_e64 v14, v100, v99, s[22:23]
	v_add_u32_e32 v15, 1, v12
	v_add_u32_e32 v12, -1, v14
	v_min_u32_e32 v12, v15, v12
	v_lshl_add_u64 v[12:13], v[12:13], 3, v[54:55]
	flat_load_dwordx2 v[12:13], v[12:13]
	v_cndmask_b32_e64 v18, v15, v66, s[22:23]
	v_cndmask_b32_e64 v19, v67, v15, s[22:23]
	v_cmp_lt_u32_e64 s[0:1], v18, v100
	s_waitcnt vmcnt(0) lgkmcnt(0)
	v_cndmask_b32_e64 v84, v13, v80, s[22:23]
	v_cndmask_b32_e64 v85, v12, v81, s[22:23]
	;; [unrolled: 1-line block ×4, first 2 shown]
	s_and_saveexec_b64 s[24:25], s[0:1]
	s_cbranch_execz .LBB1370_294
; %bb.285:
	v_cmp_lt_u32_e64 s[0:1], v19, v99
	s_mov_b64 s[2:3], 0
	s_and_saveexec_b64 s[20:21], s[0:1]
	s_cbranch_execz .LBB1370_293
; %bb.286:
	s_mov_b64 s[0:1], -1
	s_and_saveexec_b64 s[26:27], vcc
	s_cbranch_execz .LBB1370_292
; %bb.287:
	v_mul_lo_u32 v14, v86, v6
	v_mul_lo_u32 v15, v87, v7
	v_mad_u64_u32 v[12:13], s[0:1], v87, v6, 0
	v_add3_u32 v13, v13, v15, v14
	v_mul_lo_u32 v16, v84, v6
	v_mul_lo_u32 v17, v85, v7
	v_mad_u64_u32 v[14:15], s[0:1], v85, v6, 0
	v_add3_u32 v15, v15, v17, v16
	v_lshl_add_u64 v[12:13], v[12:13], 1, v[8:9]
	v_lshl_add_u64 v[14:15], v[14:15], 1, v[8:9]
	s_mov_b64 s[28:29], 0
	v_mov_b64_e32 v[16:17], v[6:7]
                                        ; implicit-def: $sgpr30_sgpr31
                                        ; implicit-def: $sgpr34_sgpr35
                                        ; implicit-def: $sgpr2_sgpr3
                                        ; implicit-def: $sgpr36_sgpr37
                                        ; implicit-def: $sgpr38_sgpr39
	s_branch .LBB1370_289
.LBB1370_288:                           ;   in Loop: Header=BB1370_289 Depth=1
	s_or_b64 exec, exec, s[40:41]
	s_and_b64 s[0:1], exec, s[34:35]
	s_or_b64 s[28:29], s[0:1], s[28:29]
	s_andn2_b64 s[0:1], s[38:39], exec
	s_and_b64 s[4:5], s[36:37], exec
	s_or_b64 s[38:39], s[0:1], s[4:5]
	s_andn2_b64 s[0:1], s[30:31], exec
	s_and_b64 s[4:5], s[2:3], exec
	s_or_b64 s[30:31], s[0:1], s[4:5]
	s_andn2_b64 exec, exec, s[28:29]
	s_cbranch_execz .LBB1370_291
.LBB1370_289:                           ; =>This Inner Loop Header: Depth=1
	flat_load_ushort v66, v[14:15]
	flat_load_ushort v67, v[12:13]
	s_andn2_b64 s[40:41], s[2:3], exec
	s_andn2_b64 s[36:37], s[36:37], exec
	s_or_b64 s[34:35], s[34:35], exec
	s_waitcnt vmcnt(0) lgkmcnt(0)
	v_cmp_le_u16_e64 s[2:3], v66, v67
	v_cmp_lt_u16_e64 s[0:1], v66, v67
	s_and_b64 s[2:3], s[2:3], s[38:39]
	s_or_b64 s[42:43], s[0:1], s[2:3]
	s_and_b64 s[0:1], s[42:43], exec
	v_cmp_eq_u16_e64 s[4:5], v66, v67
	s_or_b64 s[2:3], s[40:41], s[0:1]
	s_and_saveexec_b64 s[40:41], s[4:5]
	s_cbranch_execz .LBB1370_288
; %bb.290:                              ;   in Loop: Header=BB1370_289 Depth=1
	v_lshl_add_u64 v[16:17], v[16:17], 0, -1
	v_cmp_eq_u64_e64 s[0:1], 0, v[16:17]
	s_andn2_b64 s[4:5], s[36:37], exec
	s_and_b64 s[36:37], s[42:43], exec
	s_or_b64 s[36:37], s[4:5], s[36:37]
	s_andn2_b64 s[4:5], s[34:35], exec
	s_and_b64 s[0:1], s[0:1], exec
	v_lshl_add_u64 v[12:13], v[12:13], 0, 2
	v_lshl_add_u64 v[14:15], v[14:15], 0, 2
	s_andn2_b64 s[2:3], s[2:3], exec
	s_or_b64 s[34:35], s[4:5], s[0:1]
                                        ; implicit-def: $sgpr38_sgpr39
	s_branch .LBB1370_288
.LBB1370_291:
	s_or_b64 exec, exec, s[28:29]
	s_xor_b64 s[0:1], s[30:31], -1
	s_orn2_b64 s[0:1], s[0:1], exec
.LBB1370_292:
	s_or_b64 exec, exec, s[26:27]
	s_and_b64 s[2:3], s[0:1], exec
.LBB1370_293:
	s_or_b64 exec, exec, s[20:21]
	s_orn2_b64 s[20:21], s[2:3], exec
.LBB1370_294:
	s_or_b64 exec, exec, s[24:25]
	v_cndmask_b32_e64 v12, v18, v19, s[20:21]
	v_cndmask_b32_e64 v13, v100, v99, s[20:21]
	v_add_u32_e32 v16, 1, v12
	v_add_u32_e32 v12, -1, v13
	v_min_u32_e32 v12, v16, v12
	v_mov_b32_e32 v13, 0
	v_lshl_add_u64 v[14:15], v[12:13], 3, v[54:55]
	flat_load_dwordx2 v[14:15], v[14:15]
	v_cndmask_b32_e64 v66, v16, v18, s[20:21]
	s_mov_b64 s[24:25], -1
	v_cndmask_b32_e64 v67, v19, v16, s[20:21]
	v_cmp_lt_u32_e64 s[0:1], v66, v100
	s_mov_b64 s[26:27], -1
	s_waitcnt vmcnt(0) lgkmcnt(0)
	v_cndmask_b32_e64 v96, v15, v84, s[20:21]
	v_cndmask_b32_e64 v97, v14, v85, s[20:21]
	;; [unrolled: 1-line block ×4, first 2 shown]
	s_and_saveexec_b64 s[28:29], s[0:1]
	s_cbranch_execz .LBB1370_304
; %bb.295:
	v_cmp_lt_u32_e64 s[0:1], v67, v99
	s_mov_b64 s[2:3], 0
	s_and_saveexec_b64 s[26:27], s[0:1]
	s_cbranch_execz .LBB1370_303
; %bb.296:
	s_mov_b64 s[0:1], -1
	s_and_saveexec_b64 s[30:31], vcc
	s_cbranch_execz .LBB1370_302
; %bb.297:
	v_mul_lo_u32 v12, v101, v6
	v_mul_lo_u32 v16, v102, v7
	v_mad_u64_u32 v[14:15], s[0:1], v102, v6, 0
	v_add3_u32 v15, v15, v16, v12
	v_mul_lo_u32 v12, v96, v6
	v_mul_lo_u32 v18, v97, v7
	v_mad_u64_u32 v[16:17], s[0:1], v97, v6, 0
	v_add3_u32 v17, v17, v18, v12
	v_lshl_add_u64 v[14:15], v[14:15], 1, v[8:9]
	v_lshl_add_u64 v[16:17], v[16:17], 1, v[8:9]
	s_mov_b64 s[34:35], 0
	v_mov_b64_e32 v[18:19], v[6:7]
                                        ; implicit-def: $sgpr36_sgpr37
                                        ; implicit-def: $sgpr38_sgpr39
                                        ; implicit-def: $sgpr2_sgpr3
                                        ; implicit-def: $sgpr40_sgpr41
                                        ; implicit-def: $sgpr42_sgpr43
	s_branch .LBB1370_299
.LBB1370_298:                           ;   in Loop: Header=BB1370_299 Depth=1
	s_or_b64 exec, exec, s[44:45]
	s_and_b64 s[0:1], exec, s[38:39]
	s_or_b64 s[34:35], s[0:1], s[34:35]
	s_andn2_b64 s[0:1], s[42:43], exec
	s_and_b64 s[4:5], s[40:41], exec
	s_or_b64 s[42:43], s[0:1], s[4:5]
	s_andn2_b64 s[0:1], s[36:37], exec
	s_and_b64 s[4:5], s[2:3], exec
	s_or_b64 s[36:37], s[0:1], s[4:5]
	s_andn2_b64 exec, exec, s[34:35]
	s_cbranch_execz .LBB1370_301
.LBB1370_299:                           ; =>This Inner Loop Header: Depth=1
	flat_load_ushort v12, v[16:17]
	flat_load_ushort v103, v[14:15]
	s_andn2_b64 s[44:45], s[2:3], exec
	s_andn2_b64 s[40:41], s[40:41], exec
	s_or_b64 s[38:39], s[38:39], exec
	s_waitcnt vmcnt(0) lgkmcnt(0)
	v_cmp_le_u16_e64 s[2:3], v12, v103
	v_cmp_lt_u16_e64 s[0:1], v12, v103
	s_and_b64 s[2:3], s[2:3], s[42:43]
	s_or_b64 s[46:47], s[0:1], s[2:3]
	s_and_b64 s[0:1], s[46:47], exec
	v_cmp_eq_u16_e64 s[4:5], v12, v103
	s_or_b64 s[2:3], s[44:45], s[0:1]
	s_and_saveexec_b64 s[44:45], s[4:5]
	s_cbranch_execz .LBB1370_298
; %bb.300:                              ;   in Loop: Header=BB1370_299 Depth=1
	v_lshl_add_u64 v[18:19], v[18:19], 0, -1
	v_cmp_eq_u64_e64 s[0:1], 0, v[18:19]
	s_andn2_b64 s[4:5], s[40:41], exec
	s_and_b64 s[40:41], s[46:47], exec
	s_or_b64 s[40:41], s[4:5], s[40:41]
	s_andn2_b64 s[4:5], s[38:39], exec
	s_and_b64 s[0:1], s[0:1], exec
	v_lshl_add_u64 v[14:15], v[14:15], 0, 2
	v_lshl_add_u64 v[16:17], v[16:17], 0, 2
	s_andn2_b64 s[2:3], s[2:3], exec
	s_or_b64 s[38:39], s[4:5], s[0:1]
                                        ; implicit-def: $sgpr42_sgpr43
	s_branch .LBB1370_298
.LBB1370_301:
	s_or_b64 exec, exec, s[34:35]
	s_xor_b64 s[0:1], s[36:37], -1
	s_orn2_b64 s[0:1], s[0:1], exec
.LBB1370_302:
	s_or_b64 exec, exec, s[30:31]
	s_and_b64 s[2:3], s[0:1], exec
.LBB1370_303:
	s_or_b64 exec, exec, s[26:27]
	s_orn2_b64 s[26:27], s[2:3], exec
.LBB1370_304:
	s_or_b64 exec, exec, s[28:29]
	v_cndmask_b32_e64 v12, v66, v67, s[26:27]
	v_cndmask_b32_e64 v14, v100, v99, s[26:27]
	v_add_u32_e32 v15, 1, v12
	v_add_u32_e32 v12, -1, v14
	v_min_u32_e32 v12, v15, v12
	v_lshl_add_u64 v[12:13], v[12:13], 3, v[54:55]
	flat_load_dwordx2 v[12:13], v[12:13]
	v_cndmask_b32_e64 v114, v15, v66, s[26:27]
	v_cndmask_b32_e64 v103, v67, v15, s[26:27]
	v_cmp_lt_u32_e64 s[0:1], v114, v100
	s_waitcnt vmcnt(0) lgkmcnt(0)
	v_cndmask_b32_e64 v112, v13, v96, s[26:27]
	v_cndmask_b32_e64 v113, v12, v97, s[26:27]
	;; [unrolled: 1-line block ×4, first 2 shown]
	s_and_saveexec_b64 s[28:29], s[0:1]
	s_cbranch_execz .LBB1370_314
; %bb.305:
	v_cmp_lt_u32_e64 s[0:1], v103, v99
	s_mov_b64 s[2:3], 0
	s_and_saveexec_b64 s[24:25], s[0:1]
	s_cbranch_execz .LBB1370_313
; %bb.306:
	s_mov_b64 s[0:1], -1
	s_and_saveexec_b64 s[30:31], vcc
	s_cbranch_execz .LBB1370_312
; %bb.307:
	v_mul_lo_u32 v14, v115, v6
	v_mul_lo_u32 v15, v116, v7
	v_mad_u64_u32 v[12:13], s[0:1], v116, v6, 0
	v_add3_u32 v13, v13, v15, v14
	v_mul_lo_u32 v16, v112, v6
	v_mul_lo_u32 v17, v113, v7
	v_mad_u64_u32 v[14:15], s[0:1], v113, v6, 0
	v_add3_u32 v15, v15, v17, v16
	v_lshl_add_u64 v[12:13], v[12:13], 1, v[8:9]
	v_lshl_add_u64 v[14:15], v[14:15], 1, v[8:9]
	s_mov_b64 s[34:35], 0
	v_mov_b64_e32 v[16:17], v[6:7]
                                        ; implicit-def: $sgpr36_sgpr37
                                        ; implicit-def: $sgpr38_sgpr39
                                        ; implicit-def: $sgpr2_sgpr3
                                        ; implicit-def: $sgpr40_sgpr41
                                        ; implicit-def: $sgpr42_sgpr43
	s_branch .LBB1370_309
.LBB1370_308:                           ;   in Loop: Header=BB1370_309 Depth=1
	s_or_b64 exec, exec, s[44:45]
	s_and_b64 s[0:1], exec, s[38:39]
	s_or_b64 s[34:35], s[0:1], s[34:35]
	s_andn2_b64 s[0:1], s[42:43], exec
	s_and_b64 s[4:5], s[40:41], exec
	s_or_b64 s[42:43], s[0:1], s[4:5]
	s_andn2_b64 s[0:1], s[36:37], exec
	s_and_b64 s[4:5], s[2:3], exec
	s_or_b64 s[36:37], s[0:1], s[4:5]
	s_andn2_b64 exec, exec, s[34:35]
	s_cbranch_execz .LBB1370_311
.LBB1370_309:                           ; =>This Inner Loop Header: Depth=1
	flat_load_ushort v18, v[14:15]
	flat_load_ushort v19, v[12:13]
	s_andn2_b64 s[44:45], s[2:3], exec
	s_andn2_b64 s[40:41], s[40:41], exec
	s_or_b64 s[38:39], s[38:39], exec
	s_waitcnt vmcnt(0) lgkmcnt(0)
	v_cmp_le_u16_e64 s[2:3], v18, v19
	v_cmp_lt_u16_e64 s[0:1], v18, v19
	s_and_b64 s[2:3], s[2:3], s[42:43]
	s_or_b64 s[46:47], s[0:1], s[2:3]
	s_and_b64 s[0:1], s[46:47], exec
	v_cmp_eq_u16_e64 s[4:5], v18, v19
	s_or_b64 s[2:3], s[44:45], s[0:1]
	s_and_saveexec_b64 s[44:45], s[4:5]
	s_cbranch_execz .LBB1370_308
; %bb.310:                              ;   in Loop: Header=BB1370_309 Depth=1
	v_lshl_add_u64 v[16:17], v[16:17], 0, -1
	v_cmp_eq_u64_e64 s[0:1], 0, v[16:17]
	s_andn2_b64 s[4:5], s[40:41], exec
	s_and_b64 s[40:41], s[46:47], exec
	s_or_b64 s[40:41], s[4:5], s[40:41]
	s_andn2_b64 s[4:5], s[38:39], exec
	s_and_b64 s[0:1], s[0:1], exec
	v_lshl_add_u64 v[12:13], v[12:13], 0, 2
	v_lshl_add_u64 v[14:15], v[14:15], 0, 2
	s_andn2_b64 s[2:3], s[2:3], exec
	s_or_b64 s[38:39], s[4:5], s[0:1]
                                        ; implicit-def: $sgpr42_sgpr43
	s_branch .LBB1370_308
.LBB1370_311:
	s_or_b64 exec, exec, s[34:35]
	s_xor_b64 s[0:1], s[36:37], -1
	s_orn2_b64 s[0:1], s[0:1], exec
.LBB1370_312:
	s_or_b64 exec, exec, s[30:31]
	s_and_b64 s[2:3], s[0:1], exec
.LBB1370_313:
	s_or_b64 exec, exec, s[24:25]
	s_orn2_b64 s[24:25], s[2:3], exec
.LBB1370_314:
	s_or_b64 exec, exec, s[28:29]
	v_cndmask_b32_e64 v12, v114, v103, s[24:25]
	v_cndmask_b32_e64 v13, v100, v99, s[24:25]
	v_add_u32_e32 v117, 1, v12
	v_add_u32_e32 v12, -1, v13
	v_min_u32_e32 v12, v117, v12
	v_mov_b32_e32 v13, 0
	v_lshl_add_u64 v[12:13], v[12:13], 3, v[54:55]
	flat_load_dwordx2 v[66:67], v[12:13]
	v_cndmask_b32_e64 v17, v23, v70, s[16:17]
	v_cndmask_b32_e64 v23, v20, v22, s[18:19]
	;; [unrolled: 1-line block ×15, first 2 shown]
	v_cmp_lt_u32_e64 s[0:1], v68, v100
	s_waitcnt vmcnt(0) lgkmcnt(0)
	v_cndmask_b32_e64 v3, v115, v67, s[24:25]
	v_cndmask_b32_e64 v2, v116, v66, s[24:25]
	s_and_saveexec_b64 s[14:15], s[0:1]
	s_cbranch_execz .LBB1370_324
; %bb.315:
	v_cndmask_b32_e64 v68, v103, v117, s[24:25]
	v_cndmask_b32_e64 v67, v67, v112, s[24:25]
	;; [unrolled: 1-line block ×3, first 2 shown]
	v_cmp_lt_u32_e64 s[0:1], v68, v99
	s_and_saveexec_b64 s[16:17], s[0:1]
	s_cbranch_execz .LBB1370_323
; %bb.316:
	s_and_saveexec_b64 s[18:19], vcc
	s_cbranch_execz .LBB1370_322
; %bb.317:
	v_mul_lo_u32 v70, v3, v6
	v_mul_lo_u32 v71, v2, v7
	v_mad_u64_u32 v[68:69], s[0:1], v2, v6, 0
	v_add3_u32 v69, v69, v71, v70
	v_mul_lo_u32 v80, v67, v6
	v_mul_lo_u32 v81, v66, v7
	v_mad_u64_u32 v[70:71], s[0:1], v66, v6, 0
	v_add3_u32 v71, v71, v81, v80
	v_lshl_add_u64 v[68:69], v[68:69], 1, v[8:9]
	v_lshl_add_u64 v[70:71], v[70:71], 1, v[8:9]
	s_mov_b64 s[20:21], 0
	v_mov_b64_e32 v[80:81], v[6:7]
                                        ; implicit-def: $sgpr22_sgpr23
                                        ; implicit-def: $sgpr24_sgpr25
                                        ; implicit-def: $sgpr2_sgpr3
                                        ; implicit-def: $sgpr26_sgpr27
                                        ; implicit-def: $sgpr28_sgpr29
	s_branch .LBB1370_319
.LBB1370_318:                           ;   in Loop: Header=BB1370_319 Depth=1
	s_or_b64 exec, exec, s[30:31]
	s_and_b64 s[0:1], exec, s[24:25]
	s_or_b64 s[20:21], s[0:1], s[20:21]
	s_andn2_b64 s[0:1], s[28:29], exec
	s_and_b64 s[4:5], s[26:27], exec
	s_or_b64 s[28:29], s[0:1], s[4:5]
	s_andn2_b64 s[0:1], s[22:23], exec
	s_and_b64 s[4:5], s[2:3], exec
	s_or_b64 s[22:23], s[0:1], s[4:5]
	s_andn2_b64 exec, exec, s[20:21]
	s_cbranch_execz .LBB1370_321
.LBB1370_319:                           ; =>This Inner Loop Header: Depth=1
	flat_load_ushort v82, v[70:71]
	flat_load_ushort v83, v[68:69]
	s_andn2_b64 s[30:31], s[2:3], exec
	s_andn2_b64 s[26:27], s[26:27], exec
	s_or_b64 s[24:25], s[24:25], exec
	s_waitcnt vmcnt(0) lgkmcnt(0)
	v_cmp_le_u16_e64 s[2:3], v82, v83
	v_cmp_lt_u16_e64 s[0:1], v82, v83
	s_and_b64 s[2:3], s[2:3], s[28:29]
	s_or_b64 s[34:35], s[0:1], s[2:3]
	s_and_b64 s[0:1], s[34:35], exec
	v_cmp_eq_u16_e64 s[4:5], v82, v83
	s_or_b64 s[2:3], s[30:31], s[0:1]
	s_and_saveexec_b64 s[30:31], s[4:5]
	s_cbranch_execz .LBB1370_318
; %bb.320:                              ;   in Loop: Header=BB1370_319 Depth=1
	v_lshl_add_u64 v[80:81], v[80:81], 0, -1
	v_cmp_eq_u64_e64 s[0:1], 0, v[80:81]
	s_andn2_b64 s[4:5], s[26:27], exec
	s_and_b64 s[26:27], s[34:35], exec
	s_or_b64 s[26:27], s[4:5], s[26:27]
	s_andn2_b64 s[4:5], s[24:25], exec
	s_and_b64 s[0:1], s[0:1], exec
	v_lshl_add_u64 v[68:69], v[68:69], 0, 2
	v_lshl_add_u64 v[70:71], v[70:71], 0, 2
	s_andn2_b64 s[2:3], s[2:3], exec
	s_or_b64 s[24:25], s[4:5], s[0:1]
                                        ; implicit-def: $sgpr28_sgpr29
	s_branch .LBB1370_318
.LBB1370_321:
	s_or_b64 exec, exec, s[20:21]
	v_cndmask_b32_e64 v3, v3, v67, s[22:23]
	v_cndmask_b32_e64 v2, v2, v66, s[22:23]
.LBB1370_322:
	s_or_b64 exec, exec, s[18:19]
	v_mov_b64_e32 v[66:67], v[2:3]
.LBB1370_323:
	s_or_b64 exec, exec, s[16:17]
	v_mov_b64_e32 v[2:3], v[66:67]
.LBB1370_324:
	s_or_b64 exec, exec, s[14:15]
.LBB1370_325:
	s_or_b64 exec, exec, s[10:11]
	v_and_b32_e32 v101, 0x3e0, v98
	v_or_b32_e32 v66, 16, v101
	v_min_u32_e32 v99, v31, v66
	v_add_u32_e32 v66, 16, v99
	v_min_u32_e32 v100, v31, v66
	v_and_b32_e32 v66, 24, v98
	v_min_u32_e32 v102, v31, v66
	v_sub_u32_e32 v66, v99, v101
	v_sub_u32_e32 v67, v100, v99
	v_sub_u32_e64 v103, v102, v67 clamp
	v_min_u32_e32 v112, v102, v66
	v_cmp_lt_u32_e64 s[0:1], v103, v112
	; wave barrier
	flat_store_dwordx4 v[64:65], v[20:23]
	flat_store_dwordx4 v[64:65], v[16:19] offset:16
	flat_store_dwordx4 v[64:65], v[12:15] offset:32
	;; [unrolled: 1-line block ×3, first 2 shown]
	; wave barrier
	s_and_saveexec_b64 s[10:11], s[0:1]
	s_cbranch_execz .LBB1370_335
; %bb.326:
	v_lshlrev_b32_e32 v66, 3, v101
	v_mov_b32_e32 v67, 0
	v_lshl_add_u64 v[68:69], v[54:55], 0, v[66:67]
	v_lshlrev_b32_e32 v66, 3, v99
	v_lshl_add_u64 v[70:71], v[54:55], 0, v[66:67]
	v_lshlrev_b64 v[80:81], 1, v[6:7]
	s_mov_b64 s[14:15], 0
	s_branch .LBB1370_329
.LBB1370_327:                           ;   in Loop: Header=BB1370_329 Depth=1
	s_or_b64 exec, exec, s[18:19]
	s_and_b64 s[0:1], s[20:21], exec
.LBB1370_328:                           ;   in Loop: Header=BB1370_329 Depth=1
	s_or_b64 exec, exec, s[16:17]
	v_add_u32_e32 v66, 1, v82
	v_cndmask_b32_e64 v112, v112, v82, s[0:1]
	v_cndmask_b32_e64 v103, v66, v103, s[0:1]
	v_cmp_ge_u32_e64 s[0:1], v103, v112
	s_or_b64 s[14:15], s[0:1], s[14:15]
	s_andn2_b64 exec, exec, s[14:15]
	s_cbranch_execz .LBB1370_334
.LBB1370_329:                           ; =>This Loop Header: Depth=1
                                        ;     Child Loop BB1370_332 Depth 2
	v_add_u32_e32 v66, v112, v103
	v_lshrrev_b32_e32 v82, 1, v66
	s_mov_b64 s[0:1], 0
	s_and_saveexec_b64 s[16:17], vcc
	s_cbranch_execz .LBB1370_328
; %bb.330:                              ;   in Loop: Header=BB1370_329 Depth=1
	v_mov_b32_e32 v83, v67
	v_xad_u32 v66, v82, -1, v102
	v_lshl_add_u64 v[84:85], v[82:83], 3, v[68:69]
	v_lshl_add_u64 v[86:87], v[66:67], 3, v[70:71]
	flat_load_dwordx2 v[84:85], v[84:85]
	s_mov_b64 s[18:19], 0
	flat_load_dwordx2 v[86:87], v[86:87]
                                        ; implicit-def: $sgpr20_sgpr21
                                        ; implicit-def: $sgpr22_sgpr23
                                        ; implicit-def: $sgpr24_sgpr25
                                        ; implicit-def: $sgpr2_sgpr3
                                        ; implicit-def: $sgpr26_sgpr27
	s_waitcnt vmcnt(0) lgkmcnt(0)
	v_mul_lo_u32 v66, v80, v85
	v_mul_lo_u32 v83, v81, v84
	v_mad_u64_u32 v[84:85], s[0:1], v80, v84, v[8:9]
	v_mul_lo_u32 v96, v80, v87
	v_mul_lo_u32 v97, v81, v86
	v_mad_u64_u32 v[86:87], s[0:1], v80, v86, v[8:9]
	v_add3_u32 v85, v83, v85, v66
	v_add3_u32 v87, v97, v87, v96
	v_mov_b64_e32 v[96:97], v[6:7]
	s_branch .LBB1370_332
.LBB1370_331:                           ;   in Loop: Header=BB1370_332 Depth=2
	s_or_b64 exec, exec, s[28:29]
	s_and_b64 s[0:1], exec, s[22:23]
	s_or_b64 s[18:19], s[0:1], s[18:19]
	s_andn2_b64 s[0:1], s[26:27], exec
	s_and_b64 s[4:5], s[24:25], exec
	s_or_b64 s[26:27], s[0:1], s[4:5]
	s_andn2_b64 s[0:1], s[20:21], exec
	s_and_b64 s[4:5], s[2:3], exec
	s_or_b64 s[20:21], s[0:1], s[4:5]
	s_andn2_b64 exec, exec, s[18:19]
	s_cbranch_execz .LBB1370_327
.LBB1370_332:                           ;   Parent Loop BB1370_329 Depth=1
                                        ; =>  This Inner Loop Header: Depth=2
	flat_load_ushort v66, v[86:87]
	flat_load_ushort v83, v[84:85]
	s_andn2_b64 s[28:29], s[2:3], exec
	s_andn2_b64 s[24:25], s[24:25], exec
	s_or_b64 s[22:23], s[22:23], exec
	s_waitcnt vmcnt(0) lgkmcnt(0)
	v_cmp_le_u16_e64 s[2:3], v66, v83
	v_cmp_lt_u16_e64 s[0:1], v66, v83
	s_and_b64 s[2:3], s[2:3], s[26:27]
	s_or_b64 s[30:31], s[0:1], s[2:3]
	s_and_b64 s[0:1], s[30:31], exec
	v_cmp_eq_u16_e64 s[4:5], v66, v83
	s_or_b64 s[2:3], s[28:29], s[0:1]
	s_and_saveexec_b64 s[28:29], s[4:5]
	s_cbranch_execz .LBB1370_331
; %bb.333:                              ;   in Loop: Header=BB1370_332 Depth=2
	v_lshl_add_u64 v[96:97], v[96:97], 0, -1
	v_cmp_eq_u64_e64 s[0:1], 0, v[96:97]
	s_andn2_b64 s[4:5], s[24:25], exec
	s_and_b64 s[24:25], s[30:31], exec
	s_or_b64 s[24:25], s[4:5], s[24:25]
	s_andn2_b64 s[4:5], s[22:23], exec
	s_and_b64 s[0:1], s[0:1], exec
	v_lshl_add_u64 v[84:85], v[84:85], 0, 2
	v_lshl_add_u64 v[86:87], v[86:87], 0, 2
	s_andn2_b64 s[2:3], s[2:3], exec
	s_or_b64 s[22:23], s[4:5], s[0:1]
                                        ; implicit-def: $sgpr26_sgpr27
	s_branch .LBB1370_331
.LBB1370_334:
	s_or_b64 exec, exec, s[14:15]
.LBB1370_335:
	s_or_b64 exec, exec, s[10:11]
	v_add_u32_e32 v67, v99, v102
	v_add_u32_e32 v66, v103, v101
	v_sub_u32_e32 v68, v67, v103
	v_cmp_le_u32_e64 s[0:1], v66, v99
	v_cmp_le_u32_e64 s[2:3], v68, v100
	s_or_b64 s[0:1], s[0:1], s[2:3]
	s_and_saveexec_b64 s[10:11], s[0:1]
	s_cbranch_execz .LBB1370_419
; %bb.336:
	v_cmp_ge_u32_e64 s[0:1], v66, v99
	v_cmp_lt_u32_e64 s[2:3], v66, v99
                                        ; implicit-def: $vgpr0_vgpr1
	s_and_saveexec_b64 s[4:5], s[2:3]
	s_cbranch_execz .LBB1370_338
; %bb.337:
	v_mov_b32_e32 v67, 0
	v_lshl_add_u64 v[0:1], v[66:67], 3, v[54:55]
	flat_load_dwordx2 v[0:1], v[0:1]
.LBB1370_338:
	s_or_b64 exec, exec, s[4:5]
	v_cmp_ge_u32_e64 s[14:15], v68, v100
	v_cmp_lt_u32_e64 s[2:3], v68, v100
                                        ; implicit-def: $vgpr2_vgpr3
	s_and_saveexec_b64 s[4:5], s[2:3]
	s_cbranch_execz .LBB1370_340
; %bb.339:
	v_mov_b32_e32 v69, 0
	v_lshl_add_u64 v[2:3], v[68:69], 3, v[54:55]
	flat_load_dwordx2 v[2:3], v[2:3]
.LBB1370_340:
	s_or_b64 exec, exec, s[4:5]
	s_or_b64 s[0:1], s[0:1], s[14:15]
	s_xor_b64 s[0:1], s[0:1], -1
	s_and_saveexec_b64 s[16:17], s[0:1]
	s_cbranch_execz .LBB1370_348
; %bb.341:
	s_mov_b64 s[0:1], 0
	s_and_saveexec_b64 s[18:19], vcc
	s_cbranch_execz .LBB1370_347
; %bb.342:
	s_waitcnt vmcnt(0) lgkmcnt(0)
	v_mul_lo_u32 v14, v1, v6
	v_mul_lo_u32 v15, v0, v7
	v_mad_u64_u32 v[12:13], s[0:1], v0, v6, 0
	v_add3_u32 v13, v13, v15, v14
	v_mul_lo_u32 v16, v3, v6
	v_mul_lo_u32 v17, v2, v7
	v_mad_u64_u32 v[14:15], s[0:1], v2, v6, 0
	v_add3_u32 v15, v15, v17, v16
	v_lshl_add_u64 v[12:13], v[12:13], 1, v[8:9]
	v_lshl_add_u64 v[14:15], v[14:15], 1, v[8:9]
	s_mov_b64 s[20:21], 0
	v_mov_b64_e32 v[16:17], v[6:7]
                                        ; implicit-def: $sgpr22_sgpr23
                                        ; implicit-def: $sgpr24_sgpr25
                                        ; implicit-def: $sgpr26_sgpr27
                                        ; implicit-def: $sgpr2_sgpr3
                                        ; implicit-def: $sgpr28_sgpr29
	s_branch .LBB1370_344
.LBB1370_343:                           ;   in Loop: Header=BB1370_344 Depth=1
	s_or_b64 exec, exec, s[30:31]
	s_and_b64 s[0:1], exec, s[24:25]
	s_or_b64 s[20:21], s[0:1], s[20:21]
	s_andn2_b64 s[0:1], s[28:29], exec
	s_and_b64 s[4:5], s[26:27], exec
	s_or_b64 s[28:29], s[0:1], s[4:5]
	s_andn2_b64 s[0:1], s[22:23], exec
	s_and_b64 s[4:5], s[2:3], exec
	s_or_b64 s[22:23], s[0:1], s[4:5]
	s_andn2_b64 exec, exec, s[20:21]
	s_cbranch_execz .LBB1370_346
.LBB1370_344:                           ; =>This Inner Loop Header: Depth=1
	flat_load_ushort v18, v[14:15]
	flat_load_ushort v19, v[12:13]
	s_andn2_b64 s[30:31], s[2:3], exec
	s_andn2_b64 s[26:27], s[26:27], exec
	s_or_b64 s[24:25], s[24:25], exec
	s_waitcnt vmcnt(0) lgkmcnt(0)
	v_cmp_le_u16_e64 s[2:3], v18, v19
	v_cmp_lt_u16_e64 s[0:1], v18, v19
	s_and_b64 s[2:3], s[2:3], s[28:29]
	s_or_b64 s[34:35], s[0:1], s[2:3]
	s_and_b64 s[0:1], s[34:35], exec
	v_cmp_eq_u16_e64 s[4:5], v18, v19
	s_or_b64 s[2:3], s[30:31], s[0:1]
	s_and_saveexec_b64 s[30:31], s[4:5]
	s_cbranch_execz .LBB1370_343
; %bb.345:                              ;   in Loop: Header=BB1370_344 Depth=1
	v_lshl_add_u64 v[16:17], v[16:17], 0, -1
	v_cmp_eq_u64_e64 s[0:1], 0, v[16:17]
	s_andn2_b64 s[4:5], s[26:27], exec
	s_and_b64 s[26:27], s[34:35], exec
	s_or_b64 s[26:27], s[4:5], s[26:27]
	s_andn2_b64 s[4:5], s[24:25], exec
	s_and_b64 s[0:1], s[0:1], exec
	v_lshl_add_u64 v[12:13], v[12:13], 0, 2
	v_lshl_add_u64 v[14:15], v[14:15], 0, 2
	s_andn2_b64 s[2:3], s[2:3], exec
	s_or_b64 s[24:25], s[4:5], s[0:1]
                                        ; implicit-def: $sgpr28_sgpr29
	s_branch .LBB1370_343
.LBB1370_346:
	s_or_b64 exec, exec, s[20:21]
	s_and_b64 s[0:1], s[22:23], exec
.LBB1370_347:
	s_or_b64 exec, exec, s[18:19]
	s_xor_b64 s[0:1], s[0:1], -1
	s_andn2_b64 s[2:3], s[14:15], exec
	s_and_b64 s[0:1], s[0:1], exec
	s_or_b64 s[14:15], s[2:3], s[0:1]
.LBB1370_348:
	s_or_b64 exec, exec, s[16:17]
	v_cndmask_b32_e64 v12, v68, v66, s[14:15]
	v_cndmask_b32_e64 v13, v100, v99, s[14:15]
	v_add_u32_e32 v16, 1, v12
	v_add_u32_e32 v12, -1, v13
	v_min_u32_e32 v12, v16, v12
	v_mov_b32_e32 v13, 0
	v_lshl_add_u64 v[14:15], v[12:13], 3, v[54:55]
	flat_load_dwordx2 v[14:15], v[14:15]
	v_cndmask_b32_e64 v23, v16, v68, s[14:15]
	s_mov_b64 s[16:17], -1
	v_cndmask_b32_e64 v66, v66, v16, s[14:15]
	v_cmp_lt_u32_e64 s[0:1], v23, v100
	s_mov_b64 s[18:19], -1
	s_waitcnt vmcnt(0) lgkmcnt(0)
	v_cndmask_b32_e64 v20, v15, v3, s[14:15]
	v_cndmask_b32_e64 v21, v14, v2, s[14:15]
	;; [unrolled: 1-line block ×4, first 2 shown]
	s_and_saveexec_b64 s[20:21], s[0:1]
	s_cbranch_execz .LBB1370_358
; %bb.349:
	v_cmp_lt_u32_e64 s[0:1], v66, v99
	s_mov_b64 s[2:3], 0
	s_and_saveexec_b64 s[18:19], s[0:1]
	s_cbranch_execz .LBB1370_357
; %bb.350:
	s_mov_b64 s[0:1], 0
	s_and_saveexec_b64 s[22:23], vcc
	s_cbranch_execz .LBB1370_356
; %bb.351:
	v_mul_lo_u32 v12, v22, v6
	v_mul_lo_u32 v16, v68, v7
	v_mad_u64_u32 v[14:15], s[0:1], v68, v6, 0
	v_add3_u32 v15, v15, v16, v12
	v_mul_lo_u32 v12, v20, v6
	v_mul_lo_u32 v18, v21, v7
	v_mad_u64_u32 v[16:17], s[0:1], v21, v6, 0
	v_add3_u32 v17, v17, v18, v12
	v_lshl_add_u64 v[14:15], v[14:15], 1, v[8:9]
	v_lshl_add_u64 v[16:17], v[16:17], 1, v[8:9]
	s_mov_b64 s[24:25], 0
	v_mov_b64_e32 v[18:19], v[6:7]
                                        ; implicit-def: $sgpr26_sgpr27
                                        ; implicit-def: $sgpr28_sgpr29
                                        ; implicit-def: $sgpr30_sgpr31
                                        ; implicit-def: $sgpr2_sgpr3
                                        ; implicit-def: $sgpr34_sgpr35
	s_branch .LBB1370_353
.LBB1370_352:                           ;   in Loop: Header=BB1370_353 Depth=1
	s_or_b64 exec, exec, s[36:37]
	s_and_b64 s[0:1], exec, s[28:29]
	s_or_b64 s[24:25], s[0:1], s[24:25]
	s_andn2_b64 s[0:1], s[34:35], exec
	s_and_b64 s[4:5], s[30:31], exec
	s_or_b64 s[34:35], s[0:1], s[4:5]
	s_andn2_b64 s[0:1], s[26:27], exec
	s_and_b64 s[4:5], s[2:3], exec
	s_or_b64 s[26:27], s[0:1], s[4:5]
	s_andn2_b64 exec, exec, s[24:25]
	s_cbranch_execz .LBB1370_355
.LBB1370_353:                           ; =>This Inner Loop Header: Depth=1
	flat_load_ushort v12, v[16:17]
	flat_load_ushort v67, v[14:15]
	s_andn2_b64 s[36:37], s[2:3], exec
	s_andn2_b64 s[30:31], s[30:31], exec
	s_or_b64 s[28:29], s[28:29], exec
	s_waitcnt vmcnt(0) lgkmcnt(0)
	v_cmp_le_u16_e64 s[2:3], v12, v67
	v_cmp_lt_u16_e64 s[0:1], v12, v67
	s_and_b64 s[2:3], s[2:3], s[34:35]
	s_or_b64 s[38:39], s[0:1], s[2:3]
	s_and_b64 s[0:1], s[38:39], exec
	v_cmp_eq_u16_e64 s[4:5], v12, v67
	s_or_b64 s[2:3], s[36:37], s[0:1]
	s_and_saveexec_b64 s[36:37], s[4:5]
	s_cbranch_execz .LBB1370_352
; %bb.354:                              ;   in Loop: Header=BB1370_353 Depth=1
	v_lshl_add_u64 v[18:19], v[18:19], 0, -1
	v_cmp_eq_u64_e64 s[0:1], 0, v[18:19]
	s_andn2_b64 s[4:5], s[30:31], exec
	s_and_b64 s[30:31], s[38:39], exec
	s_or_b64 s[30:31], s[4:5], s[30:31]
	s_andn2_b64 s[4:5], s[28:29], exec
	s_and_b64 s[0:1], s[0:1], exec
	v_lshl_add_u64 v[14:15], v[14:15], 0, 2
	v_lshl_add_u64 v[16:17], v[16:17], 0, 2
	s_andn2_b64 s[2:3], s[2:3], exec
	s_or_b64 s[28:29], s[4:5], s[0:1]
                                        ; implicit-def: $sgpr34_sgpr35
	s_branch .LBB1370_352
.LBB1370_355:
	s_or_b64 exec, exec, s[24:25]
	s_and_b64 s[0:1], s[26:27], exec
.LBB1370_356:
	s_or_b64 exec, exec, s[22:23]
	s_xor_b64 s[0:1], s[0:1], -1
	s_and_b64 s[2:3], s[0:1], exec
.LBB1370_357:
	s_or_b64 exec, exec, s[18:19]
	s_orn2_b64 s[18:19], s[2:3], exec
.LBB1370_358:
	s_or_b64 exec, exec, s[20:21]
	v_cndmask_b32_e64 v12, v23, v66, s[18:19]
	v_cndmask_b32_e64 v14, v100, v99, s[18:19]
	v_add_u32_e32 v15, 1, v12
	v_add_u32_e32 v12, -1, v14
	v_min_u32_e32 v12, v15, v12
	v_lshl_add_u64 v[12:13], v[12:13], 3, v[54:55]
	flat_load_dwordx2 v[12:13], v[12:13]
	v_cndmask_b32_e64 v18, v15, v23, s[18:19]
	v_cndmask_b32_e64 v19, v66, v15, s[18:19]
	v_cmp_lt_u32_e64 s[0:1], v18, v100
	s_waitcnt vmcnt(0) lgkmcnt(0)
	v_cndmask_b32_e64 v23, v13, v20, s[18:19]
	v_cndmask_b32_e64 v69, v12, v21, s[18:19]
	;; [unrolled: 1-line block ×4, first 2 shown]
	s_and_saveexec_b64 s[20:21], s[0:1]
	s_cbranch_execz .LBB1370_368
; %bb.359:
	v_cmp_lt_u32_e64 s[0:1], v19, v99
	s_mov_b64 s[2:3], 0
	s_and_saveexec_b64 s[16:17], s[0:1]
	s_cbranch_execz .LBB1370_367
; %bb.360:
	s_mov_b64 s[0:1], 0
	s_and_saveexec_b64 s[22:23], vcc
	s_cbranch_execz .LBB1370_366
; %bb.361:
	v_mul_lo_u32 v14, v70, v6
	v_mul_lo_u32 v15, v71, v7
	v_mad_u64_u32 v[12:13], s[0:1], v71, v6, 0
	v_add3_u32 v13, v13, v15, v14
	v_mul_lo_u32 v16, v23, v6
	v_mul_lo_u32 v17, v69, v7
	v_mad_u64_u32 v[14:15], s[0:1], v69, v6, 0
	v_add3_u32 v15, v15, v17, v16
	v_lshl_add_u64 v[12:13], v[12:13], 1, v[8:9]
	v_lshl_add_u64 v[14:15], v[14:15], 1, v[8:9]
	s_mov_b64 s[24:25], 0
	v_mov_b64_e32 v[16:17], v[6:7]
                                        ; implicit-def: $sgpr26_sgpr27
                                        ; implicit-def: $sgpr28_sgpr29
                                        ; implicit-def: $sgpr30_sgpr31
                                        ; implicit-def: $sgpr2_sgpr3
                                        ; implicit-def: $sgpr34_sgpr35
	s_branch .LBB1370_363
.LBB1370_362:                           ;   in Loop: Header=BB1370_363 Depth=1
	s_or_b64 exec, exec, s[36:37]
	s_and_b64 s[0:1], exec, s[28:29]
	s_or_b64 s[24:25], s[0:1], s[24:25]
	s_andn2_b64 s[0:1], s[34:35], exec
	s_and_b64 s[4:5], s[30:31], exec
	s_or_b64 s[34:35], s[0:1], s[4:5]
	s_andn2_b64 s[0:1], s[26:27], exec
	s_and_b64 s[4:5], s[2:3], exec
	s_or_b64 s[26:27], s[0:1], s[4:5]
	s_andn2_b64 exec, exec, s[24:25]
	s_cbranch_execz .LBB1370_365
.LBB1370_363:                           ; =>This Inner Loop Header: Depth=1
	flat_load_ushort v66, v[14:15]
	flat_load_ushort v67, v[12:13]
	s_andn2_b64 s[36:37], s[2:3], exec
	s_andn2_b64 s[30:31], s[30:31], exec
	s_or_b64 s[28:29], s[28:29], exec
	s_waitcnt vmcnt(0) lgkmcnt(0)
	v_cmp_le_u16_e64 s[2:3], v66, v67
	v_cmp_lt_u16_e64 s[0:1], v66, v67
	s_and_b64 s[2:3], s[2:3], s[34:35]
	s_or_b64 s[38:39], s[0:1], s[2:3]
	s_and_b64 s[0:1], s[38:39], exec
	v_cmp_eq_u16_e64 s[4:5], v66, v67
	s_or_b64 s[2:3], s[36:37], s[0:1]
	s_and_saveexec_b64 s[36:37], s[4:5]
	s_cbranch_execz .LBB1370_362
; %bb.364:                              ;   in Loop: Header=BB1370_363 Depth=1
	v_lshl_add_u64 v[16:17], v[16:17], 0, -1
	v_cmp_eq_u64_e64 s[0:1], 0, v[16:17]
	s_andn2_b64 s[4:5], s[30:31], exec
	s_and_b64 s[30:31], s[38:39], exec
	s_or_b64 s[30:31], s[4:5], s[30:31]
	s_andn2_b64 s[4:5], s[28:29], exec
	s_and_b64 s[0:1], s[0:1], exec
	v_lshl_add_u64 v[12:13], v[12:13], 0, 2
	v_lshl_add_u64 v[14:15], v[14:15], 0, 2
	s_andn2_b64 s[2:3], s[2:3], exec
	s_or_b64 s[28:29], s[4:5], s[0:1]
                                        ; implicit-def: $sgpr34_sgpr35
	s_branch .LBB1370_362
.LBB1370_365:
	s_or_b64 exec, exec, s[24:25]
	s_and_b64 s[0:1], s[26:27], exec
.LBB1370_366:
	s_or_b64 exec, exec, s[22:23]
	s_xor_b64 s[0:1], s[0:1], -1
	s_and_b64 s[2:3], s[0:1], exec
.LBB1370_367:
	s_or_b64 exec, exec, s[16:17]
	s_orn2_b64 s[16:17], s[2:3], exec
.LBB1370_368:
	s_or_b64 exec, exec, s[20:21]
	v_cndmask_b32_e64 v12, v18, v19, s[16:17]
	v_cndmask_b32_e64 v13, v100, v99, s[16:17]
	v_add_u32_e32 v16, 1, v12
	v_add_u32_e32 v12, -1, v13
	v_min_u32_e32 v12, v16, v12
	v_mov_b32_e32 v13, 0
	v_lshl_add_u64 v[14:15], v[12:13], 3, v[54:55]
	flat_load_dwordx2 v[14:15], v[14:15]
	v_cndmask_b32_e64 v66, v16, v18, s[16:17]
	s_mov_b64 s[20:21], -1
	v_cndmask_b32_e64 v67, v19, v16, s[16:17]
	v_cmp_lt_u32_e64 s[0:1], v66, v100
	s_mov_b64 s[22:23], -1
	s_waitcnt vmcnt(0) lgkmcnt(0)
	v_cndmask_b32_e64 v80, v15, v23, s[16:17]
	v_cndmask_b32_e64 v81, v14, v69, s[16:17]
	;; [unrolled: 1-line block ×4, first 2 shown]
	s_and_saveexec_b64 s[24:25], s[0:1]
	s_cbranch_execz .LBB1370_378
; %bb.369:
	v_cmp_lt_u32_e64 s[0:1], v67, v99
	s_mov_b64 s[2:3], 0
	s_and_saveexec_b64 s[22:23], s[0:1]
	s_cbranch_execz .LBB1370_377
; %bb.370:
	s_mov_b64 s[0:1], -1
	s_and_saveexec_b64 s[26:27], vcc
	s_cbranch_execz .LBB1370_376
; %bb.371:
	v_mul_lo_u32 v12, v82, v6
	v_mul_lo_u32 v16, v83, v7
	v_mad_u64_u32 v[14:15], s[0:1], v83, v6, 0
	v_add3_u32 v15, v15, v16, v12
	v_mul_lo_u32 v12, v80, v6
	v_mul_lo_u32 v18, v81, v7
	v_mad_u64_u32 v[16:17], s[0:1], v81, v6, 0
	v_add3_u32 v17, v17, v18, v12
	v_lshl_add_u64 v[14:15], v[14:15], 1, v[8:9]
	v_lshl_add_u64 v[16:17], v[16:17], 1, v[8:9]
	s_mov_b64 s[28:29], 0
	v_mov_b64_e32 v[18:19], v[6:7]
                                        ; implicit-def: $sgpr30_sgpr31
                                        ; implicit-def: $sgpr34_sgpr35
                                        ; implicit-def: $sgpr2_sgpr3
                                        ; implicit-def: $sgpr36_sgpr37
                                        ; implicit-def: $sgpr38_sgpr39
	s_branch .LBB1370_373
.LBB1370_372:                           ;   in Loop: Header=BB1370_373 Depth=1
	s_or_b64 exec, exec, s[40:41]
	s_and_b64 s[0:1], exec, s[34:35]
	s_or_b64 s[28:29], s[0:1], s[28:29]
	s_andn2_b64 s[0:1], s[38:39], exec
	s_and_b64 s[4:5], s[36:37], exec
	s_or_b64 s[38:39], s[0:1], s[4:5]
	s_andn2_b64 s[0:1], s[30:31], exec
	s_and_b64 s[4:5], s[2:3], exec
	s_or_b64 s[30:31], s[0:1], s[4:5]
	s_andn2_b64 exec, exec, s[28:29]
	s_cbranch_execz .LBB1370_375
.LBB1370_373:                           ; =>This Inner Loop Header: Depth=1
	flat_load_ushort v12, v[16:17]
	flat_load_ushort v84, v[14:15]
	s_andn2_b64 s[40:41], s[2:3], exec
	s_andn2_b64 s[36:37], s[36:37], exec
	s_or_b64 s[34:35], s[34:35], exec
	s_waitcnt vmcnt(0) lgkmcnt(0)
	v_cmp_le_u16_e64 s[2:3], v12, v84
	v_cmp_lt_u16_e64 s[0:1], v12, v84
	s_and_b64 s[2:3], s[2:3], s[38:39]
	s_or_b64 s[42:43], s[0:1], s[2:3]
	s_and_b64 s[0:1], s[42:43], exec
	v_cmp_eq_u16_e64 s[4:5], v12, v84
	s_or_b64 s[2:3], s[40:41], s[0:1]
	s_and_saveexec_b64 s[40:41], s[4:5]
	s_cbranch_execz .LBB1370_372
; %bb.374:                              ;   in Loop: Header=BB1370_373 Depth=1
	v_lshl_add_u64 v[18:19], v[18:19], 0, -1
	v_cmp_eq_u64_e64 s[0:1], 0, v[18:19]
	s_andn2_b64 s[4:5], s[36:37], exec
	s_and_b64 s[36:37], s[42:43], exec
	s_or_b64 s[36:37], s[4:5], s[36:37]
	s_andn2_b64 s[4:5], s[34:35], exec
	s_and_b64 s[0:1], s[0:1], exec
	v_lshl_add_u64 v[14:15], v[14:15], 0, 2
	v_lshl_add_u64 v[16:17], v[16:17], 0, 2
	s_andn2_b64 s[2:3], s[2:3], exec
	s_or_b64 s[34:35], s[4:5], s[0:1]
                                        ; implicit-def: $sgpr38_sgpr39
	s_branch .LBB1370_372
.LBB1370_375:
	s_or_b64 exec, exec, s[28:29]
	s_xor_b64 s[0:1], s[30:31], -1
	s_orn2_b64 s[0:1], s[0:1], exec
.LBB1370_376:
	s_or_b64 exec, exec, s[26:27]
	s_and_b64 s[2:3], s[0:1], exec
.LBB1370_377:
	s_or_b64 exec, exec, s[22:23]
	s_orn2_b64 s[22:23], s[2:3], exec
.LBB1370_378:
	s_or_b64 exec, exec, s[24:25]
	v_cndmask_b32_e64 v12, v66, v67, s[22:23]
	v_cndmask_b32_e64 v14, v100, v99, s[22:23]
	v_add_u32_e32 v15, 1, v12
	v_add_u32_e32 v12, -1, v14
	v_min_u32_e32 v12, v15, v12
	v_lshl_add_u64 v[12:13], v[12:13], 3, v[54:55]
	flat_load_dwordx2 v[12:13], v[12:13]
	v_cndmask_b32_e64 v18, v15, v66, s[22:23]
	v_cndmask_b32_e64 v19, v67, v15, s[22:23]
	v_cmp_lt_u32_e64 s[0:1], v18, v100
	s_waitcnt vmcnt(0) lgkmcnt(0)
	v_cndmask_b32_e64 v84, v13, v80, s[22:23]
	v_cndmask_b32_e64 v85, v12, v81, s[22:23]
	;; [unrolled: 1-line block ×4, first 2 shown]
	s_and_saveexec_b64 s[24:25], s[0:1]
	s_cbranch_execz .LBB1370_388
; %bb.379:
	v_cmp_lt_u32_e64 s[0:1], v19, v99
	s_mov_b64 s[2:3], 0
	s_and_saveexec_b64 s[20:21], s[0:1]
	s_cbranch_execz .LBB1370_387
; %bb.380:
	s_mov_b64 s[0:1], -1
	s_and_saveexec_b64 s[26:27], vcc
	s_cbranch_execz .LBB1370_386
; %bb.381:
	v_mul_lo_u32 v14, v86, v6
	v_mul_lo_u32 v15, v87, v7
	v_mad_u64_u32 v[12:13], s[0:1], v87, v6, 0
	v_add3_u32 v13, v13, v15, v14
	v_mul_lo_u32 v16, v84, v6
	v_mul_lo_u32 v17, v85, v7
	v_mad_u64_u32 v[14:15], s[0:1], v85, v6, 0
	v_add3_u32 v15, v15, v17, v16
	v_lshl_add_u64 v[12:13], v[12:13], 1, v[8:9]
	v_lshl_add_u64 v[14:15], v[14:15], 1, v[8:9]
	s_mov_b64 s[28:29], 0
	v_mov_b64_e32 v[16:17], v[6:7]
                                        ; implicit-def: $sgpr30_sgpr31
                                        ; implicit-def: $sgpr34_sgpr35
                                        ; implicit-def: $sgpr2_sgpr3
                                        ; implicit-def: $sgpr36_sgpr37
                                        ; implicit-def: $sgpr38_sgpr39
	s_branch .LBB1370_383
.LBB1370_382:                           ;   in Loop: Header=BB1370_383 Depth=1
	s_or_b64 exec, exec, s[40:41]
	s_and_b64 s[0:1], exec, s[34:35]
	s_or_b64 s[28:29], s[0:1], s[28:29]
	s_andn2_b64 s[0:1], s[38:39], exec
	s_and_b64 s[4:5], s[36:37], exec
	s_or_b64 s[38:39], s[0:1], s[4:5]
	s_andn2_b64 s[0:1], s[30:31], exec
	s_and_b64 s[4:5], s[2:3], exec
	s_or_b64 s[30:31], s[0:1], s[4:5]
	s_andn2_b64 exec, exec, s[28:29]
	s_cbranch_execz .LBB1370_385
.LBB1370_383:                           ; =>This Inner Loop Header: Depth=1
	flat_load_ushort v66, v[14:15]
	flat_load_ushort v67, v[12:13]
	s_andn2_b64 s[40:41], s[2:3], exec
	s_andn2_b64 s[36:37], s[36:37], exec
	s_or_b64 s[34:35], s[34:35], exec
	s_waitcnt vmcnt(0) lgkmcnt(0)
	v_cmp_le_u16_e64 s[2:3], v66, v67
	v_cmp_lt_u16_e64 s[0:1], v66, v67
	s_and_b64 s[2:3], s[2:3], s[38:39]
	s_or_b64 s[42:43], s[0:1], s[2:3]
	s_and_b64 s[0:1], s[42:43], exec
	v_cmp_eq_u16_e64 s[4:5], v66, v67
	s_or_b64 s[2:3], s[40:41], s[0:1]
	s_and_saveexec_b64 s[40:41], s[4:5]
	s_cbranch_execz .LBB1370_382
; %bb.384:                              ;   in Loop: Header=BB1370_383 Depth=1
	v_lshl_add_u64 v[16:17], v[16:17], 0, -1
	v_cmp_eq_u64_e64 s[0:1], 0, v[16:17]
	s_andn2_b64 s[4:5], s[36:37], exec
	s_and_b64 s[36:37], s[42:43], exec
	s_or_b64 s[36:37], s[4:5], s[36:37]
	s_andn2_b64 s[4:5], s[34:35], exec
	s_and_b64 s[0:1], s[0:1], exec
	v_lshl_add_u64 v[12:13], v[12:13], 0, 2
	v_lshl_add_u64 v[14:15], v[14:15], 0, 2
	s_andn2_b64 s[2:3], s[2:3], exec
	s_or_b64 s[34:35], s[4:5], s[0:1]
                                        ; implicit-def: $sgpr38_sgpr39
	s_branch .LBB1370_382
.LBB1370_385:
	s_or_b64 exec, exec, s[28:29]
	s_xor_b64 s[0:1], s[30:31], -1
	s_orn2_b64 s[0:1], s[0:1], exec
.LBB1370_386:
	s_or_b64 exec, exec, s[26:27]
	s_and_b64 s[2:3], s[0:1], exec
.LBB1370_387:
	s_or_b64 exec, exec, s[20:21]
	s_orn2_b64 s[20:21], s[2:3], exec
.LBB1370_388:
	s_or_b64 exec, exec, s[24:25]
	v_cndmask_b32_e64 v12, v18, v19, s[20:21]
	v_cndmask_b32_e64 v13, v100, v99, s[20:21]
	v_add_u32_e32 v16, 1, v12
	v_add_u32_e32 v12, -1, v13
	v_min_u32_e32 v12, v16, v12
	v_mov_b32_e32 v13, 0
	v_lshl_add_u64 v[14:15], v[12:13], 3, v[54:55]
	flat_load_dwordx2 v[14:15], v[14:15]
	v_cndmask_b32_e64 v66, v16, v18, s[20:21]
	s_mov_b64 s[24:25], -1
	v_cndmask_b32_e64 v67, v19, v16, s[20:21]
	v_cmp_lt_u32_e64 s[0:1], v66, v100
	s_mov_b64 s[26:27], -1
	s_waitcnt vmcnt(0) lgkmcnt(0)
	v_cndmask_b32_e64 v96, v15, v84, s[20:21]
	v_cndmask_b32_e64 v97, v14, v85, s[20:21]
	;; [unrolled: 1-line block ×4, first 2 shown]
	s_and_saveexec_b64 s[28:29], s[0:1]
	s_cbranch_execz .LBB1370_398
; %bb.389:
	v_cmp_lt_u32_e64 s[0:1], v67, v99
	s_mov_b64 s[2:3], 0
	s_and_saveexec_b64 s[26:27], s[0:1]
	s_cbranch_execz .LBB1370_397
; %bb.390:
	s_mov_b64 s[0:1], -1
	s_and_saveexec_b64 s[30:31], vcc
	s_cbranch_execz .LBB1370_396
; %bb.391:
	v_mul_lo_u32 v12, v101, v6
	v_mul_lo_u32 v16, v102, v7
	v_mad_u64_u32 v[14:15], s[0:1], v102, v6, 0
	v_add3_u32 v15, v15, v16, v12
	v_mul_lo_u32 v12, v96, v6
	v_mul_lo_u32 v18, v97, v7
	v_mad_u64_u32 v[16:17], s[0:1], v97, v6, 0
	v_add3_u32 v17, v17, v18, v12
	v_lshl_add_u64 v[14:15], v[14:15], 1, v[8:9]
	v_lshl_add_u64 v[16:17], v[16:17], 1, v[8:9]
	s_mov_b64 s[34:35], 0
	v_mov_b64_e32 v[18:19], v[6:7]
                                        ; implicit-def: $sgpr36_sgpr37
                                        ; implicit-def: $sgpr38_sgpr39
                                        ; implicit-def: $sgpr2_sgpr3
                                        ; implicit-def: $sgpr40_sgpr41
                                        ; implicit-def: $sgpr42_sgpr43
	s_branch .LBB1370_393
.LBB1370_392:                           ;   in Loop: Header=BB1370_393 Depth=1
	s_or_b64 exec, exec, s[44:45]
	s_and_b64 s[0:1], exec, s[38:39]
	s_or_b64 s[34:35], s[0:1], s[34:35]
	s_andn2_b64 s[0:1], s[42:43], exec
	s_and_b64 s[4:5], s[40:41], exec
	s_or_b64 s[42:43], s[0:1], s[4:5]
	s_andn2_b64 s[0:1], s[36:37], exec
	s_and_b64 s[4:5], s[2:3], exec
	s_or_b64 s[36:37], s[0:1], s[4:5]
	s_andn2_b64 exec, exec, s[34:35]
	s_cbranch_execz .LBB1370_395
.LBB1370_393:                           ; =>This Inner Loop Header: Depth=1
	flat_load_ushort v12, v[16:17]
	flat_load_ushort v103, v[14:15]
	s_andn2_b64 s[44:45], s[2:3], exec
	s_andn2_b64 s[40:41], s[40:41], exec
	s_or_b64 s[38:39], s[38:39], exec
	s_waitcnt vmcnt(0) lgkmcnt(0)
	v_cmp_le_u16_e64 s[2:3], v12, v103
	v_cmp_lt_u16_e64 s[0:1], v12, v103
	s_and_b64 s[2:3], s[2:3], s[42:43]
	s_or_b64 s[46:47], s[0:1], s[2:3]
	s_and_b64 s[0:1], s[46:47], exec
	v_cmp_eq_u16_e64 s[4:5], v12, v103
	s_or_b64 s[2:3], s[44:45], s[0:1]
	s_and_saveexec_b64 s[44:45], s[4:5]
	s_cbranch_execz .LBB1370_392
; %bb.394:                              ;   in Loop: Header=BB1370_393 Depth=1
	v_lshl_add_u64 v[18:19], v[18:19], 0, -1
	v_cmp_eq_u64_e64 s[0:1], 0, v[18:19]
	s_andn2_b64 s[4:5], s[40:41], exec
	s_and_b64 s[40:41], s[46:47], exec
	s_or_b64 s[40:41], s[4:5], s[40:41]
	s_andn2_b64 s[4:5], s[38:39], exec
	s_and_b64 s[0:1], s[0:1], exec
	v_lshl_add_u64 v[14:15], v[14:15], 0, 2
	v_lshl_add_u64 v[16:17], v[16:17], 0, 2
	s_andn2_b64 s[2:3], s[2:3], exec
	s_or_b64 s[38:39], s[4:5], s[0:1]
                                        ; implicit-def: $sgpr42_sgpr43
	s_branch .LBB1370_392
.LBB1370_395:
	s_or_b64 exec, exec, s[34:35]
	s_xor_b64 s[0:1], s[36:37], -1
	s_orn2_b64 s[0:1], s[0:1], exec
.LBB1370_396:
	s_or_b64 exec, exec, s[30:31]
	s_and_b64 s[2:3], s[0:1], exec
.LBB1370_397:
	s_or_b64 exec, exec, s[26:27]
	s_orn2_b64 s[26:27], s[2:3], exec
.LBB1370_398:
	s_or_b64 exec, exec, s[28:29]
	v_cndmask_b32_e64 v12, v66, v67, s[26:27]
	v_cndmask_b32_e64 v14, v100, v99, s[26:27]
	v_add_u32_e32 v15, 1, v12
	v_add_u32_e32 v12, -1, v14
	v_min_u32_e32 v12, v15, v12
	v_lshl_add_u64 v[12:13], v[12:13], 3, v[54:55]
	flat_load_dwordx2 v[12:13], v[12:13]
	v_cndmask_b32_e64 v114, v15, v66, s[26:27]
	v_cndmask_b32_e64 v103, v67, v15, s[26:27]
	v_cmp_lt_u32_e64 s[0:1], v114, v100
	s_waitcnt vmcnt(0) lgkmcnt(0)
	v_cndmask_b32_e64 v112, v13, v96, s[26:27]
	v_cndmask_b32_e64 v113, v12, v97, s[26:27]
	;; [unrolled: 1-line block ×4, first 2 shown]
	s_and_saveexec_b64 s[28:29], s[0:1]
	s_cbranch_execz .LBB1370_408
; %bb.399:
	v_cmp_lt_u32_e64 s[0:1], v103, v99
	s_mov_b64 s[2:3], 0
	s_and_saveexec_b64 s[24:25], s[0:1]
	s_cbranch_execz .LBB1370_407
; %bb.400:
	s_mov_b64 s[0:1], -1
	s_and_saveexec_b64 s[30:31], vcc
	s_cbranch_execz .LBB1370_406
; %bb.401:
	v_mul_lo_u32 v14, v115, v6
	v_mul_lo_u32 v15, v116, v7
	v_mad_u64_u32 v[12:13], s[0:1], v116, v6, 0
	v_add3_u32 v13, v13, v15, v14
	v_mul_lo_u32 v16, v112, v6
	v_mul_lo_u32 v17, v113, v7
	v_mad_u64_u32 v[14:15], s[0:1], v113, v6, 0
	v_add3_u32 v15, v15, v17, v16
	v_lshl_add_u64 v[12:13], v[12:13], 1, v[8:9]
	v_lshl_add_u64 v[14:15], v[14:15], 1, v[8:9]
	s_mov_b64 s[34:35], 0
	v_mov_b64_e32 v[16:17], v[6:7]
                                        ; implicit-def: $sgpr36_sgpr37
                                        ; implicit-def: $sgpr38_sgpr39
                                        ; implicit-def: $sgpr2_sgpr3
                                        ; implicit-def: $sgpr40_sgpr41
                                        ; implicit-def: $sgpr42_sgpr43
	s_branch .LBB1370_403
.LBB1370_402:                           ;   in Loop: Header=BB1370_403 Depth=1
	s_or_b64 exec, exec, s[44:45]
	s_and_b64 s[0:1], exec, s[38:39]
	s_or_b64 s[34:35], s[0:1], s[34:35]
	s_andn2_b64 s[0:1], s[42:43], exec
	s_and_b64 s[4:5], s[40:41], exec
	s_or_b64 s[42:43], s[0:1], s[4:5]
	s_andn2_b64 s[0:1], s[36:37], exec
	s_and_b64 s[4:5], s[2:3], exec
	s_or_b64 s[36:37], s[0:1], s[4:5]
	s_andn2_b64 exec, exec, s[34:35]
	s_cbranch_execz .LBB1370_405
.LBB1370_403:                           ; =>This Inner Loop Header: Depth=1
	flat_load_ushort v18, v[14:15]
	flat_load_ushort v19, v[12:13]
	s_andn2_b64 s[44:45], s[2:3], exec
	s_andn2_b64 s[40:41], s[40:41], exec
	s_or_b64 s[38:39], s[38:39], exec
	s_waitcnt vmcnt(0) lgkmcnt(0)
	v_cmp_le_u16_e64 s[2:3], v18, v19
	v_cmp_lt_u16_e64 s[0:1], v18, v19
	s_and_b64 s[2:3], s[2:3], s[42:43]
	s_or_b64 s[46:47], s[0:1], s[2:3]
	s_and_b64 s[0:1], s[46:47], exec
	v_cmp_eq_u16_e64 s[4:5], v18, v19
	s_or_b64 s[2:3], s[44:45], s[0:1]
	s_and_saveexec_b64 s[44:45], s[4:5]
	s_cbranch_execz .LBB1370_402
; %bb.404:                              ;   in Loop: Header=BB1370_403 Depth=1
	v_lshl_add_u64 v[16:17], v[16:17], 0, -1
	v_cmp_eq_u64_e64 s[0:1], 0, v[16:17]
	s_andn2_b64 s[4:5], s[40:41], exec
	s_and_b64 s[40:41], s[46:47], exec
	s_or_b64 s[40:41], s[4:5], s[40:41]
	s_andn2_b64 s[4:5], s[38:39], exec
	s_and_b64 s[0:1], s[0:1], exec
	v_lshl_add_u64 v[12:13], v[12:13], 0, 2
	v_lshl_add_u64 v[14:15], v[14:15], 0, 2
	s_andn2_b64 s[2:3], s[2:3], exec
	s_or_b64 s[38:39], s[4:5], s[0:1]
                                        ; implicit-def: $sgpr42_sgpr43
	s_branch .LBB1370_402
.LBB1370_405:
	s_or_b64 exec, exec, s[34:35]
	s_xor_b64 s[0:1], s[36:37], -1
	s_orn2_b64 s[0:1], s[0:1], exec
.LBB1370_406:
	s_or_b64 exec, exec, s[30:31]
	s_and_b64 s[2:3], s[0:1], exec
.LBB1370_407:
	s_or_b64 exec, exec, s[24:25]
	s_orn2_b64 s[24:25], s[2:3], exec
.LBB1370_408:
	s_or_b64 exec, exec, s[28:29]
	v_cndmask_b32_e64 v12, v114, v103, s[24:25]
	v_cndmask_b32_e64 v13, v100, v99, s[24:25]
	v_add_u32_e32 v117, 1, v12
	v_add_u32_e32 v12, -1, v13
	v_min_u32_e32 v12, v117, v12
	v_mov_b32_e32 v13, 0
	v_lshl_add_u64 v[12:13], v[12:13], 3, v[54:55]
	flat_load_dwordx2 v[66:67], v[12:13]
	v_cndmask_b32_e64 v17, v23, v70, s[16:17]
	v_cndmask_b32_e64 v23, v20, v22, s[18:19]
	;; [unrolled: 1-line block ×15, first 2 shown]
	v_cmp_lt_u32_e64 s[0:1], v68, v100
	s_waitcnt vmcnt(0) lgkmcnt(0)
	v_cndmask_b32_e64 v3, v115, v67, s[24:25]
	v_cndmask_b32_e64 v2, v116, v66, s[24:25]
	s_and_saveexec_b64 s[14:15], s[0:1]
	s_cbranch_execz .LBB1370_418
; %bb.409:
	v_cndmask_b32_e64 v68, v103, v117, s[24:25]
	v_cndmask_b32_e64 v67, v67, v112, s[24:25]
	v_cndmask_b32_e64 v66, v66, v113, s[24:25]
	v_cmp_lt_u32_e64 s[0:1], v68, v99
	s_and_saveexec_b64 s[16:17], s[0:1]
	s_cbranch_execz .LBB1370_417
; %bb.410:
	s_and_saveexec_b64 s[18:19], vcc
	s_cbranch_execz .LBB1370_416
; %bb.411:
	v_mul_lo_u32 v70, v3, v6
	v_mul_lo_u32 v71, v2, v7
	v_mad_u64_u32 v[68:69], s[0:1], v2, v6, 0
	v_add3_u32 v69, v69, v71, v70
	v_mul_lo_u32 v80, v67, v6
	v_mul_lo_u32 v81, v66, v7
	v_mad_u64_u32 v[70:71], s[0:1], v66, v6, 0
	v_add3_u32 v71, v71, v81, v80
	v_lshl_add_u64 v[68:69], v[68:69], 1, v[8:9]
	v_lshl_add_u64 v[70:71], v[70:71], 1, v[8:9]
	s_mov_b64 s[20:21], 0
	v_mov_b64_e32 v[80:81], v[6:7]
                                        ; implicit-def: $sgpr22_sgpr23
                                        ; implicit-def: $sgpr24_sgpr25
                                        ; implicit-def: $sgpr2_sgpr3
                                        ; implicit-def: $sgpr26_sgpr27
                                        ; implicit-def: $sgpr28_sgpr29
	s_branch .LBB1370_413
.LBB1370_412:                           ;   in Loop: Header=BB1370_413 Depth=1
	s_or_b64 exec, exec, s[30:31]
	s_and_b64 s[0:1], exec, s[24:25]
	s_or_b64 s[20:21], s[0:1], s[20:21]
	s_andn2_b64 s[0:1], s[28:29], exec
	s_and_b64 s[4:5], s[26:27], exec
	s_or_b64 s[28:29], s[0:1], s[4:5]
	s_andn2_b64 s[0:1], s[22:23], exec
	s_and_b64 s[4:5], s[2:3], exec
	s_or_b64 s[22:23], s[0:1], s[4:5]
	s_andn2_b64 exec, exec, s[20:21]
	s_cbranch_execz .LBB1370_415
.LBB1370_413:                           ; =>This Inner Loop Header: Depth=1
	flat_load_ushort v82, v[70:71]
	flat_load_ushort v83, v[68:69]
	s_andn2_b64 s[30:31], s[2:3], exec
	s_andn2_b64 s[26:27], s[26:27], exec
	s_or_b64 s[24:25], s[24:25], exec
	s_waitcnt vmcnt(0) lgkmcnt(0)
	v_cmp_le_u16_e64 s[2:3], v82, v83
	v_cmp_lt_u16_e64 s[0:1], v82, v83
	s_and_b64 s[2:3], s[2:3], s[28:29]
	s_or_b64 s[34:35], s[0:1], s[2:3]
	s_and_b64 s[0:1], s[34:35], exec
	v_cmp_eq_u16_e64 s[4:5], v82, v83
	s_or_b64 s[2:3], s[30:31], s[0:1]
	s_and_saveexec_b64 s[30:31], s[4:5]
	s_cbranch_execz .LBB1370_412
; %bb.414:                              ;   in Loop: Header=BB1370_413 Depth=1
	v_lshl_add_u64 v[80:81], v[80:81], 0, -1
	v_cmp_eq_u64_e64 s[0:1], 0, v[80:81]
	s_andn2_b64 s[4:5], s[26:27], exec
	s_and_b64 s[26:27], s[34:35], exec
	s_or_b64 s[26:27], s[4:5], s[26:27]
	s_andn2_b64 s[4:5], s[24:25], exec
	s_and_b64 s[0:1], s[0:1], exec
	v_lshl_add_u64 v[68:69], v[68:69], 0, 2
	v_lshl_add_u64 v[70:71], v[70:71], 0, 2
	s_andn2_b64 s[2:3], s[2:3], exec
	s_or_b64 s[24:25], s[4:5], s[0:1]
                                        ; implicit-def: $sgpr28_sgpr29
	s_branch .LBB1370_412
.LBB1370_415:
	s_or_b64 exec, exec, s[20:21]
	v_cndmask_b32_e64 v3, v3, v67, s[22:23]
	v_cndmask_b32_e64 v2, v2, v66, s[22:23]
.LBB1370_416:
	s_or_b64 exec, exec, s[18:19]
	v_mov_b64_e32 v[66:67], v[2:3]
.LBB1370_417:
	s_or_b64 exec, exec, s[16:17]
	v_mov_b64_e32 v[2:3], v[66:67]
.LBB1370_418:
	s_or_b64 exec, exec, s[14:15]
.LBB1370_419:
	s_or_b64 exec, exec, s[10:11]
	v_and_b32_e32 v101, 0x3c0, v98
	v_or_b32_e32 v66, 32, v101
	v_min_u32_e32 v99, v31, v66
	v_add_u32_e32 v66, 32, v99
	v_min_u32_e32 v100, v31, v66
	v_and_b32_e32 v66, 56, v98
	v_min_u32_e32 v102, v31, v66
	v_sub_u32_e32 v66, v99, v101
	v_sub_u32_e32 v67, v100, v99
	v_sub_u32_e64 v103, v102, v67 clamp
	v_min_u32_e32 v112, v102, v66
	v_cmp_lt_u32_e64 s[0:1], v103, v112
	; wave barrier
	flat_store_dwordx4 v[64:65], v[20:23]
	flat_store_dwordx4 v[64:65], v[16:19] offset:16
	flat_store_dwordx4 v[64:65], v[12:15] offset:32
	;; [unrolled: 1-line block ×3, first 2 shown]
	; wave barrier
	s_and_saveexec_b64 s[10:11], s[0:1]
	s_cbranch_execz .LBB1370_429
; %bb.420:
	v_lshlrev_b32_e32 v66, 3, v101
	v_mov_b32_e32 v67, 0
	v_lshl_add_u64 v[68:69], v[54:55], 0, v[66:67]
	v_lshlrev_b32_e32 v66, 3, v99
	v_lshl_add_u64 v[70:71], v[54:55], 0, v[66:67]
	v_lshlrev_b64 v[80:81], 1, v[6:7]
	s_mov_b64 s[14:15], 0
	s_branch .LBB1370_423
.LBB1370_421:                           ;   in Loop: Header=BB1370_423 Depth=1
	s_or_b64 exec, exec, s[18:19]
	s_and_b64 s[0:1], s[20:21], exec
.LBB1370_422:                           ;   in Loop: Header=BB1370_423 Depth=1
	s_or_b64 exec, exec, s[16:17]
	v_add_u32_e32 v66, 1, v82
	v_cndmask_b32_e64 v112, v112, v82, s[0:1]
	v_cndmask_b32_e64 v103, v66, v103, s[0:1]
	v_cmp_ge_u32_e64 s[0:1], v103, v112
	s_or_b64 s[14:15], s[0:1], s[14:15]
	s_andn2_b64 exec, exec, s[14:15]
	s_cbranch_execz .LBB1370_428
.LBB1370_423:                           ; =>This Loop Header: Depth=1
                                        ;     Child Loop BB1370_426 Depth 2
	v_add_u32_e32 v66, v112, v103
	v_lshrrev_b32_e32 v82, 1, v66
	s_mov_b64 s[0:1], 0
	s_and_saveexec_b64 s[16:17], vcc
	s_cbranch_execz .LBB1370_422
; %bb.424:                              ;   in Loop: Header=BB1370_423 Depth=1
	v_mov_b32_e32 v83, v67
	v_xad_u32 v66, v82, -1, v102
	v_lshl_add_u64 v[84:85], v[82:83], 3, v[68:69]
	v_lshl_add_u64 v[86:87], v[66:67], 3, v[70:71]
	flat_load_dwordx2 v[84:85], v[84:85]
	s_mov_b64 s[18:19], 0
	flat_load_dwordx2 v[86:87], v[86:87]
                                        ; implicit-def: $sgpr20_sgpr21
                                        ; implicit-def: $sgpr22_sgpr23
                                        ; implicit-def: $sgpr24_sgpr25
                                        ; implicit-def: $sgpr2_sgpr3
                                        ; implicit-def: $sgpr26_sgpr27
	s_waitcnt vmcnt(0) lgkmcnt(0)
	v_mul_lo_u32 v66, v80, v85
	v_mul_lo_u32 v83, v81, v84
	v_mad_u64_u32 v[84:85], s[0:1], v80, v84, v[8:9]
	v_mul_lo_u32 v96, v80, v87
	v_mul_lo_u32 v97, v81, v86
	v_mad_u64_u32 v[86:87], s[0:1], v80, v86, v[8:9]
	v_add3_u32 v85, v83, v85, v66
	v_add3_u32 v87, v97, v87, v96
	v_mov_b64_e32 v[96:97], v[6:7]
	s_branch .LBB1370_426
.LBB1370_425:                           ;   in Loop: Header=BB1370_426 Depth=2
	s_or_b64 exec, exec, s[28:29]
	s_and_b64 s[0:1], exec, s[22:23]
	s_or_b64 s[18:19], s[0:1], s[18:19]
	s_andn2_b64 s[0:1], s[26:27], exec
	s_and_b64 s[4:5], s[24:25], exec
	s_or_b64 s[26:27], s[0:1], s[4:5]
	s_andn2_b64 s[0:1], s[20:21], exec
	s_and_b64 s[4:5], s[2:3], exec
	s_or_b64 s[20:21], s[0:1], s[4:5]
	s_andn2_b64 exec, exec, s[18:19]
	s_cbranch_execz .LBB1370_421
.LBB1370_426:                           ;   Parent Loop BB1370_423 Depth=1
                                        ; =>  This Inner Loop Header: Depth=2
	flat_load_ushort v66, v[86:87]
	flat_load_ushort v83, v[84:85]
	s_andn2_b64 s[28:29], s[2:3], exec
	s_andn2_b64 s[24:25], s[24:25], exec
	s_or_b64 s[22:23], s[22:23], exec
	s_waitcnt vmcnt(0) lgkmcnt(0)
	v_cmp_le_u16_e64 s[2:3], v66, v83
	v_cmp_lt_u16_e64 s[0:1], v66, v83
	s_and_b64 s[2:3], s[2:3], s[26:27]
	s_or_b64 s[30:31], s[0:1], s[2:3]
	s_and_b64 s[0:1], s[30:31], exec
	v_cmp_eq_u16_e64 s[4:5], v66, v83
	s_or_b64 s[2:3], s[28:29], s[0:1]
	s_and_saveexec_b64 s[28:29], s[4:5]
	s_cbranch_execz .LBB1370_425
; %bb.427:                              ;   in Loop: Header=BB1370_426 Depth=2
	v_lshl_add_u64 v[96:97], v[96:97], 0, -1
	v_cmp_eq_u64_e64 s[0:1], 0, v[96:97]
	s_andn2_b64 s[4:5], s[24:25], exec
	s_and_b64 s[24:25], s[30:31], exec
	s_or_b64 s[24:25], s[4:5], s[24:25]
	s_andn2_b64 s[4:5], s[22:23], exec
	s_and_b64 s[0:1], s[0:1], exec
	v_lshl_add_u64 v[84:85], v[84:85], 0, 2
	v_lshl_add_u64 v[86:87], v[86:87], 0, 2
	s_andn2_b64 s[2:3], s[2:3], exec
	s_or_b64 s[22:23], s[4:5], s[0:1]
                                        ; implicit-def: $sgpr26_sgpr27
	s_branch .LBB1370_425
.LBB1370_428:
	s_or_b64 exec, exec, s[14:15]
.LBB1370_429:
	s_or_b64 exec, exec, s[10:11]
	v_add_u32_e32 v67, v99, v102
	v_add_u32_e32 v66, v103, v101
	v_sub_u32_e32 v68, v67, v103
	v_cmp_le_u32_e64 s[0:1], v66, v99
	v_cmp_le_u32_e64 s[2:3], v68, v100
	s_or_b64 s[0:1], s[0:1], s[2:3]
	s_and_saveexec_b64 s[10:11], s[0:1]
	s_cbranch_execz .LBB1370_513
; %bb.430:
	v_cmp_ge_u32_e64 s[0:1], v66, v99
	v_cmp_lt_u32_e64 s[2:3], v66, v99
                                        ; implicit-def: $vgpr0_vgpr1
	s_and_saveexec_b64 s[4:5], s[2:3]
	s_cbranch_execz .LBB1370_432
; %bb.431:
	v_mov_b32_e32 v67, 0
	v_lshl_add_u64 v[0:1], v[66:67], 3, v[54:55]
	flat_load_dwordx2 v[0:1], v[0:1]
.LBB1370_432:
	s_or_b64 exec, exec, s[4:5]
	v_cmp_ge_u32_e64 s[14:15], v68, v100
	v_cmp_lt_u32_e64 s[2:3], v68, v100
                                        ; implicit-def: $vgpr2_vgpr3
	s_and_saveexec_b64 s[4:5], s[2:3]
	s_cbranch_execz .LBB1370_434
; %bb.433:
	v_mov_b32_e32 v69, 0
	v_lshl_add_u64 v[2:3], v[68:69], 3, v[54:55]
	flat_load_dwordx2 v[2:3], v[2:3]
.LBB1370_434:
	s_or_b64 exec, exec, s[4:5]
	s_or_b64 s[0:1], s[0:1], s[14:15]
	s_xor_b64 s[0:1], s[0:1], -1
	s_and_saveexec_b64 s[16:17], s[0:1]
	s_cbranch_execz .LBB1370_442
; %bb.435:
	s_mov_b64 s[0:1], 0
	s_and_saveexec_b64 s[18:19], vcc
	s_cbranch_execz .LBB1370_441
; %bb.436:
	s_waitcnt vmcnt(0) lgkmcnt(0)
	v_mul_lo_u32 v14, v1, v6
	v_mul_lo_u32 v15, v0, v7
	v_mad_u64_u32 v[12:13], s[0:1], v0, v6, 0
	v_add3_u32 v13, v13, v15, v14
	v_mul_lo_u32 v16, v3, v6
	v_mul_lo_u32 v17, v2, v7
	v_mad_u64_u32 v[14:15], s[0:1], v2, v6, 0
	v_add3_u32 v15, v15, v17, v16
	v_lshl_add_u64 v[12:13], v[12:13], 1, v[8:9]
	v_lshl_add_u64 v[14:15], v[14:15], 1, v[8:9]
	s_mov_b64 s[20:21], 0
	v_mov_b64_e32 v[16:17], v[6:7]
                                        ; implicit-def: $sgpr22_sgpr23
                                        ; implicit-def: $sgpr24_sgpr25
                                        ; implicit-def: $sgpr26_sgpr27
                                        ; implicit-def: $sgpr2_sgpr3
                                        ; implicit-def: $sgpr28_sgpr29
	s_branch .LBB1370_438
.LBB1370_437:                           ;   in Loop: Header=BB1370_438 Depth=1
	s_or_b64 exec, exec, s[30:31]
	s_and_b64 s[0:1], exec, s[24:25]
	s_or_b64 s[20:21], s[0:1], s[20:21]
	s_andn2_b64 s[0:1], s[28:29], exec
	s_and_b64 s[4:5], s[26:27], exec
	s_or_b64 s[28:29], s[0:1], s[4:5]
	s_andn2_b64 s[0:1], s[22:23], exec
	s_and_b64 s[4:5], s[2:3], exec
	s_or_b64 s[22:23], s[0:1], s[4:5]
	s_andn2_b64 exec, exec, s[20:21]
	s_cbranch_execz .LBB1370_440
.LBB1370_438:                           ; =>This Inner Loop Header: Depth=1
	flat_load_ushort v18, v[14:15]
	flat_load_ushort v19, v[12:13]
	s_andn2_b64 s[30:31], s[2:3], exec
	s_andn2_b64 s[26:27], s[26:27], exec
	s_or_b64 s[24:25], s[24:25], exec
	s_waitcnt vmcnt(0) lgkmcnt(0)
	v_cmp_le_u16_e64 s[2:3], v18, v19
	v_cmp_lt_u16_e64 s[0:1], v18, v19
	s_and_b64 s[2:3], s[2:3], s[28:29]
	s_or_b64 s[34:35], s[0:1], s[2:3]
	s_and_b64 s[0:1], s[34:35], exec
	v_cmp_eq_u16_e64 s[4:5], v18, v19
	s_or_b64 s[2:3], s[30:31], s[0:1]
	s_and_saveexec_b64 s[30:31], s[4:5]
	s_cbranch_execz .LBB1370_437
; %bb.439:                              ;   in Loop: Header=BB1370_438 Depth=1
	v_lshl_add_u64 v[16:17], v[16:17], 0, -1
	v_cmp_eq_u64_e64 s[0:1], 0, v[16:17]
	s_andn2_b64 s[4:5], s[26:27], exec
	s_and_b64 s[26:27], s[34:35], exec
	s_or_b64 s[26:27], s[4:5], s[26:27]
	s_andn2_b64 s[4:5], s[24:25], exec
	s_and_b64 s[0:1], s[0:1], exec
	v_lshl_add_u64 v[12:13], v[12:13], 0, 2
	v_lshl_add_u64 v[14:15], v[14:15], 0, 2
	s_andn2_b64 s[2:3], s[2:3], exec
	s_or_b64 s[24:25], s[4:5], s[0:1]
                                        ; implicit-def: $sgpr28_sgpr29
	s_branch .LBB1370_437
.LBB1370_440:
	s_or_b64 exec, exec, s[20:21]
	s_and_b64 s[0:1], s[22:23], exec
.LBB1370_441:
	s_or_b64 exec, exec, s[18:19]
	s_xor_b64 s[0:1], s[0:1], -1
	s_andn2_b64 s[2:3], s[14:15], exec
	s_and_b64 s[0:1], s[0:1], exec
	s_or_b64 s[14:15], s[2:3], s[0:1]
.LBB1370_442:
	s_or_b64 exec, exec, s[16:17]
	v_cndmask_b32_e64 v12, v68, v66, s[14:15]
	v_cndmask_b32_e64 v13, v100, v99, s[14:15]
	v_add_u32_e32 v16, 1, v12
	v_add_u32_e32 v12, -1, v13
	v_min_u32_e32 v12, v16, v12
	v_mov_b32_e32 v13, 0
	v_lshl_add_u64 v[14:15], v[12:13], 3, v[54:55]
	flat_load_dwordx2 v[14:15], v[14:15]
	v_cndmask_b32_e64 v23, v16, v68, s[14:15]
	s_mov_b64 s[16:17], -1
	v_cndmask_b32_e64 v66, v66, v16, s[14:15]
	v_cmp_lt_u32_e64 s[0:1], v23, v100
	s_mov_b64 s[18:19], -1
	s_waitcnt vmcnt(0) lgkmcnt(0)
	v_cndmask_b32_e64 v20, v15, v3, s[14:15]
	v_cndmask_b32_e64 v21, v14, v2, s[14:15]
	;; [unrolled: 1-line block ×4, first 2 shown]
	s_and_saveexec_b64 s[20:21], s[0:1]
	s_cbranch_execz .LBB1370_452
; %bb.443:
	v_cmp_lt_u32_e64 s[0:1], v66, v99
	s_mov_b64 s[2:3], 0
	s_and_saveexec_b64 s[18:19], s[0:1]
	s_cbranch_execz .LBB1370_451
; %bb.444:
	s_mov_b64 s[0:1], 0
	s_and_saveexec_b64 s[22:23], vcc
	s_cbranch_execz .LBB1370_450
; %bb.445:
	v_mul_lo_u32 v12, v22, v6
	v_mul_lo_u32 v16, v68, v7
	v_mad_u64_u32 v[14:15], s[0:1], v68, v6, 0
	v_add3_u32 v15, v15, v16, v12
	v_mul_lo_u32 v12, v20, v6
	v_mul_lo_u32 v18, v21, v7
	v_mad_u64_u32 v[16:17], s[0:1], v21, v6, 0
	v_add3_u32 v17, v17, v18, v12
	v_lshl_add_u64 v[14:15], v[14:15], 1, v[8:9]
	v_lshl_add_u64 v[16:17], v[16:17], 1, v[8:9]
	s_mov_b64 s[24:25], 0
	v_mov_b64_e32 v[18:19], v[6:7]
                                        ; implicit-def: $sgpr26_sgpr27
                                        ; implicit-def: $sgpr28_sgpr29
                                        ; implicit-def: $sgpr30_sgpr31
                                        ; implicit-def: $sgpr2_sgpr3
                                        ; implicit-def: $sgpr34_sgpr35
	s_branch .LBB1370_447
.LBB1370_446:                           ;   in Loop: Header=BB1370_447 Depth=1
	s_or_b64 exec, exec, s[36:37]
	s_and_b64 s[0:1], exec, s[28:29]
	s_or_b64 s[24:25], s[0:1], s[24:25]
	s_andn2_b64 s[0:1], s[34:35], exec
	s_and_b64 s[4:5], s[30:31], exec
	s_or_b64 s[34:35], s[0:1], s[4:5]
	s_andn2_b64 s[0:1], s[26:27], exec
	s_and_b64 s[4:5], s[2:3], exec
	s_or_b64 s[26:27], s[0:1], s[4:5]
	s_andn2_b64 exec, exec, s[24:25]
	s_cbranch_execz .LBB1370_449
.LBB1370_447:                           ; =>This Inner Loop Header: Depth=1
	flat_load_ushort v12, v[16:17]
	flat_load_ushort v67, v[14:15]
	s_andn2_b64 s[36:37], s[2:3], exec
	s_andn2_b64 s[30:31], s[30:31], exec
	s_or_b64 s[28:29], s[28:29], exec
	s_waitcnt vmcnt(0) lgkmcnt(0)
	v_cmp_le_u16_e64 s[2:3], v12, v67
	v_cmp_lt_u16_e64 s[0:1], v12, v67
	s_and_b64 s[2:3], s[2:3], s[34:35]
	s_or_b64 s[38:39], s[0:1], s[2:3]
	s_and_b64 s[0:1], s[38:39], exec
	v_cmp_eq_u16_e64 s[4:5], v12, v67
	s_or_b64 s[2:3], s[36:37], s[0:1]
	s_and_saveexec_b64 s[36:37], s[4:5]
	s_cbranch_execz .LBB1370_446
; %bb.448:                              ;   in Loop: Header=BB1370_447 Depth=1
	v_lshl_add_u64 v[18:19], v[18:19], 0, -1
	v_cmp_eq_u64_e64 s[0:1], 0, v[18:19]
	s_andn2_b64 s[4:5], s[30:31], exec
	s_and_b64 s[30:31], s[38:39], exec
	s_or_b64 s[30:31], s[4:5], s[30:31]
	s_andn2_b64 s[4:5], s[28:29], exec
	s_and_b64 s[0:1], s[0:1], exec
	v_lshl_add_u64 v[14:15], v[14:15], 0, 2
	v_lshl_add_u64 v[16:17], v[16:17], 0, 2
	s_andn2_b64 s[2:3], s[2:3], exec
	s_or_b64 s[28:29], s[4:5], s[0:1]
                                        ; implicit-def: $sgpr34_sgpr35
	s_branch .LBB1370_446
.LBB1370_449:
	s_or_b64 exec, exec, s[24:25]
	s_and_b64 s[0:1], s[26:27], exec
.LBB1370_450:
	s_or_b64 exec, exec, s[22:23]
	s_xor_b64 s[0:1], s[0:1], -1
	s_and_b64 s[2:3], s[0:1], exec
.LBB1370_451:
	s_or_b64 exec, exec, s[18:19]
	s_orn2_b64 s[18:19], s[2:3], exec
.LBB1370_452:
	s_or_b64 exec, exec, s[20:21]
	v_cndmask_b32_e64 v12, v23, v66, s[18:19]
	v_cndmask_b32_e64 v14, v100, v99, s[18:19]
	v_add_u32_e32 v15, 1, v12
	v_add_u32_e32 v12, -1, v14
	v_min_u32_e32 v12, v15, v12
	v_lshl_add_u64 v[12:13], v[12:13], 3, v[54:55]
	flat_load_dwordx2 v[12:13], v[12:13]
	v_cndmask_b32_e64 v18, v15, v23, s[18:19]
	v_cndmask_b32_e64 v19, v66, v15, s[18:19]
	v_cmp_lt_u32_e64 s[0:1], v18, v100
	s_waitcnt vmcnt(0) lgkmcnt(0)
	v_cndmask_b32_e64 v23, v13, v20, s[18:19]
	v_cndmask_b32_e64 v69, v12, v21, s[18:19]
	;; [unrolled: 1-line block ×4, first 2 shown]
	s_and_saveexec_b64 s[20:21], s[0:1]
	s_cbranch_execz .LBB1370_462
; %bb.453:
	v_cmp_lt_u32_e64 s[0:1], v19, v99
	s_mov_b64 s[2:3], 0
	s_and_saveexec_b64 s[16:17], s[0:1]
	s_cbranch_execz .LBB1370_461
; %bb.454:
	s_mov_b64 s[0:1], 0
	s_and_saveexec_b64 s[22:23], vcc
	s_cbranch_execz .LBB1370_460
; %bb.455:
	v_mul_lo_u32 v14, v70, v6
	v_mul_lo_u32 v15, v71, v7
	v_mad_u64_u32 v[12:13], s[0:1], v71, v6, 0
	v_add3_u32 v13, v13, v15, v14
	v_mul_lo_u32 v16, v23, v6
	v_mul_lo_u32 v17, v69, v7
	v_mad_u64_u32 v[14:15], s[0:1], v69, v6, 0
	v_add3_u32 v15, v15, v17, v16
	v_lshl_add_u64 v[12:13], v[12:13], 1, v[8:9]
	v_lshl_add_u64 v[14:15], v[14:15], 1, v[8:9]
	s_mov_b64 s[24:25], 0
	v_mov_b64_e32 v[16:17], v[6:7]
                                        ; implicit-def: $sgpr26_sgpr27
                                        ; implicit-def: $sgpr28_sgpr29
                                        ; implicit-def: $sgpr30_sgpr31
                                        ; implicit-def: $sgpr2_sgpr3
                                        ; implicit-def: $sgpr34_sgpr35
	s_branch .LBB1370_457
.LBB1370_456:                           ;   in Loop: Header=BB1370_457 Depth=1
	s_or_b64 exec, exec, s[36:37]
	s_and_b64 s[0:1], exec, s[28:29]
	s_or_b64 s[24:25], s[0:1], s[24:25]
	s_andn2_b64 s[0:1], s[34:35], exec
	s_and_b64 s[4:5], s[30:31], exec
	s_or_b64 s[34:35], s[0:1], s[4:5]
	s_andn2_b64 s[0:1], s[26:27], exec
	s_and_b64 s[4:5], s[2:3], exec
	s_or_b64 s[26:27], s[0:1], s[4:5]
	s_andn2_b64 exec, exec, s[24:25]
	s_cbranch_execz .LBB1370_459
.LBB1370_457:                           ; =>This Inner Loop Header: Depth=1
	flat_load_ushort v66, v[14:15]
	flat_load_ushort v67, v[12:13]
	s_andn2_b64 s[36:37], s[2:3], exec
	s_andn2_b64 s[30:31], s[30:31], exec
	s_or_b64 s[28:29], s[28:29], exec
	s_waitcnt vmcnt(0) lgkmcnt(0)
	v_cmp_le_u16_e64 s[2:3], v66, v67
	v_cmp_lt_u16_e64 s[0:1], v66, v67
	s_and_b64 s[2:3], s[2:3], s[34:35]
	s_or_b64 s[38:39], s[0:1], s[2:3]
	s_and_b64 s[0:1], s[38:39], exec
	v_cmp_eq_u16_e64 s[4:5], v66, v67
	s_or_b64 s[2:3], s[36:37], s[0:1]
	s_and_saveexec_b64 s[36:37], s[4:5]
	s_cbranch_execz .LBB1370_456
; %bb.458:                              ;   in Loop: Header=BB1370_457 Depth=1
	v_lshl_add_u64 v[16:17], v[16:17], 0, -1
	v_cmp_eq_u64_e64 s[0:1], 0, v[16:17]
	s_andn2_b64 s[4:5], s[30:31], exec
	s_and_b64 s[30:31], s[38:39], exec
	s_or_b64 s[30:31], s[4:5], s[30:31]
	s_andn2_b64 s[4:5], s[28:29], exec
	s_and_b64 s[0:1], s[0:1], exec
	v_lshl_add_u64 v[12:13], v[12:13], 0, 2
	v_lshl_add_u64 v[14:15], v[14:15], 0, 2
	s_andn2_b64 s[2:3], s[2:3], exec
	s_or_b64 s[28:29], s[4:5], s[0:1]
                                        ; implicit-def: $sgpr34_sgpr35
	s_branch .LBB1370_456
.LBB1370_459:
	s_or_b64 exec, exec, s[24:25]
	s_and_b64 s[0:1], s[26:27], exec
.LBB1370_460:
	s_or_b64 exec, exec, s[22:23]
	s_xor_b64 s[0:1], s[0:1], -1
	s_and_b64 s[2:3], s[0:1], exec
.LBB1370_461:
	s_or_b64 exec, exec, s[16:17]
	s_orn2_b64 s[16:17], s[2:3], exec
.LBB1370_462:
	s_or_b64 exec, exec, s[20:21]
	v_cndmask_b32_e64 v12, v18, v19, s[16:17]
	v_cndmask_b32_e64 v13, v100, v99, s[16:17]
	v_add_u32_e32 v16, 1, v12
	v_add_u32_e32 v12, -1, v13
	v_min_u32_e32 v12, v16, v12
	v_mov_b32_e32 v13, 0
	v_lshl_add_u64 v[14:15], v[12:13], 3, v[54:55]
	flat_load_dwordx2 v[14:15], v[14:15]
	v_cndmask_b32_e64 v66, v16, v18, s[16:17]
	s_mov_b64 s[20:21], -1
	v_cndmask_b32_e64 v67, v19, v16, s[16:17]
	v_cmp_lt_u32_e64 s[0:1], v66, v100
	s_mov_b64 s[22:23], -1
	s_waitcnt vmcnt(0) lgkmcnt(0)
	v_cndmask_b32_e64 v80, v15, v23, s[16:17]
	v_cndmask_b32_e64 v81, v14, v69, s[16:17]
	;; [unrolled: 1-line block ×4, first 2 shown]
	s_and_saveexec_b64 s[24:25], s[0:1]
	s_cbranch_execz .LBB1370_472
; %bb.463:
	v_cmp_lt_u32_e64 s[0:1], v67, v99
	s_mov_b64 s[2:3], 0
	s_and_saveexec_b64 s[22:23], s[0:1]
	s_cbranch_execz .LBB1370_471
; %bb.464:
	s_mov_b64 s[0:1], -1
	s_and_saveexec_b64 s[26:27], vcc
	s_cbranch_execz .LBB1370_470
; %bb.465:
	v_mul_lo_u32 v12, v82, v6
	v_mul_lo_u32 v16, v83, v7
	v_mad_u64_u32 v[14:15], s[0:1], v83, v6, 0
	v_add3_u32 v15, v15, v16, v12
	v_mul_lo_u32 v12, v80, v6
	v_mul_lo_u32 v18, v81, v7
	v_mad_u64_u32 v[16:17], s[0:1], v81, v6, 0
	v_add3_u32 v17, v17, v18, v12
	v_lshl_add_u64 v[14:15], v[14:15], 1, v[8:9]
	v_lshl_add_u64 v[16:17], v[16:17], 1, v[8:9]
	s_mov_b64 s[28:29], 0
	v_mov_b64_e32 v[18:19], v[6:7]
                                        ; implicit-def: $sgpr30_sgpr31
                                        ; implicit-def: $sgpr34_sgpr35
                                        ; implicit-def: $sgpr2_sgpr3
                                        ; implicit-def: $sgpr36_sgpr37
                                        ; implicit-def: $sgpr38_sgpr39
	s_branch .LBB1370_467
.LBB1370_466:                           ;   in Loop: Header=BB1370_467 Depth=1
	s_or_b64 exec, exec, s[40:41]
	s_and_b64 s[0:1], exec, s[34:35]
	s_or_b64 s[28:29], s[0:1], s[28:29]
	s_andn2_b64 s[0:1], s[38:39], exec
	s_and_b64 s[4:5], s[36:37], exec
	s_or_b64 s[38:39], s[0:1], s[4:5]
	s_andn2_b64 s[0:1], s[30:31], exec
	s_and_b64 s[4:5], s[2:3], exec
	s_or_b64 s[30:31], s[0:1], s[4:5]
	s_andn2_b64 exec, exec, s[28:29]
	s_cbranch_execz .LBB1370_469
.LBB1370_467:                           ; =>This Inner Loop Header: Depth=1
	flat_load_ushort v12, v[16:17]
	flat_load_ushort v84, v[14:15]
	s_andn2_b64 s[40:41], s[2:3], exec
	s_andn2_b64 s[36:37], s[36:37], exec
	s_or_b64 s[34:35], s[34:35], exec
	s_waitcnt vmcnt(0) lgkmcnt(0)
	v_cmp_le_u16_e64 s[2:3], v12, v84
	v_cmp_lt_u16_e64 s[0:1], v12, v84
	s_and_b64 s[2:3], s[2:3], s[38:39]
	s_or_b64 s[42:43], s[0:1], s[2:3]
	s_and_b64 s[0:1], s[42:43], exec
	v_cmp_eq_u16_e64 s[4:5], v12, v84
	s_or_b64 s[2:3], s[40:41], s[0:1]
	s_and_saveexec_b64 s[40:41], s[4:5]
	s_cbranch_execz .LBB1370_466
; %bb.468:                              ;   in Loop: Header=BB1370_467 Depth=1
	v_lshl_add_u64 v[18:19], v[18:19], 0, -1
	v_cmp_eq_u64_e64 s[0:1], 0, v[18:19]
	s_andn2_b64 s[4:5], s[36:37], exec
	s_and_b64 s[36:37], s[42:43], exec
	s_or_b64 s[36:37], s[4:5], s[36:37]
	s_andn2_b64 s[4:5], s[34:35], exec
	s_and_b64 s[0:1], s[0:1], exec
	v_lshl_add_u64 v[14:15], v[14:15], 0, 2
	v_lshl_add_u64 v[16:17], v[16:17], 0, 2
	s_andn2_b64 s[2:3], s[2:3], exec
	s_or_b64 s[34:35], s[4:5], s[0:1]
                                        ; implicit-def: $sgpr38_sgpr39
	s_branch .LBB1370_466
.LBB1370_469:
	s_or_b64 exec, exec, s[28:29]
	s_xor_b64 s[0:1], s[30:31], -1
	s_orn2_b64 s[0:1], s[0:1], exec
.LBB1370_470:
	s_or_b64 exec, exec, s[26:27]
	s_and_b64 s[2:3], s[0:1], exec
.LBB1370_471:
	s_or_b64 exec, exec, s[22:23]
	s_orn2_b64 s[22:23], s[2:3], exec
.LBB1370_472:
	s_or_b64 exec, exec, s[24:25]
	v_cndmask_b32_e64 v12, v66, v67, s[22:23]
	v_cndmask_b32_e64 v14, v100, v99, s[22:23]
	v_add_u32_e32 v15, 1, v12
	v_add_u32_e32 v12, -1, v14
	v_min_u32_e32 v12, v15, v12
	v_lshl_add_u64 v[12:13], v[12:13], 3, v[54:55]
	flat_load_dwordx2 v[12:13], v[12:13]
	v_cndmask_b32_e64 v18, v15, v66, s[22:23]
	v_cndmask_b32_e64 v19, v67, v15, s[22:23]
	v_cmp_lt_u32_e64 s[0:1], v18, v100
	s_waitcnt vmcnt(0) lgkmcnt(0)
	v_cndmask_b32_e64 v84, v13, v80, s[22:23]
	v_cndmask_b32_e64 v85, v12, v81, s[22:23]
	v_cndmask_b32_e64 v86, v82, v13, s[22:23]
	v_cndmask_b32_e64 v87, v83, v12, s[22:23]
	s_and_saveexec_b64 s[24:25], s[0:1]
	s_cbranch_execz .LBB1370_482
; %bb.473:
	v_cmp_lt_u32_e64 s[0:1], v19, v99
	s_mov_b64 s[2:3], 0
	s_and_saveexec_b64 s[20:21], s[0:1]
	s_cbranch_execz .LBB1370_481
; %bb.474:
	s_mov_b64 s[0:1], -1
	s_and_saveexec_b64 s[26:27], vcc
	s_cbranch_execz .LBB1370_480
; %bb.475:
	v_mul_lo_u32 v14, v86, v6
	v_mul_lo_u32 v15, v87, v7
	v_mad_u64_u32 v[12:13], s[0:1], v87, v6, 0
	v_add3_u32 v13, v13, v15, v14
	v_mul_lo_u32 v16, v84, v6
	v_mul_lo_u32 v17, v85, v7
	v_mad_u64_u32 v[14:15], s[0:1], v85, v6, 0
	v_add3_u32 v15, v15, v17, v16
	v_lshl_add_u64 v[12:13], v[12:13], 1, v[8:9]
	v_lshl_add_u64 v[14:15], v[14:15], 1, v[8:9]
	s_mov_b64 s[28:29], 0
	v_mov_b64_e32 v[16:17], v[6:7]
                                        ; implicit-def: $sgpr30_sgpr31
                                        ; implicit-def: $sgpr34_sgpr35
                                        ; implicit-def: $sgpr2_sgpr3
                                        ; implicit-def: $sgpr36_sgpr37
                                        ; implicit-def: $sgpr38_sgpr39
	s_branch .LBB1370_477
.LBB1370_476:                           ;   in Loop: Header=BB1370_477 Depth=1
	s_or_b64 exec, exec, s[40:41]
	s_and_b64 s[0:1], exec, s[34:35]
	s_or_b64 s[28:29], s[0:1], s[28:29]
	s_andn2_b64 s[0:1], s[38:39], exec
	s_and_b64 s[4:5], s[36:37], exec
	s_or_b64 s[38:39], s[0:1], s[4:5]
	s_andn2_b64 s[0:1], s[30:31], exec
	s_and_b64 s[4:5], s[2:3], exec
	s_or_b64 s[30:31], s[0:1], s[4:5]
	s_andn2_b64 exec, exec, s[28:29]
	s_cbranch_execz .LBB1370_479
.LBB1370_477:                           ; =>This Inner Loop Header: Depth=1
	flat_load_ushort v66, v[14:15]
	flat_load_ushort v67, v[12:13]
	s_andn2_b64 s[40:41], s[2:3], exec
	s_andn2_b64 s[36:37], s[36:37], exec
	s_or_b64 s[34:35], s[34:35], exec
	s_waitcnt vmcnt(0) lgkmcnt(0)
	v_cmp_le_u16_e64 s[2:3], v66, v67
	v_cmp_lt_u16_e64 s[0:1], v66, v67
	s_and_b64 s[2:3], s[2:3], s[38:39]
	s_or_b64 s[42:43], s[0:1], s[2:3]
	s_and_b64 s[0:1], s[42:43], exec
	v_cmp_eq_u16_e64 s[4:5], v66, v67
	s_or_b64 s[2:3], s[40:41], s[0:1]
	s_and_saveexec_b64 s[40:41], s[4:5]
	s_cbranch_execz .LBB1370_476
; %bb.478:                              ;   in Loop: Header=BB1370_477 Depth=1
	v_lshl_add_u64 v[16:17], v[16:17], 0, -1
	v_cmp_eq_u64_e64 s[0:1], 0, v[16:17]
	s_andn2_b64 s[4:5], s[36:37], exec
	s_and_b64 s[36:37], s[42:43], exec
	s_or_b64 s[36:37], s[4:5], s[36:37]
	s_andn2_b64 s[4:5], s[34:35], exec
	s_and_b64 s[0:1], s[0:1], exec
	v_lshl_add_u64 v[12:13], v[12:13], 0, 2
	v_lshl_add_u64 v[14:15], v[14:15], 0, 2
	s_andn2_b64 s[2:3], s[2:3], exec
	s_or_b64 s[34:35], s[4:5], s[0:1]
                                        ; implicit-def: $sgpr38_sgpr39
	s_branch .LBB1370_476
.LBB1370_479:
	s_or_b64 exec, exec, s[28:29]
	s_xor_b64 s[0:1], s[30:31], -1
	s_orn2_b64 s[0:1], s[0:1], exec
.LBB1370_480:
	s_or_b64 exec, exec, s[26:27]
	s_and_b64 s[2:3], s[0:1], exec
.LBB1370_481:
	s_or_b64 exec, exec, s[20:21]
	s_orn2_b64 s[20:21], s[2:3], exec
.LBB1370_482:
	s_or_b64 exec, exec, s[24:25]
	v_cndmask_b32_e64 v12, v18, v19, s[20:21]
	v_cndmask_b32_e64 v13, v100, v99, s[20:21]
	v_add_u32_e32 v16, 1, v12
	v_add_u32_e32 v12, -1, v13
	v_min_u32_e32 v12, v16, v12
	v_mov_b32_e32 v13, 0
	v_lshl_add_u64 v[14:15], v[12:13], 3, v[54:55]
	flat_load_dwordx2 v[14:15], v[14:15]
	v_cndmask_b32_e64 v66, v16, v18, s[20:21]
	s_mov_b64 s[24:25], -1
	v_cndmask_b32_e64 v67, v19, v16, s[20:21]
	v_cmp_lt_u32_e64 s[0:1], v66, v100
	s_mov_b64 s[26:27], -1
	s_waitcnt vmcnt(0) lgkmcnt(0)
	v_cndmask_b32_e64 v96, v15, v84, s[20:21]
	v_cndmask_b32_e64 v97, v14, v85, s[20:21]
	;; [unrolled: 1-line block ×4, first 2 shown]
	s_and_saveexec_b64 s[28:29], s[0:1]
	s_cbranch_execz .LBB1370_492
; %bb.483:
	v_cmp_lt_u32_e64 s[0:1], v67, v99
	s_mov_b64 s[2:3], 0
	s_and_saveexec_b64 s[26:27], s[0:1]
	s_cbranch_execz .LBB1370_491
; %bb.484:
	s_mov_b64 s[0:1], -1
	s_and_saveexec_b64 s[30:31], vcc
	s_cbranch_execz .LBB1370_490
; %bb.485:
	v_mul_lo_u32 v12, v101, v6
	v_mul_lo_u32 v16, v102, v7
	v_mad_u64_u32 v[14:15], s[0:1], v102, v6, 0
	v_add3_u32 v15, v15, v16, v12
	v_mul_lo_u32 v12, v96, v6
	v_mul_lo_u32 v18, v97, v7
	v_mad_u64_u32 v[16:17], s[0:1], v97, v6, 0
	v_add3_u32 v17, v17, v18, v12
	v_lshl_add_u64 v[14:15], v[14:15], 1, v[8:9]
	v_lshl_add_u64 v[16:17], v[16:17], 1, v[8:9]
	s_mov_b64 s[34:35], 0
	v_mov_b64_e32 v[18:19], v[6:7]
                                        ; implicit-def: $sgpr36_sgpr37
                                        ; implicit-def: $sgpr38_sgpr39
                                        ; implicit-def: $sgpr2_sgpr3
                                        ; implicit-def: $sgpr40_sgpr41
                                        ; implicit-def: $sgpr42_sgpr43
	s_branch .LBB1370_487
.LBB1370_486:                           ;   in Loop: Header=BB1370_487 Depth=1
	s_or_b64 exec, exec, s[44:45]
	s_and_b64 s[0:1], exec, s[38:39]
	s_or_b64 s[34:35], s[0:1], s[34:35]
	s_andn2_b64 s[0:1], s[42:43], exec
	s_and_b64 s[4:5], s[40:41], exec
	s_or_b64 s[42:43], s[0:1], s[4:5]
	s_andn2_b64 s[0:1], s[36:37], exec
	s_and_b64 s[4:5], s[2:3], exec
	s_or_b64 s[36:37], s[0:1], s[4:5]
	s_andn2_b64 exec, exec, s[34:35]
	s_cbranch_execz .LBB1370_489
.LBB1370_487:                           ; =>This Inner Loop Header: Depth=1
	flat_load_ushort v12, v[16:17]
	flat_load_ushort v103, v[14:15]
	s_andn2_b64 s[44:45], s[2:3], exec
	s_andn2_b64 s[40:41], s[40:41], exec
	s_or_b64 s[38:39], s[38:39], exec
	s_waitcnt vmcnt(0) lgkmcnt(0)
	v_cmp_le_u16_e64 s[2:3], v12, v103
	v_cmp_lt_u16_e64 s[0:1], v12, v103
	s_and_b64 s[2:3], s[2:3], s[42:43]
	s_or_b64 s[46:47], s[0:1], s[2:3]
	s_and_b64 s[0:1], s[46:47], exec
	v_cmp_eq_u16_e64 s[4:5], v12, v103
	s_or_b64 s[2:3], s[44:45], s[0:1]
	s_and_saveexec_b64 s[44:45], s[4:5]
	s_cbranch_execz .LBB1370_486
; %bb.488:                              ;   in Loop: Header=BB1370_487 Depth=1
	v_lshl_add_u64 v[18:19], v[18:19], 0, -1
	v_cmp_eq_u64_e64 s[0:1], 0, v[18:19]
	s_andn2_b64 s[4:5], s[40:41], exec
	s_and_b64 s[40:41], s[46:47], exec
	s_or_b64 s[40:41], s[4:5], s[40:41]
	s_andn2_b64 s[4:5], s[38:39], exec
	s_and_b64 s[0:1], s[0:1], exec
	v_lshl_add_u64 v[14:15], v[14:15], 0, 2
	v_lshl_add_u64 v[16:17], v[16:17], 0, 2
	s_andn2_b64 s[2:3], s[2:3], exec
	s_or_b64 s[38:39], s[4:5], s[0:1]
                                        ; implicit-def: $sgpr42_sgpr43
	s_branch .LBB1370_486
.LBB1370_489:
	s_or_b64 exec, exec, s[34:35]
	s_xor_b64 s[0:1], s[36:37], -1
	s_orn2_b64 s[0:1], s[0:1], exec
.LBB1370_490:
	s_or_b64 exec, exec, s[30:31]
	s_and_b64 s[2:3], s[0:1], exec
.LBB1370_491:
	s_or_b64 exec, exec, s[26:27]
	s_orn2_b64 s[26:27], s[2:3], exec
.LBB1370_492:
	s_or_b64 exec, exec, s[28:29]
	v_cndmask_b32_e64 v12, v66, v67, s[26:27]
	v_cndmask_b32_e64 v14, v100, v99, s[26:27]
	v_add_u32_e32 v15, 1, v12
	v_add_u32_e32 v12, -1, v14
	v_min_u32_e32 v12, v15, v12
	v_lshl_add_u64 v[12:13], v[12:13], 3, v[54:55]
	flat_load_dwordx2 v[12:13], v[12:13]
	v_cndmask_b32_e64 v114, v15, v66, s[26:27]
	v_cndmask_b32_e64 v103, v67, v15, s[26:27]
	v_cmp_lt_u32_e64 s[0:1], v114, v100
	s_waitcnt vmcnt(0) lgkmcnt(0)
	v_cndmask_b32_e64 v112, v13, v96, s[26:27]
	v_cndmask_b32_e64 v113, v12, v97, s[26:27]
	;; [unrolled: 1-line block ×4, first 2 shown]
	s_and_saveexec_b64 s[28:29], s[0:1]
	s_cbranch_execz .LBB1370_502
; %bb.493:
	v_cmp_lt_u32_e64 s[0:1], v103, v99
	s_mov_b64 s[2:3], 0
	s_and_saveexec_b64 s[24:25], s[0:1]
	s_cbranch_execz .LBB1370_501
; %bb.494:
	s_mov_b64 s[0:1], -1
	s_and_saveexec_b64 s[30:31], vcc
	s_cbranch_execz .LBB1370_500
; %bb.495:
	v_mul_lo_u32 v14, v115, v6
	v_mul_lo_u32 v15, v116, v7
	v_mad_u64_u32 v[12:13], s[0:1], v116, v6, 0
	v_add3_u32 v13, v13, v15, v14
	v_mul_lo_u32 v16, v112, v6
	v_mul_lo_u32 v17, v113, v7
	v_mad_u64_u32 v[14:15], s[0:1], v113, v6, 0
	v_add3_u32 v15, v15, v17, v16
	v_lshl_add_u64 v[12:13], v[12:13], 1, v[8:9]
	v_lshl_add_u64 v[14:15], v[14:15], 1, v[8:9]
	s_mov_b64 s[34:35], 0
	v_mov_b64_e32 v[16:17], v[6:7]
                                        ; implicit-def: $sgpr36_sgpr37
                                        ; implicit-def: $sgpr38_sgpr39
                                        ; implicit-def: $sgpr2_sgpr3
                                        ; implicit-def: $sgpr40_sgpr41
                                        ; implicit-def: $sgpr42_sgpr43
	s_branch .LBB1370_497
.LBB1370_496:                           ;   in Loop: Header=BB1370_497 Depth=1
	s_or_b64 exec, exec, s[44:45]
	s_and_b64 s[0:1], exec, s[38:39]
	s_or_b64 s[34:35], s[0:1], s[34:35]
	s_andn2_b64 s[0:1], s[42:43], exec
	s_and_b64 s[4:5], s[40:41], exec
	s_or_b64 s[42:43], s[0:1], s[4:5]
	s_andn2_b64 s[0:1], s[36:37], exec
	s_and_b64 s[4:5], s[2:3], exec
	s_or_b64 s[36:37], s[0:1], s[4:5]
	s_andn2_b64 exec, exec, s[34:35]
	s_cbranch_execz .LBB1370_499
.LBB1370_497:                           ; =>This Inner Loop Header: Depth=1
	flat_load_ushort v18, v[14:15]
	flat_load_ushort v19, v[12:13]
	s_andn2_b64 s[44:45], s[2:3], exec
	s_andn2_b64 s[40:41], s[40:41], exec
	s_or_b64 s[38:39], s[38:39], exec
	s_waitcnt vmcnt(0) lgkmcnt(0)
	v_cmp_le_u16_e64 s[2:3], v18, v19
	v_cmp_lt_u16_e64 s[0:1], v18, v19
	s_and_b64 s[2:3], s[2:3], s[42:43]
	s_or_b64 s[46:47], s[0:1], s[2:3]
	s_and_b64 s[0:1], s[46:47], exec
	v_cmp_eq_u16_e64 s[4:5], v18, v19
	s_or_b64 s[2:3], s[44:45], s[0:1]
	s_and_saveexec_b64 s[44:45], s[4:5]
	s_cbranch_execz .LBB1370_496
; %bb.498:                              ;   in Loop: Header=BB1370_497 Depth=1
	v_lshl_add_u64 v[16:17], v[16:17], 0, -1
	v_cmp_eq_u64_e64 s[0:1], 0, v[16:17]
	s_andn2_b64 s[4:5], s[40:41], exec
	s_and_b64 s[40:41], s[46:47], exec
	s_or_b64 s[40:41], s[4:5], s[40:41]
	s_andn2_b64 s[4:5], s[38:39], exec
	s_and_b64 s[0:1], s[0:1], exec
	v_lshl_add_u64 v[12:13], v[12:13], 0, 2
	v_lshl_add_u64 v[14:15], v[14:15], 0, 2
	s_andn2_b64 s[2:3], s[2:3], exec
	s_or_b64 s[38:39], s[4:5], s[0:1]
                                        ; implicit-def: $sgpr42_sgpr43
	s_branch .LBB1370_496
.LBB1370_499:
	s_or_b64 exec, exec, s[34:35]
	s_xor_b64 s[0:1], s[36:37], -1
	s_orn2_b64 s[0:1], s[0:1], exec
.LBB1370_500:
	s_or_b64 exec, exec, s[30:31]
	s_and_b64 s[2:3], s[0:1], exec
.LBB1370_501:
	s_or_b64 exec, exec, s[24:25]
	s_orn2_b64 s[24:25], s[2:3], exec
.LBB1370_502:
	s_or_b64 exec, exec, s[28:29]
	v_cndmask_b32_e64 v12, v114, v103, s[24:25]
	v_cndmask_b32_e64 v13, v100, v99, s[24:25]
	v_add_u32_e32 v117, 1, v12
	v_add_u32_e32 v12, -1, v13
	v_min_u32_e32 v12, v117, v12
	v_mov_b32_e32 v13, 0
	v_lshl_add_u64 v[12:13], v[12:13], 3, v[54:55]
	flat_load_dwordx2 v[66:67], v[12:13]
	v_cndmask_b32_e64 v17, v23, v70, s[16:17]
	v_cndmask_b32_e64 v23, v20, v22, s[18:19]
	;; [unrolled: 1-line block ×15, first 2 shown]
	v_cmp_lt_u32_e64 s[0:1], v68, v100
	s_waitcnt vmcnt(0) lgkmcnt(0)
	v_cndmask_b32_e64 v3, v115, v67, s[24:25]
	v_cndmask_b32_e64 v2, v116, v66, s[24:25]
	s_and_saveexec_b64 s[14:15], s[0:1]
	s_cbranch_execz .LBB1370_512
; %bb.503:
	v_cndmask_b32_e64 v68, v103, v117, s[24:25]
	v_cndmask_b32_e64 v67, v67, v112, s[24:25]
	;; [unrolled: 1-line block ×3, first 2 shown]
	v_cmp_lt_u32_e64 s[0:1], v68, v99
	s_and_saveexec_b64 s[16:17], s[0:1]
	s_cbranch_execz .LBB1370_511
; %bb.504:
	s_and_saveexec_b64 s[18:19], vcc
	s_cbranch_execz .LBB1370_510
; %bb.505:
	v_mul_lo_u32 v70, v3, v6
	v_mul_lo_u32 v71, v2, v7
	v_mad_u64_u32 v[68:69], s[0:1], v2, v6, 0
	v_add3_u32 v69, v69, v71, v70
	v_mul_lo_u32 v80, v67, v6
	v_mul_lo_u32 v81, v66, v7
	v_mad_u64_u32 v[70:71], s[0:1], v66, v6, 0
	v_add3_u32 v71, v71, v81, v80
	v_lshl_add_u64 v[68:69], v[68:69], 1, v[8:9]
	v_lshl_add_u64 v[70:71], v[70:71], 1, v[8:9]
	s_mov_b64 s[20:21], 0
	v_mov_b64_e32 v[80:81], v[6:7]
                                        ; implicit-def: $sgpr22_sgpr23
                                        ; implicit-def: $sgpr24_sgpr25
                                        ; implicit-def: $sgpr2_sgpr3
                                        ; implicit-def: $sgpr26_sgpr27
                                        ; implicit-def: $sgpr28_sgpr29
	s_branch .LBB1370_507
.LBB1370_506:                           ;   in Loop: Header=BB1370_507 Depth=1
	s_or_b64 exec, exec, s[30:31]
	s_and_b64 s[0:1], exec, s[24:25]
	s_or_b64 s[20:21], s[0:1], s[20:21]
	s_andn2_b64 s[0:1], s[28:29], exec
	s_and_b64 s[4:5], s[26:27], exec
	s_or_b64 s[28:29], s[0:1], s[4:5]
	s_andn2_b64 s[0:1], s[22:23], exec
	s_and_b64 s[4:5], s[2:3], exec
	s_or_b64 s[22:23], s[0:1], s[4:5]
	s_andn2_b64 exec, exec, s[20:21]
	s_cbranch_execz .LBB1370_509
.LBB1370_507:                           ; =>This Inner Loop Header: Depth=1
	flat_load_ushort v82, v[70:71]
	flat_load_ushort v83, v[68:69]
	s_andn2_b64 s[30:31], s[2:3], exec
	s_andn2_b64 s[26:27], s[26:27], exec
	s_or_b64 s[24:25], s[24:25], exec
	s_waitcnt vmcnt(0) lgkmcnt(0)
	v_cmp_le_u16_e64 s[2:3], v82, v83
	v_cmp_lt_u16_e64 s[0:1], v82, v83
	s_and_b64 s[2:3], s[2:3], s[28:29]
	s_or_b64 s[34:35], s[0:1], s[2:3]
	s_and_b64 s[0:1], s[34:35], exec
	v_cmp_eq_u16_e64 s[4:5], v82, v83
	s_or_b64 s[2:3], s[30:31], s[0:1]
	s_and_saveexec_b64 s[30:31], s[4:5]
	s_cbranch_execz .LBB1370_506
; %bb.508:                              ;   in Loop: Header=BB1370_507 Depth=1
	v_lshl_add_u64 v[80:81], v[80:81], 0, -1
	v_cmp_eq_u64_e64 s[0:1], 0, v[80:81]
	s_andn2_b64 s[4:5], s[26:27], exec
	s_and_b64 s[26:27], s[34:35], exec
	s_or_b64 s[26:27], s[4:5], s[26:27]
	s_andn2_b64 s[4:5], s[24:25], exec
	s_and_b64 s[0:1], s[0:1], exec
	v_lshl_add_u64 v[68:69], v[68:69], 0, 2
	v_lshl_add_u64 v[70:71], v[70:71], 0, 2
	s_andn2_b64 s[2:3], s[2:3], exec
	s_or_b64 s[24:25], s[4:5], s[0:1]
                                        ; implicit-def: $sgpr28_sgpr29
	s_branch .LBB1370_506
.LBB1370_509:
	s_or_b64 exec, exec, s[20:21]
	v_cndmask_b32_e64 v3, v3, v67, s[22:23]
	v_cndmask_b32_e64 v2, v2, v66, s[22:23]
.LBB1370_510:
	s_or_b64 exec, exec, s[18:19]
	v_mov_b64_e32 v[66:67], v[2:3]
.LBB1370_511:
	s_or_b64 exec, exec, s[16:17]
	v_mov_b64_e32 v[2:3], v[66:67]
.LBB1370_512:
	s_or_b64 exec, exec, s[14:15]
.LBB1370_513:
	s_or_b64 exec, exec, s[10:11]
	v_and_b32_e32 v99, 0x380, v98
	; wave barrier
	flat_store_dwordx4 v[64:65], v[20:23]
	flat_store_dwordx4 v[64:65], v[16:19] offset:16
	flat_store_dwordx4 v[64:65], v[12:15] offset:32
	;; [unrolled: 1-line block ×3, first 2 shown]
	v_or_b32_e32 v64, 64, v99
	v_min_u32_e32 v96, v31, v64
	v_add_u32_e32 v64, 64, v96
	v_min_u32_e32 v97, v31, v64
	v_and_b32_e32 v64, 0x78, v98
	v_min_u32_e32 v31, v31, v64
	v_sub_u32_e32 v64, v96, v99
	v_sub_u32_e32 v65, v97, v96
	v_sub_u32_e64 v98, v31, v65 clamp
	v_min_u32_e32 v100, v31, v64
	v_cmp_lt_u32_e64 s[0:1], v98, v100
	; wave barrier
	s_and_saveexec_b64 s[10:11], s[0:1]
	s_cbranch_execz .LBB1370_523
; %bb.514:
	v_lshlrev_b32_e32 v64, 3, v99
	v_mov_b32_e32 v65, 0
	v_lshl_add_u64 v[66:67], v[54:55], 0, v[64:65]
	v_lshlrev_b32_e32 v64, 3, v96
	v_lshl_add_u64 v[68:69], v[54:55], 0, v[64:65]
	v_lshlrev_b64 v[70:71], 1, v[6:7]
	s_mov_b64 s[14:15], 0
	s_branch .LBB1370_517
.LBB1370_515:                           ;   in Loop: Header=BB1370_517 Depth=1
	s_or_b64 exec, exec, s[18:19]
	s_and_b64 s[0:1], s[20:21], exec
.LBB1370_516:                           ;   in Loop: Header=BB1370_517 Depth=1
	s_or_b64 exec, exec, s[16:17]
	v_add_u32_e32 v64, 1, v80
	v_cndmask_b32_e64 v100, v100, v80, s[0:1]
	v_cndmask_b32_e64 v98, v64, v98, s[0:1]
	v_cmp_ge_u32_e64 s[0:1], v98, v100
	s_or_b64 s[14:15], s[0:1], s[14:15]
	s_andn2_b64 exec, exec, s[14:15]
	s_cbranch_execz .LBB1370_522
.LBB1370_517:                           ; =>This Loop Header: Depth=1
                                        ;     Child Loop BB1370_520 Depth 2
	v_add_u32_e32 v64, v100, v98
	v_lshrrev_b32_e32 v80, 1, v64
	s_mov_b64 s[0:1], 0
	s_and_saveexec_b64 s[16:17], vcc
	s_cbranch_execz .LBB1370_516
; %bb.518:                              ;   in Loop: Header=BB1370_517 Depth=1
	v_mov_b32_e32 v81, v65
	v_xad_u32 v64, v80, -1, v31
	v_lshl_add_u64 v[82:83], v[80:81], 3, v[66:67]
	v_lshl_add_u64 v[84:85], v[64:65], 3, v[68:69]
	flat_load_dwordx2 v[82:83], v[82:83]
	s_mov_b64 s[18:19], 0
	flat_load_dwordx2 v[84:85], v[84:85]
                                        ; implicit-def: $sgpr20_sgpr21
                                        ; implicit-def: $sgpr22_sgpr23
                                        ; implicit-def: $sgpr24_sgpr25
                                        ; implicit-def: $sgpr2_sgpr3
                                        ; implicit-def: $sgpr26_sgpr27
	s_waitcnt vmcnt(0) lgkmcnt(0)
	v_mul_lo_u32 v64, v70, v83
	v_mul_lo_u32 v81, v71, v82
	v_mad_u64_u32 v[82:83], s[0:1], v70, v82, v[8:9]
	v_mul_lo_u32 v86, v70, v85
	v_mul_lo_u32 v87, v71, v84
	v_mad_u64_u32 v[84:85], s[0:1], v70, v84, v[8:9]
	v_add3_u32 v83, v81, v83, v64
	v_add3_u32 v85, v87, v85, v86
	v_mov_b64_e32 v[86:87], v[6:7]
	s_branch .LBB1370_520
.LBB1370_519:                           ;   in Loop: Header=BB1370_520 Depth=2
	s_or_b64 exec, exec, s[28:29]
	s_and_b64 s[0:1], exec, s[22:23]
	s_or_b64 s[18:19], s[0:1], s[18:19]
	s_andn2_b64 s[0:1], s[26:27], exec
	s_and_b64 s[4:5], s[24:25], exec
	s_or_b64 s[26:27], s[0:1], s[4:5]
	s_andn2_b64 s[0:1], s[20:21], exec
	s_and_b64 s[4:5], s[2:3], exec
	s_or_b64 s[20:21], s[0:1], s[4:5]
	s_andn2_b64 exec, exec, s[18:19]
	s_cbranch_execz .LBB1370_515
.LBB1370_520:                           ;   Parent Loop BB1370_517 Depth=1
                                        ; =>  This Inner Loop Header: Depth=2
	flat_load_ushort v64, v[84:85]
	flat_load_ushort v81, v[82:83]
	s_andn2_b64 s[28:29], s[2:3], exec
	s_andn2_b64 s[24:25], s[24:25], exec
	s_or_b64 s[22:23], s[22:23], exec
	s_waitcnt vmcnt(0) lgkmcnt(0)
	v_cmp_le_u16_e64 s[2:3], v64, v81
	v_cmp_lt_u16_e64 s[0:1], v64, v81
	s_and_b64 s[2:3], s[2:3], s[26:27]
	s_or_b64 s[30:31], s[0:1], s[2:3]
	s_and_b64 s[0:1], s[30:31], exec
	v_cmp_eq_u16_e64 s[4:5], v64, v81
	s_or_b64 s[2:3], s[28:29], s[0:1]
	s_and_saveexec_b64 s[28:29], s[4:5]
	s_cbranch_execz .LBB1370_519
; %bb.521:                              ;   in Loop: Header=BB1370_520 Depth=2
	v_lshl_add_u64 v[86:87], v[86:87], 0, -1
	v_cmp_eq_u64_e64 s[0:1], 0, v[86:87]
	s_andn2_b64 s[4:5], s[24:25], exec
	s_and_b64 s[24:25], s[30:31], exec
	s_or_b64 s[24:25], s[4:5], s[24:25]
	s_andn2_b64 s[4:5], s[22:23], exec
	s_and_b64 s[0:1], s[0:1], exec
	v_lshl_add_u64 v[82:83], v[82:83], 0, 2
	v_lshl_add_u64 v[84:85], v[84:85], 0, 2
	s_andn2_b64 s[2:3], s[2:3], exec
	s_or_b64 s[22:23], s[4:5], s[0:1]
                                        ; implicit-def: $sgpr26_sgpr27
	s_branch .LBB1370_519
.LBB1370_522:
	s_or_b64 exec, exec, s[14:15]
.LBB1370_523:
	s_or_b64 exec, exec, s[10:11]
	v_add_u32_e32 v31, v96, v31
	v_add_u32_e32 v64, v98, v99
	v_sub_u32_e32 v66, v31, v98
	v_cmp_le_u32_e64 s[0:1], v64, v96
	v_cmp_le_u32_e64 s[2:3], v66, v97
	s_or_b64 s[0:1], s[0:1], s[2:3]
	s_and_saveexec_b64 s[10:11], s[0:1]
	s_cbranch_execz .LBB1370_607
; %bb.524:
	v_cmp_ge_u32_e64 s[0:1], v64, v96
	v_cmp_lt_u32_e64 s[2:3], v64, v96
                                        ; implicit-def: $vgpr0_vgpr1
	s_and_saveexec_b64 s[4:5], s[2:3]
	s_cbranch_execz .LBB1370_526
; %bb.525:
	v_mov_b32_e32 v65, 0
	v_lshl_add_u64 v[0:1], v[64:65], 3, v[54:55]
	flat_load_dwordx2 v[0:1], v[0:1]
.LBB1370_526:
	s_or_b64 exec, exec, s[4:5]
	v_cmp_ge_u32_e64 s[14:15], v66, v97
	v_cmp_lt_u32_e64 s[2:3], v66, v97
                                        ; implicit-def: $vgpr2_vgpr3
	s_and_saveexec_b64 s[4:5], s[2:3]
	s_cbranch_execz .LBB1370_528
; %bb.527:
	v_mov_b32_e32 v67, 0
	v_lshl_add_u64 v[2:3], v[66:67], 3, v[54:55]
	flat_load_dwordx2 v[2:3], v[2:3]
.LBB1370_528:
	s_or_b64 exec, exec, s[4:5]
	s_or_b64 s[0:1], s[0:1], s[14:15]
	s_xor_b64 s[0:1], s[0:1], -1
	s_and_saveexec_b64 s[16:17], s[0:1]
	s_cbranch_execz .LBB1370_536
; %bb.529:
	s_mov_b64 s[0:1], 0
	s_and_saveexec_b64 s[18:19], vcc
	s_cbranch_execz .LBB1370_535
; %bb.530:
	s_waitcnt vmcnt(0) lgkmcnt(0)
	v_mul_lo_u32 v14, v1, v6
	v_mul_lo_u32 v15, v0, v7
	v_mad_u64_u32 v[12:13], s[0:1], v0, v6, 0
	v_add3_u32 v13, v13, v15, v14
	v_mul_lo_u32 v16, v3, v6
	v_mul_lo_u32 v17, v2, v7
	v_mad_u64_u32 v[14:15], s[0:1], v2, v6, 0
	v_add3_u32 v15, v15, v17, v16
	v_lshl_add_u64 v[12:13], v[12:13], 1, v[8:9]
	v_lshl_add_u64 v[14:15], v[14:15], 1, v[8:9]
	s_mov_b64 s[20:21], 0
	v_mov_b64_e32 v[16:17], v[6:7]
                                        ; implicit-def: $sgpr22_sgpr23
                                        ; implicit-def: $sgpr24_sgpr25
                                        ; implicit-def: $sgpr26_sgpr27
                                        ; implicit-def: $sgpr2_sgpr3
                                        ; implicit-def: $sgpr28_sgpr29
	s_branch .LBB1370_532
.LBB1370_531:                           ;   in Loop: Header=BB1370_532 Depth=1
	s_or_b64 exec, exec, s[30:31]
	s_and_b64 s[0:1], exec, s[24:25]
	s_or_b64 s[20:21], s[0:1], s[20:21]
	s_andn2_b64 s[0:1], s[28:29], exec
	s_and_b64 s[4:5], s[26:27], exec
	s_or_b64 s[28:29], s[0:1], s[4:5]
	s_andn2_b64 s[0:1], s[22:23], exec
	s_and_b64 s[4:5], s[2:3], exec
	s_or_b64 s[22:23], s[0:1], s[4:5]
	s_andn2_b64 exec, exec, s[20:21]
	s_cbranch_execz .LBB1370_534
.LBB1370_532:                           ; =>This Inner Loop Header: Depth=1
	flat_load_ushort v18, v[14:15]
	flat_load_ushort v19, v[12:13]
	s_andn2_b64 s[30:31], s[2:3], exec
	s_andn2_b64 s[26:27], s[26:27], exec
	s_or_b64 s[24:25], s[24:25], exec
	s_waitcnt vmcnt(0) lgkmcnt(0)
	v_cmp_le_u16_e64 s[2:3], v18, v19
	v_cmp_lt_u16_e64 s[0:1], v18, v19
	s_and_b64 s[2:3], s[2:3], s[28:29]
	s_or_b64 s[34:35], s[0:1], s[2:3]
	s_and_b64 s[0:1], s[34:35], exec
	v_cmp_eq_u16_e64 s[4:5], v18, v19
	s_or_b64 s[2:3], s[30:31], s[0:1]
	s_and_saveexec_b64 s[30:31], s[4:5]
	s_cbranch_execz .LBB1370_531
; %bb.533:                              ;   in Loop: Header=BB1370_532 Depth=1
	v_lshl_add_u64 v[16:17], v[16:17], 0, -1
	v_cmp_eq_u64_e64 s[0:1], 0, v[16:17]
	s_andn2_b64 s[4:5], s[26:27], exec
	s_and_b64 s[26:27], s[34:35], exec
	s_or_b64 s[26:27], s[4:5], s[26:27]
	s_andn2_b64 s[4:5], s[24:25], exec
	s_and_b64 s[0:1], s[0:1], exec
	v_lshl_add_u64 v[12:13], v[12:13], 0, 2
	v_lshl_add_u64 v[14:15], v[14:15], 0, 2
	s_andn2_b64 s[2:3], s[2:3], exec
	s_or_b64 s[24:25], s[4:5], s[0:1]
                                        ; implicit-def: $sgpr28_sgpr29
	s_branch .LBB1370_531
.LBB1370_534:
	s_or_b64 exec, exec, s[20:21]
	s_and_b64 s[0:1], s[22:23], exec
.LBB1370_535:
	s_or_b64 exec, exec, s[18:19]
	s_xor_b64 s[0:1], s[0:1], -1
	s_andn2_b64 s[2:3], s[14:15], exec
	s_and_b64 s[0:1], s[0:1], exec
	s_or_b64 s[14:15], s[2:3], s[0:1]
.LBB1370_536:
	s_or_b64 exec, exec, s[16:17]
	v_cndmask_b32_e64 v12, v66, v64, s[14:15]
	v_cndmask_b32_e64 v13, v97, v96, s[14:15]
	v_add_u32_e32 v16, 1, v12
	v_add_u32_e32 v12, -1, v13
	v_min_u32_e32 v12, v16, v12
	v_mov_b32_e32 v13, 0
	v_lshl_add_u64 v[14:15], v[12:13], 3, v[54:55]
	flat_load_dwordx2 v[14:15], v[14:15]
	v_cndmask_b32_e64 v23, v16, v66, s[14:15]
	s_mov_b64 s[16:17], -1
	v_cndmask_b32_e64 v64, v64, v16, s[14:15]
	v_cmp_lt_u32_e64 s[0:1], v23, v97
	s_mov_b64 s[18:19], -1
	s_waitcnt vmcnt(0) lgkmcnt(0)
	v_cndmask_b32_e64 v20, v15, v3, s[14:15]
	v_cndmask_b32_e64 v21, v14, v2, s[14:15]
	v_cndmask_b32_e64 v22, v1, v15, s[14:15]
	v_cndmask_b32_e64 v31, v0, v14, s[14:15]
	s_and_saveexec_b64 s[20:21], s[0:1]
	s_cbranch_execz .LBB1370_546
; %bb.537:
	v_cmp_lt_u32_e64 s[0:1], v64, v96
	s_mov_b64 s[2:3], 0
	s_and_saveexec_b64 s[18:19], s[0:1]
	s_cbranch_execz .LBB1370_545
; %bb.538:
	s_mov_b64 s[0:1], 0
	s_and_saveexec_b64 s[22:23], vcc
	s_cbranch_execz .LBB1370_544
; %bb.539:
	v_mul_lo_u32 v12, v22, v6
	v_mul_lo_u32 v16, v31, v7
	v_mad_u64_u32 v[14:15], s[0:1], v31, v6, 0
	v_add3_u32 v15, v15, v16, v12
	v_mul_lo_u32 v12, v20, v6
	v_mul_lo_u32 v18, v21, v7
	v_mad_u64_u32 v[16:17], s[0:1], v21, v6, 0
	v_add3_u32 v17, v17, v18, v12
	v_lshl_add_u64 v[14:15], v[14:15], 1, v[8:9]
	v_lshl_add_u64 v[16:17], v[16:17], 1, v[8:9]
	s_mov_b64 s[24:25], 0
	v_mov_b64_e32 v[18:19], v[6:7]
                                        ; implicit-def: $sgpr26_sgpr27
                                        ; implicit-def: $sgpr28_sgpr29
                                        ; implicit-def: $sgpr30_sgpr31
                                        ; implicit-def: $sgpr2_sgpr3
                                        ; implicit-def: $sgpr34_sgpr35
	s_branch .LBB1370_541
.LBB1370_540:                           ;   in Loop: Header=BB1370_541 Depth=1
	s_or_b64 exec, exec, s[36:37]
	s_and_b64 s[0:1], exec, s[28:29]
	s_or_b64 s[24:25], s[0:1], s[24:25]
	s_andn2_b64 s[0:1], s[34:35], exec
	s_and_b64 s[4:5], s[30:31], exec
	s_or_b64 s[34:35], s[0:1], s[4:5]
	s_andn2_b64 s[0:1], s[26:27], exec
	s_and_b64 s[4:5], s[2:3], exec
	s_or_b64 s[26:27], s[0:1], s[4:5]
	s_andn2_b64 exec, exec, s[24:25]
	s_cbranch_execz .LBB1370_543
.LBB1370_541:                           ; =>This Inner Loop Header: Depth=1
	flat_load_ushort v12, v[16:17]
	flat_load_ushort v65, v[14:15]
	s_andn2_b64 s[36:37], s[2:3], exec
	s_andn2_b64 s[30:31], s[30:31], exec
	s_or_b64 s[28:29], s[28:29], exec
	s_waitcnt vmcnt(0) lgkmcnt(0)
	v_cmp_le_u16_e64 s[2:3], v12, v65
	v_cmp_lt_u16_e64 s[0:1], v12, v65
	s_and_b64 s[2:3], s[2:3], s[34:35]
	s_or_b64 s[38:39], s[0:1], s[2:3]
	s_and_b64 s[0:1], s[38:39], exec
	v_cmp_eq_u16_e64 s[4:5], v12, v65
	s_or_b64 s[2:3], s[36:37], s[0:1]
	s_and_saveexec_b64 s[36:37], s[4:5]
	s_cbranch_execz .LBB1370_540
; %bb.542:                              ;   in Loop: Header=BB1370_541 Depth=1
	v_lshl_add_u64 v[18:19], v[18:19], 0, -1
	v_cmp_eq_u64_e64 s[0:1], 0, v[18:19]
	s_andn2_b64 s[4:5], s[30:31], exec
	s_and_b64 s[30:31], s[38:39], exec
	s_or_b64 s[30:31], s[4:5], s[30:31]
	s_andn2_b64 s[4:5], s[28:29], exec
	s_and_b64 s[0:1], s[0:1], exec
	v_lshl_add_u64 v[14:15], v[14:15], 0, 2
	v_lshl_add_u64 v[16:17], v[16:17], 0, 2
	s_andn2_b64 s[2:3], s[2:3], exec
	s_or_b64 s[28:29], s[4:5], s[0:1]
                                        ; implicit-def: $sgpr34_sgpr35
	s_branch .LBB1370_540
.LBB1370_543:
	s_or_b64 exec, exec, s[24:25]
	s_and_b64 s[0:1], s[26:27], exec
.LBB1370_544:
	s_or_b64 exec, exec, s[22:23]
	s_xor_b64 s[0:1], s[0:1], -1
	s_and_b64 s[2:3], s[0:1], exec
.LBB1370_545:
	s_or_b64 exec, exec, s[18:19]
	s_orn2_b64 s[18:19], s[2:3], exec
.LBB1370_546:
	s_or_b64 exec, exec, s[20:21]
	v_cndmask_b32_e64 v12, v23, v64, s[18:19]
	v_cndmask_b32_e64 v14, v97, v96, s[18:19]
	v_add_u32_e32 v15, 1, v12
	v_add_u32_e32 v12, -1, v14
	v_min_u32_e32 v12, v15, v12
	v_lshl_add_u64 v[12:13], v[12:13], 3, v[54:55]
	flat_load_dwordx2 v[12:13], v[12:13]
	v_cndmask_b32_e64 v18, v15, v23, s[18:19]
	v_cndmask_b32_e64 v19, v64, v15, s[18:19]
	v_cmp_lt_u32_e64 s[0:1], v18, v97
	s_waitcnt vmcnt(0) lgkmcnt(0)
	v_cndmask_b32_e64 v23, v13, v20, s[18:19]
	v_cndmask_b32_e64 v64, v12, v21, s[18:19]
	;; [unrolled: 1-line block ×4, first 2 shown]
	s_and_saveexec_b64 s[20:21], s[0:1]
	s_cbranch_execz .LBB1370_556
; %bb.547:
	v_cmp_lt_u32_e64 s[0:1], v19, v96
	s_mov_b64 s[2:3], 0
	s_and_saveexec_b64 s[16:17], s[0:1]
	s_cbranch_execz .LBB1370_555
; %bb.548:
	s_mov_b64 s[0:1], 0
	s_and_saveexec_b64 s[22:23], vcc
	s_cbranch_execz .LBB1370_554
; %bb.549:
	v_mul_lo_u32 v14, v65, v6
	v_mul_lo_u32 v15, v66, v7
	v_mad_u64_u32 v[12:13], s[0:1], v66, v6, 0
	v_add3_u32 v13, v13, v15, v14
	v_mul_lo_u32 v16, v23, v6
	v_mul_lo_u32 v17, v64, v7
	v_mad_u64_u32 v[14:15], s[0:1], v64, v6, 0
	v_add3_u32 v15, v15, v17, v16
	v_lshl_add_u64 v[12:13], v[12:13], 1, v[8:9]
	v_lshl_add_u64 v[14:15], v[14:15], 1, v[8:9]
	s_mov_b64 s[24:25], 0
	v_mov_b64_e32 v[16:17], v[6:7]
                                        ; implicit-def: $sgpr26_sgpr27
                                        ; implicit-def: $sgpr28_sgpr29
                                        ; implicit-def: $sgpr30_sgpr31
                                        ; implicit-def: $sgpr2_sgpr3
                                        ; implicit-def: $sgpr34_sgpr35
	s_branch .LBB1370_551
.LBB1370_550:                           ;   in Loop: Header=BB1370_551 Depth=1
	s_or_b64 exec, exec, s[36:37]
	s_and_b64 s[0:1], exec, s[28:29]
	s_or_b64 s[24:25], s[0:1], s[24:25]
	s_andn2_b64 s[0:1], s[34:35], exec
	s_and_b64 s[4:5], s[30:31], exec
	s_or_b64 s[34:35], s[0:1], s[4:5]
	s_andn2_b64 s[0:1], s[26:27], exec
	s_and_b64 s[4:5], s[2:3], exec
	s_or_b64 s[26:27], s[0:1], s[4:5]
	s_andn2_b64 exec, exec, s[24:25]
	s_cbranch_execz .LBB1370_553
.LBB1370_551:                           ; =>This Inner Loop Header: Depth=1
	flat_load_ushort v67, v[14:15]
	flat_load_ushort v68, v[12:13]
	s_andn2_b64 s[36:37], s[2:3], exec
	s_andn2_b64 s[30:31], s[30:31], exec
	s_or_b64 s[28:29], s[28:29], exec
	s_waitcnt vmcnt(0) lgkmcnt(0)
	v_cmp_le_u16_e64 s[2:3], v67, v68
	v_cmp_lt_u16_e64 s[0:1], v67, v68
	s_and_b64 s[2:3], s[2:3], s[34:35]
	s_or_b64 s[38:39], s[0:1], s[2:3]
	s_and_b64 s[0:1], s[38:39], exec
	v_cmp_eq_u16_e64 s[4:5], v67, v68
	s_or_b64 s[2:3], s[36:37], s[0:1]
	s_and_saveexec_b64 s[36:37], s[4:5]
	s_cbranch_execz .LBB1370_550
; %bb.552:                              ;   in Loop: Header=BB1370_551 Depth=1
	v_lshl_add_u64 v[16:17], v[16:17], 0, -1
	v_cmp_eq_u64_e64 s[0:1], 0, v[16:17]
	s_andn2_b64 s[4:5], s[30:31], exec
	s_and_b64 s[30:31], s[38:39], exec
	s_or_b64 s[30:31], s[4:5], s[30:31]
	s_andn2_b64 s[4:5], s[28:29], exec
	s_and_b64 s[0:1], s[0:1], exec
	v_lshl_add_u64 v[12:13], v[12:13], 0, 2
	v_lshl_add_u64 v[14:15], v[14:15], 0, 2
	s_andn2_b64 s[2:3], s[2:3], exec
	s_or_b64 s[28:29], s[4:5], s[0:1]
                                        ; implicit-def: $sgpr34_sgpr35
	s_branch .LBB1370_550
.LBB1370_553:
	s_or_b64 exec, exec, s[24:25]
	s_and_b64 s[0:1], s[26:27], exec
.LBB1370_554:
	s_or_b64 exec, exec, s[22:23]
	s_xor_b64 s[0:1], s[0:1], -1
	s_and_b64 s[2:3], s[0:1], exec
.LBB1370_555:
	s_or_b64 exec, exec, s[16:17]
	s_orn2_b64 s[16:17], s[2:3], exec
.LBB1370_556:
	s_or_b64 exec, exec, s[20:21]
	v_cndmask_b32_e64 v12, v18, v19, s[16:17]
	v_cndmask_b32_e64 v13, v97, v96, s[16:17]
	v_add_u32_e32 v16, 1, v12
	v_add_u32_e32 v12, -1, v13
	v_min_u32_e32 v12, v16, v12
	v_mov_b32_e32 v13, 0
	v_lshl_add_u64 v[14:15], v[12:13], 3, v[54:55]
	flat_load_dwordx2 v[14:15], v[14:15]
	v_cndmask_b32_e64 v71, v16, v18, s[16:17]
	s_mov_b64 s[20:21], -1
	v_cndmask_b32_e64 v80, v19, v16, s[16:17]
	v_cmp_lt_u32_e64 s[0:1], v71, v97
	s_mov_b64 s[22:23], -1
	s_waitcnt vmcnt(0) lgkmcnt(0)
	v_cndmask_b32_e64 v67, v15, v23, s[16:17]
	v_cndmask_b32_e64 v68, v14, v64, s[16:17]
	;; [unrolled: 1-line block ×4, first 2 shown]
	s_and_saveexec_b64 s[24:25], s[0:1]
	s_cbranch_execz .LBB1370_566
; %bb.557:
	v_cmp_lt_u32_e64 s[0:1], v80, v96
	s_mov_b64 s[2:3], 0
	s_and_saveexec_b64 s[22:23], s[0:1]
	s_cbranch_execz .LBB1370_565
; %bb.558:
	s_mov_b64 s[0:1], -1
	s_and_saveexec_b64 s[26:27], vcc
	s_cbranch_execz .LBB1370_564
; %bb.559:
	v_mul_lo_u32 v12, v69, v6
	v_mul_lo_u32 v16, v70, v7
	v_mad_u64_u32 v[14:15], s[0:1], v70, v6, 0
	v_add3_u32 v15, v15, v16, v12
	v_mul_lo_u32 v12, v67, v6
	v_mul_lo_u32 v18, v68, v7
	v_mad_u64_u32 v[16:17], s[0:1], v68, v6, 0
	v_add3_u32 v17, v17, v18, v12
	v_lshl_add_u64 v[14:15], v[14:15], 1, v[8:9]
	v_lshl_add_u64 v[16:17], v[16:17], 1, v[8:9]
	s_mov_b64 s[28:29], 0
	v_mov_b64_e32 v[18:19], v[6:7]
                                        ; implicit-def: $sgpr30_sgpr31
                                        ; implicit-def: $sgpr34_sgpr35
                                        ; implicit-def: $sgpr2_sgpr3
                                        ; implicit-def: $sgpr36_sgpr37
                                        ; implicit-def: $sgpr38_sgpr39
	s_branch .LBB1370_561
.LBB1370_560:                           ;   in Loop: Header=BB1370_561 Depth=1
	s_or_b64 exec, exec, s[40:41]
	s_and_b64 s[0:1], exec, s[34:35]
	s_or_b64 s[28:29], s[0:1], s[28:29]
	s_andn2_b64 s[0:1], s[38:39], exec
	s_and_b64 s[4:5], s[36:37], exec
	s_or_b64 s[38:39], s[0:1], s[4:5]
	s_andn2_b64 s[0:1], s[30:31], exec
	s_and_b64 s[4:5], s[2:3], exec
	s_or_b64 s[30:31], s[0:1], s[4:5]
	s_andn2_b64 exec, exec, s[28:29]
	s_cbranch_execz .LBB1370_563
.LBB1370_561:                           ; =>This Inner Loop Header: Depth=1
	flat_load_ushort v12, v[16:17]
	flat_load_ushort v81, v[14:15]
	s_andn2_b64 s[40:41], s[2:3], exec
	s_andn2_b64 s[36:37], s[36:37], exec
	s_or_b64 s[34:35], s[34:35], exec
	s_waitcnt vmcnt(0) lgkmcnt(0)
	v_cmp_le_u16_e64 s[2:3], v12, v81
	v_cmp_lt_u16_e64 s[0:1], v12, v81
	s_and_b64 s[2:3], s[2:3], s[38:39]
	s_or_b64 s[42:43], s[0:1], s[2:3]
	s_and_b64 s[0:1], s[42:43], exec
	v_cmp_eq_u16_e64 s[4:5], v12, v81
	s_or_b64 s[2:3], s[40:41], s[0:1]
	s_and_saveexec_b64 s[40:41], s[4:5]
	s_cbranch_execz .LBB1370_560
; %bb.562:                              ;   in Loop: Header=BB1370_561 Depth=1
	v_lshl_add_u64 v[18:19], v[18:19], 0, -1
	v_cmp_eq_u64_e64 s[0:1], 0, v[18:19]
	s_andn2_b64 s[4:5], s[36:37], exec
	s_and_b64 s[36:37], s[42:43], exec
	s_or_b64 s[36:37], s[4:5], s[36:37]
	s_andn2_b64 s[4:5], s[34:35], exec
	s_and_b64 s[0:1], s[0:1], exec
	v_lshl_add_u64 v[14:15], v[14:15], 0, 2
	v_lshl_add_u64 v[16:17], v[16:17], 0, 2
	s_andn2_b64 s[2:3], s[2:3], exec
	s_or_b64 s[34:35], s[4:5], s[0:1]
                                        ; implicit-def: $sgpr38_sgpr39
	s_branch .LBB1370_560
.LBB1370_563:
	s_or_b64 exec, exec, s[28:29]
	s_xor_b64 s[0:1], s[30:31], -1
	s_orn2_b64 s[0:1], s[0:1], exec
.LBB1370_564:
	s_or_b64 exec, exec, s[26:27]
	s_and_b64 s[2:3], s[0:1], exec
.LBB1370_565:
	s_or_b64 exec, exec, s[22:23]
	s_orn2_b64 s[22:23], s[2:3], exec
.LBB1370_566:
	s_or_b64 exec, exec, s[24:25]
	v_cndmask_b32_e64 v12, v71, v80, s[22:23]
	v_cndmask_b32_e64 v14, v97, v96, s[22:23]
	v_add_u32_e32 v15, 1, v12
	v_add_u32_e32 v12, -1, v14
	v_min_u32_e32 v12, v15, v12
	v_lshl_add_u64 v[12:13], v[12:13], 3, v[54:55]
	flat_load_dwordx2 v[12:13], v[12:13]
	v_cndmask_b32_e64 v18, v15, v71, s[22:23]
	v_cndmask_b32_e64 v19, v80, v15, s[22:23]
	v_cmp_lt_u32_e64 s[0:1], v18, v97
	s_waitcnt vmcnt(0) lgkmcnt(0)
	v_cndmask_b32_e64 v71, v13, v67, s[22:23]
	v_cndmask_b32_e64 v80, v12, v68, s[22:23]
	;; [unrolled: 1-line block ×4, first 2 shown]
	s_and_saveexec_b64 s[24:25], s[0:1]
	s_cbranch_execz .LBB1370_576
; %bb.567:
	v_cmp_lt_u32_e64 s[0:1], v19, v96
	s_mov_b64 s[2:3], 0
	s_and_saveexec_b64 s[20:21], s[0:1]
	s_cbranch_execz .LBB1370_575
; %bb.568:
	s_mov_b64 s[0:1], -1
	s_and_saveexec_b64 s[26:27], vcc
	s_cbranch_execz .LBB1370_574
; %bb.569:
	v_mul_lo_u32 v14, v81, v6
	v_mul_lo_u32 v15, v82, v7
	v_mad_u64_u32 v[12:13], s[0:1], v82, v6, 0
	v_add3_u32 v13, v13, v15, v14
	v_mul_lo_u32 v16, v71, v6
	v_mul_lo_u32 v17, v80, v7
	v_mad_u64_u32 v[14:15], s[0:1], v80, v6, 0
	v_add3_u32 v15, v15, v17, v16
	v_lshl_add_u64 v[12:13], v[12:13], 1, v[8:9]
	v_lshl_add_u64 v[14:15], v[14:15], 1, v[8:9]
	s_mov_b64 s[28:29], 0
	v_mov_b64_e32 v[16:17], v[6:7]
                                        ; implicit-def: $sgpr30_sgpr31
                                        ; implicit-def: $sgpr34_sgpr35
                                        ; implicit-def: $sgpr2_sgpr3
                                        ; implicit-def: $sgpr36_sgpr37
                                        ; implicit-def: $sgpr38_sgpr39
	s_branch .LBB1370_571
.LBB1370_570:                           ;   in Loop: Header=BB1370_571 Depth=1
	s_or_b64 exec, exec, s[40:41]
	s_and_b64 s[0:1], exec, s[34:35]
	s_or_b64 s[28:29], s[0:1], s[28:29]
	s_andn2_b64 s[0:1], s[38:39], exec
	s_and_b64 s[4:5], s[36:37], exec
	s_or_b64 s[38:39], s[0:1], s[4:5]
	s_andn2_b64 s[0:1], s[30:31], exec
	s_and_b64 s[4:5], s[2:3], exec
	s_or_b64 s[30:31], s[0:1], s[4:5]
	s_andn2_b64 exec, exec, s[28:29]
	s_cbranch_execz .LBB1370_573
.LBB1370_571:                           ; =>This Inner Loop Header: Depth=1
	flat_load_ushort v83, v[14:15]
	flat_load_ushort v84, v[12:13]
	s_andn2_b64 s[40:41], s[2:3], exec
	s_andn2_b64 s[36:37], s[36:37], exec
	s_or_b64 s[34:35], s[34:35], exec
	s_waitcnt vmcnt(0) lgkmcnt(0)
	v_cmp_le_u16_e64 s[2:3], v83, v84
	v_cmp_lt_u16_e64 s[0:1], v83, v84
	s_and_b64 s[2:3], s[2:3], s[38:39]
	s_or_b64 s[42:43], s[0:1], s[2:3]
	s_and_b64 s[0:1], s[42:43], exec
	v_cmp_eq_u16_e64 s[4:5], v83, v84
	s_or_b64 s[2:3], s[40:41], s[0:1]
	s_and_saveexec_b64 s[40:41], s[4:5]
	s_cbranch_execz .LBB1370_570
; %bb.572:                              ;   in Loop: Header=BB1370_571 Depth=1
	v_lshl_add_u64 v[16:17], v[16:17], 0, -1
	v_cmp_eq_u64_e64 s[0:1], 0, v[16:17]
	s_andn2_b64 s[4:5], s[36:37], exec
	s_and_b64 s[36:37], s[42:43], exec
	s_or_b64 s[36:37], s[4:5], s[36:37]
	s_andn2_b64 s[4:5], s[34:35], exec
	s_and_b64 s[0:1], s[0:1], exec
	v_lshl_add_u64 v[12:13], v[12:13], 0, 2
	v_lshl_add_u64 v[14:15], v[14:15], 0, 2
	s_andn2_b64 s[2:3], s[2:3], exec
	s_or_b64 s[34:35], s[4:5], s[0:1]
                                        ; implicit-def: $sgpr38_sgpr39
	s_branch .LBB1370_570
.LBB1370_573:
	s_or_b64 exec, exec, s[28:29]
	s_xor_b64 s[0:1], s[30:31], -1
	s_orn2_b64 s[0:1], s[0:1], exec
.LBB1370_574:
	s_or_b64 exec, exec, s[26:27]
	s_and_b64 s[2:3], s[0:1], exec
.LBB1370_575:
	s_or_b64 exec, exec, s[20:21]
	s_orn2_b64 s[20:21], s[2:3], exec
.LBB1370_576:
	s_or_b64 exec, exec, s[24:25]
	v_cndmask_b32_e64 v12, v18, v19, s[20:21]
	v_cndmask_b32_e64 v13, v97, v96, s[20:21]
	v_add_u32_e32 v16, 1, v12
	v_add_u32_e32 v12, -1, v13
	v_min_u32_e32 v12, v16, v12
	v_mov_b32_e32 v13, 0
	v_lshl_add_u64 v[14:15], v[12:13], 3, v[54:55]
	flat_load_dwordx2 v[14:15], v[14:15]
	v_cndmask_b32_e64 v87, v16, v18, s[20:21]
	s_mov_b64 s[24:25], -1
	v_cndmask_b32_e64 v98, v19, v16, s[20:21]
	v_cmp_lt_u32_e64 s[0:1], v87, v97
	s_mov_b64 s[26:27], -1
	s_waitcnt vmcnt(0) lgkmcnt(0)
	v_cndmask_b32_e64 v83, v15, v71, s[20:21]
	v_cndmask_b32_e64 v84, v14, v80, s[20:21]
	;; [unrolled: 1-line block ×4, first 2 shown]
	s_and_saveexec_b64 s[28:29], s[0:1]
	s_cbranch_execz .LBB1370_586
; %bb.577:
	v_cmp_lt_u32_e64 s[0:1], v98, v96
	s_mov_b64 s[2:3], 0
	s_and_saveexec_b64 s[26:27], s[0:1]
	s_cbranch_execz .LBB1370_585
; %bb.578:
	s_mov_b64 s[0:1], -1
	s_and_saveexec_b64 s[30:31], vcc
	s_cbranch_execz .LBB1370_584
; %bb.579:
	v_mul_lo_u32 v12, v85, v6
	v_mul_lo_u32 v16, v86, v7
	v_mad_u64_u32 v[14:15], s[0:1], v86, v6, 0
	v_add3_u32 v15, v15, v16, v12
	v_mul_lo_u32 v12, v83, v6
	v_mul_lo_u32 v18, v84, v7
	v_mad_u64_u32 v[16:17], s[0:1], v84, v6, 0
	v_add3_u32 v17, v17, v18, v12
	v_lshl_add_u64 v[14:15], v[14:15], 1, v[8:9]
	v_lshl_add_u64 v[16:17], v[16:17], 1, v[8:9]
	s_mov_b64 s[34:35], 0
	v_mov_b64_e32 v[18:19], v[6:7]
                                        ; implicit-def: $sgpr36_sgpr37
                                        ; implicit-def: $sgpr38_sgpr39
                                        ; implicit-def: $sgpr2_sgpr3
                                        ; implicit-def: $sgpr40_sgpr41
                                        ; implicit-def: $sgpr42_sgpr43
	s_branch .LBB1370_581
.LBB1370_580:                           ;   in Loop: Header=BB1370_581 Depth=1
	s_or_b64 exec, exec, s[44:45]
	s_and_b64 s[0:1], exec, s[38:39]
	s_or_b64 s[34:35], s[0:1], s[34:35]
	s_andn2_b64 s[0:1], s[42:43], exec
	s_and_b64 s[4:5], s[40:41], exec
	s_or_b64 s[42:43], s[0:1], s[4:5]
	s_andn2_b64 s[0:1], s[36:37], exec
	s_and_b64 s[4:5], s[2:3], exec
	s_or_b64 s[36:37], s[0:1], s[4:5]
	s_andn2_b64 exec, exec, s[34:35]
	s_cbranch_execz .LBB1370_583
.LBB1370_581:                           ; =>This Inner Loop Header: Depth=1
	flat_load_ushort v12, v[16:17]
	flat_load_ushort v99, v[14:15]
	s_andn2_b64 s[44:45], s[2:3], exec
	s_andn2_b64 s[40:41], s[40:41], exec
	s_or_b64 s[38:39], s[38:39], exec
	s_waitcnt vmcnt(0) lgkmcnt(0)
	v_cmp_le_u16_e64 s[2:3], v12, v99
	v_cmp_lt_u16_e64 s[0:1], v12, v99
	s_and_b64 s[2:3], s[2:3], s[42:43]
	s_or_b64 s[46:47], s[0:1], s[2:3]
	s_and_b64 s[0:1], s[46:47], exec
	v_cmp_eq_u16_e64 s[4:5], v12, v99
	s_or_b64 s[2:3], s[44:45], s[0:1]
	s_and_saveexec_b64 s[44:45], s[4:5]
	s_cbranch_execz .LBB1370_580
; %bb.582:                              ;   in Loop: Header=BB1370_581 Depth=1
	v_lshl_add_u64 v[18:19], v[18:19], 0, -1
	v_cmp_eq_u64_e64 s[0:1], 0, v[18:19]
	s_andn2_b64 s[4:5], s[40:41], exec
	s_and_b64 s[40:41], s[46:47], exec
	s_or_b64 s[40:41], s[4:5], s[40:41]
	s_andn2_b64 s[4:5], s[38:39], exec
	s_and_b64 s[0:1], s[0:1], exec
	v_lshl_add_u64 v[14:15], v[14:15], 0, 2
	v_lshl_add_u64 v[16:17], v[16:17], 0, 2
	s_andn2_b64 s[2:3], s[2:3], exec
	s_or_b64 s[38:39], s[4:5], s[0:1]
                                        ; implicit-def: $sgpr42_sgpr43
	s_branch .LBB1370_580
.LBB1370_583:
	s_or_b64 exec, exec, s[34:35]
	s_xor_b64 s[0:1], s[36:37], -1
	s_orn2_b64 s[0:1], s[0:1], exec
.LBB1370_584:
	s_or_b64 exec, exec, s[30:31]
	s_and_b64 s[2:3], s[0:1], exec
.LBB1370_585:
	s_or_b64 exec, exec, s[26:27]
	s_orn2_b64 s[26:27], s[2:3], exec
.LBB1370_586:
	s_or_b64 exec, exec, s[28:29]
	v_cndmask_b32_e64 v12, v87, v98, s[26:27]
	v_cndmask_b32_e64 v14, v97, v96, s[26:27]
	v_add_u32_e32 v15, 1, v12
	v_add_u32_e32 v12, -1, v14
	v_min_u32_e32 v12, v15, v12
	v_lshl_add_u64 v[12:13], v[12:13], 3, v[54:55]
	flat_load_dwordx2 v[12:13], v[12:13]
	v_cndmask_b32_e64 v100, v15, v87, s[26:27]
	v_cndmask_b32_e64 v87, v98, v15, s[26:27]
	v_cmp_lt_u32_e64 s[0:1], v100, v97
	s_waitcnt vmcnt(0) lgkmcnt(0)
	v_cndmask_b32_e64 v98, v13, v83, s[26:27]
	v_cndmask_b32_e64 v99, v12, v84, s[26:27]
	;; [unrolled: 1-line block ×4, first 2 shown]
	s_and_saveexec_b64 s[28:29], s[0:1]
	s_cbranch_execz .LBB1370_596
; %bb.587:
	v_cmp_lt_u32_e64 s[0:1], v87, v96
	s_mov_b64 s[2:3], 0
	s_and_saveexec_b64 s[24:25], s[0:1]
	s_cbranch_execz .LBB1370_595
; %bb.588:
	s_mov_b64 s[0:1], -1
	s_and_saveexec_b64 s[30:31], vcc
	s_cbranch_execz .LBB1370_594
; %bb.589:
	v_mul_lo_u32 v14, v101, v6
	v_mul_lo_u32 v15, v102, v7
	v_mad_u64_u32 v[12:13], s[0:1], v102, v6, 0
	v_add3_u32 v13, v13, v15, v14
	v_mul_lo_u32 v16, v98, v6
	v_mul_lo_u32 v17, v99, v7
	v_mad_u64_u32 v[14:15], s[0:1], v99, v6, 0
	v_add3_u32 v15, v15, v17, v16
	v_lshl_add_u64 v[12:13], v[12:13], 1, v[8:9]
	v_lshl_add_u64 v[14:15], v[14:15], 1, v[8:9]
	s_mov_b64 s[34:35], 0
	v_mov_b64_e32 v[16:17], v[6:7]
                                        ; implicit-def: $sgpr36_sgpr37
                                        ; implicit-def: $sgpr38_sgpr39
                                        ; implicit-def: $sgpr2_sgpr3
                                        ; implicit-def: $sgpr40_sgpr41
                                        ; implicit-def: $sgpr42_sgpr43
	s_branch .LBB1370_591
.LBB1370_590:                           ;   in Loop: Header=BB1370_591 Depth=1
	s_or_b64 exec, exec, s[44:45]
	s_and_b64 s[0:1], exec, s[38:39]
	s_or_b64 s[34:35], s[0:1], s[34:35]
	s_andn2_b64 s[0:1], s[42:43], exec
	s_and_b64 s[4:5], s[40:41], exec
	s_or_b64 s[42:43], s[0:1], s[4:5]
	s_andn2_b64 s[0:1], s[36:37], exec
	s_and_b64 s[4:5], s[2:3], exec
	s_or_b64 s[36:37], s[0:1], s[4:5]
	s_andn2_b64 exec, exec, s[34:35]
	s_cbranch_execz .LBB1370_593
.LBB1370_591:                           ; =>This Inner Loop Header: Depth=1
	flat_load_ushort v18, v[14:15]
	flat_load_ushort v19, v[12:13]
	s_andn2_b64 s[44:45], s[2:3], exec
	s_andn2_b64 s[40:41], s[40:41], exec
	s_or_b64 s[38:39], s[38:39], exec
	s_waitcnt vmcnt(0) lgkmcnt(0)
	v_cmp_le_u16_e64 s[2:3], v18, v19
	v_cmp_lt_u16_e64 s[0:1], v18, v19
	s_and_b64 s[2:3], s[2:3], s[42:43]
	s_or_b64 s[46:47], s[0:1], s[2:3]
	s_and_b64 s[0:1], s[46:47], exec
	v_cmp_eq_u16_e64 s[4:5], v18, v19
	s_or_b64 s[2:3], s[44:45], s[0:1]
	s_and_saveexec_b64 s[44:45], s[4:5]
	s_cbranch_execz .LBB1370_590
; %bb.592:                              ;   in Loop: Header=BB1370_591 Depth=1
	v_lshl_add_u64 v[16:17], v[16:17], 0, -1
	v_cmp_eq_u64_e64 s[0:1], 0, v[16:17]
	s_andn2_b64 s[4:5], s[40:41], exec
	s_and_b64 s[40:41], s[46:47], exec
	s_or_b64 s[40:41], s[4:5], s[40:41]
	s_andn2_b64 s[4:5], s[38:39], exec
	s_and_b64 s[0:1], s[0:1], exec
	v_lshl_add_u64 v[12:13], v[12:13], 0, 2
	v_lshl_add_u64 v[14:15], v[14:15], 0, 2
	s_andn2_b64 s[2:3], s[2:3], exec
	s_or_b64 s[38:39], s[4:5], s[0:1]
                                        ; implicit-def: $sgpr42_sgpr43
	s_branch .LBB1370_590
.LBB1370_593:
	s_or_b64 exec, exec, s[34:35]
	s_xor_b64 s[0:1], s[36:37], -1
	s_orn2_b64 s[0:1], s[0:1], exec
.LBB1370_594:
	s_or_b64 exec, exec, s[30:31]
	s_and_b64 s[2:3], s[0:1], exec
.LBB1370_595:
	s_or_b64 exec, exec, s[24:25]
	s_orn2_b64 s[24:25], s[2:3], exec
.LBB1370_596:
	s_or_b64 exec, exec, s[28:29]
	v_cndmask_b32_e64 v12, v100, v87, s[24:25]
	v_cndmask_b32_e64 v13, v97, v96, s[24:25]
	v_add_u32_e32 v103, 1, v12
	v_add_u32_e32 v12, -1, v13
	v_min_u32_e32 v12, v103, v12
	v_mov_b32_e32 v13, 0
	v_lshl_add_u64 v[12:13], v[12:13], 3, v[54:55]
	flat_load_dwordx2 v[54:55], v[12:13]
	v_cndmask_b32_e64 v17, v23, v65, s[16:17]
	v_cndmask_b32_e64 v23, v20, v22, s[18:19]
	;; [unrolled: 1-line block ×15, first 2 shown]
	v_cmp_lt_u32_e64 s[0:1], v31, v97
	s_waitcnt vmcnt(0) lgkmcnt(0)
	v_cndmask_b32_e64 v3, v101, v55, s[24:25]
	v_cndmask_b32_e64 v2, v102, v54, s[24:25]
	s_and_saveexec_b64 s[14:15], s[0:1]
	s_cbranch_execz .LBB1370_606
; %bb.597:
	v_cndmask_b32_e64 v31, v87, v103, s[24:25]
	v_cndmask_b32_e64 v55, v55, v98, s[24:25]
	;; [unrolled: 1-line block ×3, first 2 shown]
	v_cmp_lt_u32_e64 s[0:1], v31, v96
	s_and_saveexec_b64 s[16:17], s[0:1]
	s_cbranch_execz .LBB1370_605
; %bb.598:
	s_and_saveexec_b64 s[18:19], vcc
	s_cbranch_execz .LBB1370_604
; %bb.599:
	v_mul_lo_u32 v31, v3, v6
	v_mul_lo_u32 v66, v2, v7
	v_mad_u64_u32 v[64:65], s[0:1], v2, v6, 0
	v_add3_u32 v65, v65, v66, v31
	v_mul_lo_u32 v31, v55, v6
	v_mul_lo_u32 v68, v54, v7
	v_mad_u64_u32 v[66:67], s[0:1], v54, v6, 0
	v_add3_u32 v67, v67, v68, v31
	v_lshl_add_u64 v[64:65], v[64:65], 1, v[8:9]
	v_lshl_add_u64 v[66:67], v[66:67], 1, v[8:9]
	s_mov_b64 s[20:21], 0
	v_mov_b64_e32 v[68:69], v[6:7]
                                        ; implicit-def: $sgpr22_sgpr23
                                        ; implicit-def: $sgpr24_sgpr25
                                        ; implicit-def: $sgpr2_sgpr3
                                        ; implicit-def: $sgpr26_sgpr27
                                        ; implicit-def: $sgpr28_sgpr29
	s_branch .LBB1370_601
.LBB1370_600:                           ;   in Loop: Header=BB1370_601 Depth=1
	s_or_b64 exec, exec, s[30:31]
	s_and_b64 s[0:1], exec, s[24:25]
	s_or_b64 s[20:21], s[0:1], s[20:21]
	s_andn2_b64 s[0:1], s[28:29], exec
	s_and_b64 s[4:5], s[26:27], exec
	s_or_b64 s[28:29], s[0:1], s[4:5]
	s_andn2_b64 s[0:1], s[22:23], exec
	s_and_b64 s[4:5], s[2:3], exec
	s_or_b64 s[22:23], s[0:1], s[4:5]
	s_andn2_b64 exec, exec, s[20:21]
	s_cbranch_execz .LBB1370_603
.LBB1370_601:                           ; =>This Inner Loop Header: Depth=1
	flat_load_ushort v31, v[66:67]
	flat_load_ushort v70, v[64:65]
	s_andn2_b64 s[30:31], s[2:3], exec
	s_andn2_b64 s[26:27], s[26:27], exec
	s_or_b64 s[24:25], s[24:25], exec
	s_waitcnt vmcnt(0) lgkmcnt(0)
	v_cmp_le_u16_e64 s[2:3], v31, v70
	v_cmp_lt_u16_e64 s[0:1], v31, v70
	s_and_b64 s[2:3], s[2:3], s[28:29]
	s_or_b64 s[34:35], s[0:1], s[2:3]
	s_and_b64 s[0:1], s[34:35], exec
	v_cmp_eq_u16_e64 s[4:5], v31, v70
	s_or_b64 s[2:3], s[30:31], s[0:1]
	s_and_saveexec_b64 s[30:31], s[4:5]
	s_cbranch_execz .LBB1370_600
; %bb.602:                              ;   in Loop: Header=BB1370_601 Depth=1
	v_lshl_add_u64 v[68:69], v[68:69], 0, -1
	v_cmp_eq_u64_e64 s[0:1], 0, v[68:69]
	s_andn2_b64 s[4:5], s[26:27], exec
	s_and_b64 s[26:27], s[34:35], exec
	s_or_b64 s[26:27], s[4:5], s[26:27]
	s_andn2_b64 s[4:5], s[24:25], exec
	s_and_b64 s[0:1], s[0:1], exec
	v_lshl_add_u64 v[64:65], v[64:65], 0, 2
	v_lshl_add_u64 v[66:67], v[66:67], 0, 2
	s_andn2_b64 s[2:3], s[2:3], exec
	s_or_b64 s[24:25], s[4:5], s[0:1]
                                        ; implicit-def: $sgpr28_sgpr29
	s_branch .LBB1370_600
.LBB1370_603:
	s_or_b64 exec, exec, s[20:21]
	v_cndmask_b32_e64 v3, v3, v55, s[22:23]
	v_cndmask_b32_e64 v2, v2, v54, s[22:23]
.LBB1370_604:
	s_or_b64 exec, exec, s[18:19]
	v_mov_b64_e32 v[54:55], v[2:3]
.LBB1370_605:
	s_or_b64 exec, exec, s[16:17]
	v_mov_b64_e32 v[2:3], v[54:55]
.LBB1370_606:
	s_or_b64 exec, exec, s[14:15]
.LBB1370_607:
	s_or_b64 exec, exec, s[10:11]
	v_lshlrev_b32_e32 v54, 3, v30
	v_mov_b32_e32 v55, 0
	v_lshl_add_u64 v[64:65], v[10:11], 0, v[54:55]
	v_lshlrev_b64 v[66:67], 1, v[6:7]
	s_movk_i32 s50, 0x80
	; wave barrier
	s_waitcnt lgkmcnt(0)
	s_barrier
.LBB1370_608:                           ; =>This Loop Header: Depth=1
                                        ;     Child Loop BB1370_612 Depth 2
                                        ;       Child Loop BB1370_615 Depth 3
                                        ;     Child Loop BB1370_627 Depth 2
                                        ;     Child Loop BB1370_636 Depth 2
	;; [unrolled: 1-line block ×8, first 2 shown]
	s_lshl_b32 s51, s50, 1
	s_sub_i32 s1, 0, s51
	v_and_b32_e32 v97, s1, v30
	v_add_u32_e32 v31, s50, v97
	v_min_u32_e32 v31, 0x800, v31
	s_add_i32 s0, s51, -1
	v_add_u32_e32 v54, s50, v31
	v_min_u32_e32 v96, 0x800, v54
	v_and_b32_e32 v54, s0, v30
	v_min_u32_e32 v98, 0x800, v54
	v_sub_u32_e32 v54, v31, v97
	v_sub_u32_e32 v68, v96, v31
	v_sub_u32_e64 v99, v98, v68 clamp
	v_min_u32_e32 v100, v98, v54
	v_cmp_lt_u32_e64 s[0:1], v99, v100
	flat_store_dwordx4 v[64:65], v[20:23]
	flat_store_dwordx4 v[64:65], v[16:19] offset:16
	flat_store_dwordx4 v[64:65], v[12:15] offset:32
	;; [unrolled: 1-line block ×3, first 2 shown]
	s_waitcnt lgkmcnt(0)
	s_barrier
	s_and_saveexec_b64 s[10:11], s[0:1]
	s_cbranch_execz .LBB1370_618
; %bb.609:                              ;   in Loop: Header=BB1370_608 Depth=1
	v_lshlrev_b32_e32 v54, 3, v97
	v_lshl_add_u64 v[68:69], v[10:11], 0, v[54:55]
	v_lshlrev_b32_e32 v54, 3, v31
	v_lshl_add_u64 v[70:71], v[10:11], 0, v[54:55]
	s_mov_b64 s[14:15], 0
	s_branch .LBB1370_612
.LBB1370_610:                           ;   in Loop: Header=BB1370_612 Depth=2
	s_or_b64 exec, exec, s[18:19]
	s_and_b64 s[0:1], s[20:21], exec
.LBB1370_611:                           ;   in Loop: Header=BB1370_612 Depth=2
	s_or_b64 exec, exec, s[16:17]
	v_add_u32_e32 v54, 1, v80
	v_cndmask_b32_e64 v100, v100, v80, s[0:1]
	v_cndmask_b32_e64 v99, v54, v99, s[0:1]
	v_cmp_ge_u32_e64 s[0:1], v99, v100
	s_or_b64 s[14:15], s[0:1], s[14:15]
	s_andn2_b64 exec, exec, s[14:15]
	s_cbranch_execz .LBB1370_617
.LBB1370_612:                           ;   Parent Loop BB1370_608 Depth=1
                                        ; =>  This Loop Header: Depth=2
                                        ;       Child Loop BB1370_615 Depth 3
	v_add_u32_e32 v54, v100, v99
	v_lshrrev_b32_e32 v80, 1, v54
	s_mov_b64 s[0:1], 0
	s_and_saveexec_b64 s[16:17], vcc
	s_cbranch_execz .LBB1370_611
; %bb.613:                              ;   in Loop: Header=BB1370_612 Depth=2
	v_mov_b32_e32 v81, v55
	v_xad_u32 v54, v80, -1, v98
	v_lshl_add_u64 v[82:83], v[80:81], 3, v[68:69]
	v_lshl_add_u64 v[84:85], v[54:55], 3, v[70:71]
	flat_load_dwordx2 v[82:83], v[82:83]
	s_mov_b64 s[18:19], 0
	flat_load_dwordx2 v[84:85], v[84:85]
                                        ; implicit-def: $sgpr20_sgpr21
                                        ; implicit-def: $sgpr22_sgpr23
                                        ; implicit-def: $sgpr24_sgpr25
                                        ; implicit-def: $sgpr2_sgpr3
                                        ; implicit-def: $sgpr26_sgpr27
	s_waitcnt vmcnt(0) lgkmcnt(0)
	v_mul_lo_u32 v54, v66, v83
	v_mul_lo_u32 v81, v67, v82
	v_mad_u64_u32 v[82:83], s[0:1], v66, v82, v[8:9]
	v_mul_lo_u32 v86, v66, v85
	v_mul_lo_u32 v87, v67, v84
	v_mad_u64_u32 v[84:85], s[0:1], v66, v84, v[8:9]
	v_add3_u32 v83, v81, v83, v54
	v_add3_u32 v85, v87, v85, v86
	v_mov_b64_e32 v[86:87], v[6:7]
	s_branch .LBB1370_615
.LBB1370_614:                           ;   in Loop: Header=BB1370_615 Depth=3
	s_or_b64 exec, exec, s[28:29]
	s_and_b64 s[0:1], exec, s[22:23]
	s_or_b64 s[18:19], s[0:1], s[18:19]
	s_andn2_b64 s[0:1], s[26:27], exec
	s_and_b64 s[4:5], s[24:25], exec
	s_or_b64 s[26:27], s[0:1], s[4:5]
	s_andn2_b64 s[0:1], s[20:21], exec
	s_and_b64 s[4:5], s[2:3], exec
	s_or_b64 s[20:21], s[0:1], s[4:5]
	s_andn2_b64 exec, exec, s[18:19]
	s_cbranch_execz .LBB1370_610
.LBB1370_615:                           ;   Parent Loop BB1370_608 Depth=1
                                        ;     Parent Loop BB1370_612 Depth=2
                                        ; =>    This Inner Loop Header: Depth=3
	flat_load_ushort v54, v[84:85]
	flat_load_ushort v81, v[82:83]
	s_andn2_b64 s[28:29], s[2:3], exec
	s_andn2_b64 s[24:25], s[24:25], exec
	s_or_b64 s[22:23], s[22:23], exec
	s_waitcnt vmcnt(0) lgkmcnt(0)
	v_cmp_le_u16_e64 s[2:3], v54, v81
	v_cmp_lt_u16_e64 s[0:1], v54, v81
	s_and_b64 s[2:3], s[2:3], s[26:27]
	s_or_b64 s[30:31], s[0:1], s[2:3]
	s_and_b64 s[0:1], s[30:31], exec
	v_cmp_eq_u16_e64 s[4:5], v54, v81
	s_or_b64 s[2:3], s[28:29], s[0:1]
	s_and_saveexec_b64 s[28:29], s[4:5]
	s_cbranch_execz .LBB1370_614
; %bb.616:                              ;   in Loop: Header=BB1370_615 Depth=3
	v_lshl_add_u64 v[86:87], v[86:87], 0, -1
	v_cmp_eq_u64_e64 s[0:1], 0, v[86:87]
	s_andn2_b64 s[4:5], s[24:25], exec
	s_and_b64 s[24:25], s[30:31], exec
	s_or_b64 s[24:25], s[4:5], s[24:25]
	s_andn2_b64 s[4:5], s[22:23], exec
	s_and_b64 s[0:1], s[0:1], exec
	v_lshl_add_u64 v[82:83], v[82:83], 0, 2
	v_lshl_add_u64 v[84:85], v[84:85], 0, 2
	s_andn2_b64 s[2:3], s[2:3], exec
	s_or_b64 s[22:23], s[4:5], s[0:1]
                                        ; implicit-def: $sgpr26_sgpr27
	s_branch .LBB1370_614
.LBB1370_617:                           ;   in Loop: Header=BB1370_608 Depth=1
	s_or_b64 exec, exec, s[14:15]
.LBB1370_618:                           ;   in Loop: Header=BB1370_608 Depth=1
	s_or_b64 exec, exec, s[10:11]
	v_sub_u32_e32 v54, v98, v99
	v_add_u32_e32 v68, v99, v97
	v_add_u32_e32 v70, v54, v31
	v_cmp_le_u32_e64 s[0:1], v68, v31
	v_cmp_le_u32_e64 s[2:3], v70, v96
	s_or_b64 s[0:1], s[0:1], s[2:3]
	s_and_saveexec_b64 s[10:11], s[0:1]
	s_cbranch_execz .LBB1370_702
; %bb.619:                              ;   in Loop: Header=BB1370_608 Depth=1
	v_cmp_ge_u32_e64 s[0:1], v68, v31
	v_cmp_lt_u32_e64 s[2:3], v68, v31
                                        ; implicit-def: $vgpr0_vgpr1
	s_and_saveexec_b64 s[4:5], s[2:3]
	s_cbranch_execz .LBB1370_621
; %bb.620:                              ;   in Loop: Header=BB1370_608 Depth=1
	v_mov_b32_e32 v69, v55
	v_lshl_add_u64 v[0:1], v[68:69], 3, v[10:11]
	flat_load_dwordx2 v[0:1], v[0:1]
.LBB1370_621:                           ;   in Loop: Header=BB1370_608 Depth=1
	s_or_b64 exec, exec, s[4:5]
	v_cmp_ge_u32_e64 s[14:15], v70, v96
	v_cmp_lt_u32_e64 s[2:3], v70, v96
                                        ; implicit-def: $vgpr20_vgpr21
	s_and_saveexec_b64 s[4:5], s[2:3]
	s_cbranch_execz .LBB1370_623
; %bb.622:                              ;   in Loop: Header=BB1370_608 Depth=1
	v_mov_b32_e32 v71, v55
	v_lshl_add_u64 v[2:3], v[70:71], 3, v[10:11]
	flat_load_dwordx2 v[20:21], v[2:3]
.LBB1370_623:                           ;   in Loop: Header=BB1370_608 Depth=1
	s_or_b64 exec, exec, s[4:5]
	s_or_b64 s[0:1], s[0:1], s[14:15]
	s_xor_b64 s[0:1], s[0:1], -1
	s_and_saveexec_b64 s[16:17], s[0:1]
	s_cbranch_execz .LBB1370_631
; %bb.624:                              ;   in Loop: Header=BB1370_608 Depth=1
	s_mov_b64 s[0:1], 0
	s_and_saveexec_b64 s[18:19], vcc
	s_cbranch_execz .LBB1370_630
; %bb.625:                              ;   in Loop: Header=BB1370_608 Depth=1
	s_waitcnt vmcnt(0) lgkmcnt(0)
	v_mad_u64_u32 v[2:3], s[0:1], v66, v0, v[8:9]
	v_mul_lo_u32 v12, v66, v1
	v_mul_lo_u32 v13, v67, v0
	v_add3_u32 v3, v13, v3, v12
	v_mad_u64_u32 v[12:13], s[0:1], v66, v20, v[8:9]
	v_mul_lo_u32 v14, v66, v21
	v_mul_lo_u32 v15, v67, v20
	v_add3_u32 v13, v15, v13, v14
	s_mov_b64 s[20:21], 0
	v_mov_b64_e32 v[14:15], v[6:7]
                                        ; implicit-def: $sgpr22_sgpr23
                                        ; implicit-def: $sgpr24_sgpr25
                                        ; implicit-def: $sgpr26_sgpr27
                                        ; implicit-def: $sgpr2_sgpr3
                                        ; implicit-def: $sgpr28_sgpr29
	s_branch .LBB1370_627
.LBB1370_626:                           ;   in Loop: Header=BB1370_627 Depth=2
	s_or_b64 exec, exec, s[30:31]
	s_and_b64 s[0:1], exec, s[24:25]
	s_or_b64 s[20:21], s[0:1], s[20:21]
	s_andn2_b64 s[0:1], s[28:29], exec
	s_and_b64 s[4:5], s[26:27], exec
	s_or_b64 s[28:29], s[0:1], s[4:5]
	s_andn2_b64 s[0:1], s[22:23], exec
	s_and_b64 s[4:5], s[2:3], exec
	s_or_b64 s[22:23], s[0:1], s[4:5]
	s_andn2_b64 exec, exec, s[20:21]
	s_cbranch_execz .LBB1370_629
.LBB1370_627:                           ;   Parent Loop BB1370_608 Depth=1
                                        ; =>  This Inner Loop Header: Depth=2
	flat_load_ushort v16, v[12:13]
	flat_load_ushort v17, v[2:3]
	s_andn2_b64 s[30:31], s[2:3], exec
	s_andn2_b64 s[26:27], s[26:27], exec
	s_or_b64 s[24:25], s[24:25], exec
	s_waitcnt vmcnt(0) lgkmcnt(0)
	v_cmp_le_u16_e64 s[2:3], v16, v17
	v_cmp_lt_u16_e64 s[0:1], v16, v17
	s_and_b64 s[2:3], s[2:3], s[28:29]
	s_or_b64 s[34:35], s[0:1], s[2:3]
	s_and_b64 s[0:1], s[34:35], exec
	v_cmp_eq_u16_e64 s[4:5], v16, v17
	s_or_b64 s[2:3], s[30:31], s[0:1]
	s_and_saveexec_b64 s[30:31], s[4:5]
	s_cbranch_execz .LBB1370_626
; %bb.628:                              ;   in Loop: Header=BB1370_627 Depth=2
	v_lshl_add_u64 v[14:15], v[14:15], 0, -1
	v_cmp_eq_u64_e64 s[0:1], 0, v[14:15]
	s_andn2_b64 s[4:5], s[26:27], exec
	s_and_b64 s[26:27], s[34:35], exec
	s_or_b64 s[26:27], s[4:5], s[26:27]
	s_andn2_b64 s[4:5], s[24:25], exec
	s_and_b64 s[0:1], s[0:1], exec
	v_lshl_add_u64 v[2:3], v[2:3], 0, 2
	v_lshl_add_u64 v[12:13], v[12:13], 0, 2
	s_andn2_b64 s[2:3], s[2:3], exec
	s_or_b64 s[24:25], s[4:5], s[0:1]
                                        ; implicit-def: $sgpr28_sgpr29
	s_branch .LBB1370_626
.LBB1370_629:                           ;   in Loop: Header=BB1370_608 Depth=1
	s_or_b64 exec, exec, s[20:21]
	s_and_b64 s[0:1], s[22:23], exec
.LBB1370_630:                           ;   in Loop: Header=BB1370_608 Depth=1
	s_or_b64 exec, exec, s[18:19]
	s_xor_b64 s[0:1], s[0:1], -1
	s_andn2_b64 s[2:3], s[14:15], exec
	s_and_b64 s[0:1], s[0:1], exec
	s_or_b64 s[14:15], s[2:3], s[0:1]
.LBB1370_631:                           ;   in Loop: Header=BB1370_608 Depth=1
	s_or_b64 exec, exec, s[16:17]
	v_cndmask_b32_e64 v2, v70, v68, s[14:15]
	v_cndmask_b32_e64 v3, v96, v31, s[14:15]
	v_add_u32_e32 v12, 1, v2
	v_add_u32_e32 v2, -1, v3
	v_min_u32_e32 v54, v12, v2
	v_lshl_add_u64 v[2:3], v[54:55], 3, v[10:11]
	flat_load_dwordx2 v[2:3], v[2:3]
	v_cndmask_b32_e64 v16, v12, v70, s[14:15]
	s_mov_b64 s[16:17], -1
	v_cndmask_b32_e64 v17, v68, v12, s[14:15]
	v_cmp_lt_u32_e64 s[0:1], v16, v96
	s_mov_b64 s[18:19], -1
	s_waitcnt vmcnt(0) lgkmcnt(0)
	v_cndmask_b32_e64 v22, v3, v21, s[14:15]
	v_cndmask_b32_e64 v68, v2, v20, s[14:15]
	;; [unrolled: 1-line block ×4, first 2 shown]
	s_and_saveexec_b64 s[20:21], s[0:1]
	s_cbranch_execz .LBB1370_641
; %bb.632:                              ;   in Loop: Header=BB1370_608 Depth=1
	v_cmp_lt_u32_e64 s[0:1], v17, v31
	s_mov_b64 s[2:3], 0
	s_and_saveexec_b64 s[18:19], s[0:1]
	s_cbranch_execz .LBB1370_640
; %bb.633:                              ;   in Loop: Header=BB1370_608 Depth=1
	s_mov_b64 s[0:1], 0
	s_and_saveexec_b64 s[22:23], vcc
	s_cbranch_execz .LBB1370_639
; %bb.634:                              ;   in Loop: Header=BB1370_608 Depth=1
	v_mad_u64_u32 v[2:3], s[0:1], v66, v69, v[8:9]
	v_mul_lo_u32 v12, v66, v23
	v_mul_lo_u32 v13, v67, v69
	v_add3_u32 v3, v13, v3, v12
	v_mad_u64_u32 v[12:13], s[0:1], v66, v68, v[8:9]
	v_mul_lo_u32 v14, v66, v22
	v_mul_lo_u32 v15, v67, v68
	v_add3_u32 v13, v15, v13, v14
	s_mov_b64 s[24:25], 0
	v_mov_b64_e32 v[14:15], v[6:7]
                                        ; implicit-def: $sgpr26_sgpr27
                                        ; implicit-def: $sgpr28_sgpr29
                                        ; implicit-def: $sgpr30_sgpr31
                                        ; implicit-def: $sgpr2_sgpr3
                                        ; implicit-def: $sgpr34_sgpr35
	s_branch .LBB1370_636
.LBB1370_635:                           ;   in Loop: Header=BB1370_636 Depth=2
	s_or_b64 exec, exec, s[36:37]
	s_and_b64 s[0:1], exec, s[28:29]
	s_or_b64 s[24:25], s[0:1], s[24:25]
	s_andn2_b64 s[0:1], s[34:35], exec
	s_and_b64 s[4:5], s[30:31], exec
	s_or_b64 s[34:35], s[0:1], s[4:5]
	s_andn2_b64 s[0:1], s[26:27], exec
	s_and_b64 s[4:5], s[2:3], exec
	s_or_b64 s[26:27], s[0:1], s[4:5]
	s_andn2_b64 exec, exec, s[24:25]
	s_cbranch_execz .LBB1370_638
.LBB1370_636:                           ;   Parent Loop BB1370_608 Depth=1
                                        ; =>  This Inner Loop Header: Depth=2
	flat_load_ushort v18, v[12:13]
	flat_load_ushort v19, v[2:3]
	s_andn2_b64 s[36:37], s[2:3], exec
	s_andn2_b64 s[30:31], s[30:31], exec
	s_or_b64 s[28:29], s[28:29], exec
	s_waitcnt vmcnt(0) lgkmcnt(0)
	v_cmp_le_u16_e64 s[2:3], v18, v19
	v_cmp_lt_u16_e64 s[0:1], v18, v19
	s_and_b64 s[2:3], s[2:3], s[34:35]
	s_or_b64 s[38:39], s[0:1], s[2:3]
	s_and_b64 s[0:1], s[38:39], exec
	v_cmp_eq_u16_e64 s[4:5], v18, v19
	s_or_b64 s[2:3], s[36:37], s[0:1]
	s_and_saveexec_b64 s[36:37], s[4:5]
	s_cbranch_execz .LBB1370_635
; %bb.637:                              ;   in Loop: Header=BB1370_636 Depth=2
	v_lshl_add_u64 v[14:15], v[14:15], 0, -1
	v_cmp_eq_u64_e64 s[0:1], 0, v[14:15]
	s_andn2_b64 s[4:5], s[30:31], exec
	s_and_b64 s[30:31], s[38:39], exec
	s_or_b64 s[30:31], s[4:5], s[30:31]
	s_andn2_b64 s[4:5], s[28:29], exec
	s_and_b64 s[0:1], s[0:1], exec
	v_lshl_add_u64 v[2:3], v[2:3], 0, 2
	v_lshl_add_u64 v[12:13], v[12:13], 0, 2
	s_andn2_b64 s[2:3], s[2:3], exec
	s_or_b64 s[28:29], s[4:5], s[0:1]
                                        ; implicit-def: $sgpr34_sgpr35
	s_branch .LBB1370_635
.LBB1370_638:                           ;   in Loop: Header=BB1370_608 Depth=1
	s_or_b64 exec, exec, s[24:25]
	s_and_b64 s[0:1], s[26:27], exec
.LBB1370_639:                           ;   in Loop: Header=BB1370_608 Depth=1
	s_or_b64 exec, exec, s[22:23]
	s_xor_b64 s[0:1], s[0:1], -1
	s_and_b64 s[2:3], s[0:1], exec
.LBB1370_640:                           ;   in Loop: Header=BB1370_608 Depth=1
	s_or_b64 exec, exec, s[18:19]
	s_orn2_b64 s[18:19], s[2:3], exec
.LBB1370_641:                           ;   in Loop: Header=BB1370_608 Depth=1
	s_or_b64 exec, exec, s[20:21]
	v_cndmask_b32_e64 v2, v16, v17, s[18:19]
	v_cndmask_b32_e64 v3, v96, v31, s[18:19]
	v_add_u32_e32 v12, 1, v2
	v_add_u32_e32 v2, -1, v3
	v_min_u32_e32 v54, v12, v2
	v_lshl_add_u64 v[2:3], v[54:55], 3, v[10:11]
	flat_load_dwordx2 v[2:3], v[2:3]
	v_cndmask_b32_e64 v16, v12, v16, s[18:19]
	v_cndmask_b32_e64 v17, v17, v12, s[18:19]
	v_cmp_lt_u32_e64 s[0:1], v16, v96
	s_waitcnt vmcnt(0) lgkmcnt(0)
	v_cndmask_b32_e64 v70, v3, v22, s[18:19]
	v_cndmask_b32_e64 v71, v2, v68, s[18:19]
	;; [unrolled: 1-line block ×4, first 2 shown]
	s_and_saveexec_b64 s[20:21], s[0:1]
	s_cbranch_execz .LBB1370_651
; %bb.642:                              ;   in Loop: Header=BB1370_608 Depth=1
	v_cmp_lt_u32_e64 s[0:1], v17, v31
	s_mov_b64 s[2:3], 0
	s_and_saveexec_b64 s[16:17], s[0:1]
	s_cbranch_execz .LBB1370_650
; %bb.643:                              ;   in Loop: Header=BB1370_608 Depth=1
	s_mov_b64 s[0:1], 0
	s_and_saveexec_b64 s[22:23], vcc
	s_cbranch_execz .LBB1370_649
; %bb.644:                              ;   in Loop: Header=BB1370_608 Depth=1
	v_mad_u64_u32 v[2:3], s[0:1], v66, v81, v[8:9]
	v_mul_lo_u32 v12, v66, v80
	v_mul_lo_u32 v13, v67, v81
	v_add3_u32 v3, v13, v3, v12
	v_mad_u64_u32 v[12:13], s[0:1], v66, v71, v[8:9]
	v_mul_lo_u32 v14, v66, v70
	v_mul_lo_u32 v15, v67, v71
	v_add3_u32 v13, v15, v13, v14
	s_mov_b64 s[24:25], 0
	v_mov_b64_e32 v[14:15], v[6:7]
                                        ; implicit-def: $sgpr26_sgpr27
                                        ; implicit-def: $sgpr28_sgpr29
                                        ; implicit-def: $sgpr30_sgpr31
                                        ; implicit-def: $sgpr2_sgpr3
                                        ; implicit-def: $sgpr34_sgpr35
	s_branch .LBB1370_646
.LBB1370_645:                           ;   in Loop: Header=BB1370_646 Depth=2
	s_or_b64 exec, exec, s[36:37]
	s_and_b64 s[0:1], exec, s[28:29]
	s_or_b64 s[24:25], s[0:1], s[24:25]
	s_andn2_b64 s[0:1], s[34:35], exec
	s_and_b64 s[4:5], s[30:31], exec
	s_or_b64 s[34:35], s[0:1], s[4:5]
	s_andn2_b64 s[0:1], s[26:27], exec
	s_and_b64 s[4:5], s[2:3], exec
	s_or_b64 s[26:27], s[0:1], s[4:5]
	s_andn2_b64 exec, exec, s[24:25]
	s_cbranch_execz .LBB1370_648
.LBB1370_646:                           ;   Parent Loop BB1370_608 Depth=1
                                        ; =>  This Inner Loop Header: Depth=2
	flat_load_ushort v18, v[12:13]
	flat_load_ushort v19, v[2:3]
	s_andn2_b64 s[36:37], s[2:3], exec
	s_andn2_b64 s[30:31], s[30:31], exec
	s_or_b64 s[28:29], s[28:29], exec
	s_waitcnt vmcnt(0) lgkmcnt(0)
	v_cmp_le_u16_e64 s[2:3], v18, v19
	v_cmp_lt_u16_e64 s[0:1], v18, v19
	s_and_b64 s[2:3], s[2:3], s[34:35]
	s_or_b64 s[38:39], s[0:1], s[2:3]
	s_and_b64 s[0:1], s[38:39], exec
	v_cmp_eq_u16_e64 s[4:5], v18, v19
	s_or_b64 s[2:3], s[36:37], s[0:1]
	s_and_saveexec_b64 s[36:37], s[4:5]
	s_cbranch_execz .LBB1370_645
; %bb.647:                              ;   in Loop: Header=BB1370_646 Depth=2
	v_lshl_add_u64 v[14:15], v[14:15], 0, -1
	v_cmp_eq_u64_e64 s[0:1], 0, v[14:15]
	s_andn2_b64 s[4:5], s[30:31], exec
	s_and_b64 s[30:31], s[38:39], exec
	s_or_b64 s[30:31], s[4:5], s[30:31]
	s_andn2_b64 s[4:5], s[28:29], exec
	s_and_b64 s[0:1], s[0:1], exec
	v_lshl_add_u64 v[2:3], v[2:3], 0, 2
	v_lshl_add_u64 v[12:13], v[12:13], 0, 2
	s_andn2_b64 s[2:3], s[2:3], exec
	s_or_b64 s[28:29], s[4:5], s[0:1]
                                        ; implicit-def: $sgpr34_sgpr35
	s_branch .LBB1370_645
.LBB1370_648:                           ;   in Loop: Header=BB1370_608 Depth=1
	s_or_b64 exec, exec, s[24:25]
	s_and_b64 s[0:1], s[26:27], exec
.LBB1370_649:                           ;   in Loop: Header=BB1370_608 Depth=1
	s_or_b64 exec, exec, s[22:23]
	s_xor_b64 s[0:1], s[0:1], -1
	s_and_b64 s[2:3], s[0:1], exec
.LBB1370_650:                           ;   in Loop: Header=BB1370_608 Depth=1
	s_or_b64 exec, exec, s[16:17]
	s_orn2_b64 s[16:17], s[2:3], exec
.LBB1370_651:                           ;   in Loop: Header=BB1370_608 Depth=1
	s_or_b64 exec, exec, s[20:21]
	v_cndmask_b32_e64 v2, v16, v17, s[16:17]
	v_cndmask_b32_e64 v3, v96, v31, s[16:17]
	v_add_u32_e32 v12, 1, v2
	v_add_u32_e32 v2, -1, v3
	v_min_u32_e32 v54, v12, v2
	v_lshl_add_u64 v[2:3], v[54:55], 3, v[10:11]
	flat_load_dwordx2 v[2:3], v[2:3]
	v_cndmask_b32_e64 v16, v12, v16, s[16:17]
	s_mov_b64 s[20:21], -1
	v_cndmask_b32_e64 v17, v17, v12, s[16:17]
	v_cmp_lt_u32_e64 s[0:1], v16, v96
	s_mov_b64 s[22:23], -1
	s_waitcnt vmcnt(0) lgkmcnt(0)
	v_cndmask_b32_e64 v82, v3, v70, s[16:17]
	v_cndmask_b32_e64 v83, v2, v71, s[16:17]
	;; [unrolled: 1-line block ×4, first 2 shown]
	s_and_saveexec_b64 s[24:25], s[0:1]
	s_cbranch_execz .LBB1370_661
; %bb.652:                              ;   in Loop: Header=BB1370_608 Depth=1
	v_cmp_lt_u32_e64 s[0:1], v17, v31
	s_mov_b64 s[2:3], 0
	s_and_saveexec_b64 s[22:23], s[0:1]
	s_cbranch_execz .LBB1370_660
; %bb.653:                              ;   in Loop: Header=BB1370_608 Depth=1
	s_mov_b64 s[0:1], -1
	s_and_saveexec_b64 s[26:27], vcc
	s_cbranch_execz .LBB1370_659
; %bb.654:                              ;   in Loop: Header=BB1370_608 Depth=1
	v_mad_u64_u32 v[2:3], s[0:1], v66, v85, v[8:9]
	v_mul_lo_u32 v12, v66, v84
	v_mul_lo_u32 v13, v67, v85
	v_add3_u32 v3, v13, v3, v12
	v_mad_u64_u32 v[12:13], s[0:1], v66, v83, v[8:9]
	v_mul_lo_u32 v14, v66, v82
	v_mul_lo_u32 v15, v67, v83
	v_add3_u32 v13, v15, v13, v14
	s_mov_b64 s[28:29], 0
	v_mov_b64_e32 v[14:15], v[6:7]
                                        ; implicit-def: $sgpr30_sgpr31
                                        ; implicit-def: $sgpr34_sgpr35
                                        ; implicit-def: $sgpr2_sgpr3
                                        ; implicit-def: $sgpr36_sgpr37
                                        ; implicit-def: $sgpr38_sgpr39
	s_branch .LBB1370_656
.LBB1370_655:                           ;   in Loop: Header=BB1370_656 Depth=2
	s_or_b64 exec, exec, s[40:41]
	s_and_b64 s[0:1], exec, s[34:35]
	s_or_b64 s[28:29], s[0:1], s[28:29]
	s_andn2_b64 s[0:1], s[38:39], exec
	s_and_b64 s[4:5], s[36:37], exec
	s_or_b64 s[38:39], s[0:1], s[4:5]
	s_andn2_b64 s[0:1], s[30:31], exec
	s_and_b64 s[4:5], s[2:3], exec
	s_or_b64 s[30:31], s[0:1], s[4:5]
	s_andn2_b64 exec, exec, s[28:29]
	s_cbranch_execz .LBB1370_658
.LBB1370_656:                           ;   Parent Loop BB1370_608 Depth=1
                                        ; =>  This Inner Loop Header: Depth=2
	flat_load_ushort v18, v[12:13]
	flat_load_ushort v19, v[2:3]
	s_andn2_b64 s[40:41], s[2:3], exec
	s_andn2_b64 s[36:37], s[36:37], exec
	s_or_b64 s[34:35], s[34:35], exec
	s_waitcnt vmcnt(0) lgkmcnt(0)
	v_cmp_le_u16_e64 s[2:3], v18, v19
	v_cmp_lt_u16_e64 s[0:1], v18, v19
	s_and_b64 s[2:3], s[2:3], s[38:39]
	s_or_b64 s[42:43], s[0:1], s[2:3]
	s_and_b64 s[0:1], s[42:43], exec
	v_cmp_eq_u16_e64 s[4:5], v18, v19
	s_or_b64 s[2:3], s[40:41], s[0:1]
	s_and_saveexec_b64 s[40:41], s[4:5]
	s_cbranch_execz .LBB1370_655
; %bb.657:                              ;   in Loop: Header=BB1370_656 Depth=2
	v_lshl_add_u64 v[14:15], v[14:15], 0, -1
	v_cmp_eq_u64_e64 s[0:1], 0, v[14:15]
	s_andn2_b64 s[4:5], s[36:37], exec
	s_and_b64 s[36:37], s[42:43], exec
	s_or_b64 s[36:37], s[4:5], s[36:37]
	s_andn2_b64 s[4:5], s[34:35], exec
	s_and_b64 s[0:1], s[0:1], exec
	v_lshl_add_u64 v[2:3], v[2:3], 0, 2
	v_lshl_add_u64 v[12:13], v[12:13], 0, 2
	s_andn2_b64 s[2:3], s[2:3], exec
	s_or_b64 s[34:35], s[4:5], s[0:1]
                                        ; implicit-def: $sgpr38_sgpr39
	s_branch .LBB1370_655
.LBB1370_658:                           ;   in Loop: Header=BB1370_608 Depth=1
	s_or_b64 exec, exec, s[28:29]
	s_xor_b64 s[0:1], s[30:31], -1
	s_orn2_b64 s[0:1], s[0:1], exec
.LBB1370_659:                           ;   in Loop: Header=BB1370_608 Depth=1
	s_or_b64 exec, exec, s[26:27]
	s_and_b64 s[2:3], s[0:1], exec
.LBB1370_660:                           ;   in Loop: Header=BB1370_608 Depth=1
	s_or_b64 exec, exec, s[22:23]
	s_orn2_b64 s[22:23], s[2:3], exec
.LBB1370_661:                           ;   in Loop: Header=BB1370_608 Depth=1
	s_or_b64 exec, exec, s[24:25]
	v_cndmask_b32_e64 v2, v16, v17, s[22:23]
	v_cndmask_b32_e64 v3, v96, v31, s[22:23]
	v_add_u32_e32 v12, 1, v2
	v_add_u32_e32 v2, -1, v3
	v_min_u32_e32 v54, v12, v2
	v_lshl_add_u64 v[2:3], v[54:55], 3, v[10:11]
	flat_load_dwordx2 v[2:3], v[2:3]
	v_cndmask_b32_e64 v16, v12, v16, s[22:23]
	v_cndmask_b32_e64 v17, v17, v12, s[22:23]
	v_cmp_lt_u32_e64 s[0:1], v16, v96
	s_waitcnt vmcnt(0) lgkmcnt(0)
	v_cndmask_b32_e64 v86, v3, v82, s[22:23]
	v_cndmask_b32_e64 v87, v2, v83, s[22:23]
	v_cndmask_b32_e64 v97, v84, v3, s[22:23]
	v_cndmask_b32_e64 v98, v85, v2, s[22:23]
	s_and_saveexec_b64 s[24:25], s[0:1]
	s_cbranch_execz .LBB1370_671
; %bb.662:                              ;   in Loop: Header=BB1370_608 Depth=1
	v_cmp_lt_u32_e64 s[0:1], v17, v31
	s_mov_b64 s[2:3], 0
	s_and_saveexec_b64 s[20:21], s[0:1]
	s_cbranch_execz .LBB1370_670
; %bb.663:                              ;   in Loop: Header=BB1370_608 Depth=1
	s_mov_b64 s[0:1], -1
	s_and_saveexec_b64 s[26:27], vcc
	s_cbranch_execz .LBB1370_669
; %bb.664:                              ;   in Loop: Header=BB1370_608 Depth=1
	v_mad_u64_u32 v[2:3], s[0:1], v66, v98, v[8:9]
	v_mul_lo_u32 v12, v66, v97
	v_mul_lo_u32 v13, v67, v98
	v_add3_u32 v3, v13, v3, v12
	v_mad_u64_u32 v[12:13], s[0:1], v66, v87, v[8:9]
	v_mul_lo_u32 v14, v66, v86
	v_mul_lo_u32 v15, v67, v87
	v_add3_u32 v13, v15, v13, v14
	s_mov_b64 s[28:29], 0
	v_mov_b64_e32 v[14:15], v[6:7]
                                        ; implicit-def: $sgpr30_sgpr31
                                        ; implicit-def: $sgpr34_sgpr35
                                        ; implicit-def: $sgpr2_sgpr3
                                        ; implicit-def: $sgpr36_sgpr37
                                        ; implicit-def: $sgpr38_sgpr39
	s_branch .LBB1370_666
.LBB1370_665:                           ;   in Loop: Header=BB1370_666 Depth=2
	s_or_b64 exec, exec, s[40:41]
	s_and_b64 s[0:1], exec, s[34:35]
	s_or_b64 s[28:29], s[0:1], s[28:29]
	s_andn2_b64 s[0:1], s[38:39], exec
	s_and_b64 s[4:5], s[36:37], exec
	s_or_b64 s[38:39], s[0:1], s[4:5]
	s_andn2_b64 s[0:1], s[30:31], exec
	s_and_b64 s[4:5], s[2:3], exec
	s_or_b64 s[30:31], s[0:1], s[4:5]
	s_andn2_b64 exec, exec, s[28:29]
	s_cbranch_execz .LBB1370_668
.LBB1370_666:                           ;   Parent Loop BB1370_608 Depth=1
                                        ; =>  This Inner Loop Header: Depth=2
	flat_load_ushort v18, v[12:13]
	flat_load_ushort v19, v[2:3]
	s_andn2_b64 s[40:41], s[2:3], exec
	s_andn2_b64 s[36:37], s[36:37], exec
	s_or_b64 s[34:35], s[34:35], exec
	s_waitcnt vmcnt(0) lgkmcnt(0)
	v_cmp_le_u16_e64 s[2:3], v18, v19
	v_cmp_lt_u16_e64 s[0:1], v18, v19
	s_and_b64 s[2:3], s[2:3], s[38:39]
	s_or_b64 s[42:43], s[0:1], s[2:3]
	s_and_b64 s[0:1], s[42:43], exec
	v_cmp_eq_u16_e64 s[4:5], v18, v19
	s_or_b64 s[2:3], s[40:41], s[0:1]
	s_and_saveexec_b64 s[40:41], s[4:5]
	s_cbranch_execz .LBB1370_665
; %bb.667:                              ;   in Loop: Header=BB1370_666 Depth=2
	v_lshl_add_u64 v[14:15], v[14:15], 0, -1
	v_cmp_eq_u64_e64 s[0:1], 0, v[14:15]
	s_andn2_b64 s[4:5], s[36:37], exec
	s_and_b64 s[36:37], s[42:43], exec
	s_or_b64 s[36:37], s[4:5], s[36:37]
	s_andn2_b64 s[4:5], s[34:35], exec
	s_and_b64 s[0:1], s[0:1], exec
	v_lshl_add_u64 v[2:3], v[2:3], 0, 2
	v_lshl_add_u64 v[12:13], v[12:13], 0, 2
	s_andn2_b64 s[2:3], s[2:3], exec
	s_or_b64 s[34:35], s[4:5], s[0:1]
                                        ; implicit-def: $sgpr38_sgpr39
	s_branch .LBB1370_665
.LBB1370_668:                           ;   in Loop: Header=BB1370_608 Depth=1
	s_or_b64 exec, exec, s[28:29]
	s_xor_b64 s[0:1], s[30:31], -1
	s_orn2_b64 s[0:1], s[0:1], exec
.LBB1370_669:                           ;   in Loop: Header=BB1370_608 Depth=1
	s_or_b64 exec, exec, s[26:27]
	s_and_b64 s[2:3], s[0:1], exec
.LBB1370_670:                           ;   in Loop: Header=BB1370_608 Depth=1
	s_or_b64 exec, exec, s[20:21]
	s_orn2_b64 s[20:21], s[2:3], exec
.LBB1370_671:                           ;   in Loop: Header=BB1370_608 Depth=1
	s_or_b64 exec, exec, s[24:25]
	v_cndmask_b32_e64 v2, v16, v17, s[20:21]
	v_cndmask_b32_e64 v3, v96, v31, s[20:21]
	v_add_u32_e32 v12, 1, v2
	v_add_u32_e32 v2, -1, v3
	v_min_u32_e32 v54, v12, v2
	v_lshl_add_u64 v[2:3], v[54:55], 3, v[10:11]
	flat_load_dwordx2 v[2:3], v[2:3]
	v_cndmask_b32_e64 v16, v12, v16, s[20:21]
	s_mov_b64 s[24:25], -1
	v_cndmask_b32_e64 v17, v17, v12, s[20:21]
	v_cmp_lt_u32_e64 s[0:1], v16, v96
	s_mov_b64 s[26:27], -1
	s_waitcnt vmcnt(0) lgkmcnt(0)
	v_cndmask_b32_e64 v99, v3, v86, s[20:21]
	v_cndmask_b32_e64 v100, v2, v87, s[20:21]
	;; [unrolled: 1-line block ×4, first 2 shown]
	s_and_saveexec_b64 s[28:29], s[0:1]
	s_cbranch_execz .LBB1370_681
; %bb.672:                              ;   in Loop: Header=BB1370_608 Depth=1
	v_cmp_lt_u32_e64 s[0:1], v17, v31
	s_mov_b64 s[2:3], 0
	s_and_saveexec_b64 s[26:27], s[0:1]
	s_cbranch_execz .LBB1370_680
; %bb.673:                              ;   in Loop: Header=BB1370_608 Depth=1
	s_mov_b64 s[0:1], -1
	s_and_saveexec_b64 s[30:31], vcc
	s_cbranch_execz .LBB1370_679
; %bb.674:                              ;   in Loop: Header=BB1370_608 Depth=1
	v_mad_u64_u32 v[2:3], s[0:1], v66, v102, v[8:9]
	v_mul_lo_u32 v12, v66, v101
	v_mul_lo_u32 v13, v67, v102
	v_add3_u32 v3, v13, v3, v12
	v_mad_u64_u32 v[12:13], s[0:1], v66, v100, v[8:9]
	v_mul_lo_u32 v14, v66, v99
	v_mul_lo_u32 v15, v67, v100
	v_add3_u32 v13, v15, v13, v14
	s_mov_b64 s[34:35], 0
	v_mov_b64_e32 v[14:15], v[6:7]
                                        ; implicit-def: $sgpr36_sgpr37
                                        ; implicit-def: $sgpr38_sgpr39
                                        ; implicit-def: $sgpr2_sgpr3
                                        ; implicit-def: $sgpr40_sgpr41
                                        ; implicit-def: $sgpr42_sgpr43
	s_branch .LBB1370_676
.LBB1370_675:                           ;   in Loop: Header=BB1370_676 Depth=2
	s_or_b64 exec, exec, s[44:45]
	s_and_b64 s[0:1], exec, s[38:39]
	s_or_b64 s[34:35], s[0:1], s[34:35]
	s_andn2_b64 s[0:1], s[42:43], exec
	s_and_b64 s[4:5], s[40:41], exec
	s_or_b64 s[42:43], s[0:1], s[4:5]
	s_andn2_b64 s[0:1], s[36:37], exec
	s_and_b64 s[4:5], s[2:3], exec
	s_or_b64 s[36:37], s[0:1], s[4:5]
	s_andn2_b64 exec, exec, s[34:35]
	s_cbranch_execz .LBB1370_678
.LBB1370_676:                           ;   Parent Loop BB1370_608 Depth=1
                                        ; =>  This Inner Loop Header: Depth=2
	flat_load_ushort v18, v[12:13]
	flat_load_ushort v19, v[2:3]
	s_andn2_b64 s[44:45], s[2:3], exec
	s_andn2_b64 s[40:41], s[40:41], exec
	s_or_b64 s[38:39], s[38:39], exec
	s_waitcnt vmcnt(0) lgkmcnt(0)
	v_cmp_le_u16_e64 s[2:3], v18, v19
	v_cmp_lt_u16_e64 s[0:1], v18, v19
	s_and_b64 s[2:3], s[2:3], s[42:43]
	s_or_b64 s[46:47], s[0:1], s[2:3]
	s_and_b64 s[0:1], s[46:47], exec
	v_cmp_eq_u16_e64 s[4:5], v18, v19
	s_or_b64 s[2:3], s[44:45], s[0:1]
	s_and_saveexec_b64 s[44:45], s[4:5]
	s_cbranch_execz .LBB1370_675
; %bb.677:                              ;   in Loop: Header=BB1370_676 Depth=2
	v_lshl_add_u64 v[14:15], v[14:15], 0, -1
	v_cmp_eq_u64_e64 s[0:1], 0, v[14:15]
	s_andn2_b64 s[4:5], s[40:41], exec
	s_and_b64 s[40:41], s[46:47], exec
	s_or_b64 s[40:41], s[4:5], s[40:41]
	s_andn2_b64 s[4:5], s[38:39], exec
	s_and_b64 s[0:1], s[0:1], exec
	v_lshl_add_u64 v[2:3], v[2:3], 0, 2
	v_lshl_add_u64 v[12:13], v[12:13], 0, 2
	s_andn2_b64 s[2:3], s[2:3], exec
	s_or_b64 s[38:39], s[4:5], s[0:1]
                                        ; implicit-def: $sgpr42_sgpr43
	s_branch .LBB1370_675
.LBB1370_678:                           ;   in Loop: Header=BB1370_608 Depth=1
	s_or_b64 exec, exec, s[34:35]
	s_xor_b64 s[0:1], s[36:37], -1
	s_orn2_b64 s[0:1], s[0:1], exec
.LBB1370_679:                           ;   in Loop: Header=BB1370_608 Depth=1
	s_or_b64 exec, exec, s[30:31]
	s_and_b64 s[2:3], s[0:1], exec
.LBB1370_680:                           ;   in Loop: Header=BB1370_608 Depth=1
	s_or_b64 exec, exec, s[26:27]
	s_orn2_b64 s[26:27], s[2:3], exec
.LBB1370_681:                           ;   in Loop: Header=BB1370_608 Depth=1
	s_or_b64 exec, exec, s[28:29]
	v_cndmask_b32_e64 v2, v16, v17, s[26:27]
	v_cndmask_b32_e64 v3, v96, v31, s[26:27]
	v_add_u32_e32 v12, 1, v2
	v_add_u32_e32 v2, -1, v3
	v_min_u32_e32 v54, v12, v2
	v_lshl_add_u64 v[2:3], v[54:55], 3, v[10:11]
	flat_load_dwordx2 v[2:3], v[2:3]
	v_cndmask_b32_e64 v18, v12, v16, s[26:27]
	v_cndmask_b32_e64 v16, v17, v12, s[26:27]
	v_cmp_lt_u32_e64 s[0:1], v18, v96
	s_waitcnt vmcnt(0) lgkmcnt(0)
	v_cndmask_b32_e64 v103, v3, v99, s[26:27]
	v_cndmask_b32_e64 v112, v2, v100, s[26:27]
	;; [unrolled: 1-line block ×4, first 2 shown]
	s_and_saveexec_b64 s[28:29], s[0:1]
	s_cbranch_execz .LBB1370_691
; %bb.682:                              ;   in Loop: Header=BB1370_608 Depth=1
	v_cmp_lt_u32_e64 s[0:1], v16, v31
	s_mov_b64 s[2:3], 0
	s_and_saveexec_b64 s[24:25], s[0:1]
	s_cbranch_execz .LBB1370_690
; %bb.683:                              ;   in Loop: Header=BB1370_608 Depth=1
	s_mov_b64 s[0:1], -1
	s_and_saveexec_b64 s[30:31], vcc
	s_cbranch_execz .LBB1370_689
; %bb.684:                              ;   in Loop: Header=BB1370_608 Depth=1
	v_mad_u64_u32 v[2:3], s[0:1], v66, v114, v[8:9]
	v_mul_lo_u32 v12, v66, v113
	v_mul_lo_u32 v13, v67, v114
	v_add3_u32 v3, v13, v3, v12
	v_mad_u64_u32 v[12:13], s[0:1], v66, v112, v[8:9]
	v_mul_lo_u32 v14, v66, v103
	v_mul_lo_u32 v15, v67, v112
	v_add3_u32 v13, v15, v13, v14
	s_mov_b64 s[34:35], 0
	v_mov_b64_e32 v[14:15], v[6:7]
                                        ; implicit-def: $sgpr36_sgpr37
                                        ; implicit-def: $sgpr38_sgpr39
                                        ; implicit-def: $sgpr2_sgpr3
                                        ; implicit-def: $sgpr40_sgpr41
                                        ; implicit-def: $sgpr42_sgpr43
	s_branch .LBB1370_686
.LBB1370_685:                           ;   in Loop: Header=BB1370_686 Depth=2
	s_or_b64 exec, exec, s[44:45]
	s_and_b64 s[0:1], exec, s[38:39]
	s_or_b64 s[34:35], s[0:1], s[34:35]
	s_andn2_b64 s[0:1], s[42:43], exec
	s_and_b64 s[4:5], s[40:41], exec
	s_or_b64 s[42:43], s[0:1], s[4:5]
	s_andn2_b64 s[0:1], s[36:37], exec
	s_and_b64 s[4:5], s[2:3], exec
	s_or_b64 s[36:37], s[0:1], s[4:5]
	s_andn2_b64 exec, exec, s[34:35]
	s_cbranch_execz .LBB1370_688
.LBB1370_686:                           ;   Parent Loop BB1370_608 Depth=1
                                        ; =>  This Inner Loop Header: Depth=2
	flat_load_ushort v17, v[12:13]
	flat_load_ushort v19, v[2:3]
	s_andn2_b64 s[44:45], s[2:3], exec
	s_andn2_b64 s[40:41], s[40:41], exec
	s_or_b64 s[38:39], s[38:39], exec
	s_waitcnt vmcnt(0) lgkmcnt(0)
	v_cmp_le_u16_e64 s[2:3], v17, v19
	v_cmp_lt_u16_e64 s[0:1], v17, v19
	s_and_b64 s[2:3], s[2:3], s[42:43]
	s_or_b64 s[46:47], s[0:1], s[2:3]
	s_and_b64 s[0:1], s[46:47], exec
	v_cmp_eq_u16_e64 s[4:5], v17, v19
	s_or_b64 s[2:3], s[44:45], s[0:1]
	s_and_saveexec_b64 s[44:45], s[4:5]
	s_cbranch_execz .LBB1370_685
; %bb.687:                              ;   in Loop: Header=BB1370_686 Depth=2
	v_lshl_add_u64 v[14:15], v[14:15], 0, -1
	v_cmp_eq_u64_e64 s[0:1], 0, v[14:15]
	s_andn2_b64 s[4:5], s[40:41], exec
	s_and_b64 s[40:41], s[46:47], exec
	s_or_b64 s[40:41], s[4:5], s[40:41]
	s_andn2_b64 s[4:5], s[38:39], exec
	s_and_b64 s[0:1], s[0:1], exec
	v_lshl_add_u64 v[2:3], v[2:3], 0, 2
	v_lshl_add_u64 v[12:13], v[12:13], 0, 2
	s_andn2_b64 s[2:3], s[2:3], exec
	s_or_b64 s[38:39], s[4:5], s[0:1]
                                        ; implicit-def: $sgpr42_sgpr43
	s_branch .LBB1370_685
.LBB1370_688:                           ;   in Loop: Header=BB1370_608 Depth=1
	s_or_b64 exec, exec, s[34:35]
	s_xor_b64 s[0:1], s[36:37], -1
	s_orn2_b64 s[0:1], s[0:1], exec
.LBB1370_689:                           ;   in Loop: Header=BB1370_608 Depth=1
	s_or_b64 exec, exec, s[30:31]
	s_and_b64 s[2:3], s[0:1], exec
.LBB1370_690:                           ;   in Loop: Header=BB1370_608 Depth=1
	s_or_b64 exec, exec, s[24:25]
	s_orn2_b64 s[24:25], s[2:3], exec
.LBB1370_691:                           ;   in Loop: Header=BB1370_608 Depth=1
	s_or_b64 exec, exec, s[28:29]
	v_cndmask_b32_e64 v2, v18, v16, s[24:25]
	v_cndmask_b32_e64 v3, v96, v31, s[24:25]
	v_add_u32_e32 v14, 1, v2
	v_add_u32_e32 v2, -1, v3
	v_min_u32_e32 v54, v14, v2
	v_lshl_add_u64 v[2:3], v[54:55], 3, v[10:11]
	flat_load_dwordx2 v[12:13], v[2:3]
	v_cndmask_b32_e64 v15, v14, v18, s[24:25]
	v_cmp_lt_u32_e64 s[0:1], v15, v96
	s_waitcnt vmcnt(0) lgkmcnt(0)
	v_cndmask_b32_e64 v3, v113, v13, s[24:25]
	v_cndmask_b32_e64 v2, v114, v12, s[24:25]
	s_and_saveexec_b64 s[28:29], s[0:1]
	s_cbranch_execz .LBB1370_701
; %bb.692:                              ;   in Loop: Header=BB1370_608 Depth=1
	v_cndmask_b32_e64 v14, v16, v14, s[24:25]
	v_cndmask_b32_e64 v13, v13, v103, s[24:25]
	;; [unrolled: 1-line block ×3, first 2 shown]
	v_cmp_lt_u32_e64 s[0:1], v14, v31
	s_and_saveexec_b64 s[30:31], s[0:1]
	s_cbranch_execz .LBB1370_700
; %bb.693:                              ;   in Loop: Header=BB1370_608 Depth=1
	s_and_saveexec_b64 s[34:35], vcc
	s_cbranch_execz .LBB1370_699
; %bb.694:                              ;   in Loop: Header=BB1370_608 Depth=1
	v_mad_u64_u32 v[14:15], s[0:1], v66, v2, v[8:9]
	v_mul_lo_u32 v16, v66, v3
	v_mul_lo_u32 v17, v67, v2
	v_add3_u32 v15, v17, v15, v16
	v_mad_u64_u32 v[16:17], s[0:1], v66, v12, v[8:9]
	v_mul_lo_u32 v18, v66, v13
	v_mul_lo_u32 v19, v67, v12
	v_add3_u32 v17, v19, v17, v18
	s_mov_b64 s[36:37], 0
	v_mov_b64_e32 v[18:19], v[6:7]
                                        ; implicit-def: $sgpr38_sgpr39
                                        ; implicit-def: $sgpr40_sgpr41
                                        ; implicit-def: $sgpr2_sgpr3
                                        ; implicit-def: $sgpr42_sgpr43
                                        ; implicit-def: $sgpr44_sgpr45
	s_branch .LBB1370_696
.LBB1370_695:                           ;   in Loop: Header=BB1370_696 Depth=2
	s_or_b64 exec, exec, s[46:47]
	s_and_b64 s[0:1], exec, s[40:41]
	s_or_b64 s[36:37], s[0:1], s[36:37]
	s_andn2_b64 s[0:1], s[44:45], exec
	s_and_b64 s[4:5], s[42:43], exec
	s_or_b64 s[44:45], s[0:1], s[4:5]
	s_andn2_b64 s[0:1], s[38:39], exec
	s_and_b64 s[4:5], s[2:3], exec
	s_or_b64 s[38:39], s[0:1], s[4:5]
	s_andn2_b64 exec, exec, s[36:37]
	s_cbranch_execz .LBB1370_698
.LBB1370_696:                           ;   Parent Loop BB1370_608 Depth=1
                                        ; =>  This Inner Loop Header: Depth=2
	flat_load_ushort v31, v[16:17]
	flat_load_ushort v54, v[14:15]
	s_andn2_b64 s[46:47], s[2:3], exec
	s_andn2_b64 s[42:43], s[42:43], exec
	s_or_b64 s[40:41], s[40:41], exec
	s_waitcnt vmcnt(0) lgkmcnt(0)
	v_cmp_le_u16_e64 s[2:3], v31, v54
	v_cmp_lt_u16_e64 s[0:1], v31, v54
	s_and_b64 s[2:3], s[2:3], s[44:45]
	s_or_b64 s[48:49], s[0:1], s[2:3]
	s_and_b64 s[0:1], s[48:49], exec
	v_cmp_eq_u16_e64 s[4:5], v31, v54
	s_or_b64 s[2:3], s[46:47], s[0:1]
	s_and_saveexec_b64 s[46:47], s[4:5]
	s_cbranch_execz .LBB1370_695
; %bb.697:                              ;   in Loop: Header=BB1370_696 Depth=2
	v_lshl_add_u64 v[18:19], v[18:19], 0, -1
	v_cmp_eq_u64_e64 s[0:1], 0, v[18:19]
	s_andn2_b64 s[4:5], s[42:43], exec
	s_and_b64 s[42:43], s[48:49], exec
	s_or_b64 s[42:43], s[4:5], s[42:43]
	s_andn2_b64 s[4:5], s[40:41], exec
	s_and_b64 s[0:1], s[0:1], exec
	v_lshl_add_u64 v[14:15], v[14:15], 0, 2
	v_lshl_add_u64 v[16:17], v[16:17], 0, 2
	s_andn2_b64 s[2:3], s[2:3], exec
	s_or_b64 s[40:41], s[4:5], s[0:1]
                                        ; implicit-def: $sgpr44_sgpr45
	s_branch .LBB1370_695
.LBB1370_698:                           ;   in Loop: Header=BB1370_608 Depth=1
	s_or_b64 exec, exec, s[36:37]
	v_cndmask_b32_e64 v3, v3, v13, s[38:39]
	v_cndmask_b32_e64 v2, v2, v12, s[38:39]
.LBB1370_699:                           ;   in Loop: Header=BB1370_608 Depth=1
	s_or_b64 exec, exec, s[34:35]
	v_mov_b64_e32 v[12:13], v[2:3]
.LBB1370_700:                           ;   in Loop: Header=BB1370_608 Depth=1
	s_or_b64 exec, exec, s[30:31]
	v_mov_b64_e32 v[2:3], v[12:13]
.LBB1370_701:                           ;   in Loop: Header=BB1370_608 Depth=1
	s_or_b64 exec, exec, s[28:29]
	v_cndmask_b32_e64 v15, v99, v101, s[26:27]
	v_cndmask_b32_e64 v14, v100, v102, s[26:27]
	;; [unrolled: 1-line block ×14, first 2 shown]
.LBB1370_702:                           ;   in Loop: Header=BB1370_608 Depth=1
	s_or_b64 exec, exec, s[10:11]
	s_cmpk_lt_u32 s50, 0x400
	s_barrier
	s_cbranch_scc0 .LBB1370_704
; %bb.703:                              ;   in Loop: Header=BB1370_608 Depth=1
	s_mov_b32 s50, s51
	s_branch .LBB1370_608
.LBB1370_704:
	s_barrier
	flat_store_dwordx4 v[52:53], v[20:23]
	flat_store_dwordx4 v[52:53], v[16:19] offset:16
	flat_store_dwordx4 v[52:53], v[12:15] offset:32
	;; [unrolled: 1-line block ×3, first 2 shown]
	s_waitcnt lgkmcnt(0)
	s_barrier
	flat_load_dwordx2 v[0:1], v[24:25]
	flat_load_dwordx2 v[2:3], v[26:27] offset:2048
	flat_load_dwordx2 v[6:7], v[34:35]
	flat_load_dwordx2 v[8:9], v[32:33]
	;; [unrolled: 1-line block ×6, first 2 shown]
	v_mov_b32_e32 v31, 0
	s_movk_i32 s0, 0x1000
	v_lshl_add_u64 v[18:19], v[4:5], 0, v[30:31]
	v_add_co_u32_e32 v20, vcc, s0, v18
	s_mov_b64 s[38:39], exec
	s_nop 0
	v_addc_co_u32_e32 v21, vcc, 0, v19, vcc
	v_add_co_u32_e32 v22, vcc, 0x2000, v18
                                        ; implicit-def: $vgpr64
                                        ; implicit-def: $vgpr65
                                        ; implicit-def: $vgpr30
                                        ; implicit-def: $vgpr32
	s_nop 1
	v_addc_co_u32_e32 v23, vcc, 0, v19, vcc
	v_add_co_u32_e32 v24, vcc, 0x3000, v18
	s_nop 1
	v_addc_co_u32_e32 v25, vcc, 0, v19, vcc
	s_waitcnt vmcnt(0) lgkmcnt(0)
	flat_store_dwordx2 v[18:19], v[0:1]
	flat_store_dwordx2 v[18:19], v[2:3] offset:2048
	flat_store_dwordx2 v[20:21], v[6:7]
	flat_store_dwordx2 v[20:21], v[8:9] offset:2048
	;; [unrolled: 2-line block ×3, first 2 shown]
	flat_store_dwordx2 v[24:25], v[16:17]
                                        ; implicit-def: $vgpr0
                                        ; implicit-def: $vgpr6_vgpr7
                                        ; implicit-def: $vgpr2_vgpr3
                                        ; implicit-def: $vgpr8_vgpr9
                                        ; implicit-def: $vgpr10_vgpr11
                                        ; implicit-def: $vgpr1
	s_andn2_saveexec_b64 s[40:41], s[6:7]
	s_cbranch_execz .LBB1370_2
.LBB1370_705:
	v_cmp_lt_u32_e32 vcc, v28, v0
                                        ; implicit-def: $vgpr12_vgpr13
	s_and_saveexec_b64 s[0:1], vcc
	s_cbranch_execz .LBB1370_707
; %bb.706:
	v_mov_b32_e32 v31, 0
	v_lshl_add_u64 v[12:13], v[2:3], 0, v[30:31]
	flat_load_dwordx2 v[12:13], v[12:13]
.LBB1370_707:
	s_or_b64 exec, exec, s[0:1]
	v_add_u32_e32 v33, 0x100, v28
	v_cmp_lt_u32_e64 s[0:1], v33, v0
                                        ; implicit-def: $vgpr14_vgpr15
	s_and_saveexec_b64 s[2:3], s[0:1]
	s_cbranch_execz .LBB1370_709
; %bb.708:
	v_mov_b32_e32 v31, 0
	v_lshl_add_u64 v[14:15], v[2:3], 0, v[30:31]
	flat_load_dwordx2 v[14:15], v[14:15] offset:2048
.LBB1370_709:
	s_or_b64 exec, exec, s[2:3]
	v_add_u32_e32 v31, 0x200, v28
	v_cmp_lt_u32_e64 s[2:3], v31, v0
                                        ; implicit-def: $vgpr16_vgpr17
	s_and_saveexec_b64 s[4:5], s[2:3]
	s_cbranch_execz .LBB1370_711
; %bb.710:
	v_lshlrev_b32_e32 v16, 3, v31
	v_mov_b32_e32 v17, 0
	v_lshl_add_u64 v[16:17], v[2:3], 0, v[16:17]
	flat_load_dwordx2 v[16:17], v[16:17]
.LBB1370_711:
	s_or_b64 exec, exec, s[4:5]
	v_add_u32_e32 v36, 0x300, v28
	v_cmp_lt_u32_e64 s[4:5], v36, v0
                                        ; implicit-def: $vgpr18_vgpr19
	s_and_saveexec_b64 s[6:7], s[4:5]
	s_cbranch_execz .LBB1370_713
; %bb.712:
	v_lshlrev_b32_e32 v18, 3, v36
	v_mov_b32_e32 v19, 0
	v_lshl_add_u64 v[18:19], v[2:3], 0, v[18:19]
	flat_load_dwordx2 v[18:19], v[18:19]
.LBB1370_713:
	s_or_b64 exec, exec, s[6:7]
	v_or_b32_e32 v38, 0x400, v28
	v_cmp_lt_u32_e64 s[6:7], v38, v0
                                        ; implicit-def: $vgpr20_vgpr21
	s_and_saveexec_b64 s[10:11], s[6:7]
	s_cbranch_execz .LBB1370_715
; %bb.714:
	v_lshlrev_b32_e32 v20, 3, v38
	v_mov_b32_e32 v21, 0
	v_lshl_add_u64 v[20:21], v[2:3], 0, v[20:21]
	flat_load_dwordx2 v[20:21], v[20:21]
.LBB1370_715:
	s_or_b64 exec, exec, s[10:11]
	v_add_u32_e32 v48, 0x500, v28
	v_cmp_lt_u32_e64 s[30:31], v48, v0
                                        ; implicit-def: $vgpr22_vgpr23
	s_and_saveexec_b64 s[10:11], s[30:31]
	s_cbranch_execz .LBB1370_717
; %bb.716:
	v_lshlrev_b32_e32 v22, 3, v48
	v_mov_b32_e32 v23, 0
	v_lshl_add_u64 v[22:23], v[2:3], 0, v[22:23]
	flat_load_dwordx2 v[22:23], v[22:23]
.LBB1370_717:
	s_or_b64 exec, exec, s[10:11]
	v_add_u32_e32 v50, 0x600, v28
	v_cmp_lt_u32_e64 s[10:11], v50, v0
                                        ; implicit-def: $vgpr24_vgpr25
	s_and_saveexec_b64 s[14:15], s[10:11]
	s_cbranch_execz .LBB1370_719
; %bb.718:
	v_lshlrev_b32_e32 v24, 3, v50
	v_mov_b32_e32 v25, 0
	v_lshl_add_u64 v[24:25], v[2:3], 0, v[24:25]
	flat_load_dwordx2 v[24:25], v[24:25]
.LBB1370_719:
	s_or_b64 exec, exec, s[14:15]
	v_add_u32_e32 v52, 0x700, v28
	v_cmp_lt_u32_e64 s[14:15], v52, v0
                                        ; implicit-def: $vgpr26_vgpr27
	s_and_saveexec_b64 s[16:17], s[14:15]
	s_cbranch_execz .LBB1370_721
; %bb.720:
	v_lshlrev_b32_e32 v26, 3, v52
	v_mov_b32_e32 v27, 0
	v_lshl_add_u64 v[2:3], v[2:3], 0, v[26:27]
	flat_load_dwordx2 v[26:27], v[2:3]
.LBB1370_721:
	s_or_b64 exec, exec, s[16:17]
	v_mov_b32_e32 v29, 0
	v_add_lshl_u32 v2, v32, v28, 3
	v_mov_b32_e32 v3, v29
	v_lshl_add_u64 v[2:3], v[10:11], 0, v[2:3]
	s_waitcnt vmcnt(0) lgkmcnt(0)
	flat_store_dwordx2 v[2:3], v[12:13]
	v_lshrrev_b32_e32 v12, 5, v33
	v_add_lshl_u32 v12, v12, v28, 3
	v_mov_b32_e32 v13, v29
	v_lshl_add_u64 v[32:33], v[10:11], 0, v[12:13]
	v_lshrrev_b32_e32 v12, 5, v31
	v_add_lshl_u32 v12, v12, v31, 3
	v_lshl_add_u64 v[34:35], v[10:11], 0, v[12:13]
	v_lshrrev_b32_e32 v12, 5, v36
	v_add_lshl_u32 v12, v12, v36, 3
	;; [unrolled: 3-line block ×6, first 2 shown]
	v_lshl_add_u64 v[52:53], v[10:11], 0, v[12:13]
	v_add_lshl_u32 v12, v1, v30, 3
	v_lshl_add_u64 v[54:55], v[10:11], 0, v[12:13]
	flat_store_dwordx2 v[32:33], v[14:15] offset:2048
	flat_store_dwordx2 v[34:35], v[16:17]
	flat_store_dwordx2 v[36:37], v[18:19]
	;; [unrolled: 1-line block ×6, first 2 shown]
	s_waitcnt lgkmcnt(0)
	s_barrier
	flat_load_dwordx4 v[24:27], v[54:55]
	flat_load_dwordx4 v[20:23], v[54:55] offset:16
	flat_load_dwordx4 v[16:19], v[54:55] offset:32
	;; [unrolled: 1-line block ×3, first 2 shown]
	s_waitcnt lgkmcnt(0)
	s_barrier
	s_load_dwordx2 s[16:17], s[8:9], 0x0
	s_waitcnt lgkmcnt(0)
	s_cmp_lt_u32 s12, s16
	s_cselect_b32 s16, 12, 18
	s_cmp_lt_u32 s13, s17
	s_cselect_b32 s12, 14, 20
	s_add_u32 s12, s8, s12
	s_addc_u32 s13, s9, 0
	s_add_u32 s8, s8, s16
	s_addc_u32 s9, s9, 0
	global_load_ushort v1, v29, s[12:13]
	global_load_ushort v31, v29, s[8:9]
	v_cmp_lt_i64_e64 s[8:9], 0, v[6:7]
	s_waitcnt vmcnt(0)
	v_mad_u32_u24 v1, v65, v1, v64
	v_mul_lo_u32 v1, v1, v31
	v_add_lshl_u32 v1, v1, v28, 3
	v_sub_u32_e64 v31, v0, v1 clamp
	v_cmp_lt_u32_e64 s[16:17], 1, v31
	s_and_saveexec_b64 s[22:23], s[16:17]
	s_cbranch_execnz .LBB1370_725
; %bb.722:
	s_or_b64 exec, exec, s[22:23]
	v_cmp_lt_u32_e64 s[18:19], 3, v31
	s_and_saveexec_b64 s[24:25], s[18:19]
	s_cbranch_execnz .LBB1370_734
.LBB1370_723:
	s_or_b64 exec, exec, s[24:25]
	v_cmp_lt_u32_e64 s[20:21], 5, v31
	s_and_saveexec_b64 s[26:27], s[20:21]
	s_cbranch_execnz .LBB1370_743
.LBB1370_724:
	s_or_b64 exec, exec, s[26:27]
	v_cmp_lt_u32_e64 s[22:23], 7, v31
	s_and_saveexec_b64 s[28:29], s[22:23]
	s_cbranch_execnz .LBB1370_752
	s_branch .LBB1370_761
.LBB1370_725:
	s_and_saveexec_b64 s[24:25], s[8:9]
	s_cbranch_execz .LBB1370_733
; %bb.726:
	v_mul_lo_u32 v66, v25, v6
	v_mul_lo_u32 v67, v24, v7
	v_mad_u64_u32 v[64:65], s[12:13], v24, v6, 0
	v_add3_u32 v65, v65, v67, v66
	v_mul_lo_u32 v68, v27, v6
	v_mul_lo_u32 v69, v26, v7
	v_mad_u64_u32 v[66:67], s[12:13], v26, v6, 0
	v_add3_u32 v67, v67, v69, v68
	v_lshl_add_u64 v[64:65], v[64:65], 1, v[8:9]
	v_lshl_add_u64 v[66:67], v[66:67], 1, v[8:9]
	s_mov_b64 s[28:29], 0
	v_mov_b64_e32 v[68:69], v[6:7]
                                        ; implicit-def: $sgpr26_sgpr27
                                        ; implicit-def: $sgpr34_sgpr35
                                        ; implicit-def: $sgpr42_sgpr43
                                        ; implicit-def: $sgpr36_sgpr37
                                        ; implicit-def: $sgpr44_sgpr45
                                        ; implicit-def: $sgpr46_sgpr47
	s_branch .LBB1370_728
.LBB1370_727:                           ;   in Loop: Header=BB1370_728 Depth=1
	s_or_b64 exec, exec, s[48:49]
	s_and_b64 s[12:13], exec, s[42:43]
	s_or_b64 s[28:29], s[12:13], s[28:29]
	s_andn2_b64 s[12:13], s[46:47], exec
	s_and_b64 s[20:21], s[44:45], exec
	s_or_b64 s[46:47], s[12:13], s[20:21]
	s_andn2_b64 s[12:13], s[34:35], exec
	s_and_b64 s[20:21], s[36:37], exec
	;; [unrolled: 3-line block ×3, first 2 shown]
	s_or_b64 s[26:27], s[12:13], s[18:19]
	s_andn2_b64 exec, exec, s[28:29]
	s_cbranch_execz .LBB1370_730
.LBB1370_728:                           ; =>This Inner Loop Header: Depth=1
	flat_load_ushort v70, v[66:67]
	flat_load_ushort v71, v[64:65]
	s_andn2_b64 s[44:45], s[44:45], exec
	s_or_b64 s[36:37], s[36:37], exec
	s_or_b64 s[42:43], s[42:43], exec
	s_waitcnt vmcnt(0) lgkmcnt(0)
	v_cmp_le_u16_e64 s[18:19], v70, v71
	v_cmp_lt_u16_e64 s[12:13], v70, v71
	s_and_b64 s[18:19], s[18:19], s[46:47]
	v_cmp_eq_u16_e64 s[20:21], v70, v71
	s_or_b64 s[18:19], s[12:13], s[18:19]
	s_and_saveexec_b64 s[48:49], s[20:21]
	s_cbranch_execz .LBB1370_727
; %bb.729:                              ;   in Loop: Header=BB1370_728 Depth=1
	v_lshl_add_u64 v[68:69], v[68:69], 0, -1
	v_cmp_eq_u64_e64 s[12:13], 0, v[68:69]
	s_andn2_b64 s[20:21], s[44:45], exec
	s_and_b64 s[44:45], s[18:19], exec
	s_or_b64 s[44:45], s[20:21], s[44:45]
	s_andn2_b64 s[20:21], s[42:43], exec
	s_and_b64 s[12:13], s[12:13], exec
	v_lshl_add_u64 v[64:65], v[64:65], 0, 2
	v_lshl_add_u64 v[66:67], v[66:67], 0, 2
	s_andn2_b64 s[36:37], s[36:37], exec
	s_or_b64 s[42:43], s[20:21], s[12:13]
                                        ; implicit-def: $sgpr46_sgpr47
	s_branch .LBB1370_727
.LBB1370_730:
	s_or_b64 exec, exec, s[28:29]
	s_and_saveexec_b64 s[12:13], s[34:35]
	s_xor_b64 s[12:13], exec, s[12:13]
; %bb.731:
	v_cndmask_b32_e64 v65, v27, v25, s[26:27]
	v_cndmask_b32_e64 v64, v26, v24, s[26:27]
	;; [unrolled: 1-line block ×4, first 2 shown]
	v_mov_b64_e32 v[26:27], v[64:65]
; %bb.732:
	s_or_b64 exec, exec, s[12:13]
.LBB1370_733:
	s_or_b64 exec, exec, s[24:25]
	s_or_b64 exec, exec, s[22:23]
	v_cmp_lt_u32_e64 s[18:19], 3, v31
	s_and_saveexec_b64 s[24:25], s[18:19]
	s_cbranch_execz .LBB1370_723
.LBB1370_734:
	s_and_saveexec_b64 s[26:27], s[8:9]
	s_cbranch_execz .LBB1370_742
; %bb.735:
	v_mul_lo_u32 v66, v21, v6
	v_mul_lo_u32 v67, v20, v7
	v_mad_u64_u32 v[64:65], s[12:13], v20, v6, 0
	v_add3_u32 v65, v65, v67, v66
	v_mul_lo_u32 v68, v23, v6
	v_mul_lo_u32 v69, v22, v7
	v_mad_u64_u32 v[66:67], s[12:13], v22, v6, 0
	v_add3_u32 v67, v67, v69, v68
	v_lshl_add_u64 v[64:65], v[64:65], 1, v[8:9]
	v_lshl_add_u64 v[66:67], v[66:67], 1, v[8:9]
	s_mov_b64 s[34:35], 0
	v_mov_b64_e32 v[68:69], v[6:7]
                                        ; implicit-def: $sgpr28_sgpr29
                                        ; implicit-def: $sgpr36_sgpr37
                                        ; implicit-def: $sgpr44_sgpr45
                                        ; implicit-def: $sgpr42_sgpr43
                                        ; implicit-def: $sgpr46_sgpr47
                                        ; implicit-def: $sgpr48_sgpr49
	s_branch .LBB1370_737
.LBB1370_736:                           ;   in Loop: Header=BB1370_737 Depth=1
	s_or_b64 exec, exec, s[50:51]
	s_and_b64 s[12:13], exec, s[44:45]
	s_or_b64 s[34:35], s[12:13], s[34:35]
	s_andn2_b64 s[12:13], s[48:49], exec
	s_and_b64 s[22:23], s[46:47], exec
	s_or_b64 s[48:49], s[12:13], s[22:23]
	s_andn2_b64 s[12:13], s[36:37], exec
	s_and_b64 s[22:23], s[42:43], exec
	;; [unrolled: 3-line block ×3, first 2 shown]
	s_or_b64 s[28:29], s[12:13], s[20:21]
	s_andn2_b64 exec, exec, s[34:35]
	s_cbranch_execz .LBB1370_739
.LBB1370_737:                           ; =>This Inner Loop Header: Depth=1
	flat_load_ushort v70, v[66:67]
	flat_load_ushort v71, v[64:65]
	s_andn2_b64 s[46:47], s[46:47], exec
	s_or_b64 s[42:43], s[42:43], exec
	s_or_b64 s[44:45], s[44:45], exec
	s_waitcnt vmcnt(0) lgkmcnt(0)
	v_cmp_le_u16_e64 s[20:21], v70, v71
	v_cmp_lt_u16_e64 s[12:13], v70, v71
	s_and_b64 s[20:21], s[20:21], s[48:49]
	v_cmp_eq_u16_e64 s[22:23], v70, v71
	s_or_b64 s[20:21], s[12:13], s[20:21]
	s_and_saveexec_b64 s[50:51], s[22:23]
	s_cbranch_execz .LBB1370_736
; %bb.738:                              ;   in Loop: Header=BB1370_737 Depth=1
	v_lshl_add_u64 v[68:69], v[68:69], 0, -1
	v_cmp_eq_u64_e64 s[12:13], 0, v[68:69]
	s_andn2_b64 s[22:23], s[46:47], exec
	s_and_b64 s[46:47], s[20:21], exec
	s_or_b64 s[46:47], s[22:23], s[46:47]
	s_andn2_b64 s[22:23], s[44:45], exec
	s_and_b64 s[12:13], s[12:13], exec
	v_lshl_add_u64 v[64:65], v[64:65], 0, 2
	v_lshl_add_u64 v[66:67], v[66:67], 0, 2
	s_andn2_b64 s[42:43], s[42:43], exec
	s_or_b64 s[44:45], s[22:23], s[12:13]
                                        ; implicit-def: $sgpr48_sgpr49
	s_branch .LBB1370_736
.LBB1370_739:
	s_or_b64 exec, exec, s[34:35]
	s_and_saveexec_b64 s[12:13], s[36:37]
	s_xor_b64 s[12:13], exec, s[12:13]
; %bb.740:
	v_cndmask_b32_e64 v65, v21, v23, s[28:29]
	v_cndmask_b32_e64 v64, v20, v22, s[28:29]
	v_cndmask_b32_e64 v23, v23, v21, s[28:29]
	v_cndmask_b32_e64 v22, v22, v20, s[28:29]
	v_mov_b64_e32 v[20:21], v[64:65]
; %bb.741:
	s_or_b64 exec, exec, s[12:13]
.LBB1370_742:
	s_or_b64 exec, exec, s[26:27]
	s_or_b64 exec, exec, s[24:25]
	v_cmp_lt_u32_e64 s[20:21], 5, v31
	s_and_saveexec_b64 s[26:27], s[20:21]
	s_cbranch_execz .LBB1370_724
.LBB1370_743:
	s_and_saveexec_b64 s[28:29], s[8:9]
	s_cbranch_execz .LBB1370_751
; %bb.744:
	v_mul_lo_u32 v66, v17, v6
	v_mul_lo_u32 v67, v16, v7
	v_mad_u64_u32 v[64:65], s[12:13], v16, v6, 0
	v_add3_u32 v65, v65, v67, v66
	v_mul_lo_u32 v68, v19, v6
	v_mul_lo_u32 v69, v18, v7
	v_mad_u64_u32 v[66:67], s[12:13], v18, v6, 0
	v_add3_u32 v67, v67, v69, v68
	v_lshl_add_u64 v[64:65], v[64:65], 1, v[8:9]
	v_lshl_add_u64 v[66:67], v[66:67], 1, v[8:9]
	s_mov_b64 s[36:37], 0
	v_mov_b64_e32 v[68:69], v[6:7]
                                        ; implicit-def: $sgpr34_sgpr35
                                        ; implicit-def: $sgpr42_sgpr43
                                        ; implicit-def: $sgpr46_sgpr47
                                        ; implicit-def: $sgpr44_sgpr45
                                        ; implicit-def: $sgpr48_sgpr49
                                        ; implicit-def: $sgpr50_sgpr51
	s_branch .LBB1370_746
.LBB1370_745:                           ;   in Loop: Header=BB1370_746 Depth=1
	s_or_b64 exec, exec, s[52:53]
	s_and_b64 s[12:13], exec, s[46:47]
	s_or_b64 s[36:37], s[12:13], s[36:37]
	s_andn2_b64 s[12:13], s[50:51], exec
	s_and_b64 s[24:25], s[48:49], exec
	s_or_b64 s[50:51], s[12:13], s[24:25]
	s_andn2_b64 s[12:13], s[42:43], exec
	s_and_b64 s[24:25], s[44:45], exec
	;; [unrolled: 3-line block ×3, first 2 shown]
	s_or_b64 s[34:35], s[12:13], s[22:23]
	s_andn2_b64 exec, exec, s[36:37]
	s_cbranch_execz .LBB1370_748
.LBB1370_746:                           ; =>This Inner Loop Header: Depth=1
	flat_load_ushort v70, v[66:67]
	flat_load_ushort v71, v[64:65]
	s_andn2_b64 s[48:49], s[48:49], exec
	s_or_b64 s[44:45], s[44:45], exec
	s_or_b64 s[46:47], s[46:47], exec
	s_waitcnt vmcnt(0) lgkmcnt(0)
	v_cmp_le_u16_e64 s[22:23], v70, v71
	v_cmp_lt_u16_e64 s[12:13], v70, v71
	s_and_b64 s[22:23], s[22:23], s[50:51]
	v_cmp_eq_u16_e64 s[24:25], v70, v71
	s_or_b64 s[22:23], s[12:13], s[22:23]
	s_and_saveexec_b64 s[52:53], s[24:25]
	s_cbranch_execz .LBB1370_745
; %bb.747:                              ;   in Loop: Header=BB1370_746 Depth=1
	v_lshl_add_u64 v[68:69], v[68:69], 0, -1
	v_cmp_eq_u64_e64 s[12:13], 0, v[68:69]
	s_andn2_b64 s[24:25], s[48:49], exec
	s_and_b64 s[48:49], s[22:23], exec
	s_or_b64 s[48:49], s[24:25], s[48:49]
	s_andn2_b64 s[24:25], s[46:47], exec
	s_and_b64 s[12:13], s[12:13], exec
	v_lshl_add_u64 v[64:65], v[64:65], 0, 2
	v_lshl_add_u64 v[66:67], v[66:67], 0, 2
	s_andn2_b64 s[44:45], s[44:45], exec
	s_or_b64 s[46:47], s[24:25], s[12:13]
                                        ; implicit-def: $sgpr50_sgpr51
	s_branch .LBB1370_745
.LBB1370_748:
	s_or_b64 exec, exec, s[36:37]
	s_and_saveexec_b64 s[12:13], s[42:43]
	s_xor_b64 s[12:13], exec, s[12:13]
; %bb.749:
	v_cndmask_b32_e64 v65, v17, v19, s[34:35]
	v_cndmask_b32_e64 v64, v16, v18, s[34:35]
	;; [unrolled: 1-line block ×4, first 2 shown]
	v_mov_b64_e32 v[16:17], v[64:65]
; %bb.750:
	s_or_b64 exec, exec, s[12:13]
.LBB1370_751:
	s_or_b64 exec, exec, s[28:29]
	s_or_b64 exec, exec, s[26:27]
	v_cmp_lt_u32_e64 s[22:23], 7, v31
	s_and_saveexec_b64 s[28:29], s[22:23]
	s_cbranch_execz .LBB1370_761
.LBB1370_752:
	s_and_saveexec_b64 s[34:35], s[8:9]
	s_cbranch_execz .LBB1370_760
; %bb.753:
	v_mul_lo_u32 v66, v13, v6
	v_mul_lo_u32 v67, v12, v7
	v_mad_u64_u32 v[64:65], s[12:13], v12, v6, 0
	v_add3_u32 v65, v65, v67, v66
	v_mul_lo_u32 v68, v15, v6
	v_mul_lo_u32 v69, v14, v7
	v_mad_u64_u32 v[66:67], s[12:13], v14, v6, 0
	v_add3_u32 v67, v67, v69, v68
	v_lshl_add_u64 v[64:65], v[64:65], 1, v[8:9]
	v_lshl_add_u64 v[66:67], v[66:67], 1, v[8:9]
	s_mov_b64 s[42:43], 0
	v_mov_b64_e32 v[68:69], v[6:7]
                                        ; implicit-def: $sgpr36_sgpr37
                                        ; implicit-def: $sgpr44_sgpr45
                                        ; implicit-def: $sgpr48_sgpr49
                                        ; implicit-def: $sgpr46_sgpr47
                                        ; implicit-def: $sgpr50_sgpr51
                                        ; implicit-def: $sgpr52_sgpr53
	s_branch .LBB1370_755
.LBB1370_754:                           ;   in Loop: Header=BB1370_755 Depth=1
	s_or_b64 exec, exec, s[54:55]
	s_and_b64 s[12:13], exec, s[48:49]
	s_or_b64 s[42:43], s[12:13], s[42:43]
	s_andn2_b64 s[12:13], s[52:53], exec
	s_and_b64 s[26:27], s[50:51], exec
	s_or_b64 s[52:53], s[12:13], s[26:27]
	s_andn2_b64 s[12:13], s[44:45], exec
	s_and_b64 s[26:27], s[46:47], exec
	;; [unrolled: 3-line block ×3, first 2 shown]
	s_or_b64 s[36:37], s[12:13], s[24:25]
	s_andn2_b64 exec, exec, s[42:43]
	s_cbranch_execz .LBB1370_757
.LBB1370_755:                           ; =>This Inner Loop Header: Depth=1
	flat_load_ushort v70, v[66:67]
	flat_load_ushort v71, v[64:65]
	s_andn2_b64 s[50:51], s[50:51], exec
	s_or_b64 s[46:47], s[46:47], exec
	s_or_b64 s[48:49], s[48:49], exec
	s_waitcnt vmcnt(0) lgkmcnt(0)
	v_cmp_le_u16_e64 s[24:25], v70, v71
	v_cmp_lt_u16_e64 s[12:13], v70, v71
	s_and_b64 s[24:25], s[24:25], s[52:53]
	v_cmp_eq_u16_e64 s[26:27], v70, v71
	s_or_b64 s[24:25], s[12:13], s[24:25]
	s_and_saveexec_b64 s[54:55], s[26:27]
	s_cbranch_execz .LBB1370_754
; %bb.756:                              ;   in Loop: Header=BB1370_755 Depth=1
	v_lshl_add_u64 v[68:69], v[68:69], 0, -1
	v_cmp_eq_u64_e64 s[12:13], 0, v[68:69]
	s_andn2_b64 s[26:27], s[50:51], exec
	s_and_b64 s[50:51], s[24:25], exec
	s_or_b64 s[50:51], s[26:27], s[50:51]
	s_andn2_b64 s[26:27], s[48:49], exec
	s_and_b64 s[12:13], s[12:13], exec
	v_lshl_add_u64 v[64:65], v[64:65], 0, 2
	v_lshl_add_u64 v[66:67], v[66:67], 0, 2
	s_andn2_b64 s[46:47], s[46:47], exec
	s_or_b64 s[48:49], s[26:27], s[12:13]
                                        ; implicit-def: $sgpr52_sgpr53
	s_branch .LBB1370_754
.LBB1370_757:
	s_or_b64 exec, exec, s[42:43]
	s_and_saveexec_b64 s[12:13], s[44:45]
	s_xor_b64 s[12:13], exec, s[12:13]
; %bb.758:
	v_cndmask_b32_e64 v65, v13, v15, s[36:37]
	v_cndmask_b32_e64 v64, v12, v14, s[36:37]
	;; [unrolled: 1-line block ×4, first 2 shown]
	v_mov_b64_e32 v[12:13], v[64:65]
; %bb.759:
	s_or_b64 exec, exec, s[12:13]
.LBB1370_760:
	s_or_b64 exec, exec, s[34:35]
.LBB1370_761:
	s_or_b64 exec, exec, s[28:29]
	v_cmp_lt_u32_e64 s[24:25], 2, v31
	s_and_saveexec_b64 s[12:13], s[24:25]
	s_xor_b64 s[34:35], exec, s[12:13]
	s_cbranch_execnz .LBB1370_785
; %bb.762:
	s_or_b64 exec, exec, s[34:35]
	v_cmp_lt_u32_e64 s[26:27], 4, v31
	s_and_saveexec_b64 s[36:37], s[26:27]
	s_cbranch_execnz .LBB1370_794
.LBB1370_763:
	s_or_b64 exec, exec, s[36:37]
	v_cmp_lt_u32_e64 s[28:29], 6, v31
	s_and_saveexec_b64 s[42:43], s[28:29]
	s_cbranch_execnz .LBB1370_803
.LBB1370_764:
	s_or_b64 exec, exec, s[42:43]
	s_and_saveexec_b64 s[42:43], s[16:17]
	s_cbranch_execnz .LBB1370_812
.LBB1370_765:
	s_or_b64 exec, exec, s[42:43]
	s_and_saveexec_b64 s[42:43], s[18:19]
	s_cbranch_execnz .LBB1370_821
.LBB1370_766:
	s_or_b64 exec, exec, s[42:43]
	s_and_saveexec_b64 s[42:43], s[20:21]
	s_cbranch_execnz .LBB1370_830
.LBB1370_767:
	s_or_b64 exec, exec, s[42:43]
	s_and_saveexec_b64 s[42:43], s[22:23]
	s_cbranch_execnz .LBB1370_839
.LBB1370_768:
	s_or_b64 exec, exec, s[42:43]
	s_and_saveexec_b64 s[42:43], s[24:25]
	s_cbranch_execnz .LBB1370_848
.LBB1370_769:
	s_or_b64 exec, exec, s[42:43]
	s_and_saveexec_b64 s[42:43], s[26:27]
	s_cbranch_execnz .LBB1370_857
.LBB1370_770:
	s_or_b64 exec, exec, s[42:43]
	s_and_saveexec_b64 s[42:43], s[28:29]
	s_cbranch_execnz .LBB1370_866
.LBB1370_771:
	s_or_b64 exec, exec, s[42:43]
	s_and_saveexec_b64 s[42:43], s[16:17]
	s_cbranch_execnz .LBB1370_875
.LBB1370_772:
	s_or_b64 exec, exec, s[42:43]
	s_and_saveexec_b64 s[42:43], s[18:19]
	s_cbranch_execnz .LBB1370_884
.LBB1370_773:
	s_or_b64 exec, exec, s[42:43]
	s_and_saveexec_b64 s[42:43], s[20:21]
	s_cbranch_execnz .LBB1370_893
.LBB1370_774:
	s_or_b64 exec, exec, s[42:43]
	s_and_saveexec_b64 s[42:43], s[22:23]
	s_cbranch_execnz .LBB1370_902
.LBB1370_775:
	s_or_b64 exec, exec, s[42:43]
	s_and_saveexec_b64 s[42:43], s[24:25]
	s_cbranch_execnz .LBB1370_911
.LBB1370_776:
	s_or_b64 exec, exec, s[42:43]
	s_and_saveexec_b64 s[42:43], s[26:27]
	s_cbranch_execnz .LBB1370_920
.LBB1370_777:
	s_or_b64 exec, exec, s[42:43]
	s_and_saveexec_b64 s[42:43], s[28:29]
	s_cbranch_execnz .LBB1370_929
.LBB1370_778:
	s_or_b64 exec, exec, s[42:43]
	s_and_saveexec_b64 s[36:37], s[16:17]
	s_cbranch_execnz .LBB1370_938
.LBB1370_779:
	s_or_b64 exec, exec, s[36:37]
	s_and_saveexec_b64 s[34:35], s[18:19]
	s_cbranch_execnz .LBB1370_947
.LBB1370_780:
	s_or_b64 exec, exec, s[34:35]
	s_and_saveexec_b64 s[34:35], s[20:21]
	s_cbranch_execnz .LBB1370_956
.LBB1370_781:
	s_or_b64 exec, exec, s[34:35]
	s_and_saveexec_b64 s[20:21], s[22:23]
	s_cbranch_execnz .LBB1370_965
.LBB1370_782:
	s_or_b64 exec, exec, s[20:21]
	s_and_saveexec_b64 s[20:21], s[24:25]
	s_cbranch_execnz .LBB1370_974
.LBB1370_783:
	s_or_b64 exec, exec, s[20:21]
	s_and_saveexec_b64 s[20:21], s[26:27]
	s_cbranch_execnz .LBB1370_983
.LBB1370_784:
	s_or_b64 exec, exec, s[20:21]
	s_and_saveexec_b64 s[20:21], s[28:29]
	s_cbranch_execnz .LBB1370_992
	s_branch .LBB1370_1001
.LBB1370_785:
	s_and_saveexec_b64 s[36:37], s[8:9]
	s_cbranch_execz .LBB1370_793
; %bb.786:
	v_mul_lo_u32 v66, v27, v6
	v_mul_lo_u32 v67, v26, v7
	v_mad_u64_u32 v[64:65], s[12:13], v26, v6, 0
	v_add3_u32 v65, v65, v67, v66
	v_mul_lo_u32 v68, v21, v6
	v_mul_lo_u32 v69, v20, v7
	v_mad_u64_u32 v[66:67], s[12:13], v20, v6, 0
	v_add3_u32 v67, v67, v69, v68
	v_lshl_add_u64 v[64:65], v[64:65], 1, v[8:9]
	v_lshl_add_u64 v[66:67], v[66:67], 1, v[8:9]
	s_mov_b64 s[44:45], 0
	v_mov_b64_e32 v[68:69], v[6:7]
                                        ; implicit-def: $sgpr42_sgpr43
                                        ; implicit-def: $sgpr46_sgpr47
                                        ; implicit-def: $sgpr50_sgpr51
                                        ; implicit-def: $sgpr48_sgpr49
                                        ; implicit-def: $sgpr52_sgpr53
                                        ; implicit-def: $sgpr54_sgpr55
	s_branch .LBB1370_788
.LBB1370_787:                           ;   in Loop: Header=BB1370_788 Depth=1
	s_or_b64 exec, exec, s[56:57]
	s_and_b64 s[12:13], exec, s[50:51]
	s_or_b64 s[44:45], s[12:13], s[44:45]
	s_andn2_b64 s[12:13], s[54:55], exec
	s_and_b64 s[28:29], s[52:53], exec
	s_or_b64 s[54:55], s[12:13], s[28:29]
	s_andn2_b64 s[12:13], s[46:47], exec
	s_and_b64 s[28:29], s[48:49], exec
	;; [unrolled: 3-line block ×3, first 2 shown]
	s_or_b64 s[42:43], s[12:13], s[26:27]
	s_andn2_b64 exec, exec, s[44:45]
	s_cbranch_execz .LBB1370_790
.LBB1370_788:                           ; =>This Inner Loop Header: Depth=1
	flat_load_ushort v70, v[66:67]
	flat_load_ushort v71, v[64:65]
	s_andn2_b64 s[52:53], s[52:53], exec
	s_or_b64 s[48:49], s[48:49], exec
	s_or_b64 s[50:51], s[50:51], exec
	s_waitcnt vmcnt(0) lgkmcnt(0)
	v_cmp_le_u16_e64 s[26:27], v70, v71
	v_cmp_lt_u16_e64 s[12:13], v70, v71
	s_and_b64 s[26:27], s[26:27], s[54:55]
	v_cmp_eq_u16_e64 s[28:29], v70, v71
	s_or_b64 s[26:27], s[12:13], s[26:27]
	s_and_saveexec_b64 s[56:57], s[28:29]
	s_cbranch_execz .LBB1370_787
; %bb.789:                              ;   in Loop: Header=BB1370_788 Depth=1
	v_lshl_add_u64 v[68:69], v[68:69], 0, -1
	v_cmp_eq_u64_e64 s[12:13], 0, v[68:69]
	s_andn2_b64 s[28:29], s[52:53], exec
	s_and_b64 s[52:53], s[26:27], exec
	s_or_b64 s[52:53], s[28:29], s[52:53]
	s_andn2_b64 s[28:29], s[50:51], exec
	s_and_b64 s[12:13], s[12:13], exec
	v_lshl_add_u64 v[64:65], v[64:65], 0, 2
	v_lshl_add_u64 v[66:67], v[66:67], 0, 2
	s_andn2_b64 s[48:49], s[48:49], exec
	s_or_b64 s[50:51], s[28:29], s[12:13]
                                        ; implicit-def: $sgpr54_sgpr55
	s_branch .LBB1370_787
.LBB1370_790:
	s_or_b64 exec, exec, s[44:45]
	s_and_saveexec_b64 s[12:13], s[46:47]
	s_xor_b64 s[12:13], exec, s[12:13]
; %bb.791:
	v_cndmask_b32_e64 v65, v27, v21, s[42:43]
	v_cndmask_b32_e64 v64, v26, v20, s[42:43]
	;; [unrolled: 1-line block ×4, first 2 shown]
	v_mov_b64_e32 v[26:27], v[64:65]
; %bb.792:
	s_or_b64 exec, exec, s[12:13]
.LBB1370_793:
	s_or_b64 exec, exec, s[36:37]
	s_or_b64 exec, exec, s[34:35]
	v_cmp_lt_u32_e64 s[26:27], 4, v31
	s_and_saveexec_b64 s[36:37], s[26:27]
	s_cbranch_execz .LBB1370_763
.LBB1370_794:
	s_and_saveexec_b64 s[42:43], s[8:9]
	s_cbranch_execz .LBB1370_802
; %bb.795:
	v_mul_lo_u32 v66, v23, v6
	v_mul_lo_u32 v67, v22, v7
	v_mad_u64_u32 v[64:65], s[12:13], v22, v6, 0
	v_add3_u32 v65, v65, v67, v66
	v_mul_lo_u32 v68, v17, v6
	v_mul_lo_u32 v69, v16, v7
	v_mad_u64_u32 v[66:67], s[12:13], v16, v6, 0
	v_add3_u32 v67, v67, v69, v68
	v_lshl_add_u64 v[64:65], v[64:65], 1, v[8:9]
	v_lshl_add_u64 v[66:67], v[66:67], 1, v[8:9]
	s_mov_b64 s[46:47], 0
	v_mov_b64_e32 v[68:69], v[6:7]
                                        ; implicit-def: $sgpr44_sgpr45
                                        ; implicit-def: $sgpr48_sgpr49
                                        ; implicit-def: $sgpr52_sgpr53
                                        ; implicit-def: $sgpr50_sgpr51
                                        ; implicit-def: $sgpr54_sgpr55
                                        ; implicit-def: $sgpr56_sgpr57
	s_branch .LBB1370_797
.LBB1370_796:                           ;   in Loop: Header=BB1370_797 Depth=1
	s_or_b64 exec, exec, s[58:59]
	s_and_b64 s[12:13], exec, s[52:53]
	s_or_b64 s[46:47], s[12:13], s[46:47]
	s_andn2_b64 s[12:13], s[56:57], exec
	s_and_b64 s[34:35], s[54:55], exec
	s_or_b64 s[56:57], s[12:13], s[34:35]
	s_andn2_b64 s[12:13], s[48:49], exec
	s_and_b64 s[34:35], s[50:51], exec
	;; [unrolled: 3-line block ×3, first 2 shown]
	s_or_b64 s[44:45], s[12:13], s[28:29]
	s_andn2_b64 exec, exec, s[46:47]
	s_cbranch_execz .LBB1370_799
.LBB1370_797:                           ; =>This Inner Loop Header: Depth=1
	flat_load_ushort v70, v[66:67]
	flat_load_ushort v71, v[64:65]
	s_andn2_b64 s[54:55], s[54:55], exec
	s_or_b64 s[50:51], s[50:51], exec
	s_or_b64 s[52:53], s[52:53], exec
	s_waitcnt vmcnt(0) lgkmcnt(0)
	v_cmp_le_u16_e64 s[28:29], v70, v71
	v_cmp_lt_u16_e64 s[12:13], v70, v71
	s_and_b64 s[28:29], s[28:29], s[56:57]
	v_cmp_eq_u16_e64 s[34:35], v70, v71
	s_or_b64 s[28:29], s[12:13], s[28:29]
	s_and_saveexec_b64 s[58:59], s[34:35]
	s_cbranch_execz .LBB1370_796
; %bb.798:                              ;   in Loop: Header=BB1370_797 Depth=1
	v_lshl_add_u64 v[68:69], v[68:69], 0, -1
	v_cmp_eq_u64_e64 s[12:13], 0, v[68:69]
	s_andn2_b64 s[34:35], s[54:55], exec
	s_and_b64 s[54:55], s[28:29], exec
	s_or_b64 s[54:55], s[34:35], s[54:55]
	s_andn2_b64 s[34:35], s[52:53], exec
	s_and_b64 s[12:13], s[12:13], exec
	v_lshl_add_u64 v[64:65], v[64:65], 0, 2
	v_lshl_add_u64 v[66:67], v[66:67], 0, 2
	s_andn2_b64 s[50:51], s[50:51], exec
	s_or_b64 s[52:53], s[34:35], s[12:13]
                                        ; implicit-def: $sgpr56_sgpr57
	s_branch .LBB1370_796
.LBB1370_799:
	s_or_b64 exec, exec, s[46:47]
	s_and_saveexec_b64 s[12:13], s[48:49]
	s_xor_b64 s[12:13], exec, s[12:13]
; %bb.800:
	v_cndmask_b32_e64 v65, v23, v17, s[44:45]
	v_cndmask_b32_e64 v64, v22, v16, s[44:45]
	v_cndmask_b32_e64 v17, v17, v23, s[44:45]
	v_cndmask_b32_e64 v16, v16, v22, s[44:45]
	v_mov_b64_e32 v[22:23], v[64:65]
; %bb.801:
	s_or_b64 exec, exec, s[12:13]
.LBB1370_802:
	s_or_b64 exec, exec, s[42:43]
	s_or_b64 exec, exec, s[36:37]
	v_cmp_lt_u32_e64 s[28:29], 6, v31
	s_and_saveexec_b64 s[42:43], s[28:29]
	s_cbranch_execz .LBB1370_764
.LBB1370_803:
	s_and_saveexec_b64 s[44:45], s[8:9]
	s_cbranch_execz .LBB1370_811
; %bb.804:
	v_mul_lo_u32 v31, v19, v6
	v_mul_lo_u32 v66, v18, v7
	v_mad_u64_u32 v[64:65], s[12:13], v18, v6, 0
	v_add3_u32 v65, v65, v66, v31
	v_mul_lo_u32 v31, v13, v6
	v_mul_lo_u32 v68, v12, v7
	v_mad_u64_u32 v[66:67], s[12:13], v12, v6, 0
	v_add3_u32 v67, v67, v68, v31
	v_lshl_add_u64 v[64:65], v[64:65], 1, v[8:9]
	v_lshl_add_u64 v[66:67], v[66:67], 1, v[8:9]
	s_mov_b64 s[48:49], 0
	v_mov_b64_e32 v[68:69], v[6:7]
                                        ; implicit-def: $sgpr46_sgpr47
                                        ; implicit-def: $sgpr50_sgpr51
                                        ; implicit-def: $sgpr54_sgpr55
                                        ; implicit-def: $sgpr52_sgpr53
                                        ; implicit-def: $sgpr56_sgpr57
                                        ; implicit-def: $sgpr58_sgpr59
	s_branch .LBB1370_806
.LBB1370_805:                           ;   in Loop: Header=BB1370_806 Depth=1
	s_or_b64 exec, exec, s[60:61]
	s_and_b64 s[12:13], exec, s[54:55]
	s_or_b64 s[48:49], s[12:13], s[48:49]
	s_andn2_b64 s[12:13], s[58:59], exec
	s_and_b64 s[36:37], s[56:57], exec
	s_or_b64 s[58:59], s[12:13], s[36:37]
	s_andn2_b64 s[12:13], s[50:51], exec
	s_and_b64 s[36:37], s[52:53], exec
	;; [unrolled: 3-line block ×3, first 2 shown]
	s_or_b64 s[46:47], s[12:13], s[34:35]
	s_andn2_b64 exec, exec, s[48:49]
	s_cbranch_execz .LBB1370_808
.LBB1370_806:                           ; =>This Inner Loop Header: Depth=1
	flat_load_ushort v31, v[66:67]
	flat_load_ushort v70, v[64:65]
	s_andn2_b64 s[56:57], s[56:57], exec
	s_or_b64 s[52:53], s[52:53], exec
	s_or_b64 s[54:55], s[54:55], exec
	s_waitcnt vmcnt(0) lgkmcnt(0)
	v_cmp_le_u16_e64 s[34:35], v31, v70
	v_cmp_lt_u16_e64 s[12:13], v31, v70
	s_and_b64 s[34:35], s[34:35], s[58:59]
	v_cmp_eq_u16_e64 s[36:37], v31, v70
	s_or_b64 s[34:35], s[12:13], s[34:35]
	s_and_saveexec_b64 s[60:61], s[36:37]
	s_cbranch_execz .LBB1370_805
; %bb.807:                              ;   in Loop: Header=BB1370_806 Depth=1
	v_lshl_add_u64 v[68:69], v[68:69], 0, -1
	v_cmp_eq_u64_e64 s[12:13], 0, v[68:69]
	s_andn2_b64 s[36:37], s[56:57], exec
	s_and_b64 s[56:57], s[34:35], exec
	s_or_b64 s[56:57], s[36:37], s[56:57]
	s_andn2_b64 s[36:37], s[54:55], exec
	s_and_b64 s[12:13], s[12:13], exec
	v_lshl_add_u64 v[64:65], v[64:65], 0, 2
	v_lshl_add_u64 v[66:67], v[66:67], 0, 2
	s_andn2_b64 s[52:53], s[52:53], exec
	s_or_b64 s[54:55], s[36:37], s[12:13]
                                        ; implicit-def: $sgpr58_sgpr59
	s_branch .LBB1370_805
.LBB1370_808:
	s_or_b64 exec, exec, s[48:49]
	s_and_saveexec_b64 s[12:13], s[50:51]
	s_xor_b64 s[12:13], exec, s[12:13]
; %bb.809:
	v_cndmask_b32_e64 v65, v19, v13, s[46:47]
	v_cndmask_b32_e64 v64, v18, v12, s[46:47]
	;; [unrolled: 1-line block ×4, first 2 shown]
	v_mov_b64_e32 v[18:19], v[64:65]
; %bb.810:
	s_or_b64 exec, exec, s[12:13]
.LBB1370_811:
	s_or_b64 exec, exec, s[44:45]
	s_or_b64 exec, exec, s[42:43]
	s_and_saveexec_b64 s[42:43], s[16:17]
	s_cbranch_execz .LBB1370_765
.LBB1370_812:
	s_and_saveexec_b64 s[44:45], s[8:9]
	s_cbranch_execz .LBB1370_820
; %bb.813:
	v_mul_lo_u32 v31, v25, v6
	v_mul_lo_u32 v66, v24, v7
	v_mad_u64_u32 v[64:65], s[12:13], v24, v6, 0
	v_add3_u32 v65, v65, v66, v31
	v_mul_lo_u32 v31, v27, v6
	v_mul_lo_u32 v68, v26, v7
	v_mad_u64_u32 v[66:67], s[12:13], v26, v6, 0
	v_add3_u32 v67, v67, v68, v31
	v_lshl_add_u64 v[64:65], v[64:65], 1, v[8:9]
	v_lshl_add_u64 v[66:67], v[66:67], 1, v[8:9]
	s_mov_b64 s[48:49], 0
	v_mov_b64_e32 v[68:69], v[6:7]
                                        ; implicit-def: $sgpr46_sgpr47
                                        ; implicit-def: $sgpr50_sgpr51
                                        ; implicit-def: $sgpr54_sgpr55
                                        ; implicit-def: $sgpr52_sgpr53
                                        ; implicit-def: $sgpr56_sgpr57
                                        ; implicit-def: $sgpr58_sgpr59
	s_branch .LBB1370_815
.LBB1370_814:                           ;   in Loop: Header=BB1370_815 Depth=1
	s_or_b64 exec, exec, s[60:61]
	s_and_b64 s[12:13], exec, s[54:55]
	s_or_b64 s[48:49], s[12:13], s[48:49]
	s_andn2_b64 s[12:13], s[58:59], exec
	s_and_b64 s[36:37], s[56:57], exec
	s_or_b64 s[58:59], s[12:13], s[36:37]
	s_andn2_b64 s[12:13], s[50:51], exec
	s_and_b64 s[36:37], s[52:53], exec
	;; [unrolled: 3-line block ×3, first 2 shown]
	s_or_b64 s[46:47], s[12:13], s[34:35]
	s_andn2_b64 exec, exec, s[48:49]
	s_cbranch_execz .LBB1370_817
.LBB1370_815:                           ; =>This Inner Loop Header: Depth=1
	flat_load_ushort v31, v[66:67]
	flat_load_ushort v70, v[64:65]
	s_andn2_b64 s[56:57], s[56:57], exec
	s_or_b64 s[52:53], s[52:53], exec
	s_or_b64 s[54:55], s[54:55], exec
	s_waitcnt vmcnt(0) lgkmcnt(0)
	v_cmp_le_u16_e64 s[34:35], v31, v70
	v_cmp_lt_u16_e64 s[12:13], v31, v70
	s_and_b64 s[34:35], s[34:35], s[58:59]
	v_cmp_eq_u16_e64 s[36:37], v31, v70
	s_or_b64 s[34:35], s[12:13], s[34:35]
	s_and_saveexec_b64 s[60:61], s[36:37]
	s_cbranch_execz .LBB1370_814
; %bb.816:                              ;   in Loop: Header=BB1370_815 Depth=1
	v_lshl_add_u64 v[68:69], v[68:69], 0, -1
	v_cmp_eq_u64_e64 s[12:13], 0, v[68:69]
	s_andn2_b64 s[36:37], s[56:57], exec
	s_and_b64 s[56:57], s[34:35], exec
	s_or_b64 s[56:57], s[36:37], s[56:57]
	s_andn2_b64 s[36:37], s[54:55], exec
	s_and_b64 s[12:13], s[12:13], exec
	v_lshl_add_u64 v[64:65], v[64:65], 0, 2
	v_lshl_add_u64 v[66:67], v[66:67], 0, 2
	s_andn2_b64 s[52:53], s[52:53], exec
	s_or_b64 s[54:55], s[36:37], s[12:13]
                                        ; implicit-def: $sgpr58_sgpr59
	s_branch .LBB1370_814
.LBB1370_817:
	s_or_b64 exec, exec, s[48:49]
	s_and_saveexec_b64 s[12:13], s[50:51]
	s_xor_b64 s[12:13], exec, s[12:13]
; %bb.818:
	v_cndmask_b32_e64 v65, v27, v25, s[46:47]
	v_cndmask_b32_e64 v64, v26, v24, s[46:47]
	;; [unrolled: 1-line block ×4, first 2 shown]
	v_mov_b64_e32 v[26:27], v[64:65]
; %bb.819:
	s_or_b64 exec, exec, s[12:13]
.LBB1370_820:
	s_or_b64 exec, exec, s[44:45]
	s_or_b64 exec, exec, s[42:43]
	s_and_saveexec_b64 s[42:43], s[18:19]
	s_cbranch_execz .LBB1370_766
.LBB1370_821:
	s_and_saveexec_b64 s[44:45], s[8:9]
	s_cbranch_execz .LBB1370_829
; %bb.822:
	v_mul_lo_u32 v31, v21, v6
	v_mul_lo_u32 v66, v20, v7
	v_mad_u64_u32 v[64:65], s[12:13], v20, v6, 0
	v_add3_u32 v65, v65, v66, v31
	v_mul_lo_u32 v31, v23, v6
	v_mul_lo_u32 v68, v22, v7
	v_mad_u64_u32 v[66:67], s[12:13], v22, v6, 0
	v_add3_u32 v67, v67, v68, v31
	v_lshl_add_u64 v[64:65], v[64:65], 1, v[8:9]
	v_lshl_add_u64 v[66:67], v[66:67], 1, v[8:9]
	s_mov_b64 s[48:49], 0
	v_mov_b64_e32 v[68:69], v[6:7]
                                        ; implicit-def: $sgpr46_sgpr47
                                        ; implicit-def: $sgpr50_sgpr51
                                        ; implicit-def: $sgpr54_sgpr55
                                        ; implicit-def: $sgpr52_sgpr53
                                        ; implicit-def: $sgpr56_sgpr57
                                        ; implicit-def: $sgpr58_sgpr59
	s_branch .LBB1370_824
.LBB1370_823:                           ;   in Loop: Header=BB1370_824 Depth=1
	s_or_b64 exec, exec, s[60:61]
	s_and_b64 s[12:13], exec, s[54:55]
	s_or_b64 s[48:49], s[12:13], s[48:49]
	s_andn2_b64 s[12:13], s[58:59], exec
	s_and_b64 s[36:37], s[56:57], exec
	s_or_b64 s[58:59], s[12:13], s[36:37]
	s_andn2_b64 s[12:13], s[50:51], exec
	s_and_b64 s[36:37], s[52:53], exec
	;; [unrolled: 3-line block ×3, first 2 shown]
	s_or_b64 s[46:47], s[12:13], s[34:35]
	s_andn2_b64 exec, exec, s[48:49]
	s_cbranch_execz .LBB1370_826
.LBB1370_824:                           ; =>This Inner Loop Header: Depth=1
	flat_load_ushort v31, v[66:67]
	flat_load_ushort v70, v[64:65]
	s_andn2_b64 s[56:57], s[56:57], exec
	s_or_b64 s[52:53], s[52:53], exec
	s_or_b64 s[54:55], s[54:55], exec
	s_waitcnt vmcnt(0) lgkmcnt(0)
	v_cmp_le_u16_e64 s[34:35], v31, v70
	v_cmp_lt_u16_e64 s[12:13], v31, v70
	s_and_b64 s[34:35], s[34:35], s[58:59]
	v_cmp_eq_u16_e64 s[36:37], v31, v70
	s_or_b64 s[34:35], s[12:13], s[34:35]
	s_and_saveexec_b64 s[60:61], s[36:37]
	s_cbranch_execz .LBB1370_823
; %bb.825:                              ;   in Loop: Header=BB1370_824 Depth=1
	v_lshl_add_u64 v[68:69], v[68:69], 0, -1
	v_cmp_eq_u64_e64 s[12:13], 0, v[68:69]
	s_andn2_b64 s[36:37], s[56:57], exec
	s_and_b64 s[56:57], s[34:35], exec
	s_or_b64 s[56:57], s[36:37], s[56:57]
	s_andn2_b64 s[36:37], s[54:55], exec
	s_and_b64 s[12:13], s[12:13], exec
	v_lshl_add_u64 v[64:65], v[64:65], 0, 2
	v_lshl_add_u64 v[66:67], v[66:67], 0, 2
	s_andn2_b64 s[52:53], s[52:53], exec
	s_or_b64 s[54:55], s[36:37], s[12:13]
                                        ; implicit-def: $sgpr58_sgpr59
	s_branch .LBB1370_823
.LBB1370_826:
	s_or_b64 exec, exec, s[48:49]
	s_and_saveexec_b64 s[12:13], s[50:51]
	s_xor_b64 s[12:13], exec, s[12:13]
; %bb.827:
	v_cndmask_b32_e64 v65, v21, v23, s[46:47]
	v_cndmask_b32_e64 v64, v20, v22, s[46:47]
	;; [unrolled: 1-line block ×4, first 2 shown]
	v_mov_b64_e32 v[20:21], v[64:65]
; %bb.828:
	s_or_b64 exec, exec, s[12:13]
.LBB1370_829:
	s_or_b64 exec, exec, s[44:45]
	s_or_b64 exec, exec, s[42:43]
	s_and_saveexec_b64 s[42:43], s[20:21]
	s_cbranch_execz .LBB1370_767
.LBB1370_830:
	s_and_saveexec_b64 s[44:45], s[8:9]
	s_cbranch_execz .LBB1370_838
; %bb.831:
	v_mul_lo_u32 v31, v17, v6
	v_mul_lo_u32 v66, v16, v7
	v_mad_u64_u32 v[64:65], s[12:13], v16, v6, 0
	v_add3_u32 v65, v65, v66, v31
	v_mul_lo_u32 v31, v19, v6
	v_mul_lo_u32 v68, v18, v7
	v_mad_u64_u32 v[66:67], s[12:13], v18, v6, 0
	v_add3_u32 v67, v67, v68, v31
	v_lshl_add_u64 v[64:65], v[64:65], 1, v[8:9]
	v_lshl_add_u64 v[66:67], v[66:67], 1, v[8:9]
	s_mov_b64 s[48:49], 0
	v_mov_b64_e32 v[68:69], v[6:7]
                                        ; implicit-def: $sgpr46_sgpr47
                                        ; implicit-def: $sgpr50_sgpr51
                                        ; implicit-def: $sgpr54_sgpr55
                                        ; implicit-def: $sgpr52_sgpr53
                                        ; implicit-def: $sgpr56_sgpr57
                                        ; implicit-def: $sgpr58_sgpr59
	s_branch .LBB1370_833
.LBB1370_832:                           ;   in Loop: Header=BB1370_833 Depth=1
	s_or_b64 exec, exec, s[60:61]
	s_and_b64 s[12:13], exec, s[54:55]
	s_or_b64 s[48:49], s[12:13], s[48:49]
	s_andn2_b64 s[12:13], s[58:59], exec
	s_and_b64 s[36:37], s[56:57], exec
	s_or_b64 s[58:59], s[12:13], s[36:37]
	s_andn2_b64 s[12:13], s[50:51], exec
	s_and_b64 s[36:37], s[52:53], exec
	;; [unrolled: 3-line block ×3, first 2 shown]
	s_or_b64 s[46:47], s[12:13], s[34:35]
	s_andn2_b64 exec, exec, s[48:49]
	s_cbranch_execz .LBB1370_835
.LBB1370_833:                           ; =>This Inner Loop Header: Depth=1
	flat_load_ushort v31, v[66:67]
	flat_load_ushort v70, v[64:65]
	s_andn2_b64 s[56:57], s[56:57], exec
	s_or_b64 s[52:53], s[52:53], exec
	s_or_b64 s[54:55], s[54:55], exec
	s_waitcnt vmcnt(0) lgkmcnt(0)
	v_cmp_le_u16_e64 s[34:35], v31, v70
	v_cmp_lt_u16_e64 s[12:13], v31, v70
	s_and_b64 s[34:35], s[34:35], s[58:59]
	v_cmp_eq_u16_e64 s[36:37], v31, v70
	s_or_b64 s[34:35], s[12:13], s[34:35]
	s_and_saveexec_b64 s[60:61], s[36:37]
	s_cbranch_execz .LBB1370_832
; %bb.834:                              ;   in Loop: Header=BB1370_833 Depth=1
	v_lshl_add_u64 v[68:69], v[68:69], 0, -1
	v_cmp_eq_u64_e64 s[12:13], 0, v[68:69]
	s_andn2_b64 s[36:37], s[56:57], exec
	s_and_b64 s[56:57], s[34:35], exec
	s_or_b64 s[56:57], s[36:37], s[56:57]
	s_andn2_b64 s[36:37], s[54:55], exec
	s_and_b64 s[12:13], s[12:13], exec
	v_lshl_add_u64 v[64:65], v[64:65], 0, 2
	v_lshl_add_u64 v[66:67], v[66:67], 0, 2
	s_andn2_b64 s[52:53], s[52:53], exec
	s_or_b64 s[54:55], s[36:37], s[12:13]
                                        ; implicit-def: $sgpr58_sgpr59
	s_branch .LBB1370_832
.LBB1370_835:
	s_or_b64 exec, exec, s[48:49]
	s_and_saveexec_b64 s[12:13], s[50:51]
	s_xor_b64 s[12:13], exec, s[12:13]
; %bb.836:
	v_cndmask_b32_e64 v65, v17, v19, s[46:47]
	v_cndmask_b32_e64 v64, v16, v18, s[46:47]
	v_cndmask_b32_e64 v19, v19, v17, s[46:47]
	v_cndmask_b32_e64 v18, v18, v16, s[46:47]
	v_mov_b64_e32 v[16:17], v[64:65]
; %bb.837:
	s_or_b64 exec, exec, s[12:13]
.LBB1370_838:
	s_or_b64 exec, exec, s[44:45]
	s_or_b64 exec, exec, s[42:43]
	s_and_saveexec_b64 s[42:43], s[22:23]
	s_cbranch_execz .LBB1370_768
.LBB1370_839:
	s_and_saveexec_b64 s[44:45], s[8:9]
	s_cbranch_execz .LBB1370_847
; %bb.840:
	v_mul_lo_u32 v31, v13, v6
	v_mul_lo_u32 v66, v12, v7
	v_mad_u64_u32 v[64:65], s[12:13], v12, v6, 0
	v_add3_u32 v65, v65, v66, v31
	v_mul_lo_u32 v31, v15, v6
	v_mul_lo_u32 v68, v14, v7
	v_mad_u64_u32 v[66:67], s[12:13], v14, v6, 0
	v_add3_u32 v67, v67, v68, v31
	v_lshl_add_u64 v[64:65], v[64:65], 1, v[8:9]
	v_lshl_add_u64 v[66:67], v[66:67], 1, v[8:9]
	s_mov_b64 s[48:49], 0
	v_mov_b64_e32 v[68:69], v[6:7]
                                        ; implicit-def: $sgpr46_sgpr47
                                        ; implicit-def: $sgpr50_sgpr51
                                        ; implicit-def: $sgpr54_sgpr55
                                        ; implicit-def: $sgpr52_sgpr53
                                        ; implicit-def: $sgpr56_sgpr57
                                        ; implicit-def: $sgpr58_sgpr59
	s_branch .LBB1370_842
.LBB1370_841:                           ;   in Loop: Header=BB1370_842 Depth=1
	s_or_b64 exec, exec, s[60:61]
	s_and_b64 s[12:13], exec, s[54:55]
	s_or_b64 s[48:49], s[12:13], s[48:49]
	s_andn2_b64 s[12:13], s[58:59], exec
	s_and_b64 s[36:37], s[56:57], exec
	s_or_b64 s[58:59], s[12:13], s[36:37]
	s_andn2_b64 s[12:13], s[50:51], exec
	s_and_b64 s[36:37], s[52:53], exec
	;; [unrolled: 3-line block ×3, first 2 shown]
	s_or_b64 s[46:47], s[12:13], s[34:35]
	s_andn2_b64 exec, exec, s[48:49]
	s_cbranch_execz .LBB1370_844
.LBB1370_842:                           ; =>This Inner Loop Header: Depth=1
	flat_load_ushort v31, v[66:67]
	flat_load_ushort v70, v[64:65]
	s_andn2_b64 s[56:57], s[56:57], exec
	s_or_b64 s[52:53], s[52:53], exec
	s_or_b64 s[54:55], s[54:55], exec
	s_waitcnt vmcnt(0) lgkmcnt(0)
	v_cmp_le_u16_e64 s[34:35], v31, v70
	v_cmp_lt_u16_e64 s[12:13], v31, v70
	s_and_b64 s[34:35], s[34:35], s[58:59]
	v_cmp_eq_u16_e64 s[36:37], v31, v70
	s_or_b64 s[34:35], s[12:13], s[34:35]
	s_and_saveexec_b64 s[60:61], s[36:37]
	s_cbranch_execz .LBB1370_841
; %bb.843:                              ;   in Loop: Header=BB1370_842 Depth=1
	v_lshl_add_u64 v[68:69], v[68:69], 0, -1
	v_cmp_eq_u64_e64 s[12:13], 0, v[68:69]
	s_andn2_b64 s[36:37], s[56:57], exec
	s_and_b64 s[56:57], s[34:35], exec
	s_or_b64 s[56:57], s[36:37], s[56:57]
	s_andn2_b64 s[36:37], s[54:55], exec
	s_and_b64 s[12:13], s[12:13], exec
	v_lshl_add_u64 v[64:65], v[64:65], 0, 2
	v_lshl_add_u64 v[66:67], v[66:67], 0, 2
	s_andn2_b64 s[52:53], s[52:53], exec
	s_or_b64 s[54:55], s[36:37], s[12:13]
                                        ; implicit-def: $sgpr58_sgpr59
	s_branch .LBB1370_841
.LBB1370_844:
	s_or_b64 exec, exec, s[48:49]
	s_and_saveexec_b64 s[12:13], s[50:51]
	s_xor_b64 s[12:13], exec, s[12:13]
; %bb.845:
	v_cndmask_b32_e64 v65, v13, v15, s[46:47]
	v_cndmask_b32_e64 v64, v12, v14, s[46:47]
	;; [unrolled: 1-line block ×4, first 2 shown]
	v_mov_b64_e32 v[12:13], v[64:65]
; %bb.846:
	s_or_b64 exec, exec, s[12:13]
.LBB1370_847:
	s_or_b64 exec, exec, s[44:45]
	s_or_b64 exec, exec, s[42:43]
	s_and_saveexec_b64 s[42:43], s[24:25]
	s_cbranch_execz .LBB1370_769
.LBB1370_848:
	s_and_saveexec_b64 s[44:45], s[8:9]
	s_cbranch_execz .LBB1370_856
; %bb.849:
	v_mul_lo_u32 v31, v27, v6
	v_mul_lo_u32 v66, v26, v7
	v_mad_u64_u32 v[64:65], s[12:13], v26, v6, 0
	v_add3_u32 v65, v65, v66, v31
	v_mul_lo_u32 v31, v21, v6
	v_mul_lo_u32 v68, v20, v7
	v_mad_u64_u32 v[66:67], s[12:13], v20, v6, 0
	v_add3_u32 v67, v67, v68, v31
	v_lshl_add_u64 v[64:65], v[64:65], 1, v[8:9]
	v_lshl_add_u64 v[66:67], v[66:67], 1, v[8:9]
	s_mov_b64 s[48:49], 0
	v_mov_b64_e32 v[68:69], v[6:7]
                                        ; implicit-def: $sgpr46_sgpr47
                                        ; implicit-def: $sgpr50_sgpr51
                                        ; implicit-def: $sgpr54_sgpr55
                                        ; implicit-def: $sgpr52_sgpr53
                                        ; implicit-def: $sgpr56_sgpr57
                                        ; implicit-def: $sgpr58_sgpr59
	s_branch .LBB1370_851
.LBB1370_850:                           ;   in Loop: Header=BB1370_851 Depth=1
	s_or_b64 exec, exec, s[60:61]
	s_and_b64 s[12:13], exec, s[54:55]
	s_or_b64 s[48:49], s[12:13], s[48:49]
	s_andn2_b64 s[12:13], s[58:59], exec
	s_and_b64 s[36:37], s[56:57], exec
	s_or_b64 s[58:59], s[12:13], s[36:37]
	s_andn2_b64 s[12:13], s[50:51], exec
	s_and_b64 s[36:37], s[52:53], exec
	;; [unrolled: 3-line block ×3, first 2 shown]
	s_or_b64 s[46:47], s[12:13], s[34:35]
	s_andn2_b64 exec, exec, s[48:49]
	s_cbranch_execz .LBB1370_853
.LBB1370_851:                           ; =>This Inner Loop Header: Depth=1
	flat_load_ushort v31, v[66:67]
	flat_load_ushort v70, v[64:65]
	s_andn2_b64 s[56:57], s[56:57], exec
	s_or_b64 s[52:53], s[52:53], exec
	s_or_b64 s[54:55], s[54:55], exec
	s_waitcnt vmcnt(0) lgkmcnt(0)
	v_cmp_le_u16_e64 s[34:35], v31, v70
	v_cmp_lt_u16_e64 s[12:13], v31, v70
	s_and_b64 s[34:35], s[34:35], s[58:59]
	v_cmp_eq_u16_e64 s[36:37], v31, v70
	s_or_b64 s[34:35], s[12:13], s[34:35]
	s_and_saveexec_b64 s[60:61], s[36:37]
	s_cbranch_execz .LBB1370_850
; %bb.852:                              ;   in Loop: Header=BB1370_851 Depth=1
	v_lshl_add_u64 v[68:69], v[68:69], 0, -1
	v_cmp_eq_u64_e64 s[12:13], 0, v[68:69]
	s_andn2_b64 s[36:37], s[56:57], exec
	s_and_b64 s[56:57], s[34:35], exec
	s_or_b64 s[56:57], s[36:37], s[56:57]
	s_andn2_b64 s[36:37], s[54:55], exec
	s_and_b64 s[12:13], s[12:13], exec
	v_lshl_add_u64 v[64:65], v[64:65], 0, 2
	v_lshl_add_u64 v[66:67], v[66:67], 0, 2
	s_andn2_b64 s[52:53], s[52:53], exec
	s_or_b64 s[54:55], s[36:37], s[12:13]
                                        ; implicit-def: $sgpr58_sgpr59
	s_branch .LBB1370_850
.LBB1370_853:
	s_or_b64 exec, exec, s[48:49]
	s_and_saveexec_b64 s[12:13], s[50:51]
	s_xor_b64 s[12:13], exec, s[12:13]
; %bb.854:
	v_cndmask_b32_e64 v65, v27, v21, s[46:47]
	v_cndmask_b32_e64 v64, v26, v20, s[46:47]
	;; [unrolled: 1-line block ×4, first 2 shown]
	v_mov_b64_e32 v[26:27], v[64:65]
; %bb.855:
	s_or_b64 exec, exec, s[12:13]
.LBB1370_856:
	s_or_b64 exec, exec, s[44:45]
	s_or_b64 exec, exec, s[42:43]
	s_and_saveexec_b64 s[42:43], s[26:27]
	s_cbranch_execz .LBB1370_770
.LBB1370_857:
	s_and_saveexec_b64 s[44:45], s[8:9]
	s_cbranch_execz .LBB1370_865
; %bb.858:
	v_mul_lo_u32 v31, v23, v6
	v_mul_lo_u32 v66, v22, v7
	v_mad_u64_u32 v[64:65], s[12:13], v22, v6, 0
	v_add3_u32 v65, v65, v66, v31
	v_mul_lo_u32 v31, v17, v6
	v_mul_lo_u32 v68, v16, v7
	v_mad_u64_u32 v[66:67], s[12:13], v16, v6, 0
	v_add3_u32 v67, v67, v68, v31
	v_lshl_add_u64 v[64:65], v[64:65], 1, v[8:9]
	v_lshl_add_u64 v[66:67], v[66:67], 1, v[8:9]
	s_mov_b64 s[48:49], 0
	v_mov_b64_e32 v[68:69], v[6:7]
                                        ; implicit-def: $sgpr46_sgpr47
                                        ; implicit-def: $sgpr50_sgpr51
                                        ; implicit-def: $sgpr54_sgpr55
                                        ; implicit-def: $sgpr52_sgpr53
                                        ; implicit-def: $sgpr56_sgpr57
                                        ; implicit-def: $sgpr58_sgpr59
	s_branch .LBB1370_860
.LBB1370_859:                           ;   in Loop: Header=BB1370_860 Depth=1
	s_or_b64 exec, exec, s[60:61]
	s_and_b64 s[12:13], exec, s[54:55]
	s_or_b64 s[48:49], s[12:13], s[48:49]
	s_andn2_b64 s[12:13], s[58:59], exec
	s_and_b64 s[36:37], s[56:57], exec
	s_or_b64 s[58:59], s[12:13], s[36:37]
	s_andn2_b64 s[12:13], s[50:51], exec
	s_and_b64 s[36:37], s[52:53], exec
	;; [unrolled: 3-line block ×3, first 2 shown]
	s_or_b64 s[46:47], s[12:13], s[34:35]
	s_andn2_b64 exec, exec, s[48:49]
	s_cbranch_execz .LBB1370_862
.LBB1370_860:                           ; =>This Inner Loop Header: Depth=1
	flat_load_ushort v31, v[66:67]
	flat_load_ushort v70, v[64:65]
	s_andn2_b64 s[56:57], s[56:57], exec
	s_or_b64 s[52:53], s[52:53], exec
	s_or_b64 s[54:55], s[54:55], exec
	s_waitcnt vmcnt(0) lgkmcnt(0)
	v_cmp_le_u16_e64 s[34:35], v31, v70
	v_cmp_lt_u16_e64 s[12:13], v31, v70
	s_and_b64 s[34:35], s[34:35], s[58:59]
	v_cmp_eq_u16_e64 s[36:37], v31, v70
	s_or_b64 s[34:35], s[12:13], s[34:35]
	s_and_saveexec_b64 s[60:61], s[36:37]
	s_cbranch_execz .LBB1370_859
; %bb.861:                              ;   in Loop: Header=BB1370_860 Depth=1
	v_lshl_add_u64 v[68:69], v[68:69], 0, -1
	v_cmp_eq_u64_e64 s[12:13], 0, v[68:69]
	s_andn2_b64 s[36:37], s[56:57], exec
	s_and_b64 s[56:57], s[34:35], exec
	s_or_b64 s[56:57], s[36:37], s[56:57]
	s_andn2_b64 s[36:37], s[54:55], exec
	s_and_b64 s[12:13], s[12:13], exec
	v_lshl_add_u64 v[64:65], v[64:65], 0, 2
	v_lshl_add_u64 v[66:67], v[66:67], 0, 2
	s_andn2_b64 s[52:53], s[52:53], exec
	s_or_b64 s[54:55], s[36:37], s[12:13]
                                        ; implicit-def: $sgpr58_sgpr59
	s_branch .LBB1370_859
.LBB1370_862:
	s_or_b64 exec, exec, s[48:49]
	s_and_saveexec_b64 s[12:13], s[50:51]
	s_xor_b64 s[12:13], exec, s[12:13]
; %bb.863:
	v_cndmask_b32_e64 v65, v23, v17, s[46:47]
	v_cndmask_b32_e64 v64, v22, v16, s[46:47]
	;; [unrolled: 1-line block ×4, first 2 shown]
	v_mov_b64_e32 v[22:23], v[64:65]
; %bb.864:
	s_or_b64 exec, exec, s[12:13]
.LBB1370_865:
	s_or_b64 exec, exec, s[44:45]
	s_or_b64 exec, exec, s[42:43]
	s_and_saveexec_b64 s[42:43], s[28:29]
	s_cbranch_execz .LBB1370_771
.LBB1370_866:
	s_and_saveexec_b64 s[44:45], s[8:9]
	s_cbranch_execz .LBB1370_874
; %bb.867:
	v_mul_lo_u32 v31, v19, v6
	v_mul_lo_u32 v66, v18, v7
	v_mad_u64_u32 v[64:65], s[12:13], v18, v6, 0
	v_add3_u32 v65, v65, v66, v31
	v_mul_lo_u32 v31, v13, v6
	v_mul_lo_u32 v68, v12, v7
	v_mad_u64_u32 v[66:67], s[12:13], v12, v6, 0
	v_add3_u32 v67, v67, v68, v31
	v_lshl_add_u64 v[64:65], v[64:65], 1, v[8:9]
	v_lshl_add_u64 v[66:67], v[66:67], 1, v[8:9]
	s_mov_b64 s[48:49], 0
	v_mov_b64_e32 v[68:69], v[6:7]
                                        ; implicit-def: $sgpr46_sgpr47
                                        ; implicit-def: $sgpr50_sgpr51
                                        ; implicit-def: $sgpr54_sgpr55
                                        ; implicit-def: $sgpr52_sgpr53
                                        ; implicit-def: $sgpr56_sgpr57
                                        ; implicit-def: $sgpr58_sgpr59
	s_branch .LBB1370_869
.LBB1370_868:                           ;   in Loop: Header=BB1370_869 Depth=1
	s_or_b64 exec, exec, s[60:61]
	s_and_b64 s[12:13], exec, s[54:55]
	s_or_b64 s[48:49], s[12:13], s[48:49]
	s_andn2_b64 s[12:13], s[58:59], exec
	s_and_b64 s[36:37], s[56:57], exec
	s_or_b64 s[58:59], s[12:13], s[36:37]
	s_andn2_b64 s[12:13], s[50:51], exec
	s_and_b64 s[36:37], s[52:53], exec
	;; [unrolled: 3-line block ×3, first 2 shown]
	s_or_b64 s[46:47], s[12:13], s[34:35]
	s_andn2_b64 exec, exec, s[48:49]
	s_cbranch_execz .LBB1370_871
.LBB1370_869:                           ; =>This Inner Loop Header: Depth=1
	flat_load_ushort v31, v[66:67]
	flat_load_ushort v70, v[64:65]
	s_andn2_b64 s[56:57], s[56:57], exec
	s_or_b64 s[52:53], s[52:53], exec
	s_or_b64 s[54:55], s[54:55], exec
	s_waitcnt vmcnt(0) lgkmcnt(0)
	v_cmp_le_u16_e64 s[34:35], v31, v70
	v_cmp_lt_u16_e64 s[12:13], v31, v70
	s_and_b64 s[34:35], s[34:35], s[58:59]
	v_cmp_eq_u16_e64 s[36:37], v31, v70
	s_or_b64 s[34:35], s[12:13], s[34:35]
	s_and_saveexec_b64 s[60:61], s[36:37]
	s_cbranch_execz .LBB1370_868
; %bb.870:                              ;   in Loop: Header=BB1370_869 Depth=1
	v_lshl_add_u64 v[68:69], v[68:69], 0, -1
	v_cmp_eq_u64_e64 s[12:13], 0, v[68:69]
	s_andn2_b64 s[36:37], s[56:57], exec
	s_and_b64 s[56:57], s[34:35], exec
	s_or_b64 s[56:57], s[36:37], s[56:57]
	s_andn2_b64 s[36:37], s[54:55], exec
	s_and_b64 s[12:13], s[12:13], exec
	v_lshl_add_u64 v[64:65], v[64:65], 0, 2
	v_lshl_add_u64 v[66:67], v[66:67], 0, 2
	s_andn2_b64 s[52:53], s[52:53], exec
	s_or_b64 s[54:55], s[36:37], s[12:13]
                                        ; implicit-def: $sgpr58_sgpr59
	s_branch .LBB1370_868
.LBB1370_871:
	s_or_b64 exec, exec, s[48:49]
	s_and_saveexec_b64 s[12:13], s[50:51]
	s_xor_b64 s[12:13], exec, s[12:13]
; %bb.872:
	v_cndmask_b32_e64 v65, v19, v13, s[46:47]
	v_cndmask_b32_e64 v64, v18, v12, s[46:47]
	;; [unrolled: 1-line block ×4, first 2 shown]
	v_mov_b64_e32 v[18:19], v[64:65]
; %bb.873:
	s_or_b64 exec, exec, s[12:13]
.LBB1370_874:
	s_or_b64 exec, exec, s[44:45]
	s_or_b64 exec, exec, s[42:43]
	s_and_saveexec_b64 s[42:43], s[16:17]
	s_cbranch_execz .LBB1370_772
.LBB1370_875:
	s_and_saveexec_b64 s[44:45], s[8:9]
	s_cbranch_execz .LBB1370_883
; %bb.876:
	v_mul_lo_u32 v31, v25, v6
	v_mul_lo_u32 v66, v24, v7
	v_mad_u64_u32 v[64:65], s[12:13], v24, v6, 0
	v_add3_u32 v65, v65, v66, v31
	v_mul_lo_u32 v31, v27, v6
	v_mul_lo_u32 v68, v26, v7
	v_mad_u64_u32 v[66:67], s[12:13], v26, v6, 0
	v_add3_u32 v67, v67, v68, v31
	v_lshl_add_u64 v[64:65], v[64:65], 1, v[8:9]
	v_lshl_add_u64 v[66:67], v[66:67], 1, v[8:9]
	s_mov_b64 s[48:49], 0
	v_mov_b64_e32 v[68:69], v[6:7]
                                        ; implicit-def: $sgpr46_sgpr47
                                        ; implicit-def: $sgpr50_sgpr51
                                        ; implicit-def: $sgpr54_sgpr55
                                        ; implicit-def: $sgpr52_sgpr53
                                        ; implicit-def: $sgpr56_sgpr57
                                        ; implicit-def: $sgpr58_sgpr59
	s_branch .LBB1370_878
.LBB1370_877:                           ;   in Loop: Header=BB1370_878 Depth=1
	s_or_b64 exec, exec, s[60:61]
	s_and_b64 s[12:13], exec, s[54:55]
	s_or_b64 s[48:49], s[12:13], s[48:49]
	s_andn2_b64 s[12:13], s[58:59], exec
	s_and_b64 s[36:37], s[56:57], exec
	s_or_b64 s[58:59], s[12:13], s[36:37]
	s_andn2_b64 s[12:13], s[50:51], exec
	s_and_b64 s[36:37], s[52:53], exec
	;; [unrolled: 3-line block ×3, first 2 shown]
	s_or_b64 s[46:47], s[12:13], s[34:35]
	s_andn2_b64 exec, exec, s[48:49]
	s_cbranch_execz .LBB1370_880
.LBB1370_878:                           ; =>This Inner Loop Header: Depth=1
	flat_load_ushort v31, v[66:67]
	flat_load_ushort v70, v[64:65]
	s_andn2_b64 s[56:57], s[56:57], exec
	s_or_b64 s[52:53], s[52:53], exec
	s_or_b64 s[54:55], s[54:55], exec
	s_waitcnt vmcnt(0) lgkmcnt(0)
	v_cmp_le_u16_e64 s[34:35], v31, v70
	v_cmp_lt_u16_e64 s[12:13], v31, v70
	s_and_b64 s[34:35], s[34:35], s[58:59]
	v_cmp_eq_u16_e64 s[36:37], v31, v70
	s_or_b64 s[34:35], s[12:13], s[34:35]
	s_and_saveexec_b64 s[60:61], s[36:37]
	s_cbranch_execz .LBB1370_877
; %bb.879:                              ;   in Loop: Header=BB1370_878 Depth=1
	v_lshl_add_u64 v[68:69], v[68:69], 0, -1
	v_cmp_eq_u64_e64 s[12:13], 0, v[68:69]
	s_andn2_b64 s[36:37], s[56:57], exec
	s_and_b64 s[56:57], s[34:35], exec
	s_or_b64 s[56:57], s[36:37], s[56:57]
	s_andn2_b64 s[36:37], s[54:55], exec
	s_and_b64 s[12:13], s[12:13], exec
	v_lshl_add_u64 v[64:65], v[64:65], 0, 2
	v_lshl_add_u64 v[66:67], v[66:67], 0, 2
	s_andn2_b64 s[52:53], s[52:53], exec
	s_or_b64 s[54:55], s[36:37], s[12:13]
                                        ; implicit-def: $sgpr58_sgpr59
	s_branch .LBB1370_877
.LBB1370_880:
	s_or_b64 exec, exec, s[48:49]
	s_and_saveexec_b64 s[12:13], s[50:51]
	s_xor_b64 s[12:13], exec, s[12:13]
; %bb.881:
	v_cndmask_b32_e64 v65, v27, v25, s[46:47]
	v_cndmask_b32_e64 v64, v26, v24, s[46:47]
	;; [unrolled: 1-line block ×4, first 2 shown]
	v_mov_b64_e32 v[26:27], v[64:65]
; %bb.882:
	s_or_b64 exec, exec, s[12:13]
.LBB1370_883:
	s_or_b64 exec, exec, s[44:45]
	s_or_b64 exec, exec, s[42:43]
	s_and_saveexec_b64 s[42:43], s[18:19]
	s_cbranch_execz .LBB1370_773
.LBB1370_884:
	s_and_saveexec_b64 s[44:45], s[8:9]
	s_cbranch_execz .LBB1370_892
; %bb.885:
	v_mul_lo_u32 v31, v21, v6
	v_mul_lo_u32 v66, v20, v7
	v_mad_u64_u32 v[64:65], s[12:13], v20, v6, 0
	v_add3_u32 v65, v65, v66, v31
	v_mul_lo_u32 v31, v23, v6
	v_mul_lo_u32 v68, v22, v7
	v_mad_u64_u32 v[66:67], s[12:13], v22, v6, 0
	v_add3_u32 v67, v67, v68, v31
	v_lshl_add_u64 v[64:65], v[64:65], 1, v[8:9]
	v_lshl_add_u64 v[66:67], v[66:67], 1, v[8:9]
	s_mov_b64 s[48:49], 0
	v_mov_b64_e32 v[68:69], v[6:7]
                                        ; implicit-def: $sgpr46_sgpr47
                                        ; implicit-def: $sgpr50_sgpr51
                                        ; implicit-def: $sgpr54_sgpr55
                                        ; implicit-def: $sgpr52_sgpr53
                                        ; implicit-def: $sgpr56_sgpr57
                                        ; implicit-def: $sgpr58_sgpr59
	s_branch .LBB1370_887
.LBB1370_886:                           ;   in Loop: Header=BB1370_887 Depth=1
	s_or_b64 exec, exec, s[60:61]
	s_and_b64 s[12:13], exec, s[54:55]
	s_or_b64 s[48:49], s[12:13], s[48:49]
	s_andn2_b64 s[12:13], s[58:59], exec
	s_and_b64 s[36:37], s[56:57], exec
	s_or_b64 s[58:59], s[12:13], s[36:37]
	s_andn2_b64 s[12:13], s[50:51], exec
	s_and_b64 s[36:37], s[52:53], exec
	;; [unrolled: 3-line block ×3, first 2 shown]
	s_or_b64 s[46:47], s[12:13], s[34:35]
	s_andn2_b64 exec, exec, s[48:49]
	s_cbranch_execz .LBB1370_889
.LBB1370_887:                           ; =>This Inner Loop Header: Depth=1
	flat_load_ushort v31, v[66:67]
	flat_load_ushort v70, v[64:65]
	s_andn2_b64 s[56:57], s[56:57], exec
	s_or_b64 s[52:53], s[52:53], exec
	s_or_b64 s[54:55], s[54:55], exec
	s_waitcnt vmcnt(0) lgkmcnt(0)
	v_cmp_le_u16_e64 s[34:35], v31, v70
	v_cmp_lt_u16_e64 s[12:13], v31, v70
	s_and_b64 s[34:35], s[34:35], s[58:59]
	v_cmp_eq_u16_e64 s[36:37], v31, v70
	s_or_b64 s[34:35], s[12:13], s[34:35]
	s_and_saveexec_b64 s[60:61], s[36:37]
	s_cbranch_execz .LBB1370_886
; %bb.888:                              ;   in Loop: Header=BB1370_887 Depth=1
	v_lshl_add_u64 v[68:69], v[68:69], 0, -1
	v_cmp_eq_u64_e64 s[12:13], 0, v[68:69]
	s_andn2_b64 s[36:37], s[56:57], exec
	s_and_b64 s[56:57], s[34:35], exec
	s_or_b64 s[56:57], s[36:37], s[56:57]
	s_andn2_b64 s[36:37], s[54:55], exec
	s_and_b64 s[12:13], s[12:13], exec
	v_lshl_add_u64 v[64:65], v[64:65], 0, 2
	v_lshl_add_u64 v[66:67], v[66:67], 0, 2
	s_andn2_b64 s[52:53], s[52:53], exec
	s_or_b64 s[54:55], s[36:37], s[12:13]
                                        ; implicit-def: $sgpr58_sgpr59
	s_branch .LBB1370_886
.LBB1370_889:
	s_or_b64 exec, exec, s[48:49]
	s_and_saveexec_b64 s[12:13], s[50:51]
	s_xor_b64 s[12:13], exec, s[12:13]
; %bb.890:
	v_cndmask_b32_e64 v65, v21, v23, s[46:47]
	v_cndmask_b32_e64 v64, v20, v22, s[46:47]
	;; [unrolled: 1-line block ×4, first 2 shown]
	v_mov_b64_e32 v[20:21], v[64:65]
; %bb.891:
	s_or_b64 exec, exec, s[12:13]
.LBB1370_892:
	s_or_b64 exec, exec, s[44:45]
	s_or_b64 exec, exec, s[42:43]
	s_and_saveexec_b64 s[42:43], s[20:21]
	s_cbranch_execz .LBB1370_774
.LBB1370_893:
	s_and_saveexec_b64 s[44:45], s[8:9]
	s_cbranch_execz .LBB1370_901
; %bb.894:
	v_mul_lo_u32 v31, v17, v6
	v_mul_lo_u32 v66, v16, v7
	v_mad_u64_u32 v[64:65], s[12:13], v16, v6, 0
	v_add3_u32 v65, v65, v66, v31
	v_mul_lo_u32 v31, v19, v6
	v_mul_lo_u32 v68, v18, v7
	v_mad_u64_u32 v[66:67], s[12:13], v18, v6, 0
	v_add3_u32 v67, v67, v68, v31
	v_lshl_add_u64 v[64:65], v[64:65], 1, v[8:9]
	v_lshl_add_u64 v[66:67], v[66:67], 1, v[8:9]
	s_mov_b64 s[48:49], 0
	v_mov_b64_e32 v[68:69], v[6:7]
                                        ; implicit-def: $sgpr46_sgpr47
                                        ; implicit-def: $sgpr50_sgpr51
                                        ; implicit-def: $sgpr54_sgpr55
                                        ; implicit-def: $sgpr52_sgpr53
                                        ; implicit-def: $sgpr56_sgpr57
                                        ; implicit-def: $sgpr58_sgpr59
	s_branch .LBB1370_896
.LBB1370_895:                           ;   in Loop: Header=BB1370_896 Depth=1
	s_or_b64 exec, exec, s[60:61]
	s_and_b64 s[12:13], exec, s[54:55]
	s_or_b64 s[48:49], s[12:13], s[48:49]
	s_andn2_b64 s[12:13], s[58:59], exec
	s_and_b64 s[36:37], s[56:57], exec
	s_or_b64 s[58:59], s[12:13], s[36:37]
	s_andn2_b64 s[12:13], s[50:51], exec
	s_and_b64 s[36:37], s[52:53], exec
	;; [unrolled: 3-line block ×3, first 2 shown]
	s_or_b64 s[46:47], s[12:13], s[34:35]
	s_andn2_b64 exec, exec, s[48:49]
	s_cbranch_execz .LBB1370_898
.LBB1370_896:                           ; =>This Inner Loop Header: Depth=1
	flat_load_ushort v31, v[66:67]
	flat_load_ushort v70, v[64:65]
	s_andn2_b64 s[56:57], s[56:57], exec
	s_or_b64 s[52:53], s[52:53], exec
	s_or_b64 s[54:55], s[54:55], exec
	s_waitcnt vmcnt(0) lgkmcnt(0)
	v_cmp_le_u16_e64 s[34:35], v31, v70
	v_cmp_lt_u16_e64 s[12:13], v31, v70
	s_and_b64 s[34:35], s[34:35], s[58:59]
	v_cmp_eq_u16_e64 s[36:37], v31, v70
	s_or_b64 s[34:35], s[12:13], s[34:35]
	s_and_saveexec_b64 s[60:61], s[36:37]
	s_cbranch_execz .LBB1370_895
; %bb.897:                              ;   in Loop: Header=BB1370_896 Depth=1
	v_lshl_add_u64 v[68:69], v[68:69], 0, -1
	v_cmp_eq_u64_e64 s[12:13], 0, v[68:69]
	s_andn2_b64 s[36:37], s[56:57], exec
	s_and_b64 s[56:57], s[34:35], exec
	s_or_b64 s[56:57], s[36:37], s[56:57]
	s_andn2_b64 s[36:37], s[54:55], exec
	s_and_b64 s[12:13], s[12:13], exec
	v_lshl_add_u64 v[64:65], v[64:65], 0, 2
	v_lshl_add_u64 v[66:67], v[66:67], 0, 2
	s_andn2_b64 s[52:53], s[52:53], exec
	s_or_b64 s[54:55], s[36:37], s[12:13]
                                        ; implicit-def: $sgpr58_sgpr59
	s_branch .LBB1370_895
.LBB1370_898:
	s_or_b64 exec, exec, s[48:49]
	s_and_saveexec_b64 s[12:13], s[50:51]
	s_xor_b64 s[12:13], exec, s[12:13]
; %bb.899:
	v_cndmask_b32_e64 v65, v17, v19, s[46:47]
	v_cndmask_b32_e64 v64, v16, v18, s[46:47]
	;; [unrolled: 1-line block ×4, first 2 shown]
	v_mov_b64_e32 v[16:17], v[64:65]
; %bb.900:
	s_or_b64 exec, exec, s[12:13]
.LBB1370_901:
	s_or_b64 exec, exec, s[44:45]
	s_or_b64 exec, exec, s[42:43]
	s_and_saveexec_b64 s[42:43], s[22:23]
	s_cbranch_execz .LBB1370_775
.LBB1370_902:
	s_and_saveexec_b64 s[44:45], s[8:9]
	s_cbranch_execz .LBB1370_910
; %bb.903:
	v_mul_lo_u32 v31, v13, v6
	v_mul_lo_u32 v66, v12, v7
	v_mad_u64_u32 v[64:65], s[12:13], v12, v6, 0
	v_add3_u32 v65, v65, v66, v31
	v_mul_lo_u32 v31, v15, v6
	v_mul_lo_u32 v68, v14, v7
	v_mad_u64_u32 v[66:67], s[12:13], v14, v6, 0
	v_add3_u32 v67, v67, v68, v31
	v_lshl_add_u64 v[64:65], v[64:65], 1, v[8:9]
	v_lshl_add_u64 v[66:67], v[66:67], 1, v[8:9]
	s_mov_b64 s[48:49], 0
	v_mov_b64_e32 v[68:69], v[6:7]
                                        ; implicit-def: $sgpr46_sgpr47
                                        ; implicit-def: $sgpr50_sgpr51
                                        ; implicit-def: $sgpr54_sgpr55
                                        ; implicit-def: $sgpr52_sgpr53
                                        ; implicit-def: $sgpr56_sgpr57
                                        ; implicit-def: $sgpr58_sgpr59
	s_branch .LBB1370_905
.LBB1370_904:                           ;   in Loop: Header=BB1370_905 Depth=1
	s_or_b64 exec, exec, s[60:61]
	s_and_b64 s[12:13], exec, s[54:55]
	s_or_b64 s[48:49], s[12:13], s[48:49]
	s_andn2_b64 s[12:13], s[58:59], exec
	s_and_b64 s[36:37], s[56:57], exec
	s_or_b64 s[58:59], s[12:13], s[36:37]
	s_andn2_b64 s[12:13], s[50:51], exec
	s_and_b64 s[36:37], s[52:53], exec
	;; [unrolled: 3-line block ×3, first 2 shown]
	s_or_b64 s[46:47], s[12:13], s[34:35]
	s_andn2_b64 exec, exec, s[48:49]
	s_cbranch_execz .LBB1370_907
.LBB1370_905:                           ; =>This Inner Loop Header: Depth=1
	flat_load_ushort v31, v[66:67]
	flat_load_ushort v70, v[64:65]
	s_andn2_b64 s[56:57], s[56:57], exec
	s_or_b64 s[52:53], s[52:53], exec
	s_or_b64 s[54:55], s[54:55], exec
	s_waitcnt vmcnt(0) lgkmcnt(0)
	v_cmp_le_u16_e64 s[34:35], v31, v70
	v_cmp_lt_u16_e64 s[12:13], v31, v70
	s_and_b64 s[34:35], s[34:35], s[58:59]
	v_cmp_eq_u16_e64 s[36:37], v31, v70
	s_or_b64 s[34:35], s[12:13], s[34:35]
	s_and_saveexec_b64 s[60:61], s[36:37]
	s_cbranch_execz .LBB1370_904
; %bb.906:                              ;   in Loop: Header=BB1370_905 Depth=1
	v_lshl_add_u64 v[68:69], v[68:69], 0, -1
	v_cmp_eq_u64_e64 s[12:13], 0, v[68:69]
	s_andn2_b64 s[36:37], s[56:57], exec
	s_and_b64 s[56:57], s[34:35], exec
	s_or_b64 s[56:57], s[36:37], s[56:57]
	s_andn2_b64 s[36:37], s[54:55], exec
	s_and_b64 s[12:13], s[12:13], exec
	v_lshl_add_u64 v[64:65], v[64:65], 0, 2
	v_lshl_add_u64 v[66:67], v[66:67], 0, 2
	s_andn2_b64 s[52:53], s[52:53], exec
	s_or_b64 s[54:55], s[36:37], s[12:13]
                                        ; implicit-def: $sgpr58_sgpr59
	s_branch .LBB1370_904
.LBB1370_907:
	s_or_b64 exec, exec, s[48:49]
	s_and_saveexec_b64 s[12:13], s[50:51]
	s_xor_b64 s[12:13], exec, s[12:13]
; %bb.908:
	v_cndmask_b32_e64 v65, v13, v15, s[46:47]
	v_cndmask_b32_e64 v64, v12, v14, s[46:47]
	v_cndmask_b32_e64 v15, v15, v13, s[46:47]
	v_cndmask_b32_e64 v14, v14, v12, s[46:47]
	v_mov_b64_e32 v[12:13], v[64:65]
; %bb.909:
	s_or_b64 exec, exec, s[12:13]
.LBB1370_910:
	s_or_b64 exec, exec, s[44:45]
	s_or_b64 exec, exec, s[42:43]
	s_and_saveexec_b64 s[42:43], s[24:25]
	s_cbranch_execz .LBB1370_776
.LBB1370_911:
	s_and_saveexec_b64 s[44:45], s[8:9]
	s_cbranch_execz .LBB1370_919
; %bb.912:
	v_mul_lo_u32 v31, v27, v6
	v_mul_lo_u32 v66, v26, v7
	v_mad_u64_u32 v[64:65], s[12:13], v26, v6, 0
	v_add3_u32 v65, v65, v66, v31
	v_mul_lo_u32 v31, v21, v6
	v_mul_lo_u32 v68, v20, v7
	v_mad_u64_u32 v[66:67], s[12:13], v20, v6, 0
	v_add3_u32 v67, v67, v68, v31
	v_lshl_add_u64 v[64:65], v[64:65], 1, v[8:9]
	v_lshl_add_u64 v[66:67], v[66:67], 1, v[8:9]
	s_mov_b64 s[48:49], 0
	v_mov_b64_e32 v[68:69], v[6:7]
                                        ; implicit-def: $sgpr46_sgpr47
                                        ; implicit-def: $sgpr50_sgpr51
                                        ; implicit-def: $sgpr54_sgpr55
                                        ; implicit-def: $sgpr52_sgpr53
                                        ; implicit-def: $sgpr56_sgpr57
                                        ; implicit-def: $sgpr58_sgpr59
	s_branch .LBB1370_914
.LBB1370_913:                           ;   in Loop: Header=BB1370_914 Depth=1
	s_or_b64 exec, exec, s[60:61]
	s_and_b64 s[12:13], exec, s[54:55]
	s_or_b64 s[48:49], s[12:13], s[48:49]
	s_andn2_b64 s[12:13], s[58:59], exec
	s_and_b64 s[36:37], s[56:57], exec
	s_or_b64 s[58:59], s[12:13], s[36:37]
	s_andn2_b64 s[12:13], s[50:51], exec
	s_and_b64 s[36:37], s[52:53], exec
	;; [unrolled: 3-line block ×3, first 2 shown]
	s_or_b64 s[46:47], s[12:13], s[34:35]
	s_andn2_b64 exec, exec, s[48:49]
	s_cbranch_execz .LBB1370_916
.LBB1370_914:                           ; =>This Inner Loop Header: Depth=1
	flat_load_ushort v31, v[66:67]
	flat_load_ushort v70, v[64:65]
	s_andn2_b64 s[56:57], s[56:57], exec
	s_or_b64 s[52:53], s[52:53], exec
	s_or_b64 s[54:55], s[54:55], exec
	s_waitcnt vmcnt(0) lgkmcnt(0)
	v_cmp_le_u16_e64 s[34:35], v31, v70
	v_cmp_lt_u16_e64 s[12:13], v31, v70
	s_and_b64 s[34:35], s[34:35], s[58:59]
	v_cmp_eq_u16_e64 s[36:37], v31, v70
	s_or_b64 s[34:35], s[12:13], s[34:35]
	s_and_saveexec_b64 s[60:61], s[36:37]
	s_cbranch_execz .LBB1370_913
; %bb.915:                              ;   in Loop: Header=BB1370_914 Depth=1
	v_lshl_add_u64 v[68:69], v[68:69], 0, -1
	v_cmp_eq_u64_e64 s[12:13], 0, v[68:69]
	s_andn2_b64 s[36:37], s[56:57], exec
	s_and_b64 s[56:57], s[34:35], exec
	s_or_b64 s[56:57], s[36:37], s[56:57]
	s_andn2_b64 s[36:37], s[54:55], exec
	s_and_b64 s[12:13], s[12:13], exec
	v_lshl_add_u64 v[64:65], v[64:65], 0, 2
	v_lshl_add_u64 v[66:67], v[66:67], 0, 2
	s_andn2_b64 s[52:53], s[52:53], exec
	s_or_b64 s[54:55], s[36:37], s[12:13]
                                        ; implicit-def: $sgpr58_sgpr59
	s_branch .LBB1370_913
.LBB1370_916:
	s_or_b64 exec, exec, s[48:49]
	s_and_saveexec_b64 s[12:13], s[50:51]
	s_xor_b64 s[12:13], exec, s[12:13]
; %bb.917:
	v_cndmask_b32_e64 v65, v27, v21, s[46:47]
	v_cndmask_b32_e64 v64, v26, v20, s[46:47]
	;; [unrolled: 1-line block ×4, first 2 shown]
	v_mov_b64_e32 v[26:27], v[64:65]
; %bb.918:
	s_or_b64 exec, exec, s[12:13]
.LBB1370_919:
	s_or_b64 exec, exec, s[44:45]
	s_or_b64 exec, exec, s[42:43]
	s_and_saveexec_b64 s[42:43], s[26:27]
	s_cbranch_execz .LBB1370_777
.LBB1370_920:
	s_and_saveexec_b64 s[44:45], s[8:9]
	s_cbranch_execz .LBB1370_928
; %bb.921:
	v_mul_lo_u32 v31, v23, v6
	v_mul_lo_u32 v66, v22, v7
	v_mad_u64_u32 v[64:65], s[12:13], v22, v6, 0
	v_add3_u32 v65, v65, v66, v31
	v_mul_lo_u32 v31, v17, v6
	v_mul_lo_u32 v68, v16, v7
	v_mad_u64_u32 v[66:67], s[12:13], v16, v6, 0
	v_add3_u32 v67, v67, v68, v31
	v_lshl_add_u64 v[64:65], v[64:65], 1, v[8:9]
	v_lshl_add_u64 v[66:67], v[66:67], 1, v[8:9]
	s_mov_b64 s[48:49], 0
	v_mov_b64_e32 v[68:69], v[6:7]
                                        ; implicit-def: $sgpr46_sgpr47
                                        ; implicit-def: $sgpr50_sgpr51
                                        ; implicit-def: $sgpr54_sgpr55
                                        ; implicit-def: $sgpr52_sgpr53
                                        ; implicit-def: $sgpr56_sgpr57
                                        ; implicit-def: $sgpr58_sgpr59
	s_branch .LBB1370_923
.LBB1370_922:                           ;   in Loop: Header=BB1370_923 Depth=1
	s_or_b64 exec, exec, s[60:61]
	s_and_b64 s[12:13], exec, s[54:55]
	s_or_b64 s[48:49], s[12:13], s[48:49]
	s_andn2_b64 s[12:13], s[58:59], exec
	s_and_b64 s[36:37], s[56:57], exec
	s_or_b64 s[58:59], s[12:13], s[36:37]
	s_andn2_b64 s[12:13], s[50:51], exec
	s_and_b64 s[36:37], s[52:53], exec
	;; [unrolled: 3-line block ×3, first 2 shown]
	s_or_b64 s[46:47], s[12:13], s[34:35]
	s_andn2_b64 exec, exec, s[48:49]
	s_cbranch_execz .LBB1370_925
.LBB1370_923:                           ; =>This Inner Loop Header: Depth=1
	flat_load_ushort v31, v[66:67]
	flat_load_ushort v70, v[64:65]
	s_andn2_b64 s[56:57], s[56:57], exec
	s_or_b64 s[52:53], s[52:53], exec
	s_or_b64 s[54:55], s[54:55], exec
	s_waitcnt vmcnt(0) lgkmcnt(0)
	v_cmp_le_u16_e64 s[34:35], v31, v70
	v_cmp_lt_u16_e64 s[12:13], v31, v70
	s_and_b64 s[34:35], s[34:35], s[58:59]
	v_cmp_eq_u16_e64 s[36:37], v31, v70
	s_or_b64 s[34:35], s[12:13], s[34:35]
	s_and_saveexec_b64 s[60:61], s[36:37]
	s_cbranch_execz .LBB1370_922
; %bb.924:                              ;   in Loop: Header=BB1370_923 Depth=1
	v_lshl_add_u64 v[68:69], v[68:69], 0, -1
	v_cmp_eq_u64_e64 s[12:13], 0, v[68:69]
	s_andn2_b64 s[36:37], s[56:57], exec
	s_and_b64 s[56:57], s[34:35], exec
	s_or_b64 s[56:57], s[36:37], s[56:57]
	s_andn2_b64 s[36:37], s[54:55], exec
	s_and_b64 s[12:13], s[12:13], exec
	v_lshl_add_u64 v[64:65], v[64:65], 0, 2
	v_lshl_add_u64 v[66:67], v[66:67], 0, 2
	s_andn2_b64 s[52:53], s[52:53], exec
	s_or_b64 s[54:55], s[36:37], s[12:13]
                                        ; implicit-def: $sgpr58_sgpr59
	s_branch .LBB1370_922
.LBB1370_925:
	s_or_b64 exec, exec, s[48:49]
	s_and_saveexec_b64 s[12:13], s[50:51]
	s_xor_b64 s[12:13], exec, s[12:13]
; %bb.926:
	v_cndmask_b32_e64 v65, v23, v17, s[46:47]
	v_cndmask_b32_e64 v64, v22, v16, s[46:47]
	;; [unrolled: 1-line block ×4, first 2 shown]
	v_mov_b64_e32 v[22:23], v[64:65]
; %bb.927:
	s_or_b64 exec, exec, s[12:13]
.LBB1370_928:
	s_or_b64 exec, exec, s[44:45]
	s_or_b64 exec, exec, s[42:43]
	s_and_saveexec_b64 s[42:43], s[28:29]
	s_cbranch_execz .LBB1370_778
.LBB1370_929:
	s_and_saveexec_b64 s[44:45], s[8:9]
	s_cbranch_execz .LBB1370_937
; %bb.930:
	v_mul_lo_u32 v31, v19, v6
	v_mul_lo_u32 v66, v18, v7
	v_mad_u64_u32 v[64:65], s[12:13], v18, v6, 0
	v_add3_u32 v65, v65, v66, v31
	v_mul_lo_u32 v31, v13, v6
	v_mul_lo_u32 v68, v12, v7
	v_mad_u64_u32 v[66:67], s[12:13], v12, v6, 0
	v_add3_u32 v67, v67, v68, v31
	v_lshl_add_u64 v[64:65], v[64:65], 1, v[8:9]
	v_lshl_add_u64 v[66:67], v[66:67], 1, v[8:9]
	s_mov_b64 s[48:49], 0
	v_mov_b64_e32 v[68:69], v[6:7]
                                        ; implicit-def: $sgpr46_sgpr47
                                        ; implicit-def: $sgpr50_sgpr51
                                        ; implicit-def: $sgpr54_sgpr55
                                        ; implicit-def: $sgpr52_sgpr53
                                        ; implicit-def: $sgpr56_sgpr57
                                        ; implicit-def: $sgpr58_sgpr59
	s_branch .LBB1370_932
.LBB1370_931:                           ;   in Loop: Header=BB1370_932 Depth=1
	s_or_b64 exec, exec, s[60:61]
	s_and_b64 s[12:13], exec, s[54:55]
	s_or_b64 s[48:49], s[12:13], s[48:49]
	s_andn2_b64 s[12:13], s[58:59], exec
	s_and_b64 s[36:37], s[56:57], exec
	s_or_b64 s[58:59], s[12:13], s[36:37]
	s_andn2_b64 s[12:13], s[50:51], exec
	s_and_b64 s[36:37], s[52:53], exec
	s_or_b64 s[50:51], s[12:13], s[36:37]
	s_andn2_b64 s[12:13], s[46:47], exec
	s_and_b64 s[34:35], s[34:35], exec
	s_or_b64 s[46:47], s[12:13], s[34:35]
	s_andn2_b64 exec, exec, s[48:49]
	s_cbranch_execz .LBB1370_934
.LBB1370_932:                           ; =>This Inner Loop Header: Depth=1
	flat_load_ushort v31, v[66:67]
	flat_load_ushort v70, v[64:65]
	s_andn2_b64 s[56:57], s[56:57], exec
	s_or_b64 s[52:53], s[52:53], exec
	s_or_b64 s[54:55], s[54:55], exec
	s_waitcnt vmcnt(0) lgkmcnt(0)
	v_cmp_le_u16_e64 s[34:35], v31, v70
	v_cmp_lt_u16_e64 s[12:13], v31, v70
	s_and_b64 s[34:35], s[34:35], s[58:59]
	v_cmp_eq_u16_e64 s[36:37], v31, v70
	s_or_b64 s[34:35], s[12:13], s[34:35]
	s_and_saveexec_b64 s[60:61], s[36:37]
	s_cbranch_execz .LBB1370_931
; %bb.933:                              ;   in Loop: Header=BB1370_932 Depth=1
	v_lshl_add_u64 v[68:69], v[68:69], 0, -1
	v_cmp_eq_u64_e64 s[12:13], 0, v[68:69]
	s_andn2_b64 s[36:37], s[56:57], exec
	s_and_b64 s[56:57], s[34:35], exec
	s_or_b64 s[56:57], s[36:37], s[56:57]
	s_andn2_b64 s[36:37], s[54:55], exec
	s_and_b64 s[12:13], s[12:13], exec
	v_lshl_add_u64 v[64:65], v[64:65], 0, 2
	v_lshl_add_u64 v[66:67], v[66:67], 0, 2
	s_andn2_b64 s[52:53], s[52:53], exec
	s_or_b64 s[54:55], s[36:37], s[12:13]
                                        ; implicit-def: $sgpr58_sgpr59
	s_branch .LBB1370_931
.LBB1370_934:
	s_or_b64 exec, exec, s[48:49]
	s_and_saveexec_b64 s[12:13], s[50:51]
	s_xor_b64 s[12:13], exec, s[12:13]
; %bb.935:
	v_cndmask_b32_e64 v65, v19, v13, s[46:47]
	v_cndmask_b32_e64 v64, v18, v12, s[46:47]
	;; [unrolled: 1-line block ×4, first 2 shown]
	v_mov_b64_e32 v[18:19], v[64:65]
; %bb.936:
	s_or_b64 exec, exec, s[12:13]
.LBB1370_937:
	s_or_b64 exec, exec, s[44:45]
	s_or_b64 exec, exec, s[42:43]
	s_and_saveexec_b64 s[36:37], s[16:17]
	s_cbranch_execz .LBB1370_779
.LBB1370_938:
	s_and_saveexec_b64 s[42:43], s[8:9]
	s_cbranch_execz .LBB1370_946
; %bb.939:
	v_mul_lo_u32 v31, v25, v6
	v_mul_lo_u32 v66, v24, v7
	v_mad_u64_u32 v[64:65], s[12:13], v24, v6, 0
	v_add3_u32 v65, v65, v66, v31
	v_mul_lo_u32 v31, v27, v6
	v_mul_lo_u32 v68, v26, v7
	v_mad_u64_u32 v[66:67], s[12:13], v26, v6, 0
	v_add3_u32 v67, v67, v68, v31
	v_lshl_add_u64 v[64:65], v[64:65], 1, v[8:9]
	v_lshl_add_u64 v[66:67], v[66:67], 1, v[8:9]
	s_mov_b64 s[46:47], 0
	v_mov_b64_e32 v[68:69], v[6:7]
                                        ; implicit-def: $sgpr44_sgpr45
                                        ; implicit-def: $sgpr48_sgpr49
                                        ; implicit-def: $sgpr52_sgpr53
                                        ; implicit-def: $sgpr50_sgpr51
                                        ; implicit-def: $sgpr54_sgpr55
                                        ; implicit-def: $sgpr56_sgpr57
	s_branch .LBB1370_941
.LBB1370_940:                           ;   in Loop: Header=BB1370_941 Depth=1
	s_or_b64 exec, exec, s[58:59]
	s_and_b64 s[12:13], exec, s[52:53]
	s_or_b64 s[46:47], s[12:13], s[46:47]
	s_andn2_b64 s[12:13], s[56:57], exec
	s_and_b64 s[34:35], s[54:55], exec
	s_or_b64 s[56:57], s[12:13], s[34:35]
	s_andn2_b64 s[12:13], s[48:49], exec
	s_and_b64 s[34:35], s[50:51], exec
	;; [unrolled: 3-line block ×3, first 2 shown]
	s_or_b64 s[44:45], s[12:13], s[16:17]
	s_andn2_b64 exec, exec, s[46:47]
	s_cbranch_execz .LBB1370_943
.LBB1370_941:                           ; =>This Inner Loop Header: Depth=1
	flat_load_ushort v31, v[66:67]
	flat_load_ushort v70, v[64:65]
	s_andn2_b64 s[54:55], s[54:55], exec
	s_or_b64 s[50:51], s[50:51], exec
	s_or_b64 s[52:53], s[52:53], exec
	s_waitcnt vmcnt(0) lgkmcnt(0)
	v_cmp_le_u16_e64 s[16:17], v31, v70
	v_cmp_lt_u16_e64 s[12:13], v31, v70
	s_and_b64 s[16:17], s[16:17], s[56:57]
	v_cmp_eq_u16_e64 s[34:35], v31, v70
	s_or_b64 s[16:17], s[12:13], s[16:17]
	s_and_saveexec_b64 s[58:59], s[34:35]
	s_cbranch_execz .LBB1370_940
; %bb.942:                              ;   in Loop: Header=BB1370_941 Depth=1
	v_lshl_add_u64 v[68:69], v[68:69], 0, -1
	v_cmp_eq_u64_e64 s[12:13], 0, v[68:69]
	s_andn2_b64 s[34:35], s[54:55], exec
	s_and_b64 s[54:55], s[16:17], exec
	s_or_b64 s[54:55], s[34:35], s[54:55]
	s_andn2_b64 s[34:35], s[52:53], exec
	s_and_b64 s[12:13], s[12:13], exec
	v_lshl_add_u64 v[64:65], v[64:65], 0, 2
	v_lshl_add_u64 v[66:67], v[66:67], 0, 2
	s_andn2_b64 s[50:51], s[50:51], exec
	s_or_b64 s[52:53], s[34:35], s[12:13]
                                        ; implicit-def: $sgpr56_sgpr57
	s_branch .LBB1370_940
.LBB1370_943:
	s_or_b64 exec, exec, s[46:47]
	s_and_saveexec_b64 s[12:13], s[48:49]
	s_xor_b64 s[12:13], exec, s[12:13]
; %bb.944:
	v_cndmask_b32_e64 v65, v27, v25, s[44:45]
	v_cndmask_b32_e64 v64, v26, v24, s[44:45]
	;; [unrolled: 1-line block ×4, first 2 shown]
	v_mov_b64_e32 v[26:27], v[64:65]
; %bb.945:
	s_or_b64 exec, exec, s[12:13]
.LBB1370_946:
	s_or_b64 exec, exec, s[42:43]
	s_or_b64 exec, exec, s[36:37]
	s_and_saveexec_b64 s[34:35], s[18:19]
	s_cbranch_execz .LBB1370_780
.LBB1370_947:
	s_and_saveexec_b64 s[36:37], s[8:9]
	s_cbranch_execz .LBB1370_955
; %bb.948:
	v_mul_lo_u32 v31, v21, v6
	v_mul_lo_u32 v66, v20, v7
	v_mad_u64_u32 v[64:65], s[12:13], v20, v6, 0
	v_add3_u32 v65, v65, v66, v31
	v_mul_lo_u32 v31, v23, v6
	v_mul_lo_u32 v68, v22, v7
	v_mad_u64_u32 v[66:67], s[12:13], v22, v6, 0
	v_add3_u32 v67, v67, v68, v31
	v_lshl_add_u64 v[64:65], v[64:65], 1, v[8:9]
	v_lshl_add_u64 v[66:67], v[66:67], 1, v[8:9]
	s_mov_b64 s[44:45], 0
	v_mov_b64_e32 v[68:69], v[6:7]
                                        ; implicit-def: $sgpr42_sgpr43
                                        ; implicit-def: $sgpr46_sgpr47
                                        ; implicit-def: $sgpr50_sgpr51
                                        ; implicit-def: $sgpr48_sgpr49
                                        ; implicit-def: $sgpr52_sgpr53
                                        ; implicit-def: $sgpr54_sgpr55
	s_branch .LBB1370_950
.LBB1370_949:                           ;   in Loop: Header=BB1370_950 Depth=1
	s_or_b64 exec, exec, s[56:57]
	s_and_b64 s[12:13], exec, s[50:51]
	s_or_b64 s[44:45], s[12:13], s[44:45]
	s_andn2_b64 s[12:13], s[54:55], exec
	s_and_b64 s[18:19], s[52:53], exec
	s_or_b64 s[54:55], s[12:13], s[18:19]
	s_andn2_b64 s[12:13], s[46:47], exec
	s_and_b64 s[18:19], s[48:49], exec
	;; [unrolled: 3-line block ×3, first 2 shown]
	s_or_b64 s[42:43], s[12:13], s[16:17]
	s_andn2_b64 exec, exec, s[44:45]
	s_cbranch_execz .LBB1370_952
.LBB1370_950:                           ; =>This Inner Loop Header: Depth=1
	flat_load_ushort v31, v[66:67]
	flat_load_ushort v70, v[64:65]
	s_andn2_b64 s[52:53], s[52:53], exec
	s_or_b64 s[48:49], s[48:49], exec
	s_or_b64 s[50:51], s[50:51], exec
	s_waitcnt vmcnt(0) lgkmcnt(0)
	v_cmp_le_u16_e64 s[16:17], v31, v70
	v_cmp_lt_u16_e64 s[12:13], v31, v70
	s_and_b64 s[16:17], s[16:17], s[54:55]
	v_cmp_eq_u16_e64 s[18:19], v31, v70
	s_or_b64 s[16:17], s[12:13], s[16:17]
	s_and_saveexec_b64 s[56:57], s[18:19]
	s_cbranch_execz .LBB1370_949
; %bb.951:                              ;   in Loop: Header=BB1370_950 Depth=1
	v_lshl_add_u64 v[68:69], v[68:69], 0, -1
	v_cmp_eq_u64_e64 s[12:13], 0, v[68:69]
	s_andn2_b64 s[18:19], s[52:53], exec
	s_and_b64 s[52:53], s[16:17], exec
	s_or_b64 s[52:53], s[18:19], s[52:53]
	s_andn2_b64 s[18:19], s[50:51], exec
	s_and_b64 s[12:13], s[12:13], exec
	v_lshl_add_u64 v[64:65], v[64:65], 0, 2
	v_lshl_add_u64 v[66:67], v[66:67], 0, 2
	s_andn2_b64 s[48:49], s[48:49], exec
	s_or_b64 s[50:51], s[18:19], s[12:13]
                                        ; implicit-def: $sgpr54_sgpr55
	s_branch .LBB1370_949
.LBB1370_952:
	s_or_b64 exec, exec, s[44:45]
	s_and_saveexec_b64 s[12:13], s[46:47]
	s_xor_b64 s[12:13], exec, s[12:13]
; %bb.953:
	v_cndmask_b32_e64 v65, v21, v23, s[42:43]
	v_cndmask_b32_e64 v64, v20, v22, s[42:43]
	v_cndmask_b32_e64 v23, v23, v21, s[42:43]
	v_cndmask_b32_e64 v22, v22, v20, s[42:43]
	v_mov_b64_e32 v[20:21], v[64:65]
; %bb.954:
	s_or_b64 exec, exec, s[12:13]
.LBB1370_955:
	s_or_b64 exec, exec, s[36:37]
	s_or_b64 exec, exec, s[34:35]
	s_and_saveexec_b64 s[34:35], s[20:21]
	s_cbranch_execz .LBB1370_781
.LBB1370_956:
	s_and_saveexec_b64 s[20:21], s[8:9]
	s_cbranch_execz .LBB1370_964
; %bb.957:
	v_mul_lo_u32 v31, v17, v6
	v_mul_lo_u32 v66, v16, v7
	v_mad_u64_u32 v[64:65], s[12:13], v16, v6, 0
	v_add3_u32 v65, v65, v66, v31
	v_mul_lo_u32 v31, v19, v6
	v_mul_lo_u32 v68, v18, v7
	v_mad_u64_u32 v[66:67], s[12:13], v18, v6, 0
	v_add3_u32 v67, v67, v68, v31
	v_lshl_add_u64 v[64:65], v[64:65], 1, v[8:9]
	v_lshl_add_u64 v[66:67], v[66:67], 1, v[8:9]
	s_mov_b64 s[42:43], 0
	v_mov_b64_e32 v[68:69], v[6:7]
                                        ; implicit-def: $sgpr36_sgpr37
                                        ; implicit-def: $sgpr44_sgpr45
                                        ; implicit-def: $sgpr48_sgpr49
                                        ; implicit-def: $sgpr46_sgpr47
                                        ; implicit-def: $sgpr50_sgpr51
                                        ; implicit-def: $sgpr52_sgpr53
	s_branch .LBB1370_959
.LBB1370_958:                           ;   in Loop: Header=BB1370_959 Depth=1
	s_or_b64 exec, exec, s[54:55]
	s_and_b64 s[12:13], exec, s[48:49]
	s_or_b64 s[42:43], s[12:13], s[42:43]
	s_andn2_b64 s[12:13], s[52:53], exec
	s_and_b64 s[18:19], s[50:51], exec
	s_or_b64 s[52:53], s[12:13], s[18:19]
	s_andn2_b64 s[12:13], s[44:45], exec
	s_and_b64 s[18:19], s[46:47], exec
	;; [unrolled: 3-line block ×3, first 2 shown]
	s_or_b64 s[36:37], s[12:13], s[16:17]
	s_andn2_b64 exec, exec, s[42:43]
	s_cbranch_execz .LBB1370_961
.LBB1370_959:                           ; =>This Inner Loop Header: Depth=1
	flat_load_ushort v31, v[66:67]
	flat_load_ushort v70, v[64:65]
	s_andn2_b64 s[50:51], s[50:51], exec
	s_or_b64 s[46:47], s[46:47], exec
	s_or_b64 s[48:49], s[48:49], exec
	s_waitcnt vmcnt(0) lgkmcnt(0)
	v_cmp_le_u16_e64 s[16:17], v31, v70
	v_cmp_lt_u16_e64 s[12:13], v31, v70
	s_and_b64 s[16:17], s[16:17], s[52:53]
	v_cmp_eq_u16_e64 s[18:19], v31, v70
	s_or_b64 s[16:17], s[12:13], s[16:17]
	s_and_saveexec_b64 s[54:55], s[18:19]
	s_cbranch_execz .LBB1370_958
; %bb.960:                              ;   in Loop: Header=BB1370_959 Depth=1
	v_lshl_add_u64 v[68:69], v[68:69], 0, -1
	v_cmp_eq_u64_e64 s[12:13], 0, v[68:69]
	s_andn2_b64 s[18:19], s[50:51], exec
	s_and_b64 s[50:51], s[16:17], exec
	s_or_b64 s[50:51], s[18:19], s[50:51]
	s_andn2_b64 s[18:19], s[48:49], exec
	s_and_b64 s[12:13], s[12:13], exec
	v_lshl_add_u64 v[64:65], v[64:65], 0, 2
	v_lshl_add_u64 v[66:67], v[66:67], 0, 2
	s_andn2_b64 s[46:47], s[46:47], exec
	s_or_b64 s[48:49], s[18:19], s[12:13]
                                        ; implicit-def: $sgpr52_sgpr53
	s_branch .LBB1370_958
.LBB1370_961:
	s_or_b64 exec, exec, s[42:43]
	s_and_saveexec_b64 s[12:13], s[44:45]
	s_xor_b64 s[12:13], exec, s[12:13]
; %bb.962:
	v_cndmask_b32_e64 v65, v17, v19, s[36:37]
	v_cndmask_b32_e64 v64, v16, v18, s[36:37]
	;; [unrolled: 1-line block ×4, first 2 shown]
	v_mov_b64_e32 v[16:17], v[64:65]
; %bb.963:
	s_or_b64 exec, exec, s[12:13]
.LBB1370_964:
	s_or_b64 exec, exec, s[20:21]
	s_or_b64 exec, exec, s[34:35]
	s_and_saveexec_b64 s[20:21], s[22:23]
	s_cbranch_execz .LBB1370_782
.LBB1370_965:
	s_and_saveexec_b64 s[22:23], s[8:9]
	s_cbranch_execz .LBB1370_973
; %bb.966:
	v_mul_lo_u32 v31, v13, v6
	v_mul_lo_u32 v66, v12, v7
	v_mad_u64_u32 v[64:65], s[12:13], v12, v6, 0
	v_add3_u32 v65, v65, v66, v31
	v_mul_lo_u32 v31, v15, v6
	v_mul_lo_u32 v68, v14, v7
	v_mad_u64_u32 v[66:67], s[12:13], v14, v6, 0
	v_add3_u32 v67, v67, v68, v31
	v_lshl_add_u64 v[64:65], v[64:65], 1, v[8:9]
	v_lshl_add_u64 v[66:67], v[66:67], 1, v[8:9]
	s_mov_b64 s[36:37], 0
	v_mov_b64_e32 v[68:69], v[6:7]
                                        ; implicit-def: $sgpr34_sgpr35
                                        ; implicit-def: $sgpr42_sgpr43
                                        ; implicit-def: $sgpr46_sgpr47
                                        ; implicit-def: $sgpr44_sgpr45
                                        ; implicit-def: $sgpr48_sgpr49
                                        ; implicit-def: $sgpr50_sgpr51
	s_branch .LBB1370_968
.LBB1370_967:                           ;   in Loop: Header=BB1370_968 Depth=1
	s_or_b64 exec, exec, s[52:53]
	s_and_b64 s[12:13], exec, s[46:47]
	s_or_b64 s[36:37], s[12:13], s[36:37]
	s_andn2_b64 s[12:13], s[50:51], exec
	s_and_b64 s[18:19], s[48:49], exec
	s_or_b64 s[50:51], s[12:13], s[18:19]
	s_andn2_b64 s[12:13], s[42:43], exec
	s_and_b64 s[18:19], s[44:45], exec
	;; [unrolled: 3-line block ×3, first 2 shown]
	s_or_b64 s[34:35], s[12:13], s[16:17]
	s_andn2_b64 exec, exec, s[36:37]
	s_cbranch_execz .LBB1370_970
.LBB1370_968:                           ; =>This Inner Loop Header: Depth=1
	flat_load_ushort v31, v[66:67]
	flat_load_ushort v70, v[64:65]
	s_andn2_b64 s[48:49], s[48:49], exec
	s_or_b64 s[44:45], s[44:45], exec
	s_or_b64 s[46:47], s[46:47], exec
	s_waitcnt vmcnt(0) lgkmcnt(0)
	v_cmp_le_u16_e64 s[16:17], v31, v70
	v_cmp_lt_u16_e64 s[12:13], v31, v70
	s_and_b64 s[16:17], s[16:17], s[50:51]
	v_cmp_eq_u16_e64 s[18:19], v31, v70
	s_or_b64 s[16:17], s[12:13], s[16:17]
	s_and_saveexec_b64 s[52:53], s[18:19]
	s_cbranch_execz .LBB1370_967
; %bb.969:                              ;   in Loop: Header=BB1370_968 Depth=1
	v_lshl_add_u64 v[68:69], v[68:69], 0, -1
	v_cmp_eq_u64_e64 s[12:13], 0, v[68:69]
	s_andn2_b64 s[18:19], s[48:49], exec
	s_and_b64 s[48:49], s[16:17], exec
	s_or_b64 s[48:49], s[18:19], s[48:49]
	s_andn2_b64 s[18:19], s[46:47], exec
	s_and_b64 s[12:13], s[12:13], exec
	v_lshl_add_u64 v[64:65], v[64:65], 0, 2
	v_lshl_add_u64 v[66:67], v[66:67], 0, 2
	s_andn2_b64 s[44:45], s[44:45], exec
	s_or_b64 s[46:47], s[18:19], s[12:13]
                                        ; implicit-def: $sgpr50_sgpr51
	s_branch .LBB1370_967
.LBB1370_970:
	s_or_b64 exec, exec, s[36:37]
	s_and_saveexec_b64 s[12:13], s[42:43]
	s_xor_b64 s[12:13], exec, s[12:13]
; %bb.971:
	v_cndmask_b32_e64 v65, v13, v15, s[34:35]
	v_cndmask_b32_e64 v64, v12, v14, s[34:35]
	;; [unrolled: 1-line block ×4, first 2 shown]
	v_mov_b64_e32 v[12:13], v[64:65]
; %bb.972:
	s_or_b64 exec, exec, s[12:13]
.LBB1370_973:
	s_or_b64 exec, exec, s[22:23]
	s_or_b64 exec, exec, s[20:21]
	s_and_saveexec_b64 s[20:21], s[24:25]
	s_cbranch_execz .LBB1370_783
.LBB1370_974:
	s_and_saveexec_b64 s[22:23], s[8:9]
	s_cbranch_execz .LBB1370_982
; %bb.975:
	v_mul_lo_u32 v31, v27, v6
	v_mul_lo_u32 v66, v26, v7
	v_mad_u64_u32 v[64:65], s[12:13], v26, v6, 0
	v_add3_u32 v65, v65, v66, v31
	v_mul_lo_u32 v31, v21, v6
	v_mul_lo_u32 v68, v20, v7
	v_mad_u64_u32 v[66:67], s[12:13], v20, v6, 0
	v_add3_u32 v67, v67, v68, v31
	v_lshl_add_u64 v[64:65], v[64:65], 1, v[8:9]
	v_lshl_add_u64 v[66:67], v[66:67], 1, v[8:9]
	s_mov_b64 s[34:35], 0
	v_mov_b64_e32 v[68:69], v[6:7]
                                        ; implicit-def: $sgpr24_sgpr25
                                        ; implicit-def: $sgpr36_sgpr37
                                        ; implicit-def: $sgpr44_sgpr45
                                        ; implicit-def: $sgpr42_sgpr43
                                        ; implicit-def: $sgpr46_sgpr47
                                        ; implicit-def: $sgpr48_sgpr49
	s_branch .LBB1370_977
.LBB1370_976:                           ;   in Loop: Header=BB1370_977 Depth=1
	s_or_b64 exec, exec, s[50:51]
	s_and_b64 s[12:13], exec, s[44:45]
	s_or_b64 s[34:35], s[12:13], s[34:35]
	s_andn2_b64 s[12:13], s[48:49], exec
	s_and_b64 s[18:19], s[46:47], exec
	s_or_b64 s[48:49], s[12:13], s[18:19]
	s_andn2_b64 s[12:13], s[36:37], exec
	s_and_b64 s[18:19], s[42:43], exec
	;; [unrolled: 3-line block ×3, first 2 shown]
	s_or_b64 s[24:25], s[12:13], s[16:17]
	s_andn2_b64 exec, exec, s[34:35]
	s_cbranch_execz .LBB1370_979
.LBB1370_977:                           ; =>This Inner Loop Header: Depth=1
	flat_load_ushort v31, v[66:67]
	flat_load_ushort v70, v[64:65]
	s_andn2_b64 s[46:47], s[46:47], exec
	s_or_b64 s[42:43], s[42:43], exec
	s_or_b64 s[44:45], s[44:45], exec
	s_waitcnt vmcnt(0) lgkmcnt(0)
	v_cmp_le_u16_e64 s[16:17], v31, v70
	v_cmp_lt_u16_e64 s[12:13], v31, v70
	s_and_b64 s[16:17], s[16:17], s[48:49]
	v_cmp_eq_u16_e64 s[18:19], v31, v70
	s_or_b64 s[16:17], s[12:13], s[16:17]
	s_and_saveexec_b64 s[50:51], s[18:19]
	s_cbranch_execz .LBB1370_976
; %bb.978:                              ;   in Loop: Header=BB1370_977 Depth=1
	v_lshl_add_u64 v[68:69], v[68:69], 0, -1
	v_cmp_eq_u64_e64 s[12:13], 0, v[68:69]
	s_andn2_b64 s[18:19], s[46:47], exec
	s_and_b64 s[46:47], s[16:17], exec
	s_or_b64 s[46:47], s[18:19], s[46:47]
	s_andn2_b64 s[18:19], s[44:45], exec
	s_and_b64 s[12:13], s[12:13], exec
	v_lshl_add_u64 v[64:65], v[64:65], 0, 2
	v_lshl_add_u64 v[66:67], v[66:67], 0, 2
	s_andn2_b64 s[42:43], s[42:43], exec
	s_or_b64 s[44:45], s[18:19], s[12:13]
                                        ; implicit-def: $sgpr48_sgpr49
	s_branch .LBB1370_976
.LBB1370_979:
	s_or_b64 exec, exec, s[34:35]
	s_and_saveexec_b64 s[12:13], s[36:37]
	s_xor_b64 s[12:13], exec, s[12:13]
; %bb.980:
	v_cndmask_b32_e64 v65, v27, v21, s[24:25]
	v_cndmask_b32_e64 v64, v26, v20, s[24:25]
	;; [unrolled: 1-line block ×4, first 2 shown]
	v_mov_b64_e32 v[26:27], v[64:65]
; %bb.981:
	s_or_b64 exec, exec, s[12:13]
.LBB1370_982:
	s_or_b64 exec, exec, s[22:23]
	s_or_b64 exec, exec, s[20:21]
	s_and_saveexec_b64 s[20:21], s[26:27]
	s_cbranch_execz .LBB1370_784
.LBB1370_983:
	s_and_saveexec_b64 s[22:23], s[8:9]
	s_cbranch_execz .LBB1370_991
; %bb.984:
	v_mul_lo_u32 v31, v23, v6
	v_mul_lo_u32 v66, v22, v7
	v_mad_u64_u32 v[64:65], s[12:13], v22, v6, 0
	v_add3_u32 v65, v65, v66, v31
	v_mul_lo_u32 v31, v17, v6
	v_mul_lo_u32 v68, v16, v7
	v_mad_u64_u32 v[66:67], s[12:13], v16, v6, 0
	v_add3_u32 v67, v67, v68, v31
	v_lshl_add_u64 v[64:65], v[64:65], 1, v[8:9]
	v_lshl_add_u64 v[66:67], v[66:67], 1, v[8:9]
	s_mov_b64 s[26:27], 0
	v_mov_b64_e32 v[68:69], v[6:7]
                                        ; implicit-def: $sgpr24_sgpr25
                                        ; implicit-def: $sgpr34_sgpr35
                                        ; implicit-def: $sgpr42_sgpr43
                                        ; implicit-def: $sgpr36_sgpr37
                                        ; implicit-def: $sgpr44_sgpr45
                                        ; implicit-def: $sgpr46_sgpr47
	s_branch .LBB1370_986
.LBB1370_985:                           ;   in Loop: Header=BB1370_986 Depth=1
	s_or_b64 exec, exec, s[48:49]
	s_and_b64 s[12:13], exec, s[42:43]
	s_or_b64 s[26:27], s[12:13], s[26:27]
	s_andn2_b64 s[12:13], s[46:47], exec
	s_and_b64 s[18:19], s[44:45], exec
	s_or_b64 s[46:47], s[12:13], s[18:19]
	s_andn2_b64 s[12:13], s[34:35], exec
	s_and_b64 s[18:19], s[36:37], exec
	;; [unrolled: 3-line block ×3, first 2 shown]
	s_or_b64 s[24:25], s[12:13], s[16:17]
	s_andn2_b64 exec, exec, s[26:27]
	s_cbranch_execz .LBB1370_988
.LBB1370_986:                           ; =>This Inner Loop Header: Depth=1
	flat_load_ushort v31, v[66:67]
	flat_load_ushort v70, v[64:65]
	s_andn2_b64 s[44:45], s[44:45], exec
	s_or_b64 s[36:37], s[36:37], exec
	s_or_b64 s[42:43], s[42:43], exec
	s_waitcnt vmcnt(0) lgkmcnt(0)
	v_cmp_le_u16_e64 s[16:17], v31, v70
	v_cmp_lt_u16_e64 s[12:13], v31, v70
	s_and_b64 s[16:17], s[16:17], s[46:47]
	v_cmp_eq_u16_e64 s[18:19], v31, v70
	s_or_b64 s[16:17], s[12:13], s[16:17]
	s_and_saveexec_b64 s[48:49], s[18:19]
	s_cbranch_execz .LBB1370_985
; %bb.987:                              ;   in Loop: Header=BB1370_986 Depth=1
	v_lshl_add_u64 v[68:69], v[68:69], 0, -1
	v_cmp_eq_u64_e64 s[12:13], 0, v[68:69]
	s_andn2_b64 s[18:19], s[44:45], exec
	s_and_b64 s[44:45], s[16:17], exec
	s_or_b64 s[44:45], s[18:19], s[44:45]
	s_andn2_b64 s[18:19], s[42:43], exec
	s_and_b64 s[12:13], s[12:13], exec
	v_lshl_add_u64 v[64:65], v[64:65], 0, 2
	v_lshl_add_u64 v[66:67], v[66:67], 0, 2
	s_andn2_b64 s[36:37], s[36:37], exec
	s_or_b64 s[42:43], s[18:19], s[12:13]
                                        ; implicit-def: $sgpr46_sgpr47
	s_branch .LBB1370_985
.LBB1370_988:
	s_or_b64 exec, exec, s[26:27]
	s_and_saveexec_b64 s[12:13], s[34:35]
	s_xor_b64 s[12:13], exec, s[12:13]
; %bb.989:
	v_cndmask_b32_e64 v65, v23, v17, s[24:25]
	v_cndmask_b32_e64 v64, v22, v16, s[24:25]
	;; [unrolled: 1-line block ×4, first 2 shown]
	v_mov_b64_e32 v[22:23], v[64:65]
; %bb.990:
	s_or_b64 exec, exec, s[12:13]
.LBB1370_991:
	s_or_b64 exec, exec, s[22:23]
	s_or_b64 exec, exec, s[20:21]
	s_and_saveexec_b64 s[20:21], s[28:29]
	s_cbranch_execz .LBB1370_1001
.LBB1370_992:
	s_and_saveexec_b64 s[22:23], s[8:9]
	s_cbranch_execz .LBB1370_1000
; %bb.993:
	v_mul_lo_u32 v31, v19, v6
	v_mul_lo_u32 v66, v18, v7
	v_mad_u64_u32 v[64:65], s[12:13], v18, v6, 0
	v_add3_u32 v65, v65, v66, v31
	v_mul_lo_u32 v31, v13, v6
	v_mul_lo_u32 v68, v12, v7
	v_mad_u64_u32 v[66:67], s[12:13], v12, v6, 0
	v_add3_u32 v67, v67, v68, v31
	v_lshl_add_u64 v[64:65], v[64:65], 1, v[8:9]
	v_lshl_add_u64 v[66:67], v[66:67], 1, v[8:9]
	s_mov_b64 s[26:27], 0
	v_mov_b64_e32 v[68:69], v[6:7]
                                        ; implicit-def: $sgpr24_sgpr25
                                        ; implicit-def: $sgpr28_sgpr29
                                        ; implicit-def: $sgpr36_sgpr37
                                        ; implicit-def: $sgpr34_sgpr35
                                        ; implicit-def: $sgpr42_sgpr43
                                        ; implicit-def: $sgpr44_sgpr45
	s_branch .LBB1370_995
.LBB1370_994:                           ;   in Loop: Header=BB1370_995 Depth=1
	s_or_b64 exec, exec, s[46:47]
	s_and_b64 s[12:13], exec, s[36:37]
	s_or_b64 s[26:27], s[12:13], s[26:27]
	s_andn2_b64 s[12:13], s[44:45], exec
	s_and_b64 s[18:19], s[42:43], exec
	s_or_b64 s[44:45], s[12:13], s[18:19]
	s_andn2_b64 s[12:13], s[28:29], exec
	s_and_b64 s[18:19], s[34:35], exec
	;; [unrolled: 3-line block ×3, first 2 shown]
	s_or_b64 s[24:25], s[12:13], s[16:17]
	s_andn2_b64 exec, exec, s[26:27]
	s_cbranch_execz .LBB1370_997
.LBB1370_995:                           ; =>This Inner Loop Header: Depth=1
	flat_load_ushort v31, v[66:67]
	flat_load_ushort v70, v[64:65]
	s_andn2_b64 s[42:43], s[42:43], exec
	s_or_b64 s[34:35], s[34:35], exec
	s_or_b64 s[36:37], s[36:37], exec
	s_waitcnt vmcnt(0) lgkmcnt(0)
	v_cmp_le_u16_e64 s[16:17], v31, v70
	v_cmp_lt_u16_e64 s[12:13], v31, v70
	s_and_b64 s[16:17], s[16:17], s[44:45]
	v_cmp_eq_u16_e64 s[18:19], v31, v70
	s_or_b64 s[16:17], s[12:13], s[16:17]
	s_and_saveexec_b64 s[46:47], s[18:19]
	s_cbranch_execz .LBB1370_994
; %bb.996:                              ;   in Loop: Header=BB1370_995 Depth=1
	v_lshl_add_u64 v[68:69], v[68:69], 0, -1
	v_cmp_eq_u64_e64 s[12:13], 0, v[68:69]
	s_andn2_b64 s[18:19], s[42:43], exec
	s_and_b64 s[42:43], s[16:17], exec
	s_or_b64 s[42:43], s[18:19], s[42:43]
	s_andn2_b64 s[18:19], s[36:37], exec
	s_and_b64 s[12:13], s[12:13], exec
	v_lshl_add_u64 v[64:65], v[64:65], 0, 2
	v_lshl_add_u64 v[66:67], v[66:67], 0, 2
	s_andn2_b64 s[34:35], s[34:35], exec
	s_or_b64 s[36:37], s[18:19], s[12:13]
                                        ; implicit-def: $sgpr44_sgpr45
	s_branch .LBB1370_994
.LBB1370_997:
	s_or_b64 exec, exec, s[26:27]
	s_and_saveexec_b64 s[12:13], s[28:29]
	s_xor_b64 s[12:13], exec, s[12:13]
; %bb.998:
	v_cndmask_b32_e64 v65, v19, v13, s[24:25]
	v_cndmask_b32_e64 v64, v18, v12, s[24:25]
	;; [unrolled: 1-line block ×4, first 2 shown]
	v_mov_b64_e32 v[18:19], v[64:65]
; %bb.999:
	s_or_b64 exec, exec, s[12:13]
.LBB1370_1000:
	s_or_b64 exec, exec, s[22:23]
.LBB1370_1001:
	s_or_b64 exec, exec, s[20:21]
	v_mbcnt_lo_u32_b32 v31, -1, 0
	v_mbcnt_hi_u32_b32 v64, -1, v31
	v_and_b32_e32 v70, 0xfffffe00, v1
	v_mov_b32_e32 v71, 0
	v_lshlrev_b32_e32 v31, 3, v64
	v_sub_u32_e64 v1, v0, v70 clamp
	v_lshl_add_u64 v[66:67], v[70:71], 3, v[10:11]
	v_lshlrev_b32_e32 v70, 6, v64
	v_or_b32_e32 v64, 8, v31
	v_min_u32_e32 v100, v1, v64
	v_add_u32_e32 v64, 8, v100
	v_and_b32_e32 v102, 0x3f0, v31
	v_min_u32_e32 v101, v1, v64
	v_and_b32_e32 v64, 8, v31
	v_min_u32_e32 v103, v1, v64
	v_sub_u32_e32 v64, v100, v102
	v_sub_u32_e32 v65, v101, v100
	v_sub_u32_e64 v112, v103, v65 clamp
	v_min_u32_e32 v113, v103, v64
	v_lshl_add_u64 v[68:69], v[66:67], 0, v[70:71]
	v_cmp_lt_u32_e64 s[12:13], v112, v113
	v_lshlrev_b64 v[64:65], 1, v[6:7]
	flat_store_dwordx4 v[68:69], v[24:27]
	flat_store_dwordx4 v[68:69], v[20:23] offset:16
	flat_store_dwordx4 v[68:69], v[16:19] offset:32
	;; [unrolled: 1-line block ×3, first 2 shown]
	; wave barrier
	s_and_saveexec_b64 s[20:21], s[12:13]
	s_cbranch_execz .LBB1370_1011
; %bb.1002:
	v_lshlrev_b32_e32 v70, 3, v102
	v_lshl_add_u64 v[80:81], v[66:67], 0, v[70:71]
	v_lshlrev_b32_e32 v70, 3, v100
	v_lshl_add_u64 v[82:83], v[66:67], 0, v[70:71]
	s_mov_b64 s[22:23], 0
	s_branch .LBB1370_1005
.LBB1370_1003:                          ;   in Loop: Header=BB1370_1005 Depth=1
	s_or_b64 exec, exec, s[26:27]
	s_and_b64 s[12:13], s[28:29], exec
.LBB1370_1004:                          ;   in Loop: Header=BB1370_1005 Depth=1
	s_or_b64 exec, exec, s[24:25]
	v_add_u32_e32 v70, 1, v84
	v_cndmask_b32_e64 v113, v113, v84, s[12:13]
	v_cndmask_b32_e64 v112, v70, v112, s[12:13]
	v_cmp_ge_u32_e64 s[12:13], v112, v113
	s_or_b64 s[22:23], s[12:13], s[22:23]
	s_andn2_b64 exec, exec, s[22:23]
	s_cbranch_execz .LBB1370_1010
.LBB1370_1005:                          ; =>This Loop Header: Depth=1
                                        ;     Child Loop BB1370_1008 Depth 2
	v_add_u32_e32 v70, v113, v112
	v_lshrrev_b32_e32 v84, 1, v70
	s_mov_b64 s[12:13], 0
	s_and_saveexec_b64 s[24:25], s[8:9]
	s_cbranch_execz .LBB1370_1004
; %bb.1006:                             ;   in Loop: Header=BB1370_1005 Depth=1
	v_mov_b32_e32 v85, v71
	v_xad_u32 v70, v84, -1, v103
	v_lshl_add_u64 v[86:87], v[84:85], 3, v[80:81]
	v_lshl_add_u64 v[96:97], v[70:71], 3, v[82:83]
	flat_load_dwordx2 v[86:87], v[86:87]
	s_mov_b64 s[26:27], 0
	flat_load_dwordx2 v[96:97], v[96:97]
                                        ; implicit-def: $sgpr28_sgpr29
                                        ; implicit-def: $sgpr34_sgpr35
                                        ; implicit-def: $sgpr36_sgpr37
                                        ; implicit-def: $sgpr16_sgpr17
                                        ; implicit-def: $sgpr42_sgpr43
	s_waitcnt vmcnt(0) lgkmcnt(0)
	v_mul_lo_u32 v70, v64, v87
	v_mul_lo_u32 v85, v65, v86
	v_mad_u64_u32 v[86:87], s[12:13], v64, v86, v[8:9]
	v_mul_lo_u32 v98, v64, v97
	v_mul_lo_u32 v99, v65, v96
	v_mad_u64_u32 v[96:97], s[12:13], v64, v96, v[8:9]
	v_add3_u32 v87, v85, v87, v70
	v_add3_u32 v97, v99, v97, v98
	v_mov_b64_e32 v[98:99], v[6:7]
	s_branch .LBB1370_1008
.LBB1370_1007:                          ;   in Loop: Header=BB1370_1008 Depth=2
	s_or_b64 exec, exec, s[44:45]
	s_and_b64 s[12:13], exec, s[34:35]
	s_or_b64 s[26:27], s[12:13], s[26:27]
	s_andn2_b64 s[12:13], s[42:43], exec
	s_and_b64 s[18:19], s[36:37], exec
	s_or_b64 s[42:43], s[12:13], s[18:19]
	s_andn2_b64 s[12:13], s[28:29], exec
	s_and_b64 s[18:19], s[16:17], exec
	s_or_b64 s[28:29], s[12:13], s[18:19]
	s_andn2_b64 exec, exec, s[26:27]
	s_cbranch_execz .LBB1370_1003
.LBB1370_1008:                          ;   Parent Loop BB1370_1005 Depth=1
                                        ; =>  This Inner Loop Header: Depth=2
	flat_load_ushort v70, v[96:97]
	flat_load_ushort v85, v[86:87]
	s_andn2_b64 s[44:45], s[16:17], exec
	s_andn2_b64 s[36:37], s[36:37], exec
	s_or_b64 s[34:35], s[34:35], exec
	s_waitcnt vmcnt(0) lgkmcnt(0)
	v_cmp_le_u16_e64 s[16:17], v70, v85
	v_cmp_lt_u16_e64 s[12:13], v70, v85
	s_and_b64 s[16:17], s[16:17], s[42:43]
	s_or_b64 s[46:47], s[12:13], s[16:17]
	s_and_b64 s[12:13], s[46:47], exec
	v_cmp_eq_u16_e64 s[18:19], v70, v85
	s_or_b64 s[16:17], s[44:45], s[12:13]
	s_and_saveexec_b64 s[44:45], s[18:19]
	s_cbranch_execz .LBB1370_1007
; %bb.1009:                             ;   in Loop: Header=BB1370_1008 Depth=2
	v_lshl_add_u64 v[98:99], v[98:99], 0, -1
	v_cmp_eq_u64_e64 s[12:13], 0, v[98:99]
	s_andn2_b64 s[18:19], s[36:37], exec
	s_and_b64 s[36:37], s[46:47], exec
	s_or_b64 s[36:37], s[18:19], s[36:37]
	s_andn2_b64 s[18:19], s[34:35], exec
	s_and_b64 s[12:13], s[12:13], exec
	v_lshl_add_u64 v[86:87], v[86:87], 0, 2
	v_lshl_add_u64 v[96:97], v[96:97], 0, 2
	s_andn2_b64 s[16:17], s[16:17], exec
	s_or_b64 s[34:35], s[18:19], s[12:13]
                                        ; implicit-def: $sgpr42_sgpr43
	s_branch .LBB1370_1007
.LBB1370_1010:
	s_or_b64 exec, exec, s[22:23]
.LBB1370_1011:
	s_or_b64 exec, exec, s[20:21]
	v_add_u32_e32 v71, v100, v103
	v_add_u32_e32 v70, v112, v102
	v_sub_u32_e32 v80, v71, v112
	v_cmp_le_u32_e64 s[12:13], v70, v100
	v_cmp_le_u32_e64 s[16:17], v80, v101
	s_or_b64 s[12:13], s[12:13], s[16:17]
	s_and_saveexec_b64 s[20:21], s[12:13]
	s_cbranch_execz .LBB1370_1095
; %bb.1012:
	v_cmp_ge_u32_e64 s[16:17], v70, v100
	v_cmp_lt_u32_e64 s[12:13], v70, v100
                                        ; implicit-def: $vgpr12_vgpr13
	s_and_saveexec_b64 s[18:19], s[12:13]
	s_cbranch_execz .LBB1370_1014
; %bb.1013:
	v_mov_b32_e32 v71, 0
	v_lshl_add_u64 v[12:13], v[70:71], 3, v[66:67]
	flat_load_dwordx2 v[12:13], v[12:13]
.LBB1370_1014:
	s_or_b64 exec, exec, s[18:19]
	v_cmp_ge_u32_e64 s[22:23], v80, v101
	v_cmp_lt_u32_e64 s[12:13], v80, v101
                                        ; implicit-def: $vgpr14_vgpr15
	s_and_saveexec_b64 s[18:19], s[12:13]
	s_cbranch_execz .LBB1370_1016
; %bb.1015:
	v_mov_b32_e32 v81, 0
	v_lshl_add_u64 v[14:15], v[80:81], 3, v[66:67]
	flat_load_dwordx2 v[14:15], v[14:15]
.LBB1370_1016:
	s_or_b64 exec, exec, s[18:19]
	s_or_b64 s[12:13], s[16:17], s[22:23]
	s_xor_b64 s[12:13], s[12:13], -1
	s_and_saveexec_b64 s[24:25], s[12:13]
	s_cbranch_execz .LBB1370_1024
; %bb.1017:
	s_mov_b64 s[12:13], 0
	s_and_saveexec_b64 s[26:27], s[8:9]
	s_cbranch_execz .LBB1370_1023
; %bb.1018:
	s_waitcnt vmcnt(0) lgkmcnt(0)
	v_mul_lo_u32 v18, v13, v6
	v_mul_lo_u32 v19, v12, v7
	v_mad_u64_u32 v[16:17], s[12:13], v12, v6, 0
	v_add3_u32 v17, v17, v19, v18
	v_mul_lo_u32 v20, v15, v6
	v_mul_lo_u32 v21, v14, v7
	v_mad_u64_u32 v[18:19], s[12:13], v14, v6, 0
	v_add3_u32 v19, v19, v21, v20
	v_lshl_add_u64 v[16:17], v[16:17], 1, v[8:9]
	v_lshl_add_u64 v[18:19], v[18:19], 1, v[8:9]
	s_mov_b64 s[28:29], 0
	v_mov_b64_e32 v[20:21], v[6:7]
                                        ; implicit-def: $sgpr34_sgpr35
                                        ; implicit-def: $sgpr36_sgpr37
                                        ; implicit-def: $sgpr42_sgpr43
                                        ; implicit-def: $sgpr16_sgpr17
                                        ; implicit-def: $sgpr44_sgpr45
	s_branch .LBB1370_1020
.LBB1370_1019:                          ;   in Loop: Header=BB1370_1020 Depth=1
	s_or_b64 exec, exec, s[46:47]
	s_and_b64 s[12:13], exec, s[36:37]
	s_or_b64 s[28:29], s[12:13], s[28:29]
	s_andn2_b64 s[12:13], s[44:45], exec
	s_and_b64 s[18:19], s[42:43], exec
	s_or_b64 s[44:45], s[12:13], s[18:19]
	s_andn2_b64 s[12:13], s[34:35], exec
	s_and_b64 s[18:19], s[16:17], exec
	s_or_b64 s[34:35], s[12:13], s[18:19]
	s_andn2_b64 exec, exec, s[28:29]
	s_cbranch_execz .LBB1370_1022
.LBB1370_1020:                          ; =>This Inner Loop Header: Depth=1
	flat_load_ushort v22, v[18:19]
	flat_load_ushort v23, v[16:17]
	s_andn2_b64 s[46:47], s[16:17], exec
	s_andn2_b64 s[42:43], s[42:43], exec
	s_or_b64 s[36:37], s[36:37], exec
	s_waitcnt vmcnt(0) lgkmcnt(0)
	v_cmp_le_u16_e64 s[16:17], v22, v23
	v_cmp_lt_u16_e64 s[12:13], v22, v23
	s_and_b64 s[16:17], s[16:17], s[44:45]
	s_or_b64 s[48:49], s[12:13], s[16:17]
	s_and_b64 s[12:13], s[48:49], exec
	v_cmp_eq_u16_e64 s[18:19], v22, v23
	s_or_b64 s[16:17], s[46:47], s[12:13]
	s_and_saveexec_b64 s[46:47], s[18:19]
	s_cbranch_execz .LBB1370_1019
; %bb.1021:                             ;   in Loop: Header=BB1370_1020 Depth=1
	v_lshl_add_u64 v[20:21], v[20:21], 0, -1
	v_cmp_eq_u64_e64 s[12:13], 0, v[20:21]
	s_andn2_b64 s[18:19], s[42:43], exec
	s_and_b64 s[42:43], s[48:49], exec
	s_or_b64 s[42:43], s[18:19], s[42:43]
	s_andn2_b64 s[18:19], s[36:37], exec
	s_and_b64 s[12:13], s[12:13], exec
	v_lshl_add_u64 v[16:17], v[16:17], 0, 2
	v_lshl_add_u64 v[18:19], v[18:19], 0, 2
	s_andn2_b64 s[16:17], s[16:17], exec
	s_or_b64 s[36:37], s[18:19], s[12:13]
                                        ; implicit-def: $sgpr44_sgpr45
	s_branch .LBB1370_1019
.LBB1370_1022:
	s_or_b64 exec, exec, s[28:29]
	s_and_b64 s[12:13], s[34:35], exec
.LBB1370_1023:
	s_or_b64 exec, exec, s[26:27]
	s_xor_b64 s[12:13], s[12:13], -1
	s_andn2_b64 s[16:17], s[22:23], exec
	s_and_b64 s[12:13], s[12:13], exec
	s_or_b64 s[22:23], s[16:17], s[12:13]
.LBB1370_1024:
	s_or_b64 exec, exec, s[24:25]
	v_cndmask_b32_e64 v16, v80, v70, s[22:23]
	v_cndmask_b32_e64 v17, v101, v100, s[22:23]
	v_add_u32_e32 v20, 1, v16
	v_add_u32_e32 v16, -1, v17
	v_min_u32_e32 v16, v20, v16
	v_mov_b32_e32 v17, 0
	v_lshl_add_u64 v[18:19], v[16:17], 3, v[66:67]
	flat_load_dwordx2 v[18:19], v[18:19]
	v_cndmask_b32_e64 v27, v20, v80, s[22:23]
	s_mov_b64 s[24:25], -1
	v_cndmask_b32_e64 v70, v70, v20, s[22:23]
	v_cmp_lt_u32_e64 s[12:13], v27, v101
	s_mov_b64 s[26:27], -1
	s_waitcnt vmcnt(0) lgkmcnt(0)
	v_cndmask_b32_e64 v24, v19, v15, s[22:23]
	v_cndmask_b32_e64 v25, v18, v14, s[22:23]
	;; [unrolled: 1-line block ×4, first 2 shown]
	s_and_saveexec_b64 s[28:29], s[12:13]
	s_cbranch_execz .LBB1370_1034
; %bb.1025:
	v_cmp_lt_u32_e64 s[12:13], v70, v100
	s_mov_b64 s[16:17], 0
	s_and_saveexec_b64 s[26:27], s[12:13]
	s_cbranch_execz .LBB1370_1033
; %bb.1026:
	s_mov_b64 s[12:13], 0
	s_and_saveexec_b64 s[34:35], s[8:9]
	s_cbranch_execz .LBB1370_1032
; %bb.1027:
	v_mul_lo_u32 v16, v26, v6
	v_mul_lo_u32 v20, v80, v7
	v_mad_u64_u32 v[18:19], s[12:13], v80, v6, 0
	v_add3_u32 v19, v19, v20, v16
	v_mul_lo_u32 v16, v24, v6
	v_mul_lo_u32 v22, v25, v7
	v_mad_u64_u32 v[20:21], s[12:13], v25, v6, 0
	v_add3_u32 v21, v21, v22, v16
	v_lshl_add_u64 v[18:19], v[18:19], 1, v[8:9]
	v_lshl_add_u64 v[20:21], v[20:21], 1, v[8:9]
	s_mov_b64 s[36:37], 0
	v_mov_b64_e32 v[22:23], v[6:7]
                                        ; implicit-def: $sgpr42_sgpr43
                                        ; implicit-def: $sgpr44_sgpr45
                                        ; implicit-def: $sgpr46_sgpr47
                                        ; implicit-def: $sgpr16_sgpr17
                                        ; implicit-def: $sgpr48_sgpr49
	s_branch .LBB1370_1029
.LBB1370_1028:                          ;   in Loop: Header=BB1370_1029 Depth=1
	s_or_b64 exec, exec, s[50:51]
	s_and_b64 s[12:13], exec, s[44:45]
	s_or_b64 s[36:37], s[12:13], s[36:37]
	s_andn2_b64 s[12:13], s[48:49], exec
	s_and_b64 s[18:19], s[46:47], exec
	s_or_b64 s[48:49], s[12:13], s[18:19]
	s_andn2_b64 s[12:13], s[42:43], exec
	s_and_b64 s[18:19], s[16:17], exec
	s_or_b64 s[42:43], s[12:13], s[18:19]
	s_andn2_b64 exec, exec, s[36:37]
	s_cbranch_execz .LBB1370_1031
.LBB1370_1029:                          ; =>This Inner Loop Header: Depth=1
	flat_load_ushort v16, v[20:21]
	flat_load_ushort v71, v[18:19]
	s_andn2_b64 s[50:51], s[16:17], exec
	s_andn2_b64 s[46:47], s[46:47], exec
	s_or_b64 s[44:45], s[44:45], exec
	s_waitcnt vmcnt(0) lgkmcnt(0)
	v_cmp_le_u16_e64 s[16:17], v16, v71
	v_cmp_lt_u16_e64 s[12:13], v16, v71
	s_and_b64 s[16:17], s[16:17], s[48:49]
	s_or_b64 s[52:53], s[12:13], s[16:17]
	s_and_b64 s[12:13], s[52:53], exec
	v_cmp_eq_u16_e64 s[18:19], v16, v71
	s_or_b64 s[16:17], s[50:51], s[12:13]
	s_and_saveexec_b64 s[50:51], s[18:19]
	s_cbranch_execz .LBB1370_1028
; %bb.1030:                             ;   in Loop: Header=BB1370_1029 Depth=1
	v_lshl_add_u64 v[22:23], v[22:23], 0, -1
	v_cmp_eq_u64_e64 s[12:13], 0, v[22:23]
	s_andn2_b64 s[18:19], s[46:47], exec
	s_and_b64 s[46:47], s[52:53], exec
	s_or_b64 s[46:47], s[18:19], s[46:47]
	s_andn2_b64 s[18:19], s[44:45], exec
	s_and_b64 s[12:13], s[12:13], exec
	v_lshl_add_u64 v[18:19], v[18:19], 0, 2
	v_lshl_add_u64 v[20:21], v[20:21], 0, 2
	s_andn2_b64 s[16:17], s[16:17], exec
	s_or_b64 s[44:45], s[18:19], s[12:13]
                                        ; implicit-def: $sgpr48_sgpr49
	s_branch .LBB1370_1028
.LBB1370_1031:
	s_or_b64 exec, exec, s[36:37]
	s_and_b64 s[12:13], s[42:43], exec
.LBB1370_1032:
	s_or_b64 exec, exec, s[34:35]
	s_xor_b64 s[12:13], s[12:13], -1
	s_and_b64 s[16:17], s[12:13], exec
.LBB1370_1033:
	s_or_b64 exec, exec, s[26:27]
	s_orn2_b64 s[26:27], s[16:17], exec
.LBB1370_1034:
	s_or_b64 exec, exec, s[28:29]
	v_cndmask_b32_e64 v16, v27, v70, s[26:27]
	v_cndmask_b32_e64 v18, v101, v100, s[26:27]
	v_add_u32_e32 v19, 1, v16
	v_add_u32_e32 v16, -1, v18
	v_min_u32_e32 v16, v19, v16
	v_lshl_add_u64 v[16:17], v[16:17], 3, v[66:67]
	flat_load_dwordx2 v[16:17], v[16:17]
	v_cndmask_b32_e64 v22, v19, v27, s[26:27]
	v_cndmask_b32_e64 v23, v70, v19, s[26:27]
	v_cmp_lt_u32_e64 s[12:13], v22, v101
	s_waitcnt vmcnt(0) lgkmcnt(0)
	v_cndmask_b32_e64 v27, v17, v24, s[26:27]
	v_cndmask_b32_e64 v81, v16, v25, s[26:27]
	v_cndmask_b32_e64 v82, v26, v17, s[26:27]
	v_cndmask_b32_e64 v83, v80, v16, s[26:27]
	s_and_saveexec_b64 s[28:29], s[12:13]
	s_cbranch_execz .LBB1370_1044
; %bb.1035:
	v_cmp_lt_u32_e64 s[12:13], v23, v100
	s_mov_b64 s[16:17], 0
	s_and_saveexec_b64 s[24:25], s[12:13]
	s_cbranch_execz .LBB1370_1043
; %bb.1036:
	s_mov_b64 s[12:13], 0
	s_and_saveexec_b64 s[34:35], s[8:9]
	s_cbranch_execz .LBB1370_1042
; %bb.1037:
	v_mul_lo_u32 v18, v82, v6
	v_mul_lo_u32 v19, v83, v7
	v_mad_u64_u32 v[16:17], s[12:13], v83, v6, 0
	v_add3_u32 v17, v17, v19, v18
	v_mul_lo_u32 v20, v27, v6
	v_mul_lo_u32 v21, v81, v7
	v_mad_u64_u32 v[18:19], s[12:13], v81, v6, 0
	v_add3_u32 v19, v19, v21, v20
	v_lshl_add_u64 v[16:17], v[16:17], 1, v[8:9]
	v_lshl_add_u64 v[18:19], v[18:19], 1, v[8:9]
	s_mov_b64 s[36:37], 0
	v_mov_b64_e32 v[20:21], v[6:7]
                                        ; implicit-def: $sgpr42_sgpr43
                                        ; implicit-def: $sgpr44_sgpr45
                                        ; implicit-def: $sgpr46_sgpr47
                                        ; implicit-def: $sgpr16_sgpr17
                                        ; implicit-def: $sgpr48_sgpr49
	s_branch .LBB1370_1039
.LBB1370_1038:                          ;   in Loop: Header=BB1370_1039 Depth=1
	s_or_b64 exec, exec, s[50:51]
	s_and_b64 s[12:13], exec, s[44:45]
	s_or_b64 s[36:37], s[12:13], s[36:37]
	s_andn2_b64 s[12:13], s[48:49], exec
	s_and_b64 s[18:19], s[46:47], exec
	s_or_b64 s[48:49], s[12:13], s[18:19]
	s_andn2_b64 s[12:13], s[42:43], exec
	s_and_b64 s[18:19], s[16:17], exec
	s_or_b64 s[42:43], s[12:13], s[18:19]
	s_andn2_b64 exec, exec, s[36:37]
	s_cbranch_execz .LBB1370_1041
.LBB1370_1039:                          ; =>This Inner Loop Header: Depth=1
	flat_load_ushort v70, v[18:19]
	flat_load_ushort v71, v[16:17]
	s_andn2_b64 s[50:51], s[16:17], exec
	s_andn2_b64 s[46:47], s[46:47], exec
	s_or_b64 s[44:45], s[44:45], exec
	s_waitcnt vmcnt(0) lgkmcnt(0)
	v_cmp_le_u16_e64 s[16:17], v70, v71
	v_cmp_lt_u16_e64 s[12:13], v70, v71
	s_and_b64 s[16:17], s[16:17], s[48:49]
	s_or_b64 s[52:53], s[12:13], s[16:17]
	s_and_b64 s[12:13], s[52:53], exec
	v_cmp_eq_u16_e64 s[18:19], v70, v71
	s_or_b64 s[16:17], s[50:51], s[12:13]
	s_and_saveexec_b64 s[50:51], s[18:19]
	s_cbranch_execz .LBB1370_1038
; %bb.1040:                             ;   in Loop: Header=BB1370_1039 Depth=1
	v_lshl_add_u64 v[20:21], v[20:21], 0, -1
	v_cmp_eq_u64_e64 s[12:13], 0, v[20:21]
	s_andn2_b64 s[18:19], s[46:47], exec
	s_and_b64 s[46:47], s[52:53], exec
	s_or_b64 s[46:47], s[18:19], s[46:47]
	s_andn2_b64 s[18:19], s[44:45], exec
	s_and_b64 s[12:13], s[12:13], exec
	v_lshl_add_u64 v[16:17], v[16:17], 0, 2
	v_lshl_add_u64 v[18:19], v[18:19], 0, 2
	s_andn2_b64 s[16:17], s[16:17], exec
	s_or_b64 s[44:45], s[18:19], s[12:13]
                                        ; implicit-def: $sgpr48_sgpr49
	s_branch .LBB1370_1038
.LBB1370_1041:
	s_or_b64 exec, exec, s[36:37]
	s_and_b64 s[12:13], s[42:43], exec
.LBB1370_1042:
	s_or_b64 exec, exec, s[34:35]
	s_xor_b64 s[12:13], s[12:13], -1
	s_and_b64 s[16:17], s[12:13], exec
.LBB1370_1043:
	s_or_b64 exec, exec, s[24:25]
	s_orn2_b64 s[24:25], s[16:17], exec
.LBB1370_1044:
	s_or_b64 exec, exec, s[28:29]
	v_cndmask_b32_e64 v16, v22, v23, s[24:25]
	v_cndmask_b32_e64 v17, v101, v100, s[24:25]
	v_add_u32_e32 v20, 1, v16
	v_add_u32_e32 v16, -1, v17
	v_min_u32_e32 v16, v20, v16
	v_mov_b32_e32 v17, 0
	v_lshl_add_u64 v[18:19], v[16:17], 3, v[66:67]
	flat_load_dwordx2 v[18:19], v[18:19]
	v_cndmask_b32_e64 v70, v20, v22, s[24:25]
	s_mov_b64 s[28:29], -1
	v_cndmask_b32_e64 v71, v23, v20, s[24:25]
	v_cmp_lt_u32_e64 s[12:13], v70, v101
	s_mov_b64 s[34:35], -1
	s_waitcnt vmcnt(0) lgkmcnt(0)
	v_cndmask_b32_e64 v84, v19, v27, s[24:25]
	v_cndmask_b32_e64 v85, v18, v81, s[24:25]
	;; [unrolled: 1-line block ×4, first 2 shown]
	s_and_saveexec_b64 s[36:37], s[12:13]
	s_cbranch_execz .LBB1370_1054
; %bb.1045:
	v_cmp_lt_u32_e64 s[12:13], v71, v100
	s_mov_b64 s[16:17], 0
	s_and_saveexec_b64 s[34:35], s[12:13]
	s_cbranch_execz .LBB1370_1053
; %bb.1046:
	s_mov_b64 s[12:13], -1
	s_and_saveexec_b64 s[42:43], s[8:9]
	s_cbranch_execz .LBB1370_1052
; %bb.1047:
	v_mul_lo_u32 v16, v86, v6
	v_mul_lo_u32 v20, v87, v7
	v_mad_u64_u32 v[18:19], s[12:13], v87, v6, 0
	v_add3_u32 v19, v19, v20, v16
	v_mul_lo_u32 v16, v84, v6
	v_mul_lo_u32 v22, v85, v7
	v_mad_u64_u32 v[20:21], s[12:13], v85, v6, 0
	v_add3_u32 v21, v21, v22, v16
	v_lshl_add_u64 v[18:19], v[18:19], 1, v[8:9]
	v_lshl_add_u64 v[20:21], v[20:21], 1, v[8:9]
	s_mov_b64 s[44:45], 0
	v_mov_b64_e32 v[22:23], v[6:7]
                                        ; implicit-def: $sgpr46_sgpr47
                                        ; implicit-def: $sgpr48_sgpr49
                                        ; implicit-def: $sgpr16_sgpr17
                                        ; implicit-def: $sgpr50_sgpr51
                                        ; implicit-def: $sgpr52_sgpr53
	s_branch .LBB1370_1049
.LBB1370_1048:                          ;   in Loop: Header=BB1370_1049 Depth=1
	s_or_b64 exec, exec, s[54:55]
	s_and_b64 s[12:13], exec, s[48:49]
	s_or_b64 s[44:45], s[12:13], s[44:45]
	s_andn2_b64 s[12:13], s[52:53], exec
	s_and_b64 s[18:19], s[50:51], exec
	s_or_b64 s[52:53], s[12:13], s[18:19]
	s_andn2_b64 s[12:13], s[46:47], exec
	s_and_b64 s[18:19], s[16:17], exec
	s_or_b64 s[46:47], s[12:13], s[18:19]
	s_andn2_b64 exec, exec, s[44:45]
	s_cbranch_execz .LBB1370_1051
.LBB1370_1049:                          ; =>This Inner Loop Header: Depth=1
	flat_load_ushort v16, v[20:21]
	flat_load_ushort v96, v[18:19]
	s_andn2_b64 s[54:55], s[16:17], exec
	s_andn2_b64 s[50:51], s[50:51], exec
	s_or_b64 s[48:49], s[48:49], exec
	s_waitcnt vmcnt(0) lgkmcnt(0)
	v_cmp_le_u16_e64 s[16:17], v16, v96
	v_cmp_lt_u16_e64 s[12:13], v16, v96
	s_and_b64 s[16:17], s[16:17], s[52:53]
	s_or_b64 s[56:57], s[12:13], s[16:17]
	s_and_b64 s[12:13], s[56:57], exec
	v_cmp_eq_u16_e64 s[18:19], v16, v96
	s_or_b64 s[16:17], s[54:55], s[12:13]
	s_and_saveexec_b64 s[54:55], s[18:19]
	s_cbranch_execz .LBB1370_1048
; %bb.1050:                             ;   in Loop: Header=BB1370_1049 Depth=1
	v_lshl_add_u64 v[22:23], v[22:23], 0, -1
	v_cmp_eq_u64_e64 s[12:13], 0, v[22:23]
	s_andn2_b64 s[18:19], s[50:51], exec
	s_and_b64 s[50:51], s[56:57], exec
	s_or_b64 s[50:51], s[18:19], s[50:51]
	s_andn2_b64 s[18:19], s[48:49], exec
	s_and_b64 s[12:13], s[12:13], exec
	v_lshl_add_u64 v[18:19], v[18:19], 0, 2
	v_lshl_add_u64 v[20:21], v[20:21], 0, 2
	s_andn2_b64 s[16:17], s[16:17], exec
	s_or_b64 s[48:49], s[18:19], s[12:13]
                                        ; implicit-def: $sgpr52_sgpr53
	s_branch .LBB1370_1048
.LBB1370_1051:
	s_or_b64 exec, exec, s[44:45]
	s_xor_b64 s[12:13], s[46:47], -1
	s_orn2_b64 s[12:13], s[12:13], exec
.LBB1370_1052:
	s_or_b64 exec, exec, s[42:43]
	s_and_b64 s[16:17], s[12:13], exec
.LBB1370_1053:
	s_or_b64 exec, exec, s[34:35]
	s_orn2_b64 s[34:35], s[16:17], exec
.LBB1370_1054:
	s_or_b64 exec, exec, s[36:37]
	v_cndmask_b32_e64 v16, v70, v71, s[34:35]
	v_cndmask_b32_e64 v18, v101, v100, s[34:35]
	v_add_u32_e32 v19, 1, v16
	v_add_u32_e32 v16, -1, v18
	v_min_u32_e32 v16, v19, v16
	v_lshl_add_u64 v[16:17], v[16:17], 3, v[66:67]
	flat_load_dwordx2 v[16:17], v[16:17]
	v_cndmask_b32_e64 v22, v19, v70, s[34:35]
	v_cndmask_b32_e64 v23, v71, v19, s[34:35]
	v_cmp_lt_u32_e64 s[12:13], v22, v101
	s_waitcnt vmcnt(0) lgkmcnt(0)
	v_cndmask_b32_e64 v96, v17, v84, s[34:35]
	v_cndmask_b32_e64 v97, v16, v85, s[34:35]
	;; [unrolled: 1-line block ×4, first 2 shown]
	s_and_saveexec_b64 s[36:37], s[12:13]
	s_cbranch_execz .LBB1370_1064
; %bb.1055:
	v_cmp_lt_u32_e64 s[12:13], v23, v100
	s_mov_b64 s[16:17], 0
	s_and_saveexec_b64 s[28:29], s[12:13]
	s_cbranch_execz .LBB1370_1063
; %bb.1056:
	s_mov_b64 s[12:13], -1
	s_and_saveexec_b64 s[42:43], s[8:9]
	s_cbranch_execz .LBB1370_1062
; %bb.1057:
	v_mul_lo_u32 v18, v98, v6
	v_mul_lo_u32 v19, v99, v7
	v_mad_u64_u32 v[16:17], s[12:13], v99, v6, 0
	v_add3_u32 v17, v17, v19, v18
	v_mul_lo_u32 v20, v96, v6
	v_mul_lo_u32 v21, v97, v7
	v_mad_u64_u32 v[18:19], s[12:13], v97, v6, 0
	v_add3_u32 v19, v19, v21, v20
	v_lshl_add_u64 v[16:17], v[16:17], 1, v[8:9]
	v_lshl_add_u64 v[18:19], v[18:19], 1, v[8:9]
	s_mov_b64 s[44:45], 0
	v_mov_b64_e32 v[20:21], v[6:7]
                                        ; implicit-def: $sgpr46_sgpr47
                                        ; implicit-def: $sgpr48_sgpr49
                                        ; implicit-def: $sgpr16_sgpr17
                                        ; implicit-def: $sgpr50_sgpr51
                                        ; implicit-def: $sgpr52_sgpr53
	s_branch .LBB1370_1059
.LBB1370_1058:                          ;   in Loop: Header=BB1370_1059 Depth=1
	s_or_b64 exec, exec, s[54:55]
	s_and_b64 s[12:13], exec, s[48:49]
	s_or_b64 s[44:45], s[12:13], s[44:45]
	s_andn2_b64 s[12:13], s[52:53], exec
	s_and_b64 s[18:19], s[50:51], exec
	s_or_b64 s[52:53], s[12:13], s[18:19]
	s_andn2_b64 s[12:13], s[46:47], exec
	s_and_b64 s[18:19], s[16:17], exec
	s_or_b64 s[46:47], s[12:13], s[18:19]
	s_andn2_b64 exec, exec, s[44:45]
	s_cbranch_execz .LBB1370_1061
.LBB1370_1059:                          ; =>This Inner Loop Header: Depth=1
	flat_load_ushort v70, v[18:19]
	flat_load_ushort v71, v[16:17]
	s_andn2_b64 s[54:55], s[16:17], exec
	s_andn2_b64 s[50:51], s[50:51], exec
	s_or_b64 s[48:49], s[48:49], exec
	s_waitcnt vmcnt(0) lgkmcnt(0)
	v_cmp_le_u16_e64 s[16:17], v70, v71
	v_cmp_lt_u16_e64 s[12:13], v70, v71
	s_and_b64 s[16:17], s[16:17], s[52:53]
	s_or_b64 s[56:57], s[12:13], s[16:17]
	s_and_b64 s[12:13], s[56:57], exec
	v_cmp_eq_u16_e64 s[18:19], v70, v71
	s_or_b64 s[16:17], s[54:55], s[12:13]
	s_and_saveexec_b64 s[54:55], s[18:19]
	s_cbranch_execz .LBB1370_1058
; %bb.1060:                             ;   in Loop: Header=BB1370_1059 Depth=1
	v_lshl_add_u64 v[20:21], v[20:21], 0, -1
	v_cmp_eq_u64_e64 s[12:13], 0, v[20:21]
	s_andn2_b64 s[18:19], s[50:51], exec
	s_and_b64 s[50:51], s[56:57], exec
	s_or_b64 s[50:51], s[18:19], s[50:51]
	s_andn2_b64 s[18:19], s[48:49], exec
	s_and_b64 s[12:13], s[12:13], exec
	v_lshl_add_u64 v[16:17], v[16:17], 0, 2
	v_lshl_add_u64 v[18:19], v[18:19], 0, 2
	s_andn2_b64 s[16:17], s[16:17], exec
	s_or_b64 s[48:49], s[18:19], s[12:13]
                                        ; implicit-def: $sgpr52_sgpr53
	s_branch .LBB1370_1058
.LBB1370_1061:
	s_or_b64 exec, exec, s[44:45]
	s_xor_b64 s[12:13], s[46:47], -1
	s_orn2_b64 s[12:13], s[12:13], exec
.LBB1370_1062:
	s_or_b64 exec, exec, s[42:43]
	s_and_b64 s[16:17], s[12:13], exec
.LBB1370_1063:
	s_or_b64 exec, exec, s[28:29]
	s_orn2_b64 s[28:29], s[16:17], exec
.LBB1370_1064:
	s_or_b64 exec, exec, s[36:37]
	v_cndmask_b32_e64 v16, v22, v23, s[28:29]
	v_cndmask_b32_e64 v17, v101, v100, s[28:29]
	v_add_u32_e32 v20, 1, v16
	v_add_u32_e32 v16, -1, v17
	v_min_u32_e32 v16, v20, v16
	v_mov_b32_e32 v17, 0
	v_lshl_add_u64 v[18:19], v[16:17], 3, v[66:67]
	flat_load_dwordx2 v[18:19], v[18:19]
	v_cndmask_b32_e64 v70, v20, v22, s[28:29]
	s_mov_b64 s[36:37], -1
	v_cndmask_b32_e64 v71, v23, v20, s[28:29]
	v_cmp_lt_u32_e64 s[12:13], v70, v101
	s_mov_b64 s[42:43], -1
	s_waitcnt vmcnt(0) lgkmcnt(0)
	v_cndmask_b32_e64 v102, v19, v96, s[28:29]
	v_cndmask_b32_e64 v103, v18, v97, s[28:29]
	;; [unrolled: 1-line block ×4, first 2 shown]
	s_and_saveexec_b64 s[44:45], s[12:13]
	s_cbranch_execz .LBB1370_1074
; %bb.1065:
	v_cmp_lt_u32_e64 s[12:13], v71, v100
	s_mov_b64 s[16:17], 0
	s_and_saveexec_b64 s[42:43], s[12:13]
	s_cbranch_execz .LBB1370_1073
; %bb.1066:
	s_mov_b64 s[12:13], -1
	s_and_saveexec_b64 s[46:47], s[8:9]
	s_cbranch_execz .LBB1370_1072
; %bb.1067:
	v_mul_lo_u32 v16, v112, v6
	v_mul_lo_u32 v20, v113, v7
	v_mad_u64_u32 v[18:19], s[12:13], v113, v6, 0
	v_add3_u32 v19, v19, v20, v16
	v_mul_lo_u32 v16, v102, v6
	v_mul_lo_u32 v22, v103, v7
	v_mad_u64_u32 v[20:21], s[12:13], v103, v6, 0
	v_add3_u32 v21, v21, v22, v16
	v_lshl_add_u64 v[18:19], v[18:19], 1, v[8:9]
	v_lshl_add_u64 v[20:21], v[20:21], 1, v[8:9]
	s_mov_b64 s[48:49], 0
	v_mov_b64_e32 v[22:23], v[6:7]
                                        ; implicit-def: $sgpr50_sgpr51
                                        ; implicit-def: $sgpr52_sgpr53
                                        ; implicit-def: $sgpr16_sgpr17
                                        ; implicit-def: $sgpr54_sgpr55
                                        ; implicit-def: $sgpr56_sgpr57
	s_branch .LBB1370_1069
.LBB1370_1068:                          ;   in Loop: Header=BB1370_1069 Depth=1
	s_or_b64 exec, exec, s[58:59]
	s_and_b64 s[12:13], exec, s[52:53]
	s_or_b64 s[48:49], s[12:13], s[48:49]
	s_andn2_b64 s[12:13], s[56:57], exec
	s_and_b64 s[18:19], s[54:55], exec
	s_or_b64 s[56:57], s[12:13], s[18:19]
	s_andn2_b64 s[12:13], s[50:51], exec
	s_and_b64 s[18:19], s[16:17], exec
	s_or_b64 s[50:51], s[12:13], s[18:19]
	s_andn2_b64 exec, exec, s[48:49]
	s_cbranch_execz .LBB1370_1071
.LBB1370_1069:                          ; =>This Inner Loop Header: Depth=1
	flat_load_ushort v16, v[20:21]
	flat_load_ushort v114, v[18:19]
	s_andn2_b64 s[58:59], s[16:17], exec
	s_andn2_b64 s[54:55], s[54:55], exec
	s_or_b64 s[52:53], s[52:53], exec
	s_waitcnt vmcnt(0) lgkmcnt(0)
	v_cmp_le_u16_e64 s[16:17], v16, v114
	v_cmp_lt_u16_e64 s[12:13], v16, v114
	s_and_b64 s[16:17], s[16:17], s[56:57]
	s_or_b64 s[60:61], s[12:13], s[16:17]
	s_and_b64 s[12:13], s[60:61], exec
	v_cmp_eq_u16_e64 s[18:19], v16, v114
	s_or_b64 s[16:17], s[58:59], s[12:13]
	s_and_saveexec_b64 s[58:59], s[18:19]
	s_cbranch_execz .LBB1370_1068
; %bb.1070:                             ;   in Loop: Header=BB1370_1069 Depth=1
	v_lshl_add_u64 v[22:23], v[22:23], 0, -1
	v_cmp_eq_u64_e64 s[12:13], 0, v[22:23]
	s_andn2_b64 s[18:19], s[54:55], exec
	s_and_b64 s[54:55], s[60:61], exec
	s_or_b64 s[54:55], s[18:19], s[54:55]
	s_andn2_b64 s[18:19], s[52:53], exec
	s_and_b64 s[12:13], s[12:13], exec
	v_lshl_add_u64 v[18:19], v[18:19], 0, 2
	v_lshl_add_u64 v[20:21], v[20:21], 0, 2
	s_andn2_b64 s[16:17], s[16:17], exec
	s_or_b64 s[52:53], s[18:19], s[12:13]
                                        ; implicit-def: $sgpr56_sgpr57
	s_branch .LBB1370_1068
.LBB1370_1071:
	s_or_b64 exec, exec, s[48:49]
	s_xor_b64 s[12:13], s[50:51], -1
	s_orn2_b64 s[12:13], s[12:13], exec
.LBB1370_1072:
	s_or_b64 exec, exec, s[46:47]
	s_and_b64 s[16:17], s[12:13], exec
.LBB1370_1073:
	s_or_b64 exec, exec, s[42:43]
	s_orn2_b64 s[42:43], s[16:17], exec
.LBB1370_1074:
	s_or_b64 exec, exec, s[44:45]
	v_cndmask_b32_e64 v16, v70, v71, s[42:43]
	v_cndmask_b32_e64 v18, v101, v100, s[42:43]
	v_add_u32_e32 v19, 1, v16
	v_add_u32_e32 v16, -1, v18
	v_min_u32_e32 v16, v19, v16
	v_lshl_add_u64 v[16:17], v[16:17], 3, v[66:67]
	flat_load_dwordx2 v[16:17], v[16:17]
	v_cndmask_b32_e64 v117, v19, v70, s[42:43]
	v_cndmask_b32_e64 v114, v71, v19, s[42:43]
	v_cmp_lt_u32_e64 s[12:13], v117, v101
	s_waitcnt vmcnt(0) lgkmcnt(0)
	v_cndmask_b32_e64 v115, v17, v102, s[42:43]
	v_cndmask_b32_e64 v116, v16, v103, s[42:43]
	;; [unrolled: 1-line block ×4, first 2 shown]
	s_and_saveexec_b64 s[44:45], s[12:13]
	s_cbranch_execz .LBB1370_1084
; %bb.1075:
	v_cmp_lt_u32_e64 s[12:13], v114, v100
	s_mov_b64 s[16:17], 0
	s_and_saveexec_b64 s[36:37], s[12:13]
	s_cbranch_execz .LBB1370_1083
; %bb.1076:
	s_mov_b64 s[12:13], -1
	s_and_saveexec_b64 s[46:47], s[8:9]
	s_cbranch_execz .LBB1370_1082
; %bb.1077:
	v_mul_lo_u32 v18, v118, v6
	v_mul_lo_u32 v19, v119, v7
	v_mad_u64_u32 v[16:17], s[12:13], v119, v6, 0
	v_add3_u32 v17, v17, v19, v18
	v_mul_lo_u32 v20, v115, v6
	v_mul_lo_u32 v21, v116, v7
	v_mad_u64_u32 v[18:19], s[12:13], v116, v6, 0
	v_add3_u32 v19, v19, v21, v20
	v_lshl_add_u64 v[16:17], v[16:17], 1, v[8:9]
	v_lshl_add_u64 v[18:19], v[18:19], 1, v[8:9]
	s_mov_b64 s[48:49], 0
	v_mov_b64_e32 v[20:21], v[6:7]
                                        ; implicit-def: $sgpr50_sgpr51
                                        ; implicit-def: $sgpr52_sgpr53
                                        ; implicit-def: $sgpr16_sgpr17
                                        ; implicit-def: $sgpr54_sgpr55
                                        ; implicit-def: $sgpr56_sgpr57
	s_branch .LBB1370_1079
.LBB1370_1078:                          ;   in Loop: Header=BB1370_1079 Depth=1
	s_or_b64 exec, exec, s[58:59]
	s_and_b64 s[12:13], exec, s[52:53]
	s_or_b64 s[48:49], s[12:13], s[48:49]
	s_andn2_b64 s[12:13], s[56:57], exec
	s_and_b64 s[18:19], s[54:55], exec
	s_or_b64 s[56:57], s[12:13], s[18:19]
	s_andn2_b64 s[12:13], s[50:51], exec
	s_and_b64 s[18:19], s[16:17], exec
	s_or_b64 s[50:51], s[12:13], s[18:19]
	s_andn2_b64 exec, exec, s[48:49]
	s_cbranch_execz .LBB1370_1081
.LBB1370_1079:                          ; =>This Inner Loop Header: Depth=1
	flat_load_ushort v22, v[18:19]
	flat_load_ushort v23, v[16:17]
	s_andn2_b64 s[58:59], s[16:17], exec
	s_andn2_b64 s[54:55], s[54:55], exec
	s_or_b64 s[52:53], s[52:53], exec
	s_waitcnt vmcnt(0) lgkmcnt(0)
	v_cmp_le_u16_e64 s[16:17], v22, v23
	v_cmp_lt_u16_e64 s[12:13], v22, v23
	s_and_b64 s[16:17], s[16:17], s[56:57]
	s_or_b64 s[60:61], s[12:13], s[16:17]
	s_and_b64 s[12:13], s[60:61], exec
	v_cmp_eq_u16_e64 s[18:19], v22, v23
	s_or_b64 s[16:17], s[58:59], s[12:13]
	s_and_saveexec_b64 s[58:59], s[18:19]
	s_cbranch_execz .LBB1370_1078
; %bb.1080:                             ;   in Loop: Header=BB1370_1079 Depth=1
	v_lshl_add_u64 v[20:21], v[20:21], 0, -1
	v_cmp_eq_u64_e64 s[12:13], 0, v[20:21]
	s_andn2_b64 s[18:19], s[54:55], exec
	s_and_b64 s[54:55], s[60:61], exec
	s_or_b64 s[54:55], s[18:19], s[54:55]
	s_andn2_b64 s[18:19], s[52:53], exec
	s_and_b64 s[12:13], s[12:13], exec
	v_lshl_add_u64 v[16:17], v[16:17], 0, 2
	v_lshl_add_u64 v[18:19], v[18:19], 0, 2
	s_andn2_b64 s[16:17], s[16:17], exec
	s_or_b64 s[52:53], s[18:19], s[12:13]
                                        ; implicit-def: $sgpr56_sgpr57
	s_branch .LBB1370_1078
.LBB1370_1081:
	s_or_b64 exec, exec, s[48:49]
	s_xor_b64 s[12:13], s[50:51], -1
	s_orn2_b64 s[12:13], s[12:13], exec
.LBB1370_1082:
	s_or_b64 exec, exec, s[46:47]
	s_and_b64 s[16:17], s[12:13], exec
.LBB1370_1083:
	s_or_b64 exec, exec, s[36:37]
	s_orn2_b64 s[36:37], s[16:17], exec
.LBB1370_1084:
	s_or_b64 exec, exec, s[44:45]
	v_cndmask_b32_e64 v16, v117, v114, s[36:37]
	v_cndmask_b32_e64 v17, v101, v100, s[36:37]
	v_add_u32_e32 v128, 1, v16
	v_add_u32_e32 v16, -1, v17
	v_min_u32_e32 v16, v128, v16
	v_mov_b32_e32 v17, 0
	v_lshl_add_u64 v[16:17], v[16:17], 3, v[66:67]
	flat_load_dwordx2 v[70:71], v[16:17]
	v_cndmask_b32_e64 v21, v27, v82, s[24:25]
	v_cndmask_b32_e64 v27, v24, v26, s[26:27]
	;; [unrolled: 1-line block ×15, first 2 shown]
	v_cmp_lt_u32_e64 s[12:13], v80, v101
	s_waitcnt vmcnt(0) lgkmcnt(0)
	v_cndmask_b32_e64 v15, v118, v71, s[36:37]
	v_cndmask_b32_e64 v14, v119, v70, s[36:37]
	s_and_saveexec_b64 s[22:23], s[12:13]
	s_cbranch_execz .LBB1370_1094
; %bb.1085:
	v_cndmask_b32_e64 v80, v114, v128, s[36:37]
	v_cndmask_b32_e64 v71, v71, v115, s[36:37]
	;; [unrolled: 1-line block ×3, first 2 shown]
	v_cmp_lt_u32_e64 s[12:13], v80, v100
	s_and_saveexec_b64 s[24:25], s[12:13]
	s_cbranch_execz .LBB1370_1093
; %bb.1086:
	s_and_saveexec_b64 s[26:27], s[8:9]
	s_cbranch_execz .LBB1370_1092
; %bb.1087:
	v_mul_lo_u32 v82, v15, v6
	v_mul_lo_u32 v83, v14, v7
	v_mad_u64_u32 v[80:81], s[12:13], v14, v6, 0
	v_add3_u32 v81, v81, v83, v82
	v_mul_lo_u32 v84, v71, v6
	v_mul_lo_u32 v85, v70, v7
	v_mad_u64_u32 v[82:83], s[12:13], v70, v6, 0
	v_add3_u32 v83, v83, v85, v84
	v_lshl_add_u64 v[80:81], v[80:81], 1, v[8:9]
	v_lshl_add_u64 v[82:83], v[82:83], 1, v[8:9]
	s_mov_b64 s[28:29], 0
	v_mov_b64_e32 v[84:85], v[6:7]
                                        ; implicit-def: $sgpr34_sgpr35
                                        ; implicit-def: $sgpr36_sgpr37
                                        ; implicit-def: $sgpr16_sgpr17
                                        ; implicit-def: $sgpr42_sgpr43
                                        ; implicit-def: $sgpr44_sgpr45
	s_branch .LBB1370_1089
.LBB1370_1088:                          ;   in Loop: Header=BB1370_1089 Depth=1
	s_or_b64 exec, exec, s[46:47]
	s_and_b64 s[12:13], exec, s[36:37]
	s_or_b64 s[28:29], s[12:13], s[28:29]
	s_andn2_b64 s[12:13], s[44:45], exec
	s_and_b64 s[18:19], s[42:43], exec
	s_or_b64 s[44:45], s[12:13], s[18:19]
	s_andn2_b64 s[12:13], s[34:35], exec
	s_and_b64 s[18:19], s[16:17], exec
	s_or_b64 s[34:35], s[12:13], s[18:19]
	s_andn2_b64 exec, exec, s[28:29]
	s_cbranch_execz .LBB1370_1091
.LBB1370_1089:                          ; =>This Inner Loop Header: Depth=1
	flat_load_ushort v86, v[82:83]
	flat_load_ushort v87, v[80:81]
	s_andn2_b64 s[46:47], s[16:17], exec
	s_andn2_b64 s[42:43], s[42:43], exec
	s_or_b64 s[36:37], s[36:37], exec
	s_waitcnt vmcnt(0) lgkmcnt(0)
	v_cmp_le_u16_e64 s[16:17], v86, v87
	v_cmp_lt_u16_e64 s[12:13], v86, v87
	s_and_b64 s[16:17], s[16:17], s[44:45]
	s_or_b64 s[48:49], s[12:13], s[16:17]
	s_and_b64 s[12:13], s[48:49], exec
	v_cmp_eq_u16_e64 s[18:19], v86, v87
	s_or_b64 s[16:17], s[46:47], s[12:13]
	s_and_saveexec_b64 s[46:47], s[18:19]
	s_cbranch_execz .LBB1370_1088
; %bb.1090:                             ;   in Loop: Header=BB1370_1089 Depth=1
	v_lshl_add_u64 v[84:85], v[84:85], 0, -1
	v_cmp_eq_u64_e64 s[12:13], 0, v[84:85]
	s_andn2_b64 s[18:19], s[42:43], exec
	s_and_b64 s[42:43], s[48:49], exec
	s_or_b64 s[42:43], s[18:19], s[42:43]
	s_andn2_b64 s[18:19], s[36:37], exec
	s_and_b64 s[12:13], s[12:13], exec
	v_lshl_add_u64 v[80:81], v[80:81], 0, 2
	v_lshl_add_u64 v[82:83], v[82:83], 0, 2
	s_andn2_b64 s[16:17], s[16:17], exec
	s_or_b64 s[36:37], s[18:19], s[12:13]
                                        ; implicit-def: $sgpr44_sgpr45
	s_branch .LBB1370_1088
.LBB1370_1091:
	s_or_b64 exec, exec, s[28:29]
	v_cndmask_b32_e64 v15, v15, v71, s[34:35]
	v_cndmask_b32_e64 v14, v14, v70, s[34:35]
.LBB1370_1092:
	s_or_b64 exec, exec, s[26:27]
	v_mov_b64_e32 v[70:71], v[14:15]
.LBB1370_1093:
	s_or_b64 exec, exec, s[24:25]
	v_mov_b64_e32 v[14:15], v[70:71]
.LBB1370_1094:
	s_or_b64 exec, exec, s[22:23]
.LBB1370_1095:
	s_or_b64 exec, exec, s[20:21]
	v_and_b32_e32 v102, 0x3e0, v31
	v_or_b32_e32 v70, 16, v102
	v_min_u32_e32 v100, v1, v70
	v_add_u32_e32 v70, 16, v100
	v_min_u32_e32 v101, v1, v70
	v_and_b32_e32 v70, 24, v31
	v_min_u32_e32 v103, v1, v70
	v_sub_u32_e32 v70, v100, v102
	v_sub_u32_e32 v71, v101, v100
	v_sub_u32_e64 v112, v103, v71 clamp
	v_min_u32_e32 v113, v103, v70
	v_cmp_lt_u32_e64 s[12:13], v112, v113
	; wave barrier
	flat_store_dwordx4 v[68:69], v[24:27]
	flat_store_dwordx4 v[68:69], v[20:23] offset:16
	flat_store_dwordx4 v[68:69], v[16:19] offset:32
	;; [unrolled: 1-line block ×3, first 2 shown]
	; wave barrier
	s_and_saveexec_b64 s[20:21], s[12:13]
	s_cbranch_execz .LBB1370_1105
; %bb.1096:
	v_lshlrev_b32_e32 v70, 3, v102
	v_mov_b32_e32 v71, 0
	v_lshl_add_u64 v[80:81], v[66:67], 0, v[70:71]
	v_lshlrev_b32_e32 v70, 3, v100
	v_lshl_add_u64 v[82:83], v[66:67], 0, v[70:71]
	s_mov_b64 s[22:23], 0
	s_branch .LBB1370_1099
.LBB1370_1097:                          ;   in Loop: Header=BB1370_1099 Depth=1
	s_or_b64 exec, exec, s[26:27]
	s_and_b64 s[12:13], s[28:29], exec
.LBB1370_1098:                          ;   in Loop: Header=BB1370_1099 Depth=1
	s_or_b64 exec, exec, s[24:25]
	v_add_u32_e32 v70, 1, v84
	v_cndmask_b32_e64 v113, v113, v84, s[12:13]
	v_cndmask_b32_e64 v112, v70, v112, s[12:13]
	v_cmp_ge_u32_e64 s[12:13], v112, v113
	s_or_b64 s[22:23], s[12:13], s[22:23]
	s_andn2_b64 exec, exec, s[22:23]
	s_cbranch_execz .LBB1370_1104
.LBB1370_1099:                          ; =>This Loop Header: Depth=1
                                        ;     Child Loop BB1370_1102 Depth 2
	v_add_u32_e32 v70, v113, v112
	v_lshrrev_b32_e32 v84, 1, v70
	s_mov_b64 s[12:13], 0
	s_and_saveexec_b64 s[24:25], s[8:9]
	s_cbranch_execz .LBB1370_1098
; %bb.1100:                             ;   in Loop: Header=BB1370_1099 Depth=1
	v_mov_b32_e32 v85, v71
	v_xad_u32 v70, v84, -1, v103
	v_lshl_add_u64 v[86:87], v[84:85], 3, v[80:81]
	v_lshl_add_u64 v[96:97], v[70:71], 3, v[82:83]
	flat_load_dwordx2 v[86:87], v[86:87]
	s_mov_b64 s[26:27], 0
	flat_load_dwordx2 v[96:97], v[96:97]
                                        ; implicit-def: $sgpr28_sgpr29
                                        ; implicit-def: $sgpr34_sgpr35
                                        ; implicit-def: $sgpr36_sgpr37
                                        ; implicit-def: $sgpr16_sgpr17
                                        ; implicit-def: $sgpr42_sgpr43
	s_waitcnt vmcnt(0) lgkmcnt(0)
	v_mul_lo_u32 v70, v64, v87
	v_mul_lo_u32 v85, v65, v86
	v_mad_u64_u32 v[86:87], s[12:13], v64, v86, v[8:9]
	v_mul_lo_u32 v98, v64, v97
	v_mul_lo_u32 v99, v65, v96
	v_mad_u64_u32 v[96:97], s[12:13], v64, v96, v[8:9]
	v_add3_u32 v87, v85, v87, v70
	v_add3_u32 v97, v99, v97, v98
	v_mov_b64_e32 v[98:99], v[6:7]
	s_branch .LBB1370_1102
.LBB1370_1101:                          ;   in Loop: Header=BB1370_1102 Depth=2
	s_or_b64 exec, exec, s[44:45]
	s_and_b64 s[12:13], exec, s[34:35]
	s_or_b64 s[26:27], s[12:13], s[26:27]
	s_andn2_b64 s[12:13], s[42:43], exec
	s_and_b64 s[18:19], s[36:37], exec
	s_or_b64 s[42:43], s[12:13], s[18:19]
	s_andn2_b64 s[12:13], s[28:29], exec
	s_and_b64 s[18:19], s[16:17], exec
	s_or_b64 s[28:29], s[12:13], s[18:19]
	s_andn2_b64 exec, exec, s[26:27]
	s_cbranch_execz .LBB1370_1097
.LBB1370_1102:                          ;   Parent Loop BB1370_1099 Depth=1
                                        ; =>  This Inner Loop Header: Depth=2
	flat_load_ushort v70, v[96:97]
	flat_load_ushort v85, v[86:87]
	s_andn2_b64 s[44:45], s[16:17], exec
	s_andn2_b64 s[36:37], s[36:37], exec
	s_or_b64 s[34:35], s[34:35], exec
	s_waitcnt vmcnt(0) lgkmcnt(0)
	v_cmp_le_u16_e64 s[16:17], v70, v85
	v_cmp_lt_u16_e64 s[12:13], v70, v85
	s_and_b64 s[16:17], s[16:17], s[42:43]
	s_or_b64 s[46:47], s[12:13], s[16:17]
	s_and_b64 s[12:13], s[46:47], exec
	v_cmp_eq_u16_e64 s[18:19], v70, v85
	s_or_b64 s[16:17], s[44:45], s[12:13]
	s_and_saveexec_b64 s[44:45], s[18:19]
	s_cbranch_execz .LBB1370_1101
; %bb.1103:                             ;   in Loop: Header=BB1370_1102 Depth=2
	v_lshl_add_u64 v[98:99], v[98:99], 0, -1
	v_cmp_eq_u64_e64 s[12:13], 0, v[98:99]
	s_andn2_b64 s[18:19], s[36:37], exec
	s_and_b64 s[36:37], s[46:47], exec
	s_or_b64 s[36:37], s[18:19], s[36:37]
	s_andn2_b64 s[18:19], s[34:35], exec
	s_and_b64 s[12:13], s[12:13], exec
	v_lshl_add_u64 v[86:87], v[86:87], 0, 2
	v_lshl_add_u64 v[96:97], v[96:97], 0, 2
	s_andn2_b64 s[16:17], s[16:17], exec
	s_or_b64 s[34:35], s[18:19], s[12:13]
                                        ; implicit-def: $sgpr42_sgpr43
	s_branch .LBB1370_1101
.LBB1370_1104:
	s_or_b64 exec, exec, s[22:23]
.LBB1370_1105:
	s_or_b64 exec, exec, s[20:21]
	v_add_u32_e32 v71, v100, v103
	v_add_u32_e32 v70, v112, v102
	v_sub_u32_e32 v80, v71, v112
	v_cmp_le_u32_e64 s[12:13], v70, v100
	v_cmp_le_u32_e64 s[16:17], v80, v101
	s_or_b64 s[12:13], s[12:13], s[16:17]
	s_and_saveexec_b64 s[20:21], s[12:13]
	s_cbranch_execz .LBB1370_1189
; %bb.1106:
	v_cmp_ge_u32_e64 s[16:17], v70, v100
	v_cmp_lt_u32_e64 s[12:13], v70, v100
                                        ; implicit-def: $vgpr12_vgpr13
	s_and_saveexec_b64 s[18:19], s[12:13]
	s_cbranch_execz .LBB1370_1108
; %bb.1107:
	v_mov_b32_e32 v71, 0
	v_lshl_add_u64 v[12:13], v[70:71], 3, v[66:67]
	flat_load_dwordx2 v[12:13], v[12:13]
.LBB1370_1108:
	s_or_b64 exec, exec, s[18:19]
	v_cmp_ge_u32_e64 s[22:23], v80, v101
	v_cmp_lt_u32_e64 s[12:13], v80, v101
                                        ; implicit-def: $vgpr14_vgpr15
	s_and_saveexec_b64 s[18:19], s[12:13]
	s_cbranch_execz .LBB1370_1110
; %bb.1109:
	v_mov_b32_e32 v81, 0
	v_lshl_add_u64 v[14:15], v[80:81], 3, v[66:67]
	flat_load_dwordx2 v[14:15], v[14:15]
.LBB1370_1110:
	s_or_b64 exec, exec, s[18:19]
	s_or_b64 s[12:13], s[16:17], s[22:23]
	s_xor_b64 s[12:13], s[12:13], -1
	s_and_saveexec_b64 s[24:25], s[12:13]
	s_cbranch_execz .LBB1370_1118
; %bb.1111:
	s_mov_b64 s[12:13], 0
	s_and_saveexec_b64 s[26:27], s[8:9]
	s_cbranch_execz .LBB1370_1117
; %bb.1112:
	s_waitcnt vmcnt(0) lgkmcnt(0)
	v_mul_lo_u32 v18, v13, v6
	v_mul_lo_u32 v19, v12, v7
	v_mad_u64_u32 v[16:17], s[12:13], v12, v6, 0
	v_add3_u32 v17, v17, v19, v18
	v_mul_lo_u32 v20, v15, v6
	v_mul_lo_u32 v21, v14, v7
	v_mad_u64_u32 v[18:19], s[12:13], v14, v6, 0
	v_add3_u32 v19, v19, v21, v20
	v_lshl_add_u64 v[16:17], v[16:17], 1, v[8:9]
	v_lshl_add_u64 v[18:19], v[18:19], 1, v[8:9]
	s_mov_b64 s[28:29], 0
	v_mov_b64_e32 v[20:21], v[6:7]
                                        ; implicit-def: $sgpr34_sgpr35
                                        ; implicit-def: $sgpr36_sgpr37
                                        ; implicit-def: $sgpr42_sgpr43
                                        ; implicit-def: $sgpr16_sgpr17
                                        ; implicit-def: $sgpr44_sgpr45
	s_branch .LBB1370_1114
.LBB1370_1113:                          ;   in Loop: Header=BB1370_1114 Depth=1
	s_or_b64 exec, exec, s[46:47]
	s_and_b64 s[12:13], exec, s[36:37]
	s_or_b64 s[28:29], s[12:13], s[28:29]
	s_andn2_b64 s[12:13], s[44:45], exec
	s_and_b64 s[18:19], s[42:43], exec
	s_or_b64 s[44:45], s[12:13], s[18:19]
	s_andn2_b64 s[12:13], s[34:35], exec
	s_and_b64 s[18:19], s[16:17], exec
	s_or_b64 s[34:35], s[12:13], s[18:19]
	s_andn2_b64 exec, exec, s[28:29]
	s_cbranch_execz .LBB1370_1116
.LBB1370_1114:                          ; =>This Inner Loop Header: Depth=1
	flat_load_ushort v22, v[18:19]
	flat_load_ushort v23, v[16:17]
	s_andn2_b64 s[46:47], s[16:17], exec
	s_andn2_b64 s[42:43], s[42:43], exec
	s_or_b64 s[36:37], s[36:37], exec
	s_waitcnt vmcnt(0) lgkmcnt(0)
	v_cmp_le_u16_e64 s[16:17], v22, v23
	v_cmp_lt_u16_e64 s[12:13], v22, v23
	s_and_b64 s[16:17], s[16:17], s[44:45]
	s_or_b64 s[48:49], s[12:13], s[16:17]
	s_and_b64 s[12:13], s[48:49], exec
	v_cmp_eq_u16_e64 s[18:19], v22, v23
	s_or_b64 s[16:17], s[46:47], s[12:13]
	s_and_saveexec_b64 s[46:47], s[18:19]
	s_cbranch_execz .LBB1370_1113
; %bb.1115:                             ;   in Loop: Header=BB1370_1114 Depth=1
	v_lshl_add_u64 v[20:21], v[20:21], 0, -1
	v_cmp_eq_u64_e64 s[12:13], 0, v[20:21]
	s_andn2_b64 s[18:19], s[42:43], exec
	s_and_b64 s[42:43], s[48:49], exec
	s_or_b64 s[42:43], s[18:19], s[42:43]
	s_andn2_b64 s[18:19], s[36:37], exec
	s_and_b64 s[12:13], s[12:13], exec
	v_lshl_add_u64 v[16:17], v[16:17], 0, 2
	v_lshl_add_u64 v[18:19], v[18:19], 0, 2
	s_andn2_b64 s[16:17], s[16:17], exec
	s_or_b64 s[36:37], s[18:19], s[12:13]
                                        ; implicit-def: $sgpr44_sgpr45
	s_branch .LBB1370_1113
.LBB1370_1116:
	s_or_b64 exec, exec, s[28:29]
	s_and_b64 s[12:13], s[34:35], exec
.LBB1370_1117:
	s_or_b64 exec, exec, s[26:27]
	s_xor_b64 s[12:13], s[12:13], -1
	s_andn2_b64 s[16:17], s[22:23], exec
	s_and_b64 s[12:13], s[12:13], exec
	s_or_b64 s[22:23], s[16:17], s[12:13]
.LBB1370_1118:
	s_or_b64 exec, exec, s[24:25]
	v_cndmask_b32_e64 v16, v80, v70, s[22:23]
	v_cndmask_b32_e64 v17, v101, v100, s[22:23]
	v_add_u32_e32 v20, 1, v16
	v_add_u32_e32 v16, -1, v17
	v_min_u32_e32 v16, v20, v16
	v_mov_b32_e32 v17, 0
	v_lshl_add_u64 v[18:19], v[16:17], 3, v[66:67]
	flat_load_dwordx2 v[18:19], v[18:19]
	v_cndmask_b32_e64 v27, v20, v80, s[22:23]
	s_mov_b64 s[24:25], -1
	v_cndmask_b32_e64 v70, v70, v20, s[22:23]
	v_cmp_lt_u32_e64 s[12:13], v27, v101
	s_mov_b64 s[26:27], -1
	s_waitcnt vmcnt(0) lgkmcnt(0)
	v_cndmask_b32_e64 v24, v19, v15, s[22:23]
	v_cndmask_b32_e64 v25, v18, v14, s[22:23]
	;; [unrolled: 1-line block ×4, first 2 shown]
	s_and_saveexec_b64 s[28:29], s[12:13]
	s_cbranch_execz .LBB1370_1128
; %bb.1119:
	v_cmp_lt_u32_e64 s[12:13], v70, v100
	s_mov_b64 s[16:17], 0
	s_and_saveexec_b64 s[26:27], s[12:13]
	s_cbranch_execz .LBB1370_1127
; %bb.1120:
	s_mov_b64 s[12:13], 0
	s_and_saveexec_b64 s[34:35], s[8:9]
	s_cbranch_execz .LBB1370_1126
; %bb.1121:
	v_mul_lo_u32 v16, v26, v6
	v_mul_lo_u32 v20, v80, v7
	v_mad_u64_u32 v[18:19], s[12:13], v80, v6, 0
	v_add3_u32 v19, v19, v20, v16
	v_mul_lo_u32 v16, v24, v6
	v_mul_lo_u32 v22, v25, v7
	v_mad_u64_u32 v[20:21], s[12:13], v25, v6, 0
	v_add3_u32 v21, v21, v22, v16
	v_lshl_add_u64 v[18:19], v[18:19], 1, v[8:9]
	v_lshl_add_u64 v[20:21], v[20:21], 1, v[8:9]
	s_mov_b64 s[36:37], 0
	v_mov_b64_e32 v[22:23], v[6:7]
                                        ; implicit-def: $sgpr42_sgpr43
                                        ; implicit-def: $sgpr44_sgpr45
                                        ; implicit-def: $sgpr46_sgpr47
                                        ; implicit-def: $sgpr16_sgpr17
                                        ; implicit-def: $sgpr48_sgpr49
	s_branch .LBB1370_1123
.LBB1370_1122:                          ;   in Loop: Header=BB1370_1123 Depth=1
	s_or_b64 exec, exec, s[50:51]
	s_and_b64 s[12:13], exec, s[44:45]
	s_or_b64 s[36:37], s[12:13], s[36:37]
	s_andn2_b64 s[12:13], s[48:49], exec
	s_and_b64 s[18:19], s[46:47], exec
	s_or_b64 s[48:49], s[12:13], s[18:19]
	s_andn2_b64 s[12:13], s[42:43], exec
	s_and_b64 s[18:19], s[16:17], exec
	s_or_b64 s[42:43], s[12:13], s[18:19]
	s_andn2_b64 exec, exec, s[36:37]
	s_cbranch_execz .LBB1370_1125
.LBB1370_1123:                          ; =>This Inner Loop Header: Depth=1
	flat_load_ushort v16, v[20:21]
	flat_load_ushort v71, v[18:19]
	s_andn2_b64 s[50:51], s[16:17], exec
	s_andn2_b64 s[46:47], s[46:47], exec
	s_or_b64 s[44:45], s[44:45], exec
	s_waitcnt vmcnt(0) lgkmcnt(0)
	v_cmp_le_u16_e64 s[16:17], v16, v71
	v_cmp_lt_u16_e64 s[12:13], v16, v71
	s_and_b64 s[16:17], s[16:17], s[48:49]
	s_or_b64 s[52:53], s[12:13], s[16:17]
	s_and_b64 s[12:13], s[52:53], exec
	v_cmp_eq_u16_e64 s[18:19], v16, v71
	s_or_b64 s[16:17], s[50:51], s[12:13]
	s_and_saveexec_b64 s[50:51], s[18:19]
	s_cbranch_execz .LBB1370_1122
; %bb.1124:                             ;   in Loop: Header=BB1370_1123 Depth=1
	v_lshl_add_u64 v[22:23], v[22:23], 0, -1
	v_cmp_eq_u64_e64 s[12:13], 0, v[22:23]
	s_andn2_b64 s[18:19], s[46:47], exec
	s_and_b64 s[46:47], s[52:53], exec
	s_or_b64 s[46:47], s[18:19], s[46:47]
	s_andn2_b64 s[18:19], s[44:45], exec
	s_and_b64 s[12:13], s[12:13], exec
	v_lshl_add_u64 v[18:19], v[18:19], 0, 2
	v_lshl_add_u64 v[20:21], v[20:21], 0, 2
	s_andn2_b64 s[16:17], s[16:17], exec
	s_or_b64 s[44:45], s[18:19], s[12:13]
                                        ; implicit-def: $sgpr48_sgpr49
	s_branch .LBB1370_1122
.LBB1370_1125:
	s_or_b64 exec, exec, s[36:37]
	s_and_b64 s[12:13], s[42:43], exec
.LBB1370_1126:
	s_or_b64 exec, exec, s[34:35]
	s_xor_b64 s[12:13], s[12:13], -1
	s_and_b64 s[16:17], s[12:13], exec
.LBB1370_1127:
	s_or_b64 exec, exec, s[26:27]
	s_orn2_b64 s[26:27], s[16:17], exec
.LBB1370_1128:
	s_or_b64 exec, exec, s[28:29]
	v_cndmask_b32_e64 v16, v27, v70, s[26:27]
	v_cndmask_b32_e64 v18, v101, v100, s[26:27]
	v_add_u32_e32 v19, 1, v16
	v_add_u32_e32 v16, -1, v18
	v_min_u32_e32 v16, v19, v16
	v_lshl_add_u64 v[16:17], v[16:17], 3, v[66:67]
	flat_load_dwordx2 v[16:17], v[16:17]
	v_cndmask_b32_e64 v22, v19, v27, s[26:27]
	v_cndmask_b32_e64 v23, v70, v19, s[26:27]
	v_cmp_lt_u32_e64 s[12:13], v22, v101
	s_waitcnt vmcnt(0) lgkmcnt(0)
	v_cndmask_b32_e64 v27, v17, v24, s[26:27]
	v_cndmask_b32_e64 v81, v16, v25, s[26:27]
	;; [unrolled: 1-line block ×4, first 2 shown]
	s_and_saveexec_b64 s[28:29], s[12:13]
	s_cbranch_execz .LBB1370_1138
; %bb.1129:
	v_cmp_lt_u32_e64 s[12:13], v23, v100
	s_mov_b64 s[16:17], 0
	s_and_saveexec_b64 s[24:25], s[12:13]
	s_cbranch_execz .LBB1370_1137
; %bb.1130:
	s_mov_b64 s[12:13], 0
	s_and_saveexec_b64 s[34:35], s[8:9]
	s_cbranch_execz .LBB1370_1136
; %bb.1131:
	v_mul_lo_u32 v18, v82, v6
	v_mul_lo_u32 v19, v83, v7
	v_mad_u64_u32 v[16:17], s[12:13], v83, v6, 0
	v_add3_u32 v17, v17, v19, v18
	v_mul_lo_u32 v20, v27, v6
	v_mul_lo_u32 v21, v81, v7
	v_mad_u64_u32 v[18:19], s[12:13], v81, v6, 0
	v_add3_u32 v19, v19, v21, v20
	v_lshl_add_u64 v[16:17], v[16:17], 1, v[8:9]
	v_lshl_add_u64 v[18:19], v[18:19], 1, v[8:9]
	s_mov_b64 s[36:37], 0
	v_mov_b64_e32 v[20:21], v[6:7]
                                        ; implicit-def: $sgpr42_sgpr43
                                        ; implicit-def: $sgpr44_sgpr45
                                        ; implicit-def: $sgpr46_sgpr47
                                        ; implicit-def: $sgpr16_sgpr17
                                        ; implicit-def: $sgpr48_sgpr49
	s_branch .LBB1370_1133
.LBB1370_1132:                          ;   in Loop: Header=BB1370_1133 Depth=1
	s_or_b64 exec, exec, s[50:51]
	s_and_b64 s[12:13], exec, s[44:45]
	s_or_b64 s[36:37], s[12:13], s[36:37]
	s_andn2_b64 s[12:13], s[48:49], exec
	s_and_b64 s[18:19], s[46:47], exec
	s_or_b64 s[48:49], s[12:13], s[18:19]
	s_andn2_b64 s[12:13], s[42:43], exec
	s_and_b64 s[18:19], s[16:17], exec
	s_or_b64 s[42:43], s[12:13], s[18:19]
	s_andn2_b64 exec, exec, s[36:37]
	s_cbranch_execz .LBB1370_1135
.LBB1370_1133:                          ; =>This Inner Loop Header: Depth=1
	flat_load_ushort v70, v[18:19]
	flat_load_ushort v71, v[16:17]
	s_andn2_b64 s[50:51], s[16:17], exec
	s_andn2_b64 s[46:47], s[46:47], exec
	s_or_b64 s[44:45], s[44:45], exec
	s_waitcnt vmcnt(0) lgkmcnt(0)
	v_cmp_le_u16_e64 s[16:17], v70, v71
	v_cmp_lt_u16_e64 s[12:13], v70, v71
	s_and_b64 s[16:17], s[16:17], s[48:49]
	s_or_b64 s[52:53], s[12:13], s[16:17]
	s_and_b64 s[12:13], s[52:53], exec
	v_cmp_eq_u16_e64 s[18:19], v70, v71
	s_or_b64 s[16:17], s[50:51], s[12:13]
	s_and_saveexec_b64 s[50:51], s[18:19]
	s_cbranch_execz .LBB1370_1132
; %bb.1134:                             ;   in Loop: Header=BB1370_1133 Depth=1
	v_lshl_add_u64 v[20:21], v[20:21], 0, -1
	v_cmp_eq_u64_e64 s[12:13], 0, v[20:21]
	s_andn2_b64 s[18:19], s[46:47], exec
	s_and_b64 s[46:47], s[52:53], exec
	s_or_b64 s[46:47], s[18:19], s[46:47]
	s_andn2_b64 s[18:19], s[44:45], exec
	s_and_b64 s[12:13], s[12:13], exec
	v_lshl_add_u64 v[16:17], v[16:17], 0, 2
	v_lshl_add_u64 v[18:19], v[18:19], 0, 2
	s_andn2_b64 s[16:17], s[16:17], exec
	s_or_b64 s[44:45], s[18:19], s[12:13]
                                        ; implicit-def: $sgpr48_sgpr49
	s_branch .LBB1370_1132
.LBB1370_1135:
	s_or_b64 exec, exec, s[36:37]
	s_and_b64 s[12:13], s[42:43], exec
.LBB1370_1136:
	s_or_b64 exec, exec, s[34:35]
	s_xor_b64 s[12:13], s[12:13], -1
	s_and_b64 s[16:17], s[12:13], exec
.LBB1370_1137:
	s_or_b64 exec, exec, s[24:25]
	s_orn2_b64 s[24:25], s[16:17], exec
.LBB1370_1138:
	s_or_b64 exec, exec, s[28:29]
	v_cndmask_b32_e64 v16, v22, v23, s[24:25]
	v_cndmask_b32_e64 v17, v101, v100, s[24:25]
	v_add_u32_e32 v20, 1, v16
	v_add_u32_e32 v16, -1, v17
	v_min_u32_e32 v16, v20, v16
	v_mov_b32_e32 v17, 0
	v_lshl_add_u64 v[18:19], v[16:17], 3, v[66:67]
	flat_load_dwordx2 v[18:19], v[18:19]
	v_cndmask_b32_e64 v70, v20, v22, s[24:25]
	s_mov_b64 s[28:29], -1
	v_cndmask_b32_e64 v71, v23, v20, s[24:25]
	v_cmp_lt_u32_e64 s[12:13], v70, v101
	s_mov_b64 s[34:35], -1
	s_waitcnt vmcnt(0) lgkmcnt(0)
	v_cndmask_b32_e64 v84, v19, v27, s[24:25]
	v_cndmask_b32_e64 v85, v18, v81, s[24:25]
	;; [unrolled: 1-line block ×4, first 2 shown]
	s_and_saveexec_b64 s[36:37], s[12:13]
	s_cbranch_execz .LBB1370_1148
; %bb.1139:
	v_cmp_lt_u32_e64 s[12:13], v71, v100
	s_mov_b64 s[16:17], 0
	s_and_saveexec_b64 s[34:35], s[12:13]
	s_cbranch_execz .LBB1370_1147
; %bb.1140:
	s_mov_b64 s[12:13], -1
	s_and_saveexec_b64 s[42:43], s[8:9]
	s_cbranch_execz .LBB1370_1146
; %bb.1141:
	v_mul_lo_u32 v16, v86, v6
	v_mul_lo_u32 v20, v87, v7
	v_mad_u64_u32 v[18:19], s[12:13], v87, v6, 0
	v_add3_u32 v19, v19, v20, v16
	v_mul_lo_u32 v16, v84, v6
	v_mul_lo_u32 v22, v85, v7
	v_mad_u64_u32 v[20:21], s[12:13], v85, v6, 0
	v_add3_u32 v21, v21, v22, v16
	v_lshl_add_u64 v[18:19], v[18:19], 1, v[8:9]
	v_lshl_add_u64 v[20:21], v[20:21], 1, v[8:9]
	s_mov_b64 s[44:45], 0
	v_mov_b64_e32 v[22:23], v[6:7]
                                        ; implicit-def: $sgpr46_sgpr47
                                        ; implicit-def: $sgpr48_sgpr49
                                        ; implicit-def: $sgpr16_sgpr17
                                        ; implicit-def: $sgpr50_sgpr51
                                        ; implicit-def: $sgpr52_sgpr53
	s_branch .LBB1370_1143
.LBB1370_1142:                          ;   in Loop: Header=BB1370_1143 Depth=1
	s_or_b64 exec, exec, s[54:55]
	s_and_b64 s[12:13], exec, s[48:49]
	s_or_b64 s[44:45], s[12:13], s[44:45]
	s_andn2_b64 s[12:13], s[52:53], exec
	s_and_b64 s[18:19], s[50:51], exec
	s_or_b64 s[52:53], s[12:13], s[18:19]
	s_andn2_b64 s[12:13], s[46:47], exec
	s_and_b64 s[18:19], s[16:17], exec
	s_or_b64 s[46:47], s[12:13], s[18:19]
	s_andn2_b64 exec, exec, s[44:45]
	s_cbranch_execz .LBB1370_1145
.LBB1370_1143:                          ; =>This Inner Loop Header: Depth=1
	flat_load_ushort v16, v[20:21]
	flat_load_ushort v96, v[18:19]
	s_andn2_b64 s[54:55], s[16:17], exec
	s_andn2_b64 s[50:51], s[50:51], exec
	s_or_b64 s[48:49], s[48:49], exec
	s_waitcnt vmcnt(0) lgkmcnt(0)
	v_cmp_le_u16_e64 s[16:17], v16, v96
	v_cmp_lt_u16_e64 s[12:13], v16, v96
	s_and_b64 s[16:17], s[16:17], s[52:53]
	s_or_b64 s[56:57], s[12:13], s[16:17]
	s_and_b64 s[12:13], s[56:57], exec
	v_cmp_eq_u16_e64 s[18:19], v16, v96
	s_or_b64 s[16:17], s[54:55], s[12:13]
	s_and_saveexec_b64 s[54:55], s[18:19]
	s_cbranch_execz .LBB1370_1142
; %bb.1144:                             ;   in Loop: Header=BB1370_1143 Depth=1
	v_lshl_add_u64 v[22:23], v[22:23], 0, -1
	v_cmp_eq_u64_e64 s[12:13], 0, v[22:23]
	s_andn2_b64 s[18:19], s[50:51], exec
	s_and_b64 s[50:51], s[56:57], exec
	s_or_b64 s[50:51], s[18:19], s[50:51]
	s_andn2_b64 s[18:19], s[48:49], exec
	s_and_b64 s[12:13], s[12:13], exec
	v_lshl_add_u64 v[18:19], v[18:19], 0, 2
	v_lshl_add_u64 v[20:21], v[20:21], 0, 2
	s_andn2_b64 s[16:17], s[16:17], exec
	s_or_b64 s[48:49], s[18:19], s[12:13]
                                        ; implicit-def: $sgpr52_sgpr53
	s_branch .LBB1370_1142
.LBB1370_1145:
	s_or_b64 exec, exec, s[44:45]
	s_xor_b64 s[12:13], s[46:47], -1
	s_orn2_b64 s[12:13], s[12:13], exec
.LBB1370_1146:
	s_or_b64 exec, exec, s[42:43]
	s_and_b64 s[16:17], s[12:13], exec
.LBB1370_1147:
	s_or_b64 exec, exec, s[34:35]
	s_orn2_b64 s[34:35], s[16:17], exec
.LBB1370_1148:
	s_or_b64 exec, exec, s[36:37]
	v_cndmask_b32_e64 v16, v70, v71, s[34:35]
	v_cndmask_b32_e64 v18, v101, v100, s[34:35]
	v_add_u32_e32 v19, 1, v16
	v_add_u32_e32 v16, -1, v18
	v_min_u32_e32 v16, v19, v16
	v_lshl_add_u64 v[16:17], v[16:17], 3, v[66:67]
	flat_load_dwordx2 v[16:17], v[16:17]
	v_cndmask_b32_e64 v22, v19, v70, s[34:35]
	v_cndmask_b32_e64 v23, v71, v19, s[34:35]
	v_cmp_lt_u32_e64 s[12:13], v22, v101
	s_waitcnt vmcnt(0) lgkmcnt(0)
	v_cndmask_b32_e64 v96, v17, v84, s[34:35]
	v_cndmask_b32_e64 v97, v16, v85, s[34:35]
	;; [unrolled: 1-line block ×4, first 2 shown]
	s_and_saveexec_b64 s[36:37], s[12:13]
	s_cbranch_execz .LBB1370_1158
; %bb.1149:
	v_cmp_lt_u32_e64 s[12:13], v23, v100
	s_mov_b64 s[16:17], 0
	s_and_saveexec_b64 s[28:29], s[12:13]
	s_cbranch_execz .LBB1370_1157
; %bb.1150:
	s_mov_b64 s[12:13], -1
	s_and_saveexec_b64 s[42:43], s[8:9]
	s_cbranch_execz .LBB1370_1156
; %bb.1151:
	v_mul_lo_u32 v18, v98, v6
	v_mul_lo_u32 v19, v99, v7
	v_mad_u64_u32 v[16:17], s[12:13], v99, v6, 0
	v_add3_u32 v17, v17, v19, v18
	v_mul_lo_u32 v20, v96, v6
	v_mul_lo_u32 v21, v97, v7
	v_mad_u64_u32 v[18:19], s[12:13], v97, v6, 0
	v_add3_u32 v19, v19, v21, v20
	v_lshl_add_u64 v[16:17], v[16:17], 1, v[8:9]
	v_lshl_add_u64 v[18:19], v[18:19], 1, v[8:9]
	s_mov_b64 s[44:45], 0
	v_mov_b64_e32 v[20:21], v[6:7]
                                        ; implicit-def: $sgpr46_sgpr47
                                        ; implicit-def: $sgpr48_sgpr49
                                        ; implicit-def: $sgpr16_sgpr17
                                        ; implicit-def: $sgpr50_sgpr51
                                        ; implicit-def: $sgpr52_sgpr53
	s_branch .LBB1370_1153
.LBB1370_1152:                          ;   in Loop: Header=BB1370_1153 Depth=1
	s_or_b64 exec, exec, s[54:55]
	s_and_b64 s[12:13], exec, s[48:49]
	s_or_b64 s[44:45], s[12:13], s[44:45]
	s_andn2_b64 s[12:13], s[52:53], exec
	s_and_b64 s[18:19], s[50:51], exec
	s_or_b64 s[52:53], s[12:13], s[18:19]
	s_andn2_b64 s[12:13], s[46:47], exec
	s_and_b64 s[18:19], s[16:17], exec
	s_or_b64 s[46:47], s[12:13], s[18:19]
	s_andn2_b64 exec, exec, s[44:45]
	s_cbranch_execz .LBB1370_1155
.LBB1370_1153:                          ; =>This Inner Loop Header: Depth=1
	flat_load_ushort v70, v[18:19]
	flat_load_ushort v71, v[16:17]
	s_andn2_b64 s[54:55], s[16:17], exec
	s_andn2_b64 s[50:51], s[50:51], exec
	s_or_b64 s[48:49], s[48:49], exec
	s_waitcnt vmcnt(0) lgkmcnt(0)
	v_cmp_le_u16_e64 s[16:17], v70, v71
	v_cmp_lt_u16_e64 s[12:13], v70, v71
	s_and_b64 s[16:17], s[16:17], s[52:53]
	s_or_b64 s[56:57], s[12:13], s[16:17]
	s_and_b64 s[12:13], s[56:57], exec
	v_cmp_eq_u16_e64 s[18:19], v70, v71
	s_or_b64 s[16:17], s[54:55], s[12:13]
	s_and_saveexec_b64 s[54:55], s[18:19]
	s_cbranch_execz .LBB1370_1152
; %bb.1154:                             ;   in Loop: Header=BB1370_1153 Depth=1
	v_lshl_add_u64 v[20:21], v[20:21], 0, -1
	v_cmp_eq_u64_e64 s[12:13], 0, v[20:21]
	s_andn2_b64 s[18:19], s[50:51], exec
	s_and_b64 s[50:51], s[56:57], exec
	s_or_b64 s[50:51], s[18:19], s[50:51]
	s_andn2_b64 s[18:19], s[48:49], exec
	s_and_b64 s[12:13], s[12:13], exec
	v_lshl_add_u64 v[16:17], v[16:17], 0, 2
	v_lshl_add_u64 v[18:19], v[18:19], 0, 2
	s_andn2_b64 s[16:17], s[16:17], exec
	s_or_b64 s[48:49], s[18:19], s[12:13]
                                        ; implicit-def: $sgpr52_sgpr53
	s_branch .LBB1370_1152
.LBB1370_1155:
	s_or_b64 exec, exec, s[44:45]
	s_xor_b64 s[12:13], s[46:47], -1
	s_orn2_b64 s[12:13], s[12:13], exec
.LBB1370_1156:
	s_or_b64 exec, exec, s[42:43]
	s_and_b64 s[16:17], s[12:13], exec
.LBB1370_1157:
	s_or_b64 exec, exec, s[28:29]
	s_orn2_b64 s[28:29], s[16:17], exec
.LBB1370_1158:
	s_or_b64 exec, exec, s[36:37]
	v_cndmask_b32_e64 v16, v22, v23, s[28:29]
	v_cndmask_b32_e64 v17, v101, v100, s[28:29]
	v_add_u32_e32 v20, 1, v16
	v_add_u32_e32 v16, -1, v17
	v_min_u32_e32 v16, v20, v16
	v_mov_b32_e32 v17, 0
	v_lshl_add_u64 v[18:19], v[16:17], 3, v[66:67]
	flat_load_dwordx2 v[18:19], v[18:19]
	v_cndmask_b32_e64 v70, v20, v22, s[28:29]
	s_mov_b64 s[36:37], -1
	v_cndmask_b32_e64 v71, v23, v20, s[28:29]
	v_cmp_lt_u32_e64 s[12:13], v70, v101
	s_mov_b64 s[42:43], -1
	s_waitcnt vmcnt(0) lgkmcnt(0)
	v_cndmask_b32_e64 v102, v19, v96, s[28:29]
	v_cndmask_b32_e64 v103, v18, v97, s[28:29]
	;; [unrolled: 1-line block ×4, first 2 shown]
	s_and_saveexec_b64 s[44:45], s[12:13]
	s_cbranch_execz .LBB1370_1168
; %bb.1159:
	v_cmp_lt_u32_e64 s[12:13], v71, v100
	s_mov_b64 s[16:17], 0
	s_and_saveexec_b64 s[42:43], s[12:13]
	s_cbranch_execz .LBB1370_1167
; %bb.1160:
	s_mov_b64 s[12:13], -1
	s_and_saveexec_b64 s[46:47], s[8:9]
	s_cbranch_execz .LBB1370_1166
; %bb.1161:
	v_mul_lo_u32 v16, v112, v6
	v_mul_lo_u32 v20, v113, v7
	v_mad_u64_u32 v[18:19], s[12:13], v113, v6, 0
	v_add3_u32 v19, v19, v20, v16
	v_mul_lo_u32 v16, v102, v6
	v_mul_lo_u32 v22, v103, v7
	v_mad_u64_u32 v[20:21], s[12:13], v103, v6, 0
	v_add3_u32 v21, v21, v22, v16
	v_lshl_add_u64 v[18:19], v[18:19], 1, v[8:9]
	v_lshl_add_u64 v[20:21], v[20:21], 1, v[8:9]
	s_mov_b64 s[48:49], 0
	v_mov_b64_e32 v[22:23], v[6:7]
                                        ; implicit-def: $sgpr50_sgpr51
                                        ; implicit-def: $sgpr52_sgpr53
                                        ; implicit-def: $sgpr16_sgpr17
                                        ; implicit-def: $sgpr54_sgpr55
                                        ; implicit-def: $sgpr56_sgpr57
	s_branch .LBB1370_1163
.LBB1370_1162:                          ;   in Loop: Header=BB1370_1163 Depth=1
	s_or_b64 exec, exec, s[58:59]
	s_and_b64 s[12:13], exec, s[52:53]
	s_or_b64 s[48:49], s[12:13], s[48:49]
	s_andn2_b64 s[12:13], s[56:57], exec
	s_and_b64 s[18:19], s[54:55], exec
	s_or_b64 s[56:57], s[12:13], s[18:19]
	s_andn2_b64 s[12:13], s[50:51], exec
	s_and_b64 s[18:19], s[16:17], exec
	s_or_b64 s[50:51], s[12:13], s[18:19]
	s_andn2_b64 exec, exec, s[48:49]
	s_cbranch_execz .LBB1370_1165
.LBB1370_1163:                          ; =>This Inner Loop Header: Depth=1
	flat_load_ushort v16, v[20:21]
	flat_load_ushort v114, v[18:19]
	s_andn2_b64 s[58:59], s[16:17], exec
	s_andn2_b64 s[54:55], s[54:55], exec
	s_or_b64 s[52:53], s[52:53], exec
	s_waitcnt vmcnt(0) lgkmcnt(0)
	v_cmp_le_u16_e64 s[16:17], v16, v114
	v_cmp_lt_u16_e64 s[12:13], v16, v114
	s_and_b64 s[16:17], s[16:17], s[56:57]
	s_or_b64 s[60:61], s[12:13], s[16:17]
	s_and_b64 s[12:13], s[60:61], exec
	v_cmp_eq_u16_e64 s[18:19], v16, v114
	s_or_b64 s[16:17], s[58:59], s[12:13]
	s_and_saveexec_b64 s[58:59], s[18:19]
	s_cbranch_execz .LBB1370_1162
; %bb.1164:                             ;   in Loop: Header=BB1370_1163 Depth=1
	v_lshl_add_u64 v[22:23], v[22:23], 0, -1
	v_cmp_eq_u64_e64 s[12:13], 0, v[22:23]
	s_andn2_b64 s[18:19], s[54:55], exec
	s_and_b64 s[54:55], s[60:61], exec
	s_or_b64 s[54:55], s[18:19], s[54:55]
	s_andn2_b64 s[18:19], s[52:53], exec
	s_and_b64 s[12:13], s[12:13], exec
	v_lshl_add_u64 v[18:19], v[18:19], 0, 2
	v_lshl_add_u64 v[20:21], v[20:21], 0, 2
	s_andn2_b64 s[16:17], s[16:17], exec
	s_or_b64 s[52:53], s[18:19], s[12:13]
                                        ; implicit-def: $sgpr56_sgpr57
	s_branch .LBB1370_1162
.LBB1370_1165:
	s_or_b64 exec, exec, s[48:49]
	s_xor_b64 s[12:13], s[50:51], -1
	s_orn2_b64 s[12:13], s[12:13], exec
.LBB1370_1166:
	s_or_b64 exec, exec, s[46:47]
	s_and_b64 s[16:17], s[12:13], exec
.LBB1370_1167:
	s_or_b64 exec, exec, s[42:43]
	s_orn2_b64 s[42:43], s[16:17], exec
.LBB1370_1168:
	s_or_b64 exec, exec, s[44:45]
	v_cndmask_b32_e64 v16, v70, v71, s[42:43]
	v_cndmask_b32_e64 v18, v101, v100, s[42:43]
	v_add_u32_e32 v19, 1, v16
	v_add_u32_e32 v16, -1, v18
	v_min_u32_e32 v16, v19, v16
	v_lshl_add_u64 v[16:17], v[16:17], 3, v[66:67]
	flat_load_dwordx2 v[16:17], v[16:17]
	v_cndmask_b32_e64 v117, v19, v70, s[42:43]
	v_cndmask_b32_e64 v114, v71, v19, s[42:43]
	v_cmp_lt_u32_e64 s[12:13], v117, v101
	s_waitcnt vmcnt(0) lgkmcnt(0)
	v_cndmask_b32_e64 v115, v17, v102, s[42:43]
	v_cndmask_b32_e64 v116, v16, v103, s[42:43]
	;; [unrolled: 1-line block ×4, first 2 shown]
	s_and_saveexec_b64 s[44:45], s[12:13]
	s_cbranch_execz .LBB1370_1178
; %bb.1169:
	v_cmp_lt_u32_e64 s[12:13], v114, v100
	s_mov_b64 s[16:17], 0
	s_and_saveexec_b64 s[36:37], s[12:13]
	s_cbranch_execz .LBB1370_1177
; %bb.1170:
	s_mov_b64 s[12:13], -1
	s_and_saveexec_b64 s[46:47], s[8:9]
	s_cbranch_execz .LBB1370_1176
; %bb.1171:
	v_mul_lo_u32 v18, v118, v6
	v_mul_lo_u32 v19, v119, v7
	v_mad_u64_u32 v[16:17], s[12:13], v119, v6, 0
	v_add3_u32 v17, v17, v19, v18
	v_mul_lo_u32 v20, v115, v6
	v_mul_lo_u32 v21, v116, v7
	v_mad_u64_u32 v[18:19], s[12:13], v116, v6, 0
	v_add3_u32 v19, v19, v21, v20
	v_lshl_add_u64 v[16:17], v[16:17], 1, v[8:9]
	v_lshl_add_u64 v[18:19], v[18:19], 1, v[8:9]
	s_mov_b64 s[48:49], 0
	v_mov_b64_e32 v[20:21], v[6:7]
                                        ; implicit-def: $sgpr50_sgpr51
                                        ; implicit-def: $sgpr52_sgpr53
                                        ; implicit-def: $sgpr16_sgpr17
                                        ; implicit-def: $sgpr54_sgpr55
                                        ; implicit-def: $sgpr56_sgpr57
	s_branch .LBB1370_1173
.LBB1370_1172:                          ;   in Loop: Header=BB1370_1173 Depth=1
	s_or_b64 exec, exec, s[58:59]
	s_and_b64 s[12:13], exec, s[52:53]
	s_or_b64 s[48:49], s[12:13], s[48:49]
	s_andn2_b64 s[12:13], s[56:57], exec
	s_and_b64 s[18:19], s[54:55], exec
	s_or_b64 s[56:57], s[12:13], s[18:19]
	s_andn2_b64 s[12:13], s[50:51], exec
	s_and_b64 s[18:19], s[16:17], exec
	s_or_b64 s[50:51], s[12:13], s[18:19]
	s_andn2_b64 exec, exec, s[48:49]
	s_cbranch_execz .LBB1370_1175
.LBB1370_1173:                          ; =>This Inner Loop Header: Depth=1
	flat_load_ushort v22, v[18:19]
	flat_load_ushort v23, v[16:17]
	s_andn2_b64 s[58:59], s[16:17], exec
	s_andn2_b64 s[54:55], s[54:55], exec
	s_or_b64 s[52:53], s[52:53], exec
	s_waitcnt vmcnt(0) lgkmcnt(0)
	v_cmp_le_u16_e64 s[16:17], v22, v23
	v_cmp_lt_u16_e64 s[12:13], v22, v23
	s_and_b64 s[16:17], s[16:17], s[56:57]
	s_or_b64 s[60:61], s[12:13], s[16:17]
	s_and_b64 s[12:13], s[60:61], exec
	v_cmp_eq_u16_e64 s[18:19], v22, v23
	s_or_b64 s[16:17], s[58:59], s[12:13]
	s_and_saveexec_b64 s[58:59], s[18:19]
	s_cbranch_execz .LBB1370_1172
; %bb.1174:                             ;   in Loop: Header=BB1370_1173 Depth=1
	v_lshl_add_u64 v[20:21], v[20:21], 0, -1
	v_cmp_eq_u64_e64 s[12:13], 0, v[20:21]
	s_andn2_b64 s[18:19], s[54:55], exec
	s_and_b64 s[54:55], s[60:61], exec
	s_or_b64 s[54:55], s[18:19], s[54:55]
	s_andn2_b64 s[18:19], s[52:53], exec
	s_and_b64 s[12:13], s[12:13], exec
	v_lshl_add_u64 v[16:17], v[16:17], 0, 2
	v_lshl_add_u64 v[18:19], v[18:19], 0, 2
	s_andn2_b64 s[16:17], s[16:17], exec
	s_or_b64 s[52:53], s[18:19], s[12:13]
                                        ; implicit-def: $sgpr56_sgpr57
	s_branch .LBB1370_1172
.LBB1370_1175:
	s_or_b64 exec, exec, s[48:49]
	s_xor_b64 s[12:13], s[50:51], -1
	s_orn2_b64 s[12:13], s[12:13], exec
.LBB1370_1176:
	s_or_b64 exec, exec, s[46:47]
	s_and_b64 s[16:17], s[12:13], exec
.LBB1370_1177:
	s_or_b64 exec, exec, s[36:37]
	s_orn2_b64 s[36:37], s[16:17], exec
.LBB1370_1178:
	s_or_b64 exec, exec, s[44:45]
	v_cndmask_b32_e64 v16, v117, v114, s[36:37]
	v_cndmask_b32_e64 v17, v101, v100, s[36:37]
	v_add_u32_e32 v128, 1, v16
	v_add_u32_e32 v16, -1, v17
	v_min_u32_e32 v16, v128, v16
	v_mov_b32_e32 v17, 0
	v_lshl_add_u64 v[16:17], v[16:17], 3, v[66:67]
	flat_load_dwordx2 v[70:71], v[16:17]
	v_cndmask_b32_e64 v21, v27, v82, s[24:25]
	v_cndmask_b32_e64 v27, v24, v26, s[26:27]
	;; [unrolled: 1-line block ×15, first 2 shown]
	v_cmp_lt_u32_e64 s[12:13], v80, v101
	s_waitcnt vmcnt(0) lgkmcnt(0)
	v_cndmask_b32_e64 v15, v118, v71, s[36:37]
	v_cndmask_b32_e64 v14, v119, v70, s[36:37]
	s_and_saveexec_b64 s[22:23], s[12:13]
	s_cbranch_execz .LBB1370_1188
; %bb.1179:
	v_cndmask_b32_e64 v80, v114, v128, s[36:37]
	v_cndmask_b32_e64 v71, v71, v115, s[36:37]
	;; [unrolled: 1-line block ×3, first 2 shown]
	v_cmp_lt_u32_e64 s[12:13], v80, v100
	s_and_saveexec_b64 s[24:25], s[12:13]
	s_cbranch_execz .LBB1370_1187
; %bb.1180:
	s_and_saveexec_b64 s[26:27], s[8:9]
	s_cbranch_execz .LBB1370_1186
; %bb.1181:
	v_mul_lo_u32 v82, v15, v6
	v_mul_lo_u32 v83, v14, v7
	v_mad_u64_u32 v[80:81], s[12:13], v14, v6, 0
	v_add3_u32 v81, v81, v83, v82
	v_mul_lo_u32 v84, v71, v6
	v_mul_lo_u32 v85, v70, v7
	v_mad_u64_u32 v[82:83], s[12:13], v70, v6, 0
	v_add3_u32 v83, v83, v85, v84
	v_lshl_add_u64 v[80:81], v[80:81], 1, v[8:9]
	v_lshl_add_u64 v[82:83], v[82:83], 1, v[8:9]
	s_mov_b64 s[28:29], 0
	v_mov_b64_e32 v[84:85], v[6:7]
                                        ; implicit-def: $sgpr34_sgpr35
                                        ; implicit-def: $sgpr36_sgpr37
                                        ; implicit-def: $sgpr16_sgpr17
                                        ; implicit-def: $sgpr42_sgpr43
                                        ; implicit-def: $sgpr44_sgpr45
	s_branch .LBB1370_1183
.LBB1370_1182:                          ;   in Loop: Header=BB1370_1183 Depth=1
	s_or_b64 exec, exec, s[46:47]
	s_and_b64 s[12:13], exec, s[36:37]
	s_or_b64 s[28:29], s[12:13], s[28:29]
	s_andn2_b64 s[12:13], s[44:45], exec
	s_and_b64 s[18:19], s[42:43], exec
	s_or_b64 s[44:45], s[12:13], s[18:19]
	s_andn2_b64 s[12:13], s[34:35], exec
	s_and_b64 s[18:19], s[16:17], exec
	s_or_b64 s[34:35], s[12:13], s[18:19]
	s_andn2_b64 exec, exec, s[28:29]
	s_cbranch_execz .LBB1370_1185
.LBB1370_1183:                          ; =>This Inner Loop Header: Depth=1
	flat_load_ushort v86, v[82:83]
	flat_load_ushort v87, v[80:81]
	s_andn2_b64 s[46:47], s[16:17], exec
	s_andn2_b64 s[42:43], s[42:43], exec
	s_or_b64 s[36:37], s[36:37], exec
	s_waitcnt vmcnt(0) lgkmcnt(0)
	v_cmp_le_u16_e64 s[16:17], v86, v87
	v_cmp_lt_u16_e64 s[12:13], v86, v87
	s_and_b64 s[16:17], s[16:17], s[44:45]
	s_or_b64 s[48:49], s[12:13], s[16:17]
	s_and_b64 s[12:13], s[48:49], exec
	v_cmp_eq_u16_e64 s[18:19], v86, v87
	s_or_b64 s[16:17], s[46:47], s[12:13]
	s_and_saveexec_b64 s[46:47], s[18:19]
	s_cbranch_execz .LBB1370_1182
; %bb.1184:                             ;   in Loop: Header=BB1370_1183 Depth=1
	v_lshl_add_u64 v[84:85], v[84:85], 0, -1
	v_cmp_eq_u64_e64 s[12:13], 0, v[84:85]
	s_andn2_b64 s[18:19], s[42:43], exec
	s_and_b64 s[42:43], s[48:49], exec
	s_or_b64 s[42:43], s[18:19], s[42:43]
	s_andn2_b64 s[18:19], s[36:37], exec
	s_and_b64 s[12:13], s[12:13], exec
	v_lshl_add_u64 v[80:81], v[80:81], 0, 2
	v_lshl_add_u64 v[82:83], v[82:83], 0, 2
	s_andn2_b64 s[16:17], s[16:17], exec
	s_or_b64 s[36:37], s[18:19], s[12:13]
                                        ; implicit-def: $sgpr44_sgpr45
	s_branch .LBB1370_1182
.LBB1370_1185:
	s_or_b64 exec, exec, s[28:29]
	v_cndmask_b32_e64 v15, v15, v71, s[34:35]
	v_cndmask_b32_e64 v14, v14, v70, s[34:35]
.LBB1370_1186:
	s_or_b64 exec, exec, s[26:27]
	v_mov_b64_e32 v[70:71], v[14:15]
.LBB1370_1187:
	s_or_b64 exec, exec, s[24:25]
	v_mov_b64_e32 v[14:15], v[70:71]
.LBB1370_1188:
	s_or_b64 exec, exec, s[22:23]
.LBB1370_1189:
	s_or_b64 exec, exec, s[20:21]
	v_and_b32_e32 v102, 0x3c0, v31
	v_or_b32_e32 v70, 32, v102
	v_min_u32_e32 v100, v1, v70
	v_add_u32_e32 v70, 32, v100
	v_min_u32_e32 v101, v1, v70
	v_and_b32_e32 v70, 56, v31
	v_min_u32_e32 v103, v1, v70
	v_sub_u32_e32 v70, v100, v102
	v_sub_u32_e32 v71, v101, v100
	v_sub_u32_e64 v112, v103, v71 clamp
	v_min_u32_e32 v113, v103, v70
	v_cmp_lt_u32_e64 s[12:13], v112, v113
	; wave barrier
	flat_store_dwordx4 v[68:69], v[24:27]
	flat_store_dwordx4 v[68:69], v[20:23] offset:16
	flat_store_dwordx4 v[68:69], v[16:19] offset:32
	;; [unrolled: 1-line block ×3, first 2 shown]
	; wave barrier
	s_and_saveexec_b64 s[20:21], s[12:13]
	s_cbranch_execz .LBB1370_1199
; %bb.1190:
	v_lshlrev_b32_e32 v70, 3, v102
	v_mov_b32_e32 v71, 0
	v_lshl_add_u64 v[80:81], v[66:67], 0, v[70:71]
	v_lshlrev_b32_e32 v70, 3, v100
	v_lshl_add_u64 v[82:83], v[66:67], 0, v[70:71]
	s_mov_b64 s[22:23], 0
	s_branch .LBB1370_1193
.LBB1370_1191:                          ;   in Loop: Header=BB1370_1193 Depth=1
	s_or_b64 exec, exec, s[26:27]
	s_and_b64 s[12:13], s[28:29], exec
.LBB1370_1192:                          ;   in Loop: Header=BB1370_1193 Depth=1
	s_or_b64 exec, exec, s[24:25]
	v_add_u32_e32 v70, 1, v84
	v_cndmask_b32_e64 v113, v113, v84, s[12:13]
	v_cndmask_b32_e64 v112, v70, v112, s[12:13]
	v_cmp_ge_u32_e64 s[12:13], v112, v113
	s_or_b64 s[22:23], s[12:13], s[22:23]
	s_andn2_b64 exec, exec, s[22:23]
	s_cbranch_execz .LBB1370_1198
.LBB1370_1193:                          ; =>This Loop Header: Depth=1
                                        ;     Child Loop BB1370_1196 Depth 2
	v_add_u32_e32 v70, v113, v112
	v_lshrrev_b32_e32 v84, 1, v70
	s_mov_b64 s[12:13], 0
	s_and_saveexec_b64 s[24:25], s[8:9]
	s_cbranch_execz .LBB1370_1192
; %bb.1194:                             ;   in Loop: Header=BB1370_1193 Depth=1
	v_mov_b32_e32 v85, v71
	v_xad_u32 v70, v84, -1, v103
	v_lshl_add_u64 v[86:87], v[84:85], 3, v[80:81]
	v_lshl_add_u64 v[96:97], v[70:71], 3, v[82:83]
	flat_load_dwordx2 v[86:87], v[86:87]
	s_mov_b64 s[26:27], 0
	flat_load_dwordx2 v[96:97], v[96:97]
                                        ; implicit-def: $sgpr28_sgpr29
                                        ; implicit-def: $sgpr34_sgpr35
                                        ; implicit-def: $sgpr36_sgpr37
                                        ; implicit-def: $sgpr16_sgpr17
                                        ; implicit-def: $sgpr42_sgpr43
	s_waitcnt vmcnt(0) lgkmcnt(0)
	v_mul_lo_u32 v70, v64, v87
	v_mul_lo_u32 v85, v65, v86
	v_mad_u64_u32 v[86:87], s[12:13], v64, v86, v[8:9]
	v_mul_lo_u32 v98, v64, v97
	v_mul_lo_u32 v99, v65, v96
	v_mad_u64_u32 v[96:97], s[12:13], v64, v96, v[8:9]
	v_add3_u32 v87, v85, v87, v70
	v_add3_u32 v97, v99, v97, v98
	v_mov_b64_e32 v[98:99], v[6:7]
	s_branch .LBB1370_1196
.LBB1370_1195:                          ;   in Loop: Header=BB1370_1196 Depth=2
	s_or_b64 exec, exec, s[44:45]
	s_and_b64 s[12:13], exec, s[34:35]
	s_or_b64 s[26:27], s[12:13], s[26:27]
	s_andn2_b64 s[12:13], s[42:43], exec
	s_and_b64 s[18:19], s[36:37], exec
	s_or_b64 s[42:43], s[12:13], s[18:19]
	s_andn2_b64 s[12:13], s[28:29], exec
	s_and_b64 s[18:19], s[16:17], exec
	s_or_b64 s[28:29], s[12:13], s[18:19]
	s_andn2_b64 exec, exec, s[26:27]
	s_cbranch_execz .LBB1370_1191
.LBB1370_1196:                          ;   Parent Loop BB1370_1193 Depth=1
                                        ; =>  This Inner Loop Header: Depth=2
	flat_load_ushort v70, v[96:97]
	flat_load_ushort v85, v[86:87]
	s_andn2_b64 s[44:45], s[16:17], exec
	s_andn2_b64 s[36:37], s[36:37], exec
	s_or_b64 s[34:35], s[34:35], exec
	s_waitcnt vmcnt(0) lgkmcnt(0)
	v_cmp_le_u16_e64 s[16:17], v70, v85
	v_cmp_lt_u16_e64 s[12:13], v70, v85
	s_and_b64 s[16:17], s[16:17], s[42:43]
	s_or_b64 s[46:47], s[12:13], s[16:17]
	s_and_b64 s[12:13], s[46:47], exec
	v_cmp_eq_u16_e64 s[18:19], v70, v85
	s_or_b64 s[16:17], s[44:45], s[12:13]
	s_and_saveexec_b64 s[44:45], s[18:19]
	s_cbranch_execz .LBB1370_1195
; %bb.1197:                             ;   in Loop: Header=BB1370_1196 Depth=2
	v_lshl_add_u64 v[98:99], v[98:99], 0, -1
	v_cmp_eq_u64_e64 s[12:13], 0, v[98:99]
	s_andn2_b64 s[18:19], s[36:37], exec
	s_and_b64 s[36:37], s[46:47], exec
	s_or_b64 s[36:37], s[18:19], s[36:37]
	s_andn2_b64 s[18:19], s[34:35], exec
	s_and_b64 s[12:13], s[12:13], exec
	v_lshl_add_u64 v[86:87], v[86:87], 0, 2
	v_lshl_add_u64 v[96:97], v[96:97], 0, 2
	s_andn2_b64 s[16:17], s[16:17], exec
	s_or_b64 s[34:35], s[18:19], s[12:13]
                                        ; implicit-def: $sgpr42_sgpr43
	s_branch .LBB1370_1195
.LBB1370_1198:
	s_or_b64 exec, exec, s[22:23]
.LBB1370_1199:
	s_or_b64 exec, exec, s[20:21]
	v_add_u32_e32 v71, v100, v103
	v_add_u32_e32 v70, v112, v102
	v_sub_u32_e32 v80, v71, v112
	v_cmp_le_u32_e64 s[12:13], v70, v100
	v_cmp_le_u32_e64 s[16:17], v80, v101
	s_or_b64 s[12:13], s[12:13], s[16:17]
	s_and_saveexec_b64 s[20:21], s[12:13]
	s_cbranch_execz .LBB1370_1283
; %bb.1200:
	v_cmp_ge_u32_e64 s[16:17], v70, v100
	v_cmp_lt_u32_e64 s[12:13], v70, v100
                                        ; implicit-def: $vgpr12_vgpr13
	s_and_saveexec_b64 s[18:19], s[12:13]
	s_cbranch_execz .LBB1370_1202
; %bb.1201:
	v_mov_b32_e32 v71, 0
	v_lshl_add_u64 v[12:13], v[70:71], 3, v[66:67]
	flat_load_dwordx2 v[12:13], v[12:13]
.LBB1370_1202:
	s_or_b64 exec, exec, s[18:19]
	v_cmp_ge_u32_e64 s[22:23], v80, v101
	v_cmp_lt_u32_e64 s[12:13], v80, v101
                                        ; implicit-def: $vgpr14_vgpr15
	s_and_saveexec_b64 s[18:19], s[12:13]
	s_cbranch_execz .LBB1370_1204
; %bb.1203:
	v_mov_b32_e32 v81, 0
	v_lshl_add_u64 v[14:15], v[80:81], 3, v[66:67]
	flat_load_dwordx2 v[14:15], v[14:15]
.LBB1370_1204:
	s_or_b64 exec, exec, s[18:19]
	s_or_b64 s[12:13], s[16:17], s[22:23]
	s_xor_b64 s[12:13], s[12:13], -1
	s_and_saveexec_b64 s[24:25], s[12:13]
	s_cbranch_execz .LBB1370_1212
; %bb.1205:
	s_mov_b64 s[12:13], 0
	s_and_saveexec_b64 s[26:27], s[8:9]
	s_cbranch_execz .LBB1370_1211
; %bb.1206:
	s_waitcnt vmcnt(0) lgkmcnt(0)
	v_mul_lo_u32 v18, v13, v6
	v_mul_lo_u32 v19, v12, v7
	v_mad_u64_u32 v[16:17], s[12:13], v12, v6, 0
	v_add3_u32 v17, v17, v19, v18
	v_mul_lo_u32 v20, v15, v6
	v_mul_lo_u32 v21, v14, v7
	v_mad_u64_u32 v[18:19], s[12:13], v14, v6, 0
	v_add3_u32 v19, v19, v21, v20
	v_lshl_add_u64 v[16:17], v[16:17], 1, v[8:9]
	v_lshl_add_u64 v[18:19], v[18:19], 1, v[8:9]
	s_mov_b64 s[28:29], 0
	v_mov_b64_e32 v[20:21], v[6:7]
                                        ; implicit-def: $sgpr34_sgpr35
                                        ; implicit-def: $sgpr36_sgpr37
                                        ; implicit-def: $sgpr42_sgpr43
                                        ; implicit-def: $sgpr16_sgpr17
                                        ; implicit-def: $sgpr44_sgpr45
	s_branch .LBB1370_1208
.LBB1370_1207:                          ;   in Loop: Header=BB1370_1208 Depth=1
	s_or_b64 exec, exec, s[46:47]
	s_and_b64 s[12:13], exec, s[36:37]
	s_or_b64 s[28:29], s[12:13], s[28:29]
	s_andn2_b64 s[12:13], s[44:45], exec
	s_and_b64 s[18:19], s[42:43], exec
	s_or_b64 s[44:45], s[12:13], s[18:19]
	s_andn2_b64 s[12:13], s[34:35], exec
	s_and_b64 s[18:19], s[16:17], exec
	s_or_b64 s[34:35], s[12:13], s[18:19]
	s_andn2_b64 exec, exec, s[28:29]
	s_cbranch_execz .LBB1370_1210
.LBB1370_1208:                          ; =>This Inner Loop Header: Depth=1
	flat_load_ushort v22, v[18:19]
	flat_load_ushort v23, v[16:17]
	s_andn2_b64 s[46:47], s[16:17], exec
	s_andn2_b64 s[42:43], s[42:43], exec
	s_or_b64 s[36:37], s[36:37], exec
	s_waitcnt vmcnt(0) lgkmcnt(0)
	v_cmp_le_u16_e64 s[16:17], v22, v23
	v_cmp_lt_u16_e64 s[12:13], v22, v23
	s_and_b64 s[16:17], s[16:17], s[44:45]
	s_or_b64 s[48:49], s[12:13], s[16:17]
	s_and_b64 s[12:13], s[48:49], exec
	v_cmp_eq_u16_e64 s[18:19], v22, v23
	s_or_b64 s[16:17], s[46:47], s[12:13]
	s_and_saveexec_b64 s[46:47], s[18:19]
	s_cbranch_execz .LBB1370_1207
; %bb.1209:                             ;   in Loop: Header=BB1370_1208 Depth=1
	v_lshl_add_u64 v[20:21], v[20:21], 0, -1
	v_cmp_eq_u64_e64 s[12:13], 0, v[20:21]
	s_andn2_b64 s[18:19], s[42:43], exec
	s_and_b64 s[42:43], s[48:49], exec
	s_or_b64 s[42:43], s[18:19], s[42:43]
	s_andn2_b64 s[18:19], s[36:37], exec
	s_and_b64 s[12:13], s[12:13], exec
	v_lshl_add_u64 v[16:17], v[16:17], 0, 2
	v_lshl_add_u64 v[18:19], v[18:19], 0, 2
	s_andn2_b64 s[16:17], s[16:17], exec
	s_or_b64 s[36:37], s[18:19], s[12:13]
                                        ; implicit-def: $sgpr44_sgpr45
	s_branch .LBB1370_1207
.LBB1370_1210:
	s_or_b64 exec, exec, s[28:29]
	s_and_b64 s[12:13], s[34:35], exec
.LBB1370_1211:
	s_or_b64 exec, exec, s[26:27]
	s_xor_b64 s[12:13], s[12:13], -1
	s_andn2_b64 s[16:17], s[22:23], exec
	s_and_b64 s[12:13], s[12:13], exec
	s_or_b64 s[22:23], s[16:17], s[12:13]
.LBB1370_1212:
	s_or_b64 exec, exec, s[24:25]
	v_cndmask_b32_e64 v16, v80, v70, s[22:23]
	v_cndmask_b32_e64 v17, v101, v100, s[22:23]
	v_add_u32_e32 v20, 1, v16
	v_add_u32_e32 v16, -1, v17
	v_min_u32_e32 v16, v20, v16
	v_mov_b32_e32 v17, 0
	v_lshl_add_u64 v[18:19], v[16:17], 3, v[66:67]
	flat_load_dwordx2 v[18:19], v[18:19]
	v_cndmask_b32_e64 v27, v20, v80, s[22:23]
	s_mov_b64 s[24:25], -1
	v_cndmask_b32_e64 v70, v70, v20, s[22:23]
	v_cmp_lt_u32_e64 s[12:13], v27, v101
	s_mov_b64 s[26:27], -1
	s_waitcnt vmcnt(0) lgkmcnt(0)
	v_cndmask_b32_e64 v24, v19, v15, s[22:23]
	v_cndmask_b32_e64 v25, v18, v14, s[22:23]
	v_cndmask_b32_e64 v26, v13, v19, s[22:23]
	v_cndmask_b32_e64 v80, v12, v18, s[22:23]
	s_and_saveexec_b64 s[28:29], s[12:13]
	s_cbranch_execz .LBB1370_1222
; %bb.1213:
	v_cmp_lt_u32_e64 s[12:13], v70, v100
	s_mov_b64 s[16:17], 0
	s_and_saveexec_b64 s[26:27], s[12:13]
	s_cbranch_execz .LBB1370_1221
; %bb.1214:
	s_mov_b64 s[12:13], 0
	s_and_saveexec_b64 s[34:35], s[8:9]
	s_cbranch_execz .LBB1370_1220
; %bb.1215:
	v_mul_lo_u32 v16, v26, v6
	v_mul_lo_u32 v20, v80, v7
	v_mad_u64_u32 v[18:19], s[12:13], v80, v6, 0
	v_add3_u32 v19, v19, v20, v16
	v_mul_lo_u32 v16, v24, v6
	v_mul_lo_u32 v22, v25, v7
	v_mad_u64_u32 v[20:21], s[12:13], v25, v6, 0
	v_add3_u32 v21, v21, v22, v16
	v_lshl_add_u64 v[18:19], v[18:19], 1, v[8:9]
	v_lshl_add_u64 v[20:21], v[20:21], 1, v[8:9]
	s_mov_b64 s[36:37], 0
	v_mov_b64_e32 v[22:23], v[6:7]
                                        ; implicit-def: $sgpr42_sgpr43
                                        ; implicit-def: $sgpr44_sgpr45
                                        ; implicit-def: $sgpr46_sgpr47
                                        ; implicit-def: $sgpr16_sgpr17
                                        ; implicit-def: $sgpr48_sgpr49
	s_branch .LBB1370_1217
.LBB1370_1216:                          ;   in Loop: Header=BB1370_1217 Depth=1
	s_or_b64 exec, exec, s[50:51]
	s_and_b64 s[12:13], exec, s[44:45]
	s_or_b64 s[36:37], s[12:13], s[36:37]
	s_andn2_b64 s[12:13], s[48:49], exec
	s_and_b64 s[18:19], s[46:47], exec
	s_or_b64 s[48:49], s[12:13], s[18:19]
	s_andn2_b64 s[12:13], s[42:43], exec
	s_and_b64 s[18:19], s[16:17], exec
	s_or_b64 s[42:43], s[12:13], s[18:19]
	s_andn2_b64 exec, exec, s[36:37]
	s_cbranch_execz .LBB1370_1219
.LBB1370_1217:                          ; =>This Inner Loop Header: Depth=1
	flat_load_ushort v16, v[20:21]
	flat_load_ushort v71, v[18:19]
	s_andn2_b64 s[50:51], s[16:17], exec
	s_andn2_b64 s[46:47], s[46:47], exec
	s_or_b64 s[44:45], s[44:45], exec
	s_waitcnt vmcnt(0) lgkmcnt(0)
	v_cmp_le_u16_e64 s[16:17], v16, v71
	v_cmp_lt_u16_e64 s[12:13], v16, v71
	s_and_b64 s[16:17], s[16:17], s[48:49]
	s_or_b64 s[52:53], s[12:13], s[16:17]
	s_and_b64 s[12:13], s[52:53], exec
	v_cmp_eq_u16_e64 s[18:19], v16, v71
	s_or_b64 s[16:17], s[50:51], s[12:13]
	s_and_saveexec_b64 s[50:51], s[18:19]
	s_cbranch_execz .LBB1370_1216
; %bb.1218:                             ;   in Loop: Header=BB1370_1217 Depth=1
	v_lshl_add_u64 v[22:23], v[22:23], 0, -1
	v_cmp_eq_u64_e64 s[12:13], 0, v[22:23]
	s_andn2_b64 s[18:19], s[46:47], exec
	s_and_b64 s[46:47], s[52:53], exec
	s_or_b64 s[46:47], s[18:19], s[46:47]
	s_andn2_b64 s[18:19], s[44:45], exec
	s_and_b64 s[12:13], s[12:13], exec
	v_lshl_add_u64 v[18:19], v[18:19], 0, 2
	v_lshl_add_u64 v[20:21], v[20:21], 0, 2
	s_andn2_b64 s[16:17], s[16:17], exec
	s_or_b64 s[44:45], s[18:19], s[12:13]
                                        ; implicit-def: $sgpr48_sgpr49
	s_branch .LBB1370_1216
.LBB1370_1219:
	s_or_b64 exec, exec, s[36:37]
	s_and_b64 s[12:13], s[42:43], exec
.LBB1370_1220:
	s_or_b64 exec, exec, s[34:35]
	s_xor_b64 s[12:13], s[12:13], -1
	s_and_b64 s[16:17], s[12:13], exec
.LBB1370_1221:
	s_or_b64 exec, exec, s[26:27]
	s_orn2_b64 s[26:27], s[16:17], exec
.LBB1370_1222:
	s_or_b64 exec, exec, s[28:29]
	v_cndmask_b32_e64 v16, v27, v70, s[26:27]
	v_cndmask_b32_e64 v18, v101, v100, s[26:27]
	v_add_u32_e32 v19, 1, v16
	v_add_u32_e32 v16, -1, v18
	v_min_u32_e32 v16, v19, v16
	v_lshl_add_u64 v[16:17], v[16:17], 3, v[66:67]
	flat_load_dwordx2 v[16:17], v[16:17]
	v_cndmask_b32_e64 v22, v19, v27, s[26:27]
	v_cndmask_b32_e64 v23, v70, v19, s[26:27]
	v_cmp_lt_u32_e64 s[12:13], v22, v101
	s_waitcnt vmcnt(0) lgkmcnt(0)
	v_cndmask_b32_e64 v27, v17, v24, s[26:27]
	v_cndmask_b32_e64 v81, v16, v25, s[26:27]
	;; [unrolled: 1-line block ×4, first 2 shown]
	s_and_saveexec_b64 s[28:29], s[12:13]
	s_cbranch_execz .LBB1370_1232
; %bb.1223:
	v_cmp_lt_u32_e64 s[12:13], v23, v100
	s_mov_b64 s[16:17], 0
	s_and_saveexec_b64 s[24:25], s[12:13]
	s_cbranch_execz .LBB1370_1231
; %bb.1224:
	s_mov_b64 s[12:13], 0
	s_and_saveexec_b64 s[34:35], s[8:9]
	s_cbranch_execz .LBB1370_1230
; %bb.1225:
	v_mul_lo_u32 v18, v82, v6
	v_mul_lo_u32 v19, v83, v7
	v_mad_u64_u32 v[16:17], s[12:13], v83, v6, 0
	v_add3_u32 v17, v17, v19, v18
	v_mul_lo_u32 v20, v27, v6
	v_mul_lo_u32 v21, v81, v7
	v_mad_u64_u32 v[18:19], s[12:13], v81, v6, 0
	v_add3_u32 v19, v19, v21, v20
	v_lshl_add_u64 v[16:17], v[16:17], 1, v[8:9]
	v_lshl_add_u64 v[18:19], v[18:19], 1, v[8:9]
	s_mov_b64 s[36:37], 0
	v_mov_b64_e32 v[20:21], v[6:7]
                                        ; implicit-def: $sgpr42_sgpr43
                                        ; implicit-def: $sgpr44_sgpr45
                                        ; implicit-def: $sgpr46_sgpr47
                                        ; implicit-def: $sgpr16_sgpr17
                                        ; implicit-def: $sgpr48_sgpr49
	s_branch .LBB1370_1227
.LBB1370_1226:                          ;   in Loop: Header=BB1370_1227 Depth=1
	s_or_b64 exec, exec, s[50:51]
	s_and_b64 s[12:13], exec, s[44:45]
	s_or_b64 s[36:37], s[12:13], s[36:37]
	s_andn2_b64 s[12:13], s[48:49], exec
	s_and_b64 s[18:19], s[46:47], exec
	s_or_b64 s[48:49], s[12:13], s[18:19]
	s_andn2_b64 s[12:13], s[42:43], exec
	s_and_b64 s[18:19], s[16:17], exec
	s_or_b64 s[42:43], s[12:13], s[18:19]
	s_andn2_b64 exec, exec, s[36:37]
	s_cbranch_execz .LBB1370_1229
.LBB1370_1227:                          ; =>This Inner Loop Header: Depth=1
	flat_load_ushort v70, v[18:19]
	flat_load_ushort v71, v[16:17]
	s_andn2_b64 s[50:51], s[16:17], exec
	s_andn2_b64 s[46:47], s[46:47], exec
	s_or_b64 s[44:45], s[44:45], exec
	s_waitcnt vmcnt(0) lgkmcnt(0)
	v_cmp_le_u16_e64 s[16:17], v70, v71
	v_cmp_lt_u16_e64 s[12:13], v70, v71
	s_and_b64 s[16:17], s[16:17], s[48:49]
	s_or_b64 s[52:53], s[12:13], s[16:17]
	s_and_b64 s[12:13], s[52:53], exec
	v_cmp_eq_u16_e64 s[18:19], v70, v71
	s_or_b64 s[16:17], s[50:51], s[12:13]
	s_and_saveexec_b64 s[50:51], s[18:19]
	s_cbranch_execz .LBB1370_1226
; %bb.1228:                             ;   in Loop: Header=BB1370_1227 Depth=1
	v_lshl_add_u64 v[20:21], v[20:21], 0, -1
	v_cmp_eq_u64_e64 s[12:13], 0, v[20:21]
	s_andn2_b64 s[18:19], s[46:47], exec
	s_and_b64 s[46:47], s[52:53], exec
	s_or_b64 s[46:47], s[18:19], s[46:47]
	s_andn2_b64 s[18:19], s[44:45], exec
	s_and_b64 s[12:13], s[12:13], exec
	v_lshl_add_u64 v[16:17], v[16:17], 0, 2
	v_lshl_add_u64 v[18:19], v[18:19], 0, 2
	s_andn2_b64 s[16:17], s[16:17], exec
	s_or_b64 s[44:45], s[18:19], s[12:13]
                                        ; implicit-def: $sgpr48_sgpr49
	s_branch .LBB1370_1226
.LBB1370_1229:
	s_or_b64 exec, exec, s[36:37]
	s_and_b64 s[12:13], s[42:43], exec
.LBB1370_1230:
	s_or_b64 exec, exec, s[34:35]
	s_xor_b64 s[12:13], s[12:13], -1
	s_and_b64 s[16:17], s[12:13], exec
.LBB1370_1231:
	s_or_b64 exec, exec, s[24:25]
	s_orn2_b64 s[24:25], s[16:17], exec
.LBB1370_1232:
	s_or_b64 exec, exec, s[28:29]
	v_cndmask_b32_e64 v16, v22, v23, s[24:25]
	v_cndmask_b32_e64 v17, v101, v100, s[24:25]
	v_add_u32_e32 v20, 1, v16
	v_add_u32_e32 v16, -1, v17
	v_min_u32_e32 v16, v20, v16
	v_mov_b32_e32 v17, 0
	v_lshl_add_u64 v[18:19], v[16:17], 3, v[66:67]
	flat_load_dwordx2 v[18:19], v[18:19]
	v_cndmask_b32_e64 v70, v20, v22, s[24:25]
	s_mov_b64 s[28:29], -1
	v_cndmask_b32_e64 v71, v23, v20, s[24:25]
	v_cmp_lt_u32_e64 s[12:13], v70, v101
	s_mov_b64 s[34:35], -1
	s_waitcnt vmcnt(0) lgkmcnt(0)
	v_cndmask_b32_e64 v84, v19, v27, s[24:25]
	v_cndmask_b32_e64 v85, v18, v81, s[24:25]
	;; [unrolled: 1-line block ×4, first 2 shown]
	s_and_saveexec_b64 s[36:37], s[12:13]
	s_cbranch_execz .LBB1370_1242
; %bb.1233:
	v_cmp_lt_u32_e64 s[12:13], v71, v100
	s_mov_b64 s[16:17], 0
	s_and_saveexec_b64 s[34:35], s[12:13]
	s_cbranch_execz .LBB1370_1241
; %bb.1234:
	s_mov_b64 s[12:13], -1
	s_and_saveexec_b64 s[42:43], s[8:9]
	s_cbranch_execz .LBB1370_1240
; %bb.1235:
	v_mul_lo_u32 v16, v86, v6
	v_mul_lo_u32 v20, v87, v7
	v_mad_u64_u32 v[18:19], s[12:13], v87, v6, 0
	v_add3_u32 v19, v19, v20, v16
	v_mul_lo_u32 v16, v84, v6
	v_mul_lo_u32 v22, v85, v7
	v_mad_u64_u32 v[20:21], s[12:13], v85, v6, 0
	v_add3_u32 v21, v21, v22, v16
	v_lshl_add_u64 v[18:19], v[18:19], 1, v[8:9]
	v_lshl_add_u64 v[20:21], v[20:21], 1, v[8:9]
	s_mov_b64 s[44:45], 0
	v_mov_b64_e32 v[22:23], v[6:7]
                                        ; implicit-def: $sgpr46_sgpr47
                                        ; implicit-def: $sgpr48_sgpr49
                                        ; implicit-def: $sgpr16_sgpr17
                                        ; implicit-def: $sgpr50_sgpr51
                                        ; implicit-def: $sgpr52_sgpr53
	s_branch .LBB1370_1237
.LBB1370_1236:                          ;   in Loop: Header=BB1370_1237 Depth=1
	s_or_b64 exec, exec, s[54:55]
	s_and_b64 s[12:13], exec, s[48:49]
	s_or_b64 s[44:45], s[12:13], s[44:45]
	s_andn2_b64 s[12:13], s[52:53], exec
	s_and_b64 s[18:19], s[50:51], exec
	s_or_b64 s[52:53], s[12:13], s[18:19]
	s_andn2_b64 s[12:13], s[46:47], exec
	s_and_b64 s[18:19], s[16:17], exec
	s_or_b64 s[46:47], s[12:13], s[18:19]
	s_andn2_b64 exec, exec, s[44:45]
	s_cbranch_execz .LBB1370_1239
.LBB1370_1237:                          ; =>This Inner Loop Header: Depth=1
	flat_load_ushort v16, v[20:21]
	flat_load_ushort v96, v[18:19]
	s_andn2_b64 s[54:55], s[16:17], exec
	s_andn2_b64 s[50:51], s[50:51], exec
	s_or_b64 s[48:49], s[48:49], exec
	s_waitcnt vmcnt(0) lgkmcnt(0)
	v_cmp_le_u16_e64 s[16:17], v16, v96
	v_cmp_lt_u16_e64 s[12:13], v16, v96
	s_and_b64 s[16:17], s[16:17], s[52:53]
	s_or_b64 s[56:57], s[12:13], s[16:17]
	s_and_b64 s[12:13], s[56:57], exec
	v_cmp_eq_u16_e64 s[18:19], v16, v96
	s_or_b64 s[16:17], s[54:55], s[12:13]
	s_and_saveexec_b64 s[54:55], s[18:19]
	s_cbranch_execz .LBB1370_1236
; %bb.1238:                             ;   in Loop: Header=BB1370_1237 Depth=1
	v_lshl_add_u64 v[22:23], v[22:23], 0, -1
	v_cmp_eq_u64_e64 s[12:13], 0, v[22:23]
	s_andn2_b64 s[18:19], s[50:51], exec
	s_and_b64 s[50:51], s[56:57], exec
	s_or_b64 s[50:51], s[18:19], s[50:51]
	s_andn2_b64 s[18:19], s[48:49], exec
	s_and_b64 s[12:13], s[12:13], exec
	v_lshl_add_u64 v[18:19], v[18:19], 0, 2
	v_lshl_add_u64 v[20:21], v[20:21], 0, 2
	s_andn2_b64 s[16:17], s[16:17], exec
	s_or_b64 s[48:49], s[18:19], s[12:13]
                                        ; implicit-def: $sgpr52_sgpr53
	s_branch .LBB1370_1236
.LBB1370_1239:
	s_or_b64 exec, exec, s[44:45]
	s_xor_b64 s[12:13], s[46:47], -1
	s_orn2_b64 s[12:13], s[12:13], exec
.LBB1370_1240:
	s_or_b64 exec, exec, s[42:43]
	s_and_b64 s[16:17], s[12:13], exec
.LBB1370_1241:
	s_or_b64 exec, exec, s[34:35]
	s_orn2_b64 s[34:35], s[16:17], exec
.LBB1370_1242:
	s_or_b64 exec, exec, s[36:37]
	v_cndmask_b32_e64 v16, v70, v71, s[34:35]
	v_cndmask_b32_e64 v18, v101, v100, s[34:35]
	v_add_u32_e32 v19, 1, v16
	v_add_u32_e32 v16, -1, v18
	v_min_u32_e32 v16, v19, v16
	v_lshl_add_u64 v[16:17], v[16:17], 3, v[66:67]
	flat_load_dwordx2 v[16:17], v[16:17]
	v_cndmask_b32_e64 v22, v19, v70, s[34:35]
	v_cndmask_b32_e64 v23, v71, v19, s[34:35]
	v_cmp_lt_u32_e64 s[12:13], v22, v101
	s_waitcnt vmcnt(0) lgkmcnt(0)
	v_cndmask_b32_e64 v96, v17, v84, s[34:35]
	v_cndmask_b32_e64 v97, v16, v85, s[34:35]
	;; [unrolled: 1-line block ×4, first 2 shown]
	s_and_saveexec_b64 s[36:37], s[12:13]
	s_cbranch_execz .LBB1370_1252
; %bb.1243:
	v_cmp_lt_u32_e64 s[12:13], v23, v100
	s_mov_b64 s[16:17], 0
	s_and_saveexec_b64 s[28:29], s[12:13]
	s_cbranch_execz .LBB1370_1251
; %bb.1244:
	s_mov_b64 s[12:13], -1
	s_and_saveexec_b64 s[42:43], s[8:9]
	s_cbranch_execz .LBB1370_1250
; %bb.1245:
	v_mul_lo_u32 v18, v98, v6
	v_mul_lo_u32 v19, v99, v7
	v_mad_u64_u32 v[16:17], s[12:13], v99, v6, 0
	v_add3_u32 v17, v17, v19, v18
	v_mul_lo_u32 v20, v96, v6
	v_mul_lo_u32 v21, v97, v7
	v_mad_u64_u32 v[18:19], s[12:13], v97, v6, 0
	v_add3_u32 v19, v19, v21, v20
	v_lshl_add_u64 v[16:17], v[16:17], 1, v[8:9]
	v_lshl_add_u64 v[18:19], v[18:19], 1, v[8:9]
	s_mov_b64 s[44:45], 0
	v_mov_b64_e32 v[20:21], v[6:7]
                                        ; implicit-def: $sgpr46_sgpr47
                                        ; implicit-def: $sgpr48_sgpr49
                                        ; implicit-def: $sgpr16_sgpr17
                                        ; implicit-def: $sgpr50_sgpr51
                                        ; implicit-def: $sgpr52_sgpr53
	s_branch .LBB1370_1247
.LBB1370_1246:                          ;   in Loop: Header=BB1370_1247 Depth=1
	s_or_b64 exec, exec, s[54:55]
	s_and_b64 s[12:13], exec, s[48:49]
	s_or_b64 s[44:45], s[12:13], s[44:45]
	s_andn2_b64 s[12:13], s[52:53], exec
	s_and_b64 s[18:19], s[50:51], exec
	s_or_b64 s[52:53], s[12:13], s[18:19]
	s_andn2_b64 s[12:13], s[46:47], exec
	s_and_b64 s[18:19], s[16:17], exec
	s_or_b64 s[46:47], s[12:13], s[18:19]
	s_andn2_b64 exec, exec, s[44:45]
	s_cbranch_execz .LBB1370_1249
.LBB1370_1247:                          ; =>This Inner Loop Header: Depth=1
	flat_load_ushort v70, v[18:19]
	flat_load_ushort v71, v[16:17]
	s_andn2_b64 s[54:55], s[16:17], exec
	s_andn2_b64 s[50:51], s[50:51], exec
	s_or_b64 s[48:49], s[48:49], exec
	s_waitcnt vmcnt(0) lgkmcnt(0)
	v_cmp_le_u16_e64 s[16:17], v70, v71
	v_cmp_lt_u16_e64 s[12:13], v70, v71
	s_and_b64 s[16:17], s[16:17], s[52:53]
	s_or_b64 s[56:57], s[12:13], s[16:17]
	s_and_b64 s[12:13], s[56:57], exec
	v_cmp_eq_u16_e64 s[18:19], v70, v71
	s_or_b64 s[16:17], s[54:55], s[12:13]
	s_and_saveexec_b64 s[54:55], s[18:19]
	s_cbranch_execz .LBB1370_1246
; %bb.1248:                             ;   in Loop: Header=BB1370_1247 Depth=1
	v_lshl_add_u64 v[20:21], v[20:21], 0, -1
	v_cmp_eq_u64_e64 s[12:13], 0, v[20:21]
	s_andn2_b64 s[18:19], s[50:51], exec
	s_and_b64 s[50:51], s[56:57], exec
	s_or_b64 s[50:51], s[18:19], s[50:51]
	s_andn2_b64 s[18:19], s[48:49], exec
	s_and_b64 s[12:13], s[12:13], exec
	v_lshl_add_u64 v[16:17], v[16:17], 0, 2
	v_lshl_add_u64 v[18:19], v[18:19], 0, 2
	s_andn2_b64 s[16:17], s[16:17], exec
	s_or_b64 s[48:49], s[18:19], s[12:13]
                                        ; implicit-def: $sgpr52_sgpr53
	s_branch .LBB1370_1246
.LBB1370_1249:
	s_or_b64 exec, exec, s[44:45]
	s_xor_b64 s[12:13], s[46:47], -1
	s_orn2_b64 s[12:13], s[12:13], exec
.LBB1370_1250:
	s_or_b64 exec, exec, s[42:43]
	s_and_b64 s[16:17], s[12:13], exec
.LBB1370_1251:
	s_or_b64 exec, exec, s[28:29]
	s_orn2_b64 s[28:29], s[16:17], exec
.LBB1370_1252:
	s_or_b64 exec, exec, s[36:37]
	v_cndmask_b32_e64 v16, v22, v23, s[28:29]
	v_cndmask_b32_e64 v17, v101, v100, s[28:29]
	v_add_u32_e32 v20, 1, v16
	v_add_u32_e32 v16, -1, v17
	v_min_u32_e32 v16, v20, v16
	v_mov_b32_e32 v17, 0
	v_lshl_add_u64 v[18:19], v[16:17], 3, v[66:67]
	flat_load_dwordx2 v[18:19], v[18:19]
	v_cndmask_b32_e64 v70, v20, v22, s[28:29]
	s_mov_b64 s[36:37], -1
	v_cndmask_b32_e64 v71, v23, v20, s[28:29]
	v_cmp_lt_u32_e64 s[12:13], v70, v101
	s_mov_b64 s[42:43], -1
	s_waitcnt vmcnt(0) lgkmcnt(0)
	v_cndmask_b32_e64 v102, v19, v96, s[28:29]
	v_cndmask_b32_e64 v103, v18, v97, s[28:29]
	;; [unrolled: 1-line block ×4, first 2 shown]
	s_and_saveexec_b64 s[44:45], s[12:13]
	s_cbranch_execz .LBB1370_1262
; %bb.1253:
	v_cmp_lt_u32_e64 s[12:13], v71, v100
	s_mov_b64 s[16:17], 0
	s_and_saveexec_b64 s[42:43], s[12:13]
	s_cbranch_execz .LBB1370_1261
; %bb.1254:
	s_mov_b64 s[12:13], -1
	s_and_saveexec_b64 s[46:47], s[8:9]
	s_cbranch_execz .LBB1370_1260
; %bb.1255:
	v_mul_lo_u32 v16, v112, v6
	v_mul_lo_u32 v20, v113, v7
	v_mad_u64_u32 v[18:19], s[12:13], v113, v6, 0
	v_add3_u32 v19, v19, v20, v16
	v_mul_lo_u32 v16, v102, v6
	v_mul_lo_u32 v22, v103, v7
	v_mad_u64_u32 v[20:21], s[12:13], v103, v6, 0
	v_add3_u32 v21, v21, v22, v16
	v_lshl_add_u64 v[18:19], v[18:19], 1, v[8:9]
	v_lshl_add_u64 v[20:21], v[20:21], 1, v[8:9]
	s_mov_b64 s[48:49], 0
	v_mov_b64_e32 v[22:23], v[6:7]
                                        ; implicit-def: $sgpr50_sgpr51
                                        ; implicit-def: $sgpr52_sgpr53
                                        ; implicit-def: $sgpr16_sgpr17
                                        ; implicit-def: $sgpr54_sgpr55
                                        ; implicit-def: $sgpr56_sgpr57
	s_branch .LBB1370_1257
.LBB1370_1256:                          ;   in Loop: Header=BB1370_1257 Depth=1
	s_or_b64 exec, exec, s[58:59]
	s_and_b64 s[12:13], exec, s[52:53]
	s_or_b64 s[48:49], s[12:13], s[48:49]
	s_andn2_b64 s[12:13], s[56:57], exec
	s_and_b64 s[18:19], s[54:55], exec
	s_or_b64 s[56:57], s[12:13], s[18:19]
	s_andn2_b64 s[12:13], s[50:51], exec
	s_and_b64 s[18:19], s[16:17], exec
	s_or_b64 s[50:51], s[12:13], s[18:19]
	s_andn2_b64 exec, exec, s[48:49]
	s_cbranch_execz .LBB1370_1259
.LBB1370_1257:                          ; =>This Inner Loop Header: Depth=1
	flat_load_ushort v16, v[20:21]
	flat_load_ushort v114, v[18:19]
	s_andn2_b64 s[58:59], s[16:17], exec
	s_andn2_b64 s[54:55], s[54:55], exec
	s_or_b64 s[52:53], s[52:53], exec
	s_waitcnt vmcnt(0) lgkmcnt(0)
	v_cmp_le_u16_e64 s[16:17], v16, v114
	v_cmp_lt_u16_e64 s[12:13], v16, v114
	s_and_b64 s[16:17], s[16:17], s[56:57]
	s_or_b64 s[60:61], s[12:13], s[16:17]
	s_and_b64 s[12:13], s[60:61], exec
	v_cmp_eq_u16_e64 s[18:19], v16, v114
	s_or_b64 s[16:17], s[58:59], s[12:13]
	s_and_saveexec_b64 s[58:59], s[18:19]
	s_cbranch_execz .LBB1370_1256
; %bb.1258:                             ;   in Loop: Header=BB1370_1257 Depth=1
	v_lshl_add_u64 v[22:23], v[22:23], 0, -1
	v_cmp_eq_u64_e64 s[12:13], 0, v[22:23]
	s_andn2_b64 s[18:19], s[54:55], exec
	s_and_b64 s[54:55], s[60:61], exec
	s_or_b64 s[54:55], s[18:19], s[54:55]
	s_andn2_b64 s[18:19], s[52:53], exec
	s_and_b64 s[12:13], s[12:13], exec
	v_lshl_add_u64 v[18:19], v[18:19], 0, 2
	v_lshl_add_u64 v[20:21], v[20:21], 0, 2
	s_andn2_b64 s[16:17], s[16:17], exec
	s_or_b64 s[52:53], s[18:19], s[12:13]
                                        ; implicit-def: $sgpr56_sgpr57
	s_branch .LBB1370_1256
.LBB1370_1259:
	s_or_b64 exec, exec, s[48:49]
	s_xor_b64 s[12:13], s[50:51], -1
	s_orn2_b64 s[12:13], s[12:13], exec
.LBB1370_1260:
	s_or_b64 exec, exec, s[46:47]
	s_and_b64 s[16:17], s[12:13], exec
.LBB1370_1261:
	s_or_b64 exec, exec, s[42:43]
	s_orn2_b64 s[42:43], s[16:17], exec
.LBB1370_1262:
	s_or_b64 exec, exec, s[44:45]
	v_cndmask_b32_e64 v16, v70, v71, s[42:43]
	v_cndmask_b32_e64 v18, v101, v100, s[42:43]
	v_add_u32_e32 v19, 1, v16
	v_add_u32_e32 v16, -1, v18
	v_min_u32_e32 v16, v19, v16
	v_lshl_add_u64 v[16:17], v[16:17], 3, v[66:67]
	flat_load_dwordx2 v[16:17], v[16:17]
	v_cndmask_b32_e64 v117, v19, v70, s[42:43]
	v_cndmask_b32_e64 v114, v71, v19, s[42:43]
	v_cmp_lt_u32_e64 s[12:13], v117, v101
	s_waitcnt vmcnt(0) lgkmcnt(0)
	v_cndmask_b32_e64 v115, v17, v102, s[42:43]
	v_cndmask_b32_e64 v116, v16, v103, s[42:43]
	;; [unrolled: 1-line block ×4, first 2 shown]
	s_and_saveexec_b64 s[44:45], s[12:13]
	s_cbranch_execz .LBB1370_1272
; %bb.1263:
	v_cmp_lt_u32_e64 s[12:13], v114, v100
	s_mov_b64 s[16:17], 0
	s_and_saveexec_b64 s[36:37], s[12:13]
	s_cbranch_execz .LBB1370_1271
; %bb.1264:
	s_mov_b64 s[12:13], -1
	s_and_saveexec_b64 s[46:47], s[8:9]
	s_cbranch_execz .LBB1370_1270
; %bb.1265:
	v_mul_lo_u32 v18, v118, v6
	v_mul_lo_u32 v19, v119, v7
	v_mad_u64_u32 v[16:17], s[12:13], v119, v6, 0
	v_add3_u32 v17, v17, v19, v18
	v_mul_lo_u32 v20, v115, v6
	v_mul_lo_u32 v21, v116, v7
	v_mad_u64_u32 v[18:19], s[12:13], v116, v6, 0
	v_add3_u32 v19, v19, v21, v20
	v_lshl_add_u64 v[16:17], v[16:17], 1, v[8:9]
	v_lshl_add_u64 v[18:19], v[18:19], 1, v[8:9]
	s_mov_b64 s[48:49], 0
	v_mov_b64_e32 v[20:21], v[6:7]
                                        ; implicit-def: $sgpr50_sgpr51
                                        ; implicit-def: $sgpr52_sgpr53
                                        ; implicit-def: $sgpr16_sgpr17
                                        ; implicit-def: $sgpr54_sgpr55
                                        ; implicit-def: $sgpr56_sgpr57
	s_branch .LBB1370_1267
.LBB1370_1266:                          ;   in Loop: Header=BB1370_1267 Depth=1
	s_or_b64 exec, exec, s[58:59]
	s_and_b64 s[12:13], exec, s[52:53]
	s_or_b64 s[48:49], s[12:13], s[48:49]
	s_andn2_b64 s[12:13], s[56:57], exec
	s_and_b64 s[18:19], s[54:55], exec
	s_or_b64 s[56:57], s[12:13], s[18:19]
	s_andn2_b64 s[12:13], s[50:51], exec
	s_and_b64 s[18:19], s[16:17], exec
	s_or_b64 s[50:51], s[12:13], s[18:19]
	s_andn2_b64 exec, exec, s[48:49]
	s_cbranch_execz .LBB1370_1269
.LBB1370_1267:                          ; =>This Inner Loop Header: Depth=1
	flat_load_ushort v22, v[18:19]
	flat_load_ushort v23, v[16:17]
	s_andn2_b64 s[58:59], s[16:17], exec
	s_andn2_b64 s[54:55], s[54:55], exec
	s_or_b64 s[52:53], s[52:53], exec
	s_waitcnt vmcnt(0) lgkmcnt(0)
	v_cmp_le_u16_e64 s[16:17], v22, v23
	v_cmp_lt_u16_e64 s[12:13], v22, v23
	s_and_b64 s[16:17], s[16:17], s[56:57]
	s_or_b64 s[60:61], s[12:13], s[16:17]
	s_and_b64 s[12:13], s[60:61], exec
	v_cmp_eq_u16_e64 s[18:19], v22, v23
	s_or_b64 s[16:17], s[58:59], s[12:13]
	s_and_saveexec_b64 s[58:59], s[18:19]
	s_cbranch_execz .LBB1370_1266
; %bb.1268:                             ;   in Loop: Header=BB1370_1267 Depth=1
	v_lshl_add_u64 v[20:21], v[20:21], 0, -1
	v_cmp_eq_u64_e64 s[12:13], 0, v[20:21]
	s_andn2_b64 s[18:19], s[54:55], exec
	s_and_b64 s[54:55], s[60:61], exec
	s_or_b64 s[54:55], s[18:19], s[54:55]
	s_andn2_b64 s[18:19], s[52:53], exec
	s_and_b64 s[12:13], s[12:13], exec
	v_lshl_add_u64 v[16:17], v[16:17], 0, 2
	v_lshl_add_u64 v[18:19], v[18:19], 0, 2
	s_andn2_b64 s[16:17], s[16:17], exec
	s_or_b64 s[52:53], s[18:19], s[12:13]
                                        ; implicit-def: $sgpr56_sgpr57
	s_branch .LBB1370_1266
.LBB1370_1269:
	s_or_b64 exec, exec, s[48:49]
	s_xor_b64 s[12:13], s[50:51], -1
	s_orn2_b64 s[12:13], s[12:13], exec
.LBB1370_1270:
	s_or_b64 exec, exec, s[46:47]
	s_and_b64 s[16:17], s[12:13], exec
.LBB1370_1271:
	s_or_b64 exec, exec, s[36:37]
	s_orn2_b64 s[36:37], s[16:17], exec
.LBB1370_1272:
	s_or_b64 exec, exec, s[44:45]
	v_cndmask_b32_e64 v16, v117, v114, s[36:37]
	v_cndmask_b32_e64 v17, v101, v100, s[36:37]
	v_add_u32_e32 v128, 1, v16
	v_add_u32_e32 v16, -1, v17
	v_min_u32_e32 v16, v128, v16
	v_mov_b32_e32 v17, 0
	v_lshl_add_u64 v[16:17], v[16:17], 3, v[66:67]
	flat_load_dwordx2 v[70:71], v[16:17]
	v_cndmask_b32_e64 v21, v27, v82, s[24:25]
	v_cndmask_b32_e64 v27, v24, v26, s[26:27]
	;; [unrolled: 1-line block ×15, first 2 shown]
	v_cmp_lt_u32_e64 s[12:13], v80, v101
	s_waitcnt vmcnt(0) lgkmcnt(0)
	v_cndmask_b32_e64 v15, v118, v71, s[36:37]
	v_cndmask_b32_e64 v14, v119, v70, s[36:37]
	s_and_saveexec_b64 s[22:23], s[12:13]
	s_cbranch_execz .LBB1370_1282
; %bb.1273:
	v_cndmask_b32_e64 v80, v114, v128, s[36:37]
	v_cndmask_b32_e64 v71, v71, v115, s[36:37]
	;; [unrolled: 1-line block ×3, first 2 shown]
	v_cmp_lt_u32_e64 s[12:13], v80, v100
	s_and_saveexec_b64 s[24:25], s[12:13]
	s_cbranch_execz .LBB1370_1281
; %bb.1274:
	s_and_saveexec_b64 s[26:27], s[8:9]
	s_cbranch_execz .LBB1370_1280
; %bb.1275:
	v_mul_lo_u32 v82, v15, v6
	v_mul_lo_u32 v83, v14, v7
	v_mad_u64_u32 v[80:81], s[12:13], v14, v6, 0
	v_add3_u32 v81, v81, v83, v82
	v_mul_lo_u32 v84, v71, v6
	v_mul_lo_u32 v85, v70, v7
	v_mad_u64_u32 v[82:83], s[12:13], v70, v6, 0
	v_add3_u32 v83, v83, v85, v84
	v_lshl_add_u64 v[80:81], v[80:81], 1, v[8:9]
	v_lshl_add_u64 v[82:83], v[82:83], 1, v[8:9]
	s_mov_b64 s[28:29], 0
	v_mov_b64_e32 v[84:85], v[6:7]
                                        ; implicit-def: $sgpr34_sgpr35
                                        ; implicit-def: $sgpr36_sgpr37
                                        ; implicit-def: $sgpr16_sgpr17
                                        ; implicit-def: $sgpr42_sgpr43
                                        ; implicit-def: $sgpr44_sgpr45
	s_branch .LBB1370_1277
.LBB1370_1276:                          ;   in Loop: Header=BB1370_1277 Depth=1
	s_or_b64 exec, exec, s[46:47]
	s_and_b64 s[12:13], exec, s[36:37]
	s_or_b64 s[28:29], s[12:13], s[28:29]
	s_andn2_b64 s[12:13], s[44:45], exec
	s_and_b64 s[18:19], s[42:43], exec
	s_or_b64 s[44:45], s[12:13], s[18:19]
	s_andn2_b64 s[12:13], s[34:35], exec
	s_and_b64 s[18:19], s[16:17], exec
	s_or_b64 s[34:35], s[12:13], s[18:19]
	s_andn2_b64 exec, exec, s[28:29]
	s_cbranch_execz .LBB1370_1279
.LBB1370_1277:                          ; =>This Inner Loop Header: Depth=1
	flat_load_ushort v86, v[82:83]
	flat_load_ushort v87, v[80:81]
	s_andn2_b64 s[46:47], s[16:17], exec
	s_andn2_b64 s[42:43], s[42:43], exec
	s_or_b64 s[36:37], s[36:37], exec
	s_waitcnt vmcnt(0) lgkmcnt(0)
	v_cmp_le_u16_e64 s[16:17], v86, v87
	v_cmp_lt_u16_e64 s[12:13], v86, v87
	s_and_b64 s[16:17], s[16:17], s[44:45]
	s_or_b64 s[48:49], s[12:13], s[16:17]
	s_and_b64 s[12:13], s[48:49], exec
	v_cmp_eq_u16_e64 s[18:19], v86, v87
	s_or_b64 s[16:17], s[46:47], s[12:13]
	s_and_saveexec_b64 s[46:47], s[18:19]
	s_cbranch_execz .LBB1370_1276
; %bb.1278:                             ;   in Loop: Header=BB1370_1277 Depth=1
	v_lshl_add_u64 v[84:85], v[84:85], 0, -1
	v_cmp_eq_u64_e64 s[12:13], 0, v[84:85]
	s_andn2_b64 s[18:19], s[42:43], exec
	s_and_b64 s[42:43], s[48:49], exec
	s_or_b64 s[42:43], s[18:19], s[42:43]
	s_andn2_b64 s[18:19], s[36:37], exec
	s_and_b64 s[12:13], s[12:13], exec
	v_lshl_add_u64 v[80:81], v[80:81], 0, 2
	v_lshl_add_u64 v[82:83], v[82:83], 0, 2
	s_andn2_b64 s[16:17], s[16:17], exec
	s_or_b64 s[36:37], s[18:19], s[12:13]
                                        ; implicit-def: $sgpr44_sgpr45
	s_branch .LBB1370_1276
.LBB1370_1279:
	s_or_b64 exec, exec, s[28:29]
	v_cndmask_b32_e64 v15, v15, v71, s[34:35]
	v_cndmask_b32_e64 v14, v14, v70, s[34:35]
.LBB1370_1280:
	s_or_b64 exec, exec, s[26:27]
	v_mov_b64_e32 v[70:71], v[14:15]
.LBB1370_1281:
	s_or_b64 exec, exec, s[24:25]
	v_mov_b64_e32 v[14:15], v[70:71]
.LBB1370_1282:
	s_or_b64 exec, exec, s[22:23]
.LBB1370_1283:
	s_or_b64 exec, exec, s[20:21]
	v_and_b32_e32 v100, 0x380, v31
	; wave barrier
	flat_store_dwordx4 v[68:69], v[24:27]
	flat_store_dwordx4 v[68:69], v[20:23] offset:16
	flat_store_dwordx4 v[68:69], v[16:19] offset:32
	;; [unrolled: 1-line block ×3, first 2 shown]
	v_or_b32_e32 v68, 64, v100
	v_min_u32_e32 v98, v1, v68
	v_add_u32_e32 v68, 64, v98
	v_min_u32_e32 v99, v1, v68
	v_and_b32_e32 v31, 0x78, v31
	v_min_u32_e32 v1, v1, v31
	v_sub_u32_e32 v68, v98, v100
	v_sub_u32_e32 v31, v99, v98
	v_sub_u32_e64 v31, v1, v31 clamp
	v_min_u32_e32 v101, v1, v68
	v_cmp_lt_u32_e64 s[12:13], v31, v101
	; wave barrier
	s_and_saveexec_b64 s[20:21], s[12:13]
	s_cbranch_execz .LBB1370_1293
; %bb.1284:
	v_lshlrev_b32_e32 v68, 3, v100
	v_mov_b32_e32 v69, 0
	v_lshl_add_u64 v[70:71], v[66:67], 0, v[68:69]
	v_lshlrev_b32_e32 v68, 3, v98
	v_lshl_add_u64 v[80:81], v[66:67], 0, v[68:69]
	s_mov_b64 s[22:23], 0
	s_branch .LBB1370_1287
.LBB1370_1285:                          ;   in Loop: Header=BB1370_1287 Depth=1
	s_or_b64 exec, exec, s[26:27]
	s_and_b64 s[12:13], s[28:29], exec
.LBB1370_1286:                          ;   in Loop: Header=BB1370_1287 Depth=1
	s_or_b64 exec, exec, s[24:25]
	v_add_u32_e32 v68, 1, v82
	v_cndmask_b32_e64 v101, v101, v82, s[12:13]
	v_cndmask_b32_e64 v31, v68, v31, s[12:13]
	v_cmp_ge_u32_e64 s[12:13], v31, v101
	s_or_b64 s[22:23], s[12:13], s[22:23]
	s_andn2_b64 exec, exec, s[22:23]
	s_cbranch_execz .LBB1370_1292
.LBB1370_1287:                          ; =>This Loop Header: Depth=1
                                        ;     Child Loop BB1370_1290 Depth 2
	v_add_u32_e32 v68, v101, v31
	v_lshrrev_b32_e32 v82, 1, v68
	s_mov_b64 s[12:13], 0
	s_and_saveexec_b64 s[24:25], s[8:9]
	s_cbranch_execz .LBB1370_1286
; %bb.1288:                             ;   in Loop: Header=BB1370_1287 Depth=1
	v_mov_b32_e32 v83, v69
	v_xad_u32 v68, v82, -1, v1
	v_lshl_add_u64 v[84:85], v[82:83], 3, v[70:71]
	v_lshl_add_u64 v[86:87], v[68:69], 3, v[80:81]
	flat_load_dwordx2 v[84:85], v[84:85]
	s_mov_b64 s[26:27], 0
	flat_load_dwordx2 v[86:87], v[86:87]
                                        ; implicit-def: $sgpr28_sgpr29
                                        ; implicit-def: $sgpr34_sgpr35
                                        ; implicit-def: $sgpr36_sgpr37
                                        ; implicit-def: $sgpr16_sgpr17
                                        ; implicit-def: $sgpr42_sgpr43
	s_waitcnt vmcnt(0) lgkmcnt(0)
	v_mul_lo_u32 v68, v64, v85
	v_mul_lo_u32 v83, v65, v84
	v_mad_u64_u32 v[84:85], s[12:13], v64, v84, v[8:9]
	v_mul_lo_u32 v96, v64, v87
	v_mul_lo_u32 v97, v65, v86
	v_mad_u64_u32 v[86:87], s[12:13], v64, v86, v[8:9]
	v_add3_u32 v85, v83, v85, v68
	v_add3_u32 v87, v97, v87, v96
	v_mov_b64_e32 v[96:97], v[6:7]
	s_branch .LBB1370_1290
.LBB1370_1289:                          ;   in Loop: Header=BB1370_1290 Depth=2
	s_or_b64 exec, exec, s[44:45]
	s_and_b64 s[12:13], exec, s[34:35]
	s_or_b64 s[26:27], s[12:13], s[26:27]
	s_andn2_b64 s[12:13], s[42:43], exec
	s_and_b64 s[18:19], s[36:37], exec
	s_or_b64 s[42:43], s[12:13], s[18:19]
	s_andn2_b64 s[12:13], s[28:29], exec
	s_and_b64 s[18:19], s[16:17], exec
	s_or_b64 s[28:29], s[12:13], s[18:19]
	s_andn2_b64 exec, exec, s[26:27]
	s_cbranch_execz .LBB1370_1285
.LBB1370_1290:                          ;   Parent Loop BB1370_1287 Depth=1
                                        ; =>  This Inner Loop Header: Depth=2
	flat_load_ushort v68, v[86:87]
	flat_load_ushort v83, v[84:85]
	s_andn2_b64 s[44:45], s[16:17], exec
	s_andn2_b64 s[36:37], s[36:37], exec
	s_or_b64 s[34:35], s[34:35], exec
	s_waitcnt vmcnt(0) lgkmcnt(0)
	v_cmp_le_u16_e64 s[16:17], v68, v83
	v_cmp_lt_u16_e64 s[12:13], v68, v83
	s_and_b64 s[16:17], s[16:17], s[42:43]
	s_or_b64 s[46:47], s[12:13], s[16:17]
	s_and_b64 s[12:13], s[46:47], exec
	v_cmp_eq_u16_e64 s[18:19], v68, v83
	s_or_b64 s[16:17], s[44:45], s[12:13]
	s_and_saveexec_b64 s[44:45], s[18:19]
	s_cbranch_execz .LBB1370_1289
; %bb.1291:                             ;   in Loop: Header=BB1370_1290 Depth=2
	v_lshl_add_u64 v[96:97], v[96:97], 0, -1
	v_cmp_eq_u64_e64 s[12:13], 0, v[96:97]
	s_andn2_b64 s[18:19], s[36:37], exec
	s_and_b64 s[36:37], s[46:47], exec
	s_or_b64 s[36:37], s[18:19], s[36:37]
	s_andn2_b64 s[18:19], s[34:35], exec
	s_and_b64 s[12:13], s[12:13], exec
	v_lshl_add_u64 v[84:85], v[84:85], 0, 2
	v_lshl_add_u64 v[86:87], v[86:87], 0, 2
	s_andn2_b64 s[16:17], s[16:17], exec
	s_or_b64 s[34:35], s[18:19], s[12:13]
                                        ; implicit-def: $sgpr42_sgpr43
	s_branch .LBB1370_1289
.LBB1370_1292:
	s_or_b64 exec, exec, s[22:23]
.LBB1370_1293:
	s_or_b64 exec, exec, s[20:21]
	v_add_u32_e32 v1, v98, v1
	v_add_u32_e32 v68, v31, v100
	v_sub_u32_e32 v70, v1, v31
	v_cmp_le_u32_e64 s[12:13], v68, v98
	v_cmp_le_u32_e64 s[16:17], v70, v99
	s_or_b64 s[12:13], s[12:13], s[16:17]
	s_and_saveexec_b64 s[20:21], s[12:13]
	s_cbranch_execz .LBB1370_1377
; %bb.1294:
	v_cmp_ge_u32_e64 s[16:17], v68, v98
	v_cmp_lt_u32_e64 s[12:13], v68, v98
                                        ; implicit-def: $vgpr12_vgpr13
	s_and_saveexec_b64 s[18:19], s[12:13]
	s_cbranch_execz .LBB1370_1296
; %bb.1295:
	v_mov_b32_e32 v69, 0
	v_lshl_add_u64 v[12:13], v[68:69], 3, v[66:67]
	flat_load_dwordx2 v[12:13], v[12:13]
.LBB1370_1296:
	s_or_b64 exec, exec, s[18:19]
	v_cmp_ge_u32_e64 s[22:23], v70, v99
	v_cmp_lt_u32_e64 s[12:13], v70, v99
                                        ; implicit-def: $vgpr14_vgpr15
	s_and_saveexec_b64 s[18:19], s[12:13]
	s_cbranch_execz .LBB1370_1298
; %bb.1297:
	v_mov_b32_e32 v71, 0
	v_lshl_add_u64 v[14:15], v[70:71], 3, v[66:67]
	flat_load_dwordx2 v[14:15], v[14:15]
.LBB1370_1298:
	s_or_b64 exec, exec, s[18:19]
	s_or_b64 s[12:13], s[16:17], s[22:23]
	s_xor_b64 s[12:13], s[12:13], -1
	s_and_saveexec_b64 s[24:25], s[12:13]
	s_cbranch_execz .LBB1370_1306
; %bb.1299:
	s_mov_b64 s[12:13], 0
	s_and_saveexec_b64 s[26:27], s[8:9]
	s_cbranch_execz .LBB1370_1305
; %bb.1300:
	s_waitcnt vmcnt(0) lgkmcnt(0)
	v_mul_lo_u32 v1, v13, v6
	v_mul_lo_u32 v18, v12, v7
	v_mad_u64_u32 v[16:17], s[12:13], v12, v6, 0
	v_add3_u32 v17, v17, v18, v1
	v_mul_lo_u32 v1, v15, v6
	v_mul_lo_u32 v20, v14, v7
	v_mad_u64_u32 v[18:19], s[12:13], v14, v6, 0
	v_add3_u32 v19, v19, v20, v1
	v_lshl_add_u64 v[16:17], v[16:17], 1, v[8:9]
	v_lshl_add_u64 v[18:19], v[18:19], 1, v[8:9]
	s_mov_b64 s[28:29], 0
	v_mov_b64_e32 v[20:21], v[6:7]
                                        ; implicit-def: $sgpr34_sgpr35
                                        ; implicit-def: $sgpr36_sgpr37
                                        ; implicit-def: $sgpr42_sgpr43
                                        ; implicit-def: $sgpr16_sgpr17
                                        ; implicit-def: $sgpr44_sgpr45
	s_branch .LBB1370_1302
.LBB1370_1301:                          ;   in Loop: Header=BB1370_1302 Depth=1
	s_or_b64 exec, exec, s[46:47]
	s_and_b64 s[12:13], exec, s[36:37]
	s_or_b64 s[28:29], s[12:13], s[28:29]
	s_andn2_b64 s[12:13], s[44:45], exec
	s_and_b64 s[18:19], s[42:43], exec
	s_or_b64 s[44:45], s[12:13], s[18:19]
	s_andn2_b64 s[12:13], s[34:35], exec
	s_and_b64 s[18:19], s[16:17], exec
	s_or_b64 s[34:35], s[12:13], s[18:19]
	s_andn2_b64 exec, exec, s[28:29]
	s_cbranch_execz .LBB1370_1304
.LBB1370_1302:                          ; =>This Inner Loop Header: Depth=1
	flat_load_ushort v1, v[18:19]
	flat_load_ushort v22, v[16:17]
	s_andn2_b64 s[46:47], s[16:17], exec
	s_andn2_b64 s[42:43], s[42:43], exec
	s_or_b64 s[36:37], s[36:37], exec
	s_waitcnt vmcnt(0) lgkmcnt(0)
	v_cmp_le_u16_e64 s[16:17], v1, v22
	v_cmp_lt_u16_e64 s[12:13], v1, v22
	s_and_b64 s[16:17], s[16:17], s[44:45]
	s_or_b64 s[48:49], s[12:13], s[16:17]
	s_and_b64 s[12:13], s[48:49], exec
	v_cmp_eq_u16_e64 s[18:19], v1, v22
	s_or_b64 s[16:17], s[46:47], s[12:13]
	s_and_saveexec_b64 s[46:47], s[18:19]
	s_cbranch_execz .LBB1370_1301
; %bb.1303:                             ;   in Loop: Header=BB1370_1302 Depth=1
	v_lshl_add_u64 v[20:21], v[20:21], 0, -1
	v_cmp_eq_u64_e64 s[12:13], 0, v[20:21]
	s_andn2_b64 s[18:19], s[42:43], exec
	s_and_b64 s[42:43], s[48:49], exec
	s_or_b64 s[42:43], s[18:19], s[42:43]
	s_andn2_b64 s[18:19], s[36:37], exec
	s_and_b64 s[12:13], s[12:13], exec
	v_lshl_add_u64 v[16:17], v[16:17], 0, 2
	v_lshl_add_u64 v[18:19], v[18:19], 0, 2
	s_andn2_b64 s[16:17], s[16:17], exec
	s_or_b64 s[36:37], s[18:19], s[12:13]
                                        ; implicit-def: $sgpr44_sgpr45
	s_branch .LBB1370_1301
.LBB1370_1304:
	s_or_b64 exec, exec, s[28:29]
	s_and_b64 s[12:13], s[34:35], exec
.LBB1370_1305:
	s_or_b64 exec, exec, s[26:27]
	s_xor_b64 s[12:13], s[12:13], -1
	s_andn2_b64 s[16:17], s[22:23], exec
	s_and_b64 s[12:13], s[12:13], exec
	s_or_b64 s[22:23], s[16:17], s[12:13]
.LBB1370_1306:
	s_or_b64 exec, exec, s[24:25]
	v_cndmask_b32_e64 v1, v70, v68, s[22:23]
	v_cndmask_b32_e64 v16, v99, v98, s[22:23]
	v_add_u32_e32 v1, 1, v1
	v_add_u32_e32 v16, -1, v16
	v_min_u32_e32 v16, v1, v16
	v_mov_b32_e32 v17, 0
	v_lshl_add_u64 v[18:19], v[16:17], 3, v[66:67]
	flat_load_dwordx2 v[18:19], v[18:19]
	v_cndmask_b32_e64 v27, v1, v70, s[22:23]
	s_mov_b64 s[24:25], -1
	v_cndmask_b32_e64 v31, v68, v1, s[22:23]
	v_cmp_lt_u32_e64 s[12:13], v27, v99
	s_mov_b64 s[26:27], -1
	s_waitcnt vmcnt(0) lgkmcnt(0)
	v_cndmask_b32_e64 v1, v19, v15, s[22:23]
	v_cndmask_b32_e64 v24, v18, v14, s[22:23]
	;; [unrolled: 1-line block ×4, first 2 shown]
	s_and_saveexec_b64 s[28:29], s[12:13]
	s_cbranch_execz .LBB1370_1316
; %bb.1307:
	v_cmp_lt_u32_e64 s[12:13], v31, v98
	s_mov_b64 s[16:17], 0
	s_and_saveexec_b64 s[26:27], s[12:13]
	s_cbranch_execz .LBB1370_1315
; %bb.1308:
	s_mov_b64 s[12:13], 0
	s_and_saveexec_b64 s[34:35], s[8:9]
	s_cbranch_execz .LBB1370_1314
; %bb.1309:
	v_mul_lo_u32 v16, v25, v6
	v_mul_lo_u32 v20, v26, v7
	v_mad_u64_u32 v[18:19], s[12:13], v26, v6, 0
	v_add3_u32 v19, v19, v20, v16
	v_mul_lo_u32 v16, v1, v6
	v_mul_lo_u32 v22, v24, v7
	v_mad_u64_u32 v[20:21], s[12:13], v24, v6, 0
	v_add3_u32 v21, v21, v22, v16
	v_lshl_add_u64 v[18:19], v[18:19], 1, v[8:9]
	v_lshl_add_u64 v[20:21], v[20:21], 1, v[8:9]
	s_mov_b64 s[36:37], 0
	v_mov_b64_e32 v[22:23], v[6:7]
                                        ; implicit-def: $sgpr42_sgpr43
                                        ; implicit-def: $sgpr44_sgpr45
                                        ; implicit-def: $sgpr46_sgpr47
                                        ; implicit-def: $sgpr16_sgpr17
                                        ; implicit-def: $sgpr48_sgpr49
	s_branch .LBB1370_1311
.LBB1370_1310:                          ;   in Loop: Header=BB1370_1311 Depth=1
	s_or_b64 exec, exec, s[50:51]
	s_and_b64 s[12:13], exec, s[44:45]
	s_or_b64 s[36:37], s[12:13], s[36:37]
	s_andn2_b64 s[12:13], s[48:49], exec
	s_and_b64 s[18:19], s[46:47], exec
	s_or_b64 s[48:49], s[12:13], s[18:19]
	s_andn2_b64 s[12:13], s[42:43], exec
	s_and_b64 s[18:19], s[16:17], exec
	s_or_b64 s[42:43], s[12:13], s[18:19]
	s_andn2_b64 exec, exec, s[36:37]
	s_cbranch_execz .LBB1370_1313
.LBB1370_1311:                          ; =>This Inner Loop Header: Depth=1
	flat_load_ushort v16, v[20:21]
	flat_load_ushort v68, v[18:19]
	s_andn2_b64 s[50:51], s[16:17], exec
	s_andn2_b64 s[46:47], s[46:47], exec
	s_or_b64 s[44:45], s[44:45], exec
	s_waitcnt vmcnt(0) lgkmcnt(0)
	v_cmp_le_u16_e64 s[16:17], v16, v68
	v_cmp_lt_u16_e64 s[12:13], v16, v68
	s_and_b64 s[16:17], s[16:17], s[48:49]
	s_or_b64 s[52:53], s[12:13], s[16:17]
	s_and_b64 s[12:13], s[52:53], exec
	v_cmp_eq_u16_e64 s[18:19], v16, v68
	s_or_b64 s[16:17], s[50:51], s[12:13]
	s_and_saveexec_b64 s[50:51], s[18:19]
	s_cbranch_execz .LBB1370_1310
; %bb.1312:                             ;   in Loop: Header=BB1370_1311 Depth=1
	v_lshl_add_u64 v[22:23], v[22:23], 0, -1
	v_cmp_eq_u64_e64 s[12:13], 0, v[22:23]
	s_andn2_b64 s[18:19], s[46:47], exec
	s_and_b64 s[46:47], s[52:53], exec
	s_or_b64 s[46:47], s[18:19], s[46:47]
	s_andn2_b64 s[18:19], s[44:45], exec
	s_and_b64 s[12:13], s[12:13], exec
	v_lshl_add_u64 v[18:19], v[18:19], 0, 2
	v_lshl_add_u64 v[20:21], v[20:21], 0, 2
	s_andn2_b64 s[16:17], s[16:17], exec
	s_or_b64 s[44:45], s[18:19], s[12:13]
                                        ; implicit-def: $sgpr48_sgpr49
	s_branch .LBB1370_1310
.LBB1370_1313:
	s_or_b64 exec, exec, s[36:37]
	s_and_b64 s[12:13], s[42:43], exec
.LBB1370_1314:
	s_or_b64 exec, exec, s[34:35]
	s_xor_b64 s[12:13], s[12:13], -1
	s_and_b64 s[16:17], s[12:13], exec
.LBB1370_1315:
	s_or_b64 exec, exec, s[26:27]
	s_orn2_b64 s[26:27], s[16:17], exec
.LBB1370_1316:
	s_or_b64 exec, exec, s[28:29]
	v_cndmask_b32_e64 v16, v27, v31, s[26:27]
	v_cndmask_b32_e64 v18, v99, v98, s[26:27]
	v_add_u32_e32 v19, 1, v16
	v_add_u32_e32 v16, -1, v18
	v_min_u32_e32 v16, v19, v16
	v_lshl_add_u64 v[16:17], v[16:17], 3, v[66:67]
	flat_load_dwordx2 v[16:17], v[16:17]
	v_cndmask_b32_e64 v22, v19, v27, s[26:27]
	v_cndmask_b32_e64 v23, v31, v19, s[26:27]
	v_cmp_lt_u32_e64 s[12:13], v22, v99
	s_waitcnt vmcnt(0) lgkmcnt(0)
	v_cndmask_b32_e64 v27, v17, v1, s[26:27]
	v_cndmask_b32_e64 v31, v16, v24, s[26:27]
	;; [unrolled: 1-line block ×4, first 2 shown]
	s_and_saveexec_b64 s[28:29], s[12:13]
	s_cbranch_execz .LBB1370_1326
; %bb.1317:
	v_cmp_lt_u32_e64 s[12:13], v23, v98
	s_mov_b64 s[16:17], 0
	s_and_saveexec_b64 s[24:25], s[12:13]
	s_cbranch_execz .LBB1370_1325
; %bb.1318:
	s_mov_b64 s[12:13], 0
	s_and_saveexec_b64 s[34:35], s[8:9]
	s_cbranch_execz .LBB1370_1324
; %bb.1319:
	v_mul_lo_u32 v18, v68, v6
	v_mul_lo_u32 v19, v69, v7
	v_mad_u64_u32 v[16:17], s[12:13], v69, v6, 0
	v_add3_u32 v17, v17, v19, v18
	v_mul_lo_u32 v20, v27, v6
	v_mul_lo_u32 v21, v31, v7
	v_mad_u64_u32 v[18:19], s[12:13], v31, v6, 0
	v_add3_u32 v19, v19, v21, v20
	v_lshl_add_u64 v[16:17], v[16:17], 1, v[8:9]
	v_lshl_add_u64 v[18:19], v[18:19], 1, v[8:9]
	s_mov_b64 s[36:37], 0
	v_mov_b64_e32 v[20:21], v[6:7]
                                        ; implicit-def: $sgpr42_sgpr43
                                        ; implicit-def: $sgpr44_sgpr45
                                        ; implicit-def: $sgpr46_sgpr47
                                        ; implicit-def: $sgpr16_sgpr17
                                        ; implicit-def: $sgpr48_sgpr49
	s_branch .LBB1370_1321
.LBB1370_1320:                          ;   in Loop: Header=BB1370_1321 Depth=1
	s_or_b64 exec, exec, s[50:51]
	s_and_b64 s[12:13], exec, s[44:45]
	s_or_b64 s[36:37], s[12:13], s[36:37]
	s_andn2_b64 s[12:13], s[48:49], exec
	s_and_b64 s[18:19], s[46:47], exec
	s_or_b64 s[48:49], s[12:13], s[18:19]
	s_andn2_b64 s[12:13], s[42:43], exec
	s_and_b64 s[18:19], s[16:17], exec
	s_or_b64 s[42:43], s[12:13], s[18:19]
	s_andn2_b64 exec, exec, s[36:37]
	s_cbranch_execz .LBB1370_1323
.LBB1370_1321:                          ; =>This Inner Loop Header: Depth=1
	flat_load_ushort v70, v[18:19]
	flat_load_ushort v71, v[16:17]
	s_andn2_b64 s[50:51], s[16:17], exec
	s_andn2_b64 s[46:47], s[46:47], exec
	s_or_b64 s[44:45], s[44:45], exec
	s_waitcnt vmcnt(0) lgkmcnt(0)
	v_cmp_le_u16_e64 s[16:17], v70, v71
	v_cmp_lt_u16_e64 s[12:13], v70, v71
	s_and_b64 s[16:17], s[16:17], s[48:49]
	s_or_b64 s[52:53], s[12:13], s[16:17]
	s_and_b64 s[12:13], s[52:53], exec
	v_cmp_eq_u16_e64 s[18:19], v70, v71
	s_or_b64 s[16:17], s[50:51], s[12:13]
	s_and_saveexec_b64 s[50:51], s[18:19]
	s_cbranch_execz .LBB1370_1320
; %bb.1322:                             ;   in Loop: Header=BB1370_1321 Depth=1
	v_lshl_add_u64 v[20:21], v[20:21], 0, -1
	v_cmp_eq_u64_e64 s[12:13], 0, v[20:21]
	s_andn2_b64 s[18:19], s[46:47], exec
	s_and_b64 s[46:47], s[52:53], exec
	s_or_b64 s[46:47], s[18:19], s[46:47]
	s_andn2_b64 s[18:19], s[44:45], exec
	s_and_b64 s[12:13], s[12:13], exec
	v_lshl_add_u64 v[16:17], v[16:17], 0, 2
	v_lshl_add_u64 v[18:19], v[18:19], 0, 2
	s_andn2_b64 s[16:17], s[16:17], exec
	s_or_b64 s[44:45], s[18:19], s[12:13]
                                        ; implicit-def: $sgpr48_sgpr49
	s_branch .LBB1370_1320
.LBB1370_1323:
	s_or_b64 exec, exec, s[36:37]
	s_and_b64 s[12:13], s[42:43], exec
.LBB1370_1324:
	s_or_b64 exec, exec, s[34:35]
	s_xor_b64 s[12:13], s[12:13], -1
	s_and_b64 s[16:17], s[12:13], exec
.LBB1370_1325:
	s_or_b64 exec, exec, s[24:25]
	s_orn2_b64 s[24:25], s[16:17], exec
.LBB1370_1326:
	s_or_b64 exec, exec, s[28:29]
	v_cndmask_b32_e64 v16, v22, v23, s[24:25]
	v_cndmask_b32_e64 v17, v99, v98, s[24:25]
	v_add_u32_e32 v20, 1, v16
	v_add_u32_e32 v16, -1, v17
	v_min_u32_e32 v16, v20, v16
	v_mov_b32_e32 v17, 0
	v_lshl_add_u64 v[18:19], v[16:17], 3, v[66:67]
	flat_load_dwordx2 v[18:19], v[18:19]
	v_cndmask_b32_e64 v82, v20, v22, s[24:25]
	s_mov_b64 s[28:29], -1
	v_cndmask_b32_e64 v83, v23, v20, s[24:25]
	v_cmp_lt_u32_e64 s[12:13], v82, v99
	s_mov_b64 s[34:35], -1
	s_waitcnt vmcnt(0) lgkmcnt(0)
	v_cndmask_b32_e64 v70, v19, v27, s[24:25]
	v_cndmask_b32_e64 v71, v18, v31, s[24:25]
	v_cndmask_b32_e64 v80, v68, v19, s[24:25]
	v_cndmask_b32_e64 v81, v69, v18, s[24:25]
	s_and_saveexec_b64 s[36:37], s[12:13]
	s_cbranch_execz .LBB1370_1336
; %bb.1327:
	v_cmp_lt_u32_e64 s[12:13], v83, v98
	s_mov_b64 s[16:17], 0
	s_and_saveexec_b64 s[34:35], s[12:13]
	s_cbranch_execz .LBB1370_1335
; %bb.1328:
	s_mov_b64 s[12:13], -1
	s_and_saveexec_b64 s[42:43], s[8:9]
	s_cbranch_execz .LBB1370_1334
; %bb.1329:
	v_mul_lo_u32 v16, v80, v6
	v_mul_lo_u32 v20, v81, v7
	v_mad_u64_u32 v[18:19], s[12:13], v81, v6, 0
	v_add3_u32 v19, v19, v20, v16
	v_mul_lo_u32 v16, v70, v6
	v_mul_lo_u32 v22, v71, v7
	v_mad_u64_u32 v[20:21], s[12:13], v71, v6, 0
	v_add3_u32 v21, v21, v22, v16
	v_lshl_add_u64 v[18:19], v[18:19], 1, v[8:9]
	v_lshl_add_u64 v[20:21], v[20:21], 1, v[8:9]
	s_mov_b64 s[44:45], 0
	v_mov_b64_e32 v[22:23], v[6:7]
                                        ; implicit-def: $sgpr46_sgpr47
                                        ; implicit-def: $sgpr48_sgpr49
                                        ; implicit-def: $sgpr16_sgpr17
                                        ; implicit-def: $sgpr50_sgpr51
                                        ; implicit-def: $sgpr52_sgpr53
	s_branch .LBB1370_1331
.LBB1370_1330:                          ;   in Loop: Header=BB1370_1331 Depth=1
	s_or_b64 exec, exec, s[54:55]
	s_and_b64 s[12:13], exec, s[48:49]
	s_or_b64 s[44:45], s[12:13], s[44:45]
	s_andn2_b64 s[12:13], s[52:53], exec
	s_and_b64 s[18:19], s[50:51], exec
	s_or_b64 s[52:53], s[12:13], s[18:19]
	s_andn2_b64 s[12:13], s[46:47], exec
	s_and_b64 s[18:19], s[16:17], exec
	s_or_b64 s[46:47], s[12:13], s[18:19]
	s_andn2_b64 exec, exec, s[44:45]
	s_cbranch_execz .LBB1370_1333
.LBB1370_1331:                          ; =>This Inner Loop Header: Depth=1
	flat_load_ushort v16, v[20:21]
	flat_load_ushort v84, v[18:19]
	s_andn2_b64 s[54:55], s[16:17], exec
	s_andn2_b64 s[50:51], s[50:51], exec
	s_or_b64 s[48:49], s[48:49], exec
	s_waitcnt vmcnt(0) lgkmcnt(0)
	v_cmp_le_u16_e64 s[16:17], v16, v84
	v_cmp_lt_u16_e64 s[12:13], v16, v84
	s_and_b64 s[16:17], s[16:17], s[52:53]
	s_or_b64 s[56:57], s[12:13], s[16:17]
	s_and_b64 s[12:13], s[56:57], exec
	v_cmp_eq_u16_e64 s[18:19], v16, v84
	s_or_b64 s[16:17], s[54:55], s[12:13]
	s_and_saveexec_b64 s[54:55], s[18:19]
	s_cbranch_execz .LBB1370_1330
; %bb.1332:                             ;   in Loop: Header=BB1370_1331 Depth=1
	v_lshl_add_u64 v[22:23], v[22:23], 0, -1
	v_cmp_eq_u64_e64 s[12:13], 0, v[22:23]
	s_andn2_b64 s[18:19], s[50:51], exec
	s_and_b64 s[50:51], s[56:57], exec
	s_or_b64 s[50:51], s[18:19], s[50:51]
	s_andn2_b64 s[18:19], s[48:49], exec
	s_and_b64 s[12:13], s[12:13], exec
	v_lshl_add_u64 v[18:19], v[18:19], 0, 2
	v_lshl_add_u64 v[20:21], v[20:21], 0, 2
	s_andn2_b64 s[16:17], s[16:17], exec
	s_or_b64 s[48:49], s[18:19], s[12:13]
                                        ; implicit-def: $sgpr52_sgpr53
	s_branch .LBB1370_1330
.LBB1370_1333:
	s_or_b64 exec, exec, s[44:45]
	s_xor_b64 s[12:13], s[46:47], -1
	s_orn2_b64 s[12:13], s[12:13], exec
.LBB1370_1334:
	s_or_b64 exec, exec, s[42:43]
	s_and_b64 s[16:17], s[12:13], exec
.LBB1370_1335:
	s_or_b64 exec, exec, s[34:35]
	s_orn2_b64 s[34:35], s[16:17], exec
.LBB1370_1336:
	s_or_b64 exec, exec, s[36:37]
	v_cndmask_b32_e64 v16, v82, v83, s[34:35]
	v_cndmask_b32_e64 v18, v99, v98, s[34:35]
	v_add_u32_e32 v19, 1, v16
	v_add_u32_e32 v16, -1, v18
	v_min_u32_e32 v16, v19, v16
	v_lshl_add_u64 v[16:17], v[16:17], 3, v[66:67]
	flat_load_dwordx2 v[16:17], v[16:17]
	v_cndmask_b32_e64 v22, v19, v82, s[34:35]
	v_cndmask_b32_e64 v23, v83, v19, s[34:35]
	v_cmp_lt_u32_e64 s[12:13], v22, v99
	s_waitcnt vmcnt(0) lgkmcnt(0)
	v_cndmask_b32_e64 v82, v17, v70, s[34:35]
	v_cndmask_b32_e64 v83, v16, v71, s[34:35]
	v_cndmask_b32_e64 v84, v80, v17, s[34:35]
	v_cndmask_b32_e64 v85, v81, v16, s[34:35]
	s_and_saveexec_b64 s[36:37], s[12:13]
	s_cbranch_execz .LBB1370_1346
; %bb.1337:
	v_cmp_lt_u32_e64 s[12:13], v23, v98
	s_mov_b64 s[16:17], 0
	s_and_saveexec_b64 s[28:29], s[12:13]
	s_cbranch_execz .LBB1370_1345
; %bb.1338:
	s_mov_b64 s[12:13], -1
	s_and_saveexec_b64 s[42:43], s[8:9]
	s_cbranch_execz .LBB1370_1344
; %bb.1339:
	v_mul_lo_u32 v18, v84, v6
	v_mul_lo_u32 v19, v85, v7
	v_mad_u64_u32 v[16:17], s[12:13], v85, v6, 0
	v_add3_u32 v17, v17, v19, v18
	v_mul_lo_u32 v20, v82, v6
	v_mul_lo_u32 v21, v83, v7
	v_mad_u64_u32 v[18:19], s[12:13], v83, v6, 0
	v_add3_u32 v19, v19, v21, v20
	v_lshl_add_u64 v[16:17], v[16:17], 1, v[8:9]
	v_lshl_add_u64 v[18:19], v[18:19], 1, v[8:9]
	s_mov_b64 s[44:45], 0
	v_mov_b64_e32 v[20:21], v[6:7]
                                        ; implicit-def: $sgpr46_sgpr47
                                        ; implicit-def: $sgpr48_sgpr49
                                        ; implicit-def: $sgpr16_sgpr17
                                        ; implicit-def: $sgpr50_sgpr51
                                        ; implicit-def: $sgpr52_sgpr53
	s_branch .LBB1370_1341
.LBB1370_1340:                          ;   in Loop: Header=BB1370_1341 Depth=1
	s_or_b64 exec, exec, s[54:55]
	s_and_b64 s[12:13], exec, s[48:49]
	s_or_b64 s[44:45], s[12:13], s[44:45]
	s_andn2_b64 s[12:13], s[52:53], exec
	s_and_b64 s[18:19], s[50:51], exec
	s_or_b64 s[52:53], s[12:13], s[18:19]
	s_andn2_b64 s[12:13], s[46:47], exec
	s_and_b64 s[18:19], s[16:17], exec
	s_or_b64 s[46:47], s[12:13], s[18:19]
	s_andn2_b64 exec, exec, s[44:45]
	s_cbranch_execz .LBB1370_1343
.LBB1370_1341:                          ; =>This Inner Loop Header: Depth=1
	flat_load_ushort v86, v[18:19]
	flat_load_ushort v87, v[16:17]
	s_andn2_b64 s[54:55], s[16:17], exec
	s_andn2_b64 s[50:51], s[50:51], exec
	s_or_b64 s[48:49], s[48:49], exec
	s_waitcnt vmcnt(0) lgkmcnt(0)
	v_cmp_le_u16_e64 s[16:17], v86, v87
	v_cmp_lt_u16_e64 s[12:13], v86, v87
	s_and_b64 s[16:17], s[16:17], s[52:53]
	s_or_b64 s[56:57], s[12:13], s[16:17]
	s_and_b64 s[12:13], s[56:57], exec
	v_cmp_eq_u16_e64 s[18:19], v86, v87
	s_or_b64 s[16:17], s[54:55], s[12:13]
	s_and_saveexec_b64 s[54:55], s[18:19]
	s_cbranch_execz .LBB1370_1340
; %bb.1342:                             ;   in Loop: Header=BB1370_1341 Depth=1
	v_lshl_add_u64 v[20:21], v[20:21], 0, -1
	v_cmp_eq_u64_e64 s[12:13], 0, v[20:21]
	s_andn2_b64 s[18:19], s[50:51], exec
	s_and_b64 s[50:51], s[56:57], exec
	s_or_b64 s[50:51], s[18:19], s[50:51]
	s_andn2_b64 s[18:19], s[48:49], exec
	s_and_b64 s[12:13], s[12:13], exec
	v_lshl_add_u64 v[16:17], v[16:17], 0, 2
	v_lshl_add_u64 v[18:19], v[18:19], 0, 2
	s_andn2_b64 s[16:17], s[16:17], exec
	s_or_b64 s[48:49], s[18:19], s[12:13]
                                        ; implicit-def: $sgpr52_sgpr53
	s_branch .LBB1370_1340
.LBB1370_1343:
	s_or_b64 exec, exec, s[44:45]
	s_xor_b64 s[12:13], s[46:47], -1
	s_orn2_b64 s[12:13], s[12:13], exec
.LBB1370_1344:
	s_or_b64 exec, exec, s[42:43]
	s_and_b64 s[16:17], s[12:13], exec
.LBB1370_1345:
	s_or_b64 exec, exec, s[28:29]
	s_orn2_b64 s[28:29], s[16:17], exec
.LBB1370_1346:
	s_or_b64 exec, exec, s[36:37]
	v_cndmask_b32_e64 v16, v22, v23, s[28:29]
	v_cndmask_b32_e64 v17, v99, v98, s[28:29]
	v_add_u32_e32 v20, 1, v16
	v_add_u32_e32 v16, -1, v17
	v_min_u32_e32 v16, v20, v16
	v_mov_b32_e32 v17, 0
	v_lshl_add_u64 v[18:19], v[16:17], 3, v[66:67]
	flat_load_dwordx2 v[18:19], v[18:19]
	v_cndmask_b32_e64 v100, v20, v22, s[28:29]
	s_mov_b64 s[36:37], -1
	v_cndmask_b32_e64 v101, v23, v20, s[28:29]
	v_cmp_lt_u32_e64 s[12:13], v100, v99
	s_mov_b64 s[42:43], -1
	s_waitcnt vmcnt(0) lgkmcnt(0)
	v_cndmask_b32_e64 v86, v19, v82, s[28:29]
	v_cndmask_b32_e64 v87, v18, v83, s[28:29]
	;; [unrolled: 1-line block ×4, first 2 shown]
	s_and_saveexec_b64 s[44:45], s[12:13]
	s_cbranch_execz .LBB1370_1356
; %bb.1347:
	v_cmp_lt_u32_e64 s[12:13], v101, v98
	s_mov_b64 s[16:17], 0
	s_and_saveexec_b64 s[42:43], s[12:13]
	s_cbranch_execz .LBB1370_1355
; %bb.1348:
	s_mov_b64 s[12:13], -1
	s_and_saveexec_b64 s[46:47], s[8:9]
	s_cbranch_execz .LBB1370_1354
; %bb.1349:
	v_mul_lo_u32 v16, v96, v6
	v_mul_lo_u32 v20, v97, v7
	v_mad_u64_u32 v[18:19], s[12:13], v97, v6, 0
	v_add3_u32 v19, v19, v20, v16
	v_mul_lo_u32 v16, v86, v6
	v_mul_lo_u32 v22, v87, v7
	v_mad_u64_u32 v[20:21], s[12:13], v87, v6, 0
	v_add3_u32 v21, v21, v22, v16
	v_lshl_add_u64 v[18:19], v[18:19], 1, v[8:9]
	v_lshl_add_u64 v[20:21], v[20:21], 1, v[8:9]
	s_mov_b64 s[48:49], 0
	v_mov_b64_e32 v[22:23], v[6:7]
                                        ; implicit-def: $sgpr50_sgpr51
                                        ; implicit-def: $sgpr52_sgpr53
                                        ; implicit-def: $sgpr16_sgpr17
                                        ; implicit-def: $sgpr54_sgpr55
                                        ; implicit-def: $sgpr56_sgpr57
	s_branch .LBB1370_1351
.LBB1370_1350:                          ;   in Loop: Header=BB1370_1351 Depth=1
	s_or_b64 exec, exec, s[58:59]
	s_and_b64 s[12:13], exec, s[52:53]
	s_or_b64 s[48:49], s[12:13], s[48:49]
	s_andn2_b64 s[12:13], s[56:57], exec
	s_and_b64 s[18:19], s[54:55], exec
	s_or_b64 s[56:57], s[12:13], s[18:19]
	s_andn2_b64 s[12:13], s[50:51], exec
	s_and_b64 s[18:19], s[16:17], exec
	s_or_b64 s[50:51], s[12:13], s[18:19]
	s_andn2_b64 exec, exec, s[48:49]
	s_cbranch_execz .LBB1370_1353
.LBB1370_1351:                          ; =>This Inner Loop Header: Depth=1
	flat_load_ushort v16, v[20:21]
	flat_load_ushort v102, v[18:19]
	s_andn2_b64 s[58:59], s[16:17], exec
	s_andn2_b64 s[54:55], s[54:55], exec
	s_or_b64 s[52:53], s[52:53], exec
	s_waitcnt vmcnt(0) lgkmcnt(0)
	v_cmp_le_u16_e64 s[16:17], v16, v102
	v_cmp_lt_u16_e64 s[12:13], v16, v102
	s_and_b64 s[16:17], s[16:17], s[56:57]
	s_or_b64 s[60:61], s[12:13], s[16:17]
	s_and_b64 s[12:13], s[60:61], exec
	v_cmp_eq_u16_e64 s[18:19], v16, v102
	s_or_b64 s[16:17], s[58:59], s[12:13]
	s_and_saveexec_b64 s[58:59], s[18:19]
	s_cbranch_execz .LBB1370_1350
; %bb.1352:                             ;   in Loop: Header=BB1370_1351 Depth=1
	v_lshl_add_u64 v[22:23], v[22:23], 0, -1
	v_cmp_eq_u64_e64 s[12:13], 0, v[22:23]
	s_andn2_b64 s[18:19], s[54:55], exec
	s_and_b64 s[54:55], s[60:61], exec
	s_or_b64 s[54:55], s[18:19], s[54:55]
	s_andn2_b64 s[18:19], s[52:53], exec
	s_and_b64 s[12:13], s[12:13], exec
	v_lshl_add_u64 v[18:19], v[18:19], 0, 2
	v_lshl_add_u64 v[20:21], v[20:21], 0, 2
	s_andn2_b64 s[16:17], s[16:17], exec
	s_or_b64 s[52:53], s[18:19], s[12:13]
                                        ; implicit-def: $sgpr56_sgpr57
	s_branch .LBB1370_1350
.LBB1370_1353:
	s_or_b64 exec, exec, s[48:49]
	s_xor_b64 s[12:13], s[50:51], -1
	s_orn2_b64 s[12:13], s[12:13], exec
.LBB1370_1354:
	s_or_b64 exec, exec, s[46:47]
	s_and_b64 s[16:17], s[12:13], exec
.LBB1370_1355:
	s_or_b64 exec, exec, s[42:43]
	s_orn2_b64 s[42:43], s[16:17], exec
.LBB1370_1356:
	s_or_b64 exec, exec, s[44:45]
	v_cndmask_b32_e64 v16, v100, v101, s[42:43]
	v_cndmask_b32_e64 v18, v99, v98, s[42:43]
	v_add_u32_e32 v19, 1, v16
	v_add_u32_e32 v16, -1, v18
	v_min_u32_e32 v16, v19, v16
	v_lshl_add_u64 v[16:17], v[16:17], 3, v[66:67]
	flat_load_dwordx2 v[16:17], v[16:17]
	v_cndmask_b32_e64 v103, v19, v100, s[42:43]
	v_cndmask_b32_e64 v100, v101, v19, s[42:43]
	v_cmp_lt_u32_e64 s[12:13], v103, v99
	s_waitcnt vmcnt(0) lgkmcnt(0)
	v_cndmask_b32_e64 v101, v17, v86, s[42:43]
	v_cndmask_b32_e64 v102, v16, v87, s[42:43]
	v_cndmask_b32_e64 v112, v96, v17, s[42:43]
	v_cndmask_b32_e64 v113, v97, v16, s[42:43]
	s_and_saveexec_b64 s[44:45], s[12:13]
	s_cbranch_execz .LBB1370_1366
; %bb.1357:
	v_cmp_lt_u32_e64 s[12:13], v100, v98
	s_mov_b64 s[16:17], 0
	s_and_saveexec_b64 s[36:37], s[12:13]
	s_cbranch_execz .LBB1370_1365
; %bb.1358:
	s_mov_b64 s[12:13], -1
	s_and_saveexec_b64 s[46:47], s[8:9]
	s_cbranch_execz .LBB1370_1364
; %bb.1359:
	v_mul_lo_u32 v18, v112, v6
	v_mul_lo_u32 v19, v113, v7
	v_mad_u64_u32 v[16:17], s[12:13], v113, v6, 0
	v_add3_u32 v17, v17, v19, v18
	v_mul_lo_u32 v20, v101, v6
	v_mul_lo_u32 v21, v102, v7
	v_mad_u64_u32 v[18:19], s[12:13], v102, v6, 0
	v_add3_u32 v19, v19, v21, v20
	v_lshl_add_u64 v[16:17], v[16:17], 1, v[8:9]
	v_lshl_add_u64 v[18:19], v[18:19], 1, v[8:9]
	s_mov_b64 s[48:49], 0
	v_mov_b64_e32 v[20:21], v[6:7]
                                        ; implicit-def: $sgpr50_sgpr51
                                        ; implicit-def: $sgpr52_sgpr53
                                        ; implicit-def: $sgpr16_sgpr17
                                        ; implicit-def: $sgpr54_sgpr55
                                        ; implicit-def: $sgpr56_sgpr57
	s_branch .LBB1370_1361
.LBB1370_1360:                          ;   in Loop: Header=BB1370_1361 Depth=1
	s_or_b64 exec, exec, s[58:59]
	s_and_b64 s[12:13], exec, s[52:53]
	s_or_b64 s[48:49], s[12:13], s[48:49]
	s_andn2_b64 s[12:13], s[56:57], exec
	s_and_b64 s[18:19], s[54:55], exec
	s_or_b64 s[56:57], s[12:13], s[18:19]
	s_andn2_b64 s[12:13], s[50:51], exec
	s_and_b64 s[18:19], s[16:17], exec
	s_or_b64 s[50:51], s[12:13], s[18:19]
	s_andn2_b64 exec, exec, s[48:49]
	s_cbranch_execz .LBB1370_1363
.LBB1370_1361:                          ; =>This Inner Loop Header: Depth=1
	flat_load_ushort v22, v[18:19]
	flat_load_ushort v23, v[16:17]
	s_andn2_b64 s[58:59], s[16:17], exec
	s_andn2_b64 s[54:55], s[54:55], exec
	s_or_b64 s[52:53], s[52:53], exec
	s_waitcnt vmcnt(0) lgkmcnt(0)
	v_cmp_le_u16_e64 s[16:17], v22, v23
	v_cmp_lt_u16_e64 s[12:13], v22, v23
	s_and_b64 s[16:17], s[16:17], s[56:57]
	s_or_b64 s[60:61], s[12:13], s[16:17]
	s_and_b64 s[12:13], s[60:61], exec
	v_cmp_eq_u16_e64 s[18:19], v22, v23
	s_or_b64 s[16:17], s[58:59], s[12:13]
	s_and_saveexec_b64 s[58:59], s[18:19]
	s_cbranch_execz .LBB1370_1360
; %bb.1362:                             ;   in Loop: Header=BB1370_1361 Depth=1
	v_lshl_add_u64 v[20:21], v[20:21], 0, -1
	v_cmp_eq_u64_e64 s[12:13], 0, v[20:21]
	s_andn2_b64 s[18:19], s[54:55], exec
	s_and_b64 s[54:55], s[60:61], exec
	s_or_b64 s[54:55], s[18:19], s[54:55]
	s_andn2_b64 s[18:19], s[52:53], exec
	s_and_b64 s[12:13], s[12:13], exec
	v_lshl_add_u64 v[16:17], v[16:17], 0, 2
	v_lshl_add_u64 v[18:19], v[18:19], 0, 2
	s_andn2_b64 s[16:17], s[16:17], exec
	s_or_b64 s[52:53], s[18:19], s[12:13]
                                        ; implicit-def: $sgpr56_sgpr57
	s_branch .LBB1370_1360
.LBB1370_1363:
	s_or_b64 exec, exec, s[48:49]
	s_xor_b64 s[12:13], s[50:51], -1
	s_orn2_b64 s[12:13], s[12:13], exec
.LBB1370_1364:
	s_or_b64 exec, exec, s[46:47]
	s_and_b64 s[16:17], s[12:13], exec
.LBB1370_1365:
	s_or_b64 exec, exec, s[36:37]
	s_orn2_b64 s[36:37], s[16:17], exec
.LBB1370_1366:
	s_or_b64 exec, exec, s[44:45]
	v_cndmask_b32_e64 v16, v103, v100, s[36:37]
	v_cndmask_b32_e64 v17, v99, v98, s[36:37]
	v_add_u32_e32 v114, 1, v16
	v_add_u32_e32 v16, -1, v17
	v_min_u32_e32 v16, v114, v16
	v_mov_b32_e32 v17, 0
	v_lshl_add_u64 v[16:17], v[16:17], 3, v[66:67]
	flat_load_dwordx2 v[66:67], v[16:17]
	v_cndmask_b32_e64 v21, v27, v68, s[24:25]
	v_cndmask_b32_e64 v27, v1, v25, s[26:27]
	;; [unrolled: 1-line block ×15, first 2 shown]
	v_cmp_lt_u32_e64 s[12:13], v1, v99
	s_waitcnt vmcnt(0) lgkmcnt(0)
	v_cndmask_b32_e64 v15, v112, v67, s[36:37]
	v_cndmask_b32_e64 v14, v113, v66, s[36:37]
	s_and_saveexec_b64 s[22:23], s[12:13]
	s_cbranch_execz .LBB1370_1376
; %bb.1367:
	v_cndmask_b32_e64 v1, v100, v114, s[36:37]
	v_cndmask_b32_e64 v67, v67, v101, s[36:37]
	;; [unrolled: 1-line block ×3, first 2 shown]
	v_cmp_lt_u32_e64 s[12:13], v1, v98
	s_and_saveexec_b64 s[24:25], s[12:13]
	s_cbranch_execz .LBB1370_1375
; %bb.1368:
	s_and_saveexec_b64 s[26:27], s[8:9]
	s_cbranch_execz .LBB1370_1374
; %bb.1369:
	v_mul_lo_u32 v1, v15, v6
	v_mul_lo_u32 v31, v14, v7
	v_mad_u64_u32 v[68:69], s[12:13], v14, v6, 0
	v_add3_u32 v69, v69, v31, v1
	v_mul_lo_u32 v1, v67, v6
	v_mul_lo_u32 v31, v66, v7
	v_mad_u64_u32 v[70:71], s[12:13], v66, v6, 0
	v_add3_u32 v71, v71, v31, v1
	v_lshl_add_u64 v[68:69], v[68:69], 1, v[8:9]
	v_lshl_add_u64 v[70:71], v[70:71], 1, v[8:9]
	s_mov_b64 s[28:29], 0
	v_mov_b64_e32 v[80:81], v[6:7]
                                        ; implicit-def: $sgpr34_sgpr35
                                        ; implicit-def: $sgpr36_sgpr37
                                        ; implicit-def: $sgpr16_sgpr17
                                        ; implicit-def: $sgpr42_sgpr43
                                        ; implicit-def: $sgpr44_sgpr45
	s_branch .LBB1370_1371
.LBB1370_1370:                          ;   in Loop: Header=BB1370_1371 Depth=1
	s_or_b64 exec, exec, s[46:47]
	s_and_b64 s[12:13], exec, s[36:37]
	s_or_b64 s[28:29], s[12:13], s[28:29]
	s_andn2_b64 s[12:13], s[44:45], exec
	s_and_b64 s[18:19], s[42:43], exec
	s_or_b64 s[44:45], s[12:13], s[18:19]
	s_andn2_b64 s[12:13], s[34:35], exec
	s_and_b64 s[18:19], s[16:17], exec
	s_or_b64 s[34:35], s[12:13], s[18:19]
	s_andn2_b64 exec, exec, s[28:29]
	s_cbranch_execz .LBB1370_1373
.LBB1370_1371:                          ; =>This Inner Loop Header: Depth=1
	flat_load_ushort v1, v[70:71]
	flat_load_ushort v31, v[68:69]
	s_andn2_b64 s[46:47], s[16:17], exec
	s_andn2_b64 s[42:43], s[42:43], exec
	s_or_b64 s[36:37], s[36:37], exec
	s_waitcnt vmcnt(0) lgkmcnt(0)
	v_cmp_le_u16_e64 s[16:17], v1, v31
	v_cmp_lt_u16_e64 s[12:13], v1, v31
	s_and_b64 s[16:17], s[16:17], s[44:45]
	s_or_b64 s[48:49], s[12:13], s[16:17]
	s_and_b64 s[12:13], s[48:49], exec
	v_cmp_eq_u16_e64 s[18:19], v1, v31
	s_or_b64 s[16:17], s[46:47], s[12:13]
	s_and_saveexec_b64 s[46:47], s[18:19]
	s_cbranch_execz .LBB1370_1370
; %bb.1372:                             ;   in Loop: Header=BB1370_1371 Depth=1
	v_lshl_add_u64 v[80:81], v[80:81], 0, -1
	v_cmp_eq_u64_e64 s[12:13], 0, v[80:81]
	s_andn2_b64 s[18:19], s[42:43], exec
	s_and_b64 s[42:43], s[48:49], exec
	s_or_b64 s[42:43], s[18:19], s[42:43]
	s_andn2_b64 s[18:19], s[36:37], exec
	s_and_b64 s[12:13], s[12:13], exec
	v_lshl_add_u64 v[68:69], v[68:69], 0, 2
	v_lshl_add_u64 v[70:71], v[70:71], 0, 2
	s_andn2_b64 s[16:17], s[16:17], exec
	s_or_b64 s[36:37], s[18:19], s[12:13]
                                        ; implicit-def: $sgpr44_sgpr45
	s_branch .LBB1370_1370
.LBB1370_1373:
	s_or_b64 exec, exec, s[28:29]
	v_cndmask_b32_e64 v15, v15, v67, s[34:35]
	v_cndmask_b32_e64 v14, v14, v66, s[34:35]
.LBB1370_1374:
	s_or_b64 exec, exec, s[26:27]
	v_mov_b64_e32 v[66:67], v[14:15]
.LBB1370_1375:
	s_or_b64 exec, exec, s[24:25]
	v_mov_b64_e32 v[14:15], v[66:67]
.LBB1370_1376:
	s_or_b64 exec, exec, s[22:23]
.LBB1370_1377:
	s_or_b64 exec, exec, s[20:21]
	s_movk_i32 s68, 0x80
	v_cmp_lt_u32_e64 s[12:13], s68, v0
	; wave barrier
	s_waitcnt lgkmcnt(0)
	s_barrier
	s_and_saveexec_b64 s[20:21], s[12:13]
	s_cbranch_execz .LBB1370_1475
; %bb.1378:
	v_lshlrev_b32_e32 v66, 3, v30
	v_mov_b32_e32 v67, 0
	v_lshl_add_u64 v[68:69], v[10:11], 0, v[66:67]
	s_mov_b64 s[22:23], 0
	s_branch .LBB1370_1384
.LBB1370_1379:                          ;   in Loop: Header=BB1370_1384 Depth=1
	s_or_b64 exec, exec, s[54:55]
	v_cndmask_b32_e64 v15, v15, v17, s[56:57]
	v_cndmask_b32_e64 v14, v14, v16, s[56:57]
.LBB1370_1380:                          ;   in Loop: Header=BB1370_1384 Depth=1
	s_or_b64 exec, exec, s[52:53]
	v_mov_b64_e32 v[16:17], v[14:15]
.LBB1370_1381:                          ;   in Loop: Header=BB1370_1384 Depth=1
	s_or_b64 exec, exec, s[50:51]
	v_mov_b64_e32 v[14:15], v[16:17]
.LBB1370_1382:                          ;   in Loop: Header=BB1370_1384 Depth=1
	s_or_b64 exec, exec, s[48:49]
	v_cndmask_b32_e64 v19, v100, v102, s[46:47]
	v_cndmask_b32_e64 v18, v101, v103, s[46:47]
	;; [unrolled: 1-line block ×14, first 2 shown]
.LBB1370_1383:                          ;   in Loop: Header=BB1370_1384 Depth=1
	s_or_b64 exec, exec, s[24:25]
	v_cmp_ge_u32_e64 s[12:13], s68, v0
	s_or_b64 s[22:23], s[12:13], s[22:23]
	s_barrier
	s_andn2_b64 exec, exec, s[22:23]
	s_cbranch_execz .LBB1370_1474
.LBB1370_1384:                          ; =>This Loop Header: Depth=1
                                        ;     Child Loop BB1370_1388 Depth 2
                                        ;       Child Loop BB1370_1391 Depth 3
                                        ;     Child Loop BB1370_1403 Depth 2
                                        ;     Child Loop BB1370_1412 Depth 2
	;; [unrolled: 1-line block ×8, first 2 shown]
	s_mov_b32 s12, s68
	s_lshl_b32 s68, s68, 1
	s_sub_i32 s16, 0, s68
	v_and_b32_e32 v31, s16, v30
	v_add_u32_e32 v1, s12, v31
	v_min_u32_e32 v70, v1, v0
	s_add_i32 s13, s68, -1
	v_add_u32_e32 v1, s12, v70
	v_min_u32_e32 v1, v1, v0
	v_and_b32_e32 v66, s13, v30
	v_min_u32_e32 v100, v66, v0
	v_sub_u32_e32 v66, v70, v31
	v_sub_u32_e32 v71, v1, v70
	v_sub_u32_e64 v101, v100, v71 clamp
	v_min_u32_e32 v102, v100, v66
	v_cmp_lt_u32_e64 s[12:13], v101, v102
	flat_store_dwordx4 v[68:69], v[24:27]
	flat_store_dwordx4 v[68:69], v[20:23] offset:16
	flat_store_dwordx4 v[68:69], v[16:19] offset:32
	;; [unrolled: 1-line block ×3, first 2 shown]
	s_waitcnt lgkmcnt(0)
	s_barrier
	s_and_saveexec_b64 s[24:25], s[12:13]
	s_cbranch_execz .LBB1370_1394
; %bb.1385:                             ;   in Loop: Header=BB1370_1384 Depth=1
	v_lshlrev_b32_e32 v66, 3, v31
	v_mov_b32_e32 v71, v67
	v_lshl_add_u64 v[80:81], v[10:11], 0, v[66:67]
	v_lshl_add_u64 v[82:83], v[70:71], 3, v[10:11]
	s_mov_b64 s[26:27], 0
	s_branch .LBB1370_1388
.LBB1370_1386:                          ;   in Loop: Header=BB1370_1388 Depth=2
	s_or_b64 exec, exec, s[34:35]
	s_and_b64 s[12:13], s[36:37], exec
.LBB1370_1387:                          ;   in Loop: Header=BB1370_1388 Depth=2
	s_or_b64 exec, exec, s[28:29]
	v_add_u32_e32 v66, 1, v84
	v_cndmask_b32_e64 v102, v102, v84, s[12:13]
	v_cndmask_b32_e64 v101, v66, v101, s[12:13]
	v_cmp_ge_u32_e64 s[12:13], v101, v102
	s_or_b64 s[26:27], s[12:13], s[26:27]
	s_andn2_b64 exec, exec, s[26:27]
	s_cbranch_execz .LBB1370_1393
.LBB1370_1388:                          ;   Parent Loop BB1370_1384 Depth=1
                                        ; =>  This Loop Header: Depth=2
                                        ;       Child Loop BB1370_1391 Depth 3
	v_add_u32_e32 v66, v102, v101
	v_lshrrev_b32_e32 v84, 1, v66
	s_mov_b64 s[12:13], 0
	s_and_saveexec_b64 s[28:29], s[8:9]
	s_cbranch_execz .LBB1370_1387
; %bb.1389:                             ;   in Loop: Header=BB1370_1388 Depth=2
	v_mov_b32_e32 v85, v67
	v_xad_u32 v66, v84, -1, v100
	v_lshl_add_u64 v[86:87], v[84:85], 3, v[80:81]
	v_lshl_add_u64 v[96:97], v[66:67], 3, v[82:83]
	flat_load_dwordx2 v[86:87], v[86:87]
	s_mov_b64 s[34:35], 0
	flat_load_dwordx2 v[96:97], v[96:97]
                                        ; implicit-def: $sgpr36_sgpr37
                                        ; implicit-def: $sgpr42_sgpr43
                                        ; implicit-def: $sgpr44_sgpr45
                                        ; implicit-def: $sgpr16_sgpr17
                                        ; implicit-def: $sgpr46_sgpr47
	s_waitcnt vmcnt(0) lgkmcnt(0)
	v_mul_lo_u32 v66, v64, v87
	v_mul_lo_u32 v71, v65, v86
	v_mad_u64_u32 v[86:87], s[12:13], v64, v86, v[8:9]
	v_mul_lo_u32 v85, v64, v97
	v_mul_lo_u32 v98, v65, v96
	v_mad_u64_u32 v[96:97], s[12:13], v64, v96, v[8:9]
	v_add3_u32 v87, v71, v87, v66
	v_add3_u32 v97, v98, v97, v85
	v_mov_b64_e32 v[98:99], v[6:7]
	s_branch .LBB1370_1391
.LBB1370_1390:                          ;   in Loop: Header=BB1370_1391 Depth=3
	s_or_b64 exec, exec, s[48:49]
	s_and_b64 s[12:13], exec, s[42:43]
	s_or_b64 s[34:35], s[12:13], s[34:35]
	s_andn2_b64 s[12:13], s[46:47], exec
	s_and_b64 s[18:19], s[44:45], exec
	s_or_b64 s[46:47], s[12:13], s[18:19]
	s_andn2_b64 s[12:13], s[36:37], exec
	s_and_b64 s[18:19], s[16:17], exec
	s_or_b64 s[36:37], s[12:13], s[18:19]
	s_andn2_b64 exec, exec, s[34:35]
	s_cbranch_execz .LBB1370_1386
.LBB1370_1391:                          ;   Parent Loop BB1370_1384 Depth=1
                                        ;     Parent Loop BB1370_1388 Depth=2
                                        ; =>    This Inner Loop Header: Depth=3
	flat_load_ushort v66, v[96:97]
	flat_load_ushort v71, v[86:87]
	s_andn2_b64 s[48:49], s[16:17], exec
	s_andn2_b64 s[44:45], s[44:45], exec
	s_or_b64 s[42:43], s[42:43], exec
	s_waitcnt vmcnt(0) lgkmcnt(0)
	v_cmp_le_u16_e64 s[16:17], v66, v71
	v_cmp_lt_u16_e64 s[12:13], v66, v71
	s_and_b64 s[16:17], s[16:17], s[46:47]
	s_or_b64 s[50:51], s[12:13], s[16:17]
	s_and_b64 s[12:13], s[50:51], exec
	v_cmp_eq_u16_e64 s[18:19], v66, v71
	s_or_b64 s[16:17], s[48:49], s[12:13]
	s_and_saveexec_b64 s[48:49], s[18:19]
	s_cbranch_execz .LBB1370_1390
; %bb.1392:                             ;   in Loop: Header=BB1370_1391 Depth=3
	v_lshl_add_u64 v[98:99], v[98:99], 0, -1
	v_cmp_eq_u64_e64 s[12:13], 0, v[98:99]
	s_andn2_b64 s[18:19], s[44:45], exec
	s_and_b64 s[44:45], s[50:51], exec
	s_or_b64 s[44:45], s[18:19], s[44:45]
	s_andn2_b64 s[18:19], s[42:43], exec
	s_and_b64 s[12:13], s[12:13], exec
	v_lshl_add_u64 v[86:87], v[86:87], 0, 2
	v_lshl_add_u64 v[96:97], v[96:97], 0, 2
	s_andn2_b64 s[16:17], s[16:17], exec
	s_or_b64 s[42:43], s[18:19], s[12:13]
                                        ; implicit-def: $sgpr46_sgpr47
	s_branch .LBB1370_1390
.LBB1370_1393:                          ;   in Loop: Header=BB1370_1384 Depth=1
	s_or_b64 exec, exec, s[26:27]
.LBB1370_1394:                          ;   in Loop: Header=BB1370_1384 Depth=1
	s_or_b64 exec, exec, s[24:25]
	v_sub_u32_e32 v66, v100, v101
	v_add_u32_e32 v80, v101, v31
	v_add_u32_e32 v82, v66, v70
	v_cmp_le_u32_e64 s[12:13], v80, v70
	v_cmp_le_u32_e64 s[16:17], v82, v1
	s_or_b64 s[12:13], s[12:13], s[16:17]
	s_and_saveexec_b64 s[24:25], s[12:13]
	s_cbranch_execz .LBB1370_1383
; %bb.1395:                             ;   in Loop: Header=BB1370_1384 Depth=1
	v_cmp_ge_u32_e64 s[16:17], v80, v70
	v_cmp_lt_u32_e64 s[12:13], v80, v70
                                        ; implicit-def: $vgpr12_vgpr13
	s_and_saveexec_b64 s[18:19], s[12:13]
	s_cbranch_execz .LBB1370_1397
; %bb.1396:                             ;   in Loop: Header=BB1370_1384 Depth=1
	v_mov_b32_e32 v81, v67
	v_lshl_add_u64 v[12:13], v[80:81], 3, v[10:11]
	flat_load_dwordx2 v[12:13], v[12:13]
.LBB1370_1397:                          ;   in Loop: Header=BB1370_1384 Depth=1
	s_or_b64 exec, exec, s[18:19]
	v_cmp_ge_u32_e64 s[26:27], v82, v1
	v_cmp_lt_u32_e64 s[12:13], v82, v1
                                        ; implicit-def: $vgpr24_vgpr25
	s_and_saveexec_b64 s[18:19], s[12:13]
	s_cbranch_execz .LBB1370_1399
; %bb.1398:                             ;   in Loop: Header=BB1370_1384 Depth=1
	v_mov_b32_e32 v83, v67
	v_lshl_add_u64 v[14:15], v[82:83], 3, v[10:11]
	flat_load_dwordx2 v[24:25], v[14:15]
.LBB1370_1399:                          ;   in Loop: Header=BB1370_1384 Depth=1
	s_or_b64 exec, exec, s[18:19]
	s_or_b64 s[12:13], s[16:17], s[26:27]
	s_xor_b64 s[12:13], s[12:13], -1
	s_and_saveexec_b64 s[28:29], s[12:13]
	s_cbranch_execz .LBB1370_1407
; %bb.1400:                             ;   in Loop: Header=BB1370_1384 Depth=1
	s_mov_b64 s[12:13], 0
	s_and_saveexec_b64 s[34:35], s[8:9]
	s_cbranch_execz .LBB1370_1406
; %bb.1401:                             ;   in Loop: Header=BB1370_1384 Depth=1
	s_waitcnt vmcnt(0) lgkmcnt(0)
	v_mad_u64_u32 v[14:15], s[12:13], v64, v12, v[8:9]
	v_mul_lo_u32 v16, v64, v13
	v_mul_lo_u32 v17, v65, v12
	v_add3_u32 v15, v17, v15, v16
	v_mad_u64_u32 v[16:17], s[12:13], v64, v24, v[8:9]
	v_mul_lo_u32 v18, v64, v25
	v_mul_lo_u32 v19, v65, v24
	v_add3_u32 v17, v19, v17, v18
	s_mov_b64 s[36:37], 0
	v_mov_b64_e32 v[18:19], v[6:7]
                                        ; implicit-def: $sgpr42_sgpr43
                                        ; implicit-def: $sgpr44_sgpr45
                                        ; implicit-def: $sgpr46_sgpr47
                                        ; implicit-def: $sgpr16_sgpr17
                                        ; implicit-def: $sgpr48_sgpr49
	s_branch .LBB1370_1403
.LBB1370_1402:                          ;   in Loop: Header=BB1370_1403 Depth=2
	s_or_b64 exec, exec, s[50:51]
	s_and_b64 s[12:13], exec, s[44:45]
	s_or_b64 s[36:37], s[12:13], s[36:37]
	s_andn2_b64 s[12:13], s[48:49], exec
	s_and_b64 s[18:19], s[46:47], exec
	s_or_b64 s[48:49], s[12:13], s[18:19]
	s_andn2_b64 s[12:13], s[42:43], exec
	s_and_b64 s[18:19], s[16:17], exec
	s_or_b64 s[42:43], s[12:13], s[18:19]
	s_andn2_b64 exec, exec, s[36:37]
	s_cbranch_execz .LBB1370_1405
.LBB1370_1403:                          ;   Parent Loop BB1370_1384 Depth=1
                                        ; =>  This Inner Loop Header: Depth=2
	flat_load_ushort v20, v[16:17]
	flat_load_ushort v21, v[14:15]
	s_andn2_b64 s[50:51], s[16:17], exec
	s_andn2_b64 s[46:47], s[46:47], exec
	s_or_b64 s[44:45], s[44:45], exec
	s_waitcnt vmcnt(0) lgkmcnt(0)
	v_cmp_le_u16_e64 s[16:17], v20, v21
	v_cmp_lt_u16_e64 s[12:13], v20, v21
	s_and_b64 s[16:17], s[16:17], s[48:49]
	s_or_b64 s[52:53], s[12:13], s[16:17]
	s_and_b64 s[12:13], s[52:53], exec
	v_cmp_eq_u16_e64 s[18:19], v20, v21
	s_or_b64 s[16:17], s[50:51], s[12:13]
	s_and_saveexec_b64 s[50:51], s[18:19]
	s_cbranch_execz .LBB1370_1402
; %bb.1404:                             ;   in Loop: Header=BB1370_1403 Depth=2
	v_lshl_add_u64 v[18:19], v[18:19], 0, -1
	v_cmp_eq_u64_e64 s[12:13], 0, v[18:19]
	s_andn2_b64 s[18:19], s[46:47], exec
	s_and_b64 s[46:47], s[52:53], exec
	s_or_b64 s[46:47], s[18:19], s[46:47]
	s_andn2_b64 s[18:19], s[44:45], exec
	s_and_b64 s[12:13], s[12:13], exec
	v_lshl_add_u64 v[14:15], v[14:15], 0, 2
	v_lshl_add_u64 v[16:17], v[16:17], 0, 2
	s_andn2_b64 s[16:17], s[16:17], exec
	s_or_b64 s[44:45], s[18:19], s[12:13]
                                        ; implicit-def: $sgpr48_sgpr49
	s_branch .LBB1370_1402
.LBB1370_1405:                          ;   in Loop: Header=BB1370_1384 Depth=1
	s_or_b64 exec, exec, s[36:37]
	s_and_b64 s[12:13], s[42:43], exec
.LBB1370_1406:                          ;   in Loop: Header=BB1370_1384 Depth=1
	s_or_b64 exec, exec, s[34:35]
	s_xor_b64 s[12:13], s[12:13], -1
	s_andn2_b64 s[16:17], s[26:27], exec
	s_and_b64 s[12:13], s[12:13], exec
	s_or_b64 s[26:27], s[16:17], s[12:13]
.LBB1370_1407:                          ;   in Loop: Header=BB1370_1384 Depth=1
	s_or_b64 exec, exec, s[28:29]
	v_cndmask_b32_e64 v14, v82, v80, s[26:27]
	v_cndmask_b32_e64 v15, v1, v70, s[26:27]
	v_add_u32_e32 v16, 1, v14
	v_add_u32_e32 v14, -1, v15
	v_min_u32_e32 v66, v16, v14
	v_lshl_add_u64 v[14:15], v[66:67], 3, v[10:11]
	flat_load_dwordx2 v[14:15], v[14:15]
	v_cndmask_b32_e64 v20, v16, v82, s[26:27]
	s_mov_b64 s[28:29], -1
	v_cndmask_b32_e64 v21, v80, v16, s[26:27]
	v_cmp_lt_u32_e64 s[12:13], v20, v1
	s_mov_b64 s[34:35], -1
	s_waitcnt vmcnt(0) lgkmcnt(0)
	v_cndmask_b32_e64 v26, v15, v25, s[26:27]
	v_cndmask_b32_e64 v31, v14, v24, s[26:27]
	;; [unrolled: 1-line block ×4, first 2 shown]
	s_and_saveexec_b64 s[36:37], s[12:13]
	s_cbranch_execz .LBB1370_1417
; %bb.1408:                             ;   in Loop: Header=BB1370_1384 Depth=1
	v_cmp_lt_u32_e64 s[12:13], v21, v70
	s_mov_b64 s[16:17], 0
	s_and_saveexec_b64 s[34:35], s[12:13]
	s_cbranch_execz .LBB1370_1416
; %bb.1409:                             ;   in Loop: Header=BB1370_1384 Depth=1
	s_mov_b64 s[12:13], 0
	s_and_saveexec_b64 s[42:43], s[8:9]
	s_cbranch_execz .LBB1370_1415
; %bb.1410:                             ;   in Loop: Header=BB1370_1384 Depth=1
	v_mad_u64_u32 v[14:15], s[12:13], v64, v71, v[8:9]
	v_mul_lo_u32 v16, v64, v27
	v_mul_lo_u32 v17, v65, v71
	v_add3_u32 v15, v17, v15, v16
	v_mad_u64_u32 v[16:17], s[12:13], v64, v31, v[8:9]
	v_mul_lo_u32 v18, v64, v26
	v_mul_lo_u32 v19, v65, v31
	v_add3_u32 v17, v19, v17, v18
	s_mov_b64 s[44:45], 0
	v_mov_b64_e32 v[18:19], v[6:7]
                                        ; implicit-def: $sgpr46_sgpr47
                                        ; implicit-def: $sgpr48_sgpr49
                                        ; implicit-def: $sgpr50_sgpr51
                                        ; implicit-def: $sgpr16_sgpr17
                                        ; implicit-def: $sgpr52_sgpr53
	s_branch .LBB1370_1412
.LBB1370_1411:                          ;   in Loop: Header=BB1370_1412 Depth=2
	s_or_b64 exec, exec, s[54:55]
	s_and_b64 s[12:13], exec, s[48:49]
	s_or_b64 s[44:45], s[12:13], s[44:45]
	s_andn2_b64 s[12:13], s[52:53], exec
	s_and_b64 s[18:19], s[50:51], exec
	s_or_b64 s[52:53], s[12:13], s[18:19]
	s_andn2_b64 s[12:13], s[46:47], exec
	s_and_b64 s[18:19], s[16:17], exec
	s_or_b64 s[46:47], s[12:13], s[18:19]
	s_andn2_b64 exec, exec, s[44:45]
	s_cbranch_execz .LBB1370_1414
.LBB1370_1412:                          ;   Parent Loop BB1370_1384 Depth=1
                                        ; =>  This Inner Loop Header: Depth=2
	flat_load_ushort v22, v[16:17]
	flat_load_ushort v23, v[14:15]
	s_andn2_b64 s[54:55], s[16:17], exec
	s_andn2_b64 s[50:51], s[50:51], exec
	s_or_b64 s[48:49], s[48:49], exec
	s_waitcnt vmcnt(0) lgkmcnt(0)
	v_cmp_le_u16_e64 s[16:17], v22, v23
	v_cmp_lt_u16_e64 s[12:13], v22, v23
	s_and_b64 s[16:17], s[16:17], s[52:53]
	s_or_b64 s[56:57], s[12:13], s[16:17]
	s_and_b64 s[12:13], s[56:57], exec
	v_cmp_eq_u16_e64 s[18:19], v22, v23
	s_or_b64 s[16:17], s[54:55], s[12:13]
	s_and_saveexec_b64 s[54:55], s[18:19]
	s_cbranch_execz .LBB1370_1411
; %bb.1413:                             ;   in Loop: Header=BB1370_1412 Depth=2
	v_lshl_add_u64 v[18:19], v[18:19], 0, -1
	v_cmp_eq_u64_e64 s[12:13], 0, v[18:19]
	s_andn2_b64 s[18:19], s[50:51], exec
	s_and_b64 s[50:51], s[56:57], exec
	s_or_b64 s[50:51], s[18:19], s[50:51]
	s_andn2_b64 s[18:19], s[48:49], exec
	s_and_b64 s[12:13], s[12:13], exec
	v_lshl_add_u64 v[14:15], v[14:15], 0, 2
	v_lshl_add_u64 v[16:17], v[16:17], 0, 2
	s_andn2_b64 s[16:17], s[16:17], exec
	s_or_b64 s[48:49], s[18:19], s[12:13]
                                        ; implicit-def: $sgpr52_sgpr53
	s_branch .LBB1370_1411
.LBB1370_1414:                          ;   in Loop: Header=BB1370_1384 Depth=1
	s_or_b64 exec, exec, s[44:45]
	s_and_b64 s[12:13], s[46:47], exec
.LBB1370_1415:                          ;   in Loop: Header=BB1370_1384 Depth=1
	s_or_b64 exec, exec, s[42:43]
	s_xor_b64 s[12:13], s[12:13], -1
	s_and_b64 s[16:17], s[12:13], exec
.LBB1370_1416:                          ;   in Loop: Header=BB1370_1384 Depth=1
	s_or_b64 exec, exec, s[34:35]
	s_orn2_b64 s[34:35], s[16:17], exec
.LBB1370_1417:                          ;   in Loop: Header=BB1370_1384 Depth=1
	s_or_b64 exec, exec, s[36:37]
	v_cndmask_b32_e64 v14, v20, v21, s[34:35]
	v_cndmask_b32_e64 v15, v1, v70, s[34:35]
	v_add_u32_e32 v16, 1, v14
	v_add_u32_e32 v14, -1, v15
	v_min_u32_e32 v66, v16, v14
	v_lshl_add_u64 v[14:15], v[66:67], 3, v[10:11]
	flat_load_dwordx2 v[14:15], v[14:15]
	v_cndmask_b32_e64 v20, v16, v20, s[34:35]
	v_cndmask_b32_e64 v21, v21, v16, s[34:35]
	v_cmp_lt_u32_e64 s[12:13], v20, v1
	s_waitcnt vmcnt(0) lgkmcnt(0)
	v_cndmask_b32_e64 v80, v15, v26, s[34:35]
	v_cndmask_b32_e64 v81, v14, v31, s[34:35]
	;; [unrolled: 1-line block ×4, first 2 shown]
	s_and_saveexec_b64 s[36:37], s[12:13]
	s_cbranch_execz .LBB1370_1427
; %bb.1418:                             ;   in Loop: Header=BB1370_1384 Depth=1
	v_cmp_lt_u32_e64 s[12:13], v21, v70
	s_mov_b64 s[16:17], 0
	s_and_saveexec_b64 s[28:29], s[12:13]
	s_cbranch_execz .LBB1370_1426
; %bb.1419:                             ;   in Loop: Header=BB1370_1384 Depth=1
	s_mov_b64 s[12:13], 0
	s_and_saveexec_b64 s[42:43], s[8:9]
	s_cbranch_execz .LBB1370_1425
; %bb.1420:                             ;   in Loop: Header=BB1370_1384 Depth=1
	v_mad_u64_u32 v[14:15], s[12:13], v64, v83, v[8:9]
	v_mul_lo_u32 v16, v64, v82
	v_mul_lo_u32 v17, v65, v83
	v_add3_u32 v15, v17, v15, v16
	v_mad_u64_u32 v[16:17], s[12:13], v64, v81, v[8:9]
	v_mul_lo_u32 v18, v64, v80
	v_mul_lo_u32 v19, v65, v81
	v_add3_u32 v17, v19, v17, v18
	s_mov_b64 s[44:45], 0
	v_mov_b64_e32 v[18:19], v[6:7]
                                        ; implicit-def: $sgpr46_sgpr47
                                        ; implicit-def: $sgpr48_sgpr49
                                        ; implicit-def: $sgpr50_sgpr51
                                        ; implicit-def: $sgpr16_sgpr17
                                        ; implicit-def: $sgpr52_sgpr53
	s_branch .LBB1370_1422
.LBB1370_1421:                          ;   in Loop: Header=BB1370_1422 Depth=2
	s_or_b64 exec, exec, s[54:55]
	s_and_b64 s[12:13], exec, s[48:49]
	s_or_b64 s[44:45], s[12:13], s[44:45]
	s_andn2_b64 s[12:13], s[52:53], exec
	s_and_b64 s[18:19], s[50:51], exec
	s_or_b64 s[52:53], s[12:13], s[18:19]
	s_andn2_b64 s[12:13], s[46:47], exec
	s_and_b64 s[18:19], s[16:17], exec
	s_or_b64 s[46:47], s[12:13], s[18:19]
	s_andn2_b64 exec, exec, s[44:45]
	s_cbranch_execz .LBB1370_1424
.LBB1370_1422:                          ;   Parent Loop BB1370_1384 Depth=1
                                        ; =>  This Inner Loop Header: Depth=2
	flat_load_ushort v22, v[16:17]
	flat_load_ushort v23, v[14:15]
	s_andn2_b64 s[54:55], s[16:17], exec
	s_andn2_b64 s[50:51], s[50:51], exec
	s_or_b64 s[48:49], s[48:49], exec
	s_waitcnt vmcnt(0) lgkmcnt(0)
	v_cmp_le_u16_e64 s[16:17], v22, v23
	v_cmp_lt_u16_e64 s[12:13], v22, v23
	s_and_b64 s[16:17], s[16:17], s[52:53]
	s_or_b64 s[56:57], s[12:13], s[16:17]
	s_and_b64 s[12:13], s[56:57], exec
	v_cmp_eq_u16_e64 s[18:19], v22, v23
	s_or_b64 s[16:17], s[54:55], s[12:13]
	s_and_saveexec_b64 s[54:55], s[18:19]
	s_cbranch_execz .LBB1370_1421
; %bb.1423:                             ;   in Loop: Header=BB1370_1422 Depth=2
	v_lshl_add_u64 v[18:19], v[18:19], 0, -1
	v_cmp_eq_u64_e64 s[12:13], 0, v[18:19]
	s_andn2_b64 s[18:19], s[50:51], exec
	s_and_b64 s[50:51], s[56:57], exec
	s_or_b64 s[50:51], s[18:19], s[50:51]
	s_andn2_b64 s[18:19], s[48:49], exec
	s_and_b64 s[12:13], s[12:13], exec
	v_lshl_add_u64 v[14:15], v[14:15], 0, 2
	v_lshl_add_u64 v[16:17], v[16:17], 0, 2
	s_andn2_b64 s[16:17], s[16:17], exec
	s_or_b64 s[48:49], s[18:19], s[12:13]
                                        ; implicit-def: $sgpr52_sgpr53
	s_branch .LBB1370_1421
.LBB1370_1424:                          ;   in Loop: Header=BB1370_1384 Depth=1
	s_or_b64 exec, exec, s[44:45]
	s_and_b64 s[12:13], s[46:47], exec
.LBB1370_1425:                          ;   in Loop: Header=BB1370_1384 Depth=1
	s_or_b64 exec, exec, s[42:43]
	s_xor_b64 s[12:13], s[12:13], -1
	s_and_b64 s[16:17], s[12:13], exec
.LBB1370_1426:                          ;   in Loop: Header=BB1370_1384 Depth=1
	s_or_b64 exec, exec, s[28:29]
	s_orn2_b64 s[28:29], s[16:17], exec
.LBB1370_1427:                          ;   in Loop: Header=BB1370_1384 Depth=1
	s_or_b64 exec, exec, s[36:37]
	v_cndmask_b32_e64 v14, v20, v21, s[28:29]
	v_cndmask_b32_e64 v15, v1, v70, s[28:29]
	v_add_u32_e32 v16, 1, v14
	v_add_u32_e32 v14, -1, v15
	v_min_u32_e32 v66, v16, v14
	v_lshl_add_u64 v[14:15], v[66:67], 3, v[10:11]
	flat_load_dwordx2 v[14:15], v[14:15]
	v_cndmask_b32_e64 v20, v16, v20, s[28:29]
	s_mov_b64 s[36:37], -1
	v_cndmask_b32_e64 v21, v21, v16, s[28:29]
	v_cmp_lt_u32_e64 s[12:13], v20, v1
	s_mov_b64 s[42:43], -1
	s_waitcnt vmcnt(0) lgkmcnt(0)
	v_cndmask_b32_e64 v84, v15, v80, s[28:29]
	v_cndmask_b32_e64 v85, v14, v81, s[28:29]
	;; [unrolled: 1-line block ×4, first 2 shown]
	s_and_saveexec_b64 s[44:45], s[12:13]
	s_cbranch_execz .LBB1370_1437
; %bb.1428:                             ;   in Loop: Header=BB1370_1384 Depth=1
	v_cmp_lt_u32_e64 s[12:13], v21, v70
	s_mov_b64 s[16:17], 0
	s_and_saveexec_b64 s[42:43], s[12:13]
	s_cbranch_execz .LBB1370_1436
; %bb.1429:                             ;   in Loop: Header=BB1370_1384 Depth=1
	s_mov_b64 s[12:13], -1
	s_and_saveexec_b64 s[46:47], s[8:9]
	s_cbranch_execz .LBB1370_1435
; %bb.1430:                             ;   in Loop: Header=BB1370_1384 Depth=1
	v_mad_u64_u32 v[14:15], s[12:13], v64, v87, v[8:9]
	v_mul_lo_u32 v16, v64, v86
	v_mul_lo_u32 v17, v65, v87
	v_add3_u32 v15, v17, v15, v16
	v_mad_u64_u32 v[16:17], s[12:13], v64, v85, v[8:9]
	v_mul_lo_u32 v18, v64, v84
	v_mul_lo_u32 v19, v65, v85
	v_add3_u32 v17, v19, v17, v18
	s_mov_b64 s[48:49], 0
	v_mov_b64_e32 v[18:19], v[6:7]
                                        ; implicit-def: $sgpr50_sgpr51
                                        ; implicit-def: $sgpr52_sgpr53
                                        ; implicit-def: $sgpr16_sgpr17
                                        ; implicit-def: $sgpr54_sgpr55
                                        ; implicit-def: $sgpr56_sgpr57
	s_branch .LBB1370_1432
.LBB1370_1431:                          ;   in Loop: Header=BB1370_1432 Depth=2
	s_or_b64 exec, exec, s[58:59]
	s_and_b64 s[12:13], exec, s[52:53]
	s_or_b64 s[48:49], s[12:13], s[48:49]
	s_andn2_b64 s[12:13], s[56:57], exec
	s_and_b64 s[18:19], s[54:55], exec
	s_or_b64 s[56:57], s[12:13], s[18:19]
	s_andn2_b64 s[12:13], s[50:51], exec
	s_and_b64 s[18:19], s[16:17], exec
	s_or_b64 s[50:51], s[12:13], s[18:19]
	s_andn2_b64 exec, exec, s[48:49]
	s_cbranch_execz .LBB1370_1434
.LBB1370_1432:                          ;   Parent Loop BB1370_1384 Depth=1
                                        ; =>  This Inner Loop Header: Depth=2
	flat_load_ushort v22, v[16:17]
	flat_load_ushort v23, v[14:15]
	s_andn2_b64 s[58:59], s[16:17], exec
	s_andn2_b64 s[54:55], s[54:55], exec
	s_or_b64 s[52:53], s[52:53], exec
	s_waitcnt vmcnt(0) lgkmcnt(0)
	v_cmp_le_u16_e64 s[16:17], v22, v23
	v_cmp_lt_u16_e64 s[12:13], v22, v23
	s_and_b64 s[16:17], s[16:17], s[56:57]
	s_or_b64 s[60:61], s[12:13], s[16:17]
	s_and_b64 s[12:13], s[60:61], exec
	v_cmp_eq_u16_e64 s[18:19], v22, v23
	s_or_b64 s[16:17], s[58:59], s[12:13]
	s_and_saveexec_b64 s[58:59], s[18:19]
	s_cbranch_execz .LBB1370_1431
; %bb.1433:                             ;   in Loop: Header=BB1370_1432 Depth=2
	v_lshl_add_u64 v[18:19], v[18:19], 0, -1
	v_cmp_eq_u64_e64 s[12:13], 0, v[18:19]
	s_andn2_b64 s[18:19], s[54:55], exec
	s_and_b64 s[54:55], s[60:61], exec
	s_or_b64 s[54:55], s[18:19], s[54:55]
	s_andn2_b64 s[18:19], s[52:53], exec
	s_and_b64 s[12:13], s[12:13], exec
	v_lshl_add_u64 v[14:15], v[14:15], 0, 2
	v_lshl_add_u64 v[16:17], v[16:17], 0, 2
	s_andn2_b64 s[16:17], s[16:17], exec
	s_or_b64 s[52:53], s[18:19], s[12:13]
                                        ; implicit-def: $sgpr56_sgpr57
	s_branch .LBB1370_1431
.LBB1370_1434:                          ;   in Loop: Header=BB1370_1384 Depth=1
	s_or_b64 exec, exec, s[48:49]
	s_xor_b64 s[12:13], s[50:51], -1
	s_orn2_b64 s[12:13], s[12:13], exec
.LBB1370_1435:                          ;   in Loop: Header=BB1370_1384 Depth=1
	s_or_b64 exec, exec, s[46:47]
	s_and_b64 s[16:17], s[12:13], exec
.LBB1370_1436:                          ;   in Loop: Header=BB1370_1384 Depth=1
	s_or_b64 exec, exec, s[42:43]
	s_orn2_b64 s[42:43], s[16:17], exec
.LBB1370_1437:                          ;   in Loop: Header=BB1370_1384 Depth=1
	s_or_b64 exec, exec, s[44:45]
	v_cndmask_b32_e64 v14, v20, v21, s[42:43]
	v_cndmask_b32_e64 v15, v1, v70, s[42:43]
	v_add_u32_e32 v16, 1, v14
	v_add_u32_e32 v14, -1, v15
	v_min_u32_e32 v66, v16, v14
	v_lshl_add_u64 v[14:15], v[66:67], 3, v[10:11]
	flat_load_dwordx2 v[14:15], v[14:15]
	v_cndmask_b32_e64 v20, v16, v20, s[42:43]
	v_cndmask_b32_e64 v21, v21, v16, s[42:43]
	v_cmp_lt_u32_e64 s[12:13], v20, v1
	s_waitcnt vmcnt(0) lgkmcnt(0)
	v_cndmask_b32_e64 v96, v15, v84, s[42:43]
	v_cndmask_b32_e64 v97, v14, v85, s[42:43]
	;; [unrolled: 1-line block ×4, first 2 shown]
	s_and_saveexec_b64 s[44:45], s[12:13]
	s_cbranch_execz .LBB1370_1447
; %bb.1438:                             ;   in Loop: Header=BB1370_1384 Depth=1
	v_cmp_lt_u32_e64 s[12:13], v21, v70
	s_mov_b64 s[16:17], 0
	s_and_saveexec_b64 s[36:37], s[12:13]
	s_cbranch_execz .LBB1370_1446
; %bb.1439:                             ;   in Loop: Header=BB1370_1384 Depth=1
	s_mov_b64 s[12:13], -1
	s_and_saveexec_b64 s[46:47], s[8:9]
	s_cbranch_execz .LBB1370_1445
; %bb.1440:                             ;   in Loop: Header=BB1370_1384 Depth=1
	v_mad_u64_u32 v[14:15], s[12:13], v64, v99, v[8:9]
	v_mul_lo_u32 v16, v64, v98
	v_mul_lo_u32 v17, v65, v99
	v_add3_u32 v15, v17, v15, v16
	v_mad_u64_u32 v[16:17], s[12:13], v64, v97, v[8:9]
	v_mul_lo_u32 v18, v64, v96
	v_mul_lo_u32 v19, v65, v97
	v_add3_u32 v17, v19, v17, v18
	s_mov_b64 s[48:49], 0
	v_mov_b64_e32 v[18:19], v[6:7]
                                        ; implicit-def: $sgpr50_sgpr51
                                        ; implicit-def: $sgpr52_sgpr53
                                        ; implicit-def: $sgpr16_sgpr17
                                        ; implicit-def: $sgpr54_sgpr55
                                        ; implicit-def: $sgpr56_sgpr57
	s_branch .LBB1370_1442
.LBB1370_1441:                          ;   in Loop: Header=BB1370_1442 Depth=2
	s_or_b64 exec, exec, s[58:59]
	s_and_b64 s[12:13], exec, s[52:53]
	s_or_b64 s[48:49], s[12:13], s[48:49]
	s_andn2_b64 s[12:13], s[56:57], exec
	s_and_b64 s[18:19], s[54:55], exec
	s_or_b64 s[56:57], s[12:13], s[18:19]
	s_andn2_b64 s[12:13], s[50:51], exec
	s_and_b64 s[18:19], s[16:17], exec
	s_or_b64 s[50:51], s[12:13], s[18:19]
	s_andn2_b64 exec, exec, s[48:49]
	s_cbranch_execz .LBB1370_1444
.LBB1370_1442:                          ;   Parent Loop BB1370_1384 Depth=1
                                        ; =>  This Inner Loop Header: Depth=2
	flat_load_ushort v22, v[16:17]
	flat_load_ushort v23, v[14:15]
	s_andn2_b64 s[58:59], s[16:17], exec
	s_andn2_b64 s[54:55], s[54:55], exec
	s_or_b64 s[52:53], s[52:53], exec
	s_waitcnt vmcnt(0) lgkmcnt(0)
	v_cmp_le_u16_e64 s[16:17], v22, v23
	v_cmp_lt_u16_e64 s[12:13], v22, v23
	s_and_b64 s[16:17], s[16:17], s[56:57]
	s_or_b64 s[60:61], s[12:13], s[16:17]
	s_and_b64 s[12:13], s[60:61], exec
	v_cmp_eq_u16_e64 s[18:19], v22, v23
	s_or_b64 s[16:17], s[58:59], s[12:13]
	s_and_saveexec_b64 s[58:59], s[18:19]
	s_cbranch_execz .LBB1370_1441
; %bb.1443:                             ;   in Loop: Header=BB1370_1442 Depth=2
	v_lshl_add_u64 v[18:19], v[18:19], 0, -1
	v_cmp_eq_u64_e64 s[12:13], 0, v[18:19]
	s_andn2_b64 s[18:19], s[54:55], exec
	s_and_b64 s[54:55], s[60:61], exec
	s_or_b64 s[54:55], s[18:19], s[54:55]
	s_andn2_b64 s[18:19], s[52:53], exec
	s_and_b64 s[12:13], s[12:13], exec
	v_lshl_add_u64 v[14:15], v[14:15], 0, 2
	v_lshl_add_u64 v[16:17], v[16:17], 0, 2
	s_andn2_b64 s[16:17], s[16:17], exec
	s_or_b64 s[52:53], s[18:19], s[12:13]
                                        ; implicit-def: $sgpr56_sgpr57
	s_branch .LBB1370_1441
.LBB1370_1444:                          ;   in Loop: Header=BB1370_1384 Depth=1
	s_or_b64 exec, exec, s[48:49]
	s_xor_b64 s[12:13], s[50:51], -1
	s_orn2_b64 s[12:13], s[12:13], exec
.LBB1370_1445:                          ;   in Loop: Header=BB1370_1384 Depth=1
	s_or_b64 exec, exec, s[46:47]
	s_and_b64 s[16:17], s[12:13], exec
.LBB1370_1446:                          ;   in Loop: Header=BB1370_1384 Depth=1
	s_or_b64 exec, exec, s[36:37]
	s_orn2_b64 s[36:37], s[16:17], exec
.LBB1370_1447:                          ;   in Loop: Header=BB1370_1384 Depth=1
	s_or_b64 exec, exec, s[44:45]
	v_cndmask_b32_e64 v14, v20, v21, s[36:37]
	v_cndmask_b32_e64 v15, v1, v70, s[36:37]
	v_add_u32_e32 v16, 1, v14
	v_add_u32_e32 v14, -1, v15
	v_min_u32_e32 v66, v16, v14
	v_lshl_add_u64 v[14:15], v[66:67], 3, v[10:11]
	flat_load_dwordx2 v[14:15], v[14:15]
	v_cndmask_b32_e64 v20, v16, v20, s[36:37]
	s_mov_b64 s[44:45], -1
	v_cndmask_b32_e64 v21, v21, v16, s[36:37]
	v_cmp_lt_u32_e64 s[12:13], v20, v1
	s_mov_b64 s[46:47], -1
	s_waitcnt vmcnt(0) lgkmcnt(0)
	v_cndmask_b32_e64 v100, v15, v96, s[36:37]
	v_cndmask_b32_e64 v101, v14, v97, s[36:37]
	;; [unrolled: 1-line block ×4, first 2 shown]
	s_and_saveexec_b64 s[48:49], s[12:13]
	s_cbranch_execz .LBB1370_1457
; %bb.1448:                             ;   in Loop: Header=BB1370_1384 Depth=1
	v_cmp_lt_u32_e64 s[12:13], v21, v70
	s_mov_b64 s[16:17], 0
	s_and_saveexec_b64 s[46:47], s[12:13]
	s_cbranch_execz .LBB1370_1456
; %bb.1449:                             ;   in Loop: Header=BB1370_1384 Depth=1
	s_mov_b64 s[12:13], -1
	s_and_saveexec_b64 s[50:51], s[8:9]
	s_cbranch_execz .LBB1370_1455
; %bb.1450:                             ;   in Loop: Header=BB1370_1384 Depth=1
	v_mad_u64_u32 v[14:15], s[12:13], v64, v103, v[8:9]
	v_mul_lo_u32 v16, v64, v102
	v_mul_lo_u32 v17, v65, v103
	v_add3_u32 v15, v17, v15, v16
	v_mad_u64_u32 v[16:17], s[12:13], v64, v101, v[8:9]
	v_mul_lo_u32 v18, v64, v100
	v_mul_lo_u32 v19, v65, v101
	v_add3_u32 v17, v19, v17, v18
	s_mov_b64 s[52:53], 0
	v_mov_b64_e32 v[18:19], v[6:7]
                                        ; implicit-def: $sgpr54_sgpr55
                                        ; implicit-def: $sgpr56_sgpr57
                                        ; implicit-def: $sgpr16_sgpr17
                                        ; implicit-def: $sgpr58_sgpr59
                                        ; implicit-def: $sgpr60_sgpr61
	s_branch .LBB1370_1452
.LBB1370_1451:                          ;   in Loop: Header=BB1370_1452 Depth=2
	s_or_b64 exec, exec, s[62:63]
	s_and_b64 s[12:13], exec, s[56:57]
	s_or_b64 s[52:53], s[12:13], s[52:53]
	s_andn2_b64 s[12:13], s[60:61], exec
	s_and_b64 s[18:19], s[58:59], exec
	s_or_b64 s[60:61], s[12:13], s[18:19]
	s_andn2_b64 s[12:13], s[54:55], exec
	s_and_b64 s[18:19], s[16:17], exec
	s_or_b64 s[54:55], s[12:13], s[18:19]
	s_andn2_b64 exec, exec, s[52:53]
	s_cbranch_execz .LBB1370_1454
.LBB1370_1452:                          ;   Parent Loop BB1370_1384 Depth=1
                                        ; =>  This Inner Loop Header: Depth=2
	flat_load_ushort v22, v[16:17]
	flat_load_ushort v23, v[14:15]
	s_andn2_b64 s[62:63], s[16:17], exec
	s_andn2_b64 s[58:59], s[58:59], exec
	s_or_b64 s[56:57], s[56:57], exec
	s_waitcnt vmcnt(0) lgkmcnt(0)
	v_cmp_le_u16_e64 s[16:17], v22, v23
	v_cmp_lt_u16_e64 s[12:13], v22, v23
	s_and_b64 s[16:17], s[16:17], s[60:61]
	s_or_b64 s[64:65], s[12:13], s[16:17]
	s_and_b64 s[12:13], s[64:65], exec
	v_cmp_eq_u16_e64 s[18:19], v22, v23
	s_or_b64 s[16:17], s[62:63], s[12:13]
	s_and_saveexec_b64 s[62:63], s[18:19]
	s_cbranch_execz .LBB1370_1451
; %bb.1453:                             ;   in Loop: Header=BB1370_1452 Depth=2
	v_lshl_add_u64 v[18:19], v[18:19], 0, -1
	v_cmp_eq_u64_e64 s[12:13], 0, v[18:19]
	s_andn2_b64 s[18:19], s[58:59], exec
	s_and_b64 s[58:59], s[64:65], exec
	s_or_b64 s[58:59], s[18:19], s[58:59]
	s_andn2_b64 s[18:19], s[56:57], exec
	s_and_b64 s[12:13], s[12:13], exec
	v_lshl_add_u64 v[14:15], v[14:15], 0, 2
	v_lshl_add_u64 v[16:17], v[16:17], 0, 2
	s_andn2_b64 s[16:17], s[16:17], exec
	s_or_b64 s[56:57], s[18:19], s[12:13]
                                        ; implicit-def: $sgpr60_sgpr61
	s_branch .LBB1370_1451
.LBB1370_1454:                          ;   in Loop: Header=BB1370_1384 Depth=1
	s_or_b64 exec, exec, s[52:53]
	s_xor_b64 s[12:13], s[54:55], -1
	s_orn2_b64 s[12:13], s[12:13], exec
.LBB1370_1455:                          ;   in Loop: Header=BB1370_1384 Depth=1
	s_or_b64 exec, exec, s[50:51]
	s_and_b64 s[16:17], s[12:13], exec
.LBB1370_1456:                          ;   in Loop: Header=BB1370_1384 Depth=1
	s_or_b64 exec, exec, s[46:47]
	s_orn2_b64 s[46:47], s[16:17], exec
.LBB1370_1457:                          ;   in Loop: Header=BB1370_1384 Depth=1
	s_or_b64 exec, exec, s[48:49]
	v_cndmask_b32_e64 v14, v20, v21, s[46:47]
	v_cndmask_b32_e64 v15, v1, v70, s[46:47]
	v_add_u32_e32 v16, 1, v14
	v_add_u32_e32 v14, -1, v15
	v_min_u32_e32 v66, v16, v14
	v_lshl_add_u64 v[14:15], v[66:67], 3, v[10:11]
	flat_load_dwordx2 v[14:15], v[14:15]
	v_cndmask_b32_e64 v22, v16, v20, s[46:47]
	v_cndmask_b32_e64 v20, v21, v16, s[46:47]
	v_cmp_lt_u32_e64 s[12:13], v22, v1
	s_waitcnt vmcnt(0) lgkmcnt(0)
	v_cndmask_b32_e64 v112, v15, v100, s[46:47]
	v_cndmask_b32_e64 v113, v14, v101, s[46:47]
	;; [unrolled: 1-line block ×4, first 2 shown]
	s_and_saveexec_b64 s[48:49], s[12:13]
	s_cbranch_execz .LBB1370_1467
; %bb.1458:                             ;   in Loop: Header=BB1370_1384 Depth=1
	v_cmp_lt_u32_e64 s[12:13], v20, v70
	s_mov_b64 s[16:17], 0
	s_and_saveexec_b64 s[44:45], s[12:13]
	s_cbranch_execz .LBB1370_1466
; %bb.1459:                             ;   in Loop: Header=BB1370_1384 Depth=1
	s_mov_b64 s[12:13], -1
	s_and_saveexec_b64 s[50:51], s[8:9]
	s_cbranch_execz .LBB1370_1465
; %bb.1460:                             ;   in Loop: Header=BB1370_1384 Depth=1
	v_mad_u64_u32 v[14:15], s[12:13], v64, v115, v[8:9]
	v_mul_lo_u32 v16, v64, v114
	v_mul_lo_u32 v17, v65, v115
	v_add3_u32 v15, v17, v15, v16
	v_mad_u64_u32 v[16:17], s[12:13], v64, v113, v[8:9]
	v_mul_lo_u32 v18, v64, v112
	v_mul_lo_u32 v19, v65, v113
	v_add3_u32 v17, v19, v17, v18
	s_mov_b64 s[52:53], 0
	v_mov_b64_e32 v[18:19], v[6:7]
                                        ; implicit-def: $sgpr54_sgpr55
                                        ; implicit-def: $sgpr56_sgpr57
                                        ; implicit-def: $sgpr16_sgpr17
                                        ; implicit-def: $sgpr58_sgpr59
                                        ; implicit-def: $sgpr60_sgpr61
	s_branch .LBB1370_1462
.LBB1370_1461:                          ;   in Loop: Header=BB1370_1462 Depth=2
	s_or_b64 exec, exec, s[62:63]
	s_and_b64 s[12:13], exec, s[56:57]
	s_or_b64 s[52:53], s[12:13], s[52:53]
	s_andn2_b64 s[12:13], s[60:61], exec
	s_and_b64 s[18:19], s[58:59], exec
	s_or_b64 s[60:61], s[12:13], s[18:19]
	s_andn2_b64 s[12:13], s[54:55], exec
	s_and_b64 s[18:19], s[16:17], exec
	s_or_b64 s[54:55], s[12:13], s[18:19]
	s_andn2_b64 exec, exec, s[52:53]
	s_cbranch_execz .LBB1370_1464
.LBB1370_1462:                          ;   Parent Loop BB1370_1384 Depth=1
                                        ; =>  This Inner Loop Header: Depth=2
	flat_load_ushort v21, v[16:17]
	flat_load_ushort v23, v[14:15]
	s_andn2_b64 s[62:63], s[16:17], exec
	s_andn2_b64 s[58:59], s[58:59], exec
	s_or_b64 s[56:57], s[56:57], exec
	s_waitcnt vmcnt(0) lgkmcnt(0)
	v_cmp_le_u16_e64 s[16:17], v21, v23
	v_cmp_lt_u16_e64 s[12:13], v21, v23
	s_and_b64 s[16:17], s[16:17], s[60:61]
	s_or_b64 s[64:65], s[12:13], s[16:17]
	s_and_b64 s[12:13], s[64:65], exec
	v_cmp_eq_u16_e64 s[18:19], v21, v23
	s_or_b64 s[16:17], s[62:63], s[12:13]
	s_and_saveexec_b64 s[62:63], s[18:19]
	s_cbranch_execz .LBB1370_1461
; %bb.1463:                             ;   in Loop: Header=BB1370_1462 Depth=2
	v_lshl_add_u64 v[18:19], v[18:19], 0, -1
	v_cmp_eq_u64_e64 s[12:13], 0, v[18:19]
	s_andn2_b64 s[18:19], s[58:59], exec
	s_and_b64 s[58:59], s[64:65], exec
	s_or_b64 s[58:59], s[18:19], s[58:59]
	s_andn2_b64 s[18:19], s[56:57], exec
	s_and_b64 s[12:13], s[12:13], exec
	v_lshl_add_u64 v[14:15], v[14:15], 0, 2
	v_lshl_add_u64 v[16:17], v[16:17], 0, 2
	s_andn2_b64 s[16:17], s[16:17], exec
	s_or_b64 s[56:57], s[18:19], s[12:13]
                                        ; implicit-def: $sgpr60_sgpr61
	s_branch .LBB1370_1461
.LBB1370_1464:                          ;   in Loop: Header=BB1370_1384 Depth=1
	s_or_b64 exec, exec, s[52:53]
	s_xor_b64 s[12:13], s[54:55], -1
	s_orn2_b64 s[12:13], s[12:13], exec
.LBB1370_1465:                          ;   in Loop: Header=BB1370_1384 Depth=1
	s_or_b64 exec, exec, s[50:51]
	s_and_b64 s[16:17], s[12:13], exec
.LBB1370_1466:                          ;   in Loop: Header=BB1370_1384 Depth=1
	s_or_b64 exec, exec, s[44:45]
	s_orn2_b64 s[44:45], s[16:17], exec
.LBB1370_1467:                          ;   in Loop: Header=BB1370_1384 Depth=1
	s_or_b64 exec, exec, s[48:49]
	v_cndmask_b32_e64 v14, v22, v20, s[44:45]
	v_cndmask_b32_e64 v15, v1, v70, s[44:45]
	v_add_u32_e32 v18, 1, v14
	v_add_u32_e32 v14, -1, v15
	v_min_u32_e32 v66, v18, v14
	v_lshl_add_u64 v[14:15], v[66:67], 3, v[10:11]
	flat_load_dwordx2 v[16:17], v[14:15]
	v_cndmask_b32_e64 v19, v18, v22, s[44:45]
	v_cmp_lt_u32_e64 s[12:13], v19, v1
	s_waitcnt vmcnt(0) lgkmcnt(0)
	v_cndmask_b32_e64 v15, v114, v17, s[44:45]
	v_cndmask_b32_e64 v14, v115, v16, s[44:45]
	s_and_saveexec_b64 s[48:49], s[12:13]
	s_cbranch_execz .LBB1370_1382
; %bb.1468:                             ;   in Loop: Header=BB1370_1384 Depth=1
	v_cndmask_b32_e64 v1, v20, v18, s[44:45]
	v_cndmask_b32_e64 v17, v17, v112, s[44:45]
	;; [unrolled: 1-line block ×3, first 2 shown]
	v_cmp_lt_u32_e64 s[12:13], v1, v70
	s_and_saveexec_b64 s[50:51], s[12:13]
	s_cbranch_execz .LBB1370_1381
; %bb.1469:                             ;   in Loop: Header=BB1370_1384 Depth=1
	s_and_saveexec_b64 s[52:53], s[8:9]
	s_cbranch_execz .LBB1370_1380
; %bb.1470:                             ;   in Loop: Header=BB1370_1384 Depth=1
	v_mad_u64_u32 v[18:19], s[12:13], v64, v14, v[8:9]
	v_mul_lo_u32 v1, v64, v15
	v_mul_lo_u32 v20, v65, v14
	v_add3_u32 v19, v20, v19, v1
	v_mad_u64_u32 v[20:21], s[12:13], v64, v16, v[8:9]
	v_mul_lo_u32 v1, v64, v17
	v_mul_lo_u32 v22, v65, v16
	v_add3_u32 v21, v22, v21, v1
	s_mov_b64 s[54:55], 0
	v_mov_b64_e32 v[22:23], v[6:7]
                                        ; implicit-def: $sgpr56_sgpr57
                                        ; implicit-def: $sgpr58_sgpr59
                                        ; implicit-def: $sgpr16_sgpr17
                                        ; implicit-def: $sgpr60_sgpr61
                                        ; implicit-def: $sgpr62_sgpr63
	s_branch .LBB1370_1472
.LBB1370_1471:                          ;   in Loop: Header=BB1370_1472 Depth=2
	s_or_b64 exec, exec, s[64:65]
	s_and_b64 s[12:13], exec, s[58:59]
	s_or_b64 s[54:55], s[12:13], s[54:55]
	s_andn2_b64 s[12:13], s[62:63], exec
	s_and_b64 s[18:19], s[60:61], exec
	s_or_b64 s[62:63], s[12:13], s[18:19]
	s_andn2_b64 s[12:13], s[56:57], exec
	s_and_b64 s[18:19], s[16:17], exec
	s_or_b64 s[56:57], s[12:13], s[18:19]
	s_andn2_b64 exec, exec, s[54:55]
	s_cbranch_execz .LBB1370_1379
.LBB1370_1472:                          ;   Parent Loop BB1370_1384 Depth=1
                                        ; =>  This Inner Loop Header: Depth=2
	flat_load_ushort v1, v[20:21]
	flat_load_ushort v66, v[18:19]
	s_andn2_b64 s[64:65], s[16:17], exec
	s_andn2_b64 s[60:61], s[60:61], exec
	s_or_b64 s[58:59], s[58:59], exec
	s_waitcnt vmcnt(0) lgkmcnt(0)
	v_cmp_le_u16_e64 s[16:17], v1, v66
	v_cmp_lt_u16_e64 s[12:13], v1, v66
	s_and_b64 s[16:17], s[16:17], s[62:63]
	s_or_b64 s[66:67], s[12:13], s[16:17]
	s_and_b64 s[12:13], s[66:67], exec
	v_cmp_eq_u16_e64 s[18:19], v1, v66
	s_or_b64 s[16:17], s[64:65], s[12:13]
	s_and_saveexec_b64 s[64:65], s[18:19]
	s_cbranch_execz .LBB1370_1471
; %bb.1473:                             ;   in Loop: Header=BB1370_1472 Depth=2
	v_lshl_add_u64 v[22:23], v[22:23], 0, -1
	v_cmp_eq_u64_e64 s[12:13], 0, v[22:23]
	s_andn2_b64 s[18:19], s[60:61], exec
	s_and_b64 s[60:61], s[66:67], exec
	s_or_b64 s[60:61], s[18:19], s[60:61]
	s_andn2_b64 s[18:19], s[58:59], exec
	s_and_b64 s[12:13], s[12:13], exec
	v_lshl_add_u64 v[18:19], v[18:19], 0, 2
	v_lshl_add_u64 v[20:21], v[20:21], 0, 2
	s_andn2_b64 s[16:17], s[16:17], exec
	s_or_b64 s[58:59], s[18:19], s[12:13]
                                        ; implicit-def: $sgpr62_sgpr63
	s_branch .LBB1370_1471
.LBB1370_1474:
	s_or_b64 exec, exec, s[22:23]
.LBB1370_1475:
	s_or_b64 exec, exec, s[20:21]
	s_barrier
	flat_store_dwordx4 v[54:55], v[24:27]
	flat_store_dwordx4 v[54:55], v[20:23] offset:16
	flat_store_dwordx4 v[54:55], v[16:19] offset:32
	;; [unrolled: 1-line block ×3, first 2 shown]
	s_waitcnt lgkmcnt(0)
	s_barrier
	flat_load_dwordx2 v[18:19], v[32:33] offset:2048
	flat_load_dwordx2 v[16:17], v[34:35]
	flat_load_dwordx2 v[14:15], v[36:37]
	;; [unrolled: 1-line block ×6, first 2 shown]
	v_mov_b32_e32 v31, 0
	v_lshl_add_u64 v[8:9], v[4:5], 0, v[30:31]
	s_and_saveexec_b64 s[8:9], vcc
	s_cbranch_execnz .LBB1370_1484
; %bb.1476:
	s_or_b64 exec, exec, s[8:9]
	s_and_saveexec_b64 s[8:9], s[0:1]
	s_cbranch_execnz .LBB1370_1485
.LBB1370_1477:
	s_or_b64 exec, exec, s[8:9]
	s_and_saveexec_b64 s[0:1], s[2:3]
	s_cbranch_execnz .LBB1370_1486
.LBB1370_1478:
	s_or_b64 exec, exec, s[0:1]
	s_and_saveexec_b64 s[0:1], s[4:5]
	s_cbranch_execnz .LBB1370_1487
.LBB1370_1479:
	s_or_b64 exec, exec, s[0:1]
	s_and_saveexec_b64 s[0:1], s[6:7]
	s_cbranch_execnz .LBB1370_1488
.LBB1370_1480:
	s_or_b64 exec, exec, s[0:1]
	s_and_saveexec_b64 s[0:1], s[30:31]
	s_cbranch_execnz .LBB1370_1489
.LBB1370_1481:
	s_or_b64 exec, exec, s[0:1]
	s_and_saveexec_b64 s[0:1], s[10:11]
	s_cbranch_execz .LBB1370_1483
.LBB1370_1482:
	v_add_co_u32_e32 v2, vcc, 0x3000, v8
	s_nop 1
	v_addc_co_u32_e32 v3, vcc, 0, v9, vcc
	s_waitcnt vmcnt(0) lgkmcnt(0)
	flat_store_dwordx2 v[2:3], v[0:1]
.LBB1370_1483:
	s_or_b64 exec, exec, s[0:1]
	s_andn2_b64 s[0:1], s[38:39], exec
	s_and_b64 s[2:3], s[14:15], exec
	s_or_b64 s[38:39], s[0:1], s[2:3]
	s_or_b64 exec, exec, s[40:41]
	s_and_saveexec_b64 s[0:1], s[38:39]
	s_cbranch_execnz .LBB1370_3
	s_branch .LBB1370_4
.LBB1370_1484:
	flat_load_dwordx2 v[2:3], v[2:3]
	s_waitcnt vmcnt(0) lgkmcnt(0)
	flat_store_dwordx2 v[8:9], v[2:3]
	s_or_b64 exec, exec, s[8:9]
	s_and_saveexec_b64 s[8:9], s[0:1]
	s_cbranch_execz .LBB1370_1477
.LBB1370_1485:
	s_waitcnt vmcnt(0) lgkmcnt(0)
	flat_store_dwordx2 v[8:9], v[18:19] offset:2048
	s_or_b64 exec, exec, s[8:9]
	s_and_saveexec_b64 s[0:1], s[2:3]
	s_cbranch_execz .LBB1370_1478
.LBB1370_1486:
	v_add_co_u32_e32 v2, vcc, 0x1000, v8
	s_nop 1
	v_addc_co_u32_e32 v3, vcc, 0, v9, vcc
	s_waitcnt vmcnt(0) lgkmcnt(0)
	flat_store_dwordx2 v[2:3], v[16:17]
	s_or_b64 exec, exec, s[0:1]
	s_and_saveexec_b64 s[0:1], s[4:5]
	s_cbranch_execz .LBB1370_1479
.LBB1370_1487:
	v_add_co_u32_e32 v2, vcc, 0x1000, v8
	s_nop 1
	v_addc_co_u32_e32 v3, vcc, 0, v9, vcc
	s_waitcnt vmcnt(0) lgkmcnt(0)
	flat_store_dwordx2 v[2:3], v[14:15] offset:2048
	s_or_b64 exec, exec, s[0:1]
	s_and_saveexec_b64 s[0:1], s[6:7]
	s_cbranch_execz .LBB1370_1480
.LBB1370_1488:
	v_add_co_u32_e32 v2, vcc, 0x2000, v8
	s_nop 1
	v_addc_co_u32_e32 v3, vcc, 0, v9, vcc
	s_waitcnt vmcnt(0) lgkmcnt(0)
	flat_store_dwordx2 v[2:3], v[10:11]
	s_or_b64 exec, exec, s[0:1]
	s_and_saveexec_b64 s[0:1], s[30:31]
	s_cbranch_execz .LBB1370_1481
.LBB1370_1489:
	v_add_co_u32_e32 v2, vcc, 0x2000, v8
	s_nop 1
	v_addc_co_u32_e32 v3, vcc, 0, v9, vcc
	s_waitcnt vmcnt(0) lgkmcnt(0)
	flat_store_dwordx2 v[2:3], v[6:7] offset:2048
	s_or_b64 exec, exec, s[0:1]
	s_and_saveexec_b64 s[0:1], s[10:11]
	s_cbranch_execnz .LBB1370_1482
	s_branch .LBB1370_1483
.Lfunc_end1370:
	.size	_ZN7rocprim17ROCPRIM_400000_NS6detail15block_sort_implIlNS0_10empty_typeELj256ELj8ELNS0_4arch9wavefront6targetE1EvE4sortIPlS9_PS3_SA_ZN2at6native12_GLOBAL__N_124unique_dim_cuda_templateItEESt5tupleIJNSB_6TensorESG_SG_EERKSG_lbbbEUlllE_EEvjbT_T0_T1_T2_T3_RNS7_12storage_typeE, .Lfunc_end1370-_ZN7rocprim17ROCPRIM_400000_NS6detail15block_sort_implIlNS0_10empty_typeELj256ELj8ELNS0_4arch9wavefront6targetE1EvE4sortIPlS9_PS3_SA_ZN2at6native12_GLOBAL__N_124unique_dim_cuda_templateItEESt5tupleIJNSB_6TensorESG_SG_EERKSG_lbbbEUlllE_EEvjbT_T0_T1_T2_T3_RNS7_12storage_typeE
                                        ; -- End function
	.section	.AMDGPU.csdata,"",@progbits
; Function info:
; codeLenInByte = 67096
; NumSgprs: 75
; NumVgprs: 129
; NumAgprs: 0
; TotalNumVgprs: 129
; ScratchSize: 8
; MemoryBound: 1
	.section	.text._ZN7rocprim17ROCPRIM_400000_NS6detail17trampoline_kernelINS0_14default_configENS1_37merge_sort_block_sort_config_selectorIlNS0_10empty_typeEEEZNS1_21merge_sort_block_sortIS3_PlS8_PS5_S9_ZN2at6native12_GLOBAL__N_124unique_dim_cuda_templateItEESt5tupleIJNSA_6TensorESF_SF_EERKSF_lbbbEUlllE_EE10hipError_tT0_T1_T2_T3_mRjT4_P12ihipStream_tbNS1_7vsmem_tEEUlT_E_NS1_11comp_targetILNS1_3genE5ELNS1_11target_archE942ELNS1_3gpuE9ELNS1_3repE0EEENS1_30default_config_static_selectorELNS0_4arch9wavefront6targetE1EEEvSM_,"axG",@progbits,_ZN7rocprim17ROCPRIM_400000_NS6detail17trampoline_kernelINS0_14default_configENS1_37merge_sort_block_sort_config_selectorIlNS0_10empty_typeEEEZNS1_21merge_sort_block_sortIS3_PlS8_PS5_S9_ZN2at6native12_GLOBAL__N_124unique_dim_cuda_templateItEESt5tupleIJNSA_6TensorESF_SF_EERKSF_lbbbEUlllE_EE10hipError_tT0_T1_T2_T3_mRjT4_P12ihipStream_tbNS1_7vsmem_tEEUlT_E_NS1_11comp_targetILNS1_3genE5ELNS1_11target_archE942ELNS1_3gpuE9ELNS1_3repE0EEENS1_30default_config_static_selectorELNS0_4arch9wavefront6targetE1EEEvSM_,comdat
	.globl	_ZN7rocprim17ROCPRIM_400000_NS6detail17trampoline_kernelINS0_14default_configENS1_37merge_sort_block_sort_config_selectorIlNS0_10empty_typeEEEZNS1_21merge_sort_block_sortIS3_PlS8_PS5_S9_ZN2at6native12_GLOBAL__N_124unique_dim_cuda_templateItEESt5tupleIJNSA_6TensorESF_SF_EERKSF_lbbbEUlllE_EE10hipError_tT0_T1_T2_T3_mRjT4_P12ihipStream_tbNS1_7vsmem_tEEUlT_E_NS1_11comp_targetILNS1_3genE5ELNS1_11target_archE942ELNS1_3gpuE9ELNS1_3repE0EEENS1_30default_config_static_selectorELNS0_4arch9wavefront6targetE1EEEvSM_ ; -- Begin function _ZN7rocprim17ROCPRIM_400000_NS6detail17trampoline_kernelINS0_14default_configENS1_37merge_sort_block_sort_config_selectorIlNS0_10empty_typeEEEZNS1_21merge_sort_block_sortIS3_PlS8_PS5_S9_ZN2at6native12_GLOBAL__N_124unique_dim_cuda_templateItEESt5tupleIJNSA_6TensorESF_SF_EERKSF_lbbbEUlllE_EE10hipError_tT0_T1_T2_T3_mRjT4_P12ihipStream_tbNS1_7vsmem_tEEUlT_E_NS1_11comp_targetILNS1_3genE5ELNS1_11target_archE942ELNS1_3gpuE9ELNS1_3repE0EEENS1_30default_config_static_selectorELNS0_4arch9wavefront6targetE1EEEvSM_
	.p2align	8
	.type	_ZN7rocprim17ROCPRIM_400000_NS6detail17trampoline_kernelINS0_14default_configENS1_37merge_sort_block_sort_config_selectorIlNS0_10empty_typeEEEZNS1_21merge_sort_block_sortIS3_PlS8_PS5_S9_ZN2at6native12_GLOBAL__N_124unique_dim_cuda_templateItEESt5tupleIJNSA_6TensorESF_SF_EERKSF_lbbbEUlllE_EE10hipError_tT0_T1_T2_T3_mRjT4_P12ihipStream_tbNS1_7vsmem_tEEUlT_E_NS1_11comp_targetILNS1_3genE5ELNS1_11target_archE942ELNS1_3gpuE9ELNS1_3repE0EEENS1_30default_config_static_selectorELNS0_4arch9wavefront6targetE1EEEvSM_,@function
_ZN7rocprim17ROCPRIM_400000_NS6detail17trampoline_kernelINS0_14default_configENS1_37merge_sort_block_sort_config_selectorIlNS0_10empty_typeEEEZNS1_21merge_sort_block_sortIS3_PlS8_PS5_S9_ZN2at6native12_GLOBAL__N_124unique_dim_cuda_templateItEESt5tupleIJNSA_6TensorESF_SF_EERKSF_lbbbEUlllE_EE10hipError_tT0_T1_T2_T3_mRjT4_P12ihipStream_tbNS1_7vsmem_tEEUlT_E_NS1_11comp_targetILNS1_3genE5ELNS1_11target_archE942ELNS1_3gpuE9ELNS1_3repE0EEENS1_30default_config_static_selectorELNS0_4arch9wavefront6targetE1EEEvSM_: ; @_ZN7rocprim17ROCPRIM_400000_NS6detail17trampoline_kernelINS0_14default_configENS1_37merge_sort_block_sort_config_selectorIlNS0_10empty_typeEEEZNS1_21merge_sort_block_sortIS3_PlS8_PS5_S9_ZN2at6native12_GLOBAL__N_124unique_dim_cuda_templateItEESt5tupleIJNSA_6TensorESF_SF_EERKSF_lbbbEUlllE_EE10hipError_tT0_T1_T2_T3_mRjT4_P12ihipStream_tbNS1_7vsmem_tEEUlT_E_NS1_11comp_targetILNS1_3genE5ELNS1_11target_archE942ELNS1_3gpuE9ELNS1_3repE0EEENS1_30default_config_static_selectorELNS0_4arch9wavefront6targetE1EEEvSM_
; %bb.0:
	s_load_dwordx2 s[6:7], s[0:1], 0x48
	s_load_dword s5, s[0:1], 0x0
	s_mov_b32 s32, 0
	s_waitcnt lgkmcnt(0)
	s_mul_i32 s4, s7, s4
	s_add_i32 s4, s4, s3
	s_mul_i32 s4, s4, s6
	s_add_i32 s4, s4, s2
	s_cmp_ge_u32 s4, s5
	s_cbranch_scc1 .LBB1371_2
; %bb.1:
	s_load_dwordx4 s[8:11], s[0:1], 0x18
	s_load_dwordx2 s[6:7], s[0:1], 0x8
	s_load_dwordx4 s[16:19], s[0:1], 0x38
	s_mov_b32 s5, 0
	s_lshl_b64 s[12:13], s[4:5], 14
	s_waitcnt lgkmcnt(0)
	s_add_u32 s10, s10, s12
	s_addc_u32 s11, s11, s13
	s_add_u32 s14, s8, s12
	s_addc_u32 s15, s9, s13
	s_lshr_b64 s[8:9], s[6:7], 11
	s_cmp_eq_u64 s[8:9], s[4:5]
	s_cselect_b64 s[8:9], -1, 0
	s_lshl_b32 s4, s4, 11
	s_sub_i32 s6, s6, s4
	v_cndmask_b32_e64 v1, 0, 1, s[8:9]
	s_add_u32 s8, s0, 0x48
	s_addc_u32 s9, s1, 0
	s_mov_b64 s[0:1], src_shared_base
	s_mov_b32 s12, s2
	s_mov_b32 s13, s3
	v_mov_b32_e32 v31, v0
	v_mov_b32_e32 v0, s6
	;; [unrolled: 1-line block ×12, first 2 shown]
	s_getpc_b64 s[4:5]
	s_add_u32 s4, s4, _ZN7rocprim17ROCPRIM_400000_NS6detail15block_sort_implIlNS0_10empty_typeELj256ELj8ELNS0_4arch9wavefront6targetE1EvE4sortIPlS9_PS3_SA_ZN2at6native12_GLOBAL__N_124unique_dim_cuda_templateItEESt5tupleIJNSB_6TensorESG_SG_EERKSG_lbbbEUlllE_EEvjbT_T0_T1_T2_T3_RNS7_12storage_typeE@rel32@lo+4
	s_addc_u32 s5, s5, _ZN7rocprim17ROCPRIM_400000_NS6detail15block_sort_implIlNS0_10empty_typeELj256ELj8ELNS0_4arch9wavefront6targetE1EvE4sortIPlS9_PS3_SA_ZN2at6native12_GLOBAL__N_124unique_dim_cuda_templateItEESt5tupleIJNSB_6TensorESG_SG_EERKSG_lbbbEUlllE_EEvjbT_T0_T1_T2_T3_RNS7_12storage_typeE@rel32@hi+12
	s_swappc_b64 s[30:31], s[4:5]
.LBB1371_2:
	s_endpgm
	.section	.rodata,"a",@progbits
	.p2align	6, 0x0
	.amdhsa_kernel _ZN7rocprim17ROCPRIM_400000_NS6detail17trampoline_kernelINS0_14default_configENS1_37merge_sort_block_sort_config_selectorIlNS0_10empty_typeEEEZNS1_21merge_sort_block_sortIS3_PlS8_PS5_S9_ZN2at6native12_GLOBAL__N_124unique_dim_cuda_templateItEESt5tupleIJNSA_6TensorESF_SF_EERKSF_lbbbEUlllE_EE10hipError_tT0_T1_T2_T3_mRjT4_P12ihipStream_tbNS1_7vsmem_tEEUlT_E_NS1_11comp_targetILNS1_3genE5ELNS1_11target_archE942ELNS1_3gpuE9ELNS1_3repE0EEENS1_30default_config_static_selectorELNS0_4arch9wavefront6targetE1EEEvSM_
		.amdhsa_group_segment_fixed_size 16896
		.amdhsa_private_segment_fixed_size 8
		.amdhsa_kernarg_size 328
		.amdhsa_user_sgpr_count 2
		.amdhsa_user_sgpr_dispatch_ptr 0
		.amdhsa_user_sgpr_queue_ptr 0
		.amdhsa_user_sgpr_kernarg_segment_ptr 1
		.amdhsa_user_sgpr_dispatch_id 0
		.amdhsa_user_sgpr_kernarg_preload_length 0
		.amdhsa_user_sgpr_kernarg_preload_offset 0
		.amdhsa_user_sgpr_private_segment_size 0
		.amdhsa_uses_dynamic_stack 0
		.amdhsa_enable_private_segment 1
		.amdhsa_system_sgpr_workgroup_id_x 1
		.amdhsa_system_sgpr_workgroup_id_y 1
		.amdhsa_system_sgpr_workgroup_id_z 1
		.amdhsa_system_sgpr_workgroup_info 0
		.amdhsa_system_vgpr_workitem_id 2
		.amdhsa_next_free_vgpr 129
		.amdhsa_next_free_sgpr 69
		.amdhsa_accum_offset 132
		.amdhsa_reserve_vcc 1
		.amdhsa_float_round_mode_32 0
		.amdhsa_float_round_mode_16_64 0
		.amdhsa_float_denorm_mode_32 3
		.amdhsa_float_denorm_mode_16_64 3
		.amdhsa_dx10_clamp 1
		.amdhsa_ieee_mode 1
		.amdhsa_fp16_overflow 0
		.amdhsa_tg_split 0
		.amdhsa_exception_fp_ieee_invalid_op 0
		.amdhsa_exception_fp_denorm_src 0
		.amdhsa_exception_fp_ieee_div_zero 0
		.amdhsa_exception_fp_ieee_overflow 0
		.amdhsa_exception_fp_ieee_underflow 0
		.amdhsa_exception_fp_ieee_inexact 0
		.amdhsa_exception_int_div_zero 0
	.end_amdhsa_kernel
	.section	.text._ZN7rocprim17ROCPRIM_400000_NS6detail17trampoline_kernelINS0_14default_configENS1_37merge_sort_block_sort_config_selectorIlNS0_10empty_typeEEEZNS1_21merge_sort_block_sortIS3_PlS8_PS5_S9_ZN2at6native12_GLOBAL__N_124unique_dim_cuda_templateItEESt5tupleIJNSA_6TensorESF_SF_EERKSF_lbbbEUlllE_EE10hipError_tT0_T1_T2_T3_mRjT4_P12ihipStream_tbNS1_7vsmem_tEEUlT_E_NS1_11comp_targetILNS1_3genE5ELNS1_11target_archE942ELNS1_3gpuE9ELNS1_3repE0EEENS1_30default_config_static_selectorELNS0_4arch9wavefront6targetE1EEEvSM_,"axG",@progbits,_ZN7rocprim17ROCPRIM_400000_NS6detail17trampoline_kernelINS0_14default_configENS1_37merge_sort_block_sort_config_selectorIlNS0_10empty_typeEEEZNS1_21merge_sort_block_sortIS3_PlS8_PS5_S9_ZN2at6native12_GLOBAL__N_124unique_dim_cuda_templateItEESt5tupleIJNSA_6TensorESF_SF_EERKSF_lbbbEUlllE_EE10hipError_tT0_T1_T2_T3_mRjT4_P12ihipStream_tbNS1_7vsmem_tEEUlT_E_NS1_11comp_targetILNS1_3genE5ELNS1_11target_archE942ELNS1_3gpuE9ELNS1_3repE0EEENS1_30default_config_static_selectorELNS0_4arch9wavefront6targetE1EEEvSM_,comdat
.Lfunc_end1371:
	.size	_ZN7rocprim17ROCPRIM_400000_NS6detail17trampoline_kernelINS0_14default_configENS1_37merge_sort_block_sort_config_selectorIlNS0_10empty_typeEEEZNS1_21merge_sort_block_sortIS3_PlS8_PS5_S9_ZN2at6native12_GLOBAL__N_124unique_dim_cuda_templateItEESt5tupleIJNSA_6TensorESF_SF_EERKSF_lbbbEUlllE_EE10hipError_tT0_T1_T2_T3_mRjT4_P12ihipStream_tbNS1_7vsmem_tEEUlT_E_NS1_11comp_targetILNS1_3genE5ELNS1_11target_archE942ELNS1_3gpuE9ELNS1_3repE0EEENS1_30default_config_static_selectorELNS0_4arch9wavefront6targetE1EEEvSM_, .Lfunc_end1371-_ZN7rocprim17ROCPRIM_400000_NS6detail17trampoline_kernelINS0_14default_configENS1_37merge_sort_block_sort_config_selectorIlNS0_10empty_typeEEEZNS1_21merge_sort_block_sortIS3_PlS8_PS5_S9_ZN2at6native12_GLOBAL__N_124unique_dim_cuda_templateItEESt5tupleIJNSA_6TensorESF_SF_EERKSF_lbbbEUlllE_EE10hipError_tT0_T1_T2_T3_mRjT4_P12ihipStream_tbNS1_7vsmem_tEEUlT_E_NS1_11comp_targetILNS1_3genE5ELNS1_11target_archE942ELNS1_3gpuE9ELNS1_3repE0EEENS1_30default_config_static_selectorELNS0_4arch9wavefront6targetE1EEEvSM_
                                        ; -- End function
	.section	.AMDGPU.csdata,"",@progbits
; Kernel info:
; codeLenInByte = 228
; NumSgprs: 75
; NumVgprs: 129
; NumAgprs: 0
; TotalNumVgprs: 129
; ScratchSize: 8
; MemoryBound: 0
; FloatMode: 240
; IeeeMode: 1
; LDSByteSize: 16896 bytes/workgroup (compile time only)
; SGPRBlocks: 9
; VGPRBlocks: 16
; NumSGPRsForWavesPerEU: 75
; NumVGPRsForWavesPerEU: 129
; AccumOffset: 132
; Occupancy: 3
; WaveLimiterHint : 1
; COMPUTE_PGM_RSRC2:SCRATCH_EN: 1
; COMPUTE_PGM_RSRC2:USER_SGPR: 2
; COMPUTE_PGM_RSRC2:TRAP_HANDLER: 0
; COMPUTE_PGM_RSRC2:TGID_X_EN: 1
; COMPUTE_PGM_RSRC2:TGID_Y_EN: 1
; COMPUTE_PGM_RSRC2:TGID_Z_EN: 1
; COMPUTE_PGM_RSRC2:TIDIG_COMP_CNT: 2
; COMPUTE_PGM_RSRC3_GFX90A:ACCUM_OFFSET: 32
; COMPUTE_PGM_RSRC3_GFX90A:TG_SPLIT: 0
	.section	.text._ZN7rocprim17ROCPRIM_400000_NS6detail17trampoline_kernelINS0_14default_configENS1_37merge_sort_block_sort_config_selectorIlNS0_10empty_typeEEEZNS1_21merge_sort_block_sortIS3_PlS8_PS5_S9_ZN2at6native12_GLOBAL__N_124unique_dim_cuda_templateItEESt5tupleIJNSA_6TensorESF_SF_EERKSF_lbbbEUlllE_EE10hipError_tT0_T1_T2_T3_mRjT4_P12ihipStream_tbNS1_7vsmem_tEEUlT_E_NS1_11comp_targetILNS1_3genE4ELNS1_11target_archE910ELNS1_3gpuE8ELNS1_3repE0EEENS1_30default_config_static_selectorELNS0_4arch9wavefront6targetE1EEEvSM_,"axG",@progbits,_ZN7rocprim17ROCPRIM_400000_NS6detail17trampoline_kernelINS0_14default_configENS1_37merge_sort_block_sort_config_selectorIlNS0_10empty_typeEEEZNS1_21merge_sort_block_sortIS3_PlS8_PS5_S9_ZN2at6native12_GLOBAL__N_124unique_dim_cuda_templateItEESt5tupleIJNSA_6TensorESF_SF_EERKSF_lbbbEUlllE_EE10hipError_tT0_T1_T2_T3_mRjT4_P12ihipStream_tbNS1_7vsmem_tEEUlT_E_NS1_11comp_targetILNS1_3genE4ELNS1_11target_archE910ELNS1_3gpuE8ELNS1_3repE0EEENS1_30default_config_static_selectorELNS0_4arch9wavefront6targetE1EEEvSM_,comdat
	.globl	_ZN7rocprim17ROCPRIM_400000_NS6detail17trampoline_kernelINS0_14default_configENS1_37merge_sort_block_sort_config_selectorIlNS0_10empty_typeEEEZNS1_21merge_sort_block_sortIS3_PlS8_PS5_S9_ZN2at6native12_GLOBAL__N_124unique_dim_cuda_templateItEESt5tupleIJNSA_6TensorESF_SF_EERKSF_lbbbEUlllE_EE10hipError_tT0_T1_T2_T3_mRjT4_P12ihipStream_tbNS1_7vsmem_tEEUlT_E_NS1_11comp_targetILNS1_3genE4ELNS1_11target_archE910ELNS1_3gpuE8ELNS1_3repE0EEENS1_30default_config_static_selectorELNS0_4arch9wavefront6targetE1EEEvSM_ ; -- Begin function _ZN7rocprim17ROCPRIM_400000_NS6detail17trampoline_kernelINS0_14default_configENS1_37merge_sort_block_sort_config_selectorIlNS0_10empty_typeEEEZNS1_21merge_sort_block_sortIS3_PlS8_PS5_S9_ZN2at6native12_GLOBAL__N_124unique_dim_cuda_templateItEESt5tupleIJNSA_6TensorESF_SF_EERKSF_lbbbEUlllE_EE10hipError_tT0_T1_T2_T3_mRjT4_P12ihipStream_tbNS1_7vsmem_tEEUlT_E_NS1_11comp_targetILNS1_3genE4ELNS1_11target_archE910ELNS1_3gpuE8ELNS1_3repE0EEENS1_30default_config_static_selectorELNS0_4arch9wavefront6targetE1EEEvSM_
	.p2align	8
	.type	_ZN7rocprim17ROCPRIM_400000_NS6detail17trampoline_kernelINS0_14default_configENS1_37merge_sort_block_sort_config_selectorIlNS0_10empty_typeEEEZNS1_21merge_sort_block_sortIS3_PlS8_PS5_S9_ZN2at6native12_GLOBAL__N_124unique_dim_cuda_templateItEESt5tupleIJNSA_6TensorESF_SF_EERKSF_lbbbEUlllE_EE10hipError_tT0_T1_T2_T3_mRjT4_P12ihipStream_tbNS1_7vsmem_tEEUlT_E_NS1_11comp_targetILNS1_3genE4ELNS1_11target_archE910ELNS1_3gpuE8ELNS1_3repE0EEENS1_30default_config_static_selectorELNS0_4arch9wavefront6targetE1EEEvSM_,@function
_ZN7rocprim17ROCPRIM_400000_NS6detail17trampoline_kernelINS0_14default_configENS1_37merge_sort_block_sort_config_selectorIlNS0_10empty_typeEEEZNS1_21merge_sort_block_sortIS3_PlS8_PS5_S9_ZN2at6native12_GLOBAL__N_124unique_dim_cuda_templateItEESt5tupleIJNSA_6TensorESF_SF_EERKSF_lbbbEUlllE_EE10hipError_tT0_T1_T2_T3_mRjT4_P12ihipStream_tbNS1_7vsmem_tEEUlT_E_NS1_11comp_targetILNS1_3genE4ELNS1_11target_archE910ELNS1_3gpuE8ELNS1_3repE0EEENS1_30default_config_static_selectorELNS0_4arch9wavefront6targetE1EEEvSM_: ; @_ZN7rocprim17ROCPRIM_400000_NS6detail17trampoline_kernelINS0_14default_configENS1_37merge_sort_block_sort_config_selectorIlNS0_10empty_typeEEEZNS1_21merge_sort_block_sortIS3_PlS8_PS5_S9_ZN2at6native12_GLOBAL__N_124unique_dim_cuda_templateItEESt5tupleIJNSA_6TensorESF_SF_EERKSF_lbbbEUlllE_EE10hipError_tT0_T1_T2_T3_mRjT4_P12ihipStream_tbNS1_7vsmem_tEEUlT_E_NS1_11comp_targetILNS1_3genE4ELNS1_11target_archE910ELNS1_3gpuE8ELNS1_3repE0EEENS1_30default_config_static_selectorELNS0_4arch9wavefront6targetE1EEEvSM_
; %bb.0:
	.section	.rodata,"a",@progbits
	.p2align	6, 0x0
	.amdhsa_kernel _ZN7rocprim17ROCPRIM_400000_NS6detail17trampoline_kernelINS0_14default_configENS1_37merge_sort_block_sort_config_selectorIlNS0_10empty_typeEEEZNS1_21merge_sort_block_sortIS3_PlS8_PS5_S9_ZN2at6native12_GLOBAL__N_124unique_dim_cuda_templateItEESt5tupleIJNSA_6TensorESF_SF_EERKSF_lbbbEUlllE_EE10hipError_tT0_T1_T2_T3_mRjT4_P12ihipStream_tbNS1_7vsmem_tEEUlT_E_NS1_11comp_targetILNS1_3genE4ELNS1_11target_archE910ELNS1_3gpuE8ELNS1_3repE0EEENS1_30default_config_static_selectorELNS0_4arch9wavefront6targetE1EEEvSM_
		.amdhsa_group_segment_fixed_size 0
		.amdhsa_private_segment_fixed_size 0
		.amdhsa_kernarg_size 72
		.amdhsa_user_sgpr_count 2
		.amdhsa_user_sgpr_dispatch_ptr 0
		.amdhsa_user_sgpr_queue_ptr 0
		.amdhsa_user_sgpr_kernarg_segment_ptr 1
		.amdhsa_user_sgpr_dispatch_id 0
		.amdhsa_user_sgpr_kernarg_preload_length 0
		.amdhsa_user_sgpr_kernarg_preload_offset 0
		.amdhsa_user_sgpr_private_segment_size 0
		.amdhsa_uses_dynamic_stack 0
		.amdhsa_enable_private_segment 0
		.amdhsa_system_sgpr_workgroup_id_x 1
		.amdhsa_system_sgpr_workgroup_id_y 0
		.amdhsa_system_sgpr_workgroup_id_z 0
		.amdhsa_system_sgpr_workgroup_info 0
		.amdhsa_system_vgpr_workitem_id 0
		.amdhsa_next_free_vgpr 1
		.amdhsa_next_free_sgpr 0
		.amdhsa_accum_offset 4
		.amdhsa_reserve_vcc 0
		.amdhsa_float_round_mode_32 0
		.amdhsa_float_round_mode_16_64 0
		.amdhsa_float_denorm_mode_32 3
		.amdhsa_float_denorm_mode_16_64 3
		.amdhsa_dx10_clamp 1
		.amdhsa_ieee_mode 1
		.amdhsa_fp16_overflow 0
		.amdhsa_tg_split 0
		.amdhsa_exception_fp_ieee_invalid_op 0
		.amdhsa_exception_fp_denorm_src 0
		.amdhsa_exception_fp_ieee_div_zero 0
		.amdhsa_exception_fp_ieee_overflow 0
		.amdhsa_exception_fp_ieee_underflow 0
		.amdhsa_exception_fp_ieee_inexact 0
		.amdhsa_exception_int_div_zero 0
	.end_amdhsa_kernel
	.section	.text._ZN7rocprim17ROCPRIM_400000_NS6detail17trampoline_kernelINS0_14default_configENS1_37merge_sort_block_sort_config_selectorIlNS0_10empty_typeEEEZNS1_21merge_sort_block_sortIS3_PlS8_PS5_S9_ZN2at6native12_GLOBAL__N_124unique_dim_cuda_templateItEESt5tupleIJNSA_6TensorESF_SF_EERKSF_lbbbEUlllE_EE10hipError_tT0_T1_T2_T3_mRjT4_P12ihipStream_tbNS1_7vsmem_tEEUlT_E_NS1_11comp_targetILNS1_3genE4ELNS1_11target_archE910ELNS1_3gpuE8ELNS1_3repE0EEENS1_30default_config_static_selectorELNS0_4arch9wavefront6targetE1EEEvSM_,"axG",@progbits,_ZN7rocprim17ROCPRIM_400000_NS6detail17trampoline_kernelINS0_14default_configENS1_37merge_sort_block_sort_config_selectorIlNS0_10empty_typeEEEZNS1_21merge_sort_block_sortIS3_PlS8_PS5_S9_ZN2at6native12_GLOBAL__N_124unique_dim_cuda_templateItEESt5tupleIJNSA_6TensorESF_SF_EERKSF_lbbbEUlllE_EE10hipError_tT0_T1_T2_T3_mRjT4_P12ihipStream_tbNS1_7vsmem_tEEUlT_E_NS1_11comp_targetILNS1_3genE4ELNS1_11target_archE910ELNS1_3gpuE8ELNS1_3repE0EEENS1_30default_config_static_selectorELNS0_4arch9wavefront6targetE1EEEvSM_,comdat
.Lfunc_end1372:
	.size	_ZN7rocprim17ROCPRIM_400000_NS6detail17trampoline_kernelINS0_14default_configENS1_37merge_sort_block_sort_config_selectorIlNS0_10empty_typeEEEZNS1_21merge_sort_block_sortIS3_PlS8_PS5_S9_ZN2at6native12_GLOBAL__N_124unique_dim_cuda_templateItEESt5tupleIJNSA_6TensorESF_SF_EERKSF_lbbbEUlllE_EE10hipError_tT0_T1_T2_T3_mRjT4_P12ihipStream_tbNS1_7vsmem_tEEUlT_E_NS1_11comp_targetILNS1_3genE4ELNS1_11target_archE910ELNS1_3gpuE8ELNS1_3repE0EEENS1_30default_config_static_selectorELNS0_4arch9wavefront6targetE1EEEvSM_, .Lfunc_end1372-_ZN7rocprim17ROCPRIM_400000_NS6detail17trampoline_kernelINS0_14default_configENS1_37merge_sort_block_sort_config_selectorIlNS0_10empty_typeEEEZNS1_21merge_sort_block_sortIS3_PlS8_PS5_S9_ZN2at6native12_GLOBAL__N_124unique_dim_cuda_templateItEESt5tupleIJNSA_6TensorESF_SF_EERKSF_lbbbEUlllE_EE10hipError_tT0_T1_T2_T3_mRjT4_P12ihipStream_tbNS1_7vsmem_tEEUlT_E_NS1_11comp_targetILNS1_3genE4ELNS1_11target_archE910ELNS1_3gpuE8ELNS1_3repE0EEENS1_30default_config_static_selectorELNS0_4arch9wavefront6targetE1EEEvSM_
                                        ; -- End function
	.section	.AMDGPU.csdata,"",@progbits
; Kernel info:
; codeLenInByte = 0
; NumSgprs: 6
; NumVgprs: 0
; NumAgprs: 0
; TotalNumVgprs: 0
; ScratchSize: 0
; MemoryBound: 0
; FloatMode: 240
; IeeeMode: 1
; LDSByteSize: 0 bytes/workgroup (compile time only)
; SGPRBlocks: 0
; VGPRBlocks: 0
; NumSGPRsForWavesPerEU: 6
; NumVGPRsForWavesPerEU: 1
; AccumOffset: 4
; Occupancy: 8
; WaveLimiterHint : 0
; COMPUTE_PGM_RSRC2:SCRATCH_EN: 0
; COMPUTE_PGM_RSRC2:USER_SGPR: 2
; COMPUTE_PGM_RSRC2:TRAP_HANDLER: 0
; COMPUTE_PGM_RSRC2:TGID_X_EN: 1
; COMPUTE_PGM_RSRC2:TGID_Y_EN: 0
; COMPUTE_PGM_RSRC2:TGID_Z_EN: 0
; COMPUTE_PGM_RSRC2:TIDIG_COMP_CNT: 0
; COMPUTE_PGM_RSRC3_GFX90A:ACCUM_OFFSET: 0
; COMPUTE_PGM_RSRC3_GFX90A:TG_SPLIT: 0
	.section	.text._ZN7rocprim17ROCPRIM_400000_NS6detail17trampoline_kernelINS0_14default_configENS1_37merge_sort_block_sort_config_selectorIlNS0_10empty_typeEEEZNS1_21merge_sort_block_sortIS3_PlS8_PS5_S9_ZN2at6native12_GLOBAL__N_124unique_dim_cuda_templateItEESt5tupleIJNSA_6TensorESF_SF_EERKSF_lbbbEUlllE_EE10hipError_tT0_T1_T2_T3_mRjT4_P12ihipStream_tbNS1_7vsmem_tEEUlT_E_NS1_11comp_targetILNS1_3genE3ELNS1_11target_archE908ELNS1_3gpuE7ELNS1_3repE0EEENS1_30default_config_static_selectorELNS0_4arch9wavefront6targetE1EEEvSM_,"axG",@progbits,_ZN7rocprim17ROCPRIM_400000_NS6detail17trampoline_kernelINS0_14default_configENS1_37merge_sort_block_sort_config_selectorIlNS0_10empty_typeEEEZNS1_21merge_sort_block_sortIS3_PlS8_PS5_S9_ZN2at6native12_GLOBAL__N_124unique_dim_cuda_templateItEESt5tupleIJNSA_6TensorESF_SF_EERKSF_lbbbEUlllE_EE10hipError_tT0_T1_T2_T3_mRjT4_P12ihipStream_tbNS1_7vsmem_tEEUlT_E_NS1_11comp_targetILNS1_3genE3ELNS1_11target_archE908ELNS1_3gpuE7ELNS1_3repE0EEENS1_30default_config_static_selectorELNS0_4arch9wavefront6targetE1EEEvSM_,comdat
	.globl	_ZN7rocprim17ROCPRIM_400000_NS6detail17trampoline_kernelINS0_14default_configENS1_37merge_sort_block_sort_config_selectorIlNS0_10empty_typeEEEZNS1_21merge_sort_block_sortIS3_PlS8_PS5_S9_ZN2at6native12_GLOBAL__N_124unique_dim_cuda_templateItEESt5tupleIJNSA_6TensorESF_SF_EERKSF_lbbbEUlllE_EE10hipError_tT0_T1_T2_T3_mRjT4_P12ihipStream_tbNS1_7vsmem_tEEUlT_E_NS1_11comp_targetILNS1_3genE3ELNS1_11target_archE908ELNS1_3gpuE7ELNS1_3repE0EEENS1_30default_config_static_selectorELNS0_4arch9wavefront6targetE1EEEvSM_ ; -- Begin function _ZN7rocprim17ROCPRIM_400000_NS6detail17trampoline_kernelINS0_14default_configENS1_37merge_sort_block_sort_config_selectorIlNS0_10empty_typeEEEZNS1_21merge_sort_block_sortIS3_PlS8_PS5_S9_ZN2at6native12_GLOBAL__N_124unique_dim_cuda_templateItEESt5tupleIJNSA_6TensorESF_SF_EERKSF_lbbbEUlllE_EE10hipError_tT0_T1_T2_T3_mRjT4_P12ihipStream_tbNS1_7vsmem_tEEUlT_E_NS1_11comp_targetILNS1_3genE3ELNS1_11target_archE908ELNS1_3gpuE7ELNS1_3repE0EEENS1_30default_config_static_selectorELNS0_4arch9wavefront6targetE1EEEvSM_
	.p2align	8
	.type	_ZN7rocprim17ROCPRIM_400000_NS6detail17trampoline_kernelINS0_14default_configENS1_37merge_sort_block_sort_config_selectorIlNS0_10empty_typeEEEZNS1_21merge_sort_block_sortIS3_PlS8_PS5_S9_ZN2at6native12_GLOBAL__N_124unique_dim_cuda_templateItEESt5tupleIJNSA_6TensorESF_SF_EERKSF_lbbbEUlllE_EE10hipError_tT0_T1_T2_T3_mRjT4_P12ihipStream_tbNS1_7vsmem_tEEUlT_E_NS1_11comp_targetILNS1_3genE3ELNS1_11target_archE908ELNS1_3gpuE7ELNS1_3repE0EEENS1_30default_config_static_selectorELNS0_4arch9wavefront6targetE1EEEvSM_,@function
_ZN7rocprim17ROCPRIM_400000_NS6detail17trampoline_kernelINS0_14default_configENS1_37merge_sort_block_sort_config_selectorIlNS0_10empty_typeEEEZNS1_21merge_sort_block_sortIS3_PlS8_PS5_S9_ZN2at6native12_GLOBAL__N_124unique_dim_cuda_templateItEESt5tupleIJNSA_6TensorESF_SF_EERKSF_lbbbEUlllE_EE10hipError_tT0_T1_T2_T3_mRjT4_P12ihipStream_tbNS1_7vsmem_tEEUlT_E_NS1_11comp_targetILNS1_3genE3ELNS1_11target_archE908ELNS1_3gpuE7ELNS1_3repE0EEENS1_30default_config_static_selectorELNS0_4arch9wavefront6targetE1EEEvSM_: ; @_ZN7rocprim17ROCPRIM_400000_NS6detail17trampoline_kernelINS0_14default_configENS1_37merge_sort_block_sort_config_selectorIlNS0_10empty_typeEEEZNS1_21merge_sort_block_sortIS3_PlS8_PS5_S9_ZN2at6native12_GLOBAL__N_124unique_dim_cuda_templateItEESt5tupleIJNSA_6TensorESF_SF_EERKSF_lbbbEUlllE_EE10hipError_tT0_T1_T2_T3_mRjT4_P12ihipStream_tbNS1_7vsmem_tEEUlT_E_NS1_11comp_targetILNS1_3genE3ELNS1_11target_archE908ELNS1_3gpuE7ELNS1_3repE0EEENS1_30default_config_static_selectorELNS0_4arch9wavefront6targetE1EEEvSM_
; %bb.0:
	.section	.rodata,"a",@progbits
	.p2align	6, 0x0
	.amdhsa_kernel _ZN7rocprim17ROCPRIM_400000_NS6detail17trampoline_kernelINS0_14default_configENS1_37merge_sort_block_sort_config_selectorIlNS0_10empty_typeEEEZNS1_21merge_sort_block_sortIS3_PlS8_PS5_S9_ZN2at6native12_GLOBAL__N_124unique_dim_cuda_templateItEESt5tupleIJNSA_6TensorESF_SF_EERKSF_lbbbEUlllE_EE10hipError_tT0_T1_T2_T3_mRjT4_P12ihipStream_tbNS1_7vsmem_tEEUlT_E_NS1_11comp_targetILNS1_3genE3ELNS1_11target_archE908ELNS1_3gpuE7ELNS1_3repE0EEENS1_30default_config_static_selectorELNS0_4arch9wavefront6targetE1EEEvSM_
		.amdhsa_group_segment_fixed_size 0
		.amdhsa_private_segment_fixed_size 0
		.amdhsa_kernarg_size 72
		.amdhsa_user_sgpr_count 2
		.amdhsa_user_sgpr_dispatch_ptr 0
		.amdhsa_user_sgpr_queue_ptr 0
		.amdhsa_user_sgpr_kernarg_segment_ptr 1
		.amdhsa_user_sgpr_dispatch_id 0
		.amdhsa_user_sgpr_kernarg_preload_length 0
		.amdhsa_user_sgpr_kernarg_preload_offset 0
		.amdhsa_user_sgpr_private_segment_size 0
		.amdhsa_uses_dynamic_stack 0
		.amdhsa_enable_private_segment 0
		.amdhsa_system_sgpr_workgroup_id_x 1
		.amdhsa_system_sgpr_workgroup_id_y 0
		.amdhsa_system_sgpr_workgroup_id_z 0
		.amdhsa_system_sgpr_workgroup_info 0
		.amdhsa_system_vgpr_workitem_id 0
		.amdhsa_next_free_vgpr 1
		.amdhsa_next_free_sgpr 0
		.amdhsa_accum_offset 4
		.amdhsa_reserve_vcc 0
		.amdhsa_float_round_mode_32 0
		.amdhsa_float_round_mode_16_64 0
		.amdhsa_float_denorm_mode_32 3
		.amdhsa_float_denorm_mode_16_64 3
		.amdhsa_dx10_clamp 1
		.amdhsa_ieee_mode 1
		.amdhsa_fp16_overflow 0
		.amdhsa_tg_split 0
		.amdhsa_exception_fp_ieee_invalid_op 0
		.amdhsa_exception_fp_denorm_src 0
		.amdhsa_exception_fp_ieee_div_zero 0
		.amdhsa_exception_fp_ieee_overflow 0
		.amdhsa_exception_fp_ieee_underflow 0
		.amdhsa_exception_fp_ieee_inexact 0
		.amdhsa_exception_int_div_zero 0
	.end_amdhsa_kernel
	.section	.text._ZN7rocprim17ROCPRIM_400000_NS6detail17trampoline_kernelINS0_14default_configENS1_37merge_sort_block_sort_config_selectorIlNS0_10empty_typeEEEZNS1_21merge_sort_block_sortIS3_PlS8_PS5_S9_ZN2at6native12_GLOBAL__N_124unique_dim_cuda_templateItEESt5tupleIJNSA_6TensorESF_SF_EERKSF_lbbbEUlllE_EE10hipError_tT0_T1_T2_T3_mRjT4_P12ihipStream_tbNS1_7vsmem_tEEUlT_E_NS1_11comp_targetILNS1_3genE3ELNS1_11target_archE908ELNS1_3gpuE7ELNS1_3repE0EEENS1_30default_config_static_selectorELNS0_4arch9wavefront6targetE1EEEvSM_,"axG",@progbits,_ZN7rocprim17ROCPRIM_400000_NS6detail17trampoline_kernelINS0_14default_configENS1_37merge_sort_block_sort_config_selectorIlNS0_10empty_typeEEEZNS1_21merge_sort_block_sortIS3_PlS8_PS5_S9_ZN2at6native12_GLOBAL__N_124unique_dim_cuda_templateItEESt5tupleIJNSA_6TensorESF_SF_EERKSF_lbbbEUlllE_EE10hipError_tT0_T1_T2_T3_mRjT4_P12ihipStream_tbNS1_7vsmem_tEEUlT_E_NS1_11comp_targetILNS1_3genE3ELNS1_11target_archE908ELNS1_3gpuE7ELNS1_3repE0EEENS1_30default_config_static_selectorELNS0_4arch9wavefront6targetE1EEEvSM_,comdat
.Lfunc_end1373:
	.size	_ZN7rocprim17ROCPRIM_400000_NS6detail17trampoline_kernelINS0_14default_configENS1_37merge_sort_block_sort_config_selectorIlNS0_10empty_typeEEEZNS1_21merge_sort_block_sortIS3_PlS8_PS5_S9_ZN2at6native12_GLOBAL__N_124unique_dim_cuda_templateItEESt5tupleIJNSA_6TensorESF_SF_EERKSF_lbbbEUlllE_EE10hipError_tT0_T1_T2_T3_mRjT4_P12ihipStream_tbNS1_7vsmem_tEEUlT_E_NS1_11comp_targetILNS1_3genE3ELNS1_11target_archE908ELNS1_3gpuE7ELNS1_3repE0EEENS1_30default_config_static_selectorELNS0_4arch9wavefront6targetE1EEEvSM_, .Lfunc_end1373-_ZN7rocprim17ROCPRIM_400000_NS6detail17trampoline_kernelINS0_14default_configENS1_37merge_sort_block_sort_config_selectorIlNS0_10empty_typeEEEZNS1_21merge_sort_block_sortIS3_PlS8_PS5_S9_ZN2at6native12_GLOBAL__N_124unique_dim_cuda_templateItEESt5tupleIJNSA_6TensorESF_SF_EERKSF_lbbbEUlllE_EE10hipError_tT0_T1_T2_T3_mRjT4_P12ihipStream_tbNS1_7vsmem_tEEUlT_E_NS1_11comp_targetILNS1_3genE3ELNS1_11target_archE908ELNS1_3gpuE7ELNS1_3repE0EEENS1_30default_config_static_selectorELNS0_4arch9wavefront6targetE1EEEvSM_
                                        ; -- End function
	.section	.AMDGPU.csdata,"",@progbits
; Kernel info:
; codeLenInByte = 0
; NumSgprs: 6
; NumVgprs: 0
; NumAgprs: 0
; TotalNumVgprs: 0
; ScratchSize: 0
; MemoryBound: 0
; FloatMode: 240
; IeeeMode: 1
; LDSByteSize: 0 bytes/workgroup (compile time only)
; SGPRBlocks: 0
; VGPRBlocks: 0
; NumSGPRsForWavesPerEU: 6
; NumVGPRsForWavesPerEU: 1
; AccumOffset: 4
; Occupancy: 8
; WaveLimiterHint : 0
; COMPUTE_PGM_RSRC2:SCRATCH_EN: 0
; COMPUTE_PGM_RSRC2:USER_SGPR: 2
; COMPUTE_PGM_RSRC2:TRAP_HANDLER: 0
; COMPUTE_PGM_RSRC2:TGID_X_EN: 1
; COMPUTE_PGM_RSRC2:TGID_Y_EN: 0
; COMPUTE_PGM_RSRC2:TGID_Z_EN: 0
; COMPUTE_PGM_RSRC2:TIDIG_COMP_CNT: 0
; COMPUTE_PGM_RSRC3_GFX90A:ACCUM_OFFSET: 0
; COMPUTE_PGM_RSRC3_GFX90A:TG_SPLIT: 0
	.section	.text._ZN7rocprim17ROCPRIM_400000_NS6detail17trampoline_kernelINS0_14default_configENS1_37merge_sort_block_sort_config_selectorIlNS0_10empty_typeEEEZNS1_21merge_sort_block_sortIS3_PlS8_PS5_S9_ZN2at6native12_GLOBAL__N_124unique_dim_cuda_templateItEESt5tupleIJNSA_6TensorESF_SF_EERKSF_lbbbEUlllE_EE10hipError_tT0_T1_T2_T3_mRjT4_P12ihipStream_tbNS1_7vsmem_tEEUlT_E_NS1_11comp_targetILNS1_3genE2ELNS1_11target_archE906ELNS1_3gpuE6ELNS1_3repE0EEENS1_30default_config_static_selectorELNS0_4arch9wavefront6targetE1EEEvSM_,"axG",@progbits,_ZN7rocprim17ROCPRIM_400000_NS6detail17trampoline_kernelINS0_14default_configENS1_37merge_sort_block_sort_config_selectorIlNS0_10empty_typeEEEZNS1_21merge_sort_block_sortIS3_PlS8_PS5_S9_ZN2at6native12_GLOBAL__N_124unique_dim_cuda_templateItEESt5tupleIJNSA_6TensorESF_SF_EERKSF_lbbbEUlllE_EE10hipError_tT0_T1_T2_T3_mRjT4_P12ihipStream_tbNS1_7vsmem_tEEUlT_E_NS1_11comp_targetILNS1_3genE2ELNS1_11target_archE906ELNS1_3gpuE6ELNS1_3repE0EEENS1_30default_config_static_selectorELNS0_4arch9wavefront6targetE1EEEvSM_,comdat
	.globl	_ZN7rocprim17ROCPRIM_400000_NS6detail17trampoline_kernelINS0_14default_configENS1_37merge_sort_block_sort_config_selectorIlNS0_10empty_typeEEEZNS1_21merge_sort_block_sortIS3_PlS8_PS5_S9_ZN2at6native12_GLOBAL__N_124unique_dim_cuda_templateItEESt5tupleIJNSA_6TensorESF_SF_EERKSF_lbbbEUlllE_EE10hipError_tT0_T1_T2_T3_mRjT4_P12ihipStream_tbNS1_7vsmem_tEEUlT_E_NS1_11comp_targetILNS1_3genE2ELNS1_11target_archE906ELNS1_3gpuE6ELNS1_3repE0EEENS1_30default_config_static_selectorELNS0_4arch9wavefront6targetE1EEEvSM_ ; -- Begin function _ZN7rocprim17ROCPRIM_400000_NS6detail17trampoline_kernelINS0_14default_configENS1_37merge_sort_block_sort_config_selectorIlNS0_10empty_typeEEEZNS1_21merge_sort_block_sortIS3_PlS8_PS5_S9_ZN2at6native12_GLOBAL__N_124unique_dim_cuda_templateItEESt5tupleIJNSA_6TensorESF_SF_EERKSF_lbbbEUlllE_EE10hipError_tT0_T1_T2_T3_mRjT4_P12ihipStream_tbNS1_7vsmem_tEEUlT_E_NS1_11comp_targetILNS1_3genE2ELNS1_11target_archE906ELNS1_3gpuE6ELNS1_3repE0EEENS1_30default_config_static_selectorELNS0_4arch9wavefront6targetE1EEEvSM_
	.p2align	8
	.type	_ZN7rocprim17ROCPRIM_400000_NS6detail17trampoline_kernelINS0_14default_configENS1_37merge_sort_block_sort_config_selectorIlNS0_10empty_typeEEEZNS1_21merge_sort_block_sortIS3_PlS8_PS5_S9_ZN2at6native12_GLOBAL__N_124unique_dim_cuda_templateItEESt5tupleIJNSA_6TensorESF_SF_EERKSF_lbbbEUlllE_EE10hipError_tT0_T1_T2_T3_mRjT4_P12ihipStream_tbNS1_7vsmem_tEEUlT_E_NS1_11comp_targetILNS1_3genE2ELNS1_11target_archE906ELNS1_3gpuE6ELNS1_3repE0EEENS1_30default_config_static_selectorELNS0_4arch9wavefront6targetE1EEEvSM_,@function
_ZN7rocprim17ROCPRIM_400000_NS6detail17trampoline_kernelINS0_14default_configENS1_37merge_sort_block_sort_config_selectorIlNS0_10empty_typeEEEZNS1_21merge_sort_block_sortIS3_PlS8_PS5_S9_ZN2at6native12_GLOBAL__N_124unique_dim_cuda_templateItEESt5tupleIJNSA_6TensorESF_SF_EERKSF_lbbbEUlllE_EE10hipError_tT0_T1_T2_T3_mRjT4_P12ihipStream_tbNS1_7vsmem_tEEUlT_E_NS1_11comp_targetILNS1_3genE2ELNS1_11target_archE906ELNS1_3gpuE6ELNS1_3repE0EEENS1_30default_config_static_selectorELNS0_4arch9wavefront6targetE1EEEvSM_: ; @_ZN7rocprim17ROCPRIM_400000_NS6detail17trampoline_kernelINS0_14default_configENS1_37merge_sort_block_sort_config_selectorIlNS0_10empty_typeEEEZNS1_21merge_sort_block_sortIS3_PlS8_PS5_S9_ZN2at6native12_GLOBAL__N_124unique_dim_cuda_templateItEESt5tupleIJNSA_6TensorESF_SF_EERKSF_lbbbEUlllE_EE10hipError_tT0_T1_T2_T3_mRjT4_P12ihipStream_tbNS1_7vsmem_tEEUlT_E_NS1_11comp_targetILNS1_3genE2ELNS1_11target_archE906ELNS1_3gpuE6ELNS1_3repE0EEENS1_30default_config_static_selectorELNS0_4arch9wavefront6targetE1EEEvSM_
; %bb.0:
	.section	.rodata,"a",@progbits
	.p2align	6, 0x0
	.amdhsa_kernel _ZN7rocprim17ROCPRIM_400000_NS6detail17trampoline_kernelINS0_14default_configENS1_37merge_sort_block_sort_config_selectorIlNS0_10empty_typeEEEZNS1_21merge_sort_block_sortIS3_PlS8_PS5_S9_ZN2at6native12_GLOBAL__N_124unique_dim_cuda_templateItEESt5tupleIJNSA_6TensorESF_SF_EERKSF_lbbbEUlllE_EE10hipError_tT0_T1_T2_T3_mRjT4_P12ihipStream_tbNS1_7vsmem_tEEUlT_E_NS1_11comp_targetILNS1_3genE2ELNS1_11target_archE906ELNS1_3gpuE6ELNS1_3repE0EEENS1_30default_config_static_selectorELNS0_4arch9wavefront6targetE1EEEvSM_
		.amdhsa_group_segment_fixed_size 0
		.amdhsa_private_segment_fixed_size 0
		.amdhsa_kernarg_size 72
		.amdhsa_user_sgpr_count 2
		.amdhsa_user_sgpr_dispatch_ptr 0
		.amdhsa_user_sgpr_queue_ptr 0
		.amdhsa_user_sgpr_kernarg_segment_ptr 1
		.amdhsa_user_sgpr_dispatch_id 0
		.amdhsa_user_sgpr_kernarg_preload_length 0
		.amdhsa_user_sgpr_kernarg_preload_offset 0
		.amdhsa_user_sgpr_private_segment_size 0
		.amdhsa_uses_dynamic_stack 0
		.amdhsa_enable_private_segment 0
		.amdhsa_system_sgpr_workgroup_id_x 1
		.amdhsa_system_sgpr_workgroup_id_y 0
		.amdhsa_system_sgpr_workgroup_id_z 0
		.amdhsa_system_sgpr_workgroup_info 0
		.amdhsa_system_vgpr_workitem_id 0
		.amdhsa_next_free_vgpr 1
		.amdhsa_next_free_sgpr 0
		.amdhsa_accum_offset 4
		.amdhsa_reserve_vcc 0
		.amdhsa_float_round_mode_32 0
		.amdhsa_float_round_mode_16_64 0
		.amdhsa_float_denorm_mode_32 3
		.amdhsa_float_denorm_mode_16_64 3
		.amdhsa_dx10_clamp 1
		.amdhsa_ieee_mode 1
		.amdhsa_fp16_overflow 0
		.amdhsa_tg_split 0
		.amdhsa_exception_fp_ieee_invalid_op 0
		.amdhsa_exception_fp_denorm_src 0
		.amdhsa_exception_fp_ieee_div_zero 0
		.amdhsa_exception_fp_ieee_overflow 0
		.amdhsa_exception_fp_ieee_underflow 0
		.amdhsa_exception_fp_ieee_inexact 0
		.amdhsa_exception_int_div_zero 0
	.end_amdhsa_kernel
	.section	.text._ZN7rocprim17ROCPRIM_400000_NS6detail17trampoline_kernelINS0_14default_configENS1_37merge_sort_block_sort_config_selectorIlNS0_10empty_typeEEEZNS1_21merge_sort_block_sortIS3_PlS8_PS5_S9_ZN2at6native12_GLOBAL__N_124unique_dim_cuda_templateItEESt5tupleIJNSA_6TensorESF_SF_EERKSF_lbbbEUlllE_EE10hipError_tT0_T1_T2_T3_mRjT4_P12ihipStream_tbNS1_7vsmem_tEEUlT_E_NS1_11comp_targetILNS1_3genE2ELNS1_11target_archE906ELNS1_3gpuE6ELNS1_3repE0EEENS1_30default_config_static_selectorELNS0_4arch9wavefront6targetE1EEEvSM_,"axG",@progbits,_ZN7rocprim17ROCPRIM_400000_NS6detail17trampoline_kernelINS0_14default_configENS1_37merge_sort_block_sort_config_selectorIlNS0_10empty_typeEEEZNS1_21merge_sort_block_sortIS3_PlS8_PS5_S9_ZN2at6native12_GLOBAL__N_124unique_dim_cuda_templateItEESt5tupleIJNSA_6TensorESF_SF_EERKSF_lbbbEUlllE_EE10hipError_tT0_T1_T2_T3_mRjT4_P12ihipStream_tbNS1_7vsmem_tEEUlT_E_NS1_11comp_targetILNS1_3genE2ELNS1_11target_archE906ELNS1_3gpuE6ELNS1_3repE0EEENS1_30default_config_static_selectorELNS0_4arch9wavefront6targetE1EEEvSM_,comdat
.Lfunc_end1374:
	.size	_ZN7rocprim17ROCPRIM_400000_NS6detail17trampoline_kernelINS0_14default_configENS1_37merge_sort_block_sort_config_selectorIlNS0_10empty_typeEEEZNS1_21merge_sort_block_sortIS3_PlS8_PS5_S9_ZN2at6native12_GLOBAL__N_124unique_dim_cuda_templateItEESt5tupleIJNSA_6TensorESF_SF_EERKSF_lbbbEUlllE_EE10hipError_tT0_T1_T2_T3_mRjT4_P12ihipStream_tbNS1_7vsmem_tEEUlT_E_NS1_11comp_targetILNS1_3genE2ELNS1_11target_archE906ELNS1_3gpuE6ELNS1_3repE0EEENS1_30default_config_static_selectorELNS0_4arch9wavefront6targetE1EEEvSM_, .Lfunc_end1374-_ZN7rocprim17ROCPRIM_400000_NS6detail17trampoline_kernelINS0_14default_configENS1_37merge_sort_block_sort_config_selectorIlNS0_10empty_typeEEEZNS1_21merge_sort_block_sortIS3_PlS8_PS5_S9_ZN2at6native12_GLOBAL__N_124unique_dim_cuda_templateItEESt5tupleIJNSA_6TensorESF_SF_EERKSF_lbbbEUlllE_EE10hipError_tT0_T1_T2_T3_mRjT4_P12ihipStream_tbNS1_7vsmem_tEEUlT_E_NS1_11comp_targetILNS1_3genE2ELNS1_11target_archE906ELNS1_3gpuE6ELNS1_3repE0EEENS1_30default_config_static_selectorELNS0_4arch9wavefront6targetE1EEEvSM_
                                        ; -- End function
	.section	.AMDGPU.csdata,"",@progbits
; Kernel info:
; codeLenInByte = 0
; NumSgprs: 6
; NumVgprs: 0
; NumAgprs: 0
; TotalNumVgprs: 0
; ScratchSize: 0
; MemoryBound: 0
; FloatMode: 240
; IeeeMode: 1
; LDSByteSize: 0 bytes/workgroup (compile time only)
; SGPRBlocks: 0
; VGPRBlocks: 0
; NumSGPRsForWavesPerEU: 6
; NumVGPRsForWavesPerEU: 1
; AccumOffset: 4
; Occupancy: 8
; WaveLimiterHint : 0
; COMPUTE_PGM_RSRC2:SCRATCH_EN: 0
; COMPUTE_PGM_RSRC2:USER_SGPR: 2
; COMPUTE_PGM_RSRC2:TRAP_HANDLER: 0
; COMPUTE_PGM_RSRC2:TGID_X_EN: 1
; COMPUTE_PGM_RSRC2:TGID_Y_EN: 0
; COMPUTE_PGM_RSRC2:TGID_Z_EN: 0
; COMPUTE_PGM_RSRC2:TIDIG_COMP_CNT: 0
; COMPUTE_PGM_RSRC3_GFX90A:ACCUM_OFFSET: 0
; COMPUTE_PGM_RSRC3_GFX90A:TG_SPLIT: 0
	.section	.text._ZN7rocprim17ROCPRIM_400000_NS6detail17trampoline_kernelINS0_14default_configENS1_37merge_sort_block_sort_config_selectorIlNS0_10empty_typeEEEZNS1_21merge_sort_block_sortIS3_PlS8_PS5_S9_ZN2at6native12_GLOBAL__N_124unique_dim_cuda_templateItEESt5tupleIJNSA_6TensorESF_SF_EERKSF_lbbbEUlllE_EE10hipError_tT0_T1_T2_T3_mRjT4_P12ihipStream_tbNS1_7vsmem_tEEUlT_E_NS1_11comp_targetILNS1_3genE10ELNS1_11target_archE1201ELNS1_3gpuE5ELNS1_3repE0EEENS1_30default_config_static_selectorELNS0_4arch9wavefront6targetE1EEEvSM_,"axG",@progbits,_ZN7rocprim17ROCPRIM_400000_NS6detail17trampoline_kernelINS0_14default_configENS1_37merge_sort_block_sort_config_selectorIlNS0_10empty_typeEEEZNS1_21merge_sort_block_sortIS3_PlS8_PS5_S9_ZN2at6native12_GLOBAL__N_124unique_dim_cuda_templateItEESt5tupleIJNSA_6TensorESF_SF_EERKSF_lbbbEUlllE_EE10hipError_tT0_T1_T2_T3_mRjT4_P12ihipStream_tbNS1_7vsmem_tEEUlT_E_NS1_11comp_targetILNS1_3genE10ELNS1_11target_archE1201ELNS1_3gpuE5ELNS1_3repE0EEENS1_30default_config_static_selectorELNS0_4arch9wavefront6targetE1EEEvSM_,comdat
	.globl	_ZN7rocprim17ROCPRIM_400000_NS6detail17trampoline_kernelINS0_14default_configENS1_37merge_sort_block_sort_config_selectorIlNS0_10empty_typeEEEZNS1_21merge_sort_block_sortIS3_PlS8_PS5_S9_ZN2at6native12_GLOBAL__N_124unique_dim_cuda_templateItEESt5tupleIJNSA_6TensorESF_SF_EERKSF_lbbbEUlllE_EE10hipError_tT0_T1_T2_T3_mRjT4_P12ihipStream_tbNS1_7vsmem_tEEUlT_E_NS1_11comp_targetILNS1_3genE10ELNS1_11target_archE1201ELNS1_3gpuE5ELNS1_3repE0EEENS1_30default_config_static_selectorELNS0_4arch9wavefront6targetE1EEEvSM_ ; -- Begin function _ZN7rocprim17ROCPRIM_400000_NS6detail17trampoline_kernelINS0_14default_configENS1_37merge_sort_block_sort_config_selectorIlNS0_10empty_typeEEEZNS1_21merge_sort_block_sortIS3_PlS8_PS5_S9_ZN2at6native12_GLOBAL__N_124unique_dim_cuda_templateItEESt5tupleIJNSA_6TensorESF_SF_EERKSF_lbbbEUlllE_EE10hipError_tT0_T1_T2_T3_mRjT4_P12ihipStream_tbNS1_7vsmem_tEEUlT_E_NS1_11comp_targetILNS1_3genE10ELNS1_11target_archE1201ELNS1_3gpuE5ELNS1_3repE0EEENS1_30default_config_static_selectorELNS0_4arch9wavefront6targetE1EEEvSM_
	.p2align	8
	.type	_ZN7rocprim17ROCPRIM_400000_NS6detail17trampoline_kernelINS0_14default_configENS1_37merge_sort_block_sort_config_selectorIlNS0_10empty_typeEEEZNS1_21merge_sort_block_sortIS3_PlS8_PS5_S9_ZN2at6native12_GLOBAL__N_124unique_dim_cuda_templateItEESt5tupleIJNSA_6TensorESF_SF_EERKSF_lbbbEUlllE_EE10hipError_tT0_T1_T2_T3_mRjT4_P12ihipStream_tbNS1_7vsmem_tEEUlT_E_NS1_11comp_targetILNS1_3genE10ELNS1_11target_archE1201ELNS1_3gpuE5ELNS1_3repE0EEENS1_30default_config_static_selectorELNS0_4arch9wavefront6targetE1EEEvSM_,@function
_ZN7rocprim17ROCPRIM_400000_NS6detail17trampoline_kernelINS0_14default_configENS1_37merge_sort_block_sort_config_selectorIlNS0_10empty_typeEEEZNS1_21merge_sort_block_sortIS3_PlS8_PS5_S9_ZN2at6native12_GLOBAL__N_124unique_dim_cuda_templateItEESt5tupleIJNSA_6TensorESF_SF_EERKSF_lbbbEUlllE_EE10hipError_tT0_T1_T2_T3_mRjT4_P12ihipStream_tbNS1_7vsmem_tEEUlT_E_NS1_11comp_targetILNS1_3genE10ELNS1_11target_archE1201ELNS1_3gpuE5ELNS1_3repE0EEENS1_30default_config_static_selectorELNS0_4arch9wavefront6targetE1EEEvSM_: ; @_ZN7rocprim17ROCPRIM_400000_NS6detail17trampoline_kernelINS0_14default_configENS1_37merge_sort_block_sort_config_selectorIlNS0_10empty_typeEEEZNS1_21merge_sort_block_sortIS3_PlS8_PS5_S9_ZN2at6native12_GLOBAL__N_124unique_dim_cuda_templateItEESt5tupleIJNSA_6TensorESF_SF_EERKSF_lbbbEUlllE_EE10hipError_tT0_T1_T2_T3_mRjT4_P12ihipStream_tbNS1_7vsmem_tEEUlT_E_NS1_11comp_targetILNS1_3genE10ELNS1_11target_archE1201ELNS1_3gpuE5ELNS1_3repE0EEENS1_30default_config_static_selectorELNS0_4arch9wavefront6targetE1EEEvSM_
; %bb.0:
	.section	.rodata,"a",@progbits
	.p2align	6, 0x0
	.amdhsa_kernel _ZN7rocprim17ROCPRIM_400000_NS6detail17trampoline_kernelINS0_14default_configENS1_37merge_sort_block_sort_config_selectorIlNS0_10empty_typeEEEZNS1_21merge_sort_block_sortIS3_PlS8_PS5_S9_ZN2at6native12_GLOBAL__N_124unique_dim_cuda_templateItEESt5tupleIJNSA_6TensorESF_SF_EERKSF_lbbbEUlllE_EE10hipError_tT0_T1_T2_T3_mRjT4_P12ihipStream_tbNS1_7vsmem_tEEUlT_E_NS1_11comp_targetILNS1_3genE10ELNS1_11target_archE1201ELNS1_3gpuE5ELNS1_3repE0EEENS1_30default_config_static_selectorELNS0_4arch9wavefront6targetE1EEEvSM_
		.amdhsa_group_segment_fixed_size 0
		.amdhsa_private_segment_fixed_size 0
		.amdhsa_kernarg_size 72
		.amdhsa_user_sgpr_count 2
		.amdhsa_user_sgpr_dispatch_ptr 0
		.amdhsa_user_sgpr_queue_ptr 0
		.amdhsa_user_sgpr_kernarg_segment_ptr 1
		.amdhsa_user_sgpr_dispatch_id 0
		.amdhsa_user_sgpr_kernarg_preload_length 0
		.amdhsa_user_sgpr_kernarg_preload_offset 0
		.amdhsa_user_sgpr_private_segment_size 0
		.amdhsa_uses_dynamic_stack 0
		.amdhsa_enable_private_segment 0
		.amdhsa_system_sgpr_workgroup_id_x 1
		.amdhsa_system_sgpr_workgroup_id_y 0
		.amdhsa_system_sgpr_workgroup_id_z 0
		.amdhsa_system_sgpr_workgroup_info 0
		.amdhsa_system_vgpr_workitem_id 0
		.amdhsa_next_free_vgpr 1
		.amdhsa_next_free_sgpr 0
		.amdhsa_accum_offset 4
		.amdhsa_reserve_vcc 0
		.amdhsa_float_round_mode_32 0
		.amdhsa_float_round_mode_16_64 0
		.amdhsa_float_denorm_mode_32 3
		.amdhsa_float_denorm_mode_16_64 3
		.amdhsa_dx10_clamp 1
		.amdhsa_ieee_mode 1
		.amdhsa_fp16_overflow 0
		.amdhsa_tg_split 0
		.amdhsa_exception_fp_ieee_invalid_op 0
		.amdhsa_exception_fp_denorm_src 0
		.amdhsa_exception_fp_ieee_div_zero 0
		.amdhsa_exception_fp_ieee_overflow 0
		.amdhsa_exception_fp_ieee_underflow 0
		.amdhsa_exception_fp_ieee_inexact 0
		.amdhsa_exception_int_div_zero 0
	.end_amdhsa_kernel
	.section	.text._ZN7rocprim17ROCPRIM_400000_NS6detail17trampoline_kernelINS0_14default_configENS1_37merge_sort_block_sort_config_selectorIlNS0_10empty_typeEEEZNS1_21merge_sort_block_sortIS3_PlS8_PS5_S9_ZN2at6native12_GLOBAL__N_124unique_dim_cuda_templateItEESt5tupleIJNSA_6TensorESF_SF_EERKSF_lbbbEUlllE_EE10hipError_tT0_T1_T2_T3_mRjT4_P12ihipStream_tbNS1_7vsmem_tEEUlT_E_NS1_11comp_targetILNS1_3genE10ELNS1_11target_archE1201ELNS1_3gpuE5ELNS1_3repE0EEENS1_30default_config_static_selectorELNS0_4arch9wavefront6targetE1EEEvSM_,"axG",@progbits,_ZN7rocprim17ROCPRIM_400000_NS6detail17trampoline_kernelINS0_14default_configENS1_37merge_sort_block_sort_config_selectorIlNS0_10empty_typeEEEZNS1_21merge_sort_block_sortIS3_PlS8_PS5_S9_ZN2at6native12_GLOBAL__N_124unique_dim_cuda_templateItEESt5tupleIJNSA_6TensorESF_SF_EERKSF_lbbbEUlllE_EE10hipError_tT0_T1_T2_T3_mRjT4_P12ihipStream_tbNS1_7vsmem_tEEUlT_E_NS1_11comp_targetILNS1_3genE10ELNS1_11target_archE1201ELNS1_3gpuE5ELNS1_3repE0EEENS1_30default_config_static_selectorELNS0_4arch9wavefront6targetE1EEEvSM_,comdat
.Lfunc_end1375:
	.size	_ZN7rocprim17ROCPRIM_400000_NS6detail17trampoline_kernelINS0_14default_configENS1_37merge_sort_block_sort_config_selectorIlNS0_10empty_typeEEEZNS1_21merge_sort_block_sortIS3_PlS8_PS5_S9_ZN2at6native12_GLOBAL__N_124unique_dim_cuda_templateItEESt5tupleIJNSA_6TensorESF_SF_EERKSF_lbbbEUlllE_EE10hipError_tT0_T1_T2_T3_mRjT4_P12ihipStream_tbNS1_7vsmem_tEEUlT_E_NS1_11comp_targetILNS1_3genE10ELNS1_11target_archE1201ELNS1_3gpuE5ELNS1_3repE0EEENS1_30default_config_static_selectorELNS0_4arch9wavefront6targetE1EEEvSM_, .Lfunc_end1375-_ZN7rocprim17ROCPRIM_400000_NS6detail17trampoline_kernelINS0_14default_configENS1_37merge_sort_block_sort_config_selectorIlNS0_10empty_typeEEEZNS1_21merge_sort_block_sortIS3_PlS8_PS5_S9_ZN2at6native12_GLOBAL__N_124unique_dim_cuda_templateItEESt5tupleIJNSA_6TensorESF_SF_EERKSF_lbbbEUlllE_EE10hipError_tT0_T1_T2_T3_mRjT4_P12ihipStream_tbNS1_7vsmem_tEEUlT_E_NS1_11comp_targetILNS1_3genE10ELNS1_11target_archE1201ELNS1_3gpuE5ELNS1_3repE0EEENS1_30default_config_static_selectorELNS0_4arch9wavefront6targetE1EEEvSM_
                                        ; -- End function
	.section	.AMDGPU.csdata,"",@progbits
; Kernel info:
; codeLenInByte = 0
; NumSgprs: 6
; NumVgprs: 0
; NumAgprs: 0
; TotalNumVgprs: 0
; ScratchSize: 0
; MemoryBound: 0
; FloatMode: 240
; IeeeMode: 1
; LDSByteSize: 0 bytes/workgroup (compile time only)
; SGPRBlocks: 0
; VGPRBlocks: 0
; NumSGPRsForWavesPerEU: 6
; NumVGPRsForWavesPerEU: 1
; AccumOffset: 4
; Occupancy: 8
; WaveLimiterHint : 0
; COMPUTE_PGM_RSRC2:SCRATCH_EN: 0
; COMPUTE_PGM_RSRC2:USER_SGPR: 2
; COMPUTE_PGM_RSRC2:TRAP_HANDLER: 0
; COMPUTE_PGM_RSRC2:TGID_X_EN: 1
; COMPUTE_PGM_RSRC2:TGID_Y_EN: 0
; COMPUTE_PGM_RSRC2:TGID_Z_EN: 0
; COMPUTE_PGM_RSRC2:TIDIG_COMP_CNT: 0
; COMPUTE_PGM_RSRC3_GFX90A:ACCUM_OFFSET: 0
; COMPUTE_PGM_RSRC3_GFX90A:TG_SPLIT: 0
	.section	.text._ZN7rocprim17ROCPRIM_400000_NS6detail17trampoline_kernelINS0_14default_configENS1_37merge_sort_block_sort_config_selectorIlNS0_10empty_typeEEEZNS1_21merge_sort_block_sortIS3_PlS8_PS5_S9_ZN2at6native12_GLOBAL__N_124unique_dim_cuda_templateItEESt5tupleIJNSA_6TensorESF_SF_EERKSF_lbbbEUlllE_EE10hipError_tT0_T1_T2_T3_mRjT4_P12ihipStream_tbNS1_7vsmem_tEEUlT_E_NS1_11comp_targetILNS1_3genE10ELNS1_11target_archE1200ELNS1_3gpuE4ELNS1_3repE0EEENS1_30default_config_static_selectorELNS0_4arch9wavefront6targetE1EEEvSM_,"axG",@progbits,_ZN7rocprim17ROCPRIM_400000_NS6detail17trampoline_kernelINS0_14default_configENS1_37merge_sort_block_sort_config_selectorIlNS0_10empty_typeEEEZNS1_21merge_sort_block_sortIS3_PlS8_PS5_S9_ZN2at6native12_GLOBAL__N_124unique_dim_cuda_templateItEESt5tupleIJNSA_6TensorESF_SF_EERKSF_lbbbEUlllE_EE10hipError_tT0_T1_T2_T3_mRjT4_P12ihipStream_tbNS1_7vsmem_tEEUlT_E_NS1_11comp_targetILNS1_3genE10ELNS1_11target_archE1200ELNS1_3gpuE4ELNS1_3repE0EEENS1_30default_config_static_selectorELNS0_4arch9wavefront6targetE1EEEvSM_,comdat
	.globl	_ZN7rocprim17ROCPRIM_400000_NS6detail17trampoline_kernelINS0_14default_configENS1_37merge_sort_block_sort_config_selectorIlNS0_10empty_typeEEEZNS1_21merge_sort_block_sortIS3_PlS8_PS5_S9_ZN2at6native12_GLOBAL__N_124unique_dim_cuda_templateItEESt5tupleIJNSA_6TensorESF_SF_EERKSF_lbbbEUlllE_EE10hipError_tT0_T1_T2_T3_mRjT4_P12ihipStream_tbNS1_7vsmem_tEEUlT_E_NS1_11comp_targetILNS1_3genE10ELNS1_11target_archE1200ELNS1_3gpuE4ELNS1_3repE0EEENS1_30default_config_static_selectorELNS0_4arch9wavefront6targetE1EEEvSM_ ; -- Begin function _ZN7rocprim17ROCPRIM_400000_NS6detail17trampoline_kernelINS0_14default_configENS1_37merge_sort_block_sort_config_selectorIlNS0_10empty_typeEEEZNS1_21merge_sort_block_sortIS3_PlS8_PS5_S9_ZN2at6native12_GLOBAL__N_124unique_dim_cuda_templateItEESt5tupleIJNSA_6TensorESF_SF_EERKSF_lbbbEUlllE_EE10hipError_tT0_T1_T2_T3_mRjT4_P12ihipStream_tbNS1_7vsmem_tEEUlT_E_NS1_11comp_targetILNS1_3genE10ELNS1_11target_archE1200ELNS1_3gpuE4ELNS1_3repE0EEENS1_30default_config_static_selectorELNS0_4arch9wavefront6targetE1EEEvSM_
	.p2align	8
	.type	_ZN7rocprim17ROCPRIM_400000_NS6detail17trampoline_kernelINS0_14default_configENS1_37merge_sort_block_sort_config_selectorIlNS0_10empty_typeEEEZNS1_21merge_sort_block_sortIS3_PlS8_PS5_S9_ZN2at6native12_GLOBAL__N_124unique_dim_cuda_templateItEESt5tupleIJNSA_6TensorESF_SF_EERKSF_lbbbEUlllE_EE10hipError_tT0_T1_T2_T3_mRjT4_P12ihipStream_tbNS1_7vsmem_tEEUlT_E_NS1_11comp_targetILNS1_3genE10ELNS1_11target_archE1200ELNS1_3gpuE4ELNS1_3repE0EEENS1_30default_config_static_selectorELNS0_4arch9wavefront6targetE1EEEvSM_,@function
_ZN7rocprim17ROCPRIM_400000_NS6detail17trampoline_kernelINS0_14default_configENS1_37merge_sort_block_sort_config_selectorIlNS0_10empty_typeEEEZNS1_21merge_sort_block_sortIS3_PlS8_PS5_S9_ZN2at6native12_GLOBAL__N_124unique_dim_cuda_templateItEESt5tupleIJNSA_6TensorESF_SF_EERKSF_lbbbEUlllE_EE10hipError_tT0_T1_T2_T3_mRjT4_P12ihipStream_tbNS1_7vsmem_tEEUlT_E_NS1_11comp_targetILNS1_3genE10ELNS1_11target_archE1200ELNS1_3gpuE4ELNS1_3repE0EEENS1_30default_config_static_selectorELNS0_4arch9wavefront6targetE1EEEvSM_: ; @_ZN7rocprim17ROCPRIM_400000_NS6detail17trampoline_kernelINS0_14default_configENS1_37merge_sort_block_sort_config_selectorIlNS0_10empty_typeEEEZNS1_21merge_sort_block_sortIS3_PlS8_PS5_S9_ZN2at6native12_GLOBAL__N_124unique_dim_cuda_templateItEESt5tupleIJNSA_6TensorESF_SF_EERKSF_lbbbEUlllE_EE10hipError_tT0_T1_T2_T3_mRjT4_P12ihipStream_tbNS1_7vsmem_tEEUlT_E_NS1_11comp_targetILNS1_3genE10ELNS1_11target_archE1200ELNS1_3gpuE4ELNS1_3repE0EEENS1_30default_config_static_selectorELNS0_4arch9wavefront6targetE1EEEvSM_
; %bb.0:
	.section	.rodata,"a",@progbits
	.p2align	6, 0x0
	.amdhsa_kernel _ZN7rocprim17ROCPRIM_400000_NS6detail17trampoline_kernelINS0_14default_configENS1_37merge_sort_block_sort_config_selectorIlNS0_10empty_typeEEEZNS1_21merge_sort_block_sortIS3_PlS8_PS5_S9_ZN2at6native12_GLOBAL__N_124unique_dim_cuda_templateItEESt5tupleIJNSA_6TensorESF_SF_EERKSF_lbbbEUlllE_EE10hipError_tT0_T1_T2_T3_mRjT4_P12ihipStream_tbNS1_7vsmem_tEEUlT_E_NS1_11comp_targetILNS1_3genE10ELNS1_11target_archE1200ELNS1_3gpuE4ELNS1_3repE0EEENS1_30default_config_static_selectorELNS0_4arch9wavefront6targetE1EEEvSM_
		.amdhsa_group_segment_fixed_size 0
		.amdhsa_private_segment_fixed_size 0
		.amdhsa_kernarg_size 72
		.amdhsa_user_sgpr_count 2
		.amdhsa_user_sgpr_dispatch_ptr 0
		.amdhsa_user_sgpr_queue_ptr 0
		.amdhsa_user_sgpr_kernarg_segment_ptr 1
		.amdhsa_user_sgpr_dispatch_id 0
		.amdhsa_user_sgpr_kernarg_preload_length 0
		.amdhsa_user_sgpr_kernarg_preload_offset 0
		.amdhsa_user_sgpr_private_segment_size 0
		.amdhsa_uses_dynamic_stack 0
		.amdhsa_enable_private_segment 0
		.amdhsa_system_sgpr_workgroup_id_x 1
		.amdhsa_system_sgpr_workgroup_id_y 0
		.amdhsa_system_sgpr_workgroup_id_z 0
		.amdhsa_system_sgpr_workgroup_info 0
		.amdhsa_system_vgpr_workitem_id 0
		.amdhsa_next_free_vgpr 1
		.amdhsa_next_free_sgpr 0
		.amdhsa_accum_offset 4
		.amdhsa_reserve_vcc 0
		.amdhsa_float_round_mode_32 0
		.amdhsa_float_round_mode_16_64 0
		.amdhsa_float_denorm_mode_32 3
		.amdhsa_float_denorm_mode_16_64 3
		.amdhsa_dx10_clamp 1
		.amdhsa_ieee_mode 1
		.amdhsa_fp16_overflow 0
		.amdhsa_tg_split 0
		.amdhsa_exception_fp_ieee_invalid_op 0
		.amdhsa_exception_fp_denorm_src 0
		.amdhsa_exception_fp_ieee_div_zero 0
		.amdhsa_exception_fp_ieee_overflow 0
		.amdhsa_exception_fp_ieee_underflow 0
		.amdhsa_exception_fp_ieee_inexact 0
		.amdhsa_exception_int_div_zero 0
	.end_amdhsa_kernel
	.section	.text._ZN7rocprim17ROCPRIM_400000_NS6detail17trampoline_kernelINS0_14default_configENS1_37merge_sort_block_sort_config_selectorIlNS0_10empty_typeEEEZNS1_21merge_sort_block_sortIS3_PlS8_PS5_S9_ZN2at6native12_GLOBAL__N_124unique_dim_cuda_templateItEESt5tupleIJNSA_6TensorESF_SF_EERKSF_lbbbEUlllE_EE10hipError_tT0_T1_T2_T3_mRjT4_P12ihipStream_tbNS1_7vsmem_tEEUlT_E_NS1_11comp_targetILNS1_3genE10ELNS1_11target_archE1200ELNS1_3gpuE4ELNS1_3repE0EEENS1_30default_config_static_selectorELNS0_4arch9wavefront6targetE1EEEvSM_,"axG",@progbits,_ZN7rocprim17ROCPRIM_400000_NS6detail17trampoline_kernelINS0_14default_configENS1_37merge_sort_block_sort_config_selectorIlNS0_10empty_typeEEEZNS1_21merge_sort_block_sortIS3_PlS8_PS5_S9_ZN2at6native12_GLOBAL__N_124unique_dim_cuda_templateItEESt5tupleIJNSA_6TensorESF_SF_EERKSF_lbbbEUlllE_EE10hipError_tT0_T1_T2_T3_mRjT4_P12ihipStream_tbNS1_7vsmem_tEEUlT_E_NS1_11comp_targetILNS1_3genE10ELNS1_11target_archE1200ELNS1_3gpuE4ELNS1_3repE0EEENS1_30default_config_static_selectorELNS0_4arch9wavefront6targetE1EEEvSM_,comdat
.Lfunc_end1376:
	.size	_ZN7rocprim17ROCPRIM_400000_NS6detail17trampoline_kernelINS0_14default_configENS1_37merge_sort_block_sort_config_selectorIlNS0_10empty_typeEEEZNS1_21merge_sort_block_sortIS3_PlS8_PS5_S9_ZN2at6native12_GLOBAL__N_124unique_dim_cuda_templateItEESt5tupleIJNSA_6TensorESF_SF_EERKSF_lbbbEUlllE_EE10hipError_tT0_T1_T2_T3_mRjT4_P12ihipStream_tbNS1_7vsmem_tEEUlT_E_NS1_11comp_targetILNS1_3genE10ELNS1_11target_archE1200ELNS1_3gpuE4ELNS1_3repE0EEENS1_30default_config_static_selectorELNS0_4arch9wavefront6targetE1EEEvSM_, .Lfunc_end1376-_ZN7rocprim17ROCPRIM_400000_NS6detail17trampoline_kernelINS0_14default_configENS1_37merge_sort_block_sort_config_selectorIlNS0_10empty_typeEEEZNS1_21merge_sort_block_sortIS3_PlS8_PS5_S9_ZN2at6native12_GLOBAL__N_124unique_dim_cuda_templateItEESt5tupleIJNSA_6TensorESF_SF_EERKSF_lbbbEUlllE_EE10hipError_tT0_T1_T2_T3_mRjT4_P12ihipStream_tbNS1_7vsmem_tEEUlT_E_NS1_11comp_targetILNS1_3genE10ELNS1_11target_archE1200ELNS1_3gpuE4ELNS1_3repE0EEENS1_30default_config_static_selectorELNS0_4arch9wavefront6targetE1EEEvSM_
                                        ; -- End function
	.section	.AMDGPU.csdata,"",@progbits
; Kernel info:
; codeLenInByte = 0
; NumSgprs: 6
; NumVgprs: 0
; NumAgprs: 0
; TotalNumVgprs: 0
; ScratchSize: 0
; MemoryBound: 0
; FloatMode: 240
; IeeeMode: 1
; LDSByteSize: 0 bytes/workgroup (compile time only)
; SGPRBlocks: 0
; VGPRBlocks: 0
; NumSGPRsForWavesPerEU: 6
; NumVGPRsForWavesPerEU: 1
; AccumOffset: 4
; Occupancy: 8
; WaveLimiterHint : 0
; COMPUTE_PGM_RSRC2:SCRATCH_EN: 0
; COMPUTE_PGM_RSRC2:USER_SGPR: 2
; COMPUTE_PGM_RSRC2:TRAP_HANDLER: 0
; COMPUTE_PGM_RSRC2:TGID_X_EN: 1
; COMPUTE_PGM_RSRC2:TGID_Y_EN: 0
; COMPUTE_PGM_RSRC2:TGID_Z_EN: 0
; COMPUTE_PGM_RSRC2:TIDIG_COMP_CNT: 0
; COMPUTE_PGM_RSRC3_GFX90A:ACCUM_OFFSET: 0
; COMPUTE_PGM_RSRC3_GFX90A:TG_SPLIT: 0
	.section	.text._ZN7rocprim17ROCPRIM_400000_NS6detail17trampoline_kernelINS0_14default_configENS1_37merge_sort_block_sort_config_selectorIlNS0_10empty_typeEEEZNS1_21merge_sort_block_sortIS3_PlS8_PS5_S9_ZN2at6native12_GLOBAL__N_124unique_dim_cuda_templateItEESt5tupleIJNSA_6TensorESF_SF_EERKSF_lbbbEUlllE_EE10hipError_tT0_T1_T2_T3_mRjT4_P12ihipStream_tbNS1_7vsmem_tEEUlT_E_NS1_11comp_targetILNS1_3genE9ELNS1_11target_archE1100ELNS1_3gpuE3ELNS1_3repE0EEENS1_30default_config_static_selectorELNS0_4arch9wavefront6targetE1EEEvSM_,"axG",@progbits,_ZN7rocprim17ROCPRIM_400000_NS6detail17trampoline_kernelINS0_14default_configENS1_37merge_sort_block_sort_config_selectorIlNS0_10empty_typeEEEZNS1_21merge_sort_block_sortIS3_PlS8_PS5_S9_ZN2at6native12_GLOBAL__N_124unique_dim_cuda_templateItEESt5tupleIJNSA_6TensorESF_SF_EERKSF_lbbbEUlllE_EE10hipError_tT0_T1_T2_T3_mRjT4_P12ihipStream_tbNS1_7vsmem_tEEUlT_E_NS1_11comp_targetILNS1_3genE9ELNS1_11target_archE1100ELNS1_3gpuE3ELNS1_3repE0EEENS1_30default_config_static_selectorELNS0_4arch9wavefront6targetE1EEEvSM_,comdat
	.globl	_ZN7rocprim17ROCPRIM_400000_NS6detail17trampoline_kernelINS0_14default_configENS1_37merge_sort_block_sort_config_selectorIlNS0_10empty_typeEEEZNS1_21merge_sort_block_sortIS3_PlS8_PS5_S9_ZN2at6native12_GLOBAL__N_124unique_dim_cuda_templateItEESt5tupleIJNSA_6TensorESF_SF_EERKSF_lbbbEUlllE_EE10hipError_tT0_T1_T2_T3_mRjT4_P12ihipStream_tbNS1_7vsmem_tEEUlT_E_NS1_11comp_targetILNS1_3genE9ELNS1_11target_archE1100ELNS1_3gpuE3ELNS1_3repE0EEENS1_30default_config_static_selectorELNS0_4arch9wavefront6targetE1EEEvSM_ ; -- Begin function _ZN7rocprim17ROCPRIM_400000_NS6detail17trampoline_kernelINS0_14default_configENS1_37merge_sort_block_sort_config_selectorIlNS0_10empty_typeEEEZNS1_21merge_sort_block_sortIS3_PlS8_PS5_S9_ZN2at6native12_GLOBAL__N_124unique_dim_cuda_templateItEESt5tupleIJNSA_6TensorESF_SF_EERKSF_lbbbEUlllE_EE10hipError_tT0_T1_T2_T3_mRjT4_P12ihipStream_tbNS1_7vsmem_tEEUlT_E_NS1_11comp_targetILNS1_3genE9ELNS1_11target_archE1100ELNS1_3gpuE3ELNS1_3repE0EEENS1_30default_config_static_selectorELNS0_4arch9wavefront6targetE1EEEvSM_
	.p2align	8
	.type	_ZN7rocprim17ROCPRIM_400000_NS6detail17trampoline_kernelINS0_14default_configENS1_37merge_sort_block_sort_config_selectorIlNS0_10empty_typeEEEZNS1_21merge_sort_block_sortIS3_PlS8_PS5_S9_ZN2at6native12_GLOBAL__N_124unique_dim_cuda_templateItEESt5tupleIJNSA_6TensorESF_SF_EERKSF_lbbbEUlllE_EE10hipError_tT0_T1_T2_T3_mRjT4_P12ihipStream_tbNS1_7vsmem_tEEUlT_E_NS1_11comp_targetILNS1_3genE9ELNS1_11target_archE1100ELNS1_3gpuE3ELNS1_3repE0EEENS1_30default_config_static_selectorELNS0_4arch9wavefront6targetE1EEEvSM_,@function
_ZN7rocprim17ROCPRIM_400000_NS6detail17trampoline_kernelINS0_14default_configENS1_37merge_sort_block_sort_config_selectorIlNS0_10empty_typeEEEZNS1_21merge_sort_block_sortIS3_PlS8_PS5_S9_ZN2at6native12_GLOBAL__N_124unique_dim_cuda_templateItEESt5tupleIJNSA_6TensorESF_SF_EERKSF_lbbbEUlllE_EE10hipError_tT0_T1_T2_T3_mRjT4_P12ihipStream_tbNS1_7vsmem_tEEUlT_E_NS1_11comp_targetILNS1_3genE9ELNS1_11target_archE1100ELNS1_3gpuE3ELNS1_3repE0EEENS1_30default_config_static_selectorELNS0_4arch9wavefront6targetE1EEEvSM_: ; @_ZN7rocprim17ROCPRIM_400000_NS6detail17trampoline_kernelINS0_14default_configENS1_37merge_sort_block_sort_config_selectorIlNS0_10empty_typeEEEZNS1_21merge_sort_block_sortIS3_PlS8_PS5_S9_ZN2at6native12_GLOBAL__N_124unique_dim_cuda_templateItEESt5tupleIJNSA_6TensorESF_SF_EERKSF_lbbbEUlllE_EE10hipError_tT0_T1_T2_T3_mRjT4_P12ihipStream_tbNS1_7vsmem_tEEUlT_E_NS1_11comp_targetILNS1_3genE9ELNS1_11target_archE1100ELNS1_3gpuE3ELNS1_3repE0EEENS1_30default_config_static_selectorELNS0_4arch9wavefront6targetE1EEEvSM_
; %bb.0:
	.section	.rodata,"a",@progbits
	.p2align	6, 0x0
	.amdhsa_kernel _ZN7rocprim17ROCPRIM_400000_NS6detail17trampoline_kernelINS0_14default_configENS1_37merge_sort_block_sort_config_selectorIlNS0_10empty_typeEEEZNS1_21merge_sort_block_sortIS3_PlS8_PS5_S9_ZN2at6native12_GLOBAL__N_124unique_dim_cuda_templateItEESt5tupleIJNSA_6TensorESF_SF_EERKSF_lbbbEUlllE_EE10hipError_tT0_T1_T2_T3_mRjT4_P12ihipStream_tbNS1_7vsmem_tEEUlT_E_NS1_11comp_targetILNS1_3genE9ELNS1_11target_archE1100ELNS1_3gpuE3ELNS1_3repE0EEENS1_30default_config_static_selectorELNS0_4arch9wavefront6targetE1EEEvSM_
		.amdhsa_group_segment_fixed_size 0
		.amdhsa_private_segment_fixed_size 0
		.amdhsa_kernarg_size 72
		.amdhsa_user_sgpr_count 2
		.amdhsa_user_sgpr_dispatch_ptr 0
		.amdhsa_user_sgpr_queue_ptr 0
		.amdhsa_user_sgpr_kernarg_segment_ptr 1
		.amdhsa_user_sgpr_dispatch_id 0
		.amdhsa_user_sgpr_kernarg_preload_length 0
		.amdhsa_user_sgpr_kernarg_preload_offset 0
		.amdhsa_user_sgpr_private_segment_size 0
		.amdhsa_uses_dynamic_stack 0
		.amdhsa_enable_private_segment 0
		.amdhsa_system_sgpr_workgroup_id_x 1
		.amdhsa_system_sgpr_workgroup_id_y 0
		.amdhsa_system_sgpr_workgroup_id_z 0
		.amdhsa_system_sgpr_workgroup_info 0
		.amdhsa_system_vgpr_workitem_id 0
		.amdhsa_next_free_vgpr 1
		.amdhsa_next_free_sgpr 0
		.amdhsa_accum_offset 4
		.amdhsa_reserve_vcc 0
		.amdhsa_float_round_mode_32 0
		.amdhsa_float_round_mode_16_64 0
		.amdhsa_float_denorm_mode_32 3
		.amdhsa_float_denorm_mode_16_64 3
		.amdhsa_dx10_clamp 1
		.amdhsa_ieee_mode 1
		.amdhsa_fp16_overflow 0
		.amdhsa_tg_split 0
		.amdhsa_exception_fp_ieee_invalid_op 0
		.amdhsa_exception_fp_denorm_src 0
		.amdhsa_exception_fp_ieee_div_zero 0
		.amdhsa_exception_fp_ieee_overflow 0
		.amdhsa_exception_fp_ieee_underflow 0
		.amdhsa_exception_fp_ieee_inexact 0
		.amdhsa_exception_int_div_zero 0
	.end_amdhsa_kernel
	.section	.text._ZN7rocprim17ROCPRIM_400000_NS6detail17trampoline_kernelINS0_14default_configENS1_37merge_sort_block_sort_config_selectorIlNS0_10empty_typeEEEZNS1_21merge_sort_block_sortIS3_PlS8_PS5_S9_ZN2at6native12_GLOBAL__N_124unique_dim_cuda_templateItEESt5tupleIJNSA_6TensorESF_SF_EERKSF_lbbbEUlllE_EE10hipError_tT0_T1_T2_T3_mRjT4_P12ihipStream_tbNS1_7vsmem_tEEUlT_E_NS1_11comp_targetILNS1_3genE9ELNS1_11target_archE1100ELNS1_3gpuE3ELNS1_3repE0EEENS1_30default_config_static_selectorELNS0_4arch9wavefront6targetE1EEEvSM_,"axG",@progbits,_ZN7rocprim17ROCPRIM_400000_NS6detail17trampoline_kernelINS0_14default_configENS1_37merge_sort_block_sort_config_selectorIlNS0_10empty_typeEEEZNS1_21merge_sort_block_sortIS3_PlS8_PS5_S9_ZN2at6native12_GLOBAL__N_124unique_dim_cuda_templateItEESt5tupleIJNSA_6TensorESF_SF_EERKSF_lbbbEUlllE_EE10hipError_tT0_T1_T2_T3_mRjT4_P12ihipStream_tbNS1_7vsmem_tEEUlT_E_NS1_11comp_targetILNS1_3genE9ELNS1_11target_archE1100ELNS1_3gpuE3ELNS1_3repE0EEENS1_30default_config_static_selectorELNS0_4arch9wavefront6targetE1EEEvSM_,comdat
.Lfunc_end1377:
	.size	_ZN7rocprim17ROCPRIM_400000_NS6detail17trampoline_kernelINS0_14default_configENS1_37merge_sort_block_sort_config_selectorIlNS0_10empty_typeEEEZNS1_21merge_sort_block_sortIS3_PlS8_PS5_S9_ZN2at6native12_GLOBAL__N_124unique_dim_cuda_templateItEESt5tupleIJNSA_6TensorESF_SF_EERKSF_lbbbEUlllE_EE10hipError_tT0_T1_T2_T3_mRjT4_P12ihipStream_tbNS1_7vsmem_tEEUlT_E_NS1_11comp_targetILNS1_3genE9ELNS1_11target_archE1100ELNS1_3gpuE3ELNS1_3repE0EEENS1_30default_config_static_selectorELNS0_4arch9wavefront6targetE1EEEvSM_, .Lfunc_end1377-_ZN7rocprim17ROCPRIM_400000_NS6detail17trampoline_kernelINS0_14default_configENS1_37merge_sort_block_sort_config_selectorIlNS0_10empty_typeEEEZNS1_21merge_sort_block_sortIS3_PlS8_PS5_S9_ZN2at6native12_GLOBAL__N_124unique_dim_cuda_templateItEESt5tupleIJNSA_6TensorESF_SF_EERKSF_lbbbEUlllE_EE10hipError_tT0_T1_T2_T3_mRjT4_P12ihipStream_tbNS1_7vsmem_tEEUlT_E_NS1_11comp_targetILNS1_3genE9ELNS1_11target_archE1100ELNS1_3gpuE3ELNS1_3repE0EEENS1_30default_config_static_selectorELNS0_4arch9wavefront6targetE1EEEvSM_
                                        ; -- End function
	.section	.AMDGPU.csdata,"",@progbits
; Kernel info:
; codeLenInByte = 0
; NumSgprs: 6
; NumVgprs: 0
; NumAgprs: 0
; TotalNumVgprs: 0
; ScratchSize: 0
; MemoryBound: 0
; FloatMode: 240
; IeeeMode: 1
; LDSByteSize: 0 bytes/workgroup (compile time only)
; SGPRBlocks: 0
; VGPRBlocks: 0
; NumSGPRsForWavesPerEU: 6
; NumVGPRsForWavesPerEU: 1
; AccumOffset: 4
; Occupancy: 8
; WaveLimiterHint : 0
; COMPUTE_PGM_RSRC2:SCRATCH_EN: 0
; COMPUTE_PGM_RSRC2:USER_SGPR: 2
; COMPUTE_PGM_RSRC2:TRAP_HANDLER: 0
; COMPUTE_PGM_RSRC2:TGID_X_EN: 1
; COMPUTE_PGM_RSRC2:TGID_Y_EN: 0
; COMPUTE_PGM_RSRC2:TGID_Z_EN: 0
; COMPUTE_PGM_RSRC2:TIDIG_COMP_CNT: 0
; COMPUTE_PGM_RSRC3_GFX90A:ACCUM_OFFSET: 0
; COMPUTE_PGM_RSRC3_GFX90A:TG_SPLIT: 0
	.section	.text._ZN7rocprim17ROCPRIM_400000_NS6detail17trampoline_kernelINS0_14default_configENS1_37merge_sort_block_sort_config_selectorIlNS0_10empty_typeEEEZNS1_21merge_sort_block_sortIS3_PlS8_PS5_S9_ZN2at6native12_GLOBAL__N_124unique_dim_cuda_templateItEESt5tupleIJNSA_6TensorESF_SF_EERKSF_lbbbEUlllE_EE10hipError_tT0_T1_T2_T3_mRjT4_P12ihipStream_tbNS1_7vsmem_tEEUlT_E_NS1_11comp_targetILNS1_3genE8ELNS1_11target_archE1030ELNS1_3gpuE2ELNS1_3repE0EEENS1_30default_config_static_selectorELNS0_4arch9wavefront6targetE1EEEvSM_,"axG",@progbits,_ZN7rocprim17ROCPRIM_400000_NS6detail17trampoline_kernelINS0_14default_configENS1_37merge_sort_block_sort_config_selectorIlNS0_10empty_typeEEEZNS1_21merge_sort_block_sortIS3_PlS8_PS5_S9_ZN2at6native12_GLOBAL__N_124unique_dim_cuda_templateItEESt5tupleIJNSA_6TensorESF_SF_EERKSF_lbbbEUlllE_EE10hipError_tT0_T1_T2_T3_mRjT4_P12ihipStream_tbNS1_7vsmem_tEEUlT_E_NS1_11comp_targetILNS1_3genE8ELNS1_11target_archE1030ELNS1_3gpuE2ELNS1_3repE0EEENS1_30default_config_static_selectorELNS0_4arch9wavefront6targetE1EEEvSM_,comdat
	.globl	_ZN7rocprim17ROCPRIM_400000_NS6detail17trampoline_kernelINS0_14default_configENS1_37merge_sort_block_sort_config_selectorIlNS0_10empty_typeEEEZNS1_21merge_sort_block_sortIS3_PlS8_PS5_S9_ZN2at6native12_GLOBAL__N_124unique_dim_cuda_templateItEESt5tupleIJNSA_6TensorESF_SF_EERKSF_lbbbEUlllE_EE10hipError_tT0_T1_T2_T3_mRjT4_P12ihipStream_tbNS1_7vsmem_tEEUlT_E_NS1_11comp_targetILNS1_3genE8ELNS1_11target_archE1030ELNS1_3gpuE2ELNS1_3repE0EEENS1_30default_config_static_selectorELNS0_4arch9wavefront6targetE1EEEvSM_ ; -- Begin function _ZN7rocprim17ROCPRIM_400000_NS6detail17trampoline_kernelINS0_14default_configENS1_37merge_sort_block_sort_config_selectorIlNS0_10empty_typeEEEZNS1_21merge_sort_block_sortIS3_PlS8_PS5_S9_ZN2at6native12_GLOBAL__N_124unique_dim_cuda_templateItEESt5tupleIJNSA_6TensorESF_SF_EERKSF_lbbbEUlllE_EE10hipError_tT0_T1_T2_T3_mRjT4_P12ihipStream_tbNS1_7vsmem_tEEUlT_E_NS1_11comp_targetILNS1_3genE8ELNS1_11target_archE1030ELNS1_3gpuE2ELNS1_3repE0EEENS1_30default_config_static_selectorELNS0_4arch9wavefront6targetE1EEEvSM_
	.p2align	8
	.type	_ZN7rocprim17ROCPRIM_400000_NS6detail17trampoline_kernelINS0_14default_configENS1_37merge_sort_block_sort_config_selectorIlNS0_10empty_typeEEEZNS1_21merge_sort_block_sortIS3_PlS8_PS5_S9_ZN2at6native12_GLOBAL__N_124unique_dim_cuda_templateItEESt5tupleIJNSA_6TensorESF_SF_EERKSF_lbbbEUlllE_EE10hipError_tT0_T1_T2_T3_mRjT4_P12ihipStream_tbNS1_7vsmem_tEEUlT_E_NS1_11comp_targetILNS1_3genE8ELNS1_11target_archE1030ELNS1_3gpuE2ELNS1_3repE0EEENS1_30default_config_static_selectorELNS0_4arch9wavefront6targetE1EEEvSM_,@function
_ZN7rocprim17ROCPRIM_400000_NS6detail17trampoline_kernelINS0_14default_configENS1_37merge_sort_block_sort_config_selectorIlNS0_10empty_typeEEEZNS1_21merge_sort_block_sortIS3_PlS8_PS5_S9_ZN2at6native12_GLOBAL__N_124unique_dim_cuda_templateItEESt5tupleIJNSA_6TensorESF_SF_EERKSF_lbbbEUlllE_EE10hipError_tT0_T1_T2_T3_mRjT4_P12ihipStream_tbNS1_7vsmem_tEEUlT_E_NS1_11comp_targetILNS1_3genE8ELNS1_11target_archE1030ELNS1_3gpuE2ELNS1_3repE0EEENS1_30default_config_static_selectorELNS0_4arch9wavefront6targetE1EEEvSM_: ; @_ZN7rocprim17ROCPRIM_400000_NS6detail17trampoline_kernelINS0_14default_configENS1_37merge_sort_block_sort_config_selectorIlNS0_10empty_typeEEEZNS1_21merge_sort_block_sortIS3_PlS8_PS5_S9_ZN2at6native12_GLOBAL__N_124unique_dim_cuda_templateItEESt5tupleIJNSA_6TensorESF_SF_EERKSF_lbbbEUlllE_EE10hipError_tT0_T1_T2_T3_mRjT4_P12ihipStream_tbNS1_7vsmem_tEEUlT_E_NS1_11comp_targetILNS1_3genE8ELNS1_11target_archE1030ELNS1_3gpuE2ELNS1_3repE0EEENS1_30default_config_static_selectorELNS0_4arch9wavefront6targetE1EEEvSM_
; %bb.0:
	.section	.rodata,"a",@progbits
	.p2align	6, 0x0
	.amdhsa_kernel _ZN7rocprim17ROCPRIM_400000_NS6detail17trampoline_kernelINS0_14default_configENS1_37merge_sort_block_sort_config_selectorIlNS0_10empty_typeEEEZNS1_21merge_sort_block_sortIS3_PlS8_PS5_S9_ZN2at6native12_GLOBAL__N_124unique_dim_cuda_templateItEESt5tupleIJNSA_6TensorESF_SF_EERKSF_lbbbEUlllE_EE10hipError_tT0_T1_T2_T3_mRjT4_P12ihipStream_tbNS1_7vsmem_tEEUlT_E_NS1_11comp_targetILNS1_3genE8ELNS1_11target_archE1030ELNS1_3gpuE2ELNS1_3repE0EEENS1_30default_config_static_selectorELNS0_4arch9wavefront6targetE1EEEvSM_
		.amdhsa_group_segment_fixed_size 0
		.amdhsa_private_segment_fixed_size 0
		.amdhsa_kernarg_size 72
		.amdhsa_user_sgpr_count 2
		.amdhsa_user_sgpr_dispatch_ptr 0
		.amdhsa_user_sgpr_queue_ptr 0
		.amdhsa_user_sgpr_kernarg_segment_ptr 1
		.amdhsa_user_sgpr_dispatch_id 0
		.amdhsa_user_sgpr_kernarg_preload_length 0
		.amdhsa_user_sgpr_kernarg_preload_offset 0
		.amdhsa_user_sgpr_private_segment_size 0
		.amdhsa_uses_dynamic_stack 0
		.amdhsa_enable_private_segment 0
		.amdhsa_system_sgpr_workgroup_id_x 1
		.amdhsa_system_sgpr_workgroup_id_y 0
		.amdhsa_system_sgpr_workgroup_id_z 0
		.amdhsa_system_sgpr_workgroup_info 0
		.amdhsa_system_vgpr_workitem_id 0
		.amdhsa_next_free_vgpr 1
		.amdhsa_next_free_sgpr 0
		.amdhsa_accum_offset 4
		.amdhsa_reserve_vcc 0
		.amdhsa_float_round_mode_32 0
		.amdhsa_float_round_mode_16_64 0
		.amdhsa_float_denorm_mode_32 3
		.amdhsa_float_denorm_mode_16_64 3
		.amdhsa_dx10_clamp 1
		.amdhsa_ieee_mode 1
		.amdhsa_fp16_overflow 0
		.amdhsa_tg_split 0
		.amdhsa_exception_fp_ieee_invalid_op 0
		.amdhsa_exception_fp_denorm_src 0
		.amdhsa_exception_fp_ieee_div_zero 0
		.amdhsa_exception_fp_ieee_overflow 0
		.amdhsa_exception_fp_ieee_underflow 0
		.amdhsa_exception_fp_ieee_inexact 0
		.amdhsa_exception_int_div_zero 0
	.end_amdhsa_kernel
	.section	.text._ZN7rocprim17ROCPRIM_400000_NS6detail17trampoline_kernelINS0_14default_configENS1_37merge_sort_block_sort_config_selectorIlNS0_10empty_typeEEEZNS1_21merge_sort_block_sortIS3_PlS8_PS5_S9_ZN2at6native12_GLOBAL__N_124unique_dim_cuda_templateItEESt5tupleIJNSA_6TensorESF_SF_EERKSF_lbbbEUlllE_EE10hipError_tT0_T1_T2_T3_mRjT4_P12ihipStream_tbNS1_7vsmem_tEEUlT_E_NS1_11comp_targetILNS1_3genE8ELNS1_11target_archE1030ELNS1_3gpuE2ELNS1_3repE0EEENS1_30default_config_static_selectorELNS0_4arch9wavefront6targetE1EEEvSM_,"axG",@progbits,_ZN7rocprim17ROCPRIM_400000_NS6detail17trampoline_kernelINS0_14default_configENS1_37merge_sort_block_sort_config_selectorIlNS0_10empty_typeEEEZNS1_21merge_sort_block_sortIS3_PlS8_PS5_S9_ZN2at6native12_GLOBAL__N_124unique_dim_cuda_templateItEESt5tupleIJNSA_6TensorESF_SF_EERKSF_lbbbEUlllE_EE10hipError_tT0_T1_T2_T3_mRjT4_P12ihipStream_tbNS1_7vsmem_tEEUlT_E_NS1_11comp_targetILNS1_3genE8ELNS1_11target_archE1030ELNS1_3gpuE2ELNS1_3repE0EEENS1_30default_config_static_selectorELNS0_4arch9wavefront6targetE1EEEvSM_,comdat
.Lfunc_end1378:
	.size	_ZN7rocprim17ROCPRIM_400000_NS6detail17trampoline_kernelINS0_14default_configENS1_37merge_sort_block_sort_config_selectorIlNS0_10empty_typeEEEZNS1_21merge_sort_block_sortIS3_PlS8_PS5_S9_ZN2at6native12_GLOBAL__N_124unique_dim_cuda_templateItEESt5tupleIJNSA_6TensorESF_SF_EERKSF_lbbbEUlllE_EE10hipError_tT0_T1_T2_T3_mRjT4_P12ihipStream_tbNS1_7vsmem_tEEUlT_E_NS1_11comp_targetILNS1_3genE8ELNS1_11target_archE1030ELNS1_3gpuE2ELNS1_3repE0EEENS1_30default_config_static_selectorELNS0_4arch9wavefront6targetE1EEEvSM_, .Lfunc_end1378-_ZN7rocprim17ROCPRIM_400000_NS6detail17trampoline_kernelINS0_14default_configENS1_37merge_sort_block_sort_config_selectorIlNS0_10empty_typeEEEZNS1_21merge_sort_block_sortIS3_PlS8_PS5_S9_ZN2at6native12_GLOBAL__N_124unique_dim_cuda_templateItEESt5tupleIJNSA_6TensorESF_SF_EERKSF_lbbbEUlllE_EE10hipError_tT0_T1_T2_T3_mRjT4_P12ihipStream_tbNS1_7vsmem_tEEUlT_E_NS1_11comp_targetILNS1_3genE8ELNS1_11target_archE1030ELNS1_3gpuE2ELNS1_3repE0EEENS1_30default_config_static_selectorELNS0_4arch9wavefront6targetE1EEEvSM_
                                        ; -- End function
	.section	.AMDGPU.csdata,"",@progbits
; Kernel info:
; codeLenInByte = 0
; NumSgprs: 6
; NumVgprs: 0
; NumAgprs: 0
; TotalNumVgprs: 0
; ScratchSize: 0
; MemoryBound: 0
; FloatMode: 240
; IeeeMode: 1
; LDSByteSize: 0 bytes/workgroup (compile time only)
; SGPRBlocks: 0
; VGPRBlocks: 0
; NumSGPRsForWavesPerEU: 6
; NumVGPRsForWavesPerEU: 1
; AccumOffset: 4
; Occupancy: 8
; WaveLimiterHint : 0
; COMPUTE_PGM_RSRC2:SCRATCH_EN: 0
; COMPUTE_PGM_RSRC2:USER_SGPR: 2
; COMPUTE_PGM_RSRC2:TRAP_HANDLER: 0
; COMPUTE_PGM_RSRC2:TGID_X_EN: 1
; COMPUTE_PGM_RSRC2:TGID_Y_EN: 0
; COMPUTE_PGM_RSRC2:TGID_Z_EN: 0
; COMPUTE_PGM_RSRC2:TIDIG_COMP_CNT: 0
; COMPUTE_PGM_RSRC3_GFX90A:ACCUM_OFFSET: 0
; COMPUTE_PGM_RSRC3_GFX90A:TG_SPLIT: 0
	.section	.text._ZN7rocprim17ROCPRIM_400000_NS6detail17trampoline_kernelINS0_14default_configENS1_38merge_sort_block_merge_config_selectorIlNS0_10empty_typeEEEZZNS1_27merge_sort_block_merge_implIS3_PlPS5_mZN2at6native12_GLOBAL__N_124unique_dim_cuda_templateItEESt5tupleIJNSA_6TensorESF_SF_EERKSF_lbbbEUlllE_EE10hipError_tT0_T1_T2_jT3_P12ihipStream_tbPNSt15iterator_traitsISL_E10value_typeEPNSR_ISM_E10value_typeEPSN_NS1_7vsmem_tEENKUlT_SL_SM_SN_E_clIS8_S8_S9_S9_EESK_S10_SL_SM_SN_EUlS10_E_NS1_11comp_targetILNS1_3genE0ELNS1_11target_archE4294967295ELNS1_3gpuE0ELNS1_3repE0EEENS1_48merge_mergepath_partition_config_static_selectorELNS0_4arch9wavefront6targetE1EEEvSM_,"axG",@progbits,_ZN7rocprim17ROCPRIM_400000_NS6detail17trampoline_kernelINS0_14default_configENS1_38merge_sort_block_merge_config_selectorIlNS0_10empty_typeEEEZZNS1_27merge_sort_block_merge_implIS3_PlPS5_mZN2at6native12_GLOBAL__N_124unique_dim_cuda_templateItEESt5tupleIJNSA_6TensorESF_SF_EERKSF_lbbbEUlllE_EE10hipError_tT0_T1_T2_jT3_P12ihipStream_tbPNSt15iterator_traitsISL_E10value_typeEPNSR_ISM_E10value_typeEPSN_NS1_7vsmem_tEENKUlT_SL_SM_SN_E_clIS8_S8_S9_S9_EESK_S10_SL_SM_SN_EUlS10_E_NS1_11comp_targetILNS1_3genE0ELNS1_11target_archE4294967295ELNS1_3gpuE0ELNS1_3repE0EEENS1_48merge_mergepath_partition_config_static_selectorELNS0_4arch9wavefront6targetE1EEEvSM_,comdat
	.globl	_ZN7rocprim17ROCPRIM_400000_NS6detail17trampoline_kernelINS0_14default_configENS1_38merge_sort_block_merge_config_selectorIlNS0_10empty_typeEEEZZNS1_27merge_sort_block_merge_implIS3_PlPS5_mZN2at6native12_GLOBAL__N_124unique_dim_cuda_templateItEESt5tupleIJNSA_6TensorESF_SF_EERKSF_lbbbEUlllE_EE10hipError_tT0_T1_T2_jT3_P12ihipStream_tbPNSt15iterator_traitsISL_E10value_typeEPNSR_ISM_E10value_typeEPSN_NS1_7vsmem_tEENKUlT_SL_SM_SN_E_clIS8_S8_S9_S9_EESK_S10_SL_SM_SN_EUlS10_E_NS1_11comp_targetILNS1_3genE0ELNS1_11target_archE4294967295ELNS1_3gpuE0ELNS1_3repE0EEENS1_48merge_mergepath_partition_config_static_selectorELNS0_4arch9wavefront6targetE1EEEvSM_ ; -- Begin function _ZN7rocprim17ROCPRIM_400000_NS6detail17trampoline_kernelINS0_14default_configENS1_38merge_sort_block_merge_config_selectorIlNS0_10empty_typeEEEZZNS1_27merge_sort_block_merge_implIS3_PlPS5_mZN2at6native12_GLOBAL__N_124unique_dim_cuda_templateItEESt5tupleIJNSA_6TensorESF_SF_EERKSF_lbbbEUlllE_EE10hipError_tT0_T1_T2_jT3_P12ihipStream_tbPNSt15iterator_traitsISL_E10value_typeEPNSR_ISM_E10value_typeEPSN_NS1_7vsmem_tEENKUlT_SL_SM_SN_E_clIS8_S8_S9_S9_EESK_S10_SL_SM_SN_EUlS10_E_NS1_11comp_targetILNS1_3genE0ELNS1_11target_archE4294967295ELNS1_3gpuE0ELNS1_3repE0EEENS1_48merge_mergepath_partition_config_static_selectorELNS0_4arch9wavefront6targetE1EEEvSM_
	.p2align	8
	.type	_ZN7rocprim17ROCPRIM_400000_NS6detail17trampoline_kernelINS0_14default_configENS1_38merge_sort_block_merge_config_selectorIlNS0_10empty_typeEEEZZNS1_27merge_sort_block_merge_implIS3_PlPS5_mZN2at6native12_GLOBAL__N_124unique_dim_cuda_templateItEESt5tupleIJNSA_6TensorESF_SF_EERKSF_lbbbEUlllE_EE10hipError_tT0_T1_T2_jT3_P12ihipStream_tbPNSt15iterator_traitsISL_E10value_typeEPNSR_ISM_E10value_typeEPSN_NS1_7vsmem_tEENKUlT_SL_SM_SN_E_clIS8_S8_S9_S9_EESK_S10_SL_SM_SN_EUlS10_E_NS1_11comp_targetILNS1_3genE0ELNS1_11target_archE4294967295ELNS1_3gpuE0ELNS1_3repE0EEENS1_48merge_mergepath_partition_config_static_selectorELNS0_4arch9wavefront6targetE1EEEvSM_,@function
_ZN7rocprim17ROCPRIM_400000_NS6detail17trampoline_kernelINS0_14default_configENS1_38merge_sort_block_merge_config_selectorIlNS0_10empty_typeEEEZZNS1_27merge_sort_block_merge_implIS3_PlPS5_mZN2at6native12_GLOBAL__N_124unique_dim_cuda_templateItEESt5tupleIJNSA_6TensorESF_SF_EERKSF_lbbbEUlllE_EE10hipError_tT0_T1_T2_jT3_P12ihipStream_tbPNSt15iterator_traitsISL_E10value_typeEPNSR_ISM_E10value_typeEPSN_NS1_7vsmem_tEENKUlT_SL_SM_SN_E_clIS8_S8_S9_S9_EESK_S10_SL_SM_SN_EUlS10_E_NS1_11comp_targetILNS1_3genE0ELNS1_11target_archE4294967295ELNS1_3gpuE0ELNS1_3repE0EEENS1_48merge_mergepath_partition_config_static_selectorELNS0_4arch9wavefront6targetE1EEEvSM_: ; @_ZN7rocprim17ROCPRIM_400000_NS6detail17trampoline_kernelINS0_14default_configENS1_38merge_sort_block_merge_config_selectorIlNS0_10empty_typeEEEZZNS1_27merge_sort_block_merge_implIS3_PlPS5_mZN2at6native12_GLOBAL__N_124unique_dim_cuda_templateItEESt5tupleIJNSA_6TensorESF_SF_EERKSF_lbbbEUlllE_EE10hipError_tT0_T1_T2_jT3_P12ihipStream_tbPNSt15iterator_traitsISL_E10value_typeEPNSR_ISM_E10value_typeEPSN_NS1_7vsmem_tEENKUlT_SL_SM_SN_E_clIS8_S8_S9_S9_EESK_S10_SL_SM_SN_EUlS10_E_NS1_11comp_targetILNS1_3genE0ELNS1_11target_archE4294967295ELNS1_3gpuE0ELNS1_3repE0EEENS1_48merge_mergepath_partition_config_static_selectorELNS0_4arch9wavefront6targetE1EEEvSM_
; %bb.0:
	.section	.rodata,"a",@progbits
	.p2align	6, 0x0
	.amdhsa_kernel _ZN7rocprim17ROCPRIM_400000_NS6detail17trampoline_kernelINS0_14default_configENS1_38merge_sort_block_merge_config_selectorIlNS0_10empty_typeEEEZZNS1_27merge_sort_block_merge_implIS3_PlPS5_mZN2at6native12_GLOBAL__N_124unique_dim_cuda_templateItEESt5tupleIJNSA_6TensorESF_SF_EERKSF_lbbbEUlllE_EE10hipError_tT0_T1_T2_jT3_P12ihipStream_tbPNSt15iterator_traitsISL_E10value_typeEPNSR_ISM_E10value_typeEPSN_NS1_7vsmem_tEENKUlT_SL_SM_SN_E_clIS8_S8_S9_S9_EESK_S10_SL_SM_SN_EUlS10_E_NS1_11comp_targetILNS1_3genE0ELNS1_11target_archE4294967295ELNS1_3gpuE0ELNS1_3repE0EEENS1_48merge_mergepath_partition_config_static_selectorELNS0_4arch9wavefront6targetE1EEEvSM_
		.amdhsa_group_segment_fixed_size 0
		.amdhsa_private_segment_fixed_size 0
		.amdhsa_kernarg_size 56
		.amdhsa_user_sgpr_count 2
		.amdhsa_user_sgpr_dispatch_ptr 0
		.amdhsa_user_sgpr_queue_ptr 0
		.amdhsa_user_sgpr_kernarg_segment_ptr 1
		.amdhsa_user_sgpr_dispatch_id 0
		.amdhsa_user_sgpr_kernarg_preload_length 0
		.amdhsa_user_sgpr_kernarg_preload_offset 0
		.amdhsa_user_sgpr_private_segment_size 0
		.amdhsa_uses_dynamic_stack 0
		.amdhsa_enable_private_segment 0
		.amdhsa_system_sgpr_workgroup_id_x 1
		.amdhsa_system_sgpr_workgroup_id_y 0
		.amdhsa_system_sgpr_workgroup_id_z 0
		.amdhsa_system_sgpr_workgroup_info 0
		.amdhsa_system_vgpr_workitem_id 0
		.amdhsa_next_free_vgpr 1
		.amdhsa_next_free_sgpr 0
		.amdhsa_accum_offset 4
		.amdhsa_reserve_vcc 0
		.amdhsa_float_round_mode_32 0
		.amdhsa_float_round_mode_16_64 0
		.amdhsa_float_denorm_mode_32 3
		.amdhsa_float_denorm_mode_16_64 3
		.amdhsa_dx10_clamp 1
		.amdhsa_ieee_mode 1
		.amdhsa_fp16_overflow 0
		.amdhsa_tg_split 0
		.amdhsa_exception_fp_ieee_invalid_op 0
		.amdhsa_exception_fp_denorm_src 0
		.amdhsa_exception_fp_ieee_div_zero 0
		.amdhsa_exception_fp_ieee_overflow 0
		.amdhsa_exception_fp_ieee_underflow 0
		.amdhsa_exception_fp_ieee_inexact 0
		.amdhsa_exception_int_div_zero 0
	.end_amdhsa_kernel
	.section	.text._ZN7rocprim17ROCPRIM_400000_NS6detail17trampoline_kernelINS0_14default_configENS1_38merge_sort_block_merge_config_selectorIlNS0_10empty_typeEEEZZNS1_27merge_sort_block_merge_implIS3_PlPS5_mZN2at6native12_GLOBAL__N_124unique_dim_cuda_templateItEESt5tupleIJNSA_6TensorESF_SF_EERKSF_lbbbEUlllE_EE10hipError_tT0_T1_T2_jT3_P12ihipStream_tbPNSt15iterator_traitsISL_E10value_typeEPNSR_ISM_E10value_typeEPSN_NS1_7vsmem_tEENKUlT_SL_SM_SN_E_clIS8_S8_S9_S9_EESK_S10_SL_SM_SN_EUlS10_E_NS1_11comp_targetILNS1_3genE0ELNS1_11target_archE4294967295ELNS1_3gpuE0ELNS1_3repE0EEENS1_48merge_mergepath_partition_config_static_selectorELNS0_4arch9wavefront6targetE1EEEvSM_,"axG",@progbits,_ZN7rocprim17ROCPRIM_400000_NS6detail17trampoline_kernelINS0_14default_configENS1_38merge_sort_block_merge_config_selectorIlNS0_10empty_typeEEEZZNS1_27merge_sort_block_merge_implIS3_PlPS5_mZN2at6native12_GLOBAL__N_124unique_dim_cuda_templateItEESt5tupleIJNSA_6TensorESF_SF_EERKSF_lbbbEUlllE_EE10hipError_tT0_T1_T2_jT3_P12ihipStream_tbPNSt15iterator_traitsISL_E10value_typeEPNSR_ISM_E10value_typeEPSN_NS1_7vsmem_tEENKUlT_SL_SM_SN_E_clIS8_S8_S9_S9_EESK_S10_SL_SM_SN_EUlS10_E_NS1_11comp_targetILNS1_3genE0ELNS1_11target_archE4294967295ELNS1_3gpuE0ELNS1_3repE0EEENS1_48merge_mergepath_partition_config_static_selectorELNS0_4arch9wavefront6targetE1EEEvSM_,comdat
.Lfunc_end1379:
	.size	_ZN7rocprim17ROCPRIM_400000_NS6detail17trampoline_kernelINS0_14default_configENS1_38merge_sort_block_merge_config_selectorIlNS0_10empty_typeEEEZZNS1_27merge_sort_block_merge_implIS3_PlPS5_mZN2at6native12_GLOBAL__N_124unique_dim_cuda_templateItEESt5tupleIJNSA_6TensorESF_SF_EERKSF_lbbbEUlllE_EE10hipError_tT0_T1_T2_jT3_P12ihipStream_tbPNSt15iterator_traitsISL_E10value_typeEPNSR_ISM_E10value_typeEPSN_NS1_7vsmem_tEENKUlT_SL_SM_SN_E_clIS8_S8_S9_S9_EESK_S10_SL_SM_SN_EUlS10_E_NS1_11comp_targetILNS1_3genE0ELNS1_11target_archE4294967295ELNS1_3gpuE0ELNS1_3repE0EEENS1_48merge_mergepath_partition_config_static_selectorELNS0_4arch9wavefront6targetE1EEEvSM_, .Lfunc_end1379-_ZN7rocprim17ROCPRIM_400000_NS6detail17trampoline_kernelINS0_14default_configENS1_38merge_sort_block_merge_config_selectorIlNS0_10empty_typeEEEZZNS1_27merge_sort_block_merge_implIS3_PlPS5_mZN2at6native12_GLOBAL__N_124unique_dim_cuda_templateItEESt5tupleIJNSA_6TensorESF_SF_EERKSF_lbbbEUlllE_EE10hipError_tT0_T1_T2_jT3_P12ihipStream_tbPNSt15iterator_traitsISL_E10value_typeEPNSR_ISM_E10value_typeEPSN_NS1_7vsmem_tEENKUlT_SL_SM_SN_E_clIS8_S8_S9_S9_EESK_S10_SL_SM_SN_EUlS10_E_NS1_11comp_targetILNS1_3genE0ELNS1_11target_archE4294967295ELNS1_3gpuE0ELNS1_3repE0EEENS1_48merge_mergepath_partition_config_static_selectorELNS0_4arch9wavefront6targetE1EEEvSM_
                                        ; -- End function
	.section	.AMDGPU.csdata,"",@progbits
; Kernel info:
; codeLenInByte = 0
; NumSgprs: 6
; NumVgprs: 0
; NumAgprs: 0
; TotalNumVgprs: 0
; ScratchSize: 0
; MemoryBound: 0
; FloatMode: 240
; IeeeMode: 1
; LDSByteSize: 0 bytes/workgroup (compile time only)
; SGPRBlocks: 0
; VGPRBlocks: 0
; NumSGPRsForWavesPerEU: 6
; NumVGPRsForWavesPerEU: 1
; AccumOffset: 4
; Occupancy: 8
; WaveLimiterHint : 0
; COMPUTE_PGM_RSRC2:SCRATCH_EN: 0
; COMPUTE_PGM_RSRC2:USER_SGPR: 2
; COMPUTE_PGM_RSRC2:TRAP_HANDLER: 0
; COMPUTE_PGM_RSRC2:TGID_X_EN: 1
; COMPUTE_PGM_RSRC2:TGID_Y_EN: 0
; COMPUTE_PGM_RSRC2:TGID_Z_EN: 0
; COMPUTE_PGM_RSRC2:TIDIG_COMP_CNT: 0
; COMPUTE_PGM_RSRC3_GFX90A:ACCUM_OFFSET: 0
; COMPUTE_PGM_RSRC3_GFX90A:TG_SPLIT: 0
	.section	.text._ZN7rocprim17ROCPRIM_400000_NS6detail17trampoline_kernelINS0_14default_configENS1_38merge_sort_block_merge_config_selectorIlNS0_10empty_typeEEEZZNS1_27merge_sort_block_merge_implIS3_PlPS5_mZN2at6native12_GLOBAL__N_124unique_dim_cuda_templateItEESt5tupleIJNSA_6TensorESF_SF_EERKSF_lbbbEUlllE_EE10hipError_tT0_T1_T2_jT3_P12ihipStream_tbPNSt15iterator_traitsISL_E10value_typeEPNSR_ISM_E10value_typeEPSN_NS1_7vsmem_tEENKUlT_SL_SM_SN_E_clIS8_S8_S9_S9_EESK_S10_SL_SM_SN_EUlS10_E_NS1_11comp_targetILNS1_3genE10ELNS1_11target_archE1201ELNS1_3gpuE5ELNS1_3repE0EEENS1_48merge_mergepath_partition_config_static_selectorELNS0_4arch9wavefront6targetE1EEEvSM_,"axG",@progbits,_ZN7rocprim17ROCPRIM_400000_NS6detail17trampoline_kernelINS0_14default_configENS1_38merge_sort_block_merge_config_selectorIlNS0_10empty_typeEEEZZNS1_27merge_sort_block_merge_implIS3_PlPS5_mZN2at6native12_GLOBAL__N_124unique_dim_cuda_templateItEESt5tupleIJNSA_6TensorESF_SF_EERKSF_lbbbEUlllE_EE10hipError_tT0_T1_T2_jT3_P12ihipStream_tbPNSt15iterator_traitsISL_E10value_typeEPNSR_ISM_E10value_typeEPSN_NS1_7vsmem_tEENKUlT_SL_SM_SN_E_clIS8_S8_S9_S9_EESK_S10_SL_SM_SN_EUlS10_E_NS1_11comp_targetILNS1_3genE10ELNS1_11target_archE1201ELNS1_3gpuE5ELNS1_3repE0EEENS1_48merge_mergepath_partition_config_static_selectorELNS0_4arch9wavefront6targetE1EEEvSM_,comdat
	.globl	_ZN7rocprim17ROCPRIM_400000_NS6detail17trampoline_kernelINS0_14default_configENS1_38merge_sort_block_merge_config_selectorIlNS0_10empty_typeEEEZZNS1_27merge_sort_block_merge_implIS3_PlPS5_mZN2at6native12_GLOBAL__N_124unique_dim_cuda_templateItEESt5tupleIJNSA_6TensorESF_SF_EERKSF_lbbbEUlllE_EE10hipError_tT0_T1_T2_jT3_P12ihipStream_tbPNSt15iterator_traitsISL_E10value_typeEPNSR_ISM_E10value_typeEPSN_NS1_7vsmem_tEENKUlT_SL_SM_SN_E_clIS8_S8_S9_S9_EESK_S10_SL_SM_SN_EUlS10_E_NS1_11comp_targetILNS1_3genE10ELNS1_11target_archE1201ELNS1_3gpuE5ELNS1_3repE0EEENS1_48merge_mergepath_partition_config_static_selectorELNS0_4arch9wavefront6targetE1EEEvSM_ ; -- Begin function _ZN7rocprim17ROCPRIM_400000_NS6detail17trampoline_kernelINS0_14default_configENS1_38merge_sort_block_merge_config_selectorIlNS0_10empty_typeEEEZZNS1_27merge_sort_block_merge_implIS3_PlPS5_mZN2at6native12_GLOBAL__N_124unique_dim_cuda_templateItEESt5tupleIJNSA_6TensorESF_SF_EERKSF_lbbbEUlllE_EE10hipError_tT0_T1_T2_jT3_P12ihipStream_tbPNSt15iterator_traitsISL_E10value_typeEPNSR_ISM_E10value_typeEPSN_NS1_7vsmem_tEENKUlT_SL_SM_SN_E_clIS8_S8_S9_S9_EESK_S10_SL_SM_SN_EUlS10_E_NS1_11comp_targetILNS1_3genE10ELNS1_11target_archE1201ELNS1_3gpuE5ELNS1_3repE0EEENS1_48merge_mergepath_partition_config_static_selectorELNS0_4arch9wavefront6targetE1EEEvSM_
	.p2align	8
	.type	_ZN7rocprim17ROCPRIM_400000_NS6detail17trampoline_kernelINS0_14default_configENS1_38merge_sort_block_merge_config_selectorIlNS0_10empty_typeEEEZZNS1_27merge_sort_block_merge_implIS3_PlPS5_mZN2at6native12_GLOBAL__N_124unique_dim_cuda_templateItEESt5tupleIJNSA_6TensorESF_SF_EERKSF_lbbbEUlllE_EE10hipError_tT0_T1_T2_jT3_P12ihipStream_tbPNSt15iterator_traitsISL_E10value_typeEPNSR_ISM_E10value_typeEPSN_NS1_7vsmem_tEENKUlT_SL_SM_SN_E_clIS8_S8_S9_S9_EESK_S10_SL_SM_SN_EUlS10_E_NS1_11comp_targetILNS1_3genE10ELNS1_11target_archE1201ELNS1_3gpuE5ELNS1_3repE0EEENS1_48merge_mergepath_partition_config_static_selectorELNS0_4arch9wavefront6targetE1EEEvSM_,@function
_ZN7rocprim17ROCPRIM_400000_NS6detail17trampoline_kernelINS0_14default_configENS1_38merge_sort_block_merge_config_selectorIlNS0_10empty_typeEEEZZNS1_27merge_sort_block_merge_implIS3_PlPS5_mZN2at6native12_GLOBAL__N_124unique_dim_cuda_templateItEESt5tupleIJNSA_6TensorESF_SF_EERKSF_lbbbEUlllE_EE10hipError_tT0_T1_T2_jT3_P12ihipStream_tbPNSt15iterator_traitsISL_E10value_typeEPNSR_ISM_E10value_typeEPSN_NS1_7vsmem_tEENKUlT_SL_SM_SN_E_clIS8_S8_S9_S9_EESK_S10_SL_SM_SN_EUlS10_E_NS1_11comp_targetILNS1_3genE10ELNS1_11target_archE1201ELNS1_3gpuE5ELNS1_3repE0EEENS1_48merge_mergepath_partition_config_static_selectorELNS0_4arch9wavefront6targetE1EEEvSM_: ; @_ZN7rocprim17ROCPRIM_400000_NS6detail17trampoline_kernelINS0_14default_configENS1_38merge_sort_block_merge_config_selectorIlNS0_10empty_typeEEEZZNS1_27merge_sort_block_merge_implIS3_PlPS5_mZN2at6native12_GLOBAL__N_124unique_dim_cuda_templateItEESt5tupleIJNSA_6TensorESF_SF_EERKSF_lbbbEUlllE_EE10hipError_tT0_T1_T2_jT3_P12ihipStream_tbPNSt15iterator_traitsISL_E10value_typeEPNSR_ISM_E10value_typeEPSN_NS1_7vsmem_tEENKUlT_SL_SM_SN_E_clIS8_S8_S9_S9_EESK_S10_SL_SM_SN_EUlS10_E_NS1_11comp_targetILNS1_3genE10ELNS1_11target_archE1201ELNS1_3gpuE5ELNS1_3repE0EEENS1_48merge_mergepath_partition_config_static_selectorELNS0_4arch9wavefront6targetE1EEEvSM_
; %bb.0:
	.section	.rodata,"a",@progbits
	.p2align	6, 0x0
	.amdhsa_kernel _ZN7rocprim17ROCPRIM_400000_NS6detail17trampoline_kernelINS0_14default_configENS1_38merge_sort_block_merge_config_selectorIlNS0_10empty_typeEEEZZNS1_27merge_sort_block_merge_implIS3_PlPS5_mZN2at6native12_GLOBAL__N_124unique_dim_cuda_templateItEESt5tupleIJNSA_6TensorESF_SF_EERKSF_lbbbEUlllE_EE10hipError_tT0_T1_T2_jT3_P12ihipStream_tbPNSt15iterator_traitsISL_E10value_typeEPNSR_ISM_E10value_typeEPSN_NS1_7vsmem_tEENKUlT_SL_SM_SN_E_clIS8_S8_S9_S9_EESK_S10_SL_SM_SN_EUlS10_E_NS1_11comp_targetILNS1_3genE10ELNS1_11target_archE1201ELNS1_3gpuE5ELNS1_3repE0EEENS1_48merge_mergepath_partition_config_static_selectorELNS0_4arch9wavefront6targetE1EEEvSM_
		.amdhsa_group_segment_fixed_size 0
		.amdhsa_private_segment_fixed_size 0
		.amdhsa_kernarg_size 56
		.amdhsa_user_sgpr_count 2
		.amdhsa_user_sgpr_dispatch_ptr 0
		.amdhsa_user_sgpr_queue_ptr 0
		.amdhsa_user_sgpr_kernarg_segment_ptr 1
		.amdhsa_user_sgpr_dispatch_id 0
		.amdhsa_user_sgpr_kernarg_preload_length 0
		.amdhsa_user_sgpr_kernarg_preload_offset 0
		.amdhsa_user_sgpr_private_segment_size 0
		.amdhsa_uses_dynamic_stack 0
		.amdhsa_enable_private_segment 0
		.amdhsa_system_sgpr_workgroup_id_x 1
		.amdhsa_system_sgpr_workgroup_id_y 0
		.amdhsa_system_sgpr_workgroup_id_z 0
		.amdhsa_system_sgpr_workgroup_info 0
		.amdhsa_system_vgpr_workitem_id 0
		.amdhsa_next_free_vgpr 1
		.amdhsa_next_free_sgpr 0
		.amdhsa_accum_offset 4
		.amdhsa_reserve_vcc 0
		.amdhsa_float_round_mode_32 0
		.amdhsa_float_round_mode_16_64 0
		.amdhsa_float_denorm_mode_32 3
		.amdhsa_float_denorm_mode_16_64 3
		.amdhsa_dx10_clamp 1
		.amdhsa_ieee_mode 1
		.amdhsa_fp16_overflow 0
		.amdhsa_tg_split 0
		.amdhsa_exception_fp_ieee_invalid_op 0
		.amdhsa_exception_fp_denorm_src 0
		.amdhsa_exception_fp_ieee_div_zero 0
		.amdhsa_exception_fp_ieee_overflow 0
		.amdhsa_exception_fp_ieee_underflow 0
		.amdhsa_exception_fp_ieee_inexact 0
		.amdhsa_exception_int_div_zero 0
	.end_amdhsa_kernel
	.section	.text._ZN7rocprim17ROCPRIM_400000_NS6detail17trampoline_kernelINS0_14default_configENS1_38merge_sort_block_merge_config_selectorIlNS0_10empty_typeEEEZZNS1_27merge_sort_block_merge_implIS3_PlPS5_mZN2at6native12_GLOBAL__N_124unique_dim_cuda_templateItEESt5tupleIJNSA_6TensorESF_SF_EERKSF_lbbbEUlllE_EE10hipError_tT0_T1_T2_jT3_P12ihipStream_tbPNSt15iterator_traitsISL_E10value_typeEPNSR_ISM_E10value_typeEPSN_NS1_7vsmem_tEENKUlT_SL_SM_SN_E_clIS8_S8_S9_S9_EESK_S10_SL_SM_SN_EUlS10_E_NS1_11comp_targetILNS1_3genE10ELNS1_11target_archE1201ELNS1_3gpuE5ELNS1_3repE0EEENS1_48merge_mergepath_partition_config_static_selectorELNS0_4arch9wavefront6targetE1EEEvSM_,"axG",@progbits,_ZN7rocprim17ROCPRIM_400000_NS6detail17trampoline_kernelINS0_14default_configENS1_38merge_sort_block_merge_config_selectorIlNS0_10empty_typeEEEZZNS1_27merge_sort_block_merge_implIS3_PlPS5_mZN2at6native12_GLOBAL__N_124unique_dim_cuda_templateItEESt5tupleIJNSA_6TensorESF_SF_EERKSF_lbbbEUlllE_EE10hipError_tT0_T1_T2_jT3_P12ihipStream_tbPNSt15iterator_traitsISL_E10value_typeEPNSR_ISM_E10value_typeEPSN_NS1_7vsmem_tEENKUlT_SL_SM_SN_E_clIS8_S8_S9_S9_EESK_S10_SL_SM_SN_EUlS10_E_NS1_11comp_targetILNS1_3genE10ELNS1_11target_archE1201ELNS1_3gpuE5ELNS1_3repE0EEENS1_48merge_mergepath_partition_config_static_selectorELNS0_4arch9wavefront6targetE1EEEvSM_,comdat
.Lfunc_end1380:
	.size	_ZN7rocprim17ROCPRIM_400000_NS6detail17trampoline_kernelINS0_14default_configENS1_38merge_sort_block_merge_config_selectorIlNS0_10empty_typeEEEZZNS1_27merge_sort_block_merge_implIS3_PlPS5_mZN2at6native12_GLOBAL__N_124unique_dim_cuda_templateItEESt5tupleIJNSA_6TensorESF_SF_EERKSF_lbbbEUlllE_EE10hipError_tT0_T1_T2_jT3_P12ihipStream_tbPNSt15iterator_traitsISL_E10value_typeEPNSR_ISM_E10value_typeEPSN_NS1_7vsmem_tEENKUlT_SL_SM_SN_E_clIS8_S8_S9_S9_EESK_S10_SL_SM_SN_EUlS10_E_NS1_11comp_targetILNS1_3genE10ELNS1_11target_archE1201ELNS1_3gpuE5ELNS1_3repE0EEENS1_48merge_mergepath_partition_config_static_selectorELNS0_4arch9wavefront6targetE1EEEvSM_, .Lfunc_end1380-_ZN7rocprim17ROCPRIM_400000_NS6detail17trampoline_kernelINS0_14default_configENS1_38merge_sort_block_merge_config_selectorIlNS0_10empty_typeEEEZZNS1_27merge_sort_block_merge_implIS3_PlPS5_mZN2at6native12_GLOBAL__N_124unique_dim_cuda_templateItEESt5tupleIJNSA_6TensorESF_SF_EERKSF_lbbbEUlllE_EE10hipError_tT0_T1_T2_jT3_P12ihipStream_tbPNSt15iterator_traitsISL_E10value_typeEPNSR_ISM_E10value_typeEPSN_NS1_7vsmem_tEENKUlT_SL_SM_SN_E_clIS8_S8_S9_S9_EESK_S10_SL_SM_SN_EUlS10_E_NS1_11comp_targetILNS1_3genE10ELNS1_11target_archE1201ELNS1_3gpuE5ELNS1_3repE0EEENS1_48merge_mergepath_partition_config_static_selectorELNS0_4arch9wavefront6targetE1EEEvSM_
                                        ; -- End function
	.section	.AMDGPU.csdata,"",@progbits
; Kernel info:
; codeLenInByte = 0
; NumSgprs: 6
; NumVgprs: 0
; NumAgprs: 0
; TotalNumVgprs: 0
; ScratchSize: 0
; MemoryBound: 0
; FloatMode: 240
; IeeeMode: 1
; LDSByteSize: 0 bytes/workgroup (compile time only)
; SGPRBlocks: 0
; VGPRBlocks: 0
; NumSGPRsForWavesPerEU: 6
; NumVGPRsForWavesPerEU: 1
; AccumOffset: 4
; Occupancy: 8
; WaveLimiterHint : 0
; COMPUTE_PGM_RSRC2:SCRATCH_EN: 0
; COMPUTE_PGM_RSRC2:USER_SGPR: 2
; COMPUTE_PGM_RSRC2:TRAP_HANDLER: 0
; COMPUTE_PGM_RSRC2:TGID_X_EN: 1
; COMPUTE_PGM_RSRC2:TGID_Y_EN: 0
; COMPUTE_PGM_RSRC2:TGID_Z_EN: 0
; COMPUTE_PGM_RSRC2:TIDIG_COMP_CNT: 0
; COMPUTE_PGM_RSRC3_GFX90A:ACCUM_OFFSET: 0
; COMPUTE_PGM_RSRC3_GFX90A:TG_SPLIT: 0
	.section	.text._ZN7rocprim17ROCPRIM_400000_NS6detail17trampoline_kernelINS0_14default_configENS1_38merge_sort_block_merge_config_selectorIlNS0_10empty_typeEEEZZNS1_27merge_sort_block_merge_implIS3_PlPS5_mZN2at6native12_GLOBAL__N_124unique_dim_cuda_templateItEESt5tupleIJNSA_6TensorESF_SF_EERKSF_lbbbEUlllE_EE10hipError_tT0_T1_T2_jT3_P12ihipStream_tbPNSt15iterator_traitsISL_E10value_typeEPNSR_ISM_E10value_typeEPSN_NS1_7vsmem_tEENKUlT_SL_SM_SN_E_clIS8_S8_S9_S9_EESK_S10_SL_SM_SN_EUlS10_E_NS1_11comp_targetILNS1_3genE5ELNS1_11target_archE942ELNS1_3gpuE9ELNS1_3repE0EEENS1_48merge_mergepath_partition_config_static_selectorELNS0_4arch9wavefront6targetE1EEEvSM_,"axG",@progbits,_ZN7rocprim17ROCPRIM_400000_NS6detail17trampoline_kernelINS0_14default_configENS1_38merge_sort_block_merge_config_selectorIlNS0_10empty_typeEEEZZNS1_27merge_sort_block_merge_implIS3_PlPS5_mZN2at6native12_GLOBAL__N_124unique_dim_cuda_templateItEESt5tupleIJNSA_6TensorESF_SF_EERKSF_lbbbEUlllE_EE10hipError_tT0_T1_T2_jT3_P12ihipStream_tbPNSt15iterator_traitsISL_E10value_typeEPNSR_ISM_E10value_typeEPSN_NS1_7vsmem_tEENKUlT_SL_SM_SN_E_clIS8_S8_S9_S9_EESK_S10_SL_SM_SN_EUlS10_E_NS1_11comp_targetILNS1_3genE5ELNS1_11target_archE942ELNS1_3gpuE9ELNS1_3repE0EEENS1_48merge_mergepath_partition_config_static_selectorELNS0_4arch9wavefront6targetE1EEEvSM_,comdat
	.globl	_ZN7rocprim17ROCPRIM_400000_NS6detail17trampoline_kernelINS0_14default_configENS1_38merge_sort_block_merge_config_selectorIlNS0_10empty_typeEEEZZNS1_27merge_sort_block_merge_implIS3_PlPS5_mZN2at6native12_GLOBAL__N_124unique_dim_cuda_templateItEESt5tupleIJNSA_6TensorESF_SF_EERKSF_lbbbEUlllE_EE10hipError_tT0_T1_T2_jT3_P12ihipStream_tbPNSt15iterator_traitsISL_E10value_typeEPNSR_ISM_E10value_typeEPSN_NS1_7vsmem_tEENKUlT_SL_SM_SN_E_clIS8_S8_S9_S9_EESK_S10_SL_SM_SN_EUlS10_E_NS1_11comp_targetILNS1_3genE5ELNS1_11target_archE942ELNS1_3gpuE9ELNS1_3repE0EEENS1_48merge_mergepath_partition_config_static_selectorELNS0_4arch9wavefront6targetE1EEEvSM_ ; -- Begin function _ZN7rocprim17ROCPRIM_400000_NS6detail17trampoline_kernelINS0_14default_configENS1_38merge_sort_block_merge_config_selectorIlNS0_10empty_typeEEEZZNS1_27merge_sort_block_merge_implIS3_PlPS5_mZN2at6native12_GLOBAL__N_124unique_dim_cuda_templateItEESt5tupleIJNSA_6TensorESF_SF_EERKSF_lbbbEUlllE_EE10hipError_tT0_T1_T2_jT3_P12ihipStream_tbPNSt15iterator_traitsISL_E10value_typeEPNSR_ISM_E10value_typeEPSN_NS1_7vsmem_tEENKUlT_SL_SM_SN_E_clIS8_S8_S9_S9_EESK_S10_SL_SM_SN_EUlS10_E_NS1_11comp_targetILNS1_3genE5ELNS1_11target_archE942ELNS1_3gpuE9ELNS1_3repE0EEENS1_48merge_mergepath_partition_config_static_selectorELNS0_4arch9wavefront6targetE1EEEvSM_
	.p2align	8
	.type	_ZN7rocprim17ROCPRIM_400000_NS6detail17trampoline_kernelINS0_14default_configENS1_38merge_sort_block_merge_config_selectorIlNS0_10empty_typeEEEZZNS1_27merge_sort_block_merge_implIS3_PlPS5_mZN2at6native12_GLOBAL__N_124unique_dim_cuda_templateItEESt5tupleIJNSA_6TensorESF_SF_EERKSF_lbbbEUlllE_EE10hipError_tT0_T1_T2_jT3_P12ihipStream_tbPNSt15iterator_traitsISL_E10value_typeEPNSR_ISM_E10value_typeEPSN_NS1_7vsmem_tEENKUlT_SL_SM_SN_E_clIS8_S8_S9_S9_EESK_S10_SL_SM_SN_EUlS10_E_NS1_11comp_targetILNS1_3genE5ELNS1_11target_archE942ELNS1_3gpuE9ELNS1_3repE0EEENS1_48merge_mergepath_partition_config_static_selectorELNS0_4arch9wavefront6targetE1EEEvSM_,@function
_ZN7rocprim17ROCPRIM_400000_NS6detail17trampoline_kernelINS0_14default_configENS1_38merge_sort_block_merge_config_selectorIlNS0_10empty_typeEEEZZNS1_27merge_sort_block_merge_implIS3_PlPS5_mZN2at6native12_GLOBAL__N_124unique_dim_cuda_templateItEESt5tupleIJNSA_6TensorESF_SF_EERKSF_lbbbEUlllE_EE10hipError_tT0_T1_T2_jT3_P12ihipStream_tbPNSt15iterator_traitsISL_E10value_typeEPNSR_ISM_E10value_typeEPSN_NS1_7vsmem_tEENKUlT_SL_SM_SN_E_clIS8_S8_S9_S9_EESK_S10_SL_SM_SN_EUlS10_E_NS1_11comp_targetILNS1_3genE5ELNS1_11target_archE942ELNS1_3gpuE9ELNS1_3repE0EEENS1_48merge_mergepath_partition_config_static_selectorELNS0_4arch9wavefront6targetE1EEEvSM_: ; @_ZN7rocprim17ROCPRIM_400000_NS6detail17trampoline_kernelINS0_14default_configENS1_38merge_sort_block_merge_config_selectorIlNS0_10empty_typeEEEZZNS1_27merge_sort_block_merge_implIS3_PlPS5_mZN2at6native12_GLOBAL__N_124unique_dim_cuda_templateItEESt5tupleIJNSA_6TensorESF_SF_EERKSF_lbbbEUlllE_EE10hipError_tT0_T1_T2_jT3_P12ihipStream_tbPNSt15iterator_traitsISL_E10value_typeEPNSR_ISM_E10value_typeEPSN_NS1_7vsmem_tEENKUlT_SL_SM_SN_E_clIS8_S8_S9_S9_EESK_S10_SL_SM_SN_EUlS10_E_NS1_11comp_targetILNS1_3genE5ELNS1_11target_archE942ELNS1_3gpuE9ELNS1_3repE0EEENS1_48merge_mergepath_partition_config_static_selectorELNS0_4arch9wavefront6targetE1EEEvSM_
; %bb.0:
	s_load_dword s3, s[0:1], 0x0
	v_lshl_or_b32 v0, s2, 7, v0
	s_waitcnt lgkmcnt(0)
	v_cmp_gt_u32_e32 vcc, s3, v0
	s_and_saveexec_b64 s[2:3], vcc
	s_cbranch_execz .LBB1381_12
; %bb.1:
	s_load_dwordx4 s[12:15], s[0:1], 0x8
	s_load_dwordx8 s[4:11], s[0:1], 0x18
	v_mov_b32_e32 v5, 0
	v_mov_b32_e32 v7, v5
	s_waitcnt lgkmcnt(0)
	v_mov_b32_e32 v1, s12
	v_alignbit_b32 v1, s13, v1, 9
	v_and_b32_e32 v1, -2, v1
	v_add_u32_e32 v2, -1, v1
	v_sub_u32_e32 v1, 0, v1
	v_and_b32_e32 v4, v0, v1
	v_lshlrev_b64 v[8:9], 10, v[4:5]
	v_mov_b32_e32 v1, s15
	v_cmp_lt_u64_e32 vcc, s[14:15], v[8:9]
	v_mov_b32_e32 v4, s14
	v_and_b32_e32 v6, v2, v0
	v_cndmask_b32_e32 v3, v9, v1, vcc
	v_cndmask_b32_e32 v2, v8, v4, vcc
	v_lshl_add_u64 v[8:9], v[8:9], 0, s[12:13]
	v_cmp_lt_u64_e32 vcc, s[14:15], v[8:9]
	s_nop 1
	v_cndmask_b32_e32 v11, v9, v1, vcc
	v_cndmask_b32_e32 v10, v8, v4, vcc
	v_lshl_add_u64 v[8:9], v[10:11], 0, s[12:13]
	v_cmp_lt_u64_e32 vcc, s[14:15], v[8:9]
	s_nop 1
	v_cndmask_b32_e32 v14, v8, v4, vcc
	v_cndmask_b32_e32 v1, v9, v1, vcc
	v_sub_co_u32_e32 v8, vcc, v14, v2
	v_lshlrev_b64 v[4:5], 10, v[6:7]
	s_nop 0
	v_subb_co_u32_e32 v9, vcc, v1, v3, vcc
	v_cmp_lt_u64_e32 vcc, v[8:9], v[4:5]
	s_nop 1
	v_cndmask_b32_e32 v13, v5, v9, vcc
	v_cndmask_b32_e32 v12, v4, v8, vcc
	v_sub_co_u32_e32 v6, vcc, v10, v2
	s_nop 1
	v_subb_co_u32_e32 v7, vcc, v11, v3, vcc
	v_sub_co_u32_e32 v4, vcc, v10, v14
	s_nop 1
	v_subb_co_u32_e32 v5, vcc, v11, v1, vcc
	v_lshl_add_u64 v[4:5], v[12:13], 0, v[4:5]
	v_cmp_gt_u64_e32 vcc, v[4:5], v[12:13]
	s_nop 1
	v_cndmask_b32_e64 v5, v5, 0, vcc
	v_cndmask_b32_e64 v4, v4, 0, vcc
	v_cmp_lt_u64_e32 vcc, v[12:13], v[6:7]
	s_nop 1
	v_cndmask_b32_e32 v7, v7, v13, vcc
	v_cndmask_b32_e32 v6, v6, v12, vcc
	v_cmp_lt_u64_e32 vcc, v[4:5], v[6:7]
	s_and_saveexec_b64 s[12:13], vcc
	s_cbranch_execz .LBB1381_11
; %bb.2:
	v_cmp_gt_i64_e64 s[0:1], s[6:7], 0
	v_lshl_add_u64 v[10:11], v[10:11], 3, s[4:5]
	v_lshl_add_u64 v[8:9], v[2:3], 3, s[4:5]
	v_cndmask_b32_e64 v1, 0, 1, s[0:1]
	v_lshl_add_u64 v[10:11], v[12:13], 3, v[10:11]
	s_mov_b64 s[14:15], 0
	s_lshl_b64 s[16:17], s[6:7], 1
	v_cmp_ne_u32_e64 s[0:1], 1, v1
	s_branch .LBB1381_5
.LBB1381_3:                             ;   in Loop: Header=BB1381_5 Depth=1
	s_or_b64 exec, exec, s[20:21]
.LBB1381_4:                             ;   in Loop: Header=BB1381_5 Depth=1
	v_lshl_add_u64 v[14:15], v[12:13], 0, 1
	v_cndmask_b32_e64 v7, v7, v13, s[18:19]
	v_cndmask_b32_e64 v6, v6, v12, s[18:19]
	;; [unrolled: 1-line block ×4, first 2 shown]
	v_cmp_ge_u64_e32 vcc, v[4:5], v[6:7]
	s_or_b64 s[14:15], vcc, s[14:15]
	s_andn2_b64 exec, exec, s[14:15]
	s_cbranch_execz .LBB1381_10
.LBB1381_5:                             ; =>This Loop Header: Depth=1
                                        ;     Child Loop BB1381_8 Depth 2
	v_lshl_add_u64 v[12:13], v[6:7], 0, v[4:5]
	v_lshrrev_b64 v[12:13], 1, v[12:13]
	s_and_b64 vcc, exec, s[0:1]
	s_mov_b64 s[18:19], 0
	s_cbranch_vccnz .LBB1381_4
; %bb.6:                                ;   in Loop: Header=BB1381_5 Depth=1
	v_not_b32_e32 v15, v13
	v_not_b32_e32 v14, v12
	v_lshl_add_u64 v[14:15], v[14:15], 3, v[10:11]
	v_lshl_add_u64 v[16:17], v[12:13], 3, v[8:9]
	global_load_dwordx2 v[14:15], v[14:15], off
	v_mov_b64_e32 v[18:19], s[8:9]
	global_load_dwordx2 v[16:17], v[16:17], off
	s_mov_b64 s[20:21], 0
	s_mov_b64 s[26:27], s[6:7]
                                        ; implicit-def: $sgpr18_sgpr19
                                        ; implicit-def: $sgpr22_sgpr23
                                        ; implicit-def: $sgpr24_sgpr25
                                        ; implicit-def: $sgpr2_sgpr3
                                        ; implicit-def: $sgpr28_sgpr29
	s_waitcnt vmcnt(1)
	v_mul_lo_u32 v1, s16, v15
	v_mul_lo_u32 v20, s17, v14
	v_mad_u64_u32 v[14:15], s[4:5], s16, v14, v[18:19]
	s_waitcnt vmcnt(0)
	v_mul_lo_u32 v21, s16, v17
	v_mul_lo_u32 v22, s17, v16
	v_mad_u64_u32 v[16:17], s[4:5], s16, v16, v[18:19]
	v_add3_u32 v15, v20, v15, v1
	v_add3_u32 v17, v22, v17, v21
	s_branch .LBB1381_8
.LBB1381_7:                             ;   in Loop: Header=BB1381_8 Depth=2
	s_or_b64 exec, exec, s[30:31]
	s_and_b64 s[4:5], exec, s[22:23]
	s_or_b64 s[20:21], s[4:5], s[20:21]
	s_andn2_b64 s[4:5], s[28:29], exec
	s_and_b64 s[28:29], s[24:25], exec
	s_or_b64 s[28:29], s[4:5], s[28:29]
	s_andn2_b64 s[4:5], s[18:19], exec
	s_and_b64 s[18:19], s[2:3], exec
	s_or_b64 s[18:19], s[4:5], s[18:19]
	s_andn2_b64 exec, exec, s[20:21]
	s_cbranch_execz .LBB1381_3
.LBB1381_8:                             ;   Parent Loop BB1381_5 Depth=1
                                        ; =>  This Inner Loop Header: Depth=2
	global_load_ushort v1, v[14:15], off
	global_load_ushort v18, v[16:17], off
	s_andn2_b64 s[30:31], s[2:3], exec
	s_andn2_b64 s[24:25], s[24:25], exec
	s_or_b64 s[22:23], s[22:23], exec
	s_waitcnt vmcnt(0)
	v_cmp_le_u16_e64 s[2:3], v1, v18
	v_cmp_lt_u16_e32 vcc, v1, v18
	s_and_b64 s[2:3], s[2:3], s[28:29]
	s_or_b64 s[34:35], vcc, s[2:3]
	s_and_b64 s[2:3], s[34:35], exec
	v_cmp_eq_u16_e64 s[4:5], v1, v18
	s_or_b64 s[2:3], s[30:31], s[2:3]
	s_and_saveexec_b64 s[30:31], s[4:5]
	s_cbranch_execz .LBB1381_7
; %bb.9:                                ;   in Loop: Header=BB1381_8 Depth=2
	s_add_u32 s26, s26, -1
	s_addc_u32 s27, s27, -1
	s_cmp_eq_u64 s[26:27], 0
	s_cselect_b64 s[4:5], -1, 0
	s_andn2_b64 s[24:25], s[24:25], exec
	s_and_b64 s[28:29], s[34:35], exec
	s_andn2_b64 s[22:23], s[22:23], exec
	s_and_b64 s[4:5], s[4:5], exec
	v_lshl_add_u64 v[14:15], v[14:15], 0, 2
	v_lshl_add_u64 v[16:17], v[16:17], 0, 2
	s_andn2_b64 s[2:3], s[2:3], exec
	s_or_b64 s[24:25], s[24:25], s[28:29]
	s_or_b64 s[22:23], s[22:23], s[4:5]
                                        ; implicit-def: $sgpr28_sgpr29
	s_branch .LBB1381_7
.LBB1381_10:
	s_or_b64 exec, exec, s[14:15]
.LBB1381_11:
	s_or_b64 exec, exec, s[12:13]
	v_mov_b32_e32 v6, s10
	v_mov_b32_e32 v7, s11
	;; [unrolled: 1-line block ×3, first 2 shown]
	v_lshl_add_u64 v[2:3], v[4:5], 0, v[2:3]
	v_lshl_add_u64 v[0:1], v[0:1], 3, v[6:7]
	global_store_dwordx2 v[0:1], v[2:3], off
.LBB1381_12:
	s_endpgm
	.section	.rodata,"a",@progbits
	.p2align	6, 0x0
	.amdhsa_kernel _ZN7rocprim17ROCPRIM_400000_NS6detail17trampoline_kernelINS0_14default_configENS1_38merge_sort_block_merge_config_selectorIlNS0_10empty_typeEEEZZNS1_27merge_sort_block_merge_implIS3_PlPS5_mZN2at6native12_GLOBAL__N_124unique_dim_cuda_templateItEESt5tupleIJNSA_6TensorESF_SF_EERKSF_lbbbEUlllE_EE10hipError_tT0_T1_T2_jT3_P12ihipStream_tbPNSt15iterator_traitsISL_E10value_typeEPNSR_ISM_E10value_typeEPSN_NS1_7vsmem_tEENKUlT_SL_SM_SN_E_clIS8_S8_S9_S9_EESK_S10_SL_SM_SN_EUlS10_E_NS1_11comp_targetILNS1_3genE5ELNS1_11target_archE942ELNS1_3gpuE9ELNS1_3repE0EEENS1_48merge_mergepath_partition_config_static_selectorELNS0_4arch9wavefront6targetE1EEEvSM_
		.amdhsa_group_segment_fixed_size 0
		.amdhsa_private_segment_fixed_size 0
		.amdhsa_kernarg_size 56
		.amdhsa_user_sgpr_count 2
		.amdhsa_user_sgpr_dispatch_ptr 0
		.amdhsa_user_sgpr_queue_ptr 0
		.amdhsa_user_sgpr_kernarg_segment_ptr 1
		.amdhsa_user_sgpr_dispatch_id 0
		.amdhsa_user_sgpr_kernarg_preload_length 0
		.amdhsa_user_sgpr_kernarg_preload_offset 0
		.amdhsa_user_sgpr_private_segment_size 0
		.amdhsa_uses_dynamic_stack 0
		.amdhsa_enable_private_segment 0
		.amdhsa_system_sgpr_workgroup_id_x 1
		.amdhsa_system_sgpr_workgroup_id_y 0
		.amdhsa_system_sgpr_workgroup_id_z 0
		.amdhsa_system_sgpr_workgroup_info 0
		.amdhsa_system_vgpr_workitem_id 0
		.amdhsa_next_free_vgpr 23
		.amdhsa_next_free_sgpr 36
		.amdhsa_accum_offset 24
		.amdhsa_reserve_vcc 1
		.amdhsa_float_round_mode_32 0
		.amdhsa_float_round_mode_16_64 0
		.amdhsa_float_denorm_mode_32 3
		.amdhsa_float_denorm_mode_16_64 3
		.amdhsa_dx10_clamp 1
		.amdhsa_ieee_mode 1
		.amdhsa_fp16_overflow 0
		.amdhsa_tg_split 0
		.amdhsa_exception_fp_ieee_invalid_op 0
		.amdhsa_exception_fp_denorm_src 0
		.amdhsa_exception_fp_ieee_div_zero 0
		.amdhsa_exception_fp_ieee_overflow 0
		.amdhsa_exception_fp_ieee_underflow 0
		.amdhsa_exception_fp_ieee_inexact 0
		.amdhsa_exception_int_div_zero 0
	.end_amdhsa_kernel
	.section	.text._ZN7rocprim17ROCPRIM_400000_NS6detail17trampoline_kernelINS0_14default_configENS1_38merge_sort_block_merge_config_selectorIlNS0_10empty_typeEEEZZNS1_27merge_sort_block_merge_implIS3_PlPS5_mZN2at6native12_GLOBAL__N_124unique_dim_cuda_templateItEESt5tupleIJNSA_6TensorESF_SF_EERKSF_lbbbEUlllE_EE10hipError_tT0_T1_T2_jT3_P12ihipStream_tbPNSt15iterator_traitsISL_E10value_typeEPNSR_ISM_E10value_typeEPSN_NS1_7vsmem_tEENKUlT_SL_SM_SN_E_clIS8_S8_S9_S9_EESK_S10_SL_SM_SN_EUlS10_E_NS1_11comp_targetILNS1_3genE5ELNS1_11target_archE942ELNS1_3gpuE9ELNS1_3repE0EEENS1_48merge_mergepath_partition_config_static_selectorELNS0_4arch9wavefront6targetE1EEEvSM_,"axG",@progbits,_ZN7rocprim17ROCPRIM_400000_NS6detail17trampoline_kernelINS0_14default_configENS1_38merge_sort_block_merge_config_selectorIlNS0_10empty_typeEEEZZNS1_27merge_sort_block_merge_implIS3_PlPS5_mZN2at6native12_GLOBAL__N_124unique_dim_cuda_templateItEESt5tupleIJNSA_6TensorESF_SF_EERKSF_lbbbEUlllE_EE10hipError_tT0_T1_T2_jT3_P12ihipStream_tbPNSt15iterator_traitsISL_E10value_typeEPNSR_ISM_E10value_typeEPSN_NS1_7vsmem_tEENKUlT_SL_SM_SN_E_clIS8_S8_S9_S9_EESK_S10_SL_SM_SN_EUlS10_E_NS1_11comp_targetILNS1_3genE5ELNS1_11target_archE942ELNS1_3gpuE9ELNS1_3repE0EEENS1_48merge_mergepath_partition_config_static_selectorELNS0_4arch9wavefront6targetE1EEEvSM_,comdat
.Lfunc_end1381:
	.size	_ZN7rocprim17ROCPRIM_400000_NS6detail17trampoline_kernelINS0_14default_configENS1_38merge_sort_block_merge_config_selectorIlNS0_10empty_typeEEEZZNS1_27merge_sort_block_merge_implIS3_PlPS5_mZN2at6native12_GLOBAL__N_124unique_dim_cuda_templateItEESt5tupleIJNSA_6TensorESF_SF_EERKSF_lbbbEUlllE_EE10hipError_tT0_T1_T2_jT3_P12ihipStream_tbPNSt15iterator_traitsISL_E10value_typeEPNSR_ISM_E10value_typeEPSN_NS1_7vsmem_tEENKUlT_SL_SM_SN_E_clIS8_S8_S9_S9_EESK_S10_SL_SM_SN_EUlS10_E_NS1_11comp_targetILNS1_3genE5ELNS1_11target_archE942ELNS1_3gpuE9ELNS1_3repE0EEENS1_48merge_mergepath_partition_config_static_selectorELNS0_4arch9wavefront6targetE1EEEvSM_, .Lfunc_end1381-_ZN7rocprim17ROCPRIM_400000_NS6detail17trampoline_kernelINS0_14default_configENS1_38merge_sort_block_merge_config_selectorIlNS0_10empty_typeEEEZZNS1_27merge_sort_block_merge_implIS3_PlPS5_mZN2at6native12_GLOBAL__N_124unique_dim_cuda_templateItEESt5tupleIJNSA_6TensorESF_SF_EERKSF_lbbbEUlllE_EE10hipError_tT0_T1_T2_jT3_P12ihipStream_tbPNSt15iterator_traitsISL_E10value_typeEPNSR_ISM_E10value_typeEPSN_NS1_7vsmem_tEENKUlT_SL_SM_SN_E_clIS8_S8_S9_S9_EESK_S10_SL_SM_SN_EUlS10_E_NS1_11comp_targetILNS1_3genE5ELNS1_11target_archE942ELNS1_3gpuE9ELNS1_3repE0EEENS1_48merge_mergepath_partition_config_static_selectorELNS0_4arch9wavefront6targetE1EEEvSM_
                                        ; -- End function
	.section	.AMDGPU.csdata,"",@progbits
; Kernel info:
; codeLenInByte = 796
; NumSgprs: 42
; NumVgprs: 23
; NumAgprs: 0
; TotalNumVgprs: 23
; ScratchSize: 0
; MemoryBound: 0
; FloatMode: 240
; IeeeMode: 1
; LDSByteSize: 0 bytes/workgroup (compile time only)
; SGPRBlocks: 5
; VGPRBlocks: 2
; NumSGPRsForWavesPerEU: 42
; NumVGPRsForWavesPerEU: 23
; AccumOffset: 24
; Occupancy: 8
; WaveLimiterHint : 0
; COMPUTE_PGM_RSRC2:SCRATCH_EN: 0
; COMPUTE_PGM_RSRC2:USER_SGPR: 2
; COMPUTE_PGM_RSRC2:TRAP_HANDLER: 0
; COMPUTE_PGM_RSRC2:TGID_X_EN: 1
; COMPUTE_PGM_RSRC2:TGID_Y_EN: 0
; COMPUTE_PGM_RSRC2:TGID_Z_EN: 0
; COMPUTE_PGM_RSRC2:TIDIG_COMP_CNT: 0
; COMPUTE_PGM_RSRC3_GFX90A:ACCUM_OFFSET: 5
; COMPUTE_PGM_RSRC3_GFX90A:TG_SPLIT: 0
	.section	.text._ZN7rocprim17ROCPRIM_400000_NS6detail17trampoline_kernelINS0_14default_configENS1_38merge_sort_block_merge_config_selectorIlNS0_10empty_typeEEEZZNS1_27merge_sort_block_merge_implIS3_PlPS5_mZN2at6native12_GLOBAL__N_124unique_dim_cuda_templateItEESt5tupleIJNSA_6TensorESF_SF_EERKSF_lbbbEUlllE_EE10hipError_tT0_T1_T2_jT3_P12ihipStream_tbPNSt15iterator_traitsISL_E10value_typeEPNSR_ISM_E10value_typeEPSN_NS1_7vsmem_tEENKUlT_SL_SM_SN_E_clIS8_S8_S9_S9_EESK_S10_SL_SM_SN_EUlS10_E_NS1_11comp_targetILNS1_3genE4ELNS1_11target_archE910ELNS1_3gpuE8ELNS1_3repE0EEENS1_48merge_mergepath_partition_config_static_selectorELNS0_4arch9wavefront6targetE1EEEvSM_,"axG",@progbits,_ZN7rocprim17ROCPRIM_400000_NS6detail17trampoline_kernelINS0_14default_configENS1_38merge_sort_block_merge_config_selectorIlNS0_10empty_typeEEEZZNS1_27merge_sort_block_merge_implIS3_PlPS5_mZN2at6native12_GLOBAL__N_124unique_dim_cuda_templateItEESt5tupleIJNSA_6TensorESF_SF_EERKSF_lbbbEUlllE_EE10hipError_tT0_T1_T2_jT3_P12ihipStream_tbPNSt15iterator_traitsISL_E10value_typeEPNSR_ISM_E10value_typeEPSN_NS1_7vsmem_tEENKUlT_SL_SM_SN_E_clIS8_S8_S9_S9_EESK_S10_SL_SM_SN_EUlS10_E_NS1_11comp_targetILNS1_3genE4ELNS1_11target_archE910ELNS1_3gpuE8ELNS1_3repE0EEENS1_48merge_mergepath_partition_config_static_selectorELNS0_4arch9wavefront6targetE1EEEvSM_,comdat
	.globl	_ZN7rocprim17ROCPRIM_400000_NS6detail17trampoline_kernelINS0_14default_configENS1_38merge_sort_block_merge_config_selectorIlNS0_10empty_typeEEEZZNS1_27merge_sort_block_merge_implIS3_PlPS5_mZN2at6native12_GLOBAL__N_124unique_dim_cuda_templateItEESt5tupleIJNSA_6TensorESF_SF_EERKSF_lbbbEUlllE_EE10hipError_tT0_T1_T2_jT3_P12ihipStream_tbPNSt15iterator_traitsISL_E10value_typeEPNSR_ISM_E10value_typeEPSN_NS1_7vsmem_tEENKUlT_SL_SM_SN_E_clIS8_S8_S9_S9_EESK_S10_SL_SM_SN_EUlS10_E_NS1_11comp_targetILNS1_3genE4ELNS1_11target_archE910ELNS1_3gpuE8ELNS1_3repE0EEENS1_48merge_mergepath_partition_config_static_selectorELNS0_4arch9wavefront6targetE1EEEvSM_ ; -- Begin function _ZN7rocprim17ROCPRIM_400000_NS6detail17trampoline_kernelINS0_14default_configENS1_38merge_sort_block_merge_config_selectorIlNS0_10empty_typeEEEZZNS1_27merge_sort_block_merge_implIS3_PlPS5_mZN2at6native12_GLOBAL__N_124unique_dim_cuda_templateItEESt5tupleIJNSA_6TensorESF_SF_EERKSF_lbbbEUlllE_EE10hipError_tT0_T1_T2_jT3_P12ihipStream_tbPNSt15iterator_traitsISL_E10value_typeEPNSR_ISM_E10value_typeEPSN_NS1_7vsmem_tEENKUlT_SL_SM_SN_E_clIS8_S8_S9_S9_EESK_S10_SL_SM_SN_EUlS10_E_NS1_11comp_targetILNS1_3genE4ELNS1_11target_archE910ELNS1_3gpuE8ELNS1_3repE0EEENS1_48merge_mergepath_partition_config_static_selectorELNS0_4arch9wavefront6targetE1EEEvSM_
	.p2align	8
	.type	_ZN7rocprim17ROCPRIM_400000_NS6detail17trampoline_kernelINS0_14default_configENS1_38merge_sort_block_merge_config_selectorIlNS0_10empty_typeEEEZZNS1_27merge_sort_block_merge_implIS3_PlPS5_mZN2at6native12_GLOBAL__N_124unique_dim_cuda_templateItEESt5tupleIJNSA_6TensorESF_SF_EERKSF_lbbbEUlllE_EE10hipError_tT0_T1_T2_jT3_P12ihipStream_tbPNSt15iterator_traitsISL_E10value_typeEPNSR_ISM_E10value_typeEPSN_NS1_7vsmem_tEENKUlT_SL_SM_SN_E_clIS8_S8_S9_S9_EESK_S10_SL_SM_SN_EUlS10_E_NS1_11comp_targetILNS1_3genE4ELNS1_11target_archE910ELNS1_3gpuE8ELNS1_3repE0EEENS1_48merge_mergepath_partition_config_static_selectorELNS0_4arch9wavefront6targetE1EEEvSM_,@function
_ZN7rocprim17ROCPRIM_400000_NS6detail17trampoline_kernelINS0_14default_configENS1_38merge_sort_block_merge_config_selectorIlNS0_10empty_typeEEEZZNS1_27merge_sort_block_merge_implIS3_PlPS5_mZN2at6native12_GLOBAL__N_124unique_dim_cuda_templateItEESt5tupleIJNSA_6TensorESF_SF_EERKSF_lbbbEUlllE_EE10hipError_tT0_T1_T2_jT3_P12ihipStream_tbPNSt15iterator_traitsISL_E10value_typeEPNSR_ISM_E10value_typeEPSN_NS1_7vsmem_tEENKUlT_SL_SM_SN_E_clIS8_S8_S9_S9_EESK_S10_SL_SM_SN_EUlS10_E_NS1_11comp_targetILNS1_3genE4ELNS1_11target_archE910ELNS1_3gpuE8ELNS1_3repE0EEENS1_48merge_mergepath_partition_config_static_selectorELNS0_4arch9wavefront6targetE1EEEvSM_: ; @_ZN7rocprim17ROCPRIM_400000_NS6detail17trampoline_kernelINS0_14default_configENS1_38merge_sort_block_merge_config_selectorIlNS0_10empty_typeEEEZZNS1_27merge_sort_block_merge_implIS3_PlPS5_mZN2at6native12_GLOBAL__N_124unique_dim_cuda_templateItEESt5tupleIJNSA_6TensorESF_SF_EERKSF_lbbbEUlllE_EE10hipError_tT0_T1_T2_jT3_P12ihipStream_tbPNSt15iterator_traitsISL_E10value_typeEPNSR_ISM_E10value_typeEPSN_NS1_7vsmem_tEENKUlT_SL_SM_SN_E_clIS8_S8_S9_S9_EESK_S10_SL_SM_SN_EUlS10_E_NS1_11comp_targetILNS1_3genE4ELNS1_11target_archE910ELNS1_3gpuE8ELNS1_3repE0EEENS1_48merge_mergepath_partition_config_static_selectorELNS0_4arch9wavefront6targetE1EEEvSM_
; %bb.0:
	.section	.rodata,"a",@progbits
	.p2align	6, 0x0
	.amdhsa_kernel _ZN7rocprim17ROCPRIM_400000_NS6detail17trampoline_kernelINS0_14default_configENS1_38merge_sort_block_merge_config_selectorIlNS0_10empty_typeEEEZZNS1_27merge_sort_block_merge_implIS3_PlPS5_mZN2at6native12_GLOBAL__N_124unique_dim_cuda_templateItEESt5tupleIJNSA_6TensorESF_SF_EERKSF_lbbbEUlllE_EE10hipError_tT0_T1_T2_jT3_P12ihipStream_tbPNSt15iterator_traitsISL_E10value_typeEPNSR_ISM_E10value_typeEPSN_NS1_7vsmem_tEENKUlT_SL_SM_SN_E_clIS8_S8_S9_S9_EESK_S10_SL_SM_SN_EUlS10_E_NS1_11comp_targetILNS1_3genE4ELNS1_11target_archE910ELNS1_3gpuE8ELNS1_3repE0EEENS1_48merge_mergepath_partition_config_static_selectorELNS0_4arch9wavefront6targetE1EEEvSM_
		.amdhsa_group_segment_fixed_size 0
		.amdhsa_private_segment_fixed_size 0
		.amdhsa_kernarg_size 56
		.amdhsa_user_sgpr_count 2
		.amdhsa_user_sgpr_dispatch_ptr 0
		.amdhsa_user_sgpr_queue_ptr 0
		.amdhsa_user_sgpr_kernarg_segment_ptr 1
		.amdhsa_user_sgpr_dispatch_id 0
		.amdhsa_user_sgpr_kernarg_preload_length 0
		.amdhsa_user_sgpr_kernarg_preload_offset 0
		.amdhsa_user_sgpr_private_segment_size 0
		.amdhsa_uses_dynamic_stack 0
		.amdhsa_enable_private_segment 0
		.amdhsa_system_sgpr_workgroup_id_x 1
		.amdhsa_system_sgpr_workgroup_id_y 0
		.amdhsa_system_sgpr_workgroup_id_z 0
		.amdhsa_system_sgpr_workgroup_info 0
		.amdhsa_system_vgpr_workitem_id 0
		.amdhsa_next_free_vgpr 1
		.amdhsa_next_free_sgpr 0
		.amdhsa_accum_offset 4
		.amdhsa_reserve_vcc 0
		.amdhsa_float_round_mode_32 0
		.amdhsa_float_round_mode_16_64 0
		.amdhsa_float_denorm_mode_32 3
		.amdhsa_float_denorm_mode_16_64 3
		.amdhsa_dx10_clamp 1
		.amdhsa_ieee_mode 1
		.amdhsa_fp16_overflow 0
		.amdhsa_tg_split 0
		.amdhsa_exception_fp_ieee_invalid_op 0
		.amdhsa_exception_fp_denorm_src 0
		.amdhsa_exception_fp_ieee_div_zero 0
		.amdhsa_exception_fp_ieee_overflow 0
		.amdhsa_exception_fp_ieee_underflow 0
		.amdhsa_exception_fp_ieee_inexact 0
		.amdhsa_exception_int_div_zero 0
	.end_amdhsa_kernel
	.section	.text._ZN7rocprim17ROCPRIM_400000_NS6detail17trampoline_kernelINS0_14default_configENS1_38merge_sort_block_merge_config_selectorIlNS0_10empty_typeEEEZZNS1_27merge_sort_block_merge_implIS3_PlPS5_mZN2at6native12_GLOBAL__N_124unique_dim_cuda_templateItEESt5tupleIJNSA_6TensorESF_SF_EERKSF_lbbbEUlllE_EE10hipError_tT0_T1_T2_jT3_P12ihipStream_tbPNSt15iterator_traitsISL_E10value_typeEPNSR_ISM_E10value_typeEPSN_NS1_7vsmem_tEENKUlT_SL_SM_SN_E_clIS8_S8_S9_S9_EESK_S10_SL_SM_SN_EUlS10_E_NS1_11comp_targetILNS1_3genE4ELNS1_11target_archE910ELNS1_3gpuE8ELNS1_3repE0EEENS1_48merge_mergepath_partition_config_static_selectorELNS0_4arch9wavefront6targetE1EEEvSM_,"axG",@progbits,_ZN7rocprim17ROCPRIM_400000_NS6detail17trampoline_kernelINS0_14default_configENS1_38merge_sort_block_merge_config_selectorIlNS0_10empty_typeEEEZZNS1_27merge_sort_block_merge_implIS3_PlPS5_mZN2at6native12_GLOBAL__N_124unique_dim_cuda_templateItEESt5tupleIJNSA_6TensorESF_SF_EERKSF_lbbbEUlllE_EE10hipError_tT0_T1_T2_jT3_P12ihipStream_tbPNSt15iterator_traitsISL_E10value_typeEPNSR_ISM_E10value_typeEPSN_NS1_7vsmem_tEENKUlT_SL_SM_SN_E_clIS8_S8_S9_S9_EESK_S10_SL_SM_SN_EUlS10_E_NS1_11comp_targetILNS1_3genE4ELNS1_11target_archE910ELNS1_3gpuE8ELNS1_3repE0EEENS1_48merge_mergepath_partition_config_static_selectorELNS0_4arch9wavefront6targetE1EEEvSM_,comdat
.Lfunc_end1382:
	.size	_ZN7rocprim17ROCPRIM_400000_NS6detail17trampoline_kernelINS0_14default_configENS1_38merge_sort_block_merge_config_selectorIlNS0_10empty_typeEEEZZNS1_27merge_sort_block_merge_implIS3_PlPS5_mZN2at6native12_GLOBAL__N_124unique_dim_cuda_templateItEESt5tupleIJNSA_6TensorESF_SF_EERKSF_lbbbEUlllE_EE10hipError_tT0_T1_T2_jT3_P12ihipStream_tbPNSt15iterator_traitsISL_E10value_typeEPNSR_ISM_E10value_typeEPSN_NS1_7vsmem_tEENKUlT_SL_SM_SN_E_clIS8_S8_S9_S9_EESK_S10_SL_SM_SN_EUlS10_E_NS1_11comp_targetILNS1_3genE4ELNS1_11target_archE910ELNS1_3gpuE8ELNS1_3repE0EEENS1_48merge_mergepath_partition_config_static_selectorELNS0_4arch9wavefront6targetE1EEEvSM_, .Lfunc_end1382-_ZN7rocprim17ROCPRIM_400000_NS6detail17trampoline_kernelINS0_14default_configENS1_38merge_sort_block_merge_config_selectorIlNS0_10empty_typeEEEZZNS1_27merge_sort_block_merge_implIS3_PlPS5_mZN2at6native12_GLOBAL__N_124unique_dim_cuda_templateItEESt5tupleIJNSA_6TensorESF_SF_EERKSF_lbbbEUlllE_EE10hipError_tT0_T1_T2_jT3_P12ihipStream_tbPNSt15iterator_traitsISL_E10value_typeEPNSR_ISM_E10value_typeEPSN_NS1_7vsmem_tEENKUlT_SL_SM_SN_E_clIS8_S8_S9_S9_EESK_S10_SL_SM_SN_EUlS10_E_NS1_11comp_targetILNS1_3genE4ELNS1_11target_archE910ELNS1_3gpuE8ELNS1_3repE0EEENS1_48merge_mergepath_partition_config_static_selectorELNS0_4arch9wavefront6targetE1EEEvSM_
                                        ; -- End function
	.section	.AMDGPU.csdata,"",@progbits
; Kernel info:
; codeLenInByte = 0
; NumSgprs: 6
; NumVgprs: 0
; NumAgprs: 0
; TotalNumVgprs: 0
; ScratchSize: 0
; MemoryBound: 0
; FloatMode: 240
; IeeeMode: 1
; LDSByteSize: 0 bytes/workgroup (compile time only)
; SGPRBlocks: 0
; VGPRBlocks: 0
; NumSGPRsForWavesPerEU: 6
; NumVGPRsForWavesPerEU: 1
; AccumOffset: 4
; Occupancy: 8
; WaveLimiterHint : 0
; COMPUTE_PGM_RSRC2:SCRATCH_EN: 0
; COMPUTE_PGM_RSRC2:USER_SGPR: 2
; COMPUTE_PGM_RSRC2:TRAP_HANDLER: 0
; COMPUTE_PGM_RSRC2:TGID_X_EN: 1
; COMPUTE_PGM_RSRC2:TGID_Y_EN: 0
; COMPUTE_PGM_RSRC2:TGID_Z_EN: 0
; COMPUTE_PGM_RSRC2:TIDIG_COMP_CNT: 0
; COMPUTE_PGM_RSRC3_GFX90A:ACCUM_OFFSET: 0
; COMPUTE_PGM_RSRC3_GFX90A:TG_SPLIT: 0
	.section	.text._ZN7rocprim17ROCPRIM_400000_NS6detail17trampoline_kernelINS0_14default_configENS1_38merge_sort_block_merge_config_selectorIlNS0_10empty_typeEEEZZNS1_27merge_sort_block_merge_implIS3_PlPS5_mZN2at6native12_GLOBAL__N_124unique_dim_cuda_templateItEESt5tupleIJNSA_6TensorESF_SF_EERKSF_lbbbEUlllE_EE10hipError_tT0_T1_T2_jT3_P12ihipStream_tbPNSt15iterator_traitsISL_E10value_typeEPNSR_ISM_E10value_typeEPSN_NS1_7vsmem_tEENKUlT_SL_SM_SN_E_clIS8_S8_S9_S9_EESK_S10_SL_SM_SN_EUlS10_E_NS1_11comp_targetILNS1_3genE3ELNS1_11target_archE908ELNS1_3gpuE7ELNS1_3repE0EEENS1_48merge_mergepath_partition_config_static_selectorELNS0_4arch9wavefront6targetE1EEEvSM_,"axG",@progbits,_ZN7rocprim17ROCPRIM_400000_NS6detail17trampoline_kernelINS0_14default_configENS1_38merge_sort_block_merge_config_selectorIlNS0_10empty_typeEEEZZNS1_27merge_sort_block_merge_implIS3_PlPS5_mZN2at6native12_GLOBAL__N_124unique_dim_cuda_templateItEESt5tupleIJNSA_6TensorESF_SF_EERKSF_lbbbEUlllE_EE10hipError_tT0_T1_T2_jT3_P12ihipStream_tbPNSt15iterator_traitsISL_E10value_typeEPNSR_ISM_E10value_typeEPSN_NS1_7vsmem_tEENKUlT_SL_SM_SN_E_clIS8_S8_S9_S9_EESK_S10_SL_SM_SN_EUlS10_E_NS1_11comp_targetILNS1_3genE3ELNS1_11target_archE908ELNS1_3gpuE7ELNS1_3repE0EEENS1_48merge_mergepath_partition_config_static_selectorELNS0_4arch9wavefront6targetE1EEEvSM_,comdat
	.globl	_ZN7rocprim17ROCPRIM_400000_NS6detail17trampoline_kernelINS0_14default_configENS1_38merge_sort_block_merge_config_selectorIlNS0_10empty_typeEEEZZNS1_27merge_sort_block_merge_implIS3_PlPS5_mZN2at6native12_GLOBAL__N_124unique_dim_cuda_templateItEESt5tupleIJNSA_6TensorESF_SF_EERKSF_lbbbEUlllE_EE10hipError_tT0_T1_T2_jT3_P12ihipStream_tbPNSt15iterator_traitsISL_E10value_typeEPNSR_ISM_E10value_typeEPSN_NS1_7vsmem_tEENKUlT_SL_SM_SN_E_clIS8_S8_S9_S9_EESK_S10_SL_SM_SN_EUlS10_E_NS1_11comp_targetILNS1_3genE3ELNS1_11target_archE908ELNS1_3gpuE7ELNS1_3repE0EEENS1_48merge_mergepath_partition_config_static_selectorELNS0_4arch9wavefront6targetE1EEEvSM_ ; -- Begin function _ZN7rocprim17ROCPRIM_400000_NS6detail17trampoline_kernelINS0_14default_configENS1_38merge_sort_block_merge_config_selectorIlNS0_10empty_typeEEEZZNS1_27merge_sort_block_merge_implIS3_PlPS5_mZN2at6native12_GLOBAL__N_124unique_dim_cuda_templateItEESt5tupleIJNSA_6TensorESF_SF_EERKSF_lbbbEUlllE_EE10hipError_tT0_T1_T2_jT3_P12ihipStream_tbPNSt15iterator_traitsISL_E10value_typeEPNSR_ISM_E10value_typeEPSN_NS1_7vsmem_tEENKUlT_SL_SM_SN_E_clIS8_S8_S9_S9_EESK_S10_SL_SM_SN_EUlS10_E_NS1_11comp_targetILNS1_3genE3ELNS1_11target_archE908ELNS1_3gpuE7ELNS1_3repE0EEENS1_48merge_mergepath_partition_config_static_selectorELNS0_4arch9wavefront6targetE1EEEvSM_
	.p2align	8
	.type	_ZN7rocprim17ROCPRIM_400000_NS6detail17trampoline_kernelINS0_14default_configENS1_38merge_sort_block_merge_config_selectorIlNS0_10empty_typeEEEZZNS1_27merge_sort_block_merge_implIS3_PlPS5_mZN2at6native12_GLOBAL__N_124unique_dim_cuda_templateItEESt5tupleIJNSA_6TensorESF_SF_EERKSF_lbbbEUlllE_EE10hipError_tT0_T1_T2_jT3_P12ihipStream_tbPNSt15iterator_traitsISL_E10value_typeEPNSR_ISM_E10value_typeEPSN_NS1_7vsmem_tEENKUlT_SL_SM_SN_E_clIS8_S8_S9_S9_EESK_S10_SL_SM_SN_EUlS10_E_NS1_11comp_targetILNS1_3genE3ELNS1_11target_archE908ELNS1_3gpuE7ELNS1_3repE0EEENS1_48merge_mergepath_partition_config_static_selectorELNS0_4arch9wavefront6targetE1EEEvSM_,@function
_ZN7rocprim17ROCPRIM_400000_NS6detail17trampoline_kernelINS0_14default_configENS1_38merge_sort_block_merge_config_selectorIlNS0_10empty_typeEEEZZNS1_27merge_sort_block_merge_implIS3_PlPS5_mZN2at6native12_GLOBAL__N_124unique_dim_cuda_templateItEESt5tupleIJNSA_6TensorESF_SF_EERKSF_lbbbEUlllE_EE10hipError_tT0_T1_T2_jT3_P12ihipStream_tbPNSt15iterator_traitsISL_E10value_typeEPNSR_ISM_E10value_typeEPSN_NS1_7vsmem_tEENKUlT_SL_SM_SN_E_clIS8_S8_S9_S9_EESK_S10_SL_SM_SN_EUlS10_E_NS1_11comp_targetILNS1_3genE3ELNS1_11target_archE908ELNS1_3gpuE7ELNS1_3repE0EEENS1_48merge_mergepath_partition_config_static_selectorELNS0_4arch9wavefront6targetE1EEEvSM_: ; @_ZN7rocprim17ROCPRIM_400000_NS6detail17trampoline_kernelINS0_14default_configENS1_38merge_sort_block_merge_config_selectorIlNS0_10empty_typeEEEZZNS1_27merge_sort_block_merge_implIS3_PlPS5_mZN2at6native12_GLOBAL__N_124unique_dim_cuda_templateItEESt5tupleIJNSA_6TensorESF_SF_EERKSF_lbbbEUlllE_EE10hipError_tT0_T1_T2_jT3_P12ihipStream_tbPNSt15iterator_traitsISL_E10value_typeEPNSR_ISM_E10value_typeEPSN_NS1_7vsmem_tEENKUlT_SL_SM_SN_E_clIS8_S8_S9_S9_EESK_S10_SL_SM_SN_EUlS10_E_NS1_11comp_targetILNS1_3genE3ELNS1_11target_archE908ELNS1_3gpuE7ELNS1_3repE0EEENS1_48merge_mergepath_partition_config_static_selectorELNS0_4arch9wavefront6targetE1EEEvSM_
; %bb.0:
	.section	.rodata,"a",@progbits
	.p2align	6, 0x0
	.amdhsa_kernel _ZN7rocprim17ROCPRIM_400000_NS6detail17trampoline_kernelINS0_14default_configENS1_38merge_sort_block_merge_config_selectorIlNS0_10empty_typeEEEZZNS1_27merge_sort_block_merge_implIS3_PlPS5_mZN2at6native12_GLOBAL__N_124unique_dim_cuda_templateItEESt5tupleIJNSA_6TensorESF_SF_EERKSF_lbbbEUlllE_EE10hipError_tT0_T1_T2_jT3_P12ihipStream_tbPNSt15iterator_traitsISL_E10value_typeEPNSR_ISM_E10value_typeEPSN_NS1_7vsmem_tEENKUlT_SL_SM_SN_E_clIS8_S8_S9_S9_EESK_S10_SL_SM_SN_EUlS10_E_NS1_11comp_targetILNS1_3genE3ELNS1_11target_archE908ELNS1_3gpuE7ELNS1_3repE0EEENS1_48merge_mergepath_partition_config_static_selectorELNS0_4arch9wavefront6targetE1EEEvSM_
		.amdhsa_group_segment_fixed_size 0
		.amdhsa_private_segment_fixed_size 0
		.amdhsa_kernarg_size 56
		.amdhsa_user_sgpr_count 2
		.amdhsa_user_sgpr_dispatch_ptr 0
		.amdhsa_user_sgpr_queue_ptr 0
		.amdhsa_user_sgpr_kernarg_segment_ptr 1
		.amdhsa_user_sgpr_dispatch_id 0
		.amdhsa_user_sgpr_kernarg_preload_length 0
		.amdhsa_user_sgpr_kernarg_preload_offset 0
		.amdhsa_user_sgpr_private_segment_size 0
		.amdhsa_uses_dynamic_stack 0
		.amdhsa_enable_private_segment 0
		.amdhsa_system_sgpr_workgroup_id_x 1
		.amdhsa_system_sgpr_workgroup_id_y 0
		.amdhsa_system_sgpr_workgroup_id_z 0
		.amdhsa_system_sgpr_workgroup_info 0
		.amdhsa_system_vgpr_workitem_id 0
		.amdhsa_next_free_vgpr 1
		.amdhsa_next_free_sgpr 0
		.amdhsa_accum_offset 4
		.amdhsa_reserve_vcc 0
		.amdhsa_float_round_mode_32 0
		.amdhsa_float_round_mode_16_64 0
		.amdhsa_float_denorm_mode_32 3
		.amdhsa_float_denorm_mode_16_64 3
		.amdhsa_dx10_clamp 1
		.amdhsa_ieee_mode 1
		.amdhsa_fp16_overflow 0
		.amdhsa_tg_split 0
		.amdhsa_exception_fp_ieee_invalid_op 0
		.amdhsa_exception_fp_denorm_src 0
		.amdhsa_exception_fp_ieee_div_zero 0
		.amdhsa_exception_fp_ieee_overflow 0
		.amdhsa_exception_fp_ieee_underflow 0
		.amdhsa_exception_fp_ieee_inexact 0
		.amdhsa_exception_int_div_zero 0
	.end_amdhsa_kernel
	.section	.text._ZN7rocprim17ROCPRIM_400000_NS6detail17trampoline_kernelINS0_14default_configENS1_38merge_sort_block_merge_config_selectorIlNS0_10empty_typeEEEZZNS1_27merge_sort_block_merge_implIS3_PlPS5_mZN2at6native12_GLOBAL__N_124unique_dim_cuda_templateItEESt5tupleIJNSA_6TensorESF_SF_EERKSF_lbbbEUlllE_EE10hipError_tT0_T1_T2_jT3_P12ihipStream_tbPNSt15iterator_traitsISL_E10value_typeEPNSR_ISM_E10value_typeEPSN_NS1_7vsmem_tEENKUlT_SL_SM_SN_E_clIS8_S8_S9_S9_EESK_S10_SL_SM_SN_EUlS10_E_NS1_11comp_targetILNS1_3genE3ELNS1_11target_archE908ELNS1_3gpuE7ELNS1_3repE0EEENS1_48merge_mergepath_partition_config_static_selectorELNS0_4arch9wavefront6targetE1EEEvSM_,"axG",@progbits,_ZN7rocprim17ROCPRIM_400000_NS6detail17trampoline_kernelINS0_14default_configENS1_38merge_sort_block_merge_config_selectorIlNS0_10empty_typeEEEZZNS1_27merge_sort_block_merge_implIS3_PlPS5_mZN2at6native12_GLOBAL__N_124unique_dim_cuda_templateItEESt5tupleIJNSA_6TensorESF_SF_EERKSF_lbbbEUlllE_EE10hipError_tT0_T1_T2_jT3_P12ihipStream_tbPNSt15iterator_traitsISL_E10value_typeEPNSR_ISM_E10value_typeEPSN_NS1_7vsmem_tEENKUlT_SL_SM_SN_E_clIS8_S8_S9_S9_EESK_S10_SL_SM_SN_EUlS10_E_NS1_11comp_targetILNS1_3genE3ELNS1_11target_archE908ELNS1_3gpuE7ELNS1_3repE0EEENS1_48merge_mergepath_partition_config_static_selectorELNS0_4arch9wavefront6targetE1EEEvSM_,comdat
.Lfunc_end1383:
	.size	_ZN7rocprim17ROCPRIM_400000_NS6detail17trampoline_kernelINS0_14default_configENS1_38merge_sort_block_merge_config_selectorIlNS0_10empty_typeEEEZZNS1_27merge_sort_block_merge_implIS3_PlPS5_mZN2at6native12_GLOBAL__N_124unique_dim_cuda_templateItEESt5tupleIJNSA_6TensorESF_SF_EERKSF_lbbbEUlllE_EE10hipError_tT0_T1_T2_jT3_P12ihipStream_tbPNSt15iterator_traitsISL_E10value_typeEPNSR_ISM_E10value_typeEPSN_NS1_7vsmem_tEENKUlT_SL_SM_SN_E_clIS8_S8_S9_S9_EESK_S10_SL_SM_SN_EUlS10_E_NS1_11comp_targetILNS1_3genE3ELNS1_11target_archE908ELNS1_3gpuE7ELNS1_3repE0EEENS1_48merge_mergepath_partition_config_static_selectorELNS0_4arch9wavefront6targetE1EEEvSM_, .Lfunc_end1383-_ZN7rocprim17ROCPRIM_400000_NS6detail17trampoline_kernelINS0_14default_configENS1_38merge_sort_block_merge_config_selectorIlNS0_10empty_typeEEEZZNS1_27merge_sort_block_merge_implIS3_PlPS5_mZN2at6native12_GLOBAL__N_124unique_dim_cuda_templateItEESt5tupleIJNSA_6TensorESF_SF_EERKSF_lbbbEUlllE_EE10hipError_tT0_T1_T2_jT3_P12ihipStream_tbPNSt15iterator_traitsISL_E10value_typeEPNSR_ISM_E10value_typeEPSN_NS1_7vsmem_tEENKUlT_SL_SM_SN_E_clIS8_S8_S9_S9_EESK_S10_SL_SM_SN_EUlS10_E_NS1_11comp_targetILNS1_3genE3ELNS1_11target_archE908ELNS1_3gpuE7ELNS1_3repE0EEENS1_48merge_mergepath_partition_config_static_selectorELNS0_4arch9wavefront6targetE1EEEvSM_
                                        ; -- End function
	.section	.AMDGPU.csdata,"",@progbits
; Kernel info:
; codeLenInByte = 0
; NumSgprs: 6
; NumVgprs: 0
; NumAgprs: 0
; TotalNumVgprs: 0
; ScratchSize: 0
; MemoryBound: 0
; FloatMode: 240
; IeeeMode: 1
; LDSByteSize: 0 bytes/workgroup (compile time only)
; SGPRBlocks: 0
; VGPRBlocks: 0
; NumSGPRsForWavesPerEU: 6
; NumVGPRsForWavesPerEU: 1
; AccumOffset: 4
; Occupancy: 8
; WaveLimiterHint : 0
; COMPUTE_PGM_RSRC2:SCRATCH_EN: 0
; COMPUTE_PGM_RSRC2:USER_SGPR: 2
; COMPUTE_PGM_RSRC2:TRAP_HANDLER: 0
; COMPUTE_PGM_RSRC2:TGID_X_EN: 1
; COMPUTE_PGM_RSRC2:TGID_Y_EN: 0
; COMPUTE_PGM_RSRC2:TGID_Z_EN: 0
; COMPUTE_PGM_RSRC2:TIDIG_COMP_CNT: 0
; COMPUTE_PGM_RSRC3_GFX90A:ACCUM_OFFSET: 0
; COMPUTE_PGM_RSRC3_GFX90A:TG_SPLIT: 0
	.section	.text._ZN7rocprim17ROCPRIM_400000_NS6detail17trampoline_kernelINS0_14default_configENS1_38merge_sort_block_merge_config_selectorIlNS0_10empty_typeEEEZZNS1_27merge_sort_block_merge_implIS3_PlPS5_mZN2at6native12_GLOBAL__N_124unique_dim_cuda_templateItEESt5tupleIJNSA_6TensorESF_SF_EERKSF_lbbbEUlllE_EE10hipError_tT0_T1_T2_jT3_P12ihipStream_tbPNSt15iterator_traitsISL_E10value_typeEPNSR_ISM_E10value_typeEPSN_NS1_7vsmem_tEENKUlT_SL_SM_SN_E_clIS8_S8_S9_S9_EESK_S10_SL_SM_SN_EUlS10_E_NS1_11comp_targetILNS1_3genE2ELNS1_11target_archE906ELNS1_3gpuE6ELNS1_3repE0EEENS1_48merge_mergepath_partition_config_static_selectorELNS0_4arch9wavefront6targetE1EEEvSM_,"axG",@progbits,_ZN7rocprim17ROCPRIM_400000_NS6detail17trampoline_kernelINS0_14default_configENS1_38merge_sort_block_merge_config_selectorIlNS0_10empty_typeEEEZZNS1_27merge_sort_block_merge_implIS3_PlPS5_mZN2at6native12_GLOBAL__N_124unique_dim_cuda_templateItEESt5tupleIJNSA_6TensorESF_SF_EERKSF_lbbbEUlllE_EE10hipError_tT0_T1_T2_jT3_P12ihipStream_tbPNSt15iterator_traitsISL_E10value_typeEPNSR_ISM_E10value_typeEPSN_NS1_7vsmem_tEENKUlT_SL_SM_SN_E_clIS8_S8_S9_S9_EESK_S10_SL_SM_SN_EUlS10_E_NS1_11comp_targetILNS1_3genE2ELNS1_11target_archE906ELNS1_3gpuE6ELNS1_3repE0EEENS1_48merge_mergepath_partition_config_static_selectorELNS0_4arch9wavefront6targetE1EEEvSM_,comdat
	.globl	_ZN7rocprim17ROCPRIM_400000_NS6detail17trampoline_kernelINS0_14default_configENS1_38merge_sort_block_merge_config_selectorIlNS0_10empty_typeEEEZZNS1_27merge_sort_block_merge_implIS3_PlPS5_mZN2at6native12_GLOBAL__N_124unique_dim_cuda_templateItEESt5tupleIJNSA_6TensorESF_SF_EERKSF_lbbbEUlllE_EE10hipError_tT0_T1_T2_jT3_P12ihipStream_tbPNSt15iterator_traitsISL_E10value_typeEPNSR_ISM_E10value_typeEPSN_NS1_7vsmem_tEENKUlT_SL_SM_SN_E_clIS8_S8_S9_S9_EESK_S10_SL_SM_SN_EUlS10_E_NS1_11comp_targetILNS1_3genE2ELNS1_11target_archE906ELNS1_3gpuE6ELNS1_3repE0EEENS1_48merge_mergepath_partition_config_static_selectorELNS0_4arch9wavefront6targetE1EEEvSM_ ; -- Begin function _ZN7rocprim17ROCPRIM_400000_NS6detail17trampoline_kernelINS0_14default_configENS1_38merge_sort_block_merge_config_selectorIlNS0_10empty_typeEEEZZNS1_27merge_sort_block_merge_implIS3_PlPS5_mZN2at6native12_GLOBAL__N_124unique_dim_cuda_templateItEESt5tupleIJNSA_6TensorESF_SF_EERKSF_lbbbEUlllE_EE10hipError_tT0_T1_T2_jT3_P12ihipStream_tbPNSt15iterator_traitsISL_E10value_typeEPNSR_ISM_E10value_typeEPSN_NS1_7vsmem_tEENKUlT_SL_SM_SN_E_clIS8_S8_S9_S9_EESK_S10_SL_SM_SN_EUlS10_E_NS1_11comp_targetILNS1_3genE2ELNS1_11target_archE906ELNS1_3gpuE6ELNS1_3repE0EEENS1_48merge_mergepath_partition_config_static_selectorELNS0_4arch9wavefront6targetE1EEEvSM_
	.p2align	8
	.type	_ZN7rocprim17ROCPRIM_400000_NS6detail17trampoline_kernelINS0_14default_configENS1_38merge_sort_block_merge_config_selectorIlNS0_10empty_typeEEEZZNS1_27merge_sort_block_merge_implIS3_PlPS5_mZN2at6native12_GLOBAL__N_124unique_dim_cuda_templateItEESt5tupleIJNSA_6TensorESF_SF_EERKSF_lbbbEUlllE_EE10hipError_tT0_T1_T2_jT3_P12ihipStream_tbPNSt15iterator_traitsISL_E10value_typeEPNSR_ISM_E10value_typeEPSN_NS1_7vsmem_tEENKUlT_SL_SM_SN_E_clIS8_S8_S9_S9_EESK_S10_SL_SM_SN_EUlS10_E_NS1_11comp_targetILNS1_3genE2ELNS1_11target_archE906ELNS1_3gpuE6ELNS1_3repE0EEENS1_48merge_mergepath_partition_config_static_selectorELNS0_4arch9wavefront6targetE1EEEvSM_,@function
_ZN7rocprim17ROCPRIM_400000_NS6detail17trampoline_kernelINS0_14default_configENS1_38merge_sort_block_merge_config_selectorIlNS0_10empty_typeEEEZZNS1_27merge_sort_block_merge_implIS3_PlPS5_mZN2at6native12_GLOBAL__N_124unique_dim_cuda_templateItEESt5tupleIJNSA_6TensorESF_SF_EERKSF_lbbbEUlllE_EE10hipError_tT0_T1_T2_jT3_P12ihipStream_tbPNSt15iterator_traitsISL_E10value_typeEPNSR_ISM_E10value_typeEPSN_NS1_7vsmem_tEENKUlT_SL_SM_SN_E_clIS8_S8_S9_S9_EESK_S10_SL_SM_SN_EUlS10_E_NS1_11comp_targetILNS1_3genE2ELNS1_11target_archE906ELNS1_3gpuE6ELNS1_3repE0EEENS1_48merge_mergepath_partition_config_static_selectorELNS0_4arch9wavefront6targetE1EEEvSM_: ; @_ZN7rocprim17ROCPRIM_400000_NS6detail17trampoline_kernelINS0_14default_configENS1_38merge_sort_block_merge_config_selectorIlNS0_10empty_typeEEEZZNS1_27merge_sort_block_merge_implIS3_PlPS5_mZN2at6native12_GLOBAL__N_124unique_dim_cuda_templateItEESt5tupleIJNSA_6TensorESF_SF_EERKSF_lbbbEUlllE_EE10hipError_tT0_T1_T2_jT3_P12ihipStream_tbPNSt15iterator_traitsISL_E10value_typeEPNSR_ISM_E10value_typeEPSN_NS1_7vsmem_tEENKUlT_SL_SM_SN_E_clIS8_S8_S9_S9_EESK_S10_SL_SM_SN_EUlS10_E_NS1_11comp_targetILNS1_3genE2ELNS1_11target_archE906ELNS1_3gpuE6ELNS1_3repE0EEENS1_48merge_mergepath_partition_config_static_selectorELNS0_4arch9wavefront6targetE1EEEvSM_
; %bb.0:
	.section	.rodata,"a",@progbits
	.p2align	6, 0x0
	.amdhsa_kernel _ZN7rocprim17ROCPRIM_400000_NS6detail17trampoline_kernelINS0_14default_configENS1_38merge_sort_block_merge_config_selectorIlNS0_10empty_typeEEEZZNS1_27merge_sort_block_merge_implIS3_PlPS5_mZN2at6native12_GLOBAL__N_124unique_dim_cuda_templateItEESt5tupleIJNSA_6TensorESF_SF_EERKSF_lbbbEUlllE_EE10hipError_tT0_T1_T2_jT3_P12ihipStream_tbPNSt15iterator_traitsISL_E10value_typeEPNSR_ISM_E10value_typeEPSN_NS1_7vsmem_tEENKUlT_SL_SM_SN_E_clIS8_S8_S9_S9_EESK_S10_SL_SM_SN_EUlS10_E_NS1_11comp_targetILNS1_3genE2ELNS1_11target_archE906ELNS1_3gpuE6ELNS1_3repE0EEENS1_48merge_mergepath_partition_config_static_selectorELNS0_4arch9wavefront6targetE1EEEvSM_
		.amdhsa_group_segment_fixed_size 0
		.amdhsa_private_segment_fixed_size 0
		.amdhsa_kernarg_size 56
		.amdhsa_user_sgpr_count 2
		.amdhsa_user_sgpr_dispatch_ptr 0
		.amdhsa_user_sgpr_queue_ptr 0
		.amdhsa_user_sgpr_kernarg_segment_ptr 1
		.amdhsa_user_sgpr_dispatch_id 0
		.amdhsa_user_sgpr_kernarg_preload_length 0
		.amdhsa_user_sgpr_kernarg_preload_offset 0
		.amdhsa_user_sgpr_private_segment_size 0
		.amdhsa_uses_dynamic_stack 0
		.amdhsa_enable_private_segment 0
		.amdhsa_system_sgpr_workgroup_id_x 1
		.amdhsa_system_sgpr_workgroup_id_y 0
		.amdhsa_system_sgpr_workgroup_id_z 0
		.amdhsa_system_sgpr_workgroup_info 0
		.amdhsa_system_vgpr_workitem_id 0
		.amdhsa_next_free_vgpr 1
		.amdhsa_next_free_sgpr 0
		.amdhsa_accum_offset 4
		.amdhsa_reserve_vcc 0
		.amdhsa_float_round_mode_32 0
		.amdhsa_float_round_mode_16_64 0
		.amdhsa_float_denorm_mode_32 3
		.amdhsa_float_denorm_mode_16_64 3
		.amdhsa_dx10_clamp 1
		.amdhsa_ieee_mode 1
		.amdhsa_fp16_overflow 0
		.amdhsa_tg_split 0
		.amdhsa_exception_fp_ieee_invalid_op 0
		.amdhsa_exception_fp_denorm_src 0
		.amdhsa_exception_fp_ieee_div_zero 0
		.amdhsa_exception_fp_ieee_overflow 0
		.amdhsa_exception_fp_ieee_underflow 0
		.amdhsa_exception_fp_ieee_inexact 0
		.amdhsa_exception_int_div_zero 0
	.end_amdhsa_kernel
	.section	.text._ZN7rocprim17ROCPRIM_400000_NS6detail17trampoline_kernelINS0_14default_configENS1_38merge_sort_block_merge_config_selectorIlNS0_10empty_typeEEEZZNS1_27merge_sort_block_merge_implIS3_PlPS5_mZN2at6native12_GLOBAL__N_124unique_dim_cuda_templateItEESt5tupleIJNSA_6TensorESF_SF_EERKSF_lbbbEUlllE_EE10hipError_tT0_T1_T2_jT3_P12ihipStream_tbPNSt15iterator_traitsISL_E10value_typeEPNSR_ISM_E10value_typeEPSN_NS1_7vsmem_tEENKUlT_SL_SM_SN_E_clIS8_S8_S9_S9_EESK_S10_SL_SM_SN_EUlS10_E_NS1_11comp_targetILNS1_3genE2ELNS1_11target_archE906ELNS1_3gpuE6ELNS1_3repE0EEENS1_48merge_mergepath_partition_config_static_selectorELNS0_4arch9wavefront6targetE1EEEvSM_,"axG",@progbits,_ZN7rocprim17ROCPRIM_400000_NS6detail17trampoline_kernelINS0_14default_configENS1_38merge_sort_block_merge_config_selectorIlNS0_10empty_typeEEEZZNS1_27merge_sort_block_merge_implIS3_PlPS5_mZN2at6native12_GLOBAL__N_124unique_dim_cuda_templateItEESt5tupleIJNSA_6TensorESF_SF_EERKSF_lbbbEUlllE_EE10hipError_tT0_T1_T2_jT3_P12ihipStream_tbPNSt15iterator_traitsISL_E10value_typeEPNSR_ISM_E10value_typeEPSN_NS1_7vsmem_tEENKUlT_SL_SM_SN_E_clIS8_S8_S9_S9_EESK_S10_SL_SM_SN_EUlS10_E_NS1_11comp_targetILNS1_3genE2ELNS1_11target_archE906ELNS1_3gpuE6ELNS1_3repE0EEENS1_48merge_mergepath_partition_config_static_selectorELNS0_4arch9wavefront6targetE1EEEvSM_,comdat
.Lfunc_end1384:
	.size	_ZN7rocprim17ROCPRIM_400000_NS6detail17trampoline_kernelINS0_14default_configENS1_38merge_sort_block_merge_config_selectorIlNS0_10empty_typeEEEZZNS1_27merge_sort_block_merge_implIS3_PlPS5_mZN2at6native12_GLOBAL__N_124unique_dim_cuda_templateItEESt5tupleIJNSA_6TensorESF_SF_EERKSF_lbbbEUlllE_EE10hipError_tT0_T1_T2_jT3_P12ihipStream_tbPNSt15iterator_traitsISL_E10value_typeEPNSR_ISM_E10value_typeEPSN_NS1_7vsmem_tEENKUlT_SL_SM_SN_E_clIS8_S8_S9_S9_EESK_S10_SL_SM_SN_EUlS10_E_NS1_11comp_targetILNS1_3genE2ELNS1_11target_archE906ELNS1_3gpuE6ELNS1_3repE0EEENS1_48merge_mergepath_partition_config_static_selectorELNS0_4arch9wavefront6targetE1EEEvSM_, .Lfunc_end1384-_ZN7rocprim17ROCPRIM_400000_NS6detail17trampoline_kernelINS0_14default_configENS1_38merge_sort_block_merge_config_selectorIlNS0_10empty_typeEEEZZNS1_27merge_sort_block_merge_implIS3_PlPS5_mZN2at6native12_GLOBAL__N_124unique_dim_cuda_templateItEESt5tupleIJNSA_6TensorESF_SF_EERKSF_lbbbEUlllE_EE10hipError_tT0_T1_T2_jT3_P12ihipStream_tbPNSt15iterator_traitsISL_E10value_typeEPNSR_ISM_E10value_typeEPSN_NS1_7vsmem_tEENKUlT_SL_SM_SN_E_clIS8_S8_S9_S9_EESK_S10_SL_SM_SN_EUlS10_E_NS1_11comp_targetILNS1_3genE2ELNS1_11target_archE906ELNS1_3gpuE6ELNS1_3repE0EEENS1_48merge_mergepath_partition_config_static_selectorELNS0_4arch9wavefront6targetE1EEEvSM_
                                        ; -- End function
	.section	.AMDGPU.csdata,"",@progbits
; Kernel info:
; codeLenInByte = 0
; NumSgprs: 6
; NumVgprs: 0
; NumAgprs: 0
; TotalNumVgprs: 0
; ScratchSize: 0
; MemoryBound: 0
; FloatMode: 240
; IeeeMode: 1
; LDSByteSize: 0 bytes/workgroup (compile time only)
; SGPRBlocks: 0
; VGPRBlocks: 0
; NumSGPRsForWavesPerEU: 6
; NumVGPRsForWavesPerEU: 1
; AccumOffset: 4
; Occupancy: 8
; WaveLimiterHint : 0
; COMPUTE_PGM_RSRC2:SCRATCH_EN: 0
; COMPUTE_PGM_RSRC2:USER_SGPR: 2
; COMPUTE_PGM_RSRC2:TRAP_HANDLER: 0
; COMPUTE_PGM_RSRC2:TGID_X_EN: 1
; COMPUTE_PGM_RSRC2:TGID_Y_EN: 0
; COMPUTE_PGM_RSRC2:TGID_Z_EN: 0
; COMPUTE_PGM_RSRC2:TIDIG_COMP_CNT: 0
; COMPUTE_PGM_RSRC3_GFX90A:ACCUM_OFFSET: 0
; COMPUTE_PGM_RSRC3_GFX90A:TG_SPLIT: 0
	.section	.text._ZN7rocprim17ROCPRIM_400000_NS6detail17trampoline_kernelINS0_14default_configENS1_38merge_sort_block_merge_config_selectorIlNS0_10empty_typeEEEZZNS1_27merge_sort_block_merge_implIS3_PlPS5_mZN2at6native12_GLOBAL__N_124unique_dim_cuda_templateItEESt5tupleIJNSA_6TensorESF_SF_EERKSF_lbbbEUlllE_EE10hipError_tT0_T1_T2_jT3_P12ihipStream_tbPNSt15iterator_traitsISL_E10value_typeEPNSR_ISM_E10value_typeEPSN_NS1_7vsmem_tEENKUlT_SL_SM_SN_E_clIS8_S8_S9_S9_EESK_S10_SL_SM_SN_EUlS10_E_NS1_11comp_targetILNS1_3genE9ELNS1_11target_archE1100ELNS1_3gpuE3ELNS1_3repE0EEENS1_48merge_mergepath_partition_config_static_selectorELNS0_4arch9wavefront6targetE1EEEvSM_,"axG",@progbits,_ZN7rocprim17ROCPRIM_400000_NS6detail17trampoline_kernelINS0_14default_configENS1_38merge_sort_block_merge_config_selectorIlNS0_10empty_typeEEEZZNS1_27merge_sort_block_merge_implIS3_PlPS5_mZN2at6native12_GLOBAL__N_124unique_dim_cuda_templateItEESt5tupleIJNSA_6TensorESF_SF_EERKSF_lbbbEUlllE_EE10hipError_tT0_T1_T2_jT3_P12ihipStream_tbPNSt15iterator_traitsISL_E10value_typeEPNSR_ISM_E10value_typeEPSN_NS1_7vsmem_tEENKUlT_SL_SM_SN_E_clIS8_S8_S9_S9_EESK_S10_SL_SM_SN_EUlS10_E_NS1_11comp_targetILNS1_3genE9ELNS1_11target_archE1100ELNS1_3gpuE3ELNS1_3repE0EEENS1_48merge_mergepath_partition_config_static_selectorELNS0_4arch9wavefront6targetE1EEEvSM_,comdat
	.globl	_ZN7rocprim17ROCPRIM_400000_NS6detail17trampoline_kernelINS0_14default_configENS1_38merge_sort_block_merge_config_selectorIlNS0_10empty_typeEEEZZNS1_27merge_sort_block_merge_implIS3_PlPS5_mZN2at6native12_GLOBAL__N_124unique_dim_cuda_templateItEESt5tupleIJNSA_6TensorESF_SF_EERKSF_lbbbEUlllE_EE10hipError_tT0_T1_T2_jT3_P12ihipStream_tbPNSt15iterator_traitsISL_E10value_typeEPNSR_ISM_E10value_typeEPSN_NS1_7vsmem_tEENKUlT_SL_SM_SN_E_clIS8_S8_S9_S9_EESK_S10_SL_SM_SN_EUlS10_E_NS1_11comp_targetILNS1_3genE9ELNS1_11target_archE1100ELNS1_3gpuE3ELNS1_3repE0EEENS1_48merge_mergepath_partition_config_static_selectorELNS0_4arch9wavefront6targetE1EEEvSM_ ; -- Begin function _ZN7rocprim17ROCPRIM_400000_NS6detail17trampoline_kernelINS0_14default_configENS1_38merge_sort_block_merge_config_selectorIlNS0_10empty_typeEEEZZNS1_27merge_sort_block_merge_implIS3_PlPS5_mZN2at6native12_GLOBAL__N_124unique_dim_cuda_templateItEESt5tupleIJNSA_6TensorESF_SF_EERKSF_lbbbEUlllE_EE10hipError_tT0_T1_T2_jT3_P12ihipStream_tbPNSt15iterator_traitsISL_E10value_typeEPNSR_ISM_E10value_typeEPSN_NS1_7vsmem_tEENKUlT_SL_SM_SN_E_clIS8_S8_S9_S9_EESK_S10_SL_SM_SN_EUlS10_E_NS1_11comp_targetILNS1_3genE9ELNS1_11target_archE1100ELNS1_3gpuE3ELNS1_3repE0EEENS1_48merge_mergepath_partition_config_static_selectorELNS0_4arch9wavefront6targetE1EEEvSM_
	.p2align	8
	.type	_ZN7rocprim17ROCPRIM_400000_NS6detail17trampoline_kernelINS0_14default_configENS1_38merge_sort_block_merge_config_selectorIlNS0_10empty_typeEEEZZNS1_27merge_sort_block_merge_implIS3_PlPS5_mZN2at6native12_GLOBAL__N_124unique_dim_cuda_templateItEESt5tupleIJNSA_6TensorESF_SF_EERKSF_lbbbEUlllE_EE10hipError_tT0_T1_T2_jT3_P12ihipStream_tbPNSt15iterator_traitsISL_E10value_typeEPNSR_ISM_E10value_typeEPSN_NS1_7vsmem_tEENKUlT_SL_SM_SN_E_clIS8_S8_S9_S9_EESK_S10_SL_SM_SN_EUlS10_E_NS1_11comp_targetILNS1_3genE9ELNS1_11target_archE1100ELNS1_3gpuE3ELNS1_3repE0EEENS1_48merge_mergepath_partition_config_static_selectorELNS0_4arch9wavefront6targetE1EEEvSM_,@function
_ZN7rocprim17ROCPRIM_400000_NS6detail17trampoline_kernelINS0_14default_configENS1_38merge_sort_block_merge_config_selectorIlNS0_10empty_typeEEEZZNS1_27merge_sort_block_merge_implIS3_PlPS5_mZN2at6native12_GLOBAL__N_124unique_dim_cuda_templateItEESt5tupleIJNSA_6TensorESF_SF_EERKSF_lbbbEUlllE_EE10hipError_tT0_T1_T2_jT3_P12ihipStream_tbPNSt15iterator_traitsISL_E10value_typeEPNSR_ISM_E10value_typeEPSN_NS1_7vsmem_tEENKUlT_SL_SM_SN_E_clIS8_S8_S9_S9_EESK_S10_SL_SM_SN_EUlS10_E_NS1_11comp_targetILNS1_3genE9ELNS1_11target_archE1100ELNS1_3gpuE3ELNS1_3repE0EEENS1_48merge_mergepath_partition_config_static_selectorELNS0_4arch9wavefront6targetE1EEEvSM_: ; @_ZN7rocprim17ROCPRIM_400000_NS6detail17trampoline_kernelINS0_14default_configENS1_38merge_sort_block_merge_config_selectorIlNS0_10empty_typeEEEZZNS1_27merge_sort_block_merge_implIS3_PlPS5_mZN2at6native12_GLOBAL__N_124unique_dim_cuda_templateItEESt5tupleIJNSA_6TensorESF_SF_EERKSF_lbbbEUlllE_EE10hipError_tT0_T1_T2_jT3_P12ihipStream_tbPNSt15iterator_traitsISL_E10value_typeEPNSR_ISM_E10value_typeEPSN_NS1_7vsmem_tEENKUlT_SL_SM_SN_E_clIS8_S8_S9_S9_EESK_S10_SL_SM_SN_EUlS10_E_NS1_11comp_targetILNS1_3genE9ELNS1_11target_archE1100ELNS1_3gpuE3ELNS1_3repE0EEENS1_48merge_mergepath_partition_config_static_selectorELNS0_4arch9wavefront6targetE1EEEvSM_
; %bb.0:
	.section	.rodata,"a",@progbits
	.p2align	6, 0x0
	.amdhsa_kernel _ZN7rocprim17ROCPRIM_400000_NS6detail17trampoline_kernelINS0_14default_configENS1_38merge_sort_block_merge_config_selectorIlNS0_10empty_typeEEEZZNS1_27merge_sort_block_merge_implIS3_PlPS5_mZN2at6native12_GLOBAL__N_124unique_dim_cuda_templateItEESt5tupleIJNSA_6TensorESF_SF_EERKSF_lbbbEUlllE_EE10hipError_tT0_T1_T2_jT3_P12ihipStream_tbPNSt15iterator_traitsISL_E10value_typeEPNSR_ISM_E10value_typeEPSN_NS1_7vsmem_tEENKUlT_SL_SM_SN_E_clIS8_S8_S9_S9_EESK_S10_SL_SM_SN_EUlS10_E_NS1_11comp_targetILNS1_3genE9ELNS1_11target_archE1100ELNS1_3gpuE3ELNS1_3repE0EEENS1_48merge_mergepath_partition_config_static_selectorELNS0_4arch9wavefront6targetE1EEEvSM_
		.amdhsa_group_segment_fixed_size 0
		.amdhsa_private_segment_fixed_size 0
		.amdhsa_kernarg_size 56
		.amdhsa_user_sgpr_count 2
		.amdhsa_user_sgpr_dispatch_ptr 0
		.amdhsa_user_sgpr_queue_ptr 0
		.amdhsa_user_sgpr_kernarg_segment_ptr 1
		.amdhsa_user_sgpr_dispatch_id 0
		.amdhsa_user_sgpr_kernarg_preload_length 0
		.amdhsa_user_sgpr_kernarg_preload_offset 0
		.amdhsa_user_sgpr_private_segment_size 0
		.amdhsa_uses_dynamic_stack 0
		.amdhsa_enable_private_segment 0
		.amdhsa_system_sgpr_workgroup_id_x 1
		.amdhsa_system_sgpr_workgroup_id_y 0
		.amdhsa_system_sgpr_workgroup_id_z 0
		.amdhsa_system_sgpr_workgroup_info 0
		.amdhsa_system_vgpr_workitem_id 0
		.amdhsa_next_free_vgpr 1
		.amdhsa_next_free_sgpr 0
		.amdhsa_accum_offset 4
		.amdhsa_reserve_vcc 0
		.amdhsa_float_round_mode_32 0
		.amdhsa_float_round_mode_16_64 0
		.amdhsa_float_denorm_mode_32 3
		.amdhsa_float_denorm_mode_16_64 3
		.amdhsa_dx10_clamp 1
		.amdhsa_ieee_mode 1
		.amdhsa_fp16_overflow 0
		.amdhsa_tg_split 0
		.amdhsa_exception_fp_ieee_invalid_op 0
		.amdhsa_exception_fp_denorm_src 0
		.amdhsa_exception_fp_ieee_div_zero 0
		.amdhsa_exception_fp_ieee_overflow 0
		.amdhsa_exception_fp_ieee_underflow 0
		.amdhsa_exception_fp_ieee_inexact 0
		.amdhsa_exception_int_div_zero 0
	.end_amdhsa_kernel
	.section	.text._ZN7rocprim17ROCPRIM_400000_NS6detail17trampoline_kernelINS0_14default_configENS1_38merge_sort_block_merge_config_selectorIlNS0_10empty_typeEEEZZNS1_27merge_sort_block_merge_implIS3_PlPS5_mZN2at6native12_GLOBAL__N_124unique_dim_cuda_templateItEESt5tupleIJNSA_6TensorESF_SF_EERKSF_lbbbEUlllE_EE10hipError_tT0_T1_T2_jT3_P12ihipStream_tbPNSt15iterator_traitsISL_E10value_typeEPNSR_ISM_E10value_typeEPSN_NS1_7vsmem_tEENKUlT_SL_SM_SN_E_clIS8_S8_S9_S9_EESK_S10_SL_SM_SN_EUlS10_E_NS1_11comp_targetILNS1_3genE9ELNS1_11target_archE1100ELNS1_3gpuE3ELNS1_3repE0EEENS1_48merge_mergepath_partition_config_static_selectorELNS0_4arch9wavefront6targetE1EEEvSM_,"axG",@progbits,_ZN7rocprim17ROCPRIM_400000_NS6detail17trampoline_kernelINS0_14default_configENS1_38merge_sort_block_merge_config_selectorIlNS0_10empty_typeEEEZZNS1_27merge_sort_block_merge_implIS3_PlPS5_mZN2at6native12_GLOBAL__N_124unique_dim_cuda_templateItEESt5tupleIJNSA_6TensorESF_SF_EERKSF_lbbbEUlllE_EE10hipError_tT0_T1_T2_jT3_P12ihipStream_tbPNSt15iterator_traitsISL_E10value_typeEPNSR_ISM_E10value_typeEPSN_NS1_7vsmem_tEENKUlT_SL_SM_SN_E_clIS8_S8_S9_S9_EESK_S10_SL_SM_SN_EUlS10_E_NS1_11comp_targetILNS1_3genE9ELNS1_11target_archE1100ELNS1_3gpuE3ELNS1_3repE0EEENS1_48merge_mergepath_partition_config_static_selectorELNS0_4arch9wavefront6targetE1EEEvSM_,comdat
.Lfunc_end1385:
	.size	_ZN7rocprim17ROCPRIM_400000_NS6detail17trampoline_kernelINS0_14default_configENS1_38merge_sort_block_merge_config_selectorIlNS0_10empty_typeEEEZZNS1_27merge_sort_block_merge_implIS3_PlPS5_mZN2at6native12_GLOBAL__N_124unique_dim_cuda_templateItEESt5tupleIJNSA_6TensorESF_SF_EERKSF_lbbbEUlllE_EE10hipError_tT0_T1_T2_jT3_P12ihipStream_tbPNSt15iterator_traitsISL_E10value_typeEPNSR_ISM_E10value_typeEPSN_NS1_7vsmem_tEENKUlT_SL_SM_SN_E_clIS8_S8_S9_S9_EESK_S10_SL_SM_SN_EUlS10_E_NS1_11comp_targetILNS1_3genE9ELNS1_11target_archE1100ELNS1_3gpuE3ELNS1_3repE0EEENS1_48merge_mergepath_partition_config_static_selectorELNS0_4arch9wavefront6targetE1EEEvSM_, .Lfunc_end1385-_ZN7rocprim17ROCPRIM_400000_NS6detail17trampoline_kernelINS0_14default_configENS1_38merge_sort_block_merge_config_selectorIlNS0_10empty_typeEEEZZNS1_27merge_sort_block_merge_implIS3_PlPS5_mZN2at6native12_GLOBAL__N_124unique_dim_cuda_templateItEESt5tupleIJNSA_6TensorESF_SF_EERKSF_lbbbEUlllE_EE10hipError_tT0_T1_T2_jT3_P12ihipStream_tbPNSt15iterator_traitsISL_E10value_typeEPNSR_ISM_E10value_typeEPSN_NS1_7vsmem_tEENKUlT_SL_SM_SN_E_clIS8_S8_S9_S9_EESK_S10_SL_SM_SN_EUlS10_E_NS1_11comp_targetILNS1_3genE9ELNS1_11target_archE1100ELNS1_3gpuE3ELNS1_3repE0EEENS1_48merge_mergepath_partition_config_static_selectorELNS0_4arch9wavefront6targetE1EEEvSM_
                                        ; -- End function
	.section	.AMDGPU.csdata,"",@progbits
; Kernel info:
; codeLenInByte = 0
; NumSgprs: 6
; NumVgprs: 0
; NumAgprs: 0
; TotalNumVgprs: 0
; ScratchSize: 0
; MemoryBound: 0
; FloatMode: 240
; IeeeMode: 1
; LDSByteSize: 0 bytes/workgroup (compile time only)
; SGPRBlocks: 0
; VGPRBlocks: 0
; NumSGPRsForWavesPerEU: 6
; NumVGPRsForWavesPerEU: 1
; AccumOffset: 4
; Occupancy: 8
; WaveLimiterHint : 0
; COMPUTE_PGM_RSRC2:SCRATCH_EN: 0
; COMPUTE_PGM_RSRC2:USER_SGPR: 2
; COMPUTE_PGM_RSRC2:TRAP_HANDLER: 0
; COMPUTE_PGM_RSRC2:TGID_X_EN: 1
; COMPUTE_PGM_RSRC2:TGID_Y_EN: 0
; COMPUTE_PGM_RSRC2:TGID_Z_EN: 0
; COMPUTE_PGM_RSRC2:TIDIG_COMP_CNT: 0
; COMPUTE_PGM_RSRC3_GFX90A:ACCUM_OFFSET: 0
; COMPUTE_PGM_RSRC3_GFX90A:TG_SPLIT: 0
	.section	.text._ZN7rocprim17ROCPRIM_400000_NS6detail17trampoline_kernelINS0_14default_configENS1_38merge_sort_block_merge_config_selectorIlNS0_10empty_typeEEEZZNS1_27merge_sort_block_merge_implIS3_PlPS5_mZN2at6native12_GLOBAL__N_124unique_dim_cuda_templateItEESt5tupleIJNSA_6TensorESF_SF_EERKSF_lbbbEUlllE_EE10hipError_tT0_T1_T2_jT3_P12ihipStream_tbPNSt15iterator_traitsISL_E10value_typeEPNSR_ISM_E10value_typeEPSN_NS1_7vsmem_tEENKUlT_SL_SM_SN_E_clIS8_S8_S9_S9_EESK_S10_SL_SM_SN_EUlS10_E_NS1_11comp_targetILNS1_3genE8ELNS1_11target_archE1030ELNS1_3gpuE2ELNS1_3repE0EEENS1_48merge_mergepath_partition_config_static_selectorELNS0_4arch9wavefront6targetE1EEEvSM_,"axG",@progbits,_ZN7rocprim17ROCPRIM_400000_NS6detail17trampoline_kernelINS0_14default_configENS1_38merge_sort_block_merge_config_selectorIlNS0_10empty_typeEEEZZNS1_27merge_sort_block_merge_implIS3_PlPS5_mZN2at6native12_GLOBAL__N_124unique_dim_cuda_templateItEESt5tupleIJNSA_6TensorESF_SF_EERKSF_lbbbEUlllE_EE10hipError_tT0_T1_T2_jT3_P12ihipStream_tbPNSt15iterator_traitsISL_E10value_typeEPNSR_ISM_E10value_typeEPSN_NS1_7vsmem_tEENKUlT_SL_SM_SN_E_clIS8_S8_S9_S9_EESK_S10_SL_SM_SN_EUlS10_E_NS1_11comp_targetILNS1_3genE8ELNS1_11target_archE1030ELNS1_3gpuE2ELNS1_3repE0EEENS1_48merge_mergepath_partition_config_static_selectorELNS0_4arch9wavefront6targetE1EEEvSM_,comdat
	.globl	_ZN7rocprim17ROCPRIM_400000_NS6detail17trampoline_kernelINS0_14default_configENS1_38merge_sort_block_merge_config_selectorIlNS0_10empty_typeEEEZZNS1_27merge_sort_block_merge_implIS3_PlPS5_mZN2at6native12_GLOBAL__N_124unique_dim_cuda_templateItEESt5tupleIJNSA_6TensorESF_SF_EERKSF_lbbbEUlllE_EE10hipError_tT0_T1_T2_jT3_P12ihipStream_tbPNSt15iterator_traitsISL_E10value_typeEPNSR_ISM_E10value_typeEPSN_NS1_7vsmem_tEENKUlT_SL_SM_SN_E_clIS8_S8_S9_S9_EESK_S10_SL_SM_SN_EUlS10_E_NS1_11comp_targetILNS1_3genE8ELNS1_11target_archE1030ELNS1_3gpuE2ELNS1_3repE0EEENS1_48merge_mergepath_partition_config_static_selectorELNS0_4arch9wavefront6targetE1EEEvSM_ ; -- Begin function _ZN7rocprim17ROCPRIM_400000_NS6detail17trampoline_kernelINS0_14default_configENS1_38merge_sort_block_merge_config_selectorIlNS0_10empty_typeEEEZZNS1_27merge_sort_block_merge_implIS3_PlPS5_mZN2at6native12_GLOBAL__N_124unique_dim_cuda_templateItEESt5tupleIJNSA_6TensorESF_SF_EERKSF_lbbbEUlllE_EE10hipError_tT0_T1_T2_jT3_P12ihipStream_tbPNSt15iterator_traitsISL_E10value_typeEPNSR_ISM_E10value_typeEPSN_NS1_7vsmem_tEENKUlT_SL_SM_SN_E_clIS8_S8_S9_S9_EESK_S10_SL_SM_SN_EUlS10_E_NS1_11comp_targetILNS1_3genE8ELNS1_11target_archE1030ELNS1_3gpuE2ELNS1_3repE0EEENS1_48merge_mergepath_partition_config_static_selectorELNS0_4arch9wavefront6targetE1EEEvSM_
	.p2align	8
	.type	_ZN7rocprim17ROCPRIM_400000_NS6detail17trampoline_kernelINS0_14default_configENS1_38merge_sort_block_merge_config_selectorIlNS0_10empty_typeEEEZZNS1_27merge_sort_block_merge_implIS3_PlPS5_mZN2at6native12_GLOBAL__N_124unique_dim_cuda_templateItEESt5tupleIJNSA_6TensorESF_SF_EERKSF_lbbbEUlllE_EE10hipError_tT0_T1_T2_jT3_P12ihipStream_tbPNSt15iterator_traitsISL_E10value_typeEPNSR_ISM_E10value_typeEPSN_NS1_7vsmem_tEENKUlT_SL_SM_SN_E_clIS8_S8_S9_S9_EESK_S10_SL_SM_SN_EUlS10_E_NS1_11comp_targetILNS1_3genE8ELNS1_11target_archE1030ELNS1_3gpuE2ELNS1_3repE0EEENS1_48merge_mergepath_partition_config_static_selectorELNS0_4arch9wavefront6targetE1EEEvSM_,@function
_ZN7rocprim17ROCPRIM_400000_NS6detail17trampoline_kernelINS0_14default_configENS1_38merge_sort_block_merge_config_selectorIlNS0_10empty_typeEEEZZNS1_27merge_sort_block_merge_implIS3_PlPS5_mZN2at6native12_GLOBAL__N_124unique_dim_cuda_templateItEESt5tupleIJNSA_6TensorESF_SF_EERKSF_lbbbEUlllE_EE10hipError_tT0_T1_T2_jT3_P12ihipStream_tbPNSt15iterator_traitsISL_E10value_typeEPNSR_ISM_E10value_typeEPSN_NS1_7vsmem_tEENKUlT_SL_SM_SN_E_clIS8_S8_S9_S9_EESK_S10_SL_SM_SN_EUlS10_E_NS1_11comp_targetILNS1_3genE8ELNS1_11target_archE1030ELNS1_3gpuE2ELNS1_3repE0EEENS1_48merge_mergepath_partition_config_static_selectorELNS0_4arch9wavefront6targetE1EEEvSM_: ; @_ZN7rocprim17ROCPRIM_400000_NS6detail17trampoline_kernelINS0_14default_configENS1_38merge_sort_block_merge_config_selectorIlNS0_10empty_typeEEEZZNS1_27merge_sort_block_merge_implIS3_PlPS5_mZN2at6native12_GLOBAL__N_124unique_dim_cuda_templateItEESt5tupleIJNSA_6TensorESF_SF_EERKSF_lbbbEUlllE_EE10hipError_tT0_T1_T2_jT3_P12ihipStream_tbPNSt15iterator_traitsISL_E10value_typeEPNSR_ISM_E10value_typeEPSN_NS1_7vsmem_tEENKUlT_SL_SM_SN_E_clIS8_S8_S9_S9_EESK_S10_SL_SM_SN_EUlS10_E_NS1_11comp_targetILNS1_3genE8ELNS1_11target_archE1030ELNS1_3gpuE2ELNS1_3repE0EEENS1_48merge_mergepath_partition_config_static_selectorELNS0_4arch9wavefront6targetE1EEEvSM_
; %bb.0:
	.section	.rodata,"a",@progbits
	.p2align	6, 0x0
	.amdhsa_kernel _ZN7rocprim17ROCPRIM_400000_NS6detail17trampoline_kernelINS0_14default_configENS1_38merge_sort_block_merge_config_selectorIlNS0_10empty_typeEEEZZNS1_27merge_sort_block_merge_implIS3_PlPS5_mZN2at6native12_GLOBAL__N_124unique_dim_cuda_templateItEESt5tupleIJNSA_6TensorESF_SF_EERKSF_lbbbEUlllE_EE10hipError_tT0_T1_T2_jT3_P12ihipStream_tbPNSt15iterator_traitsISL_E10value_typeEPNSR_ISM_E10value_typeEPSN_NS1_7vsmem_tEENKUlT_SL_SM_SN_E_clIS8_S8_S9_S9_EESK_S10_SL_SM_SN_EUlS10_E_NS1_11comp_targetILNS1_3genE8ELNS1_11target_archE1030ELNS1_3gpuE2ELNS1_3repE0EEENS1_48merge_mergepath_partition_config_static_selectorELNS0_4arch9wavefront6targetE1EEEvSM_
		.amdhsa_group_segment_fixed_size 0
		.amdhsa_private_segment_fixed_size 0
		.amdhsa_kernarg_size 56
		.amdhsa_user_sgpr_count 2
		.amdhsa_user_sgpr_dispatch_ptr 0
		.amdhsa_user_sgpr_queue_ptr 0
		.amdhsa_user_sgpr_kernarg_segment_ptr 1
		.amdhsa_user_sgpr_dispatch_id 0
		.amdhsa_user_sgpr_kernarg_preload_length 0
		.amdhsa_user_sgpr_kernarg_preload_offset 0
		.amdhsa_user_sgpr_private_segment_size 0
		.amdhsa_uses_dynamic_stack 0
		.amdhsa_enable_private_segment 0
		.amdhsa_system_sgpr_workgroup_id_x 1
		.amdhsa_system_sgpr_workgroup_id_y 0
		.amdhsa_system_sgpr_workgroup_id_z 0
		.amdhsa_system_sgpr_workgroup_info 0
		.amdhsa_system_vgpr_workitem_id 0
		.amdhsa_next_free_vgpr 1
		.amdhsa_next_free_sgpr 0
		.amdhsa_accum_offset 4
		.amdhsa_reserve_vcc 0
		.amdhsa_float_round_mode_32 0
		.amdhsa_float_round_mode_16_64 0
		.amdhsa_float_denorm_mode_32 3
		.amdhsa_float_denorm_mode_16_64 3
		.amdhsa_dx10_clamp 1
		.amdhsa_ieee_mode 1
		.amdhsa_fp16_overflow 0
		.amdhsa_tg_split 0
		.amdhsa_exception_fp_ieee_invalid_op 0
		.amdhsa_exception_fp_denorm_src 0
		.amdhsa_exception_fp_ieee_div_zero 0
		.amdhsa_exception_fp_ieee_overflow 0
		.amdhsa_exception_fp_ieee_underflow 0
		.amdhsa_exception_fp_ieee_inexact 0
		.amdhsa_exception_int_div_zero 0
	.end_amdhsa_kernel
	.section	.text._ZN7rocprim17ROCPRIM_400000_NS6detail17trampoline_kernelINS0_14default_configENS1_38merge_sort_block_merge_config_selectorIlNS0_10empty_typeEEEZZNS1_27merge_sort_block_merge_implIS3_PlPS5_mZN2at6native12_GLOBAL__N_124unique_dim_cuda_templateItEESt5tupleIJNSA_6TensorESF_SF_EERKSF_lbbbEUlllE_EE10hipError_tT0_T1_T2_jT3_P12ihipStream_tbPNSt15iterator_traitsISL_E10value_typeEPNSR_ISM_E10value_typeEPSN_NS1_7vsmem_tEENKUlT_SL_SM_SN_E_clIS8_S8_S9_S9_EESK_S10_SL_SM_SN_EUlS10_E_NS1_11comp_targetILNS1_3genE8ELNS1_11target_archE1030ELNS1_3gpuE2ELNS1_3repE0EEENS1_48merge_mergepath_partition_config_static_selectorELNS0_4arch9wavefront6targetE1EEEvSM_,"axG",@progbits,_ZN7rocprim17ROCPRIM_400000_NS6detail17trampoline_kernelINS0_14default_configENS1_38merge_sort_block_merge_config_selectorIlNS0_10empty_typeEEEZZNS1_27merge_sort_block_merge_implIS3_PlPS5_mZN2at6native12_GLOBAL__N_124unique_dim_cuda_templateItEESt5tupleIJNSA_6TensorESF_SF_EERKSF_lbbbEUlllE_EE10hipError_tT0_T1_T2_jT3_P12ihipStream_tbPNSt15iterator_traitsISL_E10value_typeEPNSR_ISM_E10value_typeEPSN_NS1_7vsmem_tEENKUlT_SL_SM_SN_E_clIS8_S8_S9_S9_EESK_S10_SL_SM_SN_EUlS10_E_NS1_11comp_targetILNS1_3genE8ELNS1_11target_archE1030ELNS1_3gpuE2ELNS1_3repE0EEENS1_48merge_mergepath_partition_config_static_selectorELNS0_4arch9wavefront6targetE1EEEvSM_,comdat
.Lfunc_end1386:
	.size	_ZN7rocprim17ROCPRIM_400000_NS6detail17trampoline_kernelINS0_14default_configENS1_38merge_sort_block_merge_config_selectorIlNS0_10empty_typeEEEZZNS1_27merge_sort_block_merge_implIS3_PlPS5_mZN2at6native12_GLOBAL__N_124unique_dim_cuda_templateItEESt5tupleIJNSA_6TensorESF_SF_EERKSF_lbbbEUlllE_EE10hipError_tT0_T1_T2_jT3_P12ihipStream_tbPNSt15iterator_traitsISL_E10value_typeEPNSR_ISM_E10value_typeEPSN_NS1_7vsmem_tEENKUlT_SL_SM_SN_E_clIS8_S8_S9_S9_EESK_S10_SL_SM_SN_EUlS10_E_NS1_11comp_targetILNS1_3genE8ELNS1_11target_archE1030ELNS1_3gpuE2ELNS1_3repE0EEENS1_48merge_mergepath_partition_config_static_selectorELNS0_4arch9wavefront6targetE1EEEvSM_, .Lfunc_end1386-_ZN7rocprim17ROCPRIM_400000_NS6detail17trampoline_kernelINS0_14default_configENS1_38merge_sort_block_merge_config_selectorIlNS0_10empty_typeEEEZZNS1_27merge_sort_block_merge_implIS3_PlPS5_mZN2at6native12_GLOBAL__N_124unique_dim_cuda_templateItEESt5tupleIJNSA_6TensorESF_SF_EERKSF_lbbbEUlllE_EE10hipError_tT0_T1_T2_jT3_P12ihipStream_tbPNSt15iterator_traitsISL_E10value_typeEPNSR_ISM_E10value_typeEPSN_NS1_7vsmem_tEENKUlT_SL_SM_SN_E_clIS8_S8_S9_S9_EESK_S10_SL_SM_SN_EUlS10_E_NS1_11comp_targetILNS1_3genE8ELNS1_11target_archE1030ELNS1_3gpuE2ELNS1_3repE0EEENS1_48merge_mergepath_partition_config_static_selectorELNS0_4arch9wavefront6targetE1EEEvSM_
                                        ; -- End function
	.section	.AMDGPU.csdata,"",@progbits
; Kernel info:
; codeLenInByte = 0
; NumSgprs: 6
; NumVgprs: 0
; NumAgprs: 0
; TotalNumVgprs: 0
; ScratchSize: 0
; MemoryBound: 0
; FloatMode: 240
; IeeeMode: 1
; LDSByteSize: 0 bytes/workgroup (compile time only)
; SGPRBlocks: 0
; VGPRBlocks: 0
; NumSGPRsForWavesPerEU: 6
; NumVGPRsForWavesPerEU: 1
; AccumOffset: 4
; Occupancy: 8
; WaveLimiterHint : 0
; COMPUTE_PGM_RSRC2:SCRATCH_EN: 0
; COMPUTE_PGM_RSRC2:USER_SGPR: 2
; COMPUTE_PGM_RSRC2:TRAP_HANDLER: 0
; COMPUTE_PGM_RSRC2:TGID_X_EN: 1
; COMPUTE_PGM_RSRC2:TGID_Y_EN: 0
; COMPUTE_PGM_RSRC2:TGID_Z_EN: 0
; COMPUTE_PGM_RSRC2:TIDIG_COMP_CNT: 0
; COMPUTE_PGM_RSRC3_GFX90A:ACCUM_OFFSET: 0
; COMPUTE_PGM_RSRC3_GFX90A:TG_SPLIT: 0
	.section	.text._ZN7rocprim17ROCPRIM_400000_NS6detail17trampoline_kernelINS0_14default_configENS1_38merge_sort_block_merge_config_selectorIlNS0_10empty_typeEEEZZNS1_27merge_sort_block_merge_implIS3_PlPS5_mZN2at6native12_GLOBAL__N_124unique_dim_cuda_templateItEESt5tupleIJNSA_6TensorESF_SF_EERKSF_lbbbEUlllE_EE10hipError_tT0_T1_T2_jT3_P12ihipStream_tbPNSt15iterator_traitsISL_E10value_typeEPNSR_ISM_E10value_typeEPSN_NS1_7vsmem_tEENKUlT_SL_SM_SN_E_clIS8_S8_S9_S9_EESK_S10_SL_SM_SN_EUlS10_E0_NS1_11comp_targetILNS1_3genE0ELNS1_11target_archE4294967295ELNS1_3gpuE0ELNS1_3repE0EEENS1_38merge_mergepath_config_static_selectorELNS0_4arch9wavefront6targetE1EEEvSM_,"axG",@progbits,_ZN7rocprim17ROCPRIM_400000_NS6detail17trampoline_kernelINS0_14default_configENS1_38merge_sort_block_merge_config_selectorIlNS0_10empty_typeEEEZZNS1_27merge_sort_block_merge_implIS3_PlPS5_mZN2at6native12_GLOBAL__N_124unique_dim_cuda_templateItEESt5tupleIJNSA_6TensorESF_SF_EERKSF_lbbbEUlllE_EE10hipError_tT0_T1_T2_jT3_P12ihipStream_tbPNSt15iterator_traitsISL_E10value_typeEPNSR_ISM_E10value_typeEPSN_NS1_7vsmem_tEENKUlT_SL_SM_SN_E_clIS8_S8_S9_S9_EESK_S10_SL_SM_SN_EUlS10_E0_NS1_11comp_targetILNS1_3genE0ELNS1_11target_archE4294967295ELNS1_3gpuE0ELNS1_3repE0EEENS1_38merge_mergepath_config_static_selectorELNS0_4arch9wavefront6targetE1EEEvSM_,comdat
	.globl	_ZN7rocprim17ROCPRIM_400000_NS6detail17trampoline_kernelINS0_14default_configENS1_38merge_sort_block_merge_config_selectorIlNS0_10empty_typeEEEZZNS1_27merge_sort_block_merge_implIS3_PlPS5_mZN2at6native12_GLOBAL__N_124unique_dim_cuda_templateItEESt5tupleIJNSA_6TensorESF_SF_EERKSF_lbbbEUlllE_EE10hipError_tT0_T1_T2_jT3_P12ihipStream_tbPNSt15iterator_traitsISL_E10value_typeEPNSR_ISM_E10value_typeEPSN_NS1_7vsmem_tEENKUlT_SL_SM_SN_E_clIS8_S8_S9_S9_EESK_S10_SL_SM_SN_EUlS10_E0_NS1_11comp_targetILNS1_3genE0ELNS1_11target_archE4294967295ELNS1_3gpuE0ELNS1_3repE0EEENS1_38merge_mergepath_config_static_selectorELNS0_4arch9wavefront6targetE1EEEvSM_ ; -- Begin function _ZN7rocprim17ROCPRIM_400000_NS6detail17trampoline_kernelINS0_14default_configENS1_38merge_sort_block_merge_config_selectorIlNS0_10empty_typeEEEZZNS1_27merge_sort_block_merge_implIS3_PlPS5_mZN2at6native12_GLOBAL__N_124unique_dim_cuda_templateItEESt5tupleIJNSA_6TensorESF_SF_EERKSF_lbbbEUlllE_EE10hipError_tT0_T1_T2_jT3_P12ihipStream_tbPNSt15iterator_traitsISL_E10value_typeEPNSR_ISM_E10value_typeEPSN_NS1_7vsmem_tEENKUlT_SL_SM_SN_E_clIS8_S8_S9_S9_EESK_S10_SL_SM_SN_EUlS10_E0_NS1_11comp_targetILNS1_3genE0ELNS1_11target_archE4294967295ELNS1_3gpuE0ELNS1_3repE0EEENS1_38merge_mergepath_config_static_selectorELNS0_4arch9wavefront6targetE1EEEvSM_
	.p2align	8
	.type	_ZN7rocprim17ROCPRIM_400000_NS6detail17trampoline_kernelINS0_14default_configENS1_38merge_sort_block_merge_config_selectorIlNS0_10empty_typeEEEZZNS1_27merge_sort_block_merge_implIS3_PlPS5_mZN2at6native12_GLOBAL__N_124unique_dim_cuda_templateItEESt5tupleIJNSA_6TensorESF_SF_EERKSF_lbbbEUlllE_EE10hipError_tT0_T1_T2_jT3_P12ihipStream_tbPNSt15iterator_traitsISL_E10value_typeEPNSR_ISM_E10value_typeEPSN_NS1_7vsmem_tEENKUlT_SL_SM_SN_E_clIS8_S8_S9_S9_EESK_S10_SL_SM_SN_EUlS10_E0_NS1_11comp_targetILNS1_3genE0ELNS1_11target_archE4294967295ELNS1_3gpuE0ELNS1_3repE0EEENS1_38merge_mergepath_config_static_selectorELNS0_4arch9wavefront6targetE1EEEvSM_,@function
_ZN7rocprim17ROCPRIM_400000_NS6detail17trampoline_kernelINS0_14default_configENS1_38merge_sort_block_merge_config_selectorIlNS0_10empty_typeEEEZZNS1_27merge_sort_block_merge_implIS3_PlPS5_mZN2at6native12_GLOBAL__N_124unique_dim_cuda_templateItEESt5tupleIJNSA_6TensorESF_SF_EERKSF_lbbbEUlllE_EE10hipError_tT0_T1_T2_jT3_P12ihipStream_tbPNSt15iterator_traitsISL_E10value_typeEPNSR_ISM_E10value_typeEPSN_NS1_7vsmem_tEENKUlT_SL_SM_SN_E_clIS8_S8_S9_S9_EESK_S10_SL_SM_SN_EUlS10_E0_NS1_11comp_targetILNS1_3genE0ELNS1_11target_archE4294967295ELNS1_3gpuE0ELNS1_3repE0EEENS1_38merge_mergepath_config_static_selectorELNS0_4arch9wavefront6targetE1EEEvSM_: ; @_ZN7rocprim17ROCPRIM_400000_NS6detail17trampoline_kernelINS0_14default_configENS1_38merge_sort_block_merge_config_selectorIlNS0_10empty_typeEEEZZNS1_27merge_sort_block_merge_implIS3_PlPS5_mZN2at6native12_GLOBAL__N_124unique_dim_cuda_templateItEESt5tupleIJNSA_6TensorESF_SF_EERKSF_lbbbEUlllE_EE10hipError_tT0_T1_T2_jT3_P12ihipStream_tbPNSt15iterator_traitsISL_E10value_typeEPNSR_ISM_E10value_typeEPSN_NS1_7vsmem_tEENKUlT_SL_SM_SN_E_clIS8_S8_S9_S9_EESK_S10_SL_SM_SN_EUlS10_E0_NS1_11comp_targetILNS1_3genE0ELNS1_11target_archE4294967295ELNS1_3gpuE0ELNS1_3repE0EEENS1_38merge_mergepath_config_static_selectorELNS0_4arch9wavefront6targetE1EEEvSM_
; %bb.0:
	.section	.rodata,"a",@progbits
	.p2align	6, 0x0
	.amdhsa_kernel _ZN7rocprim17ROCPRIM_400000_NS6detail17trampoline_kernelINS0_14default_configENS1_38merge_sort_block_merge_config_selectorIlNS0_10empty_typeEEEZZNS1_27merge_sort_block_merge_implIS3_PlPS5_mZN2at6native12_GLOBAL__N_124unique_dim_cuda_templateItEESt5tupleIJNSA_6TensorESF_SF_EERKSF_lbbbEUlllE_EE10hipError_tT0_T1_T2_jT3_P12ihipStream_tbPNSt15iterator_traitsISL_E10value_typeEPNSR_ISM_E10value_typeEPSN_NS1_7vsmem_tEENKUlT_SL_SM_SN_E_clIS8_S8_S9_S9_EESK_S10_SL_SM_SN_EUlS10_E0_NS1_11comp_targetILNS1_3genE0ELNS1_11target_archE4294967295ELNS1_3gpuE0ELNS1_3repE0EEENS1_38merge_mergepath_config_static_selectorELNS0_4arch9wavefront6targetE1EEEvSM_
		.amdhsa_group_segment_fixed_size 0
		.amdhsa_private_segment_fixed_size 0
		.amdhsa_kernarg_size 88
		.amdhsa_user_sgpr_count 2
		.amdhsa_user_sgpr_dispatch_ptr 0
		.amdhsa_user_sgpr_queue_ptr 0
		.amdhsa_user_sgpr_kernarg_segment_ptr 1
		.amdhsa_user_sgpr_dispatch_id 0
		.amdhsa_user_sgpr_kernarg_preload_length 0
		.amdhsa_user_sgpr_kernarg_preload_offset 0
		.amdhsa_user_sgpr_private_segment_size 0
		.amdhsa_uses_dynamic_stack 0
		.amdhsa_enable_private_segment 0
		.amdhsa_system_sgpr_workgroup_id_x 1
		.amdhsa_system_sgpr_workgroup_id_y 0
		.amdhsa_system_sgpr_workgroup_id_z 0
		.amdhsa_system_sgpr_workgroup_info 0
		.amdhsa_system_vgpr_workitem_id 0
		.amdhsa_next_free_vgpr 1
		.amdhsa_next_free_sgpr 0
		.amdhsa_accum_offset 4
		.amdhsa_reserve_vcc 0
		.amdhsa_float_round_mode_32 0
		.amdhsa_float_round_mode_16_64 0
		.amdhsa_float_denorm_mode_32 3
		.amdhsa_float_denorm_mode_16_64 3
		.amdhsa_dx10_clamp 1
		.amdhsa_ieee_mode 1
		.amdhsa_fp16_overflow 0
		.amdhsa_tg_split 0
		.amdhsa_exception_fp_ieee_invalid_op 0
		.amdhsa_exception_fp_denorm_src 0
		.amdhsa_exception_fp_ieee_div_zero 0
		.amdhsa_exception_fp_ieee_overflow 0
		.amdhsa_exception_fp_ieee_underflow 0
		.amdhsa_exception_fp_ieee_inexact 0
		.amdhsa_exception_int_div_zero 0
	.end_amdhsa_kernel
	.section	.text._ZN7rocprim17ROCPRIM_400000_NS6detail17trampoline_kernelINS0_14default_configENS1_38merge_sort_block_merge_config_selectorIlNS0_10empty_typeEEEZZNS1_27merge_sort_block_merge_implIS3_PlPS5_mZN2at6native12_GLOBAL__N_124unique_dim_cuda_templateItEESt5tupleIJNSA_6TensorESF_SF_EERKSF_lbbbEUlllE_EE10hipError_tT0_T1_T2_jT3_P12ihipStream_tbPNSt15iterator_traitsISL_E10value_typeEPNSR_ISM_E10value_typeEPSN_NS1_7vsmem_tEENKUlT_SL_SM_SN_E_clIS8_S8_S9_S9_EESK_S10_SL_SM_SN_EUlS10_E0_NS1_11comp_targetILNS1_3genE0ELNS1_11target_archE4294967295ELNS1_3gpuE0ELNS1_3repE0EEENS1_38merge_mergepath_config_static_selectorELNS0_4arch9wavefront6targetE1EEEvSM_,"axG",@progbits,_ZN7rocprim17ROCPRIM_400000_NS6detail17trampoline_kernelINS0_14default_configENS1_38merge_sort_block_merge_config_selectorIlNS0_10empty_typeEEEZZNS1_27merge_sort_block_merge_implIS3_PlPS5_mZN2at6native12_GLOBAL__N_124unique_dim_cuda_templateItEESt5tupleIJNSA_6TensorESF_SF_EERKSF_lbbbEUlllE_EE10hipError_tT0_T1_T2_jT3_P12ihipStream_tbPNSt15iterator_traitsISL_E10value_typeEPNSR_ISM_E10value_typeEPSN_NS1_7vsmem_tEENKUlT_SL_SM_SN_E_clIS8_S8_S9_S9_EESK_S10_SL_SM_SN_EUlS10_E0_NS1_11comp_targetILNS1_3genE0ELNS1_11target_archE4294967295ELNS1_3gpuE0ELNS1_3repE0EEENS1_38merge_mergepath_config_static_selectorELNS0_4arch9wavefront6targetE1EEEvSM_,comdat
.Lfunc_end1387:
	.size	_ZN7rocprim17ROCPRIM_400000_NS6detail17trampoline_kernelINS0_14default_configENS1_38merge_sort_block_merge_config_selectorIlNS0_10empty_typeEEEZZNS1_27merge_sort_block_merge_implIS3_PlPS5_mZN2at6native12_GLOBAL__N_124unique_dim_cuda_templateItEESt5tupleIJNSA_6TensorESF_SF_EERKSF_lbbbEUlllE_EE10hipError_tT0_T1_T2_jT3_P12ihipStream_tbPNSt15iterator_traitsISL_E10value_typeEPNSR_ISM_E10value_typeEPSN_NS1_7vsmem_tEENKUlT_SL_SM_SN_E_clIS8_S8_S9_S9_EESK_S10_SL_SM_SN_EUlS10_E0_NS1_11comp_targetILNS1_3genE0ELNS1_11target_archE4294967295ELNS1_3gpuE0ELNS1_3repE0EEENS1_38merge_mergepath_config_static_selectorELNS0_4arch9wavefront6targetE1EEEvSM_, .Lfunc_end1387-_ZN7rocprim17ROCPRIM_400000_NS6detail17trampoline_kernelINS0_14default_configENS1_38merge_sort_block_merge_config_selectorIlNS0_10empty_typeEEEZZNS1_27merge_sort_block_merge_implIS3_PlPS5_mZN2at6native12_GLOBAL__N_124unique_dim_cuda_templateItEESt5tupleIJNSA_6TensorESF_SF_EERKSF_lbbbEUlllE_EE10hipError_tT0_T1_T2_jT3_P12ihipStream_tbPNSt15iterator_traitsISL_E10value_typeEPNSR_ISM_E10value_typeEPSN_NS1_7vsmem_tEENKUlT_SL_SM_SN_E_clIS8_S8_S9_S9_EESK_S10_SL_SM_SN_EUlS10_E0_NS1_11comp_targetILNS1_3genE0ELNS1_11target_archE4294967295ELNS1_3gpuE0ELNS1_3repE0EEENS1_38merge_mergepath_config_static_selectorELNS0_4arch9wavefront6targetE1EEEvSM_
                                        ; -- End function
	.section	.AMDGPU.csdata,"",@progbits
; Kernel info:
; codeLenInByte = 0
; NumSgprs: 6
; NumVgprs: 0
; NumAgprs: 0
; TotalNumVgprs: 0
; ScratchSize: 0
; MemoryBound: 0
; FloatMode: 240
; IeeeMode: 1
; LDSByteSize: 0 bytes/workgroup (compile time only)
; SGPRBlocks: 0
; VGPRBlocks: 0
; NumSGPRsForWavesPerEU: 6
; NumVGPRsForWavesPerEU: 1
; AccumOffset: 4
; Occupancy: 8
; WaveLimiterHint : 0
; COMPUTE_PGM_RSRC2:SCRATCH_EN: 0
; COMPUTE_PGM_RSRC2:USER_SGPR: 2
; COMPUTE_PGM_RSRC2:TRAP_HANDLER: 0
; COMPUTE_PGM_RSRC2:TGID_X_EN: 1
; COMPUTE_PGM_RSRC2:TGID_Y_EN: 0
; COMPUTE_PGM_RSRC2:TGID_Z_EN: 0
; COMPUTE_PGM_RSRC2:TIDIG_COMP_CNT: 0
; COMPUTE_PGM_RSRC3_GFX90A:ACCUM_OFFSET: 0
; COMPUTE_PGM_RSRC3_GFX90A:TG_SPLIT: 0
	.section	.text._ZN7rocprim17ROCPRIM_400000_NS6detail17trampoline_kernelINS0_14default_configENS1_38merge_sort_block_merge_config_selectorIlNS0_10empty_typeEEEZZNS1_27merge_sort_block_merge_implIS3_PlPS5_mZN2at6native12_GLOBAL__N_124unique_dim_cuda_templateItEESt5tupleIJNSA_6TensorESF_SF_EERKSF_lbbbEUlllE_EE10hipError_tT0_T1_T2_jT3_P12ihipStream_tbPNSt15iterator_traitsISL_E10value_typeEPNSR_ISM_E10value_typeEPSN_NS1_7vsmem_tEENKUlT_SL_SM_SN_E_clIS8_S8_S9_S9_EESK_S10_SL_SM_SN_EUlS10_E0_NS1_11comp_targetILNS1_3genE10ELNS1_11target_archE1201ELNS1_3gpuE5ELNS1_3repE0EEENS1_38merge_mergepath_config_static_selectorELNS0_4arch9wavefront6targetE1EEEvSM_,"axG",@progbits,_ZN7rocprim17ROCPRIM_400000_NS6detail17trampoline_kernelINS0_14default_configENS1_38merge_sort_block_merge_config_selectorIlNS0_10empty_typeEEEZZNS1_27merge_sort_block_merge_implIS3_PlPS5_mZN2at6native12_GLOBAL__N_124unique_dim_cuda_templateItEESt5tupleIJNSA_6TensorESF_SF_EERKSF_lbbbEUlllE_EE10hipError_tT0_T1_T2_jT3_P12ihipStream_tbPNSt15iterator_traitsISL_E10value_typeEPNSR_ISM_E10value_typeEPSN_NS1_7vsmem_tEENKUlT_SL_SM_SN_E_clIS8_S8_S9_S9_EESK_S10_SL_SM_SN_EUlS10_E0_NS1_11comp_targetILNS1_3genE10ELNS1_11target_archE1201ELNS1_3gpuE5ELNS1_3repE0EEENS1_38merge_mergepath_config_static_selectorELNS0_4arch9wavefront6targetE1EEEvSM_,comdat
	.globl	_ZN7rocprim17ROCPRIM_400000_NS6detail17trampoline_kernelINS0_14default_configENS1_38merge_sort_block_merge_config_selectorIlNS0_10empty_typeEEEZZNS1_27merge_sort_block_merge_implIS3_PlPS5_mZN2at6native12_GLOBAL__N_124unique_dim_cuda_templateItEESt5tupleIJNSA_6TensorESF_SF_EERKSF_lbbbEUlllE_EE10hipError_tT0_T1_T2_jT3_P12ihipStream_tbPNSt15iterator_traitsISL_E10value_typeEPNSR_ISM_E10value_typeEPSN_NS1_7vsmem_tEENKUlT_SL_SM_SN_E_clIS8_S8_S9_S9_EESK_S10_SL_SM_SN_EUlS10_E0_NS1_11comp_targetILNS1_3genE10ELNS1_11target_archE1201ELNS1_3gpuE5ELNS1_3repE0EEENS1_38merge_mergepath_config_static_selectorELNS0_4arch9wavefront6targetE1EEEvSM_ ; -- Begin function _ZN7rocprim17ROCPRIM_400000_NS6detail17trampoline_kernelINS0_14default_configENS1_38merge_sort_block_merge_config_selectorIlNS0_10empty_typeEEEZZNS1_27merge_sort_block_merge_implIS3_PlPS5_mZN2at6native12_GLOBAL__N_124unique_dim_cuda_templateItEESt5tupleIJNSA_6TensorESF_SF_EERKSF_lbbbEUlllE_EE10hipError_tT0_T1_T2_jT3_P12ihipStream_tbPNSt15iterator_traitsISL_E10value_typeEPNSR_ISM_E10value_typeEPSN_NS1_7vsmem_tEENKUlT_SL_SM_SN_E_clIS8_S8_S9_S9_EESK_S10_SL_SM_SN_EUlS10_E0_NS1_11comp_targetILNS1_3genE10ELNS1_11target_archE1201ELNS1_3gpuE5ELNS1_3repE0EEENS1_38merge_mergepath_config_static_selectorELNS0_4arch9wavefront6targetE1EEEvSM_
	.p2align	8
	.type	_ZN7rocprim17ROCPRIM_400000_NS6detail17trampoline_kernelINS0_14default_configENS1_38merge_sort_block_merge_config_selectorIlNS0_10empty_typeEEEZZNS1_27merge_sort_block_merge_implIS3_PlPS5_mZN2at6native12_GLOBAL__N_124unique_dim_cuda_templateItEESt5tupleIJNSA_6TensorESF_SF_EERKSF_lbbbEUlllE_EE10hipError_tT0_T1_T2_jT3_P12ihipStream_tbPNSt15iterator_traitsISL_E10value_typeEPNSR_ISM_E10value_typeEPSN_NS1_7vsmem_tEENKUlT_SL_SM_SN_E_clIS8_S8_S9_S9_EESK_S10_SL_SM_SN_EUlS10_E0_NS1_11comp_targetILNS1_3genE10ELNS1_11target_archE1201ELNS1_3gpuE5ELNS1_3repE0EEENS1_38merge_mergepath_config_static_selectorELNS0_4arch9wavefront6targetE1EEEvSM_,@function
_ZN7rocprim17ROCPRIM_400000_NS6detail17trampoline_kernelINS0_14default_configENS1_38merge_sort_block_merge_config_selectorIlNS0_10empty_typeEEEZZNS1_27merge_sort_block_merge_implIS3_PlPS5_mZN2at6native12_GLOBAL__N_124unique_dim_cuda_templateItEESt5tupleIJNSA_6TensorESF_SF_EERKSF_lbbbEUlllE_EE10hipError_tT0_T1_T2_jT3_P12ihipStream_tbPNSt15iterator_traitsISL_E10value_typeEPNSR_ISM_E10value_typeEPSN_NS1_7vsmem_tEENKUlT_SL_SM_SN_E_clIS8_S8_S9_S9_EESK_S10_SL_SM_SN_EUlS10_E0_NS1_11comp_targetILNS1_3genE10ELNS1_11target_archE1201ELNS1_3gpuE5ELNS1_3repE0EEENS1_38merge_mergepath_config_static_selectorELNS0_4arch9wavefront6targetE1EEEvSM_: ; @_ZN7rocprim17ROCPRIM_400000_NS6detail17trampoline_kernelINS0_14default_configENS1_38merge_sort_block_merge_config_selectorIlNS0_10empty_typeEEEZZNS1_27merge_sort_block_merge_implIS3_PlPS5_mZN2at6native12_GLOBAL__N_124unique_dim_cuda_templateItEESt5tupleIJNSA_6TensorESF_SF_EERKSF_lbbbEUlllE_EE10hipError_tT0_T1_T2_jT3_P12ihipStream_tbPNSt15iterator_traitsISL_E10value_typeEPNSR_ISM_E10value_typeEPSN_NS1_7vsmem_tEENKUlT_SL_SM_SN_E_clIS8_S8_S9_S9_EESK_S10_SL_SM_SN_EUlS10_E0_NS1_11comp_targetILNS1_3genE10ELNS1_11target_archE1201ELNS1_3gpuE5ELNS1_3repE0EEENS1_38merge_mergepath_config_static_selectorELNS0_4arch9wavefront6targetE1EEEvSM_
; %bb.0:
	.section	.rodata,"a",@progbits
	.p2align	6, 0x0
	.amdhsa_kernel _ZN7rocprim17ROCPRIM_400000_NS6detail17trampoline_kernelINS0_14default_configENS1_38merge_sort_block_merge_config_selectorIlNS0_10empty_typeEEEZZNS1_27merge_sort_block_merge_implIS3_PlPS5_mZN2at6native12_GLOBAL__N_124unique_dim_cuda_templateItEESt5tupleIJNSA_6TensorESF_SF_EERKSF_lbbbEUlllE_EE10hipError_tT0_T1_T2_jT3_P12ihipStream_tbPNSt15iterator_traitsISL_E10value_typeEPNSR_ISM_E10value_typeEPSN_NS1_7vsmem_tEENKUlT_SL_SM_SN_E_clIS8_S8_S9_S9_EESK_S10_SL_SM_SN_EUlS10_E0_NS1_11comp_targetILNS1_3genE10ELNS1_11target_archE1201ELNS1_3gpuE5ELNS1_3repE0EEENS1_38merge_mergepath_config_static_selectorELNS0_4arch9wavefront6targetE1EEEvSM_
		.amdhsa_group_segment_fixed_size 0
		.amdhsa_private_segment_fixed_size 0
		.amdhsa_kernarg_size 88
		.amdhsa_user_sgpr_count 2
		.amdhsa_user_sgpr_dispatch_ptr 0
		.amdhsa_user_sgpr_queue_ptr 0
		.amdhsa_user_sgpr_kernarg_segment_ptr 1
		.amdhsa_user_sgpr_dispatch_id 0
		.amdhsa_user_sgpr_kernarg_preload_length 0
		.amdhsa_user_sgpr_kernarg_preload_offset 0
		.amdhsa_user_sgpr_private_segment_size 0
		.amdhsa_uses_dynamic_stack 0
		.amdhsa_enable_private_segment 0
		.amdhsa_system_sgpr_workgroup_id_x 1
		.amdhsa_system_sgpr_workgroup_id_y 0
		.amdhsa_system_sgpr_workgroup_id_z 0
		.amdhsa_system_sgpr_workgroup_info 0
		.amdhsa_system_vgpr_workitem_id 0
		.amdhsa_next_free_vgpr 1
		.amdhsa_next_free_sgpr 0
		.amdhsa_accum_offset 4
		.amdhsa_reserve_vcc 0
		.amdhsa_float_round_mode_32 0
		.amdhsa_float_round_mode_16_64 0
		.amdhsa_float_denorm_mode_32 3
		.amdhsa_float_denorm_mode_16_64 3
		.amdhsa_dx10_clamp 1
		.amdhsa_ieee_mode 1
		.amdhsa_fp16_overflow 0
		.amdhsa_tg_split 0
		.amdhsa_exception_fp_ieee_invalid_op 0
		.amdhsa_exception_fp_denorm_src 0
		.amdhsa_exception_fp_ieee_div_zero 0
		.amdhsa_exception_fp_ieee_overflow 0
		.amdhsa_exception_fp_ieee_underflow 0
		.amdhsa_exception_fp_ieee_inexact 0
		.amdhsa_exception_int_div_zero 0
	.end_amdhsa_kernel
	.section	.text._ZN7rocprim17ROCPRIM_400000_NS6detail17trampoline_kernelINS0_14default_configENS1_38merge_sort_block_merge_config_selectorIlNS0_10empty_typeEEEZZNS1_27merge_sort_block_merge_implIS3_PlPS5_mZN2at6native12_GLOBAL__N_124unique_dim_cuda_templateItEESt5tupleIJNSA_6TensorESF_SF_EERKSF_lbbbEUlllE_EE10hipError_tT0_T1_T2_jT3_P12ihipStream_tbPNSt15iterator_traitsISL_E10value_typeEPNSR_ISM_E10value_typeEPSN_NS1_7vsmem_tEENKUlT_SL_SM_SN_E_clIS8_S8_S9_S9_EESK_S10_SL_SM_SN_EUlS10_E0_NS1_11comp_targetILNS1_3genE10ELNS1_11target_archE1201ELNS1_3gpuE5ELNS1_3repE0EEENS1_38merge_mergepath_config_static_selectorELNS0_4arch9wavefront6targetE1EEEvSM_,"axG",@progbits,_ZN7rocprim17ROCPRIM_400000_NS6detail17trampoline_kernelINS0_14default_configENS1_38merge_sort_block_merge_config_selectorIlNS0_10empty_typeEEEZZNS1_27merge_sort_block_merge_implIS3_PlPS5_mZN2at6native12_GLOBAL__N_124unique_dim_cuda_templateItEESt5tupleIJNSA_6TensorESF_SF_EERKSF_lbbbEUlllE_EE10hipError_tT0_T1_T2_jT3_P12ihipStream_tbPNSt15iterator_traitsISL_E10value_typeEPNSR_ISM_E10value_typeEPSN_NS1_7vsmem_tEENKUlT_SL_SM_SN_E_clIS8_S8_S9_S9_EESK_S10_SL_SM_SN_EUlS10_E0_NS1_11comp_targetILNS1_3genE10ELNS1_11target_archE1201ELNS1_3gpuE5ELNS1_3repE0EEENS1_38merge_mergepath_config_static_selectorELNS0_4arch9wavefront6targetE1EEEvSM_,comdat
.Lfunc_end1388:
	.size	_ZN7rocprim17ROCPRIM_400000_NS6detail17trampoline_kernelINS0_14default_configENS1_38merge_sort_block_merge_config_selectorIlNS0_10empty_typeEEEZZNS1_27merge_sort_block_merge_implIS3_PlPS5_mZN2at6native12_GLOBAL__N_124unique_dim_cuda_templateItEESt5tupleIJNSA_6TensorESF_SF_EERKSF_lbbbEUlllE_EE10hipError_tT0_T1_T2_jT3_P12ihipStream_tbPNSt15iterator_traitsISL_E10value_typeEPNSR_ISM_E10value_typeEPSN_NS1_7vsmem_tEENKUlT_SL_SM_SN_E_clIS8_S8_S9_S9_EESK_S10_SL_SM_SN_EUlS10_E0_NS1_11comp_targetILNS1_3genE10ELNS1_11target_archE1201ELNS1_3gpuE5ELNS1_3repE0EEENS1_38merge_mergepath_config_static_selectorELNS0_4arch9wavefront6targetE1EEEvSM_, .Lfunc_end1388-_ZN7rocprim17ROCPRIM_400000_NS6detail17trampoline_kernelINS0_14default_configENS1_38merge_sort_block_merge_config_selectorIlNS0_10empty_typeEEEZZNS1_27merge_sort_block_merge_implIS3_PlPS5_mZN2at6native12_GLOBAL__N_124unique_dim_cuda_templateItEESt5tupleIJNSA_6TensorESF_SF_EERKSF_lbbbEUlllE_EE10hipError_tT0_T1_T2_jT3_P12ihipStream_tbPNSt15iterator_traitsISL_E10value_typeEPNSR_ISM_E10value_typeEPSN_NS1_7vsmem_tEENKUlT_SL_SM_SN_E_clIS8_S8_S9_S9_EESK_S10_SL_SM_SN_EUlS10_E0_NS1_11comp_targetILNS1_3genE10ELNS1_11target_archE1201ELNS1_3gpuE5ELNS1_3repE0EEENS1_38merge_mergepath_config_static_selectorELNS0_4arch9wavefront6targetE1EEEvSM_
                                        ; -- End function
	.section	.AMDGPU.csdata,"",@progbits
; Kernel info:
; codeLenInByte = 0
; NumSgprs: 6
; NumVgprs: 0
; NumAgprs: 0
; TotalNumVgprs: 0
; ScratchSize: 0
; MemoryBound: 0
; FloatMode: 240
; IeeeMode: 1
; LDSByteSize: 0 bytes/workgroup (compile time only)
; SGPRBlocks: 0
; VGPRBlocks: 0
; NumSGPRsForWavesPerEU: 6
; NumVGPRsForWavesPerEU: 1
; AccumOffset: 4
; Occupancy: 8
; WaveLimiterHint : 0
; COMPUTE_PGM_RSRC2:SCRATCH_EN: 0
; COMPUTE_PGM_RSRC2:USER_SGPR: 2
; COMPUTE_PGM_RSRC2:TRAP_HANDLER: 0
; COMPUTE_PGM_RSRC2:TGID_X_EN: 1
; COMPUTE_PGM_RSRC2:TGID_Y_EN: 0
; COMPUTE_PGM_RSRC2:TGID_Z_EN: 0
; COMPUTE_PGM_RSRC2:TIDIG_COMP_CNT: 0
; COMPUTE_PGM_RSRC3_GFX90A:ACCUM_OFFSET: 0
; COMPUTE_PGM_RSRC3_GFX90A:TG_SPLIT: 0
	.section	.text._ZN7rocprim17ROCPRIM_400000_NS6detail17trampoline_kernelINS0_14default_configENS1_38merge_sort_block_merge_config_selectorIlNS0_10empty_typeEEEZZNS1_27merge_sort_block_merge_implIS3_PlPS5_mZN2at6native12_GLOBAL__N_124unique_dim_cuda_templateItEESt5tupleIJNSA_6TensorESF_SF_EERKSF_lbbbEUlllE_EE10hipError_tT0_T1_T2_jT3_P12ihipStream_tbPNSt15iterator_traitsISL_E10value_typeEPNSR_ISM_E10value_typeEPSN_NS1_7vsmem_tEENKUlT_SL_SM_SN_E_clIS8_S8_S9_S9_EESK_S10_SL_SM_SN_EUlS10_E0_NS1_11comp_targetILNS1_3genE5ELNS1_11target_archE942ELNS1_3gpuE9ELNS1_3repE0EEENS1_38merge_mergepath_config_static_selectorELNS0_4arch9wavefront6targetE1EEEvSM_,"axG",@progbits,_ZN7rocprim17ROCPRIM_400000_NS6detail17trampoline_kernelINS0_14default_configENS1_38merge_sort_block_merge_config_selectorIlNS0_10empty_typeEEEZZNS1_27merge_sort_block_merge_implIS3_PlPS5_mZN2at6native12_GLOBAL__N_124unique_dim_cuda_templateItEESt5tupleIJNSA_6TensorESF_SF_EERKSF_lbbbEUlllE_EE10hipError_tT0_T1_T2_jT3_P12ihipStream_tbPNSt15iterator_traitsISL_E10value_typeEPNSR_ISM_E10value_typeEPSN_NS1_7vsmem_tEENKUlT_SL_SM_SN_E_clIS8_S8_S9_S9_EESK_S10_SL_SM_SN_EUlS10_E0_NS1_11comp_targetILNS1_3genE5ELNS1_11target_archE942ELNS1_3gpuE9ELNS1_3repE0EEENS1_38merge_mergepath_config_static_selectorELNS0_4arch9wavefront6targetE1EEEvSM_,comdat
	.globl	_ZN7rocprim17ROCPRIM_400000_NS6detail17trampoline_kernelINS0_14default_configENS1_38merge_sort_block_merge_config_selectorIlNS0_10empty_typeEEEZZNS1_27merge_sort_block_merge_implIS3_PlPS5_mZN2at6native12_GLOBAL__N_124unique_dim_cuda_templateItEESt5tupleIJNSA_6TensorESF_SF_EERKSF_lbbbEUlllE_EE10hipError_tT0_T1_T2_jT3_P12ihipStream_tbPNSt15iterator_traitsISL_E10value_typeEPNSR_ISM_E10value_typeEPSN_NS1_7vsmem_tEENKUlT_SL_SM_SN_E_clIS8_S8_S9_S9_EESK_S10_SL_SM_SN_EUlS10_E0_NS1_11comp_targetILNS1_3genE5ELNS1_11target_archE942ELNS1_3gpuE9ELNS1_3repE0EEENS1_38merge_mergepath_config_static_selectorELNS0_4arch9wavefront6targetE1EEEvSM_ ; -- Begin function _ZN7rocprim17ROCPRIM_400000_NS6detail17trampoline_kernelINS0_14default_configENS1_38merge_sort_block_merge_config_selectorIlNS0_10empty_typeEEEZZNS1_27merge_sort_block_merge_implIS3_PlPS5_mZN2at6native12_GLOBAL__N_124unique_dim_cuda_templateItEESt5tupleIJNSA_6TensorESF_SF_EERKSF_lbbbEUlllE_EE10hipError_tT0_T1_T2_jT3_P12ihipStream_tbPNSt15iterator_traitsISL_E10value_typeEPNSR_ISM_E10value_typeEPSN_NS1_7vsmem_tEENKUlT_SL_SM_SN_E_clIS8_S8_S9_S9_EESK_S10_SL_SM_SN_EUlS10_E0_NS1_11comp_targetILNS1_3genE5ELNS1_11target_archE942ELNS1_3gpuE9ELNS1_3repE0EEENS1_38merge_mergepath_config_static_selectorELNS0_4arch9wavefront6targetE1EEEvSM_
	.p2align	8
	.type	_ZN7rocprim17ROCPRIM_400000_NS6detail17trampoline_kernelINS0_14default_configENS1_38merge_sort_block_merge_config_selectorIlNS0_10empty_typeEEEZZNS1_27merge_sort_block_merge_implIS3_PlPS5_mZN2at6native12_GLOBAL__N_124unique_dim_cuda_templateItEESt5tupleIJNSA_6TensorESF_SF_EERKSF_lbbbEUlllE_EE10hipError_tT0_T1_T2_jT3_P12ihipStream_tbPNSt15iterator_traitsISL_E10value_typeEPNSR_ISM_E10value_typeEPSN_NS1_7vsmem_tEENKUlT_SL_SM_SN_E_clIS8_S8_S9_S9_EESK_S10_SL_SM_SN_EUlS10_E0_NS1_11comp_targetILNS1_3genE5ELNS1_11target_archE942ELNS1_3gpuE9ELNS1_3repE0EEENS1_38merge_mergepath_config_static_selectorELNS0_4arch9wavefront6targetE1EEEvSM_,@function
_ZN7rocprim17ROCPRIM_400000_NS6detail17trampoline_kernelINS0_14default_configENS1_38merge_sort_block_merge_config_selectorIlNS0_10empty_typeEEEZZNS1_27merge_sort_block_merge_implIS3_PlPS5_mZN2at6native12_GLOBAL__N_124unique_dim_cuda_templateItEESt5tupleIJNSA_6TensorESF_SF_EERKSF_lbbbEUlllE_EE10hipError_tT0_T1_T2_jT3_P12ihipStream_tbPNSt15iterator_traitsISL_E10value_typeEPNSR_ISM_E10value_typeEPSN_NS1_7vsmem_tEENKUlT_SL_SM_SN_E_clIS8_S8_S9_S9_EESK_S10_SL_SM_SN_EUlS10_E0_NS1_11comp_targetILNS1_3genE5ELNS1_11target_archE942ELNS1_3gpuE9ELNS1_3repE0EEENS1_38merge_mergepath_config_static_selectorELNS0_4arch9wavefront6targetE1EEEvSM_: ; @_ZN7rocprim17ROCPRIM_400000_NS6detail17trampoline_kernelINS0_14default_configENS1_38merge_sort_block_merge_config_selectorIlNS0_10empty_typeEEEZZNS1_27merge_sort_block_merge_implIS3_PlPS5_mZN2at6native12_GLOBAL__N_124unique_dim_cuda_templateItEESt5tupleIJNSA_6TensorESF_SF_EERKSF_lbbbEUlllE_EE10hipError_tT0_T1_T2_jT3_P12ihipStream_tbPNSt15iterator_traitsISL_E10value_typeEPNSR_ISM_E10value_typeEPSN_NS1_7vsmem_tEENKUlT_SL_SM_SN_E_clIS8_S8_S9_S9_EESK_S10_SL_SM_SN_EUlS10_E0_NS1_11comp_targetILNS1_3genE5ELNS1_11target_archE942ELNS1_3gpuE9ELNS1_3repE0EEENS1_38merge_mergepath_config_static_selectorELNS0_4arch9wavefront6targetE1EEEvSM_
; %bb.0:
	s_load_dwordx2 s[24:25], s[0:1], 0x58
	s_load_dword s5, s[0:1], 0x38
	s_add_u32 s22, s0, 0x58
	s_addc_u32 s23, s1, 0
	s_waitcnt lgkmcnt(0)
	s_mul_i32 s4, s25, s4
	s_add_i32 s3, s4, s3
	s_mul_i32 s3, s3, s24
	s_add_i32 s20, s3, s2
	s_cmp_ge_u32 s20, s5
	s_cbranch_scc1 .LBB1389_138
; %bb.1:
	s_load_dwordx2 s[4:5], s[0:1], 0x50
	s_load_dwordx4 s[12:15], s[0:1], 0x8
	s_load_dwordx4 s[8:11], s[0:1], 0x28
	s_mov_b32 s21, 0
	s_lshl_b64 s[6:7], s[20:21], 3
	s_waitcnt lgkmcnt(0)
	s_add_u32 s4, s4, s6
	s_addc_u32 s5, s5, s7
	v_mov_b32_e32 v1, s10
	v_alignbit_b32 v1, s11, v1, 9
	v_and_b32_e32 v1, -2, v1
	v_sub_u32_e32 v1, 0, v1
	s_load_dwordx4 s[16:19], s[4:5], 0x0
	v_and_b32_e32 v2, s20, v1
	v_mov_b32_e32 v3, 0
	v_lshlrev_b64 v[6:7], 10, v[2:3]
	s_lshl_b64 s[6:7], s[20:21], 10
	v_mov_b32_e32 v5, s7
	v_sub_co_u32_e32 v4, vcc, s6, v6
	v_lshlrev_b64 v[2:3], 11, v[2:3]
	s_nop 0
	v_subb_co_u32_e32 v5, vcc, v5, v7, vcc
	v_lshl_add_u64 v[8:9], v[2:3], 0, s[10:11]
	v_lshl_add_u64 v[2:3], v[8:9], 0, v[4:5]
	s_waitcnt lgkmcnt(0)
	v_mov_b32_e32 v5, s19
	v_subrev_co_u32_e32 v4, vcc, s18, v2
	s_mov_b64 s[4:5], 0x400
	s_nop 0
	v_subb_co_u32_e32 v5, vcc, v3, v5, vcc
	v_or_b32_e32 v1, s20, v1
	v_lshl_add_u64 v[10:11], v[4:5], 0, s[4:5]
	v_cmp_ne_u32_e32 vcc, -1, v1
	v_cmp_lt_u64_e64 s[4:5], s[8:9], v[10:11]
	s_cbranch_vccz .LBB1389_3
; %bb.2:
	v_mov_b32_e32 v1, s8
	v_mov_b64_e32 v[4:5], s[18:19]
	v_cndmask_b32_e64 v6, v10, v1, s[4:5]
	s_branch .LBB1389_4
.LBB1389_3:
	v_sub_co_u32_e32 v6, vcc, v8, v6
	v_mov_b32_e32 v1, s8
	s_nop 0
	v_subb_co_u32_e32 v7, vcc, v9, v7, vcc
	v_cmp_lt_u64_e32 vcc, s[8:9], v[6:7]
	s_nop 1
	v_cndmask_b32_e32 v4, v6, v1, vcc
	v_lshl_add_u64 v[6:7], v[6:7], 0, s[10:11]
	v_cmp_lt_u64_e32 vcc, s[8:9], v[6:7]
	s_nop 1
	v_cndmask_b32_e32 v6, v6, v1, vcc
.LBB1389_4:
	s_lshr_b64 s[18:19], s[8:9], 10
	s_cmp_lg_u64 s[18:19], s[20:21]
	s_cselect_b64 s[10:11], -1, 0
	s_lshl_b64 s[4:5], s[16:17], 3
	s_add_u32 s4, s12, s4
	s_addc_u32 s5, s13, s5
	s_cmp_lt_u32 s2, s24
	v_mov_b32_e32 v19, 0
	s_cselect_b32 s2, 12, 18
	global_load_dword v5, v19, s[22:23] offset:14
	s_add_u32 s2, s22, s2
	s_addc_u32 s3, s23, 0
	global_load_ushort v7, v19, s[2:3]
	v_mov_b32_e32 v8, s17
	v_subrev_co_u32_e32 v2, vcc, s16, v2
	v_mov_b32_e32 v9, s9
	s_nop 0
	v_subb_co_u32_e32 v3, vcc, v3, v8, vcc
	v_mov_b32_e32 v10, s8
	v_cmp_lt_u64_e32 vcc, s[8:9], v[2:3]
	v_subrev_u32_e32 v1, s16, v4
	s_cmp_eq_u64 s[18:19], s[20:21]
	v_cndmask_b32_e32 v3, v3, v9, vcc
	v_cndmask_b32_e32 v2, v2, v10, vcc
	v_sub_u32_e32 v25, v6, v2
	v_lshlrev_b64 v[2:3], 3, v[2:3]
	v_lshl_add_u64 v[20:21], s[12:13], 0, v[2:3]
	v_lshlrev_b32_e32 v18, 3, v0
	s_waitcnt vmcnt(1)
	v_lshrrev_b32_e32 v2, 16, v5
	v_and_b32_e32 v3, 0xffff, v5
	v_mul_lo_u32 v2, v3, v2
	s_waitcnt vmcnt(0)
	v_mul_lo_u32 v26, v2, v7
	s_cbranch_scc1 .LBB1389_6
; %bb.5:
	v_sub_u32_e32 v4, v0, v1
	v_mov_b32_e32 v5, v19
	v_add_u32_e32 v6, v26, v0
	v_lshl_add_u64 v[2:3], s[4:5], 0, v[18:19]
	v_lshl_add_u64 v[4:5], v[4:5], 3, v[20:21]
	v_cmp_lt_u32_e32 vcc, v0, v1
	v_mov_b32_e32 v7, v19
	v_sub_u32_e32 v8, v6, v1
	v_mov_b32_e32 v9, v19
	v_cndmask_b32_e32 v3, v5, v3, vcc
	v_cndmask_b32_e32 v2, v4, v2, vcc
	v_lshl_add_u64 v[4:5], v[6:7], 3, s[4:5]
	v_lshl_add_u64 v[8:9], v[8:9], 3, v[20:21]
	v_cmp_lt_u32_e32 vcc, v6, v1
	v_mov_b32_e32 v11, v19
	v_mov_b32_e32 v13, v19
	v_cndmask_b32_e32 v4, v8, v4, vcc
	v_add_u32_e32 v8, v6, v26
	v_cndmask_b32_e32 v5, v9, v5, vcc
	v_mov_b32_e32 v9, v19
	v_sub_u32_e32 v10, v8, v1
	v_lshl_add_u64 v[6:7], v[8:9], 3, s[4:5]
	v_lshl_add_u64 v[10:11], v[10:11], 3, v[20:21]
	v_cmp_lt_u32_e32 vcc, v8, v1
	v_mov_b32_e32 v15, v19
	v_mov_b32_e32 v17, v19
	v_cndmask_b32_e32 v6, v10, v6, vcc
	v_add_u32_e32 v10, v8, v26
	v_cndmask_b32_e32 v7, v11, v7, vcc
	v_mov_b32_e32 v11, v19
	v_sub_u32_e32 v12, v10, v1
	;; [unrolled: 10-line block ×3, first 2 shown]
	v_lshl_add_u64 v[10:11], v[12:13], 3, s[4:5]
	v_lshl_add_u64 v[14:15], v[14:15], 3, v[20:21]
	v_cmp_lt_u32_e32 vcc, v12, v1
	global_load_dwordx2 v[2:3], v[2:3], off
	v_add_u32_e32 v24, v1, v25
	v_cndmask_b32_e32 v10, v14, v10, vcc
	v_add_u32_e32 v14, v12, v26
	v_cndmask_b32_e32 v11, v15, v11, vcc
	v_mov_b32_e32 v15, v19
	v_sub_u32_e32 v16, v14, v1
	v_lshl_add_u64 v[12:13], v[14:15], 3, s[4:5]
	v_lshl_add_u64 v[16:17], v[16:17], 3, v[20:21]
	v_cmp_lt_u32_e32 vcc, v14, v1
	global_load_dwordx2 v[4:5], v[4:5], off
	s_nop 0
	v_cndmask_b32_e32 v13, v17, v13, vcc
	v_cndmask_b32_e32 v12, v16, v12, vcc
	v_add_u32_e32 v16, v14, v26
	v_mov_b32_e32 v17, v19
	v_lshl_add_u64 v[14:15], v[16:17], 3, s[4:5]
	v_sub_u32_e32 v22, v16, v1
	v_cmp_lt_u32_e32 vcc, v16, v1
	v_add_u32_e32 v16, v16, v26
	v_lshl_add_u64 v[22:23], v[22:23], 3, v[20:21]
	v_sub_u32_e32 v28, v16, v1
	v_cndmask_b32_e32 v15, v23, v15, vcc
	v_cndmask_b32_e32 v14, v22, v14, vcc
	v_lshl_add_u64 v[22:23], v[16:17], 3, s[4:5]
	v_lshl_add_u64 v[28:29], v[28:29], 3, v[20:21]
	v_cmp_lt_u32_e32 vcc, v16, v1
	global_load_dwordx2 v[6:7], v[6:7], off
	s_nop 0
	v_cndmask_b32_e32 v17, v29, v23, vcc
	v_cndmask_b32_e32 v16, v28, v22, vcc
	global_load_dwordx2 v[8:9], v[8:9], off
	s_nop 0
	global_load_dwordx2 v[10:11], v[10:11], off
	s_nop 0
	;; [unrolled: 2-line block ×4, first 2 shown]
	global_load_dwordx2 v[16:17], v[16:17], off
	s_cbranch_execz .LBB1389_7
	s_branch .LBB1389_24
.LBB1389_6:
                                        ; implicit-def: $vgpr2_vgpr3_vgpr4_vgpr5_vgpr6_vgpr7_vgpr8_vgpr9_vgpr10_vgpr11_vgpr12_vgpr13_vgpr14_vgpr15_vgpr16_vgpr17
                                        ; implicit-def: $vgpr24
.LBB1389_7:
	v_add_u32_e32 v24, v1, v25
	v_cmp_lt_u32_e32 vcc, v0, v24
                                        ; implicit-def: $vgpr2_vgpr3_vgpr4_vgpr5_vgpr6_vgpr7_vgpr8_vgpr9_vgpr10_vgpr11_vgpr12_vgpr13_vgpr14_vgpr15_vgpr16_vgpr17
	s_and_saveexec_b64 s[2:3], vcc
	s_cbranch_execz .LBB1389_9
; %bb.8:
	v_mov_b32_e32 v19, 0
	s_waitcnt vmcnt(6)
	v_sub_u32_e32 v4, v0, v1
	v_mov_b32_e32 v5, v19
	v_lshl_add_u64 v[2:3], s[4:5], 0, v[18:19]
	v_lshl_add_u64 v[4:5], v[4:5], 3, v[20:21]
	v_cmp_lt_u32_e32 vcc, v0, v1
	s_nop 1
	v_cndmask_b32_e32 v3, v5, v3, vcc
	v_cndmask_b32_e32 v2, v4, v2, vcc
	global_load_dwordx2 v[2:3], v[2:3], off
.LBB1389_9:
	s_or_b64 exec, exec, s[2:3]
	v_add_u32_e32 v22, v26, v0
	v_cmp_lt_u32_e32 vcc, v22, v24
	s_and_saveexec_b64 s[2:3], vcc
	s_cbranch_execz .LBB1389_11
; %bb.10:
	v_mov_b32_e32 v23, 0
	v_sub_u32_e32 v28, v22, v1
	v_mov_b32_e32 v29, v23
	s_waitcnt vmcnt(6)
	v_lshl_add_u64 v[4:5], v[22:23], 3, s[4:5]
	v_lshl_add_u64 v[28:29], v[28:29], 3, v[20:21]
	v_cmp_lt_u32_e32 vcc, v22, v1
	s_nop 1
	v_cndmask_b32_e32 v5, v29, v5, vcc
	v_cndmask_b32_e32 v4, v28, v4, vcc
	global_load_dwordx2 v[4:5], v[4:5], off
.LBB1389_11:
	s_or_b64 exec, exec, s[2:3]
	v_add_u32_e32 v22, v22, v26
	v_cmp_lt_u32_e32 vcc, v22, v24
	s_and_saveexec_b64 s[2:3], vcc
	s_cbranch_execz .LBB1389_13
; %bb.12:
	v_mov_b32_e32 v23, 0
	v_sub_u32_e32 v28, v22, v1
	v_mov_b32_e32 v29, v23
	s_waitcnt vmcnt(5)
	v_lshl_add_u64 v[6:7], v[22:23], 3, s[4:5]
	v_lshl_add_u64 v[28:29], v[28:29], 3, v[20:21]
	v_cmp_lt_u32_e32 vcc, v22, v1
	s_nop 1
	v_cndmask_b32_e32 v7, v29, v7, vcc
	v_cndmask_b32_e32 v6, v28, v6, vcc
	global_load_dwordx2 v[6:7], v[6:7], off
.LBB1389_13:
	;; [unrolled: 18-line block ×6, first 2 shown]
	s_or_b64 exec, exec, s[2:3]
	v_add_u32_e32 v22, v22, v26
	v_cmp_lt_u32_e32 vcc, v22, v24
	s_and_saveexec_b64 s[2:3], vcc
	s_cbranch_execz .LBB1389_23
; %bb.22:
	v_mov_b32_e32 v23, 0
	s_waitcnt vmcnt(0)
	v_lshl_add_u64 v[16:17], v[22:23], 3, s[4:5]
	v_cmp_lt_u32_e32 vcc, v22, v1
	v_sub_u32_e32 v22, v22, v1
	v_lshl_add_u64 v[20:21], v[22:23], 3, v[20:21]
	v_cndmask_b32_e32 v17, v21, v17, vcc
	v_cndmask_b32_e32 v16, v20, v16, vcc
	global_load_dwordx2 v[16:17], v[16:17], off
.LBB1389_23:
	s_or_b64 exec, exec, s[2:3]
.LBB1389_24:
	s_load_dwordx4 s[16:19], s[0:1], 0x40
	v_min_u32_e32 v19, v24, v18
	v_sub_u32_e64 v25, v19, v25 clamp
	v_min_u32_e32 v26, v19, v1
	v_cmp_lt_u32_e32 vcc, v25, v26
	s_waitcnt vmcnt(0)
	ds_write2st64_b64 v18, v[2:3], v[4:5] offset1:2
	ds_write2st64_b64 v18, v[6:7], v[8:9] offset0:4 offset1:6
	ds_write2st64_b64 v18, v[10:11], v[12:13] offset0:8 offset1:10
	;; [unrolled: 1-line block ×3, first 2 shown]
	s_waitcnt lgkmcnt(0)
	s_barrier
	s_and_saveexec_b64 s[12:13], vcc
	s_cbranch_execz .LBB1389_34
; %bb.25:
	v_lshlrev_b32_e32 v20, 3, v19
	v_cmp_gt_i64_e64 s[0:1], s[16:17], 0
	v_lshl_add_u32 v27, v1, 3, v20
	s_mov_b64 s[20:21], 0
	v_cndmask_b32_e64 v20, 0, 1, s[0:1]
	s_lshl_b64 s[22:23], s[16:17], 1
	v_cmp_ne_u32_e64 s[0:1], 1, v20
	s_branch .LBB1389_28
.LBB1389_26:                            ;   in Loop: Header=BB1389_28 Depth=1
	s_or_b64 exec, exec, s[26:27]
.LBB1389_27:                            ;   in Loop: Header=BB1389_28 Depth=1
	v_add_u32_e32 v20, 1, v28
	v_cndmask_b32_e64 v26, v26, v28, s[24:25]
	v_cndmask_b32_e64 v25, v20, v25, s[24:25]
	v_cmp_ge_u32_e32 vcc, v25, v26
	s_or_b64 s[20:21], vcc, s[20:21]
	s_andn2_b64 exec, exec, s[20:21]
	s_cbranch_execz .LBB1389_33
.LBB1389_28:                            ; =>This Loop Header: Depth=1
                                        ;     Child Loop BB1389_31 Depth 2
	v_add_u32_e32 v20, v26, v25
	v_lshrrev_b32_e32 v28, 1, v20
	s_and_b64 vcc, exec, s[0:1]
	s_mov_b64 s[24:25], 0
	s_cbranch_vccnz .LBB1389_27
; %bb.29:                               ;   in Loop: Header=BB1389_28 Depth=1
	v_not_b32_e32 v20, v28
	v_lshl_add_u32 v20, v20, 3, v27
	ds_read_b64 v[20:21], v20
	v_lshlrev_b32_e32 v29, 3, v28
	ds_read_b64 v[30:31], v29
	v_mov_b64_e32 v[22:23], s[18:19]
	s_mov_b64 s[26:27], 0
	s_waitcnt lgkmcnt(1)
	v_mul_lo_u32 v29, s22, v21
	v_mul_lo_u32 v32, s23, v20
	v_mad_u64_u32 v[20:21], s[2:3], s22, v20, v[22:23]
	v_add3_u32 v21, v32, v21, v29
	s_waitcnt lgkmcnt(0)
	v_mul_lo_u32 v29, s22, v31
	v_mul_lo_u32 v31, s23, v30
	v_mad_u64_u32 v[22:23], s[2:3], s22, v30, v[22:23]
	v_add3_u32 v23, v31, v23, v29
	s_mov_b64 s[34:35], s[16:17]
                                        ; implicit-def: $sgpr24_sgpr25
                                        ; implicit-def: $sgpr28_sgpr29
                                        ; implicit-def: $sgpr30_sgpr31
                                        ; implicit-def: $sgpr2_sgpr3
                                        ; implicit-def: $sgpr36_sgpr37
	s_branch .LBB1389_31
.LBB1389_30:                            ;   in Loop: Header=BB1389_31 Depth=2
	s_or_b64 exec, exec, s[38:39]
	s_and_b64 s[4:5], exec, s[28:29]
	s_or_b64 s[26:27], s[4:5], s[26:27]
	s_andn2_b64 s[4:5], s[36:37], exec
	s_and_b64 s[36:37], s[30:31], exec
	s_or_b64 s[36:37], s[4:5], s[36:37]
	s_andn2_b64 s[4:5], s[24:25], exec
	s_and_b64 s[24:25], s[2:3], exec
	s_or_b64 s[24:25], s[4:5], s[24:25]
	s_andn2_b64 exec, exec, s[26:27]
	s_cbranch_execz .LBB1389_26
.LBB1389_31:                            ;   Parent Loop BB1389_28 Depth=1
                                        ; =>  This Inner Loop Header: Depth=2
	global_load_ushort v29, v[20:21], off
	global_load_ushort v30, v[22:23], off
	s_andn2_b64 s[38:39], s[2:3], exec
	s_andn2_b64 s[30:31], s[30:31], exec
	s_or_b64 s[28:29], s[28:29], exec
	s_waitcnt vmcnt(0)
	v_cmp_le_u16_e64 s[2:3], v29, v30
	v_cmp_lt_u16_e32 vcc, v29, v30
	s_and_b64 s[2:3], s[2:3], s[36:37]
	s_or_b64 s[40:41], vcc, s[2:3]
	s_and_b64 s[2:3], s[40:41], exec
	v_cmp_eq_u16_e64 s[4:5], v29, v30
	s_or_b64 s[2:3], s[38:39], s[2:3]
	s_and_saveexec_b64 s[38:39], s[4:5]
	s_cbranch_execz .LBB1389_30
; %bb.32:                               ;   in Loop: Header=BB1389_31 Depth=2
	s_add_u32 s34, s34, -1
	s_addc_u32 s35, s35, -1
	s_cmp_eq_u64 s[34:35], 0
	s_cselect_b64 s[4:5], -1, 0
	s_andn2_b64 s[30:31], s[30:31], exec
	s_and_b64 s[36:37], s[40:41], exec
	s_andn2_b64 s[28:29], s[28:29], exec
	s_and_b64 s[4:5], s[4:5], exec
	v_lshl_add_u64 v[20:21], v[20:21], 0, 2
	v_lshl_add_u64 v[22:23], v[22:23], 0, 2
	s_andn2_b64 s[2:3], s[2:3], exec
	s_or_b64 s[30:31], s[30:31], s[36:37]
	s_or_b64 s[28:29], s[28:29], s[4:5]
                                        ; implicit-def: $sgpr36_sgpr37
	s_branch .LBB1389_30
.LBB1389_33:
	s_or_b64 exec, exec, s[20:21]
.LBB1389_34:
	s_or_b64 exec, exec, s[12:13]
	v_sub_u32_e32 v19, v19, v25
	v_add_u32_e32 v21, v19, v1
	v_cmp_le_u32_e32 vcc, v25, v1
	v_cmp_le_u32_e64 s[0:1], v21, v24
	s_or_b64 s[0:1], vcc, s[0:1]
	s_and_saveexec_b64 s[4:5], s[0:1]
	s_cbranch_execz .LBB1389_124
; %bb.35:
	v_cmp_ge_u32_e32 vcc, v25, v1
	v_cmp_lt_u32_e64 s[0:1], v25, v1
                                        ; implicit-def: $vgpr2_vgpr3
	s_and_saveexec_b64 s[2:3], s[0:1]
	s_cbranch_execz .LBB1389_37
; %bb.36:
	v_lshlrev_b32_e32 v2, 3, v25
	ds_read_b64 v[2:3], v2
.LBB1389_37:
	s_or_b64 exec, exec, s[2:3]
	v_cmp_ge_u32_e64 s[20:21], v21, v24
	v_cmp_lt_u32_e64 s[0:1], v21, v24
                                        ; implicit-def: $vgpr14_vgpr15
	s_and_saveexec_b64 s[2:3], s[0:1]
	s_cbranch_execz .LBB1389_39
; %bb.38:
	v_lshlrev_b32_e32 v4, 3, v21
	ds_read_b64 v[14:15], v4
.LBB1389_39:
	s_or_b64 exec, exec, s[2:3]
	s_or_b64 s[0:1], vcc, s[20:21]
	s_mov_b64 s[24:25], 0
	v_cmp_gt_i64_e64 s[12:13], s[16:17], 0
	s_xor_b64 s[0:1], s[0:1], -1
	s_and_saveexec_b64 s[22:23], s[0:1]
	s_cbranch_execz .LBB1389_47
; %bb.40:
	s_andn2_b64 vcc, exec, s[12:13]
	s_cbranch_vccnz .LBB1389_46
; %bb.41:
	s_waitcnt lgkmcnt(0)
	v_mul_lo_u32 v6, v15, s16
	v_mul_lo_u32 v7, v14, s17
	v_mad_u64_u32 v[4:5], s[0:1], v14, s16, 0
	v_add3_u32 v5, v5, v7, v6
	v_mul_lo_u32 v8, v3, s16
	v_mul_lo_u32 v9, v2, s17
	v_mad_u64_u32 v[6:7], s[0:1], v2, s16, 0
	v_add3_u32 v7, v7, v9, v8
	v_lshl_add_u64 v[4:5], v[4:5], 1, s[18:19]
	v_lshl_add_u64 v[6:7], v[6:7], 1, s[18:19]
	s_mov_b64 s[26:27], 0
	s_mov_b64 s[34:35], s[16:17]
                                        ; implicit-def: $sgpr24_sgpr25
                                        ; implicit-def: $sgpr28_sgpr29
                                        ; implicit-def: $sgpr30_sgpr31
                                        ; implicit-def: $sgpr0_sgpr1
                                        ; implicit-def: $sgpr36_sgpr37
	s_branch .LBB1389_43
.LBB1389_42:                            ;   in Loop: Header=BB1389_43 Depth=1
	s_or_b64 exec, exec, s[38:39]
	s_and_b64 s[2:3], exec, s[28:29]
	s_or_b64 s[26:27], s[2:3], s[26:27]
	s_andn2_b64 s[2:3], s[36:37], exec
	s_and_b64 s[36:37], s[30:31], exec
	s_or_b64 s[36:37], s[2:3], s[36:37]
	s_andn2_b64 s[2:3], s[24:25], exec
	s_and_b64 s[24:25], s[0:1], exec
	s_or_b64 s[24:25], s[2:3], s[24:25]
	s_andn2_b64 exec, exec, s[26:27]
	s_cbranch_execz .LBB1389_45
.LBB1389_43:                            ; =>This Inner Loop Header: Depth=1
	global_load_ushort v8, v[4:5], off
	global_load_ushort v9, v[6:7], off
	s_andn2_b64 s[38:39], s[0:1], exec
	s_andn2_b64 s[30:31], s[30:31], exec
	s_or_b64 s[28:29], s[28:29], exec
	s_waitcnt vmcnt(0)
	v_cmp_le_u16_e64 s[0:1], v8, v9
	v_cmp_lt_u16_e32 vcc, v8, v9
	s_and_b64 s[0:1], s[0:1], s[36:37]
	s_or_b64 s[40:41], vcc, s[0:1]
	s_and_b64 s[0:1], s[40:41], exec
	v_cmp_eq_u16_e64 s[2:3], v8, v9
	s_or_b64 s[0:1], s[38:39], s[0:1]
	s_and_saveexec_b64 s[38:39], s[2:3]
	s_cbranch_execz .LBB1389_42
; %bb.44:                               ;   in Loop: Header=BB1389_43 Depth=1
	s_add_u32 s34, s34, -1
	s_addc_u32 s35, s35, -1
	s_cmp_eq_u64 s[34:35], 0
	s_cselect_b64 s[2:3], -1, 0
	s_andn2_b64 s[30:31], s[30:31], exec
	s_and_b64 s[36:37], s[40:41], exec
	s_andn2_b64 s[28:29], s[28:29], exec
	s_and_b64 s[2:3], s[2:3], exec
	v_lshl_add_u64 v[4:5], v[4:5], 0, 2
	v_lshl_add_u64 v[6:7], v[6:7], 0, 2
	s_andn2_b64 s[0:1], s[0:1], exec
	s_or_b64 s[30:31], s[30:31], s[36:37]
	s_or_b64 s[28:29], s[28:29], s[2:3]
                                        ; implicit-def: $sgpr36_sgpr37
	s_branch .LBB1389_42
.LBB1389_45:
	s_or_b64 exec, exec, s[26:27]
.LBB1389_46:
	s_xor_b64 s[0:1], s[24:25], -1
	s_andn2_b64 s[2:3], s[20:21], exec
	s_and_b64 s[0:1], s[0:1], exec
	s_or_b64 s[20:21], s[2:3], s[0:1]
.LBB1389_47:
	s_or_b64 exec, exec, s[22:23]
	v_cndmask_b32_e64 v4, v21, v25, s[20:21]
	v_cndmask_b32_e64 v5, v24, v1, s[20:21]
	v_add_u32_e32 v6, 1, v4
	v_add_u32_e32 v4, -1, v5
	v_min_u32_e32 v4, v6, v4
	v_lshlrev_b32_e32 v4, 3, v4
	ds_read_b64 v[4:5], v4
	v_cndmask_b32_e64 v8, v6, v21, s[20:21]
	v_cndmask_b32_e64 v9, v25, v6, s[20:21]
	v_cmp_lt_u32_e32 vcc, v8, v24
	s_mov_b64 s[24:25], -1
	s_waitcnt lgkmcnt(0)
	v_cndmask_b32_e64 v16, v5, v15, s[20:21]
	v_cndmask_b32_e64 v17, v4, v14, s[20:21]
	;; [unrolled: 1-line block ×4, first 2 shown]
	s_mov_b64 s[22:23], -1
	s_and_saveexec_b64 s[26:27], vcc
	s_cbranch_execz .LBB1389_58
; %bb.48:
	v_cmp_lt_u32_e32 vcc, v9, v1
	s_mov_b64 s[0:1], 0
	s_and_saveexec_b64 s[22:23], vcc
	s_cbranch_execz .LBB1389_57
; %bb.49:
	s_andn2_b64 vcc, exec, s[12:13]
	s_cbranch_vccnz .LBB1389_55
; %bb.50:
	v_mul_lo_u32 v6, v16, s16
	v_mul_lo_u32 v7, v17, s17
	v_mad_u64_u32 v[4:5], s[0:1], v17, s16, 0
	v_add3_u32 v5, v5, v7, v6
	v_mul_lo_u32 v10, v19, s16
	v_mul_lo_u32 v11, v20, s17
	v_mad_u64_u32 v[6:7], s[0:1], v20, s16, 0
	v_add3_u32 v7, v7, v11, v10
	v_lshl_add_u64 v[4:5], v[4:5], 1, s[18:19]
	v_lshl_add_u64 v[6:7], v[6:7], 1, s[18:19]
	s_mov_b64 s[30:31], 0
	s_mov_b64 s[38:39], s[16:17]
                                        ; implicit-def: $sgpr28_sgpr29
                                        ; implicit-def: $sgpr34_sgpr35
                                        ; implicit-def: $sgpr36_sgpr37
                                        ; implicit-def: $sgpr0_sgpr1
                                        ; implicit-def: $sgpr40_sgpr41
	s_branch .LBB1389_52
.LBB1389_51:                            ;   in Loop: Header=BB1389_52 Depth=1
	s_or_b64 exec, exec, s[42:43]
	s_and_b64 s[2:3], exec, s[34:35]
	s_or_b64 s[30:31], s[2:3], s[30:31]
	s_andn2_b64 s[2:3], s[40:41], exec
	s_and_b64 s[40:41], s[36:37], exec
	s_or_b64 s[40:41], s[2:3], s[40:41]
	s_andn2_b64 s[2:3], s[28:29], exec
	s_and_b64 s[28:29], s[0:1], exec
	s_or_b64 s[28:29], s[2:3], s[28:29]
	s_andn2_b64 exec, exec, s[30:31]
	s_cbranch_execz .LBB1389_54
.LBB1389_52:                            ; =>This Inner Loop Header: Depth=1
	global_load_ushort v10, v[4:5], off
	global_load_ushort v11, v[6:7], off
	s_andn2_b64 s[42:43], s[0:1], exec
	s_andn2_b64 s[36:37], s[36:37], exec
	s_or_b64 s[34:35], s[34:35], exec
	s_waitcnt vmcnt(0)
	v_cmp_le_u16_e64 s[0:1], v10, v11
	v_cmp_lt_u16_e32 vcc, v10, v11
	s_and_b64 s[0:1], s[0:1], s[40:41]
	s_or_b64 s[44:45], vcc, s[0:1]
	s_and_b64 s[0:1], s[44:45], exec
	v_cmp_eq_u16_e64 s[2:3], v10, v11
	s_or_b64 s[0:1], s[42:43], s[0:1]
	s_and_saveexec_b64 s[42:43], s[2:3]
	s_cbranch_execz .LBB1389_51
; %bb.53:                               ;   in Loop: Header=BB1389_52 Depth=1
	s_add_u32 s38, s38, -1
	s_addc_u32 s39, s39, -1
	s_cmp_eq_u64 s[38:39], 0
	s_cselect_b64 s[2:3], -1, 0
	s_andn2_b64 s[36:37], s[36:37], exec
	s_and_b64 s[40:41], s[44:45], exec
	s_andn2_b64 s[34:35], s[34:35], exec
	s_and_b64 s[2:3], s[2:3], exec
	v_lshl_add_u64 v[4:5], v[4:5], 0, 2
	v_lshl_add_u64 v[6:7], v[6:7], 0, 2
	s_andn2_b64 s[0:1], s[0:1], exec
	s_or_b64 s[36:37], s[36:37], s[40:41]
	s_or_b64 s[34:35], s[34:35], s[2:3]
                                        ; implicit-def: $sgpr40_sgpr41
	s_branch .LBB1389_51
.LBB1389_54:
	s_or_b64 exec, exec, s[30:31]
	s_branch .LBB1389_56
.LBB1389_55:
	s_mov_b64 s[28:29], 0
.LBB1389_56:
	s_xor_b64 s[0:1], s[28:29], -1
	s_and_b64 s[0:1], s[0:1], exec
.LBB1389_57:
	s_or_b64 exec, exec, s[22:23]
	s_orn2_b64 s[22:23], s[0:1], exec
.LBB1389_58:
	s_or_b64 exec, exec, s[26:27]
	v_cndmask_b32_e64 v4, v8, v9, s[22:23]
	v_cndmask_b32_e64 v5, v24, v1, s[22:23]
	v_add_u32_e32 v6, 1, v4
	v_add_u32_e32 v4, -1, v5
	v_min_u32_e32 v4, v6, v4
	v_lshlrev_b32_e32 v4, 3, v4
	ds_read_b64 v[4:5], v4
	v_cndmask_b32_e64 v10, v6, v8, s[22:23]
	v_cndmask_b32_e64 v11, v9, v6, s[22:23]
	v_cmp_lt_u32_e32 vcc, v10, v24
	s_waitcnt lgkmcnt(0)
	v_cndmask_b32_e64 v21, v5, v16, s[22:23]
	v_cndmask_b32_e64 v22, v4, v17, s[22:23]
	;; [unrolled: 1-line block ×4, first 2 shown]
	s_and_saveexec_b64 s[26:27], vcc
	s_cbranch_execz .LBB1389_69
; %bb.59:
	v_cmp_lt_u32_e32 vcc, v11, v1
	s_mov_b64 s[0:1], 0
	s_and_saveexec_b64 s[24:25], vcc
	s_cbranch_execz .LBB1389_68
; %bb.60:
	s_andn2_b64 vcc, exec, s[12:13]
	s_cbranch_vccnz .LBB1389_66
; %bb.61:
	v_mul_lo_u32 v6, v21, s16
	v_mul_lo_u32 v7, v22, s17
	v_mad_u64_u32 v[4:5], s[0:1], v22, s16, 0
	v_add3_u32 v5, v5, v7, v6
	v_mul_lo_u32 v8, v23, s16
	v_mul_lo_u32 v9, v25, s17
	v_mad_u64_u32 v[6:7], s[0:1], v25, s16, 0
	v_add3_u32 v7, v7, v9, v8
	v_lshl_add_u64 v[4:5], v[4:5], 1, s[18:19]
	v_lshl_add_u64 v[6:7], v[6:7], 1, s[18:19]
	s_mov_b64 s[30:31], 0
	s_mov_b64 s[38:39], s[16:17]
                                        ; implicit-def: $sgpr28_sgpr29
                                        ; implicit-def: $sgpr34_sgpr35
                                        ; implicit-def: $sgpr36_sgpr37
                                        ; implicit-def: $sgpr0_sgpr1
                                        ; implicit-def: $sgpr40_sgpr41
	s_branch .LBB1389_63
.LBB1389_62:                            ;   in Loop: Header=BB1389_63 Depth=1
	s_or_b64 exec, exec, s[42:43]
	s_and_b64 s[2:3], exec, s[34:35]
	s_or_b64 s[30:31], s[2:3], s[30:31]
	s_andn2_b64 s[2:3], s[40:41], exec
	s_and_b64 s[40:41], s[36:37], exec
	s_or_b64 s[40:41], s[2:3], s[40:41]
	s_andn2_b64 s[2:3], s[28:29], exec
	s_and_b64 s[28:29], s[0:1], exec
	s_or_b64 s[28:29], s[2:3], s[28:29]
	s_andn2_b64 exec, exec, s[30:31]
	s_cbranch_execz .LBB1389_65
.LBB1389_63:                            ; =>This Inner Loop Header: Depth=1
	global_load_ushort v8, v[4:5], off
	global_load_ushort v9, v[6:7], off
	s_andn2_b64 s[42:43], s[0:1], exec
	s_andn2_b64 s[36:37], s[36:37], exec
	s_or_b64 s[34:35], s[34:35], exec
	s_waitcnt vmcnt(0)
	v_cmp_le_u16_e64 s[0:1], v8, v9
	v_cmp_lt_u16_e32 vcc, v8, v9
	s_and_b64 s[0:1], s[0:1], s[40:41]
	s_or_b64 s[44:45], vcc, s[0:1]
	s_and_b64 s[0:1], s[44:45], exec
	v_cmp_eq_u16_e64 s[2:3], v8, v9
	s_or_b64 s[0:1], s[42:43], s[0:1]
	s_and_saveexec_b64 s[42:43], s[2:3]
	s_cbranch_execz .LBB1389_62
; %bb.64:                               ;   in Loop: Header=BB1389_63 Depth=1
	s_add_u32 s38, s38, -1
	s_addc_u32 s39, s39, -1
	s_cmp_eq_u64 s[38:39], 0
	s_cselect_b64 s[2:3], -1, 0
	s_andn2_b64 s[36:37], s[36:37], exec
	s_and_b64 s[40:41], s[44:45], exec
	s_andn2_b64 s[34:35], s[34:35], exec
	s_and_b64 s[2:3], s[2:3], exec
	v_lshl_add_u64 v[4:5], v[4:5], 0, 2
	v_lshl_add_u64 v[6:7], v[6:7], 0, 2
	s_andn2_b64 s[0:1], s[0:1], exec
	s_or_b64 s[36:37], s[36:37], s[40:41]
	s_or_b64 s[34:35], s[34:35], s[2:3]
                                        ; implicit-def: $sgpr40_sgpr41
	s_branch .LBB1389_62
.LBB1389_65:
	s_or_b64 exec, exec, s[30:31]
	s_branch .LBB1389_67
.LBB1389_66:
	s_mov_b64 s[28:29], 0
.LBB1389_67:
	s_xor_b64 s[0:1], s[28:29], -1
	s_and_b64 s[0:1], s[0:1], exec
.LBB1389_68:
	s_or_b64 exec, exec, s[24:25]
	s_orn2_b64 s[24:25], s[0:1], exec
.LBB1389_69:
	s_or_b64 exec, exec, s[26:27]
	v_cndmask_b32_e64 v4, v10, v11, s[24:25]
	v_cndmask_b32_e64 v5, v24, v1, s[24:25]
	v_add_u32_e32 v6, 1, v4
	v_add_u32_e32 v4, -1, v5
	v_min_u32_e32 v4, v6, v4
	v_lshlrev_b32_e32 v4, 3, v4
	ds_read_b64 v[4:5], v4
	v_cndmask_b32_e64 v12, v6, v10, s[24:25]
	v_cndmask_b32_e64 v13, v11, v6, s[24:25]
	v_cmp_lt_u32_e32 vcc, v12, v24
	s_mov_b64 s[28:29], -1
	s_waitcnt lgkmcnt(0)
	v_cndmask_b32_e64 v8, v5, v21, s[24:25]
	v_cndmask_b32_e64 v26, v4, v22, s[24:25]
	;; [unrolled: 1-line block ×4, first 2 shown]
	s_mov_b64 s[26:27], -1
	s_and_saveexec_b64 s[30:31], vcc
	s_cbranch_execz .LBB1389_80
; %bb.70:
	v_cmp_lt_u32_e32 vcc, v13, v1
	s_mov_b64 s[0:1], 0
	s_and_saveexec_b64 s[26:27], vcc
	s_cbranch_execz .LBB1389_79
; %bb.71:
	s_andn2_b64 vcc, exec, s[12:13]
	s_cbranch_vccnz .LBB1389_77
; %bb.72:
	v_mul_lo_u32 v6, v8, s16
	v_mul_lo_u32 v7, v26, s17
	v_mad_u64_u32 v[4:5], s[0:1], v26, s16, 0
	v_add3_u32 v5, v5, v7, v6
	v_mul_lo_u32 v10, v9, s16
	v_mul_lo_u32 v11, v27, s17
	v_mad_u64_u32 v[6:7], s[0:1], v27, s16, 0
	v_add3_u32 v7, v7, v11, v10
	v_lshl_add_u64 v[4:5], v[4:5], 1, s[18:19]
	v_lshl_add_u64 v[6:7], v[6:7], 1, s[18:19]
	s_mov_b64 s[34:35], 0
	s_mov_b64 s[42:43], s[16:17]
                                        ; implicit-def: $sgpr36_sgpr37
                                        ; implicit-def: $sgpr38_sgpr39
                                        ; implicit-def: $sgpr0_sgpr1
                                        ; implicit-def: $sgpr40_sgpr41
                                        ; implicit-def: $sgpr44_sgpr45
	s_branch .LBB1389_74
.LBB1389_73:                            ;   in Loop: Header=BB1389_74 Depth=1
	s_or_b64 exec, exec, s[46:47]
	s_and_b64 s[2:3], exec, s[38:39]
	s_or_b64 s[34:35], s[2:3], s[34:35]
	s_andn2_b64 s[2:3], s[44:45], exec
	s_and_b64 s[44:45], s[40:41], exec
	s_or_b64 s[44:45], s[2:3], s[44:45]
	s_andn2_b64 s[2:3], s[36:37], exec
	s_and_b64 s[36:37], s[0:1], exec
	s_or_b64 s[36:37], s[2:3], s[36:37]
	s_andn2_b64 exec, exec, s[34:35]
	s_cbranch_execz .LBB1389_76
.LBB1389_74:                            ; =>This Inner Loop Header: Depth=1
	global_load_ushort v10, v[4:5], off
	global_load_ushort v11, v[6:7], off
	s_andn2_b64 s[46:47], s[0:1], exec
	s_andn2_b64 s[40:41], s[40:41], exec
	s_or_b64 s[38:39], s[38:39], exec
	s_waitcnt vmcnt(0)
	v_cmp_le_u16_e64 s[0:1], v10, v11
	v_cmp_lt_u16_e32 vcc, v10, v11
	s_and_b64 s[0:1], s[0:1], s[44:45]
	s_or_b64 s[48:49], vcc, s[0:1]
	s_and_b64 s[0:1], s[48:49], exec
	v_cmp_eq_u16_e64 s[2:3], v10, v11
	s_or_b64 s[0:1], s[46:47], s[0:1]
	s_and_saveexec_b64 s[46:47], s[2:3]
	s_cbranch_execz .LBB1389_73
; %bb.75:                               ;   in Loop: Header=BB1389_74 Depth=1
	s_add_u32 s42, s42, -1
	s_addc_u32 s43, s43, -1
	s_cmp_eq_u64 s[42:43], 0
	s_cselect_b64 s[2:3], -1, 0
	s_andn2_b64 s[40:41], s[40:41], exec
	s_and_b64 s[44:45], s[48:49], exec
	s_andn2_b64 s[38:39], s[38:39], exec
	s_and_b64 s[2:3], s[2:3], exec
	v_lshl_add_u64 v[4:5], v[4:5], 0, 2
	v_lshl_add_u64 v[6:7], v[6:7], 0, 2
	s_or_b64 s[40:41], s[40:41], s[44:45]
	s_andn2_b64 s[0:1], s[0:1], exec
	s_or_b64 s[38:39], s[38:39], s[2:3]
                                        ; implicit-def: $sgpr44_sgpr45
	s_branch .LBB1389_73
.LBB1389_76:
	s_or_b64 exec, exec, s[34:35]
	s_xor_b64 s[0:1], s[36:37], -1
	s_branch .LBB1389_78
.LBB1389_77:
	s_mov_b64 s[0:1], -1
.LBB1389_78:
	s_and_b64 s[0:1], s[0:1], exec
.LBB1389_79:
	s_or_b64 exec, exec, s[26:27]
	s_orn2_b64 s[26:27], s[0:1], exec
.LBB1389_80:
	s_or_b64 exec, exec, s[30:31]
	v_cndmask_b32_e64 v4, v12, v13, s[26:27]
	v_cndmask_b32_e64 v5, v24, v1, s[26:27]
	v_add_u32_e32 v6, 1, v4
	v_add_u32_e32 v4, -1, v5
	v_min_u32_e32 v4, v6, v4
	v_lshlrev_b32_e32 v4, 3, v4
	ds_read_b64 v[4:5], v4
	v_cndmask_b32_e64 v32, v6, v12, s[26:27]
	v_cndmask_b32_e64 v33, v13, v6, s[26:27]
	v_cmp_lt_u32_e32 vcc, v32, v24
	s_waitcnt lgkmcnt(0)
	v_cndmask_b32_e64 v10, v5, v8, s[26:27]
	v_cndmask_b32_e64 v28, v4, v26, s[26:27]
	v_cndmask_b32_e64 v11, v9, v5, s[26:27]
	v_cndmask_b32_e64 v29, v27, v4, s[26:27]
	s_and_saveexec_b64 s[30:31], vcc
	s_cbranch_execz .LBB1389_91
; %bb.81:
	v_cmp_lt_u32_e32 vcc, v33, v1
	s_mov_b64 s[0:1], 0
	s_and_saveexec_b64 s[28:29], vcc
	s_cbranch_execz .LBB1389_90
; %bb.82:
	s_andn2_b64 vcc, exec, s[12:13]
	s_cbranch_vccnz .LBB1389_88
; %bb.83:
	v_mul_lo_u32 v6, v10, s16
	v_mul_lo_u32 v7, v28, s17
	v_mad_u64_u32 v[4:5], s[0:1], v28, s16, 0
	v_add3_u32 v5, v5, v7, v6
	v_mul_lo_u32 v12, v11, s16
	v_mul_lo_u32 v13, v29, s17
	v_mad_u64_u32 v[6:7], s[0:1], v29, s16, 0
	v_add3_u32 v7, v7, v13, v12
	v_lshl_add_u64 v[4:5], v[4:5], 1, s[18:19]
	v_lshl_add_u64 v[6:7], v[6:7], 1, s[18:19]
	s_mov_b64 s[34:35], 0
	s_mov_b64 s[42:43], s[16:17]
                                        ; implicit-def: $sgpr36_sgpr37
                                        ; implicit-def: $sgpr38_sgpr39
                                        ; implicit-def: $sgpr0_sgpr1
                                        ; implicit-def: $sgpr40_sgpr41
                                        ; implicit-def: $sgpr44_sgpr45
	s_branch .LBB1389_85
.LBB1389_84:                            ;   in Loop: Header=BB1389_85 Depth=1
	s_or_b64 exec, exec, s[46:47]
	s_and_b64 s[2:3], exec, s[38:39]
	s_or_b64 s[34:35], s[2:3], s[34:35]
	s_andn2_b64 s[2:3], s[44:45], exec
	s_and_b64 s[44:45], s[40:41], exec
	s_or_b64 s[44:45], s[2:3], s[44:45]
	s_andn2_b64 s[2:3], s[36:37], exec
	s_and_b64 s[36:37], s[0:1], exec
	s_or_b64 s[36:37], s[2:3], s[36:37]
	s_andn2_b64 exec, exec, s[34:35]
	s_cbranch_execz .LBB1389_87
.LBB1389_85:                            ; =>This Inner Loop Header: Depth=1
	global_load_ushort v12, v[4:5], off
	global_load_ushort v13, v[6:7], off
	s_andn2_b64 s[46:47], s[0:1], exec
	s_andn2_b64 s[40:41], s[40:41], exec
	s_or_b64 s[38:39], s[38:39], exec
	s_waitcnt vmcnt(0)
	v_cmp_le_u16_e64 s[0:1], v12, v13
	v_cmp_lt_u16_e32 vcc, v12, v13
	s_and_b64 s[0:1], s[0:1], s[44:45]
	s_or_b64 s[48:49], vcc, s[0:1]
	s_and_b64 s[0:1], s[48:49], exec
	v_cmp_eq_u16_e64 s[2:3], v12, v13
	s_or_b64 s[0:1], s[46:47], s[0:1]
	s_and_saveexec_b64 s[46:47], s[2:3]
	s_cbranch_execz .LBB1389_84
; %bb.86:                               ;   in Loop: Header=BB1389_85 Depth=1
	s_add_u32 s42, s42, -1
	s_addc_u32 s43, s43, -1
	s_cmp_eq_u64 s[42:43], 0
	s_cselect_b64 s[2:3], -1, 0
	s_andn2_b64 s[40:41], s[40:41], exec
	s_and_b64 s[44:45], s[48:49], exec
	s_andn2_b64 s[38:39], s[38:39], exec
	s_and_b64 s[2:3], s[2:3], exec
	v_lshl_add_u64 v[4:5], v[4:5], 0, 2
	v_lshl_add_u64 v[6:7], v[6:7], 0, 2
	s_or_b64 s[40:41], s[40:41], s[44:45]
	s_andn2_b64 s[0:1], s[0:1], exec
	s_or_b64 s[38:39], s[38:39], s[2:3]
                                        ; implicit-def: $sgpr44_sgpr45
	s_branch .LBB1389_84
.LBB1389_87:
	s_or_b64 exec, exec, s[34:35]
	s_xor_b64 s[0:1], s[36:37], -1
	s_branch .LBB1389_89
.LBB1389_88:
	s_mov_b64 s[0:1], -1
.LBB1389_89:
	s_and_b64 s[0:1], s[0:1], exec
.LBB1389_90:
	s_or_b64 exec, exec, s[28:29]
	s_orn2_b64 s[28:29], s[0:1], exec
.LBB1389_91:
	s_or_b64 exec, exec, s[30:31]
	v_cndmask_b32_e64 v4, v32, v33, s[28:29]
	v_cndmask_b32_e64 v5, v24, v1, s[28:29]
	v_add_u32_e32 v6, 1, v4
	v_add_u32_e32 v4, -1, v5
	v_min_u32_e32 v4, v6, v4
	v_lshlrev_b32_e32 v4, 3, v4
	ds_read_b64 v[4:5], v4
	v_cndmask_b32_e64 v34, v6, v32, s[28:29]
	v_cndmask_b32_e64 v38, v33, v6, s[28:29]
	v_cmp_lt_u32_e32 vcc, v34, v24
	s_mov_b64 s[30:31], -1
	s_waitcnt lgkmcnt(0)
	v_cndmask_b32_e64 v12, v5, v10, s[28:29]
	v_cndmask_b32_e64 v30, v4, v28, s[28:29]
	;; [unrolled: 1-line block ×4, first 2 shown]
	s_mov_b64 s[34:35], -1
	s_and_saveexec_b64 s[36:37], vcc
	s_cbranch_execz .LBB1389_102
; %bb.92:
	v_cmp_lt_u32_e32 vcc, v38, v1
	s_mov_b64 s[0:1], 0
	s_and_saveexec_b64 s[34:35], vcc
	s_cbranch_execz .LBB1389_101
; %bb.93:
	s_andn2_b64 vcc, exec, s[12:13]
	s_cbranch_vccnz .LBB1389_99
; %bb.94:
	v_mul_lo_u32 v6, v12, s16
	v_mul_lo_u32 v7, v30, s17
	v_mad_u64_u32 v[4:5], s[0:1], v30, s16, 0
	v_add3_u32 v5, v5, v7, v6
	v_mul_lo_u32 v32, v13, s16
	v_mul_lo_u32 v33, v31, s17
	v_mad_u64_u32 v[6:7], s[0:1], v31, s16, 0
	v_add3_u32 v7, v7, v33, v32
	v_lshl_add_u64 v[4:5], v[4:5], 1, s[18:19]
	v_lshl_add_u64 v[6:7], v[6:7], 1, s[18:19]
	s_mov_b64 s[38:39], 0
	s_mov_b64 s[46:47], s[16:17]
                                        ; implicit-def: $sgpr40_sgpr41
                                        ; implicit-def: $sgpr42_sgpr43
                                        ; implicit-def: $sgpr0_sgpr1
                                        ; implicit-def: $sgpr44_sgpr45
                                        ; implicit-def: $sgpr48_sgpr49
	s_branch .LBB1389_96
.LBB1389_95:                            ;   in Loop: Header=BB1389_96 Depth=1
	s_or_b64 exec, exec, s[50:51]
	s_and_b64 s[2:3], exec, s[42:43]
	s_or_b64 s[38:39], s[2:3], s[38:39]
	s_andn2_b64 s[2:3], s[48:49], exec
	s_and_b64 s[48:49], s[44:45], exec
	s_or_b64 s[48:49], s[2:3], s[48:49]
	s_andn2_b64 s[2:3], s[40:41], exec
	s_and_b64 s[40:41], s[0:1], exec
	s_or_b64 s[40:41], s[2:3], s[40:41]
	s_andn2_b64 exec, exec, s[38:39]
	s_cbranch_execz .LBB1389_98
.LBB1389_96:                            ; =>This Inner Loop Header: Depth=1
	global_load_ushort v32, v[4:5], off
	global_load_ushort v33, v[6:7], off
	s_andn2_b64 s[50:51], s[0:1], exec
	s_andn2_b64 s[44:45], s[44:45], exec
	s_or_b64 s[42:43], s[42:43], exec
	s_waitcnt vmcnt(0)
	v_cmp_le_u16_e64 s[0:1], v32, v33
	v_cmp_lt_u16_e32 vcc, v32, v33
	s_and_b64 s[0:1], s[0:1], s[48:49]
	s_or_b64 s[52:53], vcc, s[0:1]
	s_and_b64 s[0:1], s[52:53], exec
	v_cmp_eq_u16_e64 s[2:3], v32, v33
	s_or_b64 s[0:1], s[50:51], s[0:1]
	s_and_saveexec_b64 s[50:51], s[2:3]
	s_cbranch_execz .LBB1389_95
; %bb.97:                               ;   in Loop: Header=BB1389_96 Depth=1
	s_add_u32 s46, s46, -1
	s_addc_u32 s47, s47, -1
	s_cmp_eq_u64 s[46:47], 0
	s_cselect_b64 s[2:3], -1, 0
	s_andn2_b64 s[44:45], s[44:45], exec
	s_and_b64 s[48:49], s[52:53], exec
	s_andn2_b64 s[42:43], s[42:43], exec
	s_and_b64 s[2:3], s[2:3], exec
	v_lshl_add_u64 v[4:5], v[4:5], 0, 2
	v_lshl_add_u64 v[6:7], v[6:7], 0, 2
	s_or_b64 s[44:45], s[44:45], s[48:49]
	s_andn2_b64 s[0:1], s[0:1], exec
	s_or_b64 s[42:43], s[42:43], s[2:3]
                                        ; implicit-def: $sgpr48_sgpr49
	s_branch .LBB1389_95
.LBB1389_98:
	s_or_b64 exec, exec, s[38:39]
	s_xor_b64 s[0:1], s[40:41], -1
	s_branch .LBB1389_100
.LBB1389_99:
	s_mov_b64 s[0:1], -1
.LBB1389_100:
	s_and_b64 s[0:1], s[0:1], exec
.LBB1389_101:
	s_or_b64 exec, exec, s[34:35]
	s_orn2_b64 s[34:35], s[0:1], exec
.LBB1389_102:
	s_or_b64 exec, exec, s[36:37]
	v_cndmask_b32_e64 v4, v34, v38, s[34:35]
	v_cndmask_b32_e64 v5, v24, v1, s[34:35]
	v_add_u32_e32 v6, 1, v4
	v_add_u32_e32 v4, -1, v5
	v_min_u32_e32 v4, v6, v4
	v_lshlrev_b32_e32 v4, 3, v4
	ds_read_b64 v[4:5], v4
	v_cndmask_b32_e64 v35, v6, v34, s[34:35]
	v_cndmask_b32_e64 v34, v38, v6, s[34:35]
	v_cmp_lt_u32_e32 vcc, v35, v24
	s_waitcnt lgkmcnt(0)
	v_cndmask_b32_e64 v32, v5, v12, s[34:35]
	v_cndmask_b32_e64 v33, v4, v30, s[34:35]
	;; [unrolled: 1-line block ×4, first 2 shown]
	s_and_saveexec_b64 s[36:37], vcc
	s_cbranch_execz .LBB1389_113
; %bb.103:
	v_cmp_lt_u32_e32 vcc, v34, v1
	s_mov_b64 s[0:1], 0
	s_and_saveexec_b64 s[30:31], vcc
	s_cbranch_execz .LBB1389_112
; %bb.104:
	s_andn2_b64 vcc, exec, s[12:13]
	s_cbranch_vccnz .LBB1389_110
; %bb.105:
	v_mul_lo_u32 v6, v32, s16
	v_mul_lo_u32 v7, v33, s17
	v_mad_u64_u32 v[4:5], s[0:1], v33, s16, 0
	v_add3_u32 v5, v5, v7, v6
	v_mul_lo_u32 v38, v36, s16
	v_mul_lo_u32 v39, v37, s17
	v_mad_u64_u32 v[6:7], s[0:1], v37, s16, 0
	v_add3_u32 v7, v7, v39, v38
	v_lshl_add_u64 v[4:5], v[4:5], 1, s[18:19]
	v_lshl_add_u64 v[6:7], v[6:7], 1, s[18:19]
	s_mov_b64 s[38:39], 0
	s_mov_b64 s[46:47], s[16:17]
                                        ; implicit-def: $sgpr40_sgpr41
                                        ; implicit-def: $sgpr42_sgpr43
                                        ; implicit-def: $sgpr0_sgpr1
                                        ; implicit-def: $sgpr44_sgpr45
                                        ; implicit-def: $sgpr48_sgpr49
	s_branch .LBB1389_107
.LBB1389_106:                           ;   in Loop: Header=BB1389_107 Depth=1
	s_or_b64 exec, exec, s[50:51]
	s_and_b64 s[2:3], exec, s[42:43]
	s_or_b64 s[38:39], s[2:3], s[38:39]
	s_andn2_b64 s[2:3], s[48:49], exec
	s_and_b64 s[48:49], s[44:45], exec
	s_or_b64 s[48:49], s[2:3], s[48:49]
	s_andn2_b64 s[2:3], s[40:41], exec
	s_and_b64 s[40:41], s[0:1], exec
	s_or_b64 s[40:41], s[2:3], s[40:41]
	s_andn2_b64 exec, exec, s[38:39]
	s_cbranch_execz .LBB1389_109
.LBB1389_107:                           ; =>This Inner Loop Header: Depth=1
	global_load_ushort v38, v[4:5], off
	global_load_ushort v39, v[6:7], off
	s_andn2_b64 s[50:51], s[0:1], exec
	s_andn2_b64 s[44:45], s[44:45], exec
	s_or_b64 s[42:43], s[42:43], exec
	s_waitcnt vmcnt(0)
	v_cmp_le_u16_e64 s[0:1], v38, v39
	v_cmp_lt_u16_e32 vcc, v38, v39
	s_and_b64 s[0:1], s[0:1], s[48:49]
	s_or_b64 s[52:53], vcc, s[0:1]
	s_and_b64 s[0:1], s[52:53], exec
	v_cmp_eq_u16_e64 s[2:3], v38, v39
	s_or_b64 s[0:1], s[50:51], s[0:1]
	s_and_saveexec_b64 s[50:51], s[2:3]
	s_cbranch_execz .LBB1389_106
; %bb.108:                              ;   in Loop: Header=BB1389_107 Depth=1
	s_add_u32 s46, s46, -1
	s_addc_u32 s47, s47, -1
	s_cmp_eq_u64 s[46:47], 0
	s_cselect_b64 s[2:3], -1, 0
	s_andn2_b64 s[44:45], s[44:45], exec
	s_and_b64 s[48:49], s[52:53], exec
	s_andn2_b64 s[42:43], s[42:43], exec
	s_and_b64 s[2:3], s[2:3], exec
	v_lshl_add_u64 v[4:5], v[4:5], 0, 2
	v_lshl_add_u64 v[6:7], v[6:7], 0, 2
	s_or_b64 s[44:45], s[44:45], s[48:49]
	s_andn2_b64 s[0:1], s[0:1], exec
	s_or_b64 s[42:43], s[42:43], s[2:3]
                                        ; implicit-def: $sgpr48_sgpr49
	s_branch .LBB1389_106
.LBB1389_109:
	s_or_b64 exec, exec, s[38:39]
	s_xor_b64 s[0:1], s[40:41], -1
	s_branch .LBB1389_111
.LBB1389_110:
	s_mov_b64 s[0:1], -1
.LBB1389_111:
	s_and_b64 s[0:1], s[0:1], exec
.LBB1389_112:
	s_or_b64 exec, exec, s[30:31]
	s_orn2_b64 s[30:31], s[0:1], exec
.LBB1389_113:
	s_or_b64 exec, exec, s[36:37]
	v_cndmask_b32_e64 v5, v16, v19, s[22:23]
	v_cndmask_b32_e64 v4, v17, v20, s[22:23]
	;; [unrolled: 1-line block ×4, first 2 shown]
	v_add_u32_e32 v19, 1, v16
	v_add_u32_e32 v16, -1, v17
	v_min_u32_e32 v16, v19, v16
	v_lshlrev_b32_e32 v16, 3, v16
	v_cndmask_b32_e64 v7, v21, v23, s[24:25]
	ds_read_b64 v[20:21], v16
	v_cndmask_b32_e64 v6, v22, v25, s[24:25]
	v_cndmask_b32_e64 v22, v19, v35, s[30:31]
	;; [unrolled: 1-line block ×12, first 2 shown]
	s_waitcnt lgkmcnt(0)
	v_cndmask_b32_e64 v17, v36, v21, s[30:31]
	v_cndmask_b32_e64 v16, v37, v20, s[30:31]
	v_cmp_lt_u32_e32 vcc, v22, v24
	s_and_saveexec_b64 s[20:21], vcc
	s_cbranch_execz .LBB1389_123
; %bb.114:
	v_cndmask_b32_e64 v19, v34, v19, s[30:31]
	v_cndmask_b32_e64 v21, v21, v32, s[30:31]
	;; [unrolled: 1-line block ×3, first 2 shown]
	v_cmp_lt_u32_e32 vcc, v19, v1
	s_and_saveexec_b64 s[22:23], vcc
	s_cbranch_execz .LBB1389_122
; %bb.115:
	s_andn2_b64 vcc, exec, s[12:13]
	s_cbranch_vccnz .LBB1389_121
; %bb.116:
	v_mul_lo_u32 v1, v21, s16
	v_mul_lo_u32 v19, v20, s17
	v_mad_u64_u32 v[22:23], s[0:1], v20, s16, 0
	v_add3_u32 v23, v23, v19, v1
	v_mul_lo_u32 v1, v17, s16
	v_mul_lo_u32 v19, v16, s17
	v_mad_u64_u32 v[24:25], s[0:1], v16, s16, 0
	v_add3_u32 v25, v25, v19, v1
	v_lshl_add_u64 v[22:23], v[22:23], 1, s[18:19]
	v_lshl_add_u64 v[24:25], v[24:25], 1, s[18:19]
	s_mov_b64 s[12:13], 0
                                        ; implicit-def: $sgpr18_sgpr19
                                        ; implicit-def: $sgpr24_sgpr25
                                        ; implicit-def: $sgpr0_sgpr1
                                        ; implicit-def: $sgpr26_sgpr27
                                        ; implicit-def: $sgpr28_sgpr29
	s_branch .LBB1389_118
.LBB1389_117:                           ;   in Loop: Header=BB1389_118 Depth=1
	s_or_b64 exec, exec, s[30:31]
	s_and_b64 s[2:3], exec, s[24:25]
	s_or_b64 s[12:13], s[2:3], s[12:13]
	s_andn2_b64 s[2:3], s[28:29], exec
	s_and_b64 s[28:29], s[26:27], exec
	s_or_b64 s[28:29], s[2:3], s[28:29]
	s_andn2_b64 s[2:3], s[18:19], exec
	s_and_b64 s[18:19], s[0:1], exec
	s_or_b64 s[18:19], s[2:3], s[18:19]
	s_andn2_b64 exec, exec, s[12:13]
	s_cbranch_execz .LBB1389_120
.LBB1389_118:                           ; =>This Inner Loop Header: Depth=1
	global_load_ushort v1, v[22:23], off
	global_load_ushort v19, v[24:25], off
	s_andn2_b64 s[30:31], s[0:1], exec
	s_andn2_b64 s[26:27], s[26:27], exec
	s_or_b64 s[24:25], s[24:25], exec
	s_waitcnt vmcnt(0)
	v_cmp_le_u16_e64 s[0:1], v1, v19
	v_cmp_lt_u16_e32 vcc, v1, v19
	s_and_b64 s[0:1], s[0:1], s[28:29]
	s_or_b64 s[34:35], vcc, s[0:1]
	s_and_b64 s[0:1], s[34:35], exec
	v_cmp_eq_u16_e64 s[2:3], v1, v19
	s_or_b64 s[0:1], s[30:31], s[0:1]
	s_and_saveexec_b64 s[30:31], s[2:3]
	s_cbranch_execz .LBB1389_117
; %bb.119:                              ;   in Loop: Header=BB1389_118 Depth=1
	s_add_u32 s16, s16, -1
	s_addc_u32 s17, s17, -1
	s_cmp_eq_u64 s[16:17], 0
	s_cselect_b64 s[2:3], -1, 0
	s_andn2_b64 s[26:27], s[26:27], exec
	s_and_b64 s[28:29], s[34:35], exec
	s_andn2_b64 s[24:25], s[24:25], exec
	s_and_b64 s[2:3], s[2:3], exec
	v_lshl_add_u64 v[22:23], v[22:23], 0, 2
	v_lshl_add_u64 v[24:25], v[24:25], 0, 2
	s_or_b64 s[26:27], s[26:27], s[28:29]
	s_andn2_b64 s[0:1], s[0:1], exec
	s_or_b64 s[24:25], s[24:25], s[2:3]
                                        ; implicit-def: $sgpr28_sgpr29
	s_branch .LBB1389_117
.LBB1389_120:
	s_or_b64 exec, exec, s[12:13]
	v_cndmask_b32_e64 v17, v17, v21, s[18:19]
	v_cndmask_b32_e64 v16, v16, v20, s[18:19]
.LBB1389_121:
	v_mov_b64_e32 v[20:21], v[16:17]
.LBB1389_122:
	s_or_b64 exec, exec, s[22:23]
	v_mov_b64_e32 v[16:17], v[20:21]
.LBB1389_123:
	s_or_b64 exec, exec, s[20:21]
.LBB1389_124:
	s_or_b64 exec, exec, s[4:5]
	v_lshrrev_b32_e32 v1, 2, v0
	v_lshlrev_b32_e32 v19, 3, v18
	v_lshl_add_u32 v19, v1, 3, v19
	v_and_b32_e32 v1, 24, v1
	v_or_b32_e32 v25, 0x80, v0
	v_add_u32_e32 v26, v18, v1
	v_lshrrev_b32_e32 v1, 2, v25
	v_and_b32_e32 v1, 56, v1
	v_or_b32_e32 v24, 0x100, v0
	s_barrier
	s_barrier
	ds_write2_b64 v19, v[2:3], v[4:5] offset1:1
	ds_write2_b64 v19, v[6:7], v[8:9] offset0:2 offset1:3
	ds_write2_b64 v19, v[10:11], v[12:13] offset0:4 offset1:5
	;; [unrolled: 1-line block ×3, first 2 shown]
	v_add_u32_e32 v6, v18, v1
	v_lshrrev_b32_e32 v1, 2, v24
	v_and_b32_e32 v1, 0x58, v1
	v_or_b32_e32 v23, 0x180, v0
	v_add_u32_e32 v7, v18, v1
	v_lshrrev_b32_e32 v1, 2, v23
	v_and_b32_e32 v1, 0x78, v1
	v_or_b32_e32 v22, 0x200, v0
	v_add_u32_e32 v8, v18, v1
	v_lshrrev_b32_e32 v1, 2, v22
	v_and_b32_e32 v1, 0x98, v1
	v_or_b32_e32 v21, 0x280, v0
	v_add_u32_e32 v9, v18, v1
	v_lshrrev_b32_e32 v1, 2, v21
	v_and_b32_e32 v1, 0xb8, v1
	v_or_b32_e32 v20, 0x300, v0
	v_add_u32_e32 v27, v18, v1
	v_lshrrev_b32_e32 v1, 2, v20
	v_and_b32_e32 v1, 0xd8, v1
	s_lshl_b64 s[0:1], s[6:7], 3
	v_add_u32_e32 v28, v18, v1
	v_or_b32_e32 v1, 0x380, v0
	s_add_u32 s0, s14, s0
	v_lshrrev_b32_e32 v2, 2, v1
	s_addc_u32 s1, s15, s1
	v_and_b32_e32 v2, 0xf8, v2
	v_mov_b32_e32 v19, 0
	v_add_u32_e32 v29, v18, v2
	v_lshl_add_u64 v[2:3], s[0:1], 0, v[18:19]
	s_and_b64 vcc, exec, s[10:11]
	s_waitcnt lgkmcnt(0)
	s_cbranch_vccz .LBB1389_126
; %bb.125:
	s_barrier
	ds_read_b64 v[10:11], v26
	ds_read_b64 v[12:13], v6 offset:1024
	ds_read_b64 v[14:15], v7 offset:2048
	;; [unrolled: 1-line block ×7, first 2 shown]
	s_waitcnt lgkmcnt(7)
	global_store_dwordx2 v[2:3], v[10:11], off
	s_waitcnt lgkmcnt(6)
	global_store_dwordx2 v[2:3], v[12:13], off offset:1024
	s_waitcnt lgkmcnt(5)
	global_store_dwordx2 v[2:3], v[14:15], off offset:2048
	;; [unrolled: 2-line block ×3, first 2 shown]
	v_add_co_u32_e32 v10, vcc, 0x1000, v2
	s_nop 1
	v_addc_co_u32_e32 v11, vcc, 0, v3, vcc
	s_waitcnt lgkmcnt(3)
	global_store_dwordx2 v[10:11], v[18:19], off
	s_waitcnt lgkmcnt(2)
	global_store_dwordx2 v[10:11], v[30:31], off offset:1024
	s_waitcnt lgkmcnt(1)
	global_store_dwordx2 v[10:11], v[32:33], off offset:2048
	s_mov_b64 s[0:1], -1
	s_cbranch_execz .LBB1389_127
	s_branch .LBB1389_136
.LBB1389_126:
	s_mov_b64 s[0:1], 0
                                        ; implicit-def: $vgpr4_vgpr5
.LBB1389_127:
	s_barrier
	s_waitcnt lgkmcnt(0)
	ds_read_b64 v[16:17], v6 offset:1024
	ds_read_b64 v[14:15], v7 offset:2048
	;; [unrolled: 1-line block ×7, first 2 shown]
	s_sub_i32 s2, s8, s6
	v_cmp_gt_u32_e32 vcc, s2, v0
	s_and_saveexec_b64 s[0:1], vcc
	s_cbranch_execnz .LBB1389_139
; %bb.128:
	s_or_b64 exec, exec, s[0:1]
	v_cmp_gt_u32_e32 vcc, s2, v25
	s_and_saveexec_b64 s[0:1], vcc
	s_cbranch_execnz .LBB1389_140
.LBB1389_129:
	s_or_b64 exec, exec, s[0:1]
	v_cmp_gt_u32_e32 vcc, s2, v24
	s_and_saveexec_b64 s[0:1], vcc
	s_cbranch_execnz .LBB1389_141
.LBB1389_130:
	s_or_b64 exec, exec, s[0:1]
	v_cmp_gt_u32_e32 vcc, s2, v23
	s_and_saveexec_b64 s[0:1], vcc
	s_cbranch_execnz .LBB1389_142
.LBB1389_131:
	s_or_b64 exec, exec, s[0:1]
	v_cmp_gt_u32_e32 vcc, s2, v22
	s_and_saveexec_b64 s[0:1], vcc
	s_cbranch_execnz .LBB1389_143
.LBB1389_132:
	s_or_b64 exec, exec, s[0:1]
	v_cmp_gt_u32_e32 vcc, s2, v21
	s_and_saveexec_b64 s[0:1], vcc
	s_cbranch_execnz .LBB1389_144
.LBB1389_133:
	s_or_b64 exec, exec, s[0:1]
	v_cmp_gt_u32_e32 vcc, s2, v20
	s_and_saveexec_b64 s[0:1], vcc
	s_cbranch_execz .LBB1389_135
.LBB1389_134:
	s_waitcnt lgkmcnt(2)
	v_add_co_u32_e32 v8, vcc, 0x1000, v2
	s_nop 1
	v_addc_co_u32_e32 v9, vcc, 0, v3, vcc
	s_waitcnt lgkmcnt(1)
	global_store_dwordx2 v[8:9], v[6:7], off offset:2048
.LBB1389_135:
	s_or_b64 exec, exec, s[0:1]
	v_cmp_gt_u32_e64 s[0:1], s2, v1
.LBB1389_136:
	s_and_saveexec_b64 s[2:3], s[0:1]
	s_cbranch_execz .LBB1389_138
; %bb.137:
	v_add_co_u32_e32 v0, vcc, 0x1000, v2
	s_nop 1
	v_addc_co_u32_e32 v1, vcc, 0, v3, vcc
	s_waitcnt lgkmcnt(0)
	global_store_dwordx2 v[0:1], v[4:5], off offset:3072
.LBB1389_138:
	s_endpgm
.LBB1389_139:
	ds_read_b64 v[18:19], v26
	s_waitcnt lgkmcnt(0)
	global_store_dwordx2 v[2:3], v[18:19], off
	s_or_b64 exec, exec, s[0:1]
	v_cmp_gt_u32_e32 vcc, s2, v25
	s_and_saveexec_b64 s[0:1], vcc
	s_cbranch_execz .LBB1389_129
.LBB1389_140:
	s_waitcnt lgkmcnt(6)
	global_store_dwordx2 v[2:3], v[16:17], off offset:1024
	s_or_b64 exec, exec, s[0:1]
	v_cmp_gt_u32_e32 vcc, s2, v24
	s_and_saveexec_b64 s[0:1], vcc
	s_cbranch_execz .LBB1389_130
.LBB1389_141:
	s_waitcnt lgkmcnt(5)
	global_store_dwordx2 v[2:3], v[14:15], off offset:2048
	s_or_b64 exec, exec, s[0:1]
	v_cmp_gt_u32_e32 vcc, s2, v23
	s_and_saveexec_b64 s[0:1], vcc
	s_cbranch_execz .LBB1389_131
.LBB1389_142:
	s_waitcnt lgkmcnt(4)
	global_store_dwordx2 v[2:3], v[12:13], off offset:3072
	s_or_b64 exec, exec, s[0:1]
	v_cmp_gt_u32_e32 vcc, s2, v22
	s_and_saveexec_b64 s[0:1], vcc
	s_cbranch_execz .LBB1389_132
.LBB1389_143:
	s_waitcnt lgkmcnt(4)
	v_add_co_u32_e32 v12, vcc, 0x1000, v2
	s_nop 1
	v_addc_co_u32_e32 v13, vcc, 0, v3, vcc
	s_waitcnt lgkmcnt(3)
	global_store_dwordx2 v[12:13], v[10:11], off
	s_or_b64 exec, exec, s[0:1]
	v_cmp_gt_u32_e32 vcc, s2, v21
	s_and_saveexec_b64 s[0:1], vcc
	s_cbranch_execz .LBB1389_133
.LBB1389_144:
	s_waitcnt lgkmcnt(3)
	v_add_co_u32_e32 v10, vcc, 0x1000, v2
	s_nop 1
	v_addc_co_u32_e32 v11, vcc, 0, v3, vcc
	s_waitcnt lgkmcnt(2)
	global_store_dwordx2 v[10:11], v[8:9], off offset:1024
	s_or_b64 exec, exec, s[0:1]
	v_cmp_gt_u32_e32 vcc, s2, v20
	s_and_saveexec_b64 s[0:1], vcc
	s_cbranch_execnz .LBB1389_134
	s_branch .LBB1389_135
	.section	.rodata,"a",@progbits
	.p2align	6, 0x0
	.amdhsa_kernel _ZN7rocprim17ROCPRIM_400000_NS6detail17trampoline_kernelINS0_14default_configENS1_38merge_sort_block_merge_config_selectorIlNS0_10empty_typeEEEZZNS1_27merge_sort_block_merge_implIS3_PlPS5_mZN2at6native12_GLOBAL__N_124unique_dim_cuda_templateItEESt5tupleIJNSA_6TensorESF_SF_EERKSF_lbbbEUlllE_EE10hipError_tT0_T1_T2_jT3_P12ihipStream_tbPNSt15iterator_traitsISL_E10value_typeEPNSR_ISM_E10value_typeEPSN_NS1_7vsmem_tEENKUlT_SL_SM_SN_E_clIS8_S8_S9_S9_EESK_S10_SL_SM_SN_EUlS10_E0_NS1_11comp_targetILNS1_3genE5ELNS1_11target_archE942ELNS1_3gpuE9ELNS1_3repE0EEENS1_38merge_mergepath_config_static_selectorELNS0_4arch9wavefront6targetE1EEEvSM_
		.amdhsa_group_segment_fixed_size 8448
		.amdhsa_private_segment_fixed_size 0
		.amdhsa_kernarg_size 344
		.amdhsa_user_sgpr_count 2
		.amdhsa_user_sgpr_dispatch_ptr 0
		.amdhsa_user_sgpr_queue_ptr 0
		.amdhsa_user_sgpr_kernarg_segment_ptr 1
		.amdhsa_user_sgpr_dispatch_id 0
		.amdhsa_user_sgpr_kernarg_preload_length 0
		.amdhsa_user_sgpr_kernarg_preload_offset 0
		.amdhsa_user_sgpr_private_segment_size 0
		.amdhsa_uses_dynamic_stack 0
		.amdhsa_enable_private_segment 0
		.amdhsa_system_sgpr_workgroup_id_x 1
		.amdhsa_system_sgpr_workgroup_id_y 1
		.amdhsa_system_sgpr_workgroup_id_z 1
		.amdhsa_system_sgpr_workgroup_info 0
		.amdhsa_system_vgpr_workitem_id 0
		.amdhsa_next_free_vgpr 40
		.amdhsa_next_free_sgpr 54
		.amdhsa_accum_offset 40
		.amdhsa_reserve_vcc 1
		.amdhsa_float_round_mode_32 0
		.amdhsa_float_round_mode_16_64 0
		.amdhsa_float_denorm_mode_32 3
		.amdhsa_float_denorm_mode_16_64 3
		.amdhsa_dx10_clamp 1
		.amdhsa_ieee_mode 1
		.amdhsa_fp16_overflow 0
		.amdhsa_tg_split 0
		.amdhsa_exception_fp_ieee_invalid_op 0
		.amdhsa_exception_fp_denorm_src 0
		.amdhsa_exception_fp_ieee_div_zero 0
		.amdhsa_exception_fp_ieee_overflow 0
		.amdhsa_exception_fp_ieee_underflow 0
		.amdhsa_exception_fp_ieee_inexact 0
		.amdhsa_exception_int_div_zero 0
	.end_amdhsa_kernel
	.section	.text._ZN7rocprim17ROCPRIM_400000_NS6detail17trampoline_kernelINS0_14default_configENS1_38merge_sort_block_merge_config_selectorIlNS0_10empty_typeEEEZZNS1_27merge_sort_block_merge_implIS3_PlPS5_mZN2at6native12_GLOBAL__N_124unique_dim_cuda_templateItEESt5tupleIJNSA_6TensorESF_SF_EERKSF_lbbbEUlllE_EE10hipError_tT0_T1_T2_jT3_P12ihipStream_tbPNSt15iterator_traitsISL_E10value_typeEPNSR_ISM_E10value_typeEPSN_NS1_7vsmem_tEENKUlT_SL_SM_SN_E_clIS8_S8_S9_S9_EESK_S10_SL_SM_SN_EUlS10_E0_NS1_11comp_targetILNS1_3genE5ELNS1_11target_archE942ELNS1_3gpuE9ELNS1_3repE0EEENS1_38merge_mergepath_config_static_selectorELNS0_4arch9wavefront6targetE1EEEvSM_,"axG",@progbits,_ZN7rocprim17ROCPRIM_400000_NS6detail17trampoline_kernelINS0_14default_configENS1_38merge_sort_block_merge_config_selectorIlNS0_10empty_typeEEEZZNS1_27merge_sort_block_merge_implIS3_PlPS5_mZN2at6native12_GLOBAL__N_124unique_dim_cuda_templateItEESt5tupleIJNSA_6TensorESF_SF_EERKSF_lbbbEUlllE_EE10hipError_tT0_T1_T2_jT3_P12ihipStream_tbPNSt15iterator_traitsISL_E10value_typeEPNSR_ISM_E10value_typeEPSN_NS1_7vsmem_tEENKUlT_SL_SM_SN_E_clIS8_S8_S9_S9_EESK_S10_SL_SM_SN_EUlS10_E0_NS1_11comp_targetILNS1_3genE5ELNS1_11target_archE942ELNS1_3gpuE9ELNS1_3repE0EEENS1_38merge_mergepath_config_static_selectorELNS0_4arch9wavefront6targetE1EEEvSM_,comdat
.Lfunc_end1389:
	.size	_ZN7rocprim17ROCPRIM_400000_NS6detail17trampoline_kernelINS0_14default_configENS1_38merge_sort_block_merge_config_selectorIlNS0_10empty_typeEEEZZNS1_27merge_sort_block_merge_implIS3_PlPS5_mZN2at6native12_GLOBAL__N_124unique_dim_cuda_templateItEESt5tupleIJNSA_6TensorESF_SF_EERKSF_lbbbEUlllE_EE10hipError_tT0_T1_T2_jT3_P12ihipStream_tbPNSt15iterator_traitsISL_E10value_typeEPNSR_ISM_E10value_typeEPSN_NS1_7vsmem_tEENKUlT_SL_SM_SN_E_clIS8_S8_S9_S9_EESK_S10_SL_SM_SN_EUlS10_E0_NS1_11comp_targetILNS1_3genE5ELNS1_11target_archE942ELNS1_3gpuE9ELNS1_3repE0EEENS1_38merge_mergepath_config_static_selectorELNS0_4arch9wavefront6targetE1EEEvSM_, .Lfunc_end1389-_ZN7rocprim17ROCPRIM_400000_NS6detail17trampoline_kernelINS0_14default_configENS1_38merge_sort_block_merge_config_selectorIlNS0_10empty_typeEEEZZNS1_27merge_sort_block_merge_implIS3_PlPS5_mZN2at6native12_GLOBAL__N_124unique_dim_cuda_templateItEESt5tupleIJNSA_6TensorESF_SF_EERKSF_lbbbEUlllE_EE10hipError_tT0_T1_T2_jT3_P12ihipStream_tbPNSt15iterator_traitsISL_E10value_typeEPNSR_ISM_E10value_typeEPSN_NS1_7vsmem_tEENKUlT_SL_SM_SN_E_clIS8_S8_S9_S9_EESK_S10_SL_SM_SN_EUlS10_E0_NS1_11comp_targetILNS1_3genE5ELNS1_11target_archE942ELNS1_3gpuE9ELNS1_3repE0EEENS1_38merge_mergepath_config_static_selectorELNS0_4arch9wavefront6targetE1EEEvSM_
                                        ; -- End function
	.section	.AMDGPU.csdata,"",@progbits
; Kernel info:
; codeLenInByte = 6584
; NumSgprs: 60
; NumVgprs: 40
; NumAgprs: 0
; TotalNumVgprs: 40
; ScratchSize: 0
; MemoryBound: 0
; FloatMode: 240
; IeeeMode: 1
; LDSByteSize: 8448 bytes/workgroup (compile time only)
; SGPRBlocks: 7
; VGPRBlocks: 4
; NumSGPRsForWavesPerEU: 60
; NumVGPRsForWavesPerEU: 40
; AccumOffset: 40
; Occupancy: 4
; WaveLimiterHint : 1
; COMPUTE_PGM_RSRC2:SCRATCH_EN: 0
; COMPUTE_PGM_RSRC2:USER_SGPR: 2
; COMPUTE_PGM_RSRC2:TRAP_HANDLER: 0
; COMPUTE_PGM_RSRC2:TGID_X_EN: 1
; COMPUTE_PGM_RSRC2:TGID_Y_EN: 1
; COMPUTE_PGM_RSRC2:TGID_Z_EN: 1
; COMPUTE_PGM_RSRC2:TIDIG_COMP_CNT: 0
; COMPUTE_PGM_RSRC3_GFX90A:ACCUM_OFFSET: 9
; COMPUTE_PGM_RSRC3_GFX90A:TG_SPLIT: 0
	.section	.text._ZN7rocprim17ROCPRIM_400000_NS6detail17trampoline_kernelINS0_14default_configENS1_38merge_sort_block_merge_config_selectorIlNS0_10empty_typeEEEZZNS1_27merge_sort_block_merge_implIS3_PlPS5_mZN2at6native12_GLOBAL__N_124unique_dim_cuda_templateItEESt5tupleIJNSA_6TensorESF_SF_EERKSF_lbbbEUlllE_EE10hipError_tT0_T1_T2_jT3_P12ihipStream_tbPNSt15iterator_traitsISL_E10value_typeEPNSR_ISM_E10value_typeEPSN_NS1_7vsmem_tEENKUlT_SL_SM_SN_E_clIS8_S8_S9_S9_EESK_S10_SL_SM_SN_EUlS10_E0_NS1_11comp_targetILNS1_3genE4ELNS1_11target_archE910ELNS1_3gpuE8ELNS1_3repE0EEENS1_38merge_mergepath_config_static_selectorELNS0_4arch9wavefront6targetE1EEEvSM_,"axG",@progbits,_ZN7rocprim17ROCPRIM_400000_NS6detail17trampoline_kernelINS0_14default_configENS1_38merge_sort_block_merge_config_selectorIlNS0_10empty_typeEEEZZNS1_27merge_sort_block_merge_implIS3_PlPS5_mZN2at6native12_GLOBAL__N_124unique_dim_cuda_templateItEESt5tupleIJNSA_6TensorESF_SF_EERKSF_lbbbEUlllE_EE10hipError_tT0_T1_T2_jT3_P12ihipStream_tbPNSt15iterator_traitsISL_E10value_typeEPNSR_ISM_E10value_typeEPSN_NS1_7vsmem_tEENKUlT_SL_SM_SN_E_clIS8_S8_S9_S9_EESK_S10_SL_SM_SN_EUlS10_E0_NS1_11comp_targetILNS1_3genE4ELNS1_11target_archE910ELNS1_3gpuE8ELNS1_3repE0EEENS1_38merge_mergepath_config_static_selectorELNS0_4arch9wavefront6targetE1EEEvSM_,comdat
	.globl	_ZN7rocprim17ROCPRIM_400000_NS6detail17trampoline_kernelINS0_14default_configENS1_38merge_sort_block_merge_config_selectorIlNS0_10empty_typeEEEZZNS1_27merge_sort_block_merge_implIS3_PlPS5_mZN2at6native12_GLOBAL__N_124unique_dim_cuda_templateItEESt5tupleIJNSA_6TensorESF_SF_EERKSF_lbbbEUlllE_EE10hipError_tT0_T1_T2_jT3_P12ihipStream_tbPNSt15iterator_traitsISL_E10value_typeEPNSR_ISM_E10value_typeEPSN_NS1_7vsmem_tEENKUlT_SL_SM_SN_E_clIS8_S8_S9_S9_EESK_S10_SL_SM_SN_EUlS10_E0_NS1_11comp_targetILNS1_3genE4ELNS1_11target_archE910ELNS1_3gpuE8ELNS1_3repE0EEENS1_38merge_mergepath_config_static_selectorELNS0_4arch9wavefront6targetE1EEEvSM_ ; -- Begin function _ZN7rocprim17ROCPRIM_400000_NS6detail17trampoline_kernelINS0_14default_configENS1_38merge_sort_block_merge_config_selectorIlNS0_10empty_typeEEEZZNS1_27merge_sort_block_merge_implIS3_PlPS5_mZN2at6native12_GLOBAL__N_124unique_dim_cuda_templateItEESt5tupleIJNSA_6TensorESF_SF_EERKSF_lbbbEUlllE_EE10hipError_tT0_T1_T2_jT3_P12ihipStream_tbPNSt15iterator_traitsISL_E10value_typeEPNSR_ISM_E10value_typeEPSN_NS1_7vsmem_tEENKUlT_SL_SM_SN_E_clIS8_S8_S9_S9_EESK_S10_SL_SM_SN_EUlS10_E0_NS1_11comp_targetILNS1_3genE4ELNS1_11target_archE910ELNS1_3gpuE8ELNS1_3repE0EEENS1_38merge_mergepath_config_static_selectorELNS0_4arch9wavefront6targetE1EEEvSM_
	.p2align	8
	.type	_ZN7rocprim17ROCPRIM_400000_NS6detail17trampoline_kernelINS0_14default_configENS1_38merge_sort_block_merge_config_selectorIlNS0_10empty_typeEEEZZNS1_27merge_sort_block_merge_implIS3_PlPS5_mZN2at6native12_GLOBAL__N_124unique_dim_cuda_templateItEESt5tupleIJNSA_6TensorESF_SF_EERKSF_lbbbEUlllE_EE10hipError_tT0_T1_T2_jT3_P12ihipStream_tbPNSt15iterator_traitsISL_E10value_typeEPNSR_ISM_E10value_typeEPSN_NS1_7vsmem_tEENKUlT_SL_SM_SN_E_clIS8_S8_S9_S9_EESK_S10_SL_SM_SN_EUlS10_E0_NS1_11comp_targetILNS1_3genE4ELNS1_11target_archE910ELNS1_3gpuE8ELNS1_3repE0EEENS1_38merge_mergepath_config_static_selectorELNS0_4arch9wavefront6targetE1EEEvSM_,@function
_ZN7rocprim17ROCPRIM_400000_NS6detail17trampoline_kernelINS0_14default_configENS1_38merge_sort_block_merge_config_selectorIlNS0_10empty_typeEEEZZNS1_27merge_sort_block_merge_implIS3_PlPS5_mZN2at6native12_GLOBAL__N_124unique_dim_cuda_templateItEESt5tupleIJNSA_6TensorESF_SF_EERKSF_lbbbEUlllE_EE10hipError_tT0_T1_T2_jT3_P12ihipStream_tbPNSt15iterator_traitsISL_E10value_typeEPNSR_ISM_E10value_typeEPSN_NS1_7vsmem_tEENKUlT_SL_SM_SN_E_clIS8_S8_S9_S9_EESK_S10_SL_SM_SN_EUlS10_E0_NS1_11comp_targetILNS1_3genE4ELNS1_11target_archE910ELNS1_3gpuE8ELNS1_3repE0EEENS1_38merge_mergepath_config_static_selectorELNS0_4arch9wavefront6targetE1EEEvSM_: ; @_ZN7rocprim17ROCPRIM_400000_NS6detail17trampoline_kernelINS0_14default_configENS1_38merge_sort_block_merge_config_selectorIlNS0_10empty_typeEEEZZNS1_27merge_sort_block_merge_implIS3_PlPS5_mZN2at6native12_GLOBAL__N_124unique_dim_cuda_templateItEESt5tupleIJNSA_6TensorESF_SF_EERKSF_lbbbEUlllE_EE10hipError_tT0_T1_T2_jT3_P12ihipStream_tbPNSt15iterator_traitsISL_E10value_typeEPNSR_ISM_E10value_typeEPSN_NS1_7vsmem_tEENKUlT_SL_SM_SN_E_clIS8_S8_S9_S9_EESK_S10_SL_SM_SN_EUlS10_E0_NS1_11comp_targetILNS1_3genE4ELNS1_11target_archE910ELNS1_3gpuE8ELNS1_3repE0EEENS1_38merge_mergepath_config_static_selectorELNS0_4arch9wavefront6targetE1EEEvSM_
; %bb.0:
	.section	.rodata,"a",@progbits
	.p2align	6, 0x0
	.amdhsa_kernel _ZN7rocprim17ROCPRIM_400000_NS6detail17trampoline_kernelINS0_14default_configENS1_38merge_sort_block_merge_config_selectorIlNS0_10empty_typeEEEZZNS1_27merge_sort_block_merge_implIS3_PlPS5_mZN2at6native12_GLOBAL__N_124unique_dim_cuda_templateItEESt5tupleIJNSA_6TensorESF_SF_EERKSF_lbbbEUlllE_EE10hipError_tT0_T1_T2_jT3_P12ihipStream_tbPNSt15iterator_traitsISL_E10value_typeEPNSR_ISM_E10value_typeEPSN_NS1_7vsmem_tEENKUlT_SL_SM_SN_E_clIS8_S8_S9_S9_EESK_S10_SL_SM_SN_EUlS10_E0_NS1_11comp_targetILNS1_3genE4ELNS1_11target_archE910ELNS1_3gpuE8ELNS1_3repE0EEENS1_38merge_mergepath_config_static_selectorELNS0_4arch9wavefront6targetE1EEEvSM_
		.amdhsa_group_segment_fixed_size 0
		.amdhsa_private_segment_fixed_size 0
		.amdhsa_kernarg_size 88
		.amdhsa_user_sgpr_count 2
		.amdhsa_user_sgpr_dispatch_ptr 0
		.amdhsa_user_sgpr_queue_ptr 0
		.amdhsa_user_sgpr_kernarg_segment_ptr 1
		.amdhsa_user_sgpr_dispatch_id 0
		.amdhsa_user_sgpr_kernarg_preload_length 0
		.amdhsa_user_sgpr_kernarg_preload_offset 0
		.amdhsa_user_sgpr_private_segment_size 0
		.amdhsa_uses_dynamic_stack 0
		.amdhsa_enable_private_segment 0
		.amdhsa_system_sgpr_workgroup_id_x 1
		.amdhsa_system_sgpr_workgroup_id_y 0
		.amdhsa_system_sgpr_workgroup_id_z 0
		.amdhsa_system_sgpr_workgroup_info 0
		.amdhsa_system_vgpr_workitem_id 0
		.amdhsa_next_free_vgpr 1
		.amdhsa_next_free_sgpr 0
		.amdhsa_accum_offset 4
		.amdhsa_reserve_vcc 0
		.amdhsa_float_round_mode_32 0
		.amdhsa_float_round_mode_16_64 0
		.amdhsa_float_denorm_mode_32 3
		.amdhsa_float_denorm_mode_16_64 3
		.amdhsa_dx10_clamp 1
		.amdhsa_ieee_mode 1
		.amdhsa_fp16_overflow 0
		.amdhsa_tg_split 0
		.amdhsa_exception_fp_ieee_invalid_op 0
		.amdhsa_exception_fp_denorm_src 0
		.amdhsa_exception_fp_ieee_div_zero 0
		.amdhsa_exception_fp_ieee_overflow 0
		.amdhsa_exception_fp_ieee_underflow 0
		.amdhsa_exception_fp_ieee_inexact 0
		.amdhsa_exception_int_div_zero 0
	.end_amdhsa_kernel
	.section	.text._ZN7rocprim17ROCPRIM_400000_NS6detail17trampoline_kernelINS0_14default_configENS1_38merge_sort_block_merge_config_selectorIlNS0_10empty_typeEEEZZNS1_27merge_sort_block_merge_implIS3_PlPS5_mZN2at6native12_GLOBAL__N_124unique_dim_cuda_templateItEESt5tupleIJNSA_6TensorESF_SF_EERKSF_lbbbEUlllE_EE10hipError_tT0_T1_T2_jT3_P12ihipStream_tbPNSt15iterator_traitsISL_E10value_typeEPNSR_ISM_E10value_typeEPSN_NS1_7vsmem_tEENKUlT_SL_SM_SN_E_clIS8_S8_S9_S9_EESK_S10_SL_SM_SN_EUlS10_E0_NS1_11comp_targetILNS1_3genE4ELNS1_11target_archE910ELNS1_3gpuE8ELNS1_3repE0EEENS1_38merge_mergepath_config_static_selectorELNS0_4arch9wavefront6targetE1EEEvSM_,"axG",@progbits,_ZN7rocprim17ROCPRIM_400000_NS6detail17trampoline_kernelINS0_14default_configENS1_38merge_sort_block_merge_config_selectorIlNS0_10empty_typeEEEZZNS1_27merge_sort_block_merge_implIS3_PlPS5_mZN2at6native12_GLOBAL__N_124unique_dim_cuda_templateItEESt5tupleIJNSA_6TensorESF_SF_EERKSF_lbbbEUlllE_EE10hipError_tT0_T1_T2_jT3_P12ihipStream_tbPNSt15iterator_traitsISL_E10value_typeEPNSR_ISM_E10value_typeEPSN_NS1_7vsmem_tEENKUlT_SL_SM_SN_E_clIS8_S8_S9_S9_EESK_S10_SL_SM_SN_EUlS10_E0_NS1_11comp_targetILNS1_3genE4ELNS1_11target_archE910ELNS1_3gpuE8ELNS1_3repE0EEENS1_38merge_mergepath_config_static_selectorELNS0_4arch9wavefront6targetE1EEEvSM_,comdat
.Lfunc_end1390:
	.size	_ZN7rocprim17ROCPRIM_400000_NS6detail17trampoline_kernelINS0_14default_configENS1_38merge_sort_block_merge_config_selectorIlNS0_10empty_typeEEEZZNS1_27merge_sort_block_merge_implIS3_PlPS5_mZN2at6native12_GLOBAL__N_124unique_dim_cuda_templateItEESt5tupleIJNSA_6TensorESF_SF_EERKSF_lbbbEUlllE_EE10hipError_tT0_T1_T2_jT3_P12ihipStream_tbPNSt15iterator_traitsISL_E10value_typeEPNSR_ISM_E10value_typeEPSN_NS1_7vsmem_tEENKUlT_SL_SM_SN_E_clIS8_S8_S9_S9_EESK_S10_SL_SM_SN_EUlS10_E0_NS1_11comp_targetILNS1_3genE4ELNS1_11target_archE910ELNS1_3gpuE8ELNS1_3repE0EEENS1_38merge_mergepath_config_static_selectorELNS0_4arch9wavefront6targetE1EEEvSM_, .Lfunc_end1390-_ZN7rocprim17ROCPRIM_400000_NS6detail17trampoline_kernelINS0_14default_configENS1_38merge_sort_block_merge_config_selectorIlNS0_10empty_typeEEEZZNS1_27merge_sort_block_merge_implIS3_PlPS5_mZN2at6native12_GLOBAL__N_124unique_dim_cuda_templateItEESt5tupleIJNSA_6TensorESF_SF_EERKSF_lbbbEUlllE_EE10hipError_tT0_T1_T2_jT3_P12ihipStream_tbPNSt15iterator_traitsISL_E10value_typeEPNSR_ISM_E10value_typeEPSN_NS1_7vsmem_tEENKUlT_SL_SM_SN_E_clIS8_S8_S9_S9_EESK_S10_SL_SM_SN_EUlS10_E0_NS1_11comp_targetILNS1_3genE4ELNS1_11target_archE910ELNS1_3gpuE8ELNS1_3repE0EEENS1_38merge_mergepath_config_static_selectorELNS0_4arch9wavefront6targetE1EEEvSM_
                                        ; -- End function
	.section	.AMDGPU.csdata,"",@progbits
; Kernel info:
; codeLenInByte = 0
; NumSgprs: 6
; NumVgprs: 0
; NumAgprs: 0
; TotalNumVgprs: 0
; ScratchSize: 0
; MemoryBound: 0
; FloatMode: 240
; IeeeMode: 1
; LDSByteSize: 0 bytes/workgroup (compile time only)
; SGPRBlocks: 0
; VGPRBlocks: 0
; NumSGPRsForWavesPerEU: 6
; NumVGPRsForWavesPerEU: 1
; AccumOffset: 4
; Occupancy: 8
; WaveLimiterHint : 0
; COMPUTE_PGM_RSRC2:SCRATCH_EN: 0
; COMPUTE_PGM_RSRC2:USER_SGPR: 2
; COMPUTE_PGM_RSRC2:TRAP_HANDLER: 0
; COMPUTE_PGM_RSRC2:TGID_X_EN: 1
; COMPUTE_PGM_RSRC2:TGID_Y_EN: 0
; COMPUTE_PGM_RSRC2:TGID_Z_EN: 0
; COMPUTE_PGM_RSRC2:TIDIG_COMP_CNT: 0
; COMPUTE_PGM_RSRC3_GFX90A:ACCUM_OFFSET: 0
; COMPUTE_PGM_RSRC3_GFX90A:TG_SPLIT: 0
	.section	.text._ZN7rocprim17ROCPRIM_400000_NS6detail17trampoline_kernelINS0_14default_configENS1_38merge_sort_block_merge_config_selectorIlNS0_10empty_typeEEEZZNS1_27merge_sort_block_merge_implIS3_PlPS5_mZN2at6native12_GLOBAL__N_124unique_dim_cuda_templateItEESt5tupleIJNSA_6TensorESF_SF_EERKSF_lbbbEUlllE_EE10hipError_tT0_T1_T2_jT3_P12ihipStream_tbPNSt15iterator_traitsISL_E10value_typeEPNSR_ISM_E10value_typeEPSN_NS1_7vsmem_tEENKUlT_SL_SM_SN_E_clIS8_S8_S9_S9_EESK_S10_SL_SM_SN_EUlS10_E0_NS1_11comp_targetILNS1_3genE3ELNS1_11target_archE908ELNS1_3gpuE7ELNS1_3repE0EEENS1_38merge_mergepath_config_static_selectorELNS0_4arch9wavefront6targetE1EEEvSM_,"axG",@progbits,_ZN7rocprim17ROCPRIM_400000_NS6detail17trampoline_kernelINS0_14default_configENS1_38merge_sort_block_merge_config_selectorIlNS0_10empty_typeEEEZZNS1_27merge_sort_block_merge_implIS3_PlPS5_mZN2at6native12_GLOBAL__N_124unique_dim_cuda_templateItEESt5tupleIJNSA_6TensorESF_SF_EERKSF_lbbbEUlllE_EE10hipError_tT0_T1_T2_jT3_P12ihipStream_tbPNSt15iterator_traitsISL_E10value_typeEPNSR_ISM_E10value_typeEPSN_NS1_7vsmem_tEENKUlT_SL_SM_SN_E_clIS8_S8_S9_S9_EESK_S10_SL_SM_SN_EUlS10_E0_NS1_11comp_targetILNS1_3genE3ELNS1_11target_archE908ELNS1_3gpuE7ELNS1_3repE0EEENS1_38merge_mergepath_config_static_selectorELNS0_4arch9wavefront6targetE1EEEvSM_,comdat
	.globl	_ZN7rocprim17ROCPRIM_400000_NS6detail17trampoline_kernelINS0_14default_configENS1_38merge_sort_block_merge_config_selectorIlNS0_10empty_typeEEEZZNS1_27merge_sort_block_merge_implIS3_PlPS5_mZN2at6native12_GLOBAL__N_124unique_dim_cuda_templateItEESt5tupleIJNSA_6TensorESF_SF_EERKSF_lbbbEUlllE_EE10hipError_tT0_T1_T2_jT3_P12ihipStream_tbPNSt15iterator_traitsISL_E10value_typeEPNSR_ISM_E10value_typeEPSN_NS1_7vsmem_tEENKUlT_SL_SM_SN_E_clIS8_S8_S9_S9_EESK_S10_SL_SM_SN_EUlS10_E0_NS1_11comp_targetILNS1_3genE3ELNS1_11target_archE908ELNS1_3gpuE7ELNS1_3repE0EEENS1_38merge_mergepath_config_static_selectorELNS0_4arch9wavefront6targetE1EEEvSM_ ; -- Begin function _ZN7rocprim17ROCPRIM_400000_NS6detail17trampoline_kernelINS0_14default_configENS1_38merge_sort_block_merge_config_selectorIlNS0_10empty_typeEEEZZNS1_27merge_sort_block_merge_implIS3_PlPS5_mZN2at6native12_GLOBAL__N_124unique_dim_cuda_templateItEESt5tupleIJNSA_6TensorESF_SF_EERKSF_lbbbEUlllE_EE10hipError_tT0_T1_T2_jT3_P12ihipStream_tbPNSt15iterator_traitsISL_E10value_typeEPNSR_ISM_E10value_typeEPSN_NS1_7vsmem_tEENKUlT_SL_SM_SN_E_clIS8_S8_S9_S9_EESK_S10_SL_SM_SN_EUlS10_E0_NS1_11comp_targetILNS1_3genE3ELNS1_11target_archE908ELNS1_3gpuE7ELNS1_3repE0EEENS1_38merge_mergepath_config_static_selectorELNS0_4arch9wavefront6targetE1EEEvSM_
	.p2align	8
	.type	_ZN7rocprim17ROCPRIM_400000_NS6detail17trampoline_kernelINS0_14default_configENS1_38merge_sort_block_merge_config_selectorIlNS0_10empty_typeEEEZZNS1_27merge_sort_block_merge_implIS3_PlPS5_mZN2at6native12_GLOBAL__N_124unique_dim_cuda_templateItEESt5tupleIJNSA_6TensorESF_SF_EERKSF_lbbbEUlllE_EE10hipError_tT0_T1_T2_jT3_P12ihipStream_tbPNSt15iterator_traitsISL_E10value_typeEPNSR_ISM_E10value_typeEPSN_NS1_7vsmem_tEENKUlT_SL_SM_SN_E_clIS8_S8_S9_S9_EESK_S10_SL_SM_SN_EUlS10_E0_NS1_11comp_targetILNS1_3genE3ELNS1_11target_archE908ELNS1_3gpuE7ELNS1_3repE0EEENS1_38merge_mergepath_config_static_selectorELNS0_4arch9wavefront6targetE1EEEvSM_,@function
_ZN7rocprim17ROCPRIM_400000_NS6detail17trampoline_kernelINS0_14default_configENS1_38merge_sort_block_merge_config_selectorIlNS0_10empty_typeEEEZZNS1_27merge_sort_block_merge_implIS3_PlPS5_mZN2at6native12_GLOBAL__N_124unique_dim_cuda_templateItEESt5tupleIJNSA_6TensorESF_SF_EERKSF_lbbbEUlllE_EE10hipError_tT0_T1_T2_jT3_P12ihipStream_tbPNSt15iterator_traitsISL_E10value_typeEPNSR_ISM_E10value_typeEPSN_NS1_7vsmem_tEENKUlT_SL_SM_SN_E_clIS8_S8_S9_S9_EESK_S10_SL_SM_SN_EUlS10_E0_NS1_11comp_targetILNS1_3genE3ELNS1_11target_archE908ELNS1_3gpuE7ELNS1_3repE0EEENS1_38merge_mergepath_config_static_selectorELNS0_4arch9wavefront6targetE1EEEvSM_: ; @_ZN7rocprim17ROCPRIM_400000_NS6detail17trampoline_kernelINS0_14default_configENS1_38merge_sort_block_merge_config_selectorIlNS0_10empty_typeEEEZZNS1_27merge_sort_block_merge_implIS3_PlPS5_mZN2at6native12_GLOBAL__N_124unique_dim_cuda_templateItEESt5tupleIJNSA_6TensorESF_SF_EERKSF_lbbbEUlllE_EE10hipError_tT0_T1_T2_jT3_P12ihipStream_tbPNSt15iterator_traitsISL_E10value_typeEPNSR_ISM_E10value_typeEPSN_NS1_7vsmem_tEENKUlT_SL_SM_SN_E_clIS8_S8_S9_S9_EESK_S10_SL_SM_SN_EUlS10_E0_NS1_11comp_targetILNS1_3genE3ELNS1_11target_archE908ELNS1_3gpuE7ELNS1_3repE0EEENS1_38merge_mergepath_config_static_selectorELNS0_4arch9wavefront6targetE1EEEvSM_
; %bb.0:
	.section	.rodata,"a",@progbits
	.p2align	6, 0x0
	.amdhsa_kernel _ZN7rocprim17ROCPRIM_400000_NS6detail17trampoline_kernelINS0_14default_configENS1_38merge_sort_block_merge_config_selectorIlNS0_10empty_typeEEEZZNS1_27merge_sort_block_merge_implIS3_PlPS5_mZN2at6native12_GLOBAL__N_124unique_dim_cuda_templateItEESt5tupleIJNSA_6TensorESF_SF_EERKSF_lbbbEUlllE_EE10hipError_tT0_T1_T2_jT3_P12ihipStream_tbPNSt15iterator_traitsISL_E10value_typeEPNSR_ISM_E10value_typeEPSN_NS1_7vsmem_tEENKUlT_SL_SM_SN_E_clIS8_S8_S9_S9_EESK_S10_SL_SM_SN_EUlS10_E0_NS1_11comp_targetILNS1_3genE3ELNS1_11target_archE908ELNS1_3gpuE7ELNS1_3repE0EEENS1_38merge_mergepath_config_static_selectorELNS0_4arch9wavefront6targetE1EEEvSM_
		.amdhsa_group_segment_fixed_size 0
		.amdhsa_private_segment_fixed_size 0
		.amdhsa_kernarg_size 88
		.amdhsa_user_sgpr_count 2
		.amdhsa_user_sgpr_dispatch_ptr 0
		.amdhsa_user_sgpr_queue_ptr 0
		.amdhsa_user_sgpr_kernarg_segment_ptr 1
		.amdhsa_user_sgpr_dispatch_id 0
		.amdhsa_user_sgpr_kernarg_preload_length 0
		.amdhsa_user_sgpr_kernarg_preload_offset 0
		.amdhsa_user_sgpr_private_segment_size 0
		.amdhsa_uses_dynamic_stack 0
		.amdhsa_enable_private_segment 0
		.amdhsa_system_sgpr_workgroup_id_x 1
		.amdhsa_system_sgpr_workgroup_id_y 0
		.amdhsa_system_sgpr_workgroup_id_z 0
		.amdhsa_system_sgpr_workgroup_info 0
		.amdhsa_system_vgpr_workitem_id 0
		.amdhsa_next_free_vgpr 1
		.amdhsa_next_free_sgpr 0
		.amdhsa_accum_offset 4
		.amdhsa_reserve_vcc 0
		.amdhsa_float_round_mode_32 0
		.amdhsa_float_round_mode_16_64 0
		.amdhsa_float_denorm_mode_32 3
		.amdhsa_float_denorm_mode_16_64 3
		.amdhsa_dx10_clamp 1
		.amdhsa_ieee_mode 1
		.amdhsa_fp16_overflow 0
		.amdhsa_tg_split 0
		.amdhsa_exception_fp_ieee_invalid_op 0
		.amdhsa_exception_fp_denorm_src 0
		.amdhsa_exception_fp_ieee_div_zero 0
		.amdhsa_exception_fp_ieee_overflow 0
		.amdhsa_exception_fp_ieee_underflow 0
		.amdhsa_exception_fp_ieee_inexact 0
		.amdhsa_exception_int_div_zero 0
	.end_amdhsa_kernel
	.section	.text._ZN7rocprim17ROCPRIM_400000_NS6detail17trampoline_kernelINS0_14default_configENS1_38merge_sort_block_merge_config_selectorIlNS0_10empty_typeEEEZZNS1_27merge_sort_block_merge_implIS3_PlPS5_mZN2at6native12_GLOBAL__N_124unique_dim_cuda_templateItEESt5tupleIJNSA_6TensorESF_SF_EERKSF_lbbbEUlllE_EE10hipError_tT0_T1_T2_jT3_P12ihipStream_tbPNSt15iterator_traitsISL_E10value_typeEPNSR_ISM_E10value_typeEPSN_NS1_7vsmem_tEENKUlT_SL_SM_SN_E_clIS8_S8_S9_S9_EESK_S10_SL_SM_SN_EUlS10_E0_NS1_11comp_targetILNS1_3genE3ELNS1_11target_archE908ELNS1_3gpuE7ELNS1_3repE0EEENS1_38merge_mergepath_config_static_selectorELNS0_4arch9wavefront6targetE1EEEvSM_,"axG",@progbits,_ZN7rocprim17ROCPRIM_400000_NS6detail17trampoline_kernelINS0_14default_configENS1_38merge_sort_block_merge_config_selectorIlNS0_10empty_typeEEEZZNS1_27merge_sort_block_merge_implIS3_PlPS5_mZN2at6native12_GLOBAL__N_124unique_dim_cuda_templateItEESt5tupleIJNSA_6TensorESF_SF_EERKSF_lbbbEUlllE_EE10hipError_tT0_T1_T2_jT3_P12ihipStream_tbPNSt15iterator_traitsISL_E10value_typeEPNSR_ISM_E10value_typeEPSN_NS1_7vsmem_tEENKUlT_SL_SM_SN_E_clIS8_S8_S9_S9_EESK_S10_SL_SM_SN_EUlS10_E0_NS1_11comp_targetILNS1_3genE3ELNS1_11target_archE908ELNS1_3gpuE7ELNS1_3repE0EEENS1_38merge_mergepath_config_static_selectorELNS0_4arch9wavefront6targetE1EEEvSM_,comdat
.Lfunc_end1391:
	.size	_ZN7rocprim17ROCPRIM_400000_NS6detail17trampoline_kernelINS0_14default_configENS1_38merge_sort_block_merge_config_selectorIlNS0_10empty_typeEEEZZNS1_27merge_sort_block_merge_implIS3_PlPS5_mZN2at6native12_GLOBAL__N_124unique_dim_cuda_templateItEESt5tupleIJNSA_6TensorESF_SF_EERKSF_lbbbEUlllE_EE10hipError_tT0_T1_T2_jT3_P12ihipStream_tbPNSt15iterator_traitsISL_E10value_typeEPNSR_ISM_E10value_typeEPSN_NS1_7vsmem_tEENKUlT_SL_SM_SN_E_clIS8_S8_S9_S9_EESK_S10_SL_SM_SN_EUlS10_E0_NS1_11comp_targetILNS1_3genE3ELNS1_11target_archE908ELNS1_3gpuE7ELNS1_3repE0EEENS1_38merge_mergepath_config_static_selectorELNS0_4arch9wavefront6targetE1EEEvSM_, .Lfunc_end1391-_ZN7rocprim17ROCPRIM_400000_NS6detail17trampoline_kernelINS0_14default_configENS1_38merge_sort_block_merge_config_selectorIlNS0_10empty_typeEEEZZNS1_27merge_sort_block_merge_implIS3_PlPS5_mZN2at6native12_GLOBAL__N_124unique_dim_cuda_templateItEESt5tupleIJNSA_6TensorESF_SF_EERKSF_lbbbEUlllE_EE10hipError_tT0_T1_T2_jT3_P12ihipStream_tbPNSt15iterator_traitsISL_E10value_typeEPNSR_ISM_E10value_typeEPSN_NS1_7vsmem_tEENKUlT_SL_SM_SN_E_clIS8_S8_S9_S9_EESK_S10_SL_SM_SN_EUlS10_E0_NS1_11comp_targetILNS1_3genE3ELNS1_11target_archE908ELNS1_3gpuE7ELNS1_3repE0EEENS1_38merge_mergepath_config_static_selectorELNS0_4arch9wavefront6targetE1EEEvSM_
                                        ; -- End function
	.section	.AMDGPU.csdata,"",@progbits
; Kernel info:
; codeLenInByte = 0
; NumSgprs: 6
; NumVgprs: 0
; NumAgprs: 0
; TotalNumVgprs: 0
; ScratchSize: 0
; MemoryBound: 0
; FloatMode: 240
; IeeeMode: 1
; LDSByteSize: 0 bytes/workgroup (compile time only)
; SGPRBlocks: 0
; VGPRBlocks: 0
; NumSGPRsForWavesPerEU: 6
; NumVGPRsForWavesPerEU: 1
; AccumOffset: 4
; Occupancy: 8
; WaveLimiterHint : 0
; COMPUTE_PGM_RSRC2:SCRATCH_EN: 0
; COMPUTE_PGM_RSRC2:USER_SGPR: 2
; COMPUTE_PGM_RSRC2:TRAP_HANDLER: 0
; COMPUTE_PGM_RSRC2:TGID_X_EN: 1
; COMPUTE_PGM_RSRC2:TGID_Y_EN: 0
; COMPUTE_PGM_RSRC2:TGID_Z_EN: 0
; COMPUTE_PGM_RSRC2:TIDIG_COMP_CNT: 0
; COMPUTE_PGM_RSRC3_GFX90A:ACCUM_OFFSET: 0
; COMPUTE_PGM_RSRC3_GFX90A:TG_SPLIT: 0
	.section	.text._ZN7rocprim17ROCPRIM_400000_NS6detail17trampoline_kernelINS0_14default_configENS1_38merge_sort_block_merge_config_selectorIlNS0_10empty_typeEEEZZNS1_27merge_sort_block_merge_implIS3_PlPS5_mZN2at6native12_GLOBAL__N_124unique_dim_cuda_templateItEESt5tupleIJNSA_6TensorESF_SF_EERKSF_lbbbEUlllE_EE10hipError_tT0_T1_T2_jT3_P12ihipStream_tbPNSt15iterator_traitsISL_E10value_typeEPNSR_ISM_E10value_typeEPSN_NS1_7vsmem_tEENKUlT_SL_SM_SN_E_clIS8_S8_S9_S9_EESK_S10_SL_SM_SN_EUlS10_E0_NS1_11comp_targetILNS1_3genE2ELNS1_11target_archE906ELNS1_3gpuE6ELNS1_3repE0EEENS1_38merge_mergepath_config_static_selectorELNS0_4arch9wavefront6targetE1EEEvSM_,"axG",@progbits,_ZN7rocprim17ROCPRIM_400000_NS6detail17trampoline_kernelINS0_14default_configENS1_38merge_sort_block_merge_config_selectorIlNS0_10empty_typeEEEZZNS1_27merge_sort_block_merge_implIS3_PlPS5_mZN2at6native12_GLOBAL__N_124unique_dim_cuda_templateItEESt5tupleIJNSA_6TensorESF_SF_EERKSF_lbbbEUlllE_EE10hipError_tT0_T1_T2_jT3_P12ihipStream_tbPNSt15iterator_traitsISL_E10value_typeEPNSR_ISM_E10value_typeEPSN_NS1_7vsmem_tEENKUlT_SL_SM_SN_E_clIS8_S8_S9_S9_EESK_S10_SL_SM_SN_EUlS10_E0_NS1_11comp_targetILNS1_3genE2ELNS1_11target_archE906ELNS1_3gpuE6ELNS1_3repE0EEENS1_38merge_mergepath_config_static_selectorELNS0_4arch9wavefront6targetE1EEEvSM_,comdat
	.globl	_ZN7rocprim17ROCPRIM_400000_NS6detail17trampoline_kernelINS0_14default_configENS1_38merge_sort_block_merge_config_selectorIlNS0_10empty_typeEEEZZNS1_27merge_sort_block_merge_implIS3_PlPS5_mZN2at6native12_GLOBAL__N_124unique_dim_cuda_templateItEESt5tupleIJNSA_6TensorESF_SF_EERKSF_lbbbEUlllE_EE10hipError_tT0_T1_T2_jT3_P12ihipStream_tbPNSt15iterator_traitsISL_E10value_typeEPNSR_ISM_E10value_typeEPSN_NS1_7vsmem_tEENKUlT_SL_SM_SN_E_clIS8_S8_S9_S9_EESK_S10_SL_SM_SN_EUlS10_E0_NS1_11comp_targetILNS1_3genE2ELNS1_11target_archE906ELNS1_3gpuE6ELNS1_3repE0EEENS1_38merge_mergepath_config_static_selectorELNS0_4arch9wavefront6targetE1EEEvSM_ ; -- Begin function _ZN7rocprim17ROCPRIM_400000_NS6detail17trampoline_kernelINS0_14default_configENS1_38merge_sort_block_merge_config_selectorIlNS0_10empty_typeEEEZZNS1_27merge_sort_block_merge_implIS3_PlPS5_mZN2at6native12_GLOBAL__N_124unique_dim_cuda_templateItEESt5tupleIJNSA_6TensorESF_SF_EERKSF_lbbbEUlllE_EE10hipError_tT0_T1_T2_jT3_P12ihipStream_tbPNSt15iterator_traitsISL_E10value_typeEPNSR_ISM_E10value_typeEPSN_NS1_7vsmem_tEENKUlT_SL_SM_SN_E_clIS8_S8_S9_S9_EESK_S10_SL_SM_SN_EUlS10_E0_NS1_11comp_targetILNS1_3genE2ELNS1_11target_archE906ELNS1_3gpuE6ELNS1_3repE0EEENS1_38merge_mergepath_config_static_selectorELNS0_4arch9wavefront6targetE1EEEvSM_
	.p2align	8
	.type	_ZN7rocprim17ROCPRIM_400000_NS6detail17trampoline_kernelINS0_14default_configENS1_38merge_sort_block_merge_config_selectorIlNS0_10empty_typeEEEZZNS1_27merge_sort_block_merge_implIS3_PlPS5_mZN2at6native12_GLOBAL__N_124unique_dim_cuda_templateItEESt5tupleIJNSA_6TensorESF_SF_EERKSF_lbbbEUlllE_EE10hipError_tT0_T1_T2_jT3_P12ihipStream_tbPNSt15iterator_traitsISL_E10value_typeEPNSR_ISM_E10value_typeEPSN_NS1_7vsmem_tEENKUlT_SL_SM_SN_E_clIS8_S8_S9_S9_EESK_S10_SL_SM_SN_EUlS10_E0_NS1_11comp_targetILNS1_3genE2ELNS1_11target_archE906ELNS1_3gpuE6ELNS1_3repE0EEENS1_38merge_mergepath_config_static_selectorELNS0_4arch9wavefront6targetE1EEEvSM_,@function
_ZN7rocprim17ROCPRIM_400000_NS6detail17trampoline_kernelINS0_14default_configENS1_38merge_sort_block_merge_config_selectorIlNS0_10empty_typeEEEZZNS1_27merge_sort_block_merge_implIS3_PlPS5_mZN2at6native12_GLOBAL__N_124unique_dim_cuda_templateItEESt5tupleIJNSA_6TensorESF_SF_EERKSF_lbbbEUlllE_EE10hipError_tT0_T1_T2_jT3_P12ihipStream_tbPNSt15iterator_traitsISL_E10value_typeEPNSR_ISM_E10value_typeEPSN_NS1_7vsmem_tEENKUlT_SL_SM_SN_E_clIS8_S8_S9_S9_EESK_S10_SL_SM_SN_EUlS10_E0_NS1_11comp_targetILNS1_3genE2ELNS1_11target_archE906ELNS1_3gpuE6ELNS1_3repE0EEENS1_38merge_mergepath_config_static_selectorELNS0_4arch9wavefront6targetE1EEEvSM_: ; @_ZN7rocprim17ROCPRIM_400000_NS6detail17trampoline_kernelINS0_14default_configENS1_38merge_sort_block_merge_config_selectorIlNS0_10empty_typeEEEZZNS1_27merge_sort_block_merge_implIS3_PlPS5_mZN2at6native12_GLOBAL__N_124unique_dim_cuda_templateItEESt5tupleIJNSA_6TensorESF_SF_EERKSF_lbbbEUlllE_EE10hipError_tT0_T1_T2_jT3_P12ihipStream_tbPNSt15iterator_traitsISL_E10value_typeEPNSR_ISM_E10value_typeEPSN_NS1_7vsmem_tEENKUlT_SL_SM_SN_E_clIS8_S8_S9_S9_EESK_S10_SL_SM_SN_EUlS10_E0_NS1_11comp_targetILNS1_3genE2ELNS1_11target_archE906ELNS1_3gpuE6ELNS1_3repE0EEENS1_38merge_mergepath_config_static_selectorELNS0_4arch9wavefront6targetE1EEEvSM_
; %bb.0:
	.section	.rodata,"a",@progbits
	.p2align	6, 0x0
	.amdhsa_kernel _ZN7rocprim17ROCPRIM_400000_NS6detail17trampoline_kernelINS0_14default_configENS1_38merge_sort_block_merge_config_selectorIlNS0_10empty_typeEEEZZNS1_27merge_sort_block_merge_implIS3_PlPS5_mZN2at6native12_GLOBAL__N_124unique_dim_cuda_templateItEESt5tupleIJNSA_6TensorESF_SF_EERKSF_lbbbEUlllE_EE10hipError_tT0_T1_T2_jT3_P12ihipStream_tbPNSt15iterator_traitsISL_E10value_typeEPNSR_ISM_E10value_typeEPSN_NS1_7vsmem_tEENKUlT_SL_SM_SN_E_clIS8_S8_S9_S9_EESK_S10_SL_SM_SN_EUlS10_E0_NS1_11comp_targetILNS1_3genE2ELNS1_11target_archE906ELNS1_3gpuE6ELNS1_3repE0EEENS1_38merge_mergepath_config_static_selectorELNS0_4arch9wavefront6targetE1EEEvSM_
		.amdhsa_group_segment_fixed_size 0
		.amdhsa_private_segment_fixed_size 0
		.amdhsa_kernarg_size 88
		.amdhsa_user_sgpr_count 2
		.amdhsa_user_sgpr_dispatch_ptr 0
		.amdhsa_user_sgpr_queue_ptr 0
		.amdhsa_user_sgpr_kernarg_segment_ptr 1
		.amdhsa_user_sgpr_dispatch_id 0
		.amdhsa_user_sgpr_kernarg_preload_length 0
		.amdhsa_user_sgpr_kernarg_preload_offset 0
		.amdhsa_user_sgpr_private_segment_size 0
		.amdhsa_uses_dynamic_stack 0
		.amdhsa_enable_private_segment 0
		.amdhsa_system_sgpr_workgroup_id_x 1
		.amdhsa_system_sgpr_workgroup_id_y 0
		.amdhsa_system_sgpr_workgroup_id_z 0
		.amdhsa_system_sgpr_workgroup_info 0
		.amdhsa_system_vgpr_workitem_id 0
		.amdhsa_next_free_vgpr 1
		.amdhsa_next_free_sgpr 0
		.amdhsa_accum_offset 4
		.amdhsa_reserve_vcc 0
		.amdhsa_float_round_mode_32 0
		.amdhsa_float_round_mode_16_64 0
		.amdhsa_float_denorm_mode_32 3
		.amdhsa_float_denorm_mode_16_64 3
		.amdhsa_dx10_clamp 1
		.amdhsa_ieee_mode 1
		.amdhsa_fp16_overflow 0
		.amdhsa_tg_split 0
		.amdhsa_exception_fp_ieee_invalid_op 0
		.amdhsa_exception_fp_denorm_src 0
		.amdhsa_exception_fp_ieee_div_zero 0
		.amdhsa_exception_fp_ieee_overflow 0
		.amdhsa_exception_fp_ieee_underflow 0
		.amdhsa_exception_fp_ieee_inexact 0
		.amdhsa_exception_int_div_zero 0
	.end_amdhsa_kernel
	.section	.text._ZN7rocprim17ROCPRIM_400000_NS6detail17trampoline_kernelINS0_14default_configENS1_38merge_sort_block_merge_config_selectorIlNS0_10empty_typeEEEZZNS1_27merge_sort_block_merge_implIS3_PlPS5_mZN2at6native12_GLOBAL__N_124unique_dim_cuda_templateItEESt5tupleIJNSA_6TensorESF_SF_EERKSF_lbbbEUlllE_EE10hipError_tT0_T1_T2_jT3_P12ihipStream_tbPNSt15iterator_traitsISL_E10value_typeEPNSR_ISM_E10value_typeEPSN_NS1_7vsmem_tEENKUlT_SL_SM_SN_E_clIS8_S8_S9_S9_EESK_S10_SL_SM_SN_EUlS10_E0_NS1_11comp_targetILNS1_3genE2ELNS1_11target_archE906ELNS1_3gpuE6ELNS1_3repE0EEENS1_38merge_mergepath_config_static_selectorELNS0_4arch9wavefront6targetE1EEEvSM_,"axG",@progbits,_ZN7rocprim17ROCPRIM_400000_NS6detail17trampoline_kernelINS0_14default_configENS1_38merge_sort_block_merge_config_selectorIlNS0_10empty_typeEEEZZNS1_27merge_sort_block_merge_implIS3_PlPS5_mZN2at6native12_GLOBAL__N_124unique_dim_cuda_templateItEESt5tupleIJNSA_6TensorESF_SF_EERKSF_lbbbEUlllE_EE10hipError_tT0_T1_T2_jT3_P12ihipStream_tbPNSt15iterator_traitsISL_E10value_typeEPNSR_ISM_E10value_typeEPSN_NS1_7vsmem_tEENKUlT_SL_SM_SN_E_clIS8_S8_S9_S9_EESK_S10_SL_SM_SN_EUlS10_E0_NS1_11comp_targetILNS1_3genE2ELNS1_11target_archE906ELNS1_3gpuE6ELNS1_3repE0EEENS1_38merge_mergepath_config_static_selectorELNS0_4arch9wavefront6targetE1EEEvSM_,comdat
.Lfunc_end1392:
	.size	_ZN7rocprim17ROCPRIM_400000_NS6detail17trampoline_kernelINS0_14default_configENS1_38merge_sort_block_merge_config_selectorIlNS0_10empty_typeEEEZZNS1_27merge_sort_block_merge_implIS3_PlPS5_mZN2at6native12_GLOBAL__N_124unique_dim_cuda_templateItEESt5tupleIJNSA_6TensorESF_SF_EERKSF_lbbbEUlllE_EE10hipError_tT0_T1_T2_jT3_P12ihipStream_tbPNSt15iterator_traitsISL_E10value_typeEPNSR_ISM_E10value_typeEPSN_NS1_7vsmem_tEENKUlT_SL_SM_SN_E_clIS8_S8_S9_S9_EESK_S10_SL_SM_SN_EUlS10_E0_NS1_11comp_targetILNS1_3genE2ELNS1_11target_archE906ELNS1_3gpuE6ELNS1_3repE0EEENS1_38merge_mergepath_config_static_selectorELNS0_4arch9wavefront6targetE1EEEvSM_, .Lfunc_end1392-_ZN7rocprim17ROCPRIM_400000_NS6detail17trampoline_kernelINS0_14default_configENS1_38merge_sort_block_merge_config_selectorIlNS0_10empty_typeEEEZZNS1_27merge_sort_block_merge_implIS3_PlPS5_mZN2at6native12_GLOBAL__N_124unique_dim_cuda_templateItEESt5tupleIJNSA_6TensorESF_SF_EERKSF_lbbbEUlllE_EE10hipError_tT0_T1_T2_jT3_P12ihipStream_tbPNSt15iterator_traitsISL_E10value_typeEPNSR_ISM_E10value_typeEPSN_NS1_7vsmem_tEENKUlT_SL_SM_SN_E_clIS8_S8_S9_S9_EESK_S10_SL_SM_SN_EUlS10_E0_NS1_11comp_targetILNS1_3genE2ELNS1_11target_archE906ELNS1_3gpuE6ELNS1_3repE0EEENS1_38merge_mergepath_config_static_selectorELNS0_4arch9wavefront6targetE1EEEvSM_
                                        ; -- End function
	.section	.AMDGPU.csdata,"",@progbits
; Kernel info:
; codeLenInByte = 0
; NumSgprs: 6
; NumVgprs: 0
; NumAgprs: 0
; TotalNumVgprs: 0
; ScratchSize: 0
; MemoryBound: 0
; FloatMode: 240
; IeeeMode: 1
; LDSByteSize: 0 bytes/workgroup (compile time only)
; SGPRBlocks: 0
; VGPRBlocks: 0
; NumSGPRsForWavesPerEU: 6
; NumVGPRsForWavesPerEU: 1
; AccumOffset: 4
; Occupancy: 8
; WaveLimiterHint : 0
; COMPUTE_PGM_RSRC2:SCRATCH_EN: 0
; COMPUTE_PGM_RSRC2:USER_SGPR: 2
; COMPUTE_PGM_RSRC2:TRAP_HANDLER: 0
; COMPUTE_PGM_RSRC2:TGID_X_EN: 1
; COMPUTE_PGM_RSRC2:TGID_Y_EN: 0
; COMPUTE_PGM_RSRC2:TGID_Z_EN: 0
; COMPUTE_PGM_RSRC2:TIDIG_COMP_CNT: 0
; COMPUTE_PGM_RSRC3_GFX90A:ACCUM_OFFSET: 0
; COMPUTE_PGM_RSRC3_GFX90A:TG_SPLIT: 0
	.section	.text._ZN7rocprim17ROCPRIM_400000_NS6detail17trampoline_kernelINS0_14default_configENS1_38merge_sort_block_merge_config_selectorIlNS0_10empty_typeEEEZZNS1_27merge_sort_block_merge_implIS3_PlPS5_mZN2at6native12_GLOBAL__N_124unique_dim_cuda_templateItEESt5tupleIJNSA_6TensorESF_SF_EERKSF_lbbbEUlllE_EE10hipError_tT0_T1_T2_jT3_P12ihipStream_tbPNSt15iterator_traitsISL_E10value_typeEPNSR_ISM_E10value_typeEPSN_NS1_7vsmem_tEENKUlT_SL_SM_SN_E_clIS8_S8_S9_S9_EESK_S10_SL_SM_SN_EUlS10_E0_NS1_11comp_targetILNS1_3genE9ELNS1_11target_archE1100ELNS1_3gpuE3ELNS1_3repE0EEENS1_38merge_mergepath_config_static_selectorELNS0_4arch9wavefront6targetE1EEEvSM_,"axG",@progbits,_ZN7rocprim17ROCPRIM_400000_NS6detail17trampoline_kernelINS0_14default_configENS1_38merge_sort_block_merge_config_selectorIlNS0_10empty_typeEEEZZNS1_27merge_sort_block_merge_implIS3_PlPS5_mZN2at6native12_GLOBAL__N_124unique_dim_cuda_templateItEESt5tupleIJNSA_6TensorESF_SF_EERKSF_lbbbEUlllE_EE10hipError_tT0_T1_T2_jT3_P12ihipStream_tbPNSt15iterator_traitsISL_E10value_typeEPNSR_ISM_E10value_typeEPSN_NS1_7vsmem_tEENKUlT_SL_SM_SN_E_clIS8_S8_S9_S9_EESK_S10_SL_SM_SN_EUlS10_E0_NS1_11comp_targetILNS1_3genE9ELNS1_11target_archE1100ELNS1_3gpuE3ELNS1_3repE0EEENS1_38merge_mergepath_config_static_selectorELNS0_4arch9wavefront6targetE1EEEvSM_,comdat
	.globl	_ZN7rocprim17ROCPRIM_400000_NS6detail17trampoline_kernelINS0_14default_configENS1_38merge_sort_block_merge_config_selectorIlNS0_10empty_typeEEEZZNS1_27merge_sort_block_merge_implIS3_PlPS5_mZN2at6native12_GLOBAL__N_124unique_dim_cuda_templateItEESt5tupleIJNSA_6TensorESF_SF_EERKSF_lbbbEUlllE_EE10hipError_tT0_T1_T2_jT3_P12ihipStream_tbPNSt15iterator_traitsISL_E10value_typeEPNSR_ISM_E10value_typeEPSN_NS1_7vsmem_tEENKUlT_SL_SM_SN_E_clIS8_S8_S9_S9_EESK_S10_SL_SM_SN_EUlS10_E0_NS1_11comp_targetILNS1_3genE9ELNS1_11target_archE1100ELNS1_3gpuE3ELNS1_3repE0EEENS1_38merge_mergepath_config_static_selectorELNS0_4arch9wavefront6targetE1EEEvSM_ ; -- Begin function _ZN7rocprim17ROCPRIM_400000_NS6detail17trampoline_kernelINS0_14default_configENS1_38merge_sort_block_merge_config_selectorIlNS0_10empty_typeEEEZZNS1_27merge_sort_block_merge_implIS3_PlPS5_mZN2at6native12_GLOBAL__N_124unique_dim_cuda_templateItEESt5tupleIJNSA_6TensorESF_SF_EERKSF_lbbbEUlllE_EE10hipError_tT0_T1_T2_jT3_P12ihipStream_tbPNSt15iterator_traitsISL_E10value_typeEPNSR_ISM_E10value_typeEPSN_NS1_7vsmem_tEENKUlT_SL_SM_SN_E_clIS8_S8_S9_S9_EESK_S10_SL_SM_SN_EUlS10_E0_NS1_11comp_targetILNS1_3genE9ELNS1_11target_archE1100ELNS1_3gpuE3ELNS1_3repE0EEENS1_38merge_mergepath_config_static_selectorELNS0_4arch9wavefront6targetE1EEEvSM_
	.p2align	8
	.type	_ZN7rocprim17ROCPRIM_400000_NS6detail17trampoline_kernelINS0_14default_configENS1_38merge_sort_block_merge_config_selectorIlNS0_10empty_typeEEEZZNS1_27merge_sort_block_merge_implIS3_PlPS5_mZN2at6native12_GLOBAL__N_124unique_dim_cuda_templateItEESt5tupleIJNSA_6TensorESF_SF_EERKSF_lbbbEUlllE_EE10hipError_tT0_T1_T2_jT3_P12ihipStream_tbPNSt15iterator_traitsISL_E10value_typeEPNSR_ISM_E10value_typeEPSN_NS1_7vsmem_tEENKUlT_SL_SM_SN_E_clIS8_S8_S9_S9_EESK_S10_SL_SM_SN_EUlS10_E0_NS1_11comp_targetILNS1_3genE9ELNS1_11target_archE1100ELNS1_3gpuE3ELNS1_3repE0EEENS1_38merge_mergepath_config_static_selectorELNS0_4arch9wavefront6targetE1EEEvSM_,@function
_ZN7rocprim17ROCPRIM_400000_NS6detail17trampoline_kernelINS0_14default_configENS1_38merge_sort_block_merge_config_selectorIlNS0_10empty_typeEEEZZNS1_27merge_sort_block_merge_implIS3_PlPS5_mZN2at6native12_GLOBAL__N_124unique_dim_cuda_templateItEESt5tupleIJNSA_6TensorESF_SF_EERKSF_lbbbEUlllE_EE10hipError_tT0_T1_T2_jT3_P12ihipStream_tbPNSt15iterator_traitsISL_E10value_typeEPNSR_ISM_E10value_typeEPSN_NS1_7vsmem_tEENKUlT_SL_SM_SN_E_clIS8_S8_S9_S9_EESK_S10_SL_SM_SN_EUlS10_E0_NS1_11comp_targetILNS1_3genE9ELNS1_11target_archE1100ELNS1_3gpuE3ELNS1_3repE0EEENS1_38merge_mergepath_config_static_selectorELNS0_4arch9wavefront6targetE1EEEvSM_: ; @_ZN7rocprim17ROCPRIM_400000_NS6detail17trampoline_kernelINS0_14default_configENS1_38merge_sort_block_merge_config_selectorIlNS0_10empty_typeEEEZZNS1_27merge_sort_block_merge_implIS3_PlPS5_mZN2at6native12_GLOBAL__N_124unique_dim_cuda_templateItEESt5tupleIJNSA_6TensorESF_SF_EERKSF_lbbbEUlllE_EE10hipError_tT0_T1_T2_jT3_P12ihipStream_tbPNSt15iterator_traitsISL_E10value_typeEPNSR_ISM_E10value_typeEPSN_NS1_7vsmem_tEENKUlT_SL_SM_SN_E_clIS8_S8_S9_S9_EESK_S10_SL_SM_SN_EUlS10_E0_NS1_11comp_targetILNS1_3genE9ELNS1_11target_archE1100ELNS1_3gpuE3ELNS1_3repE0EEENS1_38merge_mergepath_config_static_selectorELNS0_4arch9wavefront6targetE1EEEvSM_
; %bb.0:
	.section	.rodata,"a",@progbits
	.p2align	6, 0x0
	.amdhsa_kernel _ZN7rocprim17ROCPRIM_400000_NS6detail17trampoline_kernelINS0_14default_configENS1_38merge_sort_block_merge_config_selectorIlNS0_10empty_typeEEEZZNS1_27merge_sort_block_merge_implIS3_PlPS5_mZN2at6native12_GLOBAL__N_124unique_dim_cuda_templateItEESt5tupleIJNSA_6TensorESF_SF_EERKSF_lbbbEUlllE_EE10hipError_tT0_T1_T2_jT3_P12ihipStream_tbPNSt15iterator_traitsISL_E10value_typeEPNSR_ISM_E10value_typeEPSN_NS1_7vsmem_tEENKUlT_SL_SM_SN_E_clIS8_S8_S9_S9_EESK_S10_SL_SM_SN_EUlS10_E0_NS1_11comp_targetILNS1_3genE9ELNS1_11target_archE1100ELNS1_3gpuE3ELNS1_3repE0EEENS1_38merge_mergepath_config_static_selectorELNS0_4arch9wavefront6targetE1EEEvSM_
		.amdhsa_group_segment_fixed_size 0
		.amdhsa_private_segment_fixed_size 0
		.amdhsa_kernarg_size 88
		.amdhsa_user_sgpr_count 2
		.amdhsa_user_sgpr_dispatch_ptr 0
		.amdhsa_user_sgpr_queue_ptr 0
		.amdhsa_user_sgpr_kernarg_segment_ptr 1
		.amdhsa_user_sgpr_dispatch_id 0
		.amdhsa_user_sgpr_kernarg_preload_length 0
		.amdhsa_user_sgpr_kernarg_preload_offset 0
		.amdhsa_user_sgpr_private_segment_size 0
		.amdhsa_uses_dynamic_stack 0
		.amdhsa_enable_private_segment 0
		.amdhsa_system_sgpr_workgroup_id_x 1
		.amdhsa_system_sgpr_workgroup_id_y 0
		.amdhsa_system_sgpr_workgroup_id_z 0
		.amdhsa_system_sgpr_workgroup_info 0
		.amdhsa_system_vgpr_workitem_id 0
		.amdhsa_next_free_vgpr 1
		.amdhsa_next_free_sgpr 0
		.amdhsa_accum_offset 4
		.amdhsa_reserve_vcc 0
		.amdhsa_float_round_mode_32 0
		.amdhsa_float_round_mode_16_64 0
		.amdhsa_float_denorm_mode_32 3
		.amdhsa_float_denorm_mode_16_64 3
		.amdhsa_dx10_clamp 1
		.amdhsa_ieee_mode 1
		.amdhsa_fp16_overflow 0
		.amdhsa_tg_split 0
		.amdhsa_exception_fp_ieee_invalid_op 0
		.amdhsa_exception_fp_denorm_src 0
		.amdhsa_exception_fp_ieee_div_zero 0
		.amdhsa_exception_fp_ieee_overflow 0
		.amdhsa_exception_fp_ieee_underflow 0
		.amdhsa_exception_fp_ieee_inexact 0
		.amdhsa_exception_int_div_zero 0
	.end_amdhsa_kernel
	.section	.text._ZN7rocprim17ROCPRIM_400000_NS6detail17trampoline_kernelINS0_14default_configENS1_38merge_sort_block_merge_config_selectorIlNS0_10empty_typeEEEZZNS1_27merge_sort_block_merge_implIS3_PlPS5_mZN2at6native12_GLOBAL__N_124unique_dim_cuda_templateItEESt5tupleIJNSA_6TensorESF_SF_EERKSF_lbbbEUlllE_EE10hipError_tT0_T1_T2_jT3_P12ihipStream_tbPNSt15iterator_traitsISL_E10value_typeEPNSR_ISM_E10value_typeEPSN_NS1_7vsmem_tEENKUlT_SL_SM_SN_E_clIS8_S8_S9_S9_EESK_S10_SL_SM_SN_EUlS10_E0_NS1_11comp_targetILNS1_3genE9ELNS1_11target_archE1100ELNS1_3gpuE3ELNS1_3repE0EEENS1_38merge_mergepath_config_static_selectorELNS0_4arch9wavefront6targetE1EEEvSM_,"axG",@progbits,_ZN7rocprim17ROCPRIM_400000_NS6detail17trampoline_kernelINS0_14default_configENS1_38merge_sort_block_merge_config_selectorIlNS0_10empty_typeEEEZZNS1_27merge_sort_block_merge_implIS3_PlPS5_mZN2at6native12_GLOBAL__N_124unique_dim_cuda_templateItEESt5tupleIJNSA_6TensorESF_SF_EERKSF_lbbbEUlllE_EE10hipError_tT0_T1_T2_jT3_P12ihipStream_tbPNSt15iterator_traitsISL_E10value_typeEPNSR_ISM_E10value_typeEPSN_NS1_7vsmem_tEENKUlT_SL_SM_SN_E_clIS8_S8_S9_S9_EESK_S10_SL_SM_SN_EUlS10_E0_NS1_11comp_targetILNS1_3genE9ELNS1_11target_archE1100ELNS1_3gpuE3ELNS1_3repE0EEENS1_38merge_mergepath_config_static_selectorELNS0_4arch9wavefront6targetE1EEEvSM_,comdat
.Lfunc_end1393:
	.size	_ZN7rocprim17ROCPRIM_400000_NS6detail17trampoline_kernelINS0_14default_configENS1_38merge_sort_block_merge_config_selectorIlNS0_10empty_typeEEEZZNS1_27merge_sort_block_merge_implIS3_PlPS5_mZN2at6native12_GLOBAL__N_124unique_dim_cuda_templateItEESt5tupleIJNSA_6TensorESF_SF_EERKSF_lbbbEUlllE_EE10hipError_tT0_T1_T2_jT3_P12ihipStream_tbPNSt15iterator_traitsISL_E10value_typeEPNSR_ISM_E10value_typeEPSN_NS1_7vsmem_tEENKUlT_SL_SM_SN_E_clIS8_S8_S9_S9_EESK_S10_SL_SM_SN_EUlS10_E0_NS1_11comp_targetILNS1_3genE9ELNS1_11target_archE1100ELNS1_3gpuE3ELNS1_3repE0EEENS1_38merge_mergepath_config_static_selectorELNS0_4arch9wavefront6targetE1EEEvSM_, .Lfunc_end1393-_ZN7rocprim17ROCPRIM_400000_NS6detail17trampoline_kernelINS0_14default_configENS1_38merge_sort_block_merge_config_selectorIlNS0_10empty_typeEEEZZNS1_27merge_sort_block_merge_implIS3_PlPS5_mZN2at6native12_GLOBAL__N_124unique_dim_cuda_templateItEESt5tupleIJNSA_6TensorESF_SF_EERKSF_lbbbEUlllE_EE10hipError_tT0_T1_T2_jT3_P12ihipStream_tbPNSt15iterator_traitsISL_E10value_typeEPNSR_ISM_E10value_typeEPSN_NS1_7vsmem_tEENKUlT_SL_SM_SN_E_clIS8_S8_S9_S9_EESK_S10_SL_SM_SN_EUlS10_E0_NS1_11comp_targetILNS1_3genE9ELNS1_11target_archE1100ELNS1_3gpuE3ELNS1_3repE0EEENS1_38merge_mergepath_config_static_selectorELNS0_4arch9wavefront6targetE1EEEvSM_
                                        ; -- End function
	.section	.AMDGPU.csdata,"",@progbits
; Kernel info:
; codeLenInByte = 0
; NumSgprs: 6
; NumVgprs: 0
; NumAgprs: 0
; TotalNumVgprs: 0
; ScratchSize: 0
; MemoryBound: 0
; FloatMode: 240
; IeeeMode: 1
; LDSByteSize: 0 bytes/workgroup (compile time only)
; SGPRBlocks: 0
; VGPRBlocks: 0
; NumSGPRsForWavesPerEU: 6
; NumVGPRsForWavesPerEU: 1
; AccumOffset: 4
; Occupancy: 8
; WaveLimiterHint : 0
; COMPUTE_PGM_RSRC2:SCRATCH_EN: 0
; COMPUTE_PGM_RSRC2:USER_SGPR: 2
; COMPUTE_PGM_RSRC2:TRAP_HANDLER: 0
; COMPUTE_PGM_RSRC2:TGID_X_EN: 1
; COMPUTE_PGM_RSRC2:TGID_Y_EN: 0
; COMPUTE_PGM_RSRC2:TGID_Z_EN: 0
; COMPUTE_PGM_RSRC2:TIDIG_COMP_CNT: 0
; COMPUTE_PGM_RSRC3_GFX90A:ACCUM_OFFSET: 0
; COMPUTE_PGM_RSRC3_GFX90A:TG_SPLIT: 0
	.section	.text._ZN7rocprim17ROCPRIM_400000_NS6detail17trampoline_kernelINS0_14default_configENS1_38merge_sort_block_merge_config_selectorIlNS0_10empty_typeEEEZZNS1_27merge_sort_block_merge_implIS3_PlPS5_mZN2at6native12_GLOBAL__N_124unique_dim_cuda_templateItEESt5tupleIJNSA_6TensorESF_SF_EERKSF_lbbbEUlllE_EE10hipError_tT0_T1_T2_jT3_P12ihipStream_tbPNSt15iterator_traitsISL_E10value_typeEPNSR_ISM_E10value_typeEPSN_NS1_7vsmem_tEENKUlT_SL_SM_SN_E_clIS8_S8_S9_S9_EESK_S10_SL_SM_SN_EUlS10_E0_NS1_11comp_targetILNS1_3genE8ELNS1_11target_archE1030ELNS1_3gpuE2ELNS1_3repE0EEENS1_38merge_mergepath_config_static_selectorELNS0_4arch9wavefront6targetE1EEEvSM_,"axG",@progbits,_ZN7rocprim17ROCPRIM_400000_NS6detail17trampoline_kernelINS0_14default_configENS1_38merge_sort_block_merge_config_selectorIlNS0_10empty_typeEEEZZNS1_27merge_sort_block_merge_implIS3_PlPS5_mZN2at6native12_GLOBAL__N_124unique_dim_cuda_templateItEESt5tupleIJNSA_6TensorESF_SF_EERKSF_lbbbEUlllE_EE10hipError_tT0_T1_T2_jT3_P12ihipStream_tbPNSt15iterator_traitsISL_E10value_typeEPNSR_ISM_E10value_typeEPSN_NS1_7vsmem_tEENKUlT_SL_SM_SN_E_clIS8_S8_S9_S9_EESK_S10_SL_SM_SN_EUlS10_E0_NS1_11comp_targetILNS1_3genE8ELNS1_11target_archE1030ELNS1_3gpuE2ELNS1_3repE0EEENS1_38merge_mergepath_config_static_selectorELNS0_4arch9wavefront6targetE1EEEvSM_,comdat
	.globl	_ZN7rocprim17ROCPRIM_400000_NS6detail17trampoline_kernelINS0_14default_configENS1_38merge_sort_block_merge_config_selectorIlNS0_10empty_typeEEEZZNS1_27merge_sort_block_merge_implIS3_PlPS5_mZN2at6native12_GLOBAL__N_124unique_dim_cuda_templateItEESt5tupleIJNSA_6TensorESF_SF_EERKSF_lbbbEUlllE_EE10hipError_tT0_T1_T2_jT3_P12ihipStream_tbPNSt15iterator_traitsISL_E10value_typeEPNSR_ISM_E10value_typeEPSN_NS1_7vsmem_tEENKUlT_SL_SM_SN_E_clIS8_S8_S9_S9_EESK_S10_SL_SM_SN_EUlS10_E0_NS1_11comp_targetILNS1_3genE8ELNS1_11target_archE1030ELNS1_3gpuE2ELNS1_3repE0EEENS1_38merge_mergepath_config_static_selectorELNS0_4arch9wavefront6targetE1EEEvSM_ ; -- Begin function _ZN7rocprim17ROCPRIM_400000_NS6detail17trampoline_kernelINS0_14default_configENS1_38merge_sort_block_merge_config_selectorIlNS0_10empty_typeEEEZZNS1_27merge_sort_block_merge_implIS3_PlPS5_mZN2at6native12_GLOBAL__N_124unique_dim_cuda_templateItEESt5tupleIJNSA_6TensorESF_SF_EERKSF_lbbbEUlllE_EE10hipError_tT0_T1_T2_jT3_P12ihipStream_tbPNSt15iterator_traitsISL_E10value_typeEPNSR_ISM_E10value_typeEPSN_NS1_7vsmem_tEENKUlT_SL_SM_SN_E_clIS8_S8_S9_S9_EESK_S10_SL_SM_SN_EUlS10_E0_NS1_11comp_targetILNS1_3genE8ELNS1_11target_archE1030ELNS1_3gpuE2ELNS1_3repE0EEENS1_38merge_mergepath_config_static_selectorELNS0_4arch9wavefront6targetE1EEEvSM_
	.p2align	8
	.type	_ZN7rocprim17ROCPRIM_400000_NS6detail17trampoline_kernelINS0_14default_configENS1_38merge_sort_block_merge_config_selectorIlNS0_10empty_typeEEEZZNS1_27merge_sort_block_merge_implIS3_PlPS5_mZN2at6native12_GLOBAL__N_124unique_dim_cuda_templateItEESt5tupleIJNSA_6TensorESF_SF_EERKSF_lbbbEUlllE_EE10hipError_tT0_T1_T2_jT3_P12ihipStream_tbPNSt15iterator_traitsISL_E10value_typeEPNSR_ISM_E10value_typeEPSN_NS1_7vsmem_tEENKUlT_SL_SM_SN_E_clIS8_S8_S9_S9_EESK_S10_SL_SM_SN_EUlS10_E0_NS1_11comp_targetILNS1_3genE8ELNS1_11target_archE1030ELNS1_3gpuE2ELNS1_3repE0EEENS1_38merge_mergepath_config_static_selectorELNS0_4arch9wavefront6targetE1EEEvSM_,@function
_ZN7rocprim17ROCPRIM_400000_NS6detail17trampoline_kernelINS0_14default_configENS1_38merge_sort_block_merge_config_selectorIlNS0_10empty_typeEEEZZNS1_27merge_sort_block_merge_implIS3_PlPS5_mZN2at6native12_GLOBAL__N_124unique_dim_cuda_templateItEESt5tupleIJNSA_6TensorESF_SF_EERKSF_lbbbEUlllE_EE10hipError_tT0_T1_T2_jT3_P12ihipStream_tbPNSt15iterator_traitsISL_E10value_typeEPNSR_ISM_E10value_typeEPSN_NS1_7vsmem_tEENKUlT_SL_SM_SN_E_clIS8_S8_S9_S9_EESK_S10_SL_SM_SN_EUlS10_E0_NS1_11comp_targetILNS1_3genE8ELNS1_11target_archE1030ELNS1_3gpuE2ELNS1_3repE0EEENS1_38merge_mergepath_config_static_selectorELNS0_4arch9wavefront6targetE1EEEvSM_: ; @_ZN7rocprim17ROCPRIM_400000_NS6detail17trampoline_kernelINS0_14default_configENS1_38merge_sort_block_merge_config_selectorIlNS0_10empty_typeEEEZZNS1_27merge_sort_block_merge_implIS3_PlPS5_mZN2at6native12_GLOBAL__N_124unique_dim_cuda_templateItEESt5tupleIJNSA_6TensorESF_SF_EERKSF_lbbbEUlllE_EE10hipError_tT0_T1_T2_jT3_P12ihipStream_tbPNSt15iterator_traitsISL_E10value_typeEPNSR_ISM_E10value_typeEPSN_NS1_7vsmem_tEENKUlT_SL_SM_SN_E_clIS8_S8_S9_S9_EESK_S10_SL_SM_SN_EUlS10_E0_NS1_11comp_targetILNS1_3genE8ELNS1_11target_archE1030ELNS1_3gpuE2ELNS1_3repE0EEENS1_38merge_mergepath_config_static_selectorELNS0_4arch9wavefront6targetE1EEEvSM_
; %bb.0:
	.section	.rodata,"a",@progbits
	.p2align	6, 0x0
	.amdhsa_kernel _ZN7rocprim17ROCPRIM_400000_NS6detail17trampoline_kernelINS0_14default_configENS1_38merge_sort_block_merge_config_selectorIlNS0_10empty_typeEEEZZNS1_27merge_sort_block_merge_implIS3_PlPS5_mZN2at6native12_GLOBAL__N_124unique_dim_cuda_templateItEESt5tupleIJNSA_6TensorESF_SF_EERKSF_lbbbEUlllE_EE10hipError_tT0_T1_T2_jT3_P12ihipStream_tbPNSt15iterator_traitsISL_E10value_typeEPNSR_ISM_E10value_typeEPSN_NS1_7vsmem_tEENKUlT_SL_SM_SN_E_clIS8_S8_S9_S9_EESK_S10_SL_SM_SN_EUlS10_E0_NS1_11comp_targetILNS1_3genE8ELNS1_11target_archE1030ELNS1_3gpuE2ELNS1_3repE0EEENS1_38merge_mergepath_config_static_selectorELNS0_4arch9wavefront6targetE1EEEvSM_
		.amdhsa_group_segment_fixed_size 0
		.amdhsa_private_segment_fixed_size 0
		.amdhsa_kernarg_size 88
		.amdhsa_user_sgpr_count 2
		.amdhsa_user_sgpr_dispatch_ptr 0
		.amdhsa_user_sgpr_queue_ptr 0
		.amdhsa_user_sgpr_kernarg_segment_ptr 1
		.amdhsa_user_sgpr_dispatch_id 0
		.amdhsa_user_sgpr_kernarg_preload_length 0
		.amdhsa_user_sgpr_kernarg_preload_offset 0
		.amdhsa_user_sgpr_private_segment_size 0
		.amdhsa_uses_dynamic_stack 0
		.amdhsa_enable_private_segment 0
		.amdhsa_system_sgpr_workgroup_id_x 1
		.amdhsa_system_sgpr_workgroup_id_y 0
		.amdhsa_system_sgpr_workgroup_id_z 0
		.amdhsa_system_sgpr_workgroup_info 0
		.amdhsa_system_vgpr_workitem_id 0
		.amdhsa_next_free_vgpr 1
		.amdhsa_next_free_sgpr 0
		.amdhsa_accum_offset 4
		.amdhsa_reserve_vcc 0
		.amdhsa_float_round_mode_32 0
		.amdhsa_float_round_mode_16_64 0
		.amdhsa_float_denorm_mode_32 3
		.amdhsa_float_denorm_mode_16_64 3
		.amdhsa_dx10_clamp 1
		.amdhsa_ieee_mode 1
		.amdhsa_fp16_overflow 0
		.amdhsa_tg_split 0
		.amdhsa_exception_fp_ieee_invalid_op 0
		.amdhsa_exception_fp_denorm_src 0
		.amdhsa_exception_fp_ieee_div_zero 0
		.amdhsa_exception_fp_ieee_overflow 0
		.amdhsa_exception_fp_ieee_underflow 0
		.amdhsa_exception_fp_ieee_inexact 0
		.amdhsa_exception_int_div_zero 0
	.end_amdhsa_kernel
	.section	.text._ZN7rocprim17ROCPRIM_400000_NS6detail17trampoline_kernelINS0_14default_configENS1_38merge_sort_block_merge_config_selectorIlNS0_10empty_typeEEEZZNS1_27merge_sort_block_merge_implIS3_PlPS5_mZN2at6native12_GLOBAL__N_124unique_dim_cuda_templateItEESt5tupleIJNSA_6TensorESF_SF_EERKSF_lbbbEUlllE_EE10hipError_tT0_T1_T2_jT3_P12ihipStream_tbPNSt15iterator_traitsISL_E10value_typeEPNSR_ISM_E10value_typeEPSN_NS1_7vsmem_tEENKUlT_SL_SM_SN_E_clIS8_S8_S9_S9_EESK_S10_SL_SM_SN_EUlS10_E0_NS1_11comp_targetILNS1_3genE8ELNS1_11target_archE1030ELNS1_3gpuE2ELNS1_3repE0EEENS1_38merge_mergepath_config_static_selectorELNS0_4arch9wavefront6targetE1EEEvSM_,"axG",@progbits,_ZN7rocprim17ROCPRIM_400000_NS6detail17trampoline_kernelINS0_14default_configENS1_38merge_sort_block_merge_config_selectorIlNS0_10empty_typeEEEZZNS1_27merge_sort_block_merge_implIS3_PlPS5_mZN2at6native12_GLOBAL__N_124unique_dim_cuda_templateItEESt5tupleIJNSA_6TensorESF_SF_EERKSF_lbbbEUlllE_EE10hipError_tT0_T1_T2_jT3_P12ihipStream_tbPNSt15iterator_traitsISL_E10value_typeEPNSR_ISM_E10value_typeEPSN_NS1_7vsmem_tEENKUlT_SL_SM_SN_E_clIS8_S8_S9_S9_EESK_S10_SL_SM_SN_EUlS10_E0_NS1_11comp_targetILNS1_3genE8ELNS1_11target_archE1030ELNS1_3gpuE2ELNS1_3repE0EEENS1_38merge_mergepath_config_static_selectorELNS0_4arch9wavefront6targetE1EEEvSM_,comdat
.Lfunc_end1394:
	.size	_ZN7rocprim17ROCPRIM_400000_NS6detail17trampoline_kernelINS0_14default_configENS1_38merge_sort_block_merge_config_selectorIlNS0_10empty_typeEEEZZNS1_27merge_sort_block_merge_implIS3_PlPS5_mZN2at6native12_GLOBAL__N_124unique_dim_cuda_templateItEESt5tupleIJNSA_6TensorESF_SF_EERKSF_lbbbEUlllE_EE10hipError_tT0_T1_T2_jT3_P12ihipStream_tbPNSt15iterator_traitsISL_E10value_typeEPNSR_ISM_E10value_typeEPSN_NS1_7vsmem_tEENKUlT_SL_SM_SN_E_clIS8_S8_S9_S9_EESK_S10_SL_SM_SN_EUlS10_E0_NS1_11comp_targetILNS1_3genE8ELNS1_11target_archE1030ELNS1_3gpuE2ELNS1_3repE0EEENS1_38merge_mergepath_config_static_selectorELNS0_4arch9wavefront6targetE1EEEvSM_, .Lfunc_end1394-_ZN7rocprim17ROCPRIM_400000_NS6detail17trampoline_kernelINS0_14default_configENS1_38merge_sort_block_merge_config_selectorIlNS0_10empty_typeEEEZZNS1_27merge_sort_block_merge_implIS3_PlPS5_mZN2at6native12_GLOBAL__N_124unique_dim_cuda_templateItEESt5tupleIJNSA_6TensorESF_SF_EERKSF_lbbbEUlllE_EE10hipError_tT0_T1_T2_jT3_P12ihipStream_tbPNSt15iterator_traitsISL_E10value_typeEPNSR_ISM_E10value_typeEPSN_NS1_7vsmem_tEENKUlT_SL_SM_SN_E_clIS8_S8_S9_S9_EESK_S10_SL_SM_SN_EUlS10_E0_NS1_11comp_targetILNS1_3genE8ELNS1_11target_archE1030ELNS1_3gpuE2ELNS1_3repE0EEENS1_38merge_mergepath_config_static_selectorELNS0_4arch9wavefront6targetE1EEEvSM_
                                        ; -- End function
	.section	.AMDGPU.csdata,"",@progbits
; Kernel info:
; codeLenInByte = 0
; NumSgprs: 6
; NumVgprs: 0
; NumAgprs: 0
; TotalNumVgprs: 0
; ScratchSize: 0
; MemoryBound: 0
; FloatMode: 240
; IeeeMode: 1
; LDSByteSize: 0 bytes/workgroup (compile time only)
; SGPRBlocks: 0
; VGPRBlocks: 0
; NumSGPRsForWavesPerEU: 6
; NumVGPRsForWavesPerEU: 1
; AccumOffset: 4
; Occupancy: 8
; WaveLimiterHint : 0
; COMPUTE_PGM_RSRC2:SCRATCH_EN: 0
; COMPUTE_PGM_RSRC2:USER_SGPR: 2
; COMPUTE_PGM_RSRC2:TRAP_HANDLER: 0
; COMPUTE_PGM_RSRC2:TGID_X_EN: 1
; COMPUTE_PGM_RSRC2:TGID_Y_EN: 0
; COMPUTE_PGM_RSRC2:TGID_Z_EN: 0
; COMPUTE_PGM_RSRC2:TIDIG_COMP_CNT: 0
; COMPUTE_PGM_RSRC3_GFX90A:ACCUM_OFFSET: 0
; COMPUTE_PGM_RSRC3_GFX90A:TG_SPLIT: 0
	.section	.text._ZN7rocprim17ROCPRIM_400000_NS6detail17trampoline_kernelINS0_14default_configENS1_38merge_sort_block_merge_config_selectorIlNS0_10empty_typeEEEZZNS1_27merge_sort_block_merge_implIS3_PlPS5_mZN2at6native12_GLOBAL__N_124unique_dim_cuda_templateItEESt5tupleIJNSA_6TensorESF_SF_EERKSF_lbbbEUlllE_EE10hipError_tT0_T1_T2_jT3_P12ihipStream_tbPNSt15iterator_traitsISL_E10value_typeEPNSR_ISM_E10value_typeEPSN_NS1_7vsmem_tEENKUlT_SL_SM_SN_E_clIS8_S8_S9_S9_EESK_S10_SL_SM_SN_EUlS10_E1_NS1_11comp_targetILNS1_3genE0ELNS1_11target_archE4294967295ELNS1_3gpuE0ELNS1_3repE0EEENS1_36merge_oddeven_config_static_selectorELNS0_4arch9wavefront6targetE1EEEvSM_,"axG",@progbits,_ZN7rocprim17ROCPRIM_400000_NS6detail17trampoline_kernelINS0_14default_configENS1_38merge_sort_block_merge_config_selectorIlNS0_10empty_typeEEEZZNS1_27merge_sort_block_merge_implIS3_PlPS5_mZN2at6native12_GLOBAL__N_124unique_dim_cuda_templateItEESt5tupleIJNSA_6TensorESF_SF_EERKSF_lbbbEUlllE_EE10hipError_tT0_T1_T2_jT3_P12ihipStream_tbPNSt15iterator_traitsISL_E10value_typeEPNSR_ISM_E10value_typeEPSN_NS1_7vsmem_tEENKUlT_SL_SM_SN_E_clIS8_S8_S9_S9_EESK_S10_SL_SM_SN_EUlS10_E1_NS1_11comp_targetILNS1_3genE0ELNS1_11target_archE4294967295ELNS1_3gpuE0ELNS1_3repE0EEENS1_36merge_oddeven_config_static_selectorELNS0_4arch9wavefront6targetE1EEEvSM_,comdat
	.globl	_ZN7rocprim17ROCPRIM_400000_NS6detail17trampoline_kernelINS0_14default_configENS1_38merge_sort_block_merge_config_selectorIlNS0_10empty_typeEEEZZNS1_27merge_sort_block_merge_implIS3_PlPS5_mZN2at6native12_GLOBAL__N_124unique_dim_cuda_templateItEESt5tupleIJNSA_6TensorESF_SF_EERKSF_lbbbEUlllE_EE10hipError_tT0_T1_T2_jT3_P12ihipStream_tbPNSt15iterator_traitsISL_E10value_typeEPNSR_ISM_E10value_typeEPSN_NS1_7vsmem_tEENKUlT_SL_SM_SN_E_clIS8_S8_S9_S9_EESK_S10_SL_SM_SN_EUlS10_E1_NS1_11comp_targetILNS1_3genE0ELNS1_11target_archE4294967295ELNS1_3gpuE0ELNS1_3repE0EEENS1_36merge_oddeven_config_static_selectorELNS0_4arch9wavefront6targetE1EEEvSM_ ; -- Begin function _ZN7rocprim17ROCPRIM_400000_NS6detail17trampoline_kernelINS0_14default_configENS1_38merge_sort_block_merge_config_selectorIlNS0_10empty_typeEEEZZNS1_27merge_sort_block_merge_implIS3_PlPS5_mZN2at6native12_GLOBAL__N_124unique_dim_cuda_templateItEESt5tupleIJNSA_6TensorESF_SF_EERKSF_lbbbEUlllE_EE10hipError_tT0_T1_T2_jT3_P12ihipStream_tbPNSt15iterator_traitsISL_E10value_typeEPNSR_ISM_E10value_typeEPSN_NS1_7vsmem_tEENKUlT_SL_SM_SN_E_clIS8_S8_S9_S9_EESK_S10_SL_SM_SN_EUlS10_E1_NS1_11comp_targetILNS1_3genE0ELNS1_11target_archE4294967295ELNS1_3gpuE0ELNS1_3repE0EEENS1_36merge_oddeven_config_static_selectorELNS0_4arch9wavefront6targetE1EEEvSM_
	.p2align	8
	.type	_ZN7rocprim17ROCPRIM_400000_NS6detail17trampoline_kernelINS0_14default_configENS1_38merge_sort_block_merge_config_selectorIlNS0_10empty_typeEEEZZNS1_27merge_sort_block_merge_implIS3_PlPS5_mZN2at6native12_GLOBAL__N_124unique_dim_cuda_templateItEESt5tupleIJNSA_6TensorESF_SF_EERKSF_lbbbEUlllE_EE10hipError_tT0_T1_T2_jT3_P12ihipStream_tbPNSt15iterator_traitsISL_E10value_typeEPNSR_ISM_E10value_typeEPSN_NS1_7vsmem_tEENKUlT_SL_SM_SN_E_clIS8_S8_S9_S9_EESK_S10_SL_SM_SN_EUlS10_E1_NS1_11comp_targetILNS1_3genE0ELNS1_11target_archE4294967295ELNS1_3gpuE0ELNS1_3repE0EEENS1_36merge_oddeven_config_static_selectorELNS0_4arch9wavefront6targetE1EEEvSM_,@function
_ZN7rocprim17ROCPRIM_400000_NS6detail17trampoline_kernelINS0_14default_configENS1_38merge_sort_block_merge_config_selectorIlNS0_10empty_typeEEEZZNS1_27merge_sort_block_merge_implIS3_PlPS5_mZN2at6native12_GLOBAL__N_124unique_dim_cuda_templateItEESt5tupleIJNSA_6TensorESF_SF_EERKSF_lbbbEUlllE_EE10hipError_tT0_T1_T2_jT3_P12ihipStream_tbPNSt15iterator_traitsISL_E10value_typeEPNSR_ISM_E10value_typeEPSN_NS1_7vsmem_tEENKUlT_SL_SM_SN_E_clIS8_S8_S9_S9_EESK_S10_SL_SM_SN_EUlS10_E1_NS1_11comp_targetILNS1_3genE0ELNS1_11target_archE4294967295ELNS1_3gpuE0ELNS1_3repE0EEENS1_36merge_oddeven_config_static_selectorELNS0_4arch9wavefront6targetE1EEEvSM_: ; @_ZN7rocprim17ROCPRIM_400000_NS6detail17trampoline_kernelINS0_14default_configENS1_38merge_sort_block_merge_config_selectorIlNS0_10empty_typeEEEZZNS1_27merge_sort_block_merge_implIS3_PlPS5_mZN2at6native12_GLOBAL__N_124unique_dim_cuda_templateItEESt5tupleIJNSA_6TensorESF_SF_EERKSF_lbbbEUlllE_EE10hipError_tT0_T1_T2_jT3_P12ihipStream_tbPNSt15iterator_traitsISL_E10value_typeEPNSR_ISM_E10value_typeEPSN_NS1_7vsmem_tEENKUlT_SL_SM_SN_E_clIS8_S8_S9_S9_EESK_S10_SL_SM_SN_EUlS10_E1_NS1_11comp_targetILNS1_3genE0ELNS1_11target_archE4294967295ELNS1_3gpuE0ELNS1_3repE0EEENS1_36merge_oddeven_config_static_selectorELNS0_4arch9wavefront6targetE1EEEvSM_
; %bb.0:
	.section	.rodata,"a",@progbits
	.p2align	6, 0x0
	.amdhsa_kernel _ZN7rocprim17ROCPRIM_400000_NS6detail17trampoline_kernelINS0_14default_configENS1_38merge_sort_block_merge_config_selectorIlNS0_10empty_typeEEEZZNS1_27merge_sort_block_merge_implIS3_PlPS5_mZN2at6native12_GLOBAL__N_124unique_dim_cuda_templateItEESt5tupleIJNSA_6TensorESF_SF_EERKSF_lbbbEUlllE_EE10hipError_tT0_T1_T2_jT3_P12ihipStream_tbPNSt15iterator_traitsISL_E10value_typeEPNSR_ISM_E10value_typeEPSN_NS1_7vsmem_tEENKUlT_SL_SM_SN_E_clIS8_S8_S9_S9_EESK_S10_SL_SM_SN_EUlS10_E1_NS1_11comp_targetILNS1_3genE0ELNS1_11target_archE4294967295ELNS1_3gpuE0ELNS1_3repE0EEENS1_36merge_oddeven_config_static_selectorELNS0_4arch9wavefront6targetE1EEEvSM_
		.amdhsa_group_segment_fixed_size 0
		.amdhsa_private_segment_fixed_size 0
		.amdhsa_kernarg_size 64
		.amdhsa_user_sgpr_count 2
		.amdhsa_user_sgpr_dispatch_ptr 0
		.amdhsa_user_sgpr_queue_ptr 0
		.amdhsa_user_sgpr_kernarg_segment_ptr 1
		.amdhsa_user_sgpr_dispatch_id 0
		.amdhsa_user_sgpr_kernarg_preload_length 0
		.amdhsa_user_sgpr_kernarg_preload_offset 0
		.amdhsa_user_sgpr_private_segment_size 0
		.amdhsa_uses_dynamic_stack 0
		.amdhsa_enable_private_segment 0
		.amdhsa_system_sgpr_workgroup_id_x 1
		.amdhsa_system_sgpr_workgroup_id_y 0
		.amdhsa_system_sgpr_workgroup_id_z 0
		.amdhsa_system_sgpr_workgroup_info 0
		.amdhsa_system_vgpr_workitem_id 0
		.amdhsa_next_free_vgpr 1
		.amdhsa_next_free_sgpr 0
		.amdhsa_accum_offset 4
		.amdhsa_reserve_vcc 0
		.amdhsa_float_round_mode_32 0
		.amdhsa_float_round_mode_16_64 0
		.amdhsa_float_denorm_mode_32 3
		.amdhsa_float_denorm_mode_16_64 3
		.amdhsa_dx10_clamp 1
		.amdhsa_ieee_mode 1
		.amdhsa_fp16_overflow 0
		.amdhsa_tg_split 0
		.amdhsa_exception_fp_ieee_invalid_op 0
		.amdhsa_exception_fp_denorm_src 0
		.amdhsa_exception_fp_ieee_div_zero 0
		.amdhsa_exception_fp_ieee_overflow 0
		.amdhsa_exception_fp_ieee_underflow 0
		.amdhsa_exception_fp_ieee_inexact 0
		.amdhsa_exception_int_div_zero 0
	.end_amdhsa_kernel
	.section	.text._ZN7rocprim17ROCPRIM_400000_NS6detail17trampoline_kernelINS0_14default_configENS1_38merge_sort_block_merge_config_selectorIlNS0_10empty_typeEEEZZNS1_27merge_sort_block_merge_implIS3_PlPS5_mZN2at6native12_GLOBAL__N_124unique_dim_cuda_templateItEESt5tupleIJNSA_6TensorESF_SF_EERKSF_lbbbEUlllE_EE10hipError_tT0_T1_T2_jT3_P12ihipStream_tbPNSt15iterator_traitsISL_E10value_typeEPNSR_ISM_E10value_typeEPSN_NS1_7vsmem_tEENKUlT_SL_SM_SN_E_clIS8_S8_S9_S9_EESK_S10_SL_SM_SN_EUlS10_E1_NS1_11comp_targetILNS1_3genE0ELNS1_11target_archE4294967295ELNS1_3gpuE0ELNS1_3repE0EEENS1_36merge_oddeven_config_static_selectorELNS0_4arch9wavefront6targetE1EEEvSM_,"axG",@progbits,_ZN7rocprim17ROCPRIM_400000_NS6detail17trampoline_kernelINS0_14default_configENS1_38merge_sort_block_merge_config_selectorIlNS0_10empty_typeEEEZZNS1_27merge_sort_block_merge_implIS3_PlPS5_mZN2at6native12_GLOBAL__N_124unique_dim_cuda_templateItEESt5tupleIJNSA_6TensorESF_SF_EERKSF_lbbbEUlllE_EE10hipError_tT0_T1_T2_jT3_P12ihipStream_tbPNSt15iterator_traitsISL_E10value_typeEPNSR_ISM_E10value_typeEPSN_NS1_7vsmem_tEENKUlT_SL_SM_SN_E_clIS8_S8_S9_S9_EESK_S10_SL_SM_SN_EUlS10_E1_NS1_11comp_targetILNS1_3genE0ELNS1_11target_archE4294967295ELNS1_3gpuE0ELNS1_3repE0EEENS1_36merge_oddeven_config_static_selectorELNS0_4arch9wavefront6targetE1EEEvSM_,comdat
.Lfunc_end1395:
	.size	_ZN7rocprim17ROCPRIM_400000_NS6detail17trampoline_kernelINS0_14default_configENS1_38merge_sort_block_merge_config_selectorIlNS0_10empty_typeEEEZZNS1_27merge_sort_block_merge_implIS3_PlPS5_mZN2at6native12_GLOBAL__N_124unique_dim_cuda_templateItEESt5tupleIJNSA_6TensorESF_SF_EERKSF_lbbbEUlllE_EE10hipError_tT0_T1_T2_jT3_P12ihipStream_tbPNSt15iterator_traitsISL_E10value_typeEPNSR_ISM_E10value_typeEPSN_NS1_7vsmem_tEENKUlT_SL_SM_SN_E_clIS8_S8_S9_S9_EESK_S10_SL_SM_SN_EUlS10_E1_NS1_11comp_targetILNS1_3genE0ELNS1_11target_archE4294967295ELNS1_3gpuE0ELNS1_3repE0EEENS1_36merge_oddeven_config_static_selectorELNS0_4arch9wavefront6targetE1EEEvSM_, .Lfunc_end1395-_ZN7rocprim17ROCPRIM_400000_NS6detail17trampoline_kernelINS0_14default_configENS1_38merge_sort_block_merge_config_selectorIlNS0_10empty_typeEEEZZNS1_27merge_sort_block_merge_implIS3_PlPS5_mZN2at6native12_GLOBAL__N_124unique_dim_cuda_templateItEESt5tupleIJNSA_6TensorESF_SF_EERKSF_lbbbEUlllE_EE10hipError_tT0_T1_T2_jT3_P12ihipStream_tbPNSt15iterator_traitsISL_E10value_typeEPNSR_ISM_E10value_typeEPSN_NS1_7vsmem_tEENKUlT_SL_SM_SN_E_clIS8_S8_S9_S9_EESK_S10_SL_SM_SN_EUlS10_E1_NS1_11comp_targetILNS1_3genE0ELNS1_11target_archE4294967295ELNS1_3gpuE0ELNS1_3repE0EEENS1_36merge_oddeven_config_static_selectorELNS0_4arch9wavefront6targetE1EEEvSM_
                                        ; -- End function
	.section	.AMDGPU.csdata,"",@progbits
; Kernel info:
; codeLenInByte = 0
; NumSgprs: 6
; NumVgprs: 0
; NumAgprs: 0
; TotalNumVgprs: 0
; ScratchSize: 0
; MemoryBound: 0
; FloatMode: 240
; IeeeMode: 1
; LDSByteSize: 0 bytes/workgroup (compile time only)
; SGPRBlocks: 0
; VGPRBlocks: 0
; NumSGPRsForWavesPerEU: 6
; NumVGPRsForWavesPerEU: 1
; AccumOffset: 4
; Occupancy: 8
; WaveLimiterHint : 0
; COMPUTE_PGM_RSRC2:SCRATCH_EN: 0
; COMPUTE_PGM_RSRC2:USER_SGPR: 2
; COMPUTE_PGM_RSRC2:TRAP_HANDLER: 0
; COMPUTE_PGM_RSRC2:TGID_X_EN: 1
; COMPUTE_PGM_RSRC2:TGID_Y_EN: 0
; COMPUTE_PGM_RSRC2:TGID_Z_EN: 0
; COMPUTE_PGM_RSRC2:TIDIG_COMP_CNT: 0
; COMPUTE_PGM_RSRC3_GFX90A:ACCUM_OFFSET: 0
; COMPUTE_PGM_RSRC3_GFX90A:TG_SPLIT: 0
	.section	.text._ZN7rocprim17ROCPRIM_400000_NS6detail17trampoline_kernelINS0_14default_configENS1_38merge_sort_block_merge_config_selectorIlNS0_10empty_typeEEEZZNS1_27merge_sort_block_merge_implIS3_PlPS5_mZN2at6native12_GLOBAL__N_124unique_dim_cuda_templateItEESt5tupleIJNSA_6TensorESF_SF_EERKSF_lbbbEUlllE_EE10hipError_tT0_T1_T2_jT3_P12ihipStream_tbPNSt15iterator_traitsISL_E10value_typeEPNSR_ISM_E10value_typeEPSN_NS1_7vsmem_tEENKUlT_SL_SM_SN_E_clIS8_S8_S9_S9_EESK_S10_SL_SM_SN_EUlS10_E1_NS1_11comp_targetILNS1_3genE10ELNS1_11target_archE1201ELNS1_3gpuE5ELNS1_3repE0EEENS1_36merge_oddeven_config_static_selectorELNS0_4arch9wavefront6targetE1EEEvSM_,"axG",@progbits,_ZN7rocprim17ROCPRIM_400000_NS6detail17trampoline_kernelINS0_14default_configENS1_38merge_sort_block_merge_config_selectorIlNS0_10empty_typeEEEZZNS1_27merge_sort_block_merge_implIS3_PlPS5_mZN2at6native12_GLOBAL__N_124unique_dim_cuda_templateItEESt5tupleIJNSA_6TensorESF_SF_EERKSF_lbbbEUlllE_EE10hipError_tT0_T1_T2_jT3_P12ihipStream_tbPNSt15iterator_traitsISL_E10value_typeEPNSR_ISM_E10value_typeEPSN_NS1_7vsmem_tEENKUlT_SL_SM_SN_E_clIS8_S8_S9_S9_EESK_S10_SL_SM_SN_EUlS10_E1_NS1_11comp_targetILNS1_3genE10ELNS1_11target_archE1201ELNS1_3gpuE5ELNS1_3repE0EEENS1_36merge_oddeven_config_static_selectorELNS0_4arch9wavefront6targetE1EEEvSM_,comdat
	.globl	_ZN7rocprim17ROCPRIM_400000_NS6detail17trampoline_kernelINS0_14default_configENS1_38merge_sort_block_merge_config_selectorIlNS0_10empty_typeEEEZZNS1_27merge_sort_block_merge_implIS3_PlPS5_mZN2at6native12_GLOBAL__N_124unique_dim_cuda_templateItEESt5tupleIJNSA_6TensorESF_SF_EERKSF_lbbbEUlllE_EE10hipError_tT0_T1_T2_jT3_P12ihipStream_tbPNSt15iterator_traitsISL_E10value_typeEPNSR_ISM_E10value_typeEPSN_NS1_7vsmem_tEENKUlT_SL_SM_SN_E_clIS8_S8_S9_S9_EESK_S10_SL_SM_SN_EUlS10_E1_NS1_11comp_targetILNS1_3genE10ELNS1_11target_archE1201ELNS1_3gpuE5ELNS1_3repE0EEENS1_36merge_oddeven_config_static_selectorELNS0_4arch9wavefront6targetE1EEEvSM_ ; -- Begin function _ZN7rocprim17ROCPRIM_400000_NS6detail17trampoline_kernelINS0_14default_configENS1_38merge_sort_block_merge_config_selectorIlNS0_10empty_typeEEEZZNS1_27merge_sort_block_merge_implIS3_PlPS5_mZN2at6native12_GLOBAL__N_124unique_dim_cuda_templateItEESt5tupleIJNSA_6TensorESF_SF_EERKSF_lbbbEUlllE_EE10hipError_tT0_T1_T2_jT3_P12ihipStream_tbPNSt15iterator_traitsISL_E10value_typeEPNSR_ISM_E10value_typeEPSN_NS1_7vsmem_tEENKUlT_SL_SM_SN_E_clIS8_S8_S9_S9_EESK_S10_SL_SM_SN_EUlS10_E1_NS1_11comp_targetILNS1_3genE10ELNS1_11target_archE1201ELNS1_3gpuE5ELNS1_3repE0EEENS1_36merge_oddeven_config_static_selectorELNS0_4arch9wavefront6targetE1EEEvSM_
	.p2align	8
	.type	_ZN7rocprim17ROCPRIM_400000_NS6detail17trampoline_kernelINS0_14default_configENS1_38merge_sort_block_merge_config_selectorIlNS0_10empty_typeEEEZZNS1_27merge_sort_block_merge_implIS3_PlPS5_mZN2at6native12_GLOBAL__N_124unique_dim_cuda_templateItEESt5tupleIJNSA_6TensorESF_SF_EERKSF_lbbbEUlllE_EE10hipError_tT0_T1_T2_jT3_P12ihipStream_tbPNSt15iterator_traitsISL_E10value_typeEPNSR_ISM_E10value_typeEPSN_NS1_7vsmem_tEENKUlT_SL_SM_SN_E_clIS8_S8_S9_S9_EESK_S10_SL_SM_SN_EUlS10_E1_NS1_11comp_targetILNS1_3genE10ELNS1_11target_archE1201ELNS1_3gpuE5ELNS1_3repE0EEENS1_36merge_oddeven_config_static_selectorELNS0_4arch9wavefront6targetE1EEEvSM_,@function
_ZN7rocprim17ROCPRIM_400000_NS6detail17trampoline_kernelINS0_14default_configENS1_38merge_sort_block_merge_config_selectorIlNS0_10empty_typeEEEZZNS1_27merge_sort_block_merge_implIS3_PlPS5_mZN2at6native12_GLOBAL__N_124unique_dim_cuda_templateItEESt5tupleIJNSA_6TensorESF_SF_EERKSF_lbbbEUlllE_EE10hipError_tT0_T1_T2_jT3_P12ihipStream_tbPNSt15iterator_traitsISL_E10value_typeEPNSR_ISM_E10value_typeEPSN_NS1_7vsmem_tEENKUlT_SL_SM_SN_E_clIS8_S8_S9_S9_EESK_S10_SL_SM_SN_EUlS10_E1_NS1_11comp_targetILNS1_3genE10ELNS1_11target_archE1201ELNS1_3gpuE5ELNS1_3repE0EEENS1_36merge_oddeven_config_static_selectorELNS0_4arch9wavefront6targetE1EEEvSM_: ; @_ZN7rocprim17ROCPRIM_400000_NS6detail17trampoline_kernelINS0_14default_configENS1_38merge_sort_block_merge_config_selectorIlNS0_10empty_typeEEEZZNS1_27merge_sort_block_merge_implIS3_PlPS5_mZN2at6native12_GLOBAL__N_124unique_dim_cuda_templateItEESt5tupleIJNSA_6TensorESF_SF_EERKSF_lbbbEUlllE_EE10hipError_tT0_T1_T2_jT3_P12ihipStream_tbPNSt15iterator_traitsISL_E10value_typeEPNSR_ISM_E10value_typeEPSN_NS1_7vsmem_tEENKUlT_SL_SM_SN_E_clIS8_S8_S9_S9_EESK_S10_SL_SM_SN_EUlS10_E1_NS1_11comp_targetILNS1_3genE10ELNS1_11target_archE1201ELNS1_3gpuE5ELNS1_3repE0EEENS1_36merge_oddeven_config_static_selectorELNS0_4arch9wavefront6targetE1EEEvSM_
; %bb.0:
	.section	.rodata,"a",@progbits
	.p2align	6, 0x0
	.amdhsa_kernel _ZN7rocprim17ROCPRIM_400000_NS6detail17trampoline_kernelINS0_14default_configENS1_38merge_sort_block_merge_config_selectorIlNS0_10empty_typeEEEZZNS1_27merge_sort_block_merge_implIS3_PlPS5_mZN2at6native12_GLOBAL__N_124unique_dim_cuda_templateItEESt5tupleIJNSA_6TensorESF_SF_EERKSF_lbbbEUlllE_EE10hipError_tT0_T1_T2_jT3_P12ihipStream_tbPNSt15iterator_traitsISL_E10value_typeEPNSR_ISM_E10value_typeEPSN_NS1_7vsmem_tEENKUlT_SL_SM_SN_E_clIS8_S8_S9_S9_EESK_S10_SL_SM_SN_EUlS10_E1_NS1_11comp_targetILNS1_3genE10ELNS1_11target_archE1201ELNS1_3gpuE5ELNS1_3repE0EEENS1_36merge_oddeven_config_static_selectorELNS0_4arch9wavefront6targetE1EEEvSM_
		.amdhsa_group_segment_fixed_size 0
		.amdhsa_private_segment_fixed_size 0
		.amdhsa_kernarg_size 64
		.amdhsa_user_sgpr_count 2
		.amdhsa_user_sgpr_dispatch_ptr 0
		.amdhsa_user_sgpr_queue_ptr 0
		.amdhsa_user_sgpr_kernarg_segment_ptr 1
		.amdhsa_user_sgpr_dispatch_id 0
		.amdhsa_user_sgpr_kernarg_preload_length 0
		.amdhsa_user_sgpr_kernarg_preload_offset 0
		.amdhsa_user_sgpr_private_segment_size 0
		.amdhsa_uses_dynamic_stack 0
		.amdhsa_enable_private_segment 0
		.amdhsa_system_sgpr_workgroup_id_x 1
		.amdhsa_system_sgpr_workgroup_id_y 0
		.amdhsa_system_sgpr_workgroup_id_z 0
		.amdhsa_system_sgpr_workgroup_info 0
		.amdhsa_system_vgpr_workitem_id 0
		.amdhsa_next_free_vgpr 1
		.amdhsa_next_free_sgpr 0
		.amdhsa_accum_offset 4
		.amdhsa_reserve_vcc 0
		.amdhsa_float_round_mode_32 0
		.amdhsa_float_round_mode_16_64 0
		.amdhsa_float_denorm_mode_32 3
		.amdhsa_float_denorm_mode_16_64 3
		.amdhsa_dx10_clamp 1
		.amdhsa_ieee_mode 1
		.amdhsa_fp16_overflow 0
		.amdhsa_tg_split 0
		.amdhsa_exception_fp_ieee_invalid_op 0
		.amdhsa_exception_fp_denorm_src 0
		.amdhsa_exception_fp_ieee_div_zero 0
		.amdhsa_exception_fp_ieee_overflow 0
		.amdhsa_exception_fp_ieee_underflow 0
		.amdhsa_exception_fp_ieee_inexact 0
		.amdhsa_exception_int_div_zero 0
	.end_amdhsa_kernel
	.section	.text._ZN7rocprim17ROCPRIM_400000_NS6detail17trampoline_kernelINS0_14default_configENS1_38merge_sort_block_merge_config_selectorIlNS0_10empty_typeEEEZZNS1_27merge_sort_block_merge_implIS3_PlPS5_mZN2at6native12_GLOBAL__N_124unique_dim_cuda_templateItEESt5tupleIJNSA_6TensorESF_SF_EERKSF_lbbbEUlllE_EE10hipError_tT0_T1_T2_jT3_P12ihipStream_tbPNSt15iterator_traitsISL_E10value_typeEPNSR_ISM_E10value_typeEPSN_NS1_7vsmem_tEENKUlT_SL_SM_SN_E_clIS8_S8_S9_S9_EESK_S10_SL_SM_SN_EUlS10_E1_NS1_11comp_targetILNS1_3genE10ELNS1_11target_archE1201ELNS1_3gpuE5ELNS1_3repE0EEENS1_36merge_oddeven_config_static_selectorELNS0_4arch9wavefront6targetE1EEEvSM_,"axG",@progbits,_ZN7rocprim17ROCPRIM_400000_NS6detail17trampoline_kernelINS0_14default_configENS1_38merge_sort_block_merge_config_selectorIlNS0_10empty_typeEEEZZNS1_27merge_sort_block_merge_implIS3_PlPS5_mZN2at6native12_GLOBAL__N_124unique_dim_cuda_templateItEESt5tupleIJNSA_6TensorESF_SF_EERKSF_lbbbEUlllE_EE10hipError_tT0_T1_T2_jT3_P12ihipStream_tbPNSt15iterator_traitsISL_E10value_typeEPNSR_ISM_E10value_typeEPSN_NS1_7vsmem_tEENKUlT_SL_SM_SN_E_clIS8_S8_S9_S9_EESK_S10_SL_SM_SN_EUlS10_E1_NS1_11comp_targetILNS1_3genE10ELNS1_11target_archE1201ELNS1_3gpuE5ELNS1_3repE0EEENS1_36merge_oddeven_config_static_selectorELNS0_4arch9wavefront6targetE1EEEvSM_,comdat
.Lfunc_end1396:
	.size	_ZN7rocprim17ROCPRIM_400000_NS6detail17trampoline_kernelINS0_14default_configENS1_38merge_sort_block_merge_config_selectorIlNS0_10empty_typeEEEZZNS1_27merge_sort_block_merge_implIS3_PlPS5_mZN2at6native12_GLOBAL__N_124unique_dim_cuda_templateItEESt5tupleIJNSA_6TensorESF_SF_EERKSF_lbbbEUlllE_EE10hipError_tT0_T1_T2_jT3_P12ihipStream_tbPNSt15iterator_traitsISL_E10value_typeEPNSR_ISM_E10value_typeEPSN_NS1_7vsmem_tEENKUlT_SL_SM_SN_E_clIS8_S8_S9_S9_EESK_S10_SL_SM_SN_EUlS10_E1_NS1_11comp_targetILNS1_3genE10ELNS1_11target_archE1201ELNS1_3gpuE5ELNS1_3repE0EEENS1_36merge_oddeven_config_static_selectorELNS0_4arch9wavefront6targetE1EEEvSM_, .Lfunc_end1396-_ZN7rocprim17ROCPRIM_400000_NS6detail17trampoline_kernelINS0_14default_configENS1_38merge_sort_block_merge_config_selectorIlNS0_10empty_typeEEEZZNS1_27merge_sort_block_merge_implIS3_PlPS5_mZN2at6native12_GLOBAL__N_124unique_dim_cuda_templateItEESt5tupleIJNSA_6TensorESF_SF_EERKSF_lbbbEUlllE_EE10hipError_tT0_T1_T2_jT3_P12ihipStream_tbPNSt15iterator_traitsISL_E10value_typeEPNSR_ISM_E10value_typeEPSN_NS1_7vsmem_tEENKUlT_SL_SM_SN_E_clIS8_S8_S9_S9_EESK_S10_SL_SM_SN_EUlS10_E1_NS1_11comp_targetILNS1_3genE10ELNS1_11target_archE1201ELNS1_3gpuE5ELNS1_3repE0EEENS1_36merge_oddeven_config_static_selectorELNS0_4arch9wavefront6targetE1EEEvSM_
                                        ; -- End function
	.section	.AMDGPU.csdata,"",@progbits
; Kernel info:
; codeLenInByte = 0
; NumSgprs: 6
; NumVgprs: 0
; NumAgprs: 0
; TotalNumVgprs: 0
; ScratchSize: 0
; MemoryBound: 0
; FloatMode: 240
; IeeeMode: 1
; LDSByteSize: 0 bytes/workgroup (compile time only)
; SGPRBlocks: 0
; VGPRBlocks: 0
; NumSGPRsForWavesPerEU: 6
; NumVGPRsForWavesPerEU: 1
; AccumOffset: 4
; Occupancy: 8
; WaveLimiterHint : 0
; COMPUTE_PGM_RSRC2:SCRATCH_EN: 0
; COMPUTE_PGM_RSRC2:USER_SGPR: 2
; COMPUTE_PGM_RSRC2:TRAP_HANDLER: 0
; COMPUTE_PGM_RSRC2:TGID_X_EN: 1
; COMPUTE_PGM_RSRC2:TGID_Y_EN: 0
; COMPUTE_PGM_RSRC2:TGID_Z_EN: 0
; COMPUTE_PGM_RSRC2:TIDIG_COMP_CNT: 0
; COMPUTE_PGM_RSRC3_GFX90A:ACCUM_OFFSET: 0
; COMPUTE_PGM_RSRC3_GFX90A:TG_SPLIT: 0
	.section	.text._ZN7rocprim17ROCPRIM_400000_NS6detail17trampoline_kernelINS0_14default_configENS1_38merge_sort_block_merge_config_selectorIlNS0_10empty_typeEEEZZNS1_27merge_sort_block_merge_implIS3_PlPS5_mZN2at6native12_GLOBAL__N_124unique_dim_cuda_templateItEESt5tupleIJNSA_6TensorESF_SF_EERKSF_lbbbEUlllE_EE10hipError_tT0_T1_T2_jT3_P12ihipStream_tbPNSt15iterator_traitsISL_E10value_typeEPNSR_ISM_E10value_typeEPSN_NS1_7vsmem_tEENKUlT_SL_SM_SN_E_clIS8_S8_S9_S9_EESK_S10_SL_SM_SN_EUlS10_E1_NS1_11comp_targetILNS1_3genE5ELNS1_11target_archE942ELNS1_3gpuE9ELNS1_3repE0EEENS1_36merge_oddeven_config_static_selectorELNS0_4arch9wavefront6targetE1EEEvSM_,"axG",@progbits,_ZN7rocprim17ROCPRIM_400000_NS6detail17trampoline_kernelINS0_14default_configENS1_38merge_sort_block_merge_config_selectorIlNS0_10empty_typeEEEZZNS1_27merge_sort_block_merge_implIS3_PlPS5_mZN2at6native12_GLOBAL__N_124unique_dim_cuda_templateItEESt5tupleIJNSA_6TensorESF_SF_EERKSF_lbbbEUlllE_EE10hipError_tT0_T1_T2_jT3_P12ihipStream_tbPNSt15iterator_traitsISL_E10value_typeEPNSR_ISM_E10value_typeEPSN_NS1_7vsmem_tEENKUlT_SL_SM_SN_E_clIS8_S8_S9_S9_EESK_S10_SL_SM_SN_EUlS10_E1_NS1_11comp_targetILNS1_3genE5ELNS1_11target_archE942ELNS1_3gpuE9ELNS1_3repE0EEENS1_36merge_oddeven_config_static_selectorELNS0_4arch9wavefront6targetE1EEEvSM_,comdat
	.globl	_ZN7rocprim17ROCPRIM_400000_NS6detail17trampoline_kernelINS0_14default_configENS1_38merge_sort_block_merge_config_selectorIlNS0_10empty_typeEEEZZNS1_27merge_sort_block_merge_implIS3_PlPS5_mZN2at6native12_GLOBAL__N_124unique_dim_cuda_templateItEESt5tupleIJNSA_6TensorESF_SF_EERKSF_lbbbEUlllE_EE10hipError_tT0_T1_T2_jT3_P12ihipStream_tbPNSt15iterator_traitsISL_E10value_typeEPNSR_ISM_E10value_typeEPSN_NS1_7vsmem_tEENKUlT_SL_SM_SN_E_clIS8_S8_S9_S9_EESK_S10_SL_SM_SN_EUlS10_E1_NS1_11comp_targetILNS1_3genE5ELNS1_11target_archE942ELNS1_3gpuE9ELNS1_3repE0EEENS1_36merge_oddeven_config_static_selectorELNS0_4arch9wavefront6targetE1EEEvSM_ ; -- Begin function _ZN7rocprim17ROCPRIM_400000_NS6detail17trampoline_kernelINS0_14default_configENS1_38merge_sort_block_merge_config_selectorIlNS0_10empty_typeEEEZZNS1_27merge_sort_block_merge_implIS3_PlPS5_mZN2at6native12_GLOBAL__N_124unique_dim_cuda_templateItEESt5tupleIJNSA_6TensorESF_SF_EERKSF_lbbbEUlllE_EE10hipError_tT0_T1_T2_jT3_P12ihipStream_tbPNSt15iterator_traitsISL_E10value_typeEPNSR_ISM_E10value_typeEPSN_NS1_7vsmem_tEENKUlT_SL_SM_SN_E_clIS8_S8_S9_S9_EESK_S10_SL_SM_SN_EUlS10_E1_NS1_11comp_targetILNS1_3genE5ELNS1_11target_archE942ELNS1_3gpuE9ELNS1_3repE0EEENS1_36merge_oddeven_config_static_selectorELNS0_4arch9wavefront6targetE1EEEvSM_
	.p2align	8
	.type	_ZN7rocprim17ROCPRIM_400000_NS6detail17trampoline_kernelINS0_14default_configENS1_38merge_sort_block_merge_config_selectorIlNS0_10empty_typeEEEZZNS1_27merge_sort_block_merge_implIS3_PlPS5_mZN2at6native12_GLOBAL__N_124unique_dim_cuda_templateItEESt5tupleIJNSA_6TensorESF_SF_EERKSF_lbbbEUlllE_EE10hipError_tT0_T1_T2_jT3_P12ihipStream_tbPNSt15iterator_traitsISL_E10value_typeEPNSR_ISM_E10value_typeEPSN_NS1_7vsmem_tEENKUlT_SL_SM_SN_E_clIS8_S8_S9_S9_EESK_S10_SL_SM_SN_EUlS10_E1_NS1_11comp_targetILNS1_3genE5ELNS1_11target_archE942ELNS1_3gpuE9ELNS1_3repE0EEENS1_36merge_oddeven_config_static_selectorELNS0_4arch9wavefront6targetE1EEEvSM_,@function
_ZN7rocprim17ROCPRIM_400000_NS6detail17trampoline_kernelINS0_14default_configENS1_38merge_sort_block_merge_config_selectorIlNS0_10empty_typeEEEZZNS1_27merge_sort_block_merge_implIS3_PlPS5_mZN2at6native12_GLOBAL__N_124unique_dim_cuda_templateItEESt5tupleIJNSA_6TensorESF_SF_EERKSF_lbbbEUlllE_EE10hipError_tT0_T1_T2_jT3_P12ihipStream_tbPNSt15iterator_traitsISL_E10value_typeEPNSR_ISM_E10value_typeEPSN_NS1_7vsmem_tEENKUlT_SL_SM_SN_E_clIS8_S8_S9_S9_EESK_S10_SL_SM_SN_EUlS10_E1_NS1_11comp_targetILNS1_3genE5ELNS1_11target_archE942ELNS1_3gpuE9ELNS1_3repE0EEENS1_36merge_oddeven_config_static_selectorELNS0_4arch9wavefront6targetE1EEEvSM_: ; @_ZN7rocprim17ROCPRIM_400000_NS6detail17trampoline_kernelINS0_14default_configENS1_38merge_sort_block_merge_config_selectorIlNS0_10empty_typeEEEZZNS1_27merge_sort_block_merge_implIS3_PlPS5_mZN2at6native12_GLOBAL__N_124unique_dim_cuda_templateItEESt5tupleIJNSA_6TensorESF_SF_EERKSF_lbbbEUlllE_EE10hipError_tT0_T1_T2_jT3_P12ihipStream_tbPNSt15iterator_traitsISL_E10value_typeEPNSR_ISM_E10value_typeEPSN_NS1_7vsmem_tEENKUlT_SL_SM_SN_E_clIS8_S8_S9_S9_EESK_S10_SL_SM_SN_EUlS10_E1_NS1_11comp_targetILNS1_3genE5ELNS1_11target_archE942ELNS1_3gpuE9ELNS1_3repE0EEENS1_36merge_oddeven_config_static_selectorELNS0_4arch9wavefront6targetE1EEEvSM_
; %bb.0:
	s_load_dword s22, s[0:1], 0x20
	s_waitcnt lgkmcnt(0)
	s_lshr_b32 s3, s22, 8
	s_cmp_lg_u32 s2, s3
	s_cselect_b64 s[12:13], -1, 0
	s_cmp_eq_u32 s2, s3
	s_cselect_b64 s[6:7], -1, 0
	s_lshl_b32 s20, s2, 8
	s_sub_i32 s3, s22, s20
	v_cmp_gt_u32_e64 s[4:5], s3, v0
	s_or_b64 s[8:9], s[12:13], s[4:5]
	s_and_saveexec_b64 s[10:11], s[8:9]
	s_cbranch_execz .LBB1397_54
; %bb.1:
	s_load_dwordx4 s[8:11], s[0:1], 0x0
	s_load_dword s23, s[0:1], 0x28
	s_mov_b32 s21, 0
	s_lshl_b64 s[14:15], s[20:21], 3
	v_lshlrev_b32_e32 v1, 3, v0
	s_waitcnt lgkmcnt(0)
	s_add_u32 s14, s8, s14
	s_addc_u32 s15, s9, s15
	global_load_dwordx2 v[2:3], v1, s[14:15]
	s_lshr_b32 s3, s23, 8
	s_sub_i32 s14, 0, s3
	s_and_b32 s2, s2, s14
	s_and_b32 s3, s2, s3
	s_cmp_lg_u32 s3, 0
	s_cselect_b64 s[16:17], -1, 0
	s_lshl_b32 s21, s2, 8
	s_sub_i32 s2, 0, s23
	s_cmp_eq_u32 s3, 0
	s_cselect_b32 s33, s23, s2
	s_add_i32 s33, s33, s21
	s_cmp_lt_u32 s33, s22
	s_cbranch_scc1 .LBB1397_3
; %bb.2:
	v_add_u32_e32 v4, s20, v0
	v_cmp_gt_u32_e32 vcc, s22, v4
	s_or_b64 s[12:13], vcc, s[12:13]
	s_and_b64 s[18:19], s[12:13], exec
	s_cbranch_execz .LBB1397_4
	s_branch .LBB1397_52
.LBB1397_3:
	s_mov_b64 s[18:19], 0
                                        ; implicit-def: $vgpr4
.LBB1397_4:
	s_load_dwordx4 s[12:15], s[0:1], 0x30
	s_min_u32 s44, s33, s22
	s_add_i32 s0, s44, s23
	s_min_u32 s45, s0, s22
	s_min_u32 s0, s21, s44
	v_add_u32_e32 v0, s20, v0
	s_add_i32 s21, s21, s44
	v_subrev_u32_e32 v0, s21, v0
	v_add_u32_e32 v14, s0, v0
	s_and_b64 vcc, exec, s[6:7]
	s_cbranch_vccz .LBB1397_26
; %bb.5:
                                        ; implicit-def: $vgpr4
	s_and_saveexec_b64 s[20:21], s[4:5]
	s_cbranch_execz .LBB1397_29
; %bb.6:
	s_cmp_ge_u32 s33, s45
	v_mov_b32_e32 v15, s44
	s_cbranch_scc1 .LBB1397_28
; %bb.7:
	s_waitcnt vmcnt(0) lgkmcnt(0)
	v_mul_lo_u32 v0, v3, s12
	v_mul_lo_u32 v1, v2, s13
	v_mad_u64_u32 v[4:5], s[0:1], v2, s12, 0
	v_cndmask_b32_e64 v6, 0, 1, s[16:17]
	v_cmp_gt_i64_e64 s[2:3], s[12:13], 0
	v_add3_u32 v5, v5, v1, v0
	v_cmp_ne_u32_e64 s[0:1], 1, v6
	v_cndmask_b32_e64 v6, 0, 1, s[2:3]
	s_mov_b64 s[22:23], 0
	v_mov_b64_e32 v[0:1], s[14:15]
	v_lshl_add_u64 v[4:5], v[4:5], 1, s[14:15]
	s_lshl_b64 s[24:25], s[12:13], 1
	v_mov_b32_e32 v16, s45
	v_mov_b32_e32 v15, s44
	;; [unrolled: 1-line block ×3, first 2 shown]
	v_cmp_ne_u32_e64 s[2:3], 1, v6
	s_branch .LBB1397_10
.LBB1397_8:                             ;   in Loop: Header=BB1397_10 Depth=1
	s_or_b64 exec, exec, s[28:29]
.LBB1397_9:                             ;   in Loop: Header=BB1397_10 Depth=1
	s_waitcnt vmcnt(0)
	v_add_u32_e32 v8, 1, v6
	v_cndmask_b32_e64 v16, v6, v16, s[26:27]
	v_cndmask_b32_e64 v15, v15, v8, s[26:27]
	v_cmp_ge_u32_e32 vcc, v15, v16
	s_or_b64 s[22:23], vcc, s[22:23]
	s_andn2_b64 exec, exec, s[22:23]
	s_cbranch_execz .LBB1397_27
.LBB1397_10:                            ; =>This Loop Header: Depth=1
                                        ;     Child Loop BB1397_14 Depth 2
                                        ;     Child Loop BB1397_23 Depth 2
	v_add_u32_e32 v6, v15, v16
	v_lshrrev_b32_e32 v6, 1, v6
	v_lshl_add_u64 v[8:9], v[6:7], 3, s[8:9]
	global_load_dwordx2 v[8:9], v[8:9], off
	s_and_b64 vcc, exec, s[0:1]
	s_mov_b64 s[4:5], -1
                                        ; implicit-def: $sgpr26_sgpr27
	s_cbranch_vccnz .LBB1397_19
; %bb.11:                               ;   in Loop: Header=BB1397_10 Depth=1
	s_and_b64 vcc, exec, s[2:3]
	s_cbranch_vccnz .LBB1397_17
; %bb.12:                               ;   in Loop: Header=BB1397_10 Depth=1
	s_waitcnt vmcnt(0)
	v_mad_u64_u32 v[10:11], s[4:5], s24, v8, v[0:1]
	v_mul_lo_u32 v12, s24, v9
	v_mul_lo_u32 v13, s25, v8
	v_add3_u32 v11, v13, v11, v12
	s_mov_b64 s[28:29], 0
	s_mov_b64 s[36:37], s[12:13]
	v_mov_b64_e32 v[12:13], v[4:5]
                                        ; implicit-def: $sgpr26_sgpr27
                                        ; implicit-def: $sgpr30_sgpr31
                                        ; implicit-def: $sgpr34_sgpr35
                                        ; implicit-def: $sgpr4_sgpr5
                                        ; implicit-def: $sgpr38_sgpr39
	s_branch .LBB1397_14
.LBB1397_13:                            ;   in Loop: Header=BB1397_14 Depth=2
	s_or_b64 exec, exec, s[40:41]
	s_and_b64 s[6:7], exec, s[30:31]
	s_or_b64 s[28:29], s[6:7], s[28:29]
	s_andn2_b64 s[6:7], s[38:39], exec
	s_and_b64 s[38:39], s[34:35], exec
	s_or_b64 s[38:39], s[6:7], s[38:39]
	s_andn2_b64 s[6:7], s[26:27], exec
	s_and_b64 s[26:27], s[4:5], exec
	s_or_b64 s[26:27], s[6:7], s[26:27]
	s_andn2_b64 exec, exec, s[28:29]
	s_cbranch_execz .LBB1397_16
.LBB1397_14:                            ;   Parent Loop BB1397_10 Depth=1
                                        ; =>  This Inner Loop Header: Depth=2
	global_load_ushort v17, v[12:13], off
	global_load_ushort v18, v[10:11], off
	s_andn2_b64 s[40:41], s[4:5], exec
	s_andn2_b64 s[34:35], s[34:35], exec
	s_or_b64 s[30:31], s[30:31], exec
	s_waitcnt vmcnt(0)
	v_cmp_le_u16_e64 s[4:5], v17, v18
	v_cmp_lt_u16_e32 vcc, v17, v18
	s_and_b64 s[4:5], s[4:5], s[38:39]
	s_or_b64 s[42:43], vcc, s[4:5]
	s_and_b64 s[4:5], s[42:43], exec
	v_cmp_eq_u16_e64 s[6:7], v17, v18
	s_or_b64 s[4:5], s[40:41], s[4:5]
	s_and_saveexec_b64 s[40:41], s[6:7]
	s_cbranch_execz .LBB1397_13
; %bb.15:                               ;   in Loop: Header=BB1397_14 Depth=2
	s_add_u32 s36, s36, -1
	s_addc_u32 s37, s37, -1
	s_cmp_eq_u64 s[36:37], 0
	s_cselect_b64 s[6:7], -1, 0
	s_andn2_b64 s[34:35], s[34:35], exec
	s_and_b64 s[38:39], s[42:43], exec
	s_andn2_b64 s[30:31], s[30:31], exec
	s_and_b64 s[6:7], s[6:7], exec
	v_lshl_add_u64 v[12:13], v[12:13], 0, 2
	v_lshl_add_u64 v[10:11], v[10:11], 0, 2
	s_andn2_b64 s[4:5], s[4:5], exec
	s_or_b64 s[34:35], s[34:35], s[38:39]
	s_or_b64 s[30:31], s[30:31], s[6:7]
                                        ; implicit-def: $sgpr38_sgpr39
	s_branch .LBB1397_13
.LBB1397_16:                            ;   in Loop: Header=BB1397_10 Depth=1
	s_or_b64 exec, exec, s[28:29]
	s_branch .LBB1397_18
.LBB1397_17:                            ;   in Loop: Header=BB1397_10 Depth=1
	s_mov_b64 s[26:27], 0
.LBB1397_18:                            ;   in Loop: Header=BB1397_10 Depth=1
	s_xor_b64 s[26:27], s[26:27], -1
	s_mov_b64 s[4:5], 0
.LBB1397_19:                            ;   in Loop: Header=BB1397_10 Depth=1
	s_and_b64 vcc, exec, s[4:5]
	s_cbranch_vccz .LBB1397_9
; %bb.20:                               ;   in Loop: Header=BB1397_10 Depth=1
	s_and_b64 vcc, exec, s[2:3]
	s_cbranch_vccnz .LBB1397_25
; %bb.21:                               ;   in Loop: Header=BB1397_10 Depth=1
	s_waitcnt vmcnt(0)
	v_mad_u64_u32 v[10:11], s[4:5], s24, v8, v[0:1]
	v_mul_lo_u32 v9, s24, v9
	v_mul_lo_u32 v8, s25, v8
	v_add3_u32 v11, v8, v11, v9
	s_mov_b64 s[28:29], 0
	s_mov_b64 s[36:37], s[12:13]
	v_mov_b64_e32 v[8:9], v[4:5]
                                        ; implicit-def: $sgpr26_sgpr27
                                        ; implicit-def: $sgpr30_sgpr31
                                        ; implicit-def: $sgpr34_sgpr35
                                        ; implicit-def: $sgpr4_sgpr5
                                        ; implicit-def: $sgpr38_sgpr39
	s_branch .LBB1397_23
.LBB1397_22:                            ;   in Loop: Header=BB1397_23 Depth=2
	s_or_b64 exec, exec, s[40:41]
	s_and_b64 s[6:7], exec, s[30:31]
	s_or_b64 s[28:29], s[6:7], s[28:29]
	s_andn2_b64 s[6:7], s[38:39], exec
	s_and_b64 s[38:39], s[34:35], exec
	s_or_b64 s[38:39], s[6:7], s[38:39]
	s_andn2_b64 s[6:7], s[26:27], exec
	s_and_b64 s[26:27], s[4:5], exec
	s_or_b64 s[26:27], s[6:7], s[26:27]
	s_andn2_b64 exec, exec, s[28:29]
	s_cbranch_execz .LBB1397_8
.LBB1397_23:                            ;   Parent Loop BB1397_10 Depth=1
                                        ; =>  This Inner Loop Header: Depth=2
	global_load_ushort v12, v[10:11], off
	global_load_ushort v13, v[8:9], off
	s_andn2_b64 s[40:41], s[4:5], exec
	s_andn2_b64 s[34:35], s[34:35], exec
	s_or_b64 s[30:31], s[30:31], exec
	s_waitcnt vmcnt(0)
	v_cmp_le_u16_e64 s[4:5], v12, v13
	v_cmp_lt_u16_e32 vcc, v12, v13
	s_and_b64 s[4:5], s[4:5], s[38:39]
	s_or_b64 s[42:43], vcc, s[4:5]
	s_and_b64 s[4:5], s[42:43], exec
	v_cmp_eq_u16_e64 s[6:7], v12, v13
	s_or_b64 s[4:5], s[40:41], s[4:5]
	s_and_saveexec_b64 s[40:41], s[6:7]
	s_cbranch_execz .LBB1397_22
; %bb.24:                               ;   in Loop: Header=BB1397_23 Depth=2
	s_add_u32 s36, s36, -1
	s_addc_u32 s37, s37, -1
	s_cmp_eq_u64 s[36:37], 0
	s_cselect_b64 s[6:7], -1, 0
	s_andn2_b64 s[34:35], s[34:35], exec
	s_and_b64 s[38:39], s[42:43], exec
	s_andn2_b64 s[30:31], s[30:31], exec
	s_and_b64 s[6:7], s[6:7], exec
	v_lshl_add_u64 v[10:11], v[10:11], 0, 2
	v_lshl_add_u64 v[8:9], v[8:9], 0, 2
	s_andn2_b64 s[4:5], s[4:5], exec
	s_or_b64 s[34:35], s[34:35], s[38:39]
	s_or_b64 s[30:31], s[30:31], s[6:7]
                                        ; implicit-def: $sgpr38_sgpr39
	s_branch .LBB1397_22
.LBB1397_25:                            ;   in Loop: Header=BB1397_10 Depth=1
	s_mov_b64 s[26:27], 0
	s_branch .LBB1397_9
.LBB1397_26:
                                        ; implicit-def: $vgpr4
	s_cbranch_execnz .LBB1397_30
	s_branch .LBB1397_52
.LBB1397_27:
	s_or_b64 exec, exec, s[22:23]
.LBB1397_28:
	v_add_u32_e32 v4, v15, v14
	s_or_b64 s[18:19], s[18:19], exec
.LBB1397_29:
	s_or_b64 exec, exec, s[20:21]
	s_branch .LBB1397_52
.LBB1397_30:
	s_cmp_ge_u32 s33, s45
	v_mov_b32_e32 v15, s44
	s_cbranch_scc1 .LBB1397_51
; %bb.31:
	s_waitcnt vmcnt(0) lgkmcnt(0)
	v_mul_lo_u32 v0, v3, s12
	v_mul_lo_u32 v1, v2, s13
	v_mad_u64_u32 v[4:5], s[0:1], v2, s12, 0
	v_cndmask_b32_e64 v6, 0, 1, s[16:17]
	v_cmp_gt_i64_e64 s[2:3], s[12:13], 0
	v_add3_u32 v5, v5, v1, v0
	v_cmp_ne_u32_e64 s[0:1], 1, v6
	v_cndmask_b32_e64 v6, 0, 1, s[2:3]
	s_mov_b64 s[18:19], 0
	v_mov_b64_e32 v[0:1], s[14:15]
	v_lshl_add_u64 v[4:5], v[4:5], 1, s[14:15]
	s_lshl_b64 s[14:15], s[12:13], 1
	v_mov_b32_e32 v16, s45
	v_mov_b32_e32 v15, s44
	;; [unrolled: 1-line block ×3, first 2 shown]
	v_cmp_ne_u32_e64 s[2:3], 1, v6
	s_branch .LBB1397_34
.LBB1397_32:                            ;   in Loop: Header=BB1397_34 Depth=1
	s_or_b64 exec, exec, s[20:21]
.LBB1397_33:                            ;   in Loop: Header=BB1397_34 Depth=1
	s_waitcnt vmcnt(0)
	v_add_u32_e32 v8, 1, v6
	v_cndmask_b32_e64 v16, v6, v16, s[16:17]
	v_cndmask_b32_e64 v15, v15, v8, s[16:17]
	v_cmp_ge_u32_e32 vcc, v15, v16
	s_or_b64 s[18:19], vcc, s[18:19]
	s_andn2_b64 exec, exec, s[18:19]
	s_cbranch_execz .LBB1397_50
.LBB1397_34:                            ; =>This Loop Header: Depth=1
                                        ;     Child Loop BB1397_38 Depth 2
                                        ;     Child Loop BB1397_47 Depth 2
	v_add_u32_e32 v6, v15, v16
	v_lshrrev_b32_e32 v6, 1, v6
	v_lshl_add_u64 v[8:9], v[6:7], 3, s[8:9]
	global_load_dwordx2 v[8:9], v[8:9], off
	s_and_b64 vcc, exec, s[0:1]
	s_mov_b64 s[4:5], -1
                                        ; implicit-def: $sgpr16_sgpr17
	s_cbranch_vccnz .LBB1397_43
; %bb.35:                               ;   in Loop: Header=BB1397_34 Depth=1
	s_and_b64 vcc, exec, s[2:3]
	s_cbranch_vccnz .LBB1397_41
; %bb.36:                               ;   in Loop: Header=BB1397_34 Depth=1
	s_waitcnt vmcnt(0)
	v_mad_u64_u32 v[10:11], s[4:5], s14, v8, v[0:1]
	v_mul_lo_u32 v12, s14, v9
	v_mul_lo_u32 v13, s15, v8
	v_add3_u32 v11, v13, v11, v12
	s_mov_b64 s[20:21], 0
	s_mov_b64 s[26:27], s[12:13]
	v_mov_b64_e32 v[12:13], v[4:5]
                                        ; implicit-def: $sgpr16_sgpr17
                                        ; implicit-def: $sgpr22_sgpr23
                                        ; implicit-def: $sgpr24_sgpr25
                                        ; implicit-def: $sgpr4_sgpr5
                                        ; implicit-def: $sgpr28_sgpr29
	s_branch .LBB1397_38
.LBB1397_37:                            ;   in Loop: Header=BB1397_38 Depth=2
	s_or_b64 exec, exec, s[30:31]
	s_and_b64 s[6:7], exec, s[22:23]
	s_or_b64 s[20:21], s[6:7], s[20:21]
	s_andn2_b64 s[6:7], s[28:29], exec
	s_and_b64 s[28:29], s[24:25], exec
	s_or_b64 s[28:29], s[6:7], s[28:29]
	s_andn2_b64 s[6:7], s[16:17], exec
	s_and_b64 s[16:17], s[4:5], exec
	s_or_b64 s[16:17], s[6:7], s[16:17]
	s_andn2_b64 exec, exec, s[20:21]
	s_cbranch_execz .LBB1397_40
.LBB1397_38:                            ;   Parent Loop BB1397_34 Depth=1
                                        ; =>  This Inner Loop Header: Depth=2
	global_load_ushort v17, v[12:13], off
	global_load_ushort v18, v[10:11], off
	s_andn2_b64 s[30:31], s[4:5], exec
	s_andn2_b64 s[24:25], s[24:25], exec
	s_or_b64 s[22:23], s[22:23], exec
	s_waitcnt vmcnt(0)
	v_cmp_le_u16_e64 s[4:5], v17, v18
	v_cmp_lt_u16_e32 vcc, v17, v18
	s_and_b64 s[4:5], s[4:5], s[28:29]
	s_or_b64 s[34:35], vcc, s[4:5]
	s_and_b64 s[4:5], s[34:35], exec
	v_cmp_eq_u16_e64 s[6:7], v17, v18
	s_or_b64 s[4:5], s[30:31], s[4:5]
	s_and_saveexec_b64 s[30:31], s[6:7]
	s_cbranch_execz .LBB1397_37
; %bb.39:                               ;   in Loop: Header=BB1397_38 Depth=2
	s_add_u32 s26, s26, -1
	s_addc_u32 s27, s27, -1
	s_cmp_eq_u64 s[26:27], 0
	s_cselect_b64 s[6:7], -1, 0
	s_andn2_b64 s[24:25], s[24:25], exec
	s_and_b64 s[28:29], s[34:35], exec
	s_andn2_b64 s[22:23], s[22:23], exec
	s_and_b64 s[6:7], s[6:7], exec
	v_lshl_add_u64 v[12:13], v[12:13], 0, 2
	v_lshl_add_u64 v[10:11], v[10:11], 0, 2
	s_andn2_b64 s[4:5], s[4:5], exec
	s_or_b64 s[24:25], s[24:25], s[28:29]
	s_or_b64 s[22:23], s[22:23], s[6:7]
                                        ; implicit-def: $sgpr28_sgpr29
	s_branch .LBB1397_37
.LBB1397_40:                            ;   in Loop: Header=BB1397_34 Depth=1
	s_or_b64 exec, exec, s[20:21]
	s_branch .LBB1397_42
.LBB1397_41:                            ;   in Loop: Header=BB1397_34 Depth=1
	s_mov_b64 s[16:17], 0
.LBB1397_42:                            ;   in Loop: Header=BB1397_34 Depth=1
	s_xor_b64 s[16:17], s[16:17], -1
	s_mov_b64 s[4:5], 0
.LBB1397_43:                            ;   in Loop: Header=BB1397_34 Depth=1
	s_and_b64 vcc, exec, s[4:5]
	s_cbranch_vccz .LBB1397_33
; %bb.44:                               ;   in Loop: Header=BB1397_34 Depth=1
	s_and_b64 vcc, exec, s[2:3]
	s_cbranch_vccnz .LBB1397_49
; %bb.45:                               ;   in Loop: Header=BB1397_34 Depth=1
	s_waitcnt vmcnt(0)
	v_mad_u64_u32 v[10:11], s[4:5], s14, v8, v[0:1]
	v_mul_lo_u32 v9, s14, v9
	v_mul_lo_u32 v8, s15, v8
	v_add3_u32 v11, v8, v11, v9
	s_mov_b64 s[20:21], 0
	s_mov_b64 s[26:27], s[12:13]
	v_mov_b64_e32 v[8:9], v[4:5]
                                        ; implicit-def: $sgpr16_sgpr17
                                        ; implicit-def: $sgpr22_sgpr23
                                        ; implicit-def: $sgpr24_sgpr25
                                        ; implicit-def: $sgpr4_sgpr5
                                        ; implicit-def: $sgpr28_sgpr29
	s_branch .LBB1397_47
.LBB1397_46:                            ;   in Loop: Header=BB1397_47 Depth=2
	s_or_b64 exec, exec, s[30:31]
	s_and_b64 s[6:7], exec, s[22:23]
	s_or_b64 s[20:21], s[6:7], s[20:21]
	s_andn2_b64 s[6:7], s[28:29], exec
	s_and_b64 s[28:29], s[24:25], exec
	s_or_b64 s[28:29], s[6:7], s[28:29]
	s_andn2_b64 s[6:7], s[16:17], exec
	s_and_b64 s[16:17], s[4:5], exec
	s_or_b64 s[16:17], s[6:7], s[16:17]
	s_andn2_b64 exec, exec, s[20:21]
	s_cbranch_execz .LBB1397_32
.LBB1397_47:                            ;   Parent Loop BB1397_34 Depth=1
                                        ; =>  This Inner Loop Header: Depth=2
	global_load_ushort v12, v[10:11], off
	global_load_ushort v13, v[8:9], off
	s_andn2_b64 s[30:31], s[4:5], exec
	s_andn2_b64 s[24:25], s[24:25], exec
	s_or_b64 s[22:23], s[22:23], exec
	s_waitcnt vmcnt(0)
	v_cmp_le_u16_e64 s[4:5], v12, v13
	v_cmp_lt_u16_e32 vcc, v12, v13
	s_and_b64 s[4:5], s[4:5], s[28:29]
	s_or_b64 s[34:35], vcc, s[4:5]
	s_and_b64 s[4:5], s[34:35], exec
	v_cmp_eq_u16_e64 s[6:7], v12, v13
	s_or_b64 s[4:5], s[30:31], s[4:5]
	s_and_saveexec_b64 s[30:31], s[6:7]
	s_cbranch_execz .LBB1397_46
; %bb.48:                               ;   in Loop: Header=BB1397_47 Depth=2
	s_add_u32 s26, s26, -1
	s_addc_u32 s27, s27, -1
	s_cmp_eq_u64 s[26:27], 0
	s_cselect_b64 s[6:7], -1, 0
	s_andn2_b64 s[24:25], s[24:25], exec
	s_and_b64 s[28:29], s[34:35], exec
	s_andn2_b64 s[22:23], s[22:23], exec
	s_and_b64 s[6:7], s[6:7], exec
	v_lshl_add_u64 v[10:11], v[10:11], 0, 2
	v_lshl_add_u64 v[8:9], v[8:9], 0, 2
	s_andn2_b64 s[4:5], s[4:5], exec
	s_or_b64 s[24:25], s[24:25], s[28:29]
	s_or_b64 s[22:23], s[22:23], s[6:7]
                                        ; implicit-def: $sgpr28_sgpr29
	s_branch .LBB1397_46
.LBB1397_49:                            ;   in Loop: Header=BB1397_34 Depth=1
	s_mov_b64 s[16:17], 0
	s_branch .LBB1397_33
.LBB1397_50:
	s_or_b64 exec, exec, s[18:19]
.LBB1397_51:
	v_add_u32_e32 v4, v15, v14
	s_mov_b64 s[18:19], -1
.LBB1397_52:
	s_and_b64 exec, exec, s[18:19]
	s_cbranch_execz .LBB1397_54
; %bb.53:
	v_mov_b32_e32 v0, s10
	v_mov_b32_e32 v1, s11
	;; [unrolled: 1-line block ×3, first 2 shown]
	v_lshl_add_u64 v[0:1], v[4:5], 3, v[0:1]
	s_waitcnt vmcnt(0)
	global_store_dwordx2 v[0:1], v[2:3], off
.LBB1397_54:
	s_endpgm
	.section	.rodata,"a",@progbits
	.p2align	6, 0x0
	.amdhsa_kernel _ZN7rocprim17ROCPRIM_400000_NS6detail17trampoline_kernelINS0_14default_configENS1_38merge_sort_block_merge_config_selectorIlNS0_10empty_typeEEEZZNS1_27merge_sort_block_merge_implIS3_PlPS5_mZN2at6native12_GLOBAL__N_124unique_dim_cuda_templateItEESt5tupleIJNSA_6TensorESF_SF_EERKSF_lbbbEUlllE_EE10hipError_tT0_T1_T2_jT3_P12ihipStream_tbPNSt15iterator_traitsISL_E10value_typeEPNSR_ISM_E10value_typeEPSN_NS1_7vsmem_tEENKUlT_SL_SM_SN_E_clIS8_S8_S9_S9_EESK_S10_SL_SM_SN_EUlS10_E1_NS1_11comp_targetILNS1_3genE5ELNS1_11target_archE942ELNS1_3gpuE9ELNS1_3repE0EEENS1_36merge_oddeven_config_static_selectorELNS0_4arch9wavefront6targetE1EEEvSM_
		.amdhsa_group_segment_fixed_size 0
		.amdhsa_private_segment_fixed_size 0
		.amdhsa_kernarg_size 64
		.amdhsa_user_sgpr_count 2
		.amdhsa_user_sgpr_dispatch_ptr 0
		.amdhsa_user_sgpr_queue_ptr 0
		.amdhsa_user_sgpr_kernarg_segment_ptr 1
		.amdhsa_user_sgpr_dispatch_id 0
		.amdhsa_user_sgpr_kernarg_preload_length 0
		.amdhsa_user_sgpr_kernarg_preload_offset 0
		.amdhsa_user_sgpr_private_segment_size 0
		.amdhsa_uses_dynamic_stack 0
		.amdhsa_enable_private_segment 0
		.amdhsa_system_sgpr_workgroup_id_x 1
		.amdhsa_system_sgpr_workgroup_id_y 0
		.amdhsa_system_sgpr_workgroup_id_z 0
		.amdhsa_system_sgpr_workgroup_info 0
		.amdhsa_system_vgpr_workitem_id 0
		.amdhsa_next_free_vgpr 19
		.amdhsa_next_free_sgpr 46
		.amdhsa_accum_offset 20
		.amdhsa_reserve_vcc 1
		.amdhsa_float_round_mode_32 0
		.amdhsa_float_round_mode_16_64 0
		.amdhsa_float_denorm_mode_32 3
		.amdhsa_float_denorm_mode_16_64 3
		.amdhsa_dx10_clamp 1
		.amdhsa_ieee_mode 1
		.amdhsa_fp16_overflow 0
		.amdhsa_tg_split 0
		.amdhsa_exception_fp_ieee_invalid_op 0
		.amdhsa_exception_fp_denorm_src 0
		.amdhsa_exception_fp_ieee_div_zero 0
		.amdhsa_exception_fp_ieee_overflow 0
		.amdhsa_exception_fp_ieee_underflow 0
		.amdhsa_exception_fp_ieee_inexact 0
		.amdhsa_exception_int_div_zero 0
	.end_amdhsa_kernel
	.section	.text._ZN7rocprim17ROCPRIM_400000_NS6detail17trampoline_kernelINS0_14default_configENS1_38merge_sort_block_merge_config_selectorIlNS0_10empty_typeEEEZZNS1_27merge_sort_block_merge_implIS3_PlPS5_mZN2at6native12_GLOBAL__N_124unique_dim_cuda_templateItEESt5tupleIJNSA_6TensorESF_SF_EERKSF_lbbbEUlllE_EE10hipError_tT0_T1_T2_jT3_P12ihipStream_tbPNSt15iterator_traitsISL_E10value_typeEPNSR_ISM_E10value_typeEPSN_NS1_7vsmem_tEENKUlT_SL_SM_SN_E_clIS8_S8_S9_S9_EESK_S10_SL_SM_SN_EUlS10_E1_NS1_11comp_targetILNS1_3genE5ELNS1_11target_archE942ELNS1_3gpuE9ELNS1_3repE0EEENS1_36merge_oddeven_config_static_selectorELNS0_4arch9wavefront6targetE1EEEvSM_,"axG",@progbits,_ZN7rocprim17ROCPRIM_400000_NS6detail17trampoline_kernelINS0_14default_configENS1_38merge_sort_block_merge_config_selectorIlNS0_10empty_typeEEEZZNS1_27merge_sort_block_merge_implIS3_PlPS5_mZN2at6native12_GLOBAL__N_124unique_dim_cuda_templateItEESt5tupleIJNSA_6TensorESF_SF_EERKSF_lbbbEUlllE_EE10hipError_tT0_T1_T2_jT3_P12ihipStream_tbPNSt15iterator_traitsISL_E10value_typeEPNSR_ISM_E10value_typeEPSN_NS1_7vsmem_tEENKUlT_SL_SM_SN_E_clIS8_S8_S9_S9_EESK_S10_SL_SM_SN_EUlS10_E1_NS1_11comp_targetILNS1_3genE5ELNS1_11target_archE942ELNS1_3gpuE9ELNS1_3repE0EEENS1_36merge_oddeven_config_static_selectorELNS0_4arch9wavefront6targetE1EEEvSM_,comdat
.Lfunc_end1397:
	.size	_ZN7rocprim17ROCPRIM_400000_NS6detail17trampoline_kernelINS0_14default_configENS1_38merge_sort_block_merge_config_selectorIlNS0_10empty_typeEEEZZNS1_27merge_sort_block_merge_implIS3_PlPS5_mZN2at6native12_GLOBAL__N_124unique_dim_cuda_templateItEESt5tupleIJNSA_6TensorESF_SF_EERKSF_lbbbEUlllE_EE10hipError_tT0_T1_T2_jT3_P12ihipStream_tbPNSt15iterator_traitsISL_E10value_typeEPNSR_ISM_E10value_typeEPSN_NS1_7vsmem_tEENKUlT_SL_SM_SN_E_clIS8_S8_S9_S9_EESK_S10_SL_SM_SN_EUlS10_E1_NS1_11comp_targetILNS1_3genE5ELNS1_11target_archE942ELNS1_3gpuE9ELNS1_3repE0EEENS1_36merge_oddeven_config_static_selectorELNS0_4arch9wavefront6targetE1EEEvSM_, .Lfunc_end1397-_ZN7rocprim17ROCPRIM_400000_NS6detail17trampoline_kernelINS0_14default_configENS1_38merge_sort_block_merge_config_selectorIlNS0_10empty_typeEEEZZNS1_27merge_sort_block_merge_implIS3_PlPS5_mZN2at6native12_GLOBAL__N_124unique_dim_cuda_templateItEESt5tupleIJNSA_6TensorESF_SF_EERKSF_lbbbEUlllE_EE10hipError_tT0_T1_T2_jT3_P12ihipStream_tbPNSt15iterator_traitsISL_E10value_typeEPNSR_ISM_E10value_typeEPSN_NS1_7vsmem_tEENKUlT_SL_SM_SN_E_clIS8_S8_S9_S9_EESK_S10_SL_SM_SN_EUlS10_E1_NS1_11comp_targetILNS1_3genE5ELNS1_11target_archE942ELNS1_3gpuE9ELNS1_3repE0EEENS1_36merge_oddeven_config_static_selectorELNS0_4arch9wavefront6targetE1EEEvSM_
                                        ; -- End function
	.section	.AMDGPU.csdata,"",@progbits
; Kernel info:
; codeLenInByte = 1784
; NumSgprs: 52
; NumVgprs: 19
; NumAgprs: 0
; TotalNumVgprs: 19
; ScratchSize: 0
; MemoryBound: 0
; FloatMode: 240
; IeeeMode: 1
; LDSByteSize: 0 bytes/workgroup (compile time only)
; SGPRBlocks: 6
; VGPRBlocks: 2
; NumSGPRsForWavesPerEU: 52
; NumVGPRsForWavesPerEU: 19
; AccumOffset: 20
; Occupancy: 8
; WaveLimiterHint : 0
; COMPUTE_PGM_RSRC2:SCRATCH_EN: 0
; COMPUTE_PGM_RSRC2:USER_SGPR: 2
; COMPUTE_PGM_RSRC2:TRAP_HANDLER: 0
; COMPUTE_PGM_RSRC2:TGID_X_EN: 1
; COMPUTE_PGM_RSRC2:TGID_Y_EN: 0
; COMPUTE_PGM_RSRC2:TGID_Z_EN: 0
; COMPUTE_PGM_RSRC2:TIDIG_COMP_CNT: 0
; COMPUTE_PGM_RSRC3_GFX90A:ACCUM_OFFSET: 4
; COMPUTE_PGM_RSRC3_GFX90A:TG_SPLIT: 0
	.section	.text._ZN7rocprim17ROCPRIM_400000_NS6detail17trampoline_kernelINS0_14default_configENS1_38merge_sort_block_merge_config_selectorIlNS0_10empty_typeEEEZZNS1_27merge_sort_block_merge_implIS3_PlPS5_mZN2at6native12_GLOBAL__N_124unique_dim_cuda_templateItEESt5tupleIJNSA_6TensorESF_SF_EERKSF_lbbbEUlllE_EE10hipError_tT0_T1_T2_jT3_P12ihipStream_tbPNSt15iterator_traitsISL_E10value_typeEPNSR_ISM_E10value_typeEPSN_NS1_7vsmem_tEENKUlT_SL_SM_SN_E_clIS8_S8_S9_S9_EESK_S10_SL_SM_SN_EUlS10_E1_NS1_11comp_targetILNS1_3genE4ELNS1_11target_archE910ELNS1_3gpuE8ELNS1_3repE0EEENS1_36merge_oddeven_config_static_selectorELNS0_4arch9wavefront6targetE1EEEvSM_,"axG",@progbits,_ZN7rocprim17ROCPRIM_400000_NS6detail17trampoline_kernelINS0_14default_configENS1_38merge_sort_block_merge_config_selectorIlNS0_10empty_typeEEEZZNS1_27merge_sort_block_merge_implIS3_PlPS5_mZN2at6native12_GLOBAL__N_124unique_dim_cuda_templateItEESt5tupleIJNSA_6TensorESF_SF_EERKSF_lbbbEUlllE_EE10hipError_tT0_T1_T2_jT3_P12ihipStream_tbPNSt15iterator_traitsISL_E10value_typeEPNSR_ISM_E10value_typeEPSN_NS1_7vsmem_tEENKUlT_SL_SM_SN_E_clIS8_S8_S9_S9_EESK_S10_SL_SM_SN_EUlS10_E1_NS1_11comp_targetILNS1_3genE4ELNS1_11target_archE910ELNS1_3gpuE8ELNS1_3repE0EEENS1_36merge_oddeven_config_static_selectorELNS0_4arch9wavefront6targetE1EEEvSM_,comdat
	.globl	_ZN7rocprim17ROCPRIM_400000_NS6detail17trampoline_kernelINS0_14default_configENS1_38merge_sort_block_merge_config_selectorIlNS0_10empty_typeEEEZZNS1_27merge_sort_block_merge_implIS3_PlPS5_mZN2at6native12_GLOBAL__N_124unique_dim_cuda_templateItEESt5tupleIJNSA_6TensorESF_SF_EERKSF_lbbbEUlllE_EE10hipError_tT0_T1_T2_jT3_P12ihipStream_tbPNSt15iterator_traitsISL_E10value_typeEPNSR_ISM_E10value_typeEPSN_NS1_7vsmem_tEENKUlT_SL_SM_SN_E_clIS8_S8_S9_S9_EESK_S10_SL_SM_SN_EUlS10_E1_NS1_11comp_targetILNS1_3genE4ELNS1_11target_archE910ELNS1_3gpuE8ELNS1_3repE0EEENS1_36merge_oddeven_config_static_selectorELNS0_4arch9wavefront6targetE1EEEvSM_ ; -- Begin function _ZN7rocprim17ROCPRIM_400000_NS6detail17trampoline_kernelINS0_14default_configENS1_38merge_sort_block_merge_config_selectorIlNS0_10empty_typeEEEZZNS1_27merge_sort_block_merge_implIS3_PlPS5_mZN2at6native12_GLOBAL__N_124unique_dim_cuda_templateItEESt5tupleIJNSA_6TensorESF_SF_EERKSF_lbbbEUlllE_EE10hipError_tT0_T1_T2_jT3_P12ihipStream_tbPNSt15iterator_traitsISL_E10value_typeEPNSR_ISM_E10value_typeEPSN_NS1_7vsmem_tEENKUlT_SL_SM_SN_E_clIS8_S8_S9_S9_EESK_S10_SL_SM_SN_EUlS10_E1_NS1_11comp_targetILNS1_3genE4ELNS1_11target_archE910ELNS1_3gpuE8ELNS1_3repE0EEENS1_36merge_oddeven_config_static_selectorELNS0_4arch9wavefront6targetE1EEEvSM_
	.p2align	8
	.type	_ZN7rocprim17ROCPRIM_400000_NS6detail17trampoline_kernelINS0_14default_configENS1_38merge_sort_block_merge_config_selectorIlNS0_10empty_typeEEEZZNS1_27merge_sort_block_merge_implIS3_PlPS5_mZN2at6native12_GLOBAL__N_124unique_dim_cuda_templateItEESt5tupleIJNSA_6TensorESF_SF_EERKSF_lbbbEUlllE_EE10hipError_tT0_T1_T2_jT3_P12ihipStream_tbPNSt15iterator_traitsISL_E10value_typeEPNSR_ISM_E10value_typeEPSN_NS1_7vsmem_tEENKUlT_SL_SM_SN_E_clIS8_S8_S9_S9_EESK_S10_SL_SM_SN_EUlS10_E1_NS1_11comp_targetILNS1_3genE4ELNS1_11target_archE910ELNS1_3gpuE8ELNS1_3repE0EEENS1_36merge_oddeven_config_static_selectorELNS0_4arch9wavefront6targetE1EEEvSM_,@function
_ZN7rocprim17ROCPRIM_400000_NS6detail17trampoline_kernelINS0_14default_configENS1_38merge_sort_block_merge_config_selectorIlNS0_10empty_typeEEEZZNS1_27merge_sort_block_merge_implIS3_PlPS5_mZN2at6native12_GLOBAL__N_124unique_dim_cuda_templateItEESt5tupleIJNSA_6TensorESF_SF_EERKSF_lbbbEUlllE_EE10hipError_tT0_T1_T2_jT3_P12ihipStream_tbPNSt15iterator_traitsISL_E10value_typeEPNSR_ISM_E10value_typeEPSN_NS1_7vsmem_tEENKUlT_SL_SM_SN_E_clIS8_S8_S9_S9_EESK_S10_SL_SM_SN_EUlS10_E1_NS1_11comp_targetILNS1_3genE4ELNS1_11target_archE910ELNS1_3gpuE8ELNS1_3repE0EEENS1_36merge_oddeven_config_static_selectorELNS0_4arch9wavefront6targetE1EEEvSM_: ; @_ZN7rocprim17ROCPRIM_400000_NS6detail17trampoline_kernelINS0_14default_configENS1_38merge_sort_block_merge_config_selectorIlNS0_10empty_typeEEEZZNS1_27merge_sort_block_merge_implIS3_PlPS5_mZN2at6native12_GLOBAL__N_124unique_dim_cuda_templateItEESt5tupleIJNSA_6TensorESF_SF_EERKSF_lbbbEUlllE_EE10hipError_tT0_T1_T2_jT3_P12ihipStream_tbPNSt15iterator_traitsISL_E10value_typeEPNSR_ISM_E10value_typeEPSN_NS1_7vsmem_tEENKUlT_SL_SM_SN_E_clIS8_S8_S9_S9_EESK_S10_SL_SM_SN_EUlS10_E1_NS1_11comp_targetILNS1_3genE4ELNS1_11target_archE910ELNS1_3gpuE8ELNS1_3repE0EEENS1_36merge_oddeven_config_static_selectorELNS0_4arch9wavefront6targetE1EEEvSM_
; %bb.0:
	.section	.rodata,"a",@progbits
	.p2align	6, 0x0
	.amdhsa_kernel _ZN7rocprim17ROCPRIM_400000_NS6detail17trampoline_kernelINS0_14default_configENS1_38merge_sort_block_merge_config_selectorIlNS0_10empty_typeEEEZZNS1_27merge_sort_block_merge_implIS3_PlPS5_mZN2at6native12_GLOBAL__N_124unique_dim_cuda_templateItEESt5tupleIJNSA_6TensorESF_SF_EERKSF_lbbbEUlllE_EE10hipError_tT0_T1_T2_jT3_P12ihipStream_tbPNSt15iterator_traitsISL_E10value_typeEPNSR_ISM_E10value_typeEPSN_NS1_7vsmem_tEENKUlT_SL_SM_SN_E_clIS8_S8_S9_S9_EESK_S10_SL_SM_SN_EUlS10_E1_NS1_11comp_targetILNS1_3genE4ELNS1_11target_archE910ELNS1_3gpuE8ELNS1_3repE0EEENS1_36merge_oddeven_config_static_selectorELNS0_4arch9wavefront6targetE1EEEvSM_
		.amdhsa_group_segment_fixed_size 0
		.amdhsa_private_segment_fixed_size 0
		.amdhsa_kernarg_size 64
		.amdhsa_user_sgpr_count 2
		.amdhsa_user_sgpr_dispatch_ptr 0
		.amdhsa_user_sgpr_queue_ptr 0
		.amdhsa_user_sgpr_kernarg_segment_ptr 1
		.amdhsa_user_sgpr_dispatch_id 0
		.amdhsa_user_sgpr_kernarg_preload_length 0
		.amdhsa_user_sgpr_kernarg_preload_offset 0
		.amdhsa_user_sgpr_private_segment_size 0
		.amdhsa_uses_dynamic_stack 0
		.amdhsa_enable_private_segment 0
		.amdhsa_system_sgpr_workgroup_id_x 1
		.amdhsa_system_sgpr_workgroup_id_y 0
		.amdhsa_system_sgpr_workgroup_id_z 0
		.amdhsa_system_sgpr_workgroup_info 0
		.amdhsa_system_vgpr_workitem_id 0
		.amdhsa_next_free_vgpr 1
		.amdhsa_next_free_sgpr 0
		.amdhsa_accum_offset 4
		.amdhsa_reserve_vcc 0
		.amdhsa_float_round_mode_32 0
		.amdhsa_float_round_mode_16_64 0
		.amdhsa_float_denorm_mode_32 3
		.amdhsa_float_denorm_mode_16_64 3
		.amdhsa_dx10_clamp 1
		.amdhsa_ieee_mode 1
		.amdhsa_fp16_overflow 0
		.amdhsa_tg_split 0
		.amdhsa_exception_fp_ieee_invalid_op 0
		.amdhsa_exception_fp_denorm_src 0
		.amdhsa_exception_fp_ieee_div_zero 0
		.amdhsa_exception_fp_ieee_overflow 0
		.amdhsa_exception_fp_ieee_underflow 0
		.amdhsa_exception_fp_ieee_inexact 0
		.amdhsa_exception_int_div_zero 0
	.end_amdhsa_kernel
	.section	.text._ZN7rocprim17ROCPRIM_400000_NS6detail17trampoline_kernelINS0_14default_configENS1_38merge_sort_block_merge_config_selectorIlNS0_10empty_typeEEEZZNS1_27merge_sort_block_merge_implIS3_PlPS5_mZN2at6native12_GLOBAL__N_124unique_dim_cuda_templateItEESt5tupleIJNSA_6TensorESF_SF_EERKSF_lbbbEUlllE_EE10hipError_tT0_T1_T2_jT3_P12ihipStream_tbPNSt15iterator_traitsISL_E10value_typeEPNSR_ISM_E10value_typeEPSN_NS1_7vsmem_tEENKUlT_SL_SM_SN_E_clIS8_S8_S9_S9_EESK_S10_SL_SM_SN_EUlS10_E1_NS1_11comp_targetILNS1_3genE4ELNS1_11target_archE910ELNS1_3gpuE8ELNS1_3repE0EEENS1_36merge_oddeven_config_static_selectorELNS0_4arch9wavefront6targetE1EEEvSM_,"axG",@progbits,_ZN7rocprim17ROCPRIM_400000_NS6detail17trampoline_kernelINS0_14default_configENS1_38merge_sort_block_merge_config_selectorIlNS0_10empty_typeEEEZZNS1_27merge_sort_block_merge_implIS3_PlPS5_mZN2at6native12_GLOBAL__N_124unique_dim_cuda_templateItEESt5tupleIJNSA_6TensorESF_SF_EERKSF_lbbbEUlllE_EE10hipError_tT0_T1_T2_jT3_P12ihipStream_tbPNSt15iterator_traitsISL_E10value_typeEPNSR_ISM_E10value_typeEPSN_NS1_7vsmem_tEENKUlT_SL_SM_SN_E_clIS8_S8_S9_S9_EESK_S10_SL_SM_SN_EUlS10_E1_NS1_11comp_targetILNS1_3genE4ELNS1_11target_archE910ELNS1_3gpuE8ELNS1_3repE0EEENS1_36merge_oddeven_config_static_selectorELNS0_4arch9wavefront6targetE1EEEvSM_,comdat
.Lfunc_end1398:
	.size	_ZN7rocprim17ROCPRIM_400000_NS6detail17trampoline_kernelINS0_14default_configENS1_38merge_sort_block_merge_config_selectorIlNS0_10empty_typeEEEZZNS1_27merge_sort_block_merge_implIS3_PlPS5_mZN2at6native12_GLOBAL__N_124unique_dim_cuda_templateItEESt5tupleIJNSA_6TensorESF_SF_EERKSF_lbbbEUlllE_EE10hipError_tT0_T1_T2_jT3_P12ihipStream_tbPNSt15iterator_traitsISL_E10value_typeEPNSR_ISM_E10value_typeEPSN_NS1_7vsmem_tEENKUlT_SL_SM_SN_E_clIS8_S8_S9_S9_EESK_S10_SL_SM_SN_EUlS10_E1_NS1_11comp_targetILNS1_3genE4ELNS1_11target_archE910ELNS1_3gpuE8ELNS1_3repE0EEENS1_36merge_oddeven_config_static_selectorELNS0_4arch9wavefront6targetE1EEEvSM_, .Lfunc_end1398-_ZN7rocprim17ROCPRIM_400000_NS6detail17trampoline_kernelINS0_14default_configENS1_38merge_sort_block_merge_config_selectorIlNS0_10empty_typeEEEZZNS1_27merge_sort_block_merge_implIS3_PlPS5_mZN2at6native12_GLOBAL__N_124unique_dim_cuda_templateItEESt5tupleIJNSA_6TensorESF_SF_EERKSF_lbbbEUlllE_EE10hipError_tT0_T1_T2_jT3_P12ihipStream_tbPNSt15iterator_traitsISL_E10value_typeEPNSR_ISM_E10value_typeEPSN_NS1_7vsmem_tEENKUlT_SL_SM_SN_E_clIS8_S8_S9_S9_EESK_S10_SL_SM_SN_EUlS10_E1_NS1_11comp_targetILNS1_3genE4ELNS1_11target_archE910ELNS1_3gpuE8ELNS1_3repE0EEENS1_36merge_oddeven_config_static_selectorELNS0_4arch9wavefront6targetE1EEEvSM_
                                        ; -- End function
	.section	.AMDGPU.csdata,"",@progbits
; Kernel info:
; codeLenInByte = 0
; NumSgprs: 6
; NumVgprs: 0
; NumAgprs: 0
; TotalNumVgprs: 0
; ScratchSize: 0
; MemoryBound: 0
; FloatMode: 240
; IeeeMode: 1
; LDSByteSize: 0 bytes/workgroup (compile time only)
; SGPRBlocks: 0
; VGPRBlocks: 0
; NumSGPRsForWavesPerEU: 6
; NumVGPRsForWavesPerEU: 1
; AccumOffset: 4
; Occupancy: 8
; WaveLimiterHint : 0
; COMPUTE_PGM_RSRC2:SCRATCH_EN: 0
; COMPUTE_PGM_RSRC2:USER_SGPR: 2
; COMPUTE_PGM_RSRC2:TRAP_HANDLER: 0
; COMPUTE_PGM_RSRC2:TGID_X_EN: 1
; COMPUTE_PGM_RSRC2:TGID_Y_EN: 0
; COMPUTE_PGM_RSRC2:TGID_Z_EN: 0
; COMPUTE_PGM_RSRC2:TIDIG_COMP_CNT: 0
; COMPUTE_PGM_RSRC3_GFX90A:ACCUM_OFFSET: 0
; COMPUTE_PGM_RSRC3_GFX90A:TG_SPLIT: 0
	.section	.text._ZN7rocprim17ROCPRIM_400000_NS6detail17trampoline_kernelINS0_14default_configENS1_38merge_sort_block_merge_config_selectorIlNS0_10empty_typeEEEZZNS1_27merge_sort_block_merge_implIS3_PlPS5_mZN2at6native12_GLOBAL__N_124unique_dim_cuda_templateItEESt5tupleIJNSA_6TensorESF_SF_EERKSF_lbbbEUlllE_EE10hipError_tT0_T1_T2_jT3_P12ihipStream_tbPNSt15iterator_traitsISL_E10value_typeEPNSR_ISM_E10value_typeEPSN_NS1_7vsmem_tEENKUlT_SL_SM_SN_E_clIS8_S8_S9_S9_EESK_S10_SL_SM_SN_EUlS10_E1_NS1_11comp_targetILNS1_3genE3ELNS1_11target_archE908ELNS1_3gpuE7ELNS1_3repE0EEENS1_36merge_oddeven_config_static_selectorELNS0_4arch9wavefront6targetE1EEEvSM_,"axG",@progbits,_ZN7rocprim17ROCPRIM_400000_NS6detail17trampoline_kernelINS0_14default_configENS1_38merge_sort_block_merge_config_selectorIlNS0_10empty_typeEEEZZNS1_27merge_sort_block_merge_implIS3_PlPS5_mZN2at6native12_GLOBAL__N_124unique_dim_cuda_templateItEESt5tupleIJNSA_6TensorESF_SF_EERKSF_lbbbEUlllE_EE10hipError_tT0_T1_T2_jT3_P12ihipStream_tbPNSt15iterator_traitsISL_E10value_typeEPNSR_ISM_E10value_typeEPSN_NS1_7vsmem_tEENKUlT_SL_SM_SN_E_clIS8_S8_S9_S9_EESK_S10_SL_SM_SN_EUlS10_E1_NS1_11comp_targetILNS1_3genE3ELNS1_11target_archE908ELNS1_3gpuE7ELNS1_3repE0EEENS1_36merge_oddeven_config_static_selectorELNS0_4arch9wavefront6targetE1EEEvSM_,comdat
	.globl	_ZN7rocprim17ROCPRIM_400000_NS6detail17trampoline_kernelINS0_14default_configENS1_38merge_sort_block_merge_config_selectorIlNS0_10empty_typeEEEZZNS1_27merge_sort_block_merge_implIS3_PlPS5_mZN2at6native12_GLOBAL__N_124unique_dim_cuda_templateItEESt5tupleIJNSA_6TensorESF_SF_EERKSF_lbbbEUlllE_EE10hipError_tT0_T1_T2_jT3_P12ihipStream_tbPNSt15iterator_traitsISL_E10value_typeEPNSR_ISM_E10value_typeEPSN_NS1_7vsmem_tEENKUlT_SL_SM_SN_E_clIS8_S8_S9_S9_EESK_S10_SL_SM_SN_EUlS10_E1_NS1_11comp_targetILNS1_3genE3ELNS1_11target_archE908ELNS1_3gpuE7ELNS1_3repE0EEENS1_36merge_oddeven_config_static_selectorELNS0_4arch9wavefront6targetE1EEEvSM_ ; -- Begin function _ZN7rocprim17ROCPRIM_400000_NS6detail17trampoline_kernelINS0_14default_configENS1_38merge_sort_block_merge_config_selectorIlNS0_10empty_typeEEEZZNS1_27merge_sort_block_merge_implIS3_PlPS5_mZN2at6native12_GLOBAL__N_124unique_dim_cuda_templateItEESt5tupleIJNSA_6TensorESF_SF_EERKSF_lbbbEUlllE_EE10hipError_tT0_T1_T2_jT3_P12ihipStream_tbPNSt15iterator_traitsISL_E10value_typeEPNSR_ISM_E10value_typeEPSN_NS1_7vsmem_tEENKUlT_SL_SM_SN_E_clIS8_S8_S9_S9_EESK_S10_SL_SM_SN_EUlS10_E1_NS1_11comp_targetILNS1_3genE3ELNS1_11target_archE908ELNS1_3gpuE7ELNS1_3repE0EEENS1_36merge_oddeven_config_static_selectorELNS0_4arch9wavefront6targetE1EEEvSM_
	.p2align	8
	.type	_ZN7rocprim17ROCPRIM_400000_NS6detail17trampoline_kernelINS0_14default_configENS1_38merge_sort_block_merge_config_selectorIlNS0_10empty_typeEEEZZNS1_27merge_sort_block_merge_implIS3_PlPS5_mZN2at6native12_GLOBAL__N_124unique_dim_cuda_templateItEESt5tupleIJNSA_6TensorESF_SF_EERKSF_lbbbEUlllE_EE10hipError_tT0_T1_T2_jT3_P12ihipStream_tbPNSt15iterator_traitsISL_E10value_typeEPNSR_ISM_E10value_typeEPSN_NS1_7vsmem_tEENKUlT_SL_SM_SN_E_clIS8_S8_S9_S9_EESK_S10_SL_SM_SN_EUlS10_E1_NS1_11comp_targetILNS1_3genE3ELNS1_11target_archE908ELNS1_3gpuE7ELNS1_3repE0EEENS1_36merge_oddeven_config_static_selectorELNS0_4arch9wavefront6targetE1EEEvSM_,@function
_ZN7rocprim17ROCPRIM_400000_NS6detail17trampoline_kernelINS0_14default_configENS1_38merge_sort_block_merge_config_selectorIlNS0_10empty_typeEEEZZNS1_27merge_sort_block_merge_implIS3_PlPS5_mZN2at6native12_GLOBAL__N_124unique_dim_cuda_templateItEESt5tupleIJNSA_6TensorESF_SF_EERKSF_lbbbEUlllE_EE10hipError_tT0_T1_T2_jT3_P12ihipStream_tbPNSt15iterator_traitsISL_E10value_typeEPNSR_ISM_E10value_typeEPSN_NS1_7vsmem_tEENKUlT_SL_SM_SN_E_clIS8_S8_S9_S9_EESK_S10_SL_SM_SN_EUlS10_E1_NS1_11comp_targetILNS1_3genE3ELNS1_11target_archE908ELNS1_3gpuE7ELNS1_3repE0EEENS1_36merge_oddeven_config_static_selectorELNS0_4arch9wavefront6targetE1EEEvSM_: ; @_ZN7rocprim17ROCPRIM_400000_NS6detail17trampoline_kernelINS0_14default_configENS1_38merge_sort_block_merge_config_selectorIlNS0_10empty_typeEEEZZNS1_27merge_sort_block_merge_implIS3_PlPS5_mZN2at6native12_GLOBAL__N_124unique_dim_cuda_templateItEESt5tupleIJNSA_6TensorESF_SF_EERKSF_lbbbEUlllE_EE10hipError_tT0_T1_T2_jT3_P12ihipStream_tbPNSt15iterator_traitsISL_E10value_typeEPNSR_ISM_E10value_typeEPSN_NS1_7vsmem_tEENKUlT_SL_SM_SN_E_clIS8_S8_S9_S9_EESK_S10_SL_SM_SN_EUlS10_E1_NS1_11comp_targetILNS1_3genE3ELNS1_11target_archE908ELNS1_3gpuE7ELNS1_3repE0EEENS1_36merge_oddeven_config_static_selectorELNS0_4arch9wavefront6targetE1EEEvSM_
; %bb.0:
	.section	.rodata,"a",@progbits
	.p2align	6, 0x0
	.amdhsa_kernel _ZN7rocprim17ROCPRIM_400000_NS6detail17trampoline_kernelINS0_14default_configENS1_38merge_sort_block_merge_config_selectorIlNS0_10empty_typeEEEZZNS1_27merge_sort_block_merge_implIS3_PlPS5_mZN2at6native12_GLOBAL__N_124unique_dim_cuda_templateItEESt5tupleIJNSA_6TensorESF_SF_EERKSF_lbbbEUlllE_EE10hipError_tT0_T1_T2_jT3_P12ihipStream_tbPNSt15iterator_traitsISL_E10value_typeEPNSR_ISM_E10value_typeEPSN_NS1_7vsmem_tEENKUlT_SL_SM_SN_E_clIS8_S8_S9_S9_EESK_S10_SL_SM_SN_EUlS10_E1_NS1_11comp_targetILNS1_3genE3ELNS1_11target_archE908ELNS1_3gpuE7ELNS1_3repE0EEENS1_36merge_oddeven_config_static_selectorELNS0_4arch9wavefront6targetE1EEEvSM_
		.amdhsa_group_segment_fixed_size 0
		.amdhsa_private_segment_fixed_size 0
		.amdhsa_kernarg_size 64
		.amdhsa_user_sgpr_count 2
		.amdhsa_user_sgpr_dispatch_ptr 0
		.amdhsa_user_sgpr_queue_ptr 0
		.amdhsa_user_sgpr_kernarg_segment_ptr 1
		.amdhsa_user_sgpr_dispatch_id 0
		.amdhsa_user_sgpr_kernarg_preload_length 0
		.amdhsa_user_sgpr_kernarg_preload_offset 0
		.amdhsa_user_sgpr_private_segment_size 0
		.amdhsa_uses_dynamic_stack 0
		.amdhsa_enable_private_segment 0
		.amdhsa_system_sgpr_workgroup_id_x 1
		.amdhsa_system_sgpr_workgroup_id_y 0
		.amdhsa_system_sgpr_workgroup_id_z 0
		.amdhsa_system_sgpr_workgroup_info 0
		.amdhsa_system_vgpr_workitem_id 0
		.amdhsa_next_free_vgpr 1
		.amdhsa_next_free_sgpr 0
		.amdhsa_accum_offset 4
		.amdhsa_reserve_vcc 0
		.amdhsa_float_round_mode_32 0
		.amdhsa_float_round_mode_16_64 0
		.amdhsa_float_denorm_mode_32 3
		.amdhsa_float_denorm_mode_16_64 3
		.amdhsa_dx10_clamp 1
		.amdhsa_ieee_mode 1
		.amdhsa_fp16_overflow 0
		.amdhsa_tg_split 0
		.amdhsa_exception_fp_ieee_invalid_op 0
		.amdhsa_exception_fp_denorm_src 0
		.amdhsa_exception_fp_ieee_div_zero 0
		.amdhsa_exception_fp_ieee_overflow 0
		.amdhsa_exception_fp_ieee_underflow 0
		.amdhsa_exception_fp_ieee_inexact 0
		.amdhsa_exception_int_div_zero 0
	.end_amdhsa_kernel
	.section	.text._ZN7rocprim17ROCPRIM_400000_NS6detail17trampoline_kernelINS0_14default_configENS1_38merge_sort_block_merge_config_selectorIlNS0_10empty_typeEEEZZNS1_27merge_sort_block_merge_implIS3_PlPS5_mZN2at6native12_GLOBAL__N_124unique_dim_cuda_templateItEESt5tupleIJNSA_6TensorESF_SF_EERKSF_lbbbEUlllE_EE10hipError_tT0_T1_T2_jT3_P12ihipStream_tbPNSt15iterator_traitsISL_E10value_typeEPNSR_ISM_E10value_typeEPSN_NS1_7vsmem_tEENKUlT_SL_SM_SN_E_clIS8_S8_S9_S9_EESK_S10_SL_SM_SN_EUlS10_E1_NS1_11comp_targetILNS1_3genE3ELNS1_11target_archE908ELNS1_3gpuE7ELNS1_3repE0EEENS1_36merge_oddeven_config_static_selectorELNS0_4arch9wavefront6targetE1EEEvSM_,"axG",@progbits,_ZN7rocprim17ROCPRIM_400000_NS6detail17trampoline_kernelINS0_14default_configENS1_38merge_sort_block_merge_config_selectorIlNS0_10empty_typeEEEZZNS1_27merge_sort_block_merge_implIS3_PlPS5_mZN2at6native12_GLOBAL__N_124unique_dim_cuda_templateItEESt5tupleIJNSA_6TensorESF_SF_EERKSF_lbbbEUlllE_EE10hipError_tT0_T1_T2_jT3_P12ihipStream_tbPNSt15iterator_traitsISL_E10value_typeEPNSR_ISM_E10value_typeEPSN_NS1_7vsmem_tEENKUlT_SL_SM_SN_E_clIS8_S8_S9_S9_EESK_S10_SL_SM_SN_EUlS10_E1_NS1_11comp_targetILNS1_3genE3ELNS1_11target_archE908ELNS1_3gpuE7ELNS1_3repE0EEENS1_36merge_oddeven_config_static_selectorELNS0_4arch9wavefront6targetE1EEEvSM_,comdat
.Lfunc_end1399:
	.size	_ZN7rocprim17ROCPRIM_400000_NS6detail17trampoline_kernelINS0_14default_configENS1_38merge_sort_block_merge_config_selectorIlNS0_10empty_typeEEEZZNS1_27merge_sort_block_merge_implIS3_PlPS5_mZN2at6native12_GLOBAL__N_124unique_dim_cuda_templateItEESt5tupleIJNSA_6TensorESF_SF_EERKSF_lbbbEUlllE_EE10hipError_tT0_T1_T2_jT3_P12ihipStream_tbPNSt15iterator_traitsISL_E10value_typeEPNSR_ISM_E10value_typeEPSN_NS1_7vsmem_tEENKUlT_SL_SM_SN_E_clIS8_S8_S9_S9_EESK_S10_SL_SM_SN_EUlS10_E1_NS1_11comp_targetILNS1_3genE3ELNS1_11target_archE908ELNS1_3gpuE7ELNS1_3repE0EEENS1_36merge_oddeven_config_static_selectorELNS0_4arch9wavefront6targetE1EEEvSM_, .Lfunc_end1399-_ZN7rocprim17ROCPRIM_400000_NS6detail17trampoline_kernelINS0_14default_configENS1_38merge_sort_block_merge_config_selectorIlNS0_10empty_typeEEEZZNS1_27merge_sort_block_merge_implIS3_PlPS5_mZN2at6native12_GLOBAL__N_124unique_dim_cuda_templateItEESt5tupleIJNSA_6TensorESF_SF_EERKSF_lbbbEUlllE_EE10hipError_tT0_T1_T2_jT3_P12ihipStream_tbPNSt15iterator_traitsISL_E10value_typeEPNSR_ISM_E10value_typeEPSN_NS1_7vsmem_tEENKUlT_SL_SM_SN_E_clIS8_S8_S9_S9_EESK_S10_SL_SM_SN_EUlS10_E1_NS1_11comp_targetILNS1_3genE3ELNS1_11target_archE908ELNS1_3gpuE7ELNS1_3repE0EEENS1_36merge_oddeven_config_static_selectorELNS0_4arch9wavefront6targetE1EEEvSM_
                                        ; -- End function
	.section	.AMDGPU.csdata,"",@progbits
; Kernel info:
; codeLenInByte = 0
; NumSgprs: 6
; NumVgprs: 0
; NumAgprs: 0
; TotalNumVgprs: 0
; ScratchSize: 0
; MemoryBound: 0
; FloatMode: 240
; IeeeMode: 1
; LDSByteSize: 0 bytes/workgroup (compile time only)
; SGPRBlocks: 0
; VGPRBlocks: 0
; NumSGPRsForWavesPerEU: 6
; NumVGPRsForWavesPerEU: 1
; AccumOffset: 4
; Occupancy: 8
; WaveLimiterHint : 0
; COMPUTE_PGM_RSRC2:SCRATCH_EN: 0
; COMPUTE_PGM_RSRC2:USER_SGPR: 2
; COMPUTE_PGM_RSRC2:TRAP_HANDLER: 0
; COMPUTE_PGM_RSRC2:TGID_X_EN: 1
; COMPUTE_PGM_RSRC2:TGID_Y_EN: 0
; COMPUTE_PGM_RSRC2:TGID_Z_EN: 0
; COMPUTE_PGM_RSRC2:TIDIG_COMP_CNT: 0
; COMPUTE_PGM_RSRC3_GFX90A:ACCUM_OFFSET: 0
; COMPUTE_PGM_RSRC3_GFX90A:TG_SPLIT: 0
	.section	.text._ZN7rocprim17ROCPRIM_400000_NS6detail17trampoline_kernelINS0_14default_configENS1_38merge_sort_block_merge_config_selectorIlNS0_10empty_typeEEEZZNS1_27merge_sort_block_merge_implIS3_PlPS5_mZN2at6native12_GLOBAL__N_124unique_dim_cuda_templateItEESt5tupleIJNSA_6TensorESF_SF_EERKSF_lbbbEUlllE_EE10hipError_tT0_T1_T2_jT3_P12ihipStream_tbPNSt15iterator_traitsISL_E10value_typeEPNSR_ISM_E10value_typeEPSN_NS1_7vsmem_tEENKUlT_SL_SM_SN_E_clIS8_S8_S9_S9_EESK_S10_SL_SM_SN_EUlS10_E1_NS1_11comp_targetILNS1_3genE2ELNS1_11target_archE906ELNS1_3gpuE6ELNS1_3repE0EEENS1_36merge_oddeven_config_static_selectorELNS0_4arch9wavefront6targetE1EEEvSM_,"axG",@progbits,_ZN7rocprim17ROCPRIM_400000_NS6detail17trampoline_kernelINS0_14default_configENS1_38merge_sort_block_merge_config_selectorIlNS0_10empty_typeEEEZZNS1_27merge_sort_block_merge_implIS3_PlPS5_mZN2at6native12_GLOBAL__N_124unique_dim_cuda_templateItEESt5tupleIJNSA_6TensorESF_SF_EERKSF_lbbbEUlllE_EE10hipError_tT0_T1_T2_jT3_P12ihipStream_tbPNSt15iterator_traitsISL_E10value_typeEPNSR_ISM_E10value_typeEPSN_NS1_7vsmem_tEENKUlT_SL_SM_SN_E_clIS8_S8_S9_S9_EESK_S10_SL_SM_SN_EUlS10_E1_NS1_11comp_targetILNS1_3genE2ELNS1_11target_archE906ELNS1_3gpuE6ELNS1_3repE0EEENS1_36merge_oddeven_config_static_selectorELNS0_4arch9wavefront6targetE1EEEvSM_,comdat
	.globl	_ZN7rocprim17ROCPRIM_400000_NS6detail17trampoline_kernelINS0_14default_configENS1_38merge_sort_block_merge_config_selectorIlNS0_10empty_typeEEEZZNS1_27merge_sort_block_merge_implIS3_PlPS5_mZN2at6native12_GLOBAL__N_124unique_dim_cuda_templateItEESt5tupleIJNSA_6TensorESF_SF_EERKSF_lbbbEUlllE_EE10hipError_tT0_T1_T2_jT3_P12ihipStream_tbPNSt15iterator_traitsISL_E10value_typeEPNSR_ISM_E10value_typeEPSN_NS1_7vsmem_tEENKUlT_SL_SM_SN_E_clIS8_S8_S9_S9_EESK_S10_SL_SM_SN_EUlS10_E1_NS1_11comp_targetILNS1_3genE2ELNS1_11target_archE906ELNS1_3gpuE6ELNS1_3repE0EEENS1_36merge_oddeven_config_static_selectorELNS0_4arch9wavefront6targetE1EEEvSM_ ; -- Begin function _ZN7rocprim17ROCPRIM_400000_NS6detail17trampoline_kernelINS0_14default_configENS1_38merge_sort_block_merge_config_selectorIlNS0_10empty_typeEEEZZNS1_27merge_sort_block_merge_implIS3_PlPS5_mZN2at6native12_GLOBAL__N_124unique_dim_cuda_templateItEESt5tupleIJNSA_6TensorESF_SF_EERKSF_lbbbEUlllE_EE10hipError_tT0_T1_T2_jT3_P12ihipStream_tbPNSt15iterator_traitsISL_E10value_typeEPNSR_ISM_E10value_typeEPSN_NS1_7vsmem_tEENKUlT_SL_SM_SN_E_clIS8_S8_S9_S9_EESK_S10_SL_SM_SN_EUlS10_E1_NS1_11comp_targetILNS1_3genE2ELNS1_11target_archE906ELNS1_3gpuE6ELNS1_3repE0EEENS1_36merge_oddeven_config_static_selectorELNS0_4arch9wavefront6targetE1EEEvSM_
	.p2align	8
	.type	_ZN7rocprim17ROCPRIM_400000_NS6detail17trampoline_kernelINS0_14default_configENS1_38merge_sort_block_merge_config_selectorIlNS0_10empty_typeEEEZZNS1_27merge_sort_block_merge_implIS3_PlPS5_mZN2at6native12_GLOBAL__N_124unique_dim_cuda_templateItEESt5tupleIJNSA_6TensorESF_SF_EERKSF_lbbbEUlllE_EE10hipError_tT0_T1_T2_jT3_P12ihipStream_tbPNSt15iterator_traitsISL_E10value_typeEPNSR_ISM_E10value_typeEPSN_NS1_7vsmem_tEENKUlT_SL_SM_SN_E_clIS8_S8_S9_S9_EESK_S10_SL_SM_SN_EUlS10_E1_NS1_11comp_targetILNS1_3genE2ELNS1_11target_archE906ELNS1_3gpuE6ELNS1_3repE0EEENS1_36merge_oddeven_config_static_selectorELNS0_4arch9wavefront6targetE1EEEvSM_,@function
_ZN7rocprim17ROCPRIM_400000_NS6detail17trampoline_kernelINS0_14default_configENS1_38merge_sort_block_merge_config_selectorIlNS0_10empty_typeEEEZZNS1_27merge_sort_block_merge_implIS3_PlPS5_mZN2at6native12_GLOBAL__N_124unique_dim_cuda_templateItEESt5tupleIJNSA_6TensorESF_SF_EERKSF_lbbbEUlllE_EE10hipError_tT0_T1_T2_jT3_P12ihipStream_tbPNSt15iterator_traitsISL_E10value_typeEPNSR_ISM_E10value_typeEPSN_NS1_7vsmem_tEENKUlT_SL_SM_SN_E_clIS8_S8_S9_S9_EESK_S10_SL_SM_SN_EUlS10_E1_NS1_11comp_targetILNS1_3genE2ELNS1_11target_archE906ELNS1_3gpuE6ELNS1_3repE0EEENS1_36merge_oddeven_config_static_selectorELNS0_4arch9wavefront6targetE1EEEvSM_: ; @_ZN7rocprim17ROCPRIM_400000_NS6detail17trampoline_kernelINS0_14default_configENS1_38merge_sort_block_merge_config_selectorIlNS0_10empty_typeEEEZZNS1_27merge_sort_block_merge_implIS3_PlPS5_mZN2at6native12_GLOBAL__N_124unique_dim_cuda_templateItEESt5tupleIJNSA_6TensorESF_SF_EERKSF_lbbbEUlllE_EE10hipError_tT0_T1_T2_jT3_P12ihipStream_tbPNSt15iterator_traitsISL_E10value_typeEPNSR_ISM_E10value_typeEPSN_NS1_7vsmem_tEENKUlT_SL_SM_SN_E_clIS8_S8_S9_S9_EESK_S10_SL_SM_SN_EUlS10_E1_NS1_11comp_targetILNS1_3genE2ELNS1_11target_archE906ELNS1_3gpuE6ELNS1_3repE0EEENS1_36merge_oddeven_config_static_selectorELNS0_4arch9wavefront6targetE1EEEvSM_
; %bb.0:
	.section	.rodata,"a",@progbits
	.p2align	6, 0x0
	.amdhsa_kernel _ZN7rocprim17ROCPRIM_400000_NS6detail17trampoline_kernelINS0_14default_configENS1_38merge_sort_block_merge_config_selectorIlNS0_10empty_typeEEEZZNS1_27merge_sort_block_merge_implIS3_PlPS5_mZN2at6native12_GLOBAL__N_124unique_dim_cuda_templateItEESt5tupleIJNSA_6TensorESF_SF_EERKSF_lbbbEUlllE_EE10hipError_tT0_T1_T2_jT3_P12ihipStream_tbPNSt15iterator_traitsISL_E10value_typeEPNSR_ISM_E10value_typeEPSN_NS1_7vsmem_tEENKUlT_SL_SM_SN_E_clIS8_S8_S9_S9_EESK_S10_SL_SM_SN_EUlS10_E1_NS1_11comp_targetILNS1_3genE2ELNS1_11target_archE906ELNS1_3gpuE6ELNS1_3repE0EEENS1_36merge_oddeven_config_static_selectorELNS0_4arch9wavefront6targetE1EEEvSM_
		.amdhsa_group_segment_fixed_size 0
		.amdhsa_private_segment_fixed_size 0
		.amdhsa_kernarg_size 64
		.amdhsa_user_sgpr_count 2
		.amdhsa_user_sgpr_dispatch_ptr 0
		.amdhsa_user_sgpr_queue_ptr 0
		.amdhsa_user_sgpr_kernarg_segment_ptr 1
		.amdhsa_user_sgpr_dispatch_id 0
		.amdhsa_user_sgpr_kernarg_preload_length 0
		.amdhsa_user_sgpr_kernarg_preload_offset 0
		.amdhsa_user_sgpr_private_segment_size 0
		.amdhsa_uses_dynamic_stack 0
		.amdhsa_enable_private_segment 0
		.amdhsa_system_sgpr_workgroup_id_x 1
		.amdhsa_system_sgpr_workgroup_id_y 0
		.amdhsa_system_sgpr_workgroup_id_z 0
		.amdhsa_system_sgpr_workgroup_info 0
		.amdhsa_system_vgpr_workitem_id 0
		.amdhsa_next_free_vgpr 1
		.amdhsa_next_free_sgpr 0
		.amdhsa_accum_offset 4
		.amdhsa_reserve_vcc 0
		.amdhsa_float_round_mode_32 0
		.amdhsa_float_round_mode_16_64 0
		.amdhsa_float_denorm_mode_32 3
		.amdhsa_float_denorm_mode_16_64 3
		.amdhsa_dx10_clamp 1
		.amdhsa_ieee_mode 1
		.amdhsa_fp16_overflow 0
		.amdhsa_tg_split 0
		.amdhsa_exception_fp_ieee_invalid_op 0
		.amdhsa_exception_fp_denorm_src 0
		.amdhsa_exception_fp_ieee_div_zero 0
		.amdhsa_exception_fp_ieee_overflow 0
		.amdhsa_exception_fp_ieee_underflow 0
		.amdhsa_exception_fp_ieee_inexact 0
		.amdhsa_exception_int_div_zero 0
	.end_amdhsa_kernel
	.section	.text._ZN7rocprim17ROCPRIM_400000_NS6detail17trampoline_kernelINS0_14default_configENS1_38merge_sort_block_merge_config_selectorIlNS0_10empty_typeEEEZZNS1_27merge_sort_block_merge_implIS3_PlPS5_mZN2at6native12_GLOBAL__N_124unique_dim_cuda_templateItEESt5tupleIJNSA_6TensorESF_SF_EERKSF_lbbbEUlllE_EE10hipError_tT0_T1_T2_jT3_P12ihipStream_tbPNSt15iterator_traitsISL_E10value_typeEPNSR_ISM_E10value_typeEPSN_NS1_7vsmem_tEENKUlT_SL_SM_SN_E_clIS8_S8_S9_S9_EESK_S10_SL_SM_SN_EUlS10_E1_NS1_11comp_targetILNS1_3genE2ELNS1_11target_archE906ELNS1_3gpuE6ELNS1_3repE0EEENS1_36merge_oddeven_config_static_selectorELNS0_4arch9wavefront6targetE1EEEvSM_,"axG",@progbits,_ZN7rocprim17ROCPRIM_400000_NS6detail17trampoline_kernelINS0_14default_configENS1_38merge_sort_block_merge_config_selectorIlNS0_10empty_typeEEEZZNS1_27merge_sort_block_merge_implIS3_PlPS5_mZN2at6native12_GLOBAL__N_124unique_dim_cuda_templateItEESt5tupleIJNSA_6TensorESF_SF_EERKSF_lbbbEUlllE_EE10hipError_tT0_T1_T2_jT3_P12ihipStream_tbPNSt15iterator_traitsISL_E10value_typeEPNSR_ISM_E10value_typeEPSN_NS1_7vsmem_tEENKUlT_SL_SM_SN_E_clIS8_S8_S9_S9_EESK_S10_SL_SM_SN_EUlS10_E1_NS1_11comp_targetILNS1_3genE2ELNS1_11target_archE906ELNS1_3gpuE6ELNS1_3repE0EEENS1_36merge_oddeven_config_static_selectorELNS0_4arch9wavefront6targetE1EEEvSM_,comdat
.Lfunc_end1400:
	.size	_ZN7rocprim17ROCPRIM_400000_NS6detail17trampoline_kernelINS0_14default_configENS1_38merge_sort_block_merge_config_selectorIlNS0_10empty_typeEEEZZNS1_27merge_sort_block_merge_implIS3_PlPS5_mZN2at6native12_GLOBAL__N_124unique_dim_cuda_templateItEESt5tupleIJNSA_6TensorESF_SF_EERKSF_lbbbEUlllE_EE10hipError_tT0_T1_T2_jT3_P12ihipStream_tbPNSt15iterator_traitsISL_E10value_typeEPNSR_ISM_E10value_typeEPSN_NS1_7vsmem_tEENKUlT_SL_SM_SN_E_clIS8_S8_S9_S9_EESK_S10_SL_SM_SN_EUlS10_E1_NS1_11comp_targetILNS1_3genE2ELNS1_11target_archE906ELNS1_3gpuE6ELNS1_3repE0EEENS1_36merge_oddeven_config_static_selectorELNS0_4arch9wavefront6targetE1EEEvSM_, .Lfunc_end1400-_ZN7rocprim17ROCPRIM_400000_NS6detail17trampoline_kernelINS0_14default_configENS1_38merge_sort_block_merge_config_selectorIlNS0_10empty_typeEEEZZNS1_27merge_sort_block_merge_implIS3_PlPS5_mZN2at6native12_GLOBAL__N_124unique_dim_cuda_templateItEESt5tupleIJNSA_6TensorESF_SF_EERKSF_lbbbEUlllE_EE10hipError_tT0_T1_T2_jT3_P12ihipStream_tbPNSt15iterator_traitsISL_E10value_typeEPNSR_ISM_E10value_typeEPSN_NS1_7vsmem_tEENKUlT_SL_SM_SN_E_clIS8_S8_S9_S9_EESK_S10_SL_SM_SN_EUlS10_E1_NS1_11comp_targetILNS1_3genE2ELNS1_11target_archE906ELNS1_3gpuE6ELNS1_3repE0EEENS1_36merge_oddeven_config_static_selectorELNS0_4arch9wavefront6targetE1EEEvSM_
                                        ; -- End function
	.section	.AMDGPU.csdata,"",@progbits
; Kernel info:
; codeLenInByte = 0
; NumSgprs: 6
; NumVgprs: 0
; NumAgprs: 0
; TotalNumVgprs: 0
; ScratchSize: 0
; MemoryBound: 0
; FloatMode: 240
; IeeeMode: 1
; LDSByteSize: 0 bytes/workgroup (compile time only)
; SGPRBlocks: 0
; VGPRBlocks: 0
; NumSGPRsForWavesPerEU: 6
; NumVGPRsForWavesPerEU: 1
; AccumOffset: 4
; Occupancy: 8
; WaveLimiterHint : 0
; COMPUTE_PGM_RSRC2:SCRATCH_EN: 0
; COMPUTE_PGM_RSRC2:USER_SGPR: 2
; COMPUTE_PGM_RSRC2:TRAP_HANDLER: 0
; COMPUTE_PGM_RSRC2:TGID_X_EN: 1
; COMPUTE_PGM_RSRC2:TGID_Y_EN: 0
; COMPUTE_PGM_RSRC2:TGID_Z_EN: 0
; COMPUTE_PGM_RSRC2:TIDIG_COMP_CNT: 0
; COMPUTE_PGM_RSRC3_GFX90A:ACCUM_OFFSET: 0
; COMPUTE_PGM_RSRC3_GFX90A:TG_SPLIT: 0
	.section	.text._ZN7rocprim17ROCPRIM_400000_NS6detail17trampoline_kernelINS0_14default_configENS1_38merge_sort_block_merge_config_selectorIlNS0_10empty_typeEEEZZNS1_27merge_sort_block_merge_implIS3_PlPS5_mZN2at6native12_GLOBAL__N_124unique_dim_cuda_templateItEESt5tupleIJNSA_6TensorESF_SF_EERKSF_lbbbEUlllE_EE10hipError_tT0_T1_T2_jT3_P12ihipStream_tbPNSt15iterator_traitsISL_E10value_typeEPNSR_ISM_E10value_typeEPSN_NS1_7vsmem_tEENKUlT_SL_SM_SN_E_clIS8_S8_S9_S9_EESK_S10_SL_SM_SN_EUlS10_E1_NS1_11comp_targetILNS1_3genE9ELNS1_11target_archE1100ELNS1_3gpuE3ELNS1_3repE0EEENS1_36merge_oddeven_config_static_selectorELNS0_4arch9wavefront6targetE1EEEvSM_,"axG",@progbits,_ZN7rocprim17ROCPRIM_400000_NS6detail17trampoline_kernelINS0_14default_configENS1_38merge_sort_block_merge_config_selectorIlNS0_10empty_typeEEEZZNS1_27merge_sort_block_merge_implIS3_PlPS5_mZN2at6native12_GLOBAL__N_124unique_dim_cuda_templateItEESt5tupleIJNSA_6TensorESF_SF_EERKSF_lbbbEUlllE_EE10hipError_tT0_T1_T2_jT3_P12ihipStream_tbPNSt15iterator_traitsISL_E10value_typeEPNSR_ISM_E10value_typeEPSN_NS1_7vsmem_tEENKUlT_SL_SM_SN_E_clIS8_S8_S9_S9_EESK_S10_SL_SM_SN_EUlS10_E1_NS1_11comp_targetILNS1_3genE9ELNS1_11target_archE1100ELNS1_3gpuE3ELNS1_3repE0EEENS1_36merge_oddeven_config_static_selectorELNS0_4arch9wavefront6targetE1EEEvSM_,comdat
	.globl	_ZN7rocprim17ROCPRIM_400000_NS6detail17trampoline_kernelINS0_14default_configENS1_38merge_sort_block_merge_config_selectorIlNS0_10empty_typeEEEZZNS1_27merge_sort_block_merge_implIS3_PlPS5_mZN2at6native12_GLOBAL__N_124unique_dim_cuda_templateItEESt5tupleIJNSA_6TensorESF_SF_EERKSF_lbbbEUlllE_EE10hipError_tT0_T1_T2_jT3_P12ihipStream_tbPNSt15iterator_traitsISL_E10value_typeEPNSR_ISM_E10value_typeEPSN_NS1_7vsmem_tEENKUlT_SL_SM_SN_E_clIS8_S8_S9_S9_EESK_S10_SL_SM_SN_EUlS10_E1_NS1_11comp_targetILNS1_3genE9ELNS1_11target_archE1100ELNS1_3gpuE3ELNS1_3repE0EEENS1_36merge_oddeven_config_static_selectorELNS0_4arch9wavefront6targetE1EEEvSM_ ; -- Begin function _ZN7rocprim17ROCPRIM_400000_NS6detail17trampoline_kernelINS0_14default_configENS1_38merge_sort_block_merge_config_selectorIlNS0_10empty_typeEEEZZNS1_27merge_sort_block_merge_implIS3_PlPS5_mZN2at6native12_GLOBAL__N_124unique_dim_cuda_templateItEESt5tupleIJNSA_6TensorESF_SF_EERKSF_lbbbEUlllE_EE10hipError_tT0_T1_T2_jT3_P12ihipStream_tbPNSt15iterator_traitsISL_E10value_typeEPNSR_ISM_E10value_typeEPSN_NS1_7vsmem_tEENKUlT_SL_SM_SN_E_clIS8_S8_S9_S9_EESK_S10_SL_SM_SN_EUlS10_E1_NS1_11comp_targetILNS1_3genE9ELNS1_11target_archE1100ELNS1_3gpuE3ELNS1_3repE0EEENS1_36merge_oddeven_config_static_selectorELNS0_4arch9wavefront6targetE1EEEvSM_
	.p2align	8
	.type	_ZN7rocprim17ROCPRIM_400000_NS6detail17trampoline_kernelINS0_14default_configENS1_38merge_sort_block_merge_config_selectorIlNS0_10empty_typeEEEZZNS1_27merge_sort_block_merge_implIS3_PlPS5_mZN2at6native12_GLOBAL__N_124unique_dim_cuda_templateItEESt5tupleIJNSA_6TensorESF_SF_EERKSF_lbbbEUlllE_EE10hipError_tT0_T1_T2_jT3_P12ihipStream_tbPNSt15iterator_traitsISL_E10value_typeEPNSR_ISM_E10value_typeEPSN_NS1_7vsmem_tEENKUlT_SL_SM_SN_E_clIS8_S8_S9_S9_EESK_S10_SL_SM_SN_EUlS10_E1_NS1_11comp_targetILNS1_3genE9ELNS1_11target_archE1100ELNS1_3gpuE3ELNS1_3repE0EEENS1_36merge_oddeven_config_static_selectorELNS0_4arch9wavefront6targetE1EEEvSM_,@function
_ZN7rocprim17ROCPRIM_400000_NS6detail17trampoline_kernelINS0_14default_configENS1_38merge_sort_block_merge_config_selectorIlNS0_10empty_typeEEEZZNS1_27merge_sort_block_merge_implIS3_PlPS5_mZN2at6native12_GLOBAL__N_124unique_dim_cuda_templateItEESt5tupleIJNSA_6TensorESF_SF_EERKSF_lbbbEUlllE_EE10hipError_tT0_T1_T2_jT3_P12ihipStream_tbPNSt15iterator_traitsISL_E10value_typeEPNSR_ISM_E10value_typeEPSN_NS1_7vsmem_tEENKUlT_SL_SM_SN_E_clIS8_S8_S9_S9_EESK_S10_SL_SM_SN_EUlS10_E1_NS1_11comp_targetILNS1_3genE9ELNS1_11target_archE1100ELNS1_3gpuE3ELNS1_3repE0EEENS1_36merge_oddeven_config_static_selectorELNS0_4arch9wavefront6targetE1EEEvSM_: ; @_ZN7rocprim17ROCPRIM_400000_NS6detail17trampoline_kernelINS0_14default_configENS1_38merge_sort_block_merge_config_selectorIlNS0_10empty_typeEEEZZNS1_27merge_sort_block_merge_implIS3_PlPS5_mZN2at6native12_GLOBAL__N_124unique_dim_cuda_templateItEESt5tupleIJNSA_6TensorESF_SF_EERKSF_lbbbEUlllE_EE10hipError_tT0_T1_T2_jT3_P12ihipStream_tbPNSt15iterator_traitsISL_E10value_typeEPNSR_ISM_E10value_typeEPSN_NS1_7vsmem_tEENKUlT_SL_SM_SN_E_clIS8_S8_S9_S9_EESK_S10_SL_SM_SN_EUlS10_E1_NS1_11comp_targetILNS1_3genE9ELNS1_11target_archE1100ELNS1_3gpuE3ELNS1_3repE0EEENS1_36merge_oddeven_config_static_selectorELNS0_4arch9wavefront6targetE1EEEvSM_
; %bb.0:
	.section	.rodata,"a",@progbits
	.p2align	6, 0x0
	.amdhsa_kernel _ZN7rocprim17ROCPRIM_400000_NS6detail17trampoline_kernelINS0_14default_configENS1_38merge_sort_block_merge_config_selectorIlNS0_10empty_typeEEEZZNS1_27merge_sort_block_merge_implIS3_PlPS5_mZN2at6native12_GLOBAL__N_124unique_dim_cuda_templateItEESt5tupleIJNSA_6TensorESF_SF_EERKSF_lbbbEUlllE_EE10hipError_tT0_T1_T2_jT3_P12ihipStream_tbPNSt15iterator_traitsISL_E10value_typeEPNSR_ISM_E10value_typeEPSN_NS1_7vsmem_tEENKUlT_SL_SM_SN_E_clIS8_S8_S9_S9_EESK_S10_SL_SM_SN_EUlS10_E1_NS1_11comp_targetILNS1_3genE9ELNS1_11target_archE1100ELNS1_3gpuE3ELNS1_3repE0EEENS1_36merge_oddeven_config_static_selectorELNS0_4arch9wavefront6targetE1EEEvSM_
		.amdhsa_group_segment_fixed_size 0
		.amdhsa_private_segment_fixed_size 0
		.amdhsa_kernarg_size 64
		.amdhsa_user_sgpr_count 2
		.amdhsa_user_sgpr_dispatch_ptr 0
		.amdhsa_user_sgpr_queue_ptr 0
		.amdhsa_user_sgpr_kernarg_segment_ptr 1
		.amdhsa_user_sgpr_dispatch_id 0
		.amdhsa_user_sgpr_kernarg_preload_length 0
		.amdhsa_user_sgpr_kernarg_preload_offset 0
		.amdhsa_user_sgpr_private_segment_size 0
		.amdhsa_uses_dynamic_stack 0
		.amdhsa_enable_private_segment 0
		.amdhsa_system_sgpr_workgroup_id_x 1
		.amdhsa_system_sgpr_workgroup_id_y 0
		.amdhsa_system_sgpr_workgroup_id_z 0
		.amdhsa_system_sgpr_workgroup_info 0
		.amdhsa_system_vgpr_workitem_id 0
		.amdhsa_next_free_vgpr 1
		.amdhsa_next_free_sgpr 0
		.amdhsa_accum_offset 4
		.amdhsa_reserve_vcc 0
		.amdhsa_float_round_mode_32 0
		.amdhsa_float_round_mode_16_64 0
		.amdhsa_float_denorm_mode_32 3
		.amdhsa_float_denorm_mode_16_64 3
		.amdhsa_dx10_clamp 1
		.amdhsa_ieee_mode 1
		.amdhsa_fp16_overflow 0
		.amdhsa_tg_split 0
		.amdhsa_exception_fp_ieee_invalid_op 0
		.amdhsa_exception_fp_denorm_src 0
		.amdhsa_exception_fp_ieee_div_zero 0
		.amdhsa_exception_fp_ieee_overflow 0
		.amdhsa_exception_fp_ieee_underflow 0
		.amdhsa_exception_fp_ieee_inexact 0
		.amdhsa_exception_int_div_zero 0
	.end_amdhsa_kernel
	.section	.text._ZN7rocprim17ROCPRIM_400000_NS6detail17trampoline_kernelINS0_14default_configENS1_38merge_sort_block_merge_config_selectorIlNS0_10empty_typeEEEZZNS1_27merge_sort_block_merge_implIS3_PlPS5_mZN2at6native12_GLOBAL__N_124unique_dim_cuda_templateItEESt5tupleIJNSA_6TensorESF_SF_EERKSF_lbbbEUlllE_EE10hipError_tT0_T1_T2_jT3_P12ihipStream_tbPNSt15iterator_traitsISL_E10value_typeEPNSR_ISM_E10value_typeEPSN_NS1_7vsmem_tEENKUlT_SL_SM_SN_E_clIS8_S8_S9_S9_EESK_S10_SL_SM_SN_EUlS10_E1_NS1_11comp_targetILNS1_3genE9ELNS1_11target_archE1100ELNS1_3gpuE3ELNS1_3repE0EEENS1_36merge_oddeven_config_static_selectorELNS0_4arch9wavefront6targetE1EEEvSM_,"axG",@progbits,_ZN7rocprim17ROCPRIM_400000_NS6detail17trampoline_kernelINS0_14default_configENS1_38merge_sort_block_merge_config_selectorIlNS0_10empty_typeEEEZZNS1_27merge_sort_block_merge_implIS3_PlPS5_mZN2at6native12_GLOBAL__N_124unique_dim_cuda_templateItEESt5tupleIJNSA_6TensorESF_SF_EERKSF_lbbbEUlllE_EE10hipError_tT0_T1_T2_jT3_P12ihipStream_tbPNSt15iterator_traitsISL_E10value_typeEPNSR_ISM_E10value_typeEPSN_NS1_7vsmem_tEENKUlT_SL_SM_SN_E_clIS8_S8_S9_S9_EESK_S10_SL_SM_SN_EUlS10_E1_NS1_11comp_targetILNS1_3genE9ELNS1_11target_archE1100ELNS1_3gpuE3ELNS1_3repE0EEENS1_36merge_oddeven_config_static_selectorELNS0_4arch9wavefront6targetE1EEEvSM_,comdat
.Lfunc_end1401:
	.size	_ZN7rocprim17ROCPRIM_400000_NS6detail17trampoline_kernelINS0_14default_configENS1_38merge_sort_block_merge_config_selectorIlNS0_10empty_typeEEEZZNS1_27merge_sort_block_merge_implIS3_PlPS5_mZN2at6native12_GLOBAL__N_124unique_dim_cuda_templateItEESt5tupleIJNSA_6TensorESF_SF_EERKSF_lbbbEUlllE_EE10hipError_tT0_T1_T2_jT3_P12ihipStream_tbPNSt15iterator_traitsISL_E10value_typeEPNSR_ISM_E10value_typeEPSN_NS1_7vsmem_tEENKUlT_SL_SM_SN_E_clIS8_S8_S9_S9_EESK_S10_SL_SM_SN_EUlS10_E1_NS1_11comp_targetILNS1_3genE9ELNS1_11target_archE1100ELNS1_3gpuE3ELNS1_3repE0EEENS1_36merge_oddeven_config_static_selectorELNS0_4arch9wavefront6targetE1EEEvSM_, .Lfunc_end1401-_ZN7rocprim17ROCPRIM_400000_NS6detail17trampoline_kernelINS0_14default_configENS1_38merge_sort_block_merge_config_selectorIlNS0_10empty_typeEEEZZNS1_27merge_sort_block_merge_implIS3_PlPS5_mZN2at6native12_GLOBAL__N_124unique_dim_cuda_templateItEESt5tupleIJNSA_6TensorESF_SF_EERKSF_lbbbEUlllE_EE10hipError_tT0_T1_T2_jT3_P12ihipStream_tbPNSt15iterator_traitsISL_E10value_typeEPNSR_ISM_E10value_typeEPSN_NS1_7vsmem_tEENKUlT_SL_SM_SN_E_clIS8_S8_S9_S9_EESK_S10_SL_SM_SN_EUlS10_E1_NS1_11comp_targetILNS1_3genE9ELNS1_11target_archE1100ELNS1_3gpuE3ELNS1_3repE0EEENS1_36merge_oddeven_config_static_selectorELNS0_4arch9wavefront6targetE1EEEvSM_
                                        ; -- End function
	.section	.AMDGPU.csdata,"",@progbits
; Kernel info:
; codeLenInByte = 0
; NumSgprs: 6
; NumVgprs: 0
; NumAgprs: 0
; TotalNumVgprs: 0
; ScratchSize: 0
; MemoryBound: 0
; FloatMode: 240
; IeeeMode: 1
; LDSByteSize: 0 bytes/workgroup (compile time only)
; SGPRBlocks: 0
; VGPRBlocks: 0
; NumSGPRsForWavesPerEU: 6
; NumVGPRsForWavesPerEU: 1
; AccumOffset: 4
; Occupancy: 8
; WaveLimiterHint : 0
; COMPUTE_PGM_RSRC2:SCRATCH_EN: 0
; COMPUTE_PGM_RSRC2:USER_SGPR: 2
; COMPUTE_PGM_RSRC2:TRAP_HANDLER: 0
; COMPUTE_PGM_RSRC2:TGID_X_EN: 1
; COMPUTE_PGM_RSRC2:TGID_Y_EN: 0
; COMPUTE_PGM_RSRC2:TGID_Z_EN: 0
; COMPUTE_PGM_RSRC2:TIDIG_COMP_CNT: 0
; COMPUTE_PGM_RSRC3_GFX90A:ACCUM_OFFSET: 0
; COMPUTE_PGM_RSRC3_GFX90A:TG_SPLIT: 0
	.section	.text._ZN7rocprim17ROCPRIM_400000_NS6detail17trampoline_kernelINS0_14default_configENS1_38merge_sort_block_merge_config_selectorIlNS0_10empty_typeEEEZZNS1_27merge_sort_block_merge_implIS3_PlPS5_mZN2at6native12_GLOBAL__N_124unique_dim_cuda_templateItEESt5tupleIJNSA_6TensorESF_SF_EERKSF_lbbbEUlllE_EE10hipError_tT0_T1_T2_jT3_P12ihipStream_tbPNSt15iterator_traitsISL_E10value_typeEPNSR_ISM_E10value_typeEPSN_NS1_7vsmem_tEENKUlT_SL_SM_SN_E_clIS8_S8_S9_S9_EESK_S10_SL_SM_SN_EUlS10_E1_NS1_11comp_targetILNS1_3genE8ELNS1_11target_archE1030ELNS1_3gpuE2ELNS1_3repE0EEENS1_36merge_oddeven_config_static_selectorELNS0_4arch9wavefront6targetE1EEEvSM_,"axG",@progbits,_ZN7rocprim17ROCPRIM_400000_NS6detail17trampoline_kernelINS0_14default_configENS1_38merge_sort_block_merge_config_selectorIlNS0_10empty_typeEEEZZNS1_27merge_sort_block_merge_implIS3_PlPS5_mZN2at6native12_GLOBAL__N_124unique_dim_cuda_templateItEESt5tupleIJNSA_6TensorESF_SF_EERKSF_lbbbEUlllE_EE10hipError_tT0_T1_T2_jT3_P12ihipStream_tbPNSt15iterator_traitsISL_E10value_typeEPNSR_ISM_E10value_typeEPSN_NS1_7vsmem_tEENKUlT_SL_SM_SN_E_clIS8_S8_S9_S9_EESK_S10_SL_SM_SN_EUlS10_E1_NS1_11comp_targetILNS1_3genE8ELNS1_11target_archE1030ELNS1_3gpuE2ELNS1_3repE0EEENS1_36merge_oddeven_config_static_selectorELNS0_4arch9wavefront6targetE1EEEvSM_,comdat
	.globl	_ZN7rocprim17ROCPRIM_400000_NS6detail17trampoline_kernelINS0_14default_configENS1_38merge_sort_block_merge_config_selectorIlNS0_10empty_typeEEEZZNS1_27merge_sort_block_merge_implIS3_PlPS5_mZN2at6native12_GLOBAL__N_124unique_dim_cuda_templateItEESt5tupleIJNSA_6TensorESF_SF_EERKSF_lbbbEUlllE_EE10hipError_tT0_T1_T2_jT3_P12ihipStream_tbPNSt15iterator_traitsISL_E10value_typeEPNSR_ISM_E10value_typeEPSN_NS1_7vsmem_tEENKUlT_SL_SM_SN_E_clIS8_S8_S9_S9_EESK_S10_SL_SM_SN_EUlS10_E1_NS1_11comp_targetILNS1_3genE8ELNS1_11target_archE1030ELNS1_3gpuE2ELNS1_3repE0EEENS1_36merge_oddeven_config_static_selectorELNS0_4arch9wavefront6targetE1EEEvSM_ ; -- Begin function _ZN7rocprim17ROCPRIM_400000_NS6detail17trampoline_kernelINS0_14default_configENS1_38merge_sort_block_merge_config_selectorIlNS0_10empty_typeEEEZZNS1_27merge_sort_block_merge_implIS3_PlPS5_mZN2at6native12_GLOBAL__N_124unique_dim_cuda_templateItEESt5tupleIJNSA_6TensorESF_SF_EERKSF_lbbbEUlllE_EE10hipError_tT0_T1_T2_jT3_P12ihipStream_tbPNSt15iterator_traitsISL_E10value_typeEPNSR_ISM_E10value_typeEPSN_NS1_7vsmem_tEENKUlT_SL_SM_SN_E_clIS8_S8_S9_S9_EESK_S10_SL_SM_SN_EUlS10_E1_NS1_11comp_targetILNS1_3genE8ELNS1_11target_archE1030ELNS1_3gpuE2ELNS1_3repE0EEENS1_36merge_oddeven_config_static_selectorELNS0_4arch9wavefront6targetE1EEEvSM_
	.p2align	8
	.type	_ZN7rocprim17ROCPRIM_400000_NS6detail17trampoline_kernelINS0_14default_configENS1_38merge_sort_block_merge_config_selectorIlNS0_10empty_typeEEEZZNS1_27merge_sort_block_merge_implIS3_PlPS5_mZN2at6native12_GLOBAL__N_124unique_dim_cuda_templateItEESt5tupleIJNSA_6TensorESF_SF_EERKSF_lbbbEUlllE_EE10hipError_tT0_T1_T2_jT3_P12ihipStream_tbPNSt15iterator_traitsISL_E10value_typeEPNSR_ISM_E10value_typeEPSN_NS1_7vsmem_tEENKUlT_SL_SM_SN_E_clIS8_S8_S9_S9_EESK_S10_SL_SM_SN_EUlS10_E1_NS1_11comp_targetILNS1_3genE8ELNS1_11target_archE1030ELNS1_3gpuE2ELNS1_3repE0EEENS1_36merge_oddeven_config_static_selectorELNS0_4arch9wavefront6targetE1EEEvSM_,@function
_ZN7rocprim17ROCPRIM_400000_NS6detail17trampoline_kernelINS0_14default_configENS1_38merge_sort_block_merge_config_selectorIlNS0_10empty_typeEEEZZNS1_27merge_sort_block_merge_implIS3_PlPS5_mZN2at6native12_GLOBAL__N_124unique_dim_cuda_templateItEESt5tupleIJNSA_6TensorESF_SF_EERKSF_lbbbEUlllE_EE10hipError_tT0_T1_T2_jT3_P12ihipStream_tbPNSt15iterator_traitsISL_E10value_typeEPNSR_ISM_E10value_typeEPSN_NS1_7vsmem_tEENKUlT_SL_SM_SN_E_clIS8_S8_S9_S9_EESK_S10_SL_SM_SN_EUlS10_E1_NS1_11comp_targetILNS1_3genE8ELNS1_11target_archE1030ELNS1_3gpuE2ELNS1_3repE0EEENS1_36merge_oddeven_config_static_selectorELNS0_4arch9wavefront6targetE1EEEvSM_: ; @_ZN7rocprim17ROCPRIM_400000_NS6detail17trampoline_kernelINS0_14default_configENS1_38merge_sort_block_merge_config_selectorIlNS0_10empty_typeEEEZZNS1_27merge_sort_block_merge_implIS3_PlPS5_mZN2at6native12_GLOBAL__N_124unique_dim_cuda_templateItEESt5tupleIJNSA_6TensorESF_SF_EERKSF_lbbbEUlllE_EE10hipError_tT0_T1_T2_jT3_P12ihipStream_tbPNSt15iterator_traitsISL_E10value_typeEPNSR_ISM_E10value_typeEPSN_NS1_7vsmem_tEENKUlT_SL_SM_SN_E_clIS8_S8_S9_S9_EESK_S10_SL_SM_SN_EUlS10_E1_NS1_11comp_targetILNS1_3genE8ELNS1_11target_archE1030ELNS1_3gpuE2ELNS1_3repE0EEENS1_36merge_oddeven_config_static_selectorELNS0_4arch9wavefront6targetE1EEEvSM_
; %bb.0:
	.section	.rodata,"a",@progbits
	.p2align	6, 0x0
	.amdhsa_kernel _ZN7rocprim17ROCPRIM_400000_NS6detail17trampoline_kernelINS0_14default_configENS1_38merge_sort_block_merge_config_selectorIlNS0_10empty_typeEEEZZNS1_27merge_sort_block_merge_implIS3_PlPS5_mZN2at6native12_GLOBAL__N_124unique_dim_cuda_templateItEESt5tupleIJNSA_6TensorESF_SF_EERKSF_lbbbEUlllE_EE10hipError_tT0_T1_T2_jT3_P12ihipStream_tbPNSt15iterator_traitsISL_E10value_typeEPNSR_ISM_E10value_typeEPSN_NS1_7vsmem_tEENKUlT_SL_SM_SN_E_clIS8_S8_S9_S9_EESK_S10_SL_SM_SN_EUlS10_E1_NS1_11comp_targetILNS1_3genE8ELNS1_11target_archE1030ELNS1_3gpuE2ELNS1_3repE0EEENS1_36merge_oddeven_config_static_selectorELNS0_4arch9wavefront6targetE1EEEvSM_
		.amdhsa_group_segment_fixed_size 0
		.amdhsa_private_segment_fixed_size 0
		.amdhsa_kernarg_size 64
		.amdhsa_user_sgpr_count 2
		.amdhsa_user_sgpr_dispatch_ptr 0
		.amdhsa_user_sgpr_queue_ptr 0
		.amdhsa_user_sgpr_kernarg_segment_ptr 1
		.amdhsa_user_sgpr_dispatch_id 0
		.amdhsa_user_sgpr_kernarg_preload_length 0
		.amdhsa_user_sgpr_kernarg_preload_offset 0
		.amdhsa_user_sgpr_private_segment_size 0
		.amdhsa_uses_dynamic_stack 0
		.amdhsa_enable_private_segment 0
		.amdhsa_system_sgpr_workgroup_id_x 1
		.amdhsa_system_sgpr_workgroup_id_y 0
		.amdhsa_system_sgpr_workgroup_id_z 0
		.amdhsa_system_sgpr_workgroup_info 0
		.amdhsa_system_vgpr_workitem_id 0
		.amdhsa_next_free_vgpr 1
		.amdhsa_next_free_sgpr 0
		.amdhsa_accum_offset 4
		.amdhsa_reserve_vcc 0
		.amdhsa_float_round_mode_32 0
		.amdhsa_float_round_mode_16_64 0
		.amdhsa_float_denorm_mode_32 3
		.amdhsa_float_denorm_mode_16_64 3
		.amdhsa_dx10_clamp 1
		.amdhsa_ieee_mode 1
		.amdhsa_fp16_overflow 0
		.amdhsa_tg_split 0
		.amdhsa_exception_fp_ieee_invalid_op 0
		.amdhsa_exception_fp_denorm_src 0
		.amdhsa_exception_fp_ieee_div_zero 0
		.amdhsa_exception_fp_ieee_overflow 0
		.amdhsa_exception_fp_ieee_underflow 0
		.amdhsa_exception_fp_ieee_inexact 0
		.amdhsa_exception_int_div_zero 0
	.end_amdhsa_kernel
	.section	.text._ZN7rocprim17ROCPRIM_400000_NS6detail17trampoline_kernelINS0_14default_configENS1_38merge_sort_block_merge_config_selectorIlNS0_10empty_typeEEEZZNS1_27merge_sort_block_merge_implIS3_PlPS5_mZN2at6native12_GLOBAL__N_124unique_dim_cuda_templateItEESt5tupleIJNSA_6TensorESF_SF_EERKSF_lbbbEUlllE_EE10hipError_tT0_T1_T2_jT3_P12ihipStream_tbPNSt15iterator_traitsISL_E10value_typeEPNSR_ISM_E10value_typeEPSN_NS1_7vsmem_tEENKUlT_SL_SM_SN_E_clIS8_S8_S9_S9_EESK_S10_SL_SM_SN_EUlS10_E1_NS1_11comp_targetILNS1_3genE8ELNS1_11target_archE1030ELNS1_3gpuE2ELNS1_3repE0EEENS1_36merge_oddeven_config_static_selectorELNS0_4arch9wavefront6targetE1EEEvSM_,"axG",@progbits,_ZN7rocprim17ROCPRIM_400000_NS6detail17trampoline_kernelINS0_14default_configENS1_38merge_sort_block_merge_config_selectorIlNS0_10empty_typeEEEZZNS1_27merge_sort_block_merge_implIS3_PlPS5_mZN2at6native12_GLOBAL__N_124unique_dim_cuda_templateItEESt5tupleIJNSA_6TensorESF_SF_EERKSF_lbbbEUlllE_EE10hipError_tT0_T1_T2_jT3_P12ihipStream_tbPNSt15iterator_traitsISL_E10value_typeEPNSR_ISM_E10value_typeEPSN_NS1_7vsmem_tEENKUlT_SL_SM_SN_E_clIS8_S8_S9_S9_EESK_S10_SL_SM_SN_EUlS10_E1_NS1_11comp_targetILNS1_3genE8ELNS1_11target_archE1030ELNS1_3gpuE2ELNS1_3repE0EEENS1_36merge_oddeven_config_static_selectorELNS0_4arch9wavefront6targetE1EEEvSM_,comdat
.Lfunc_end1402:
	.size	_ZN7rocprim17ROCPRIM_400000_NS6detail17trampoline_kernelINS0_14default_configENS1_38merge_sort_block_merge_config_selectorIlNS0_10empty_typeEEEZZNS1_27merge_sort_block_merge_implIS3_PlPS5_mZN2at6native12_GLOBAL__N_124unique_dim_cuda_templateItEESt5tupleIJNSA_6TensorESF_SF_EERKSF_lbbbEUlllE_EE10hipError_tT0_T1_T2_jT3_P12ihipStream_tbPNSt15iterator_traitsISL_E10value_typeEPNSR_ISM_E10value_typeEPSN_NS1_7vsmem_tEENKUlT_SL_SM_SN_E_clIS8_S8_S9_S9_EESK_S10_SL_SM_SN_EUlS10_E1_NS1_11comp_targetILNS1_3genE8ELNS1_11target_archE1030ELNS1_3gpuE2ELNS1_3repE0EEENS1_36merge_oddeven_config_static_selectorELNS0_4arch9wavefront6targetE1EEEvSM_, .Lfunc_end1402-_ZN7rocprim17ROCPRIM_400000_NS6detail17trampoline_kernelINS0_14default_configENS1_38merge_sort_block_merge_config_selectorIlNS0_10empty_typeEEEZZNS1_27merge_sort_block_merge_implIS3_PlPS5_mZN2at6native12_GLOBAL__N_124unique_dim_cuda_templateItEESt5tupleIJNSA_6TensorESF_SF_EERKSF_lbbbEUlllE_EE10hipError_tT0_T1_T2_jT3_P12ihipStream_tbPNSt15iterator_traitsISL_E10value_typeEPNSR_ISM_E10value_typeEPSN_NS1_7vsmem_tEENKUlT_SL_SM_SN_E_clIS8_S8_S9_S9_EESK_S10_SL_SM_SN_EUlS10_E1_NS1_11comp_targetILNS1_3genE8ELNS1_11target_archE1030ELNS1_3gpuE2ELNS1_3repE0EEENS1_36merge_oddeven_config_static_selectorELNS0_4arch9wavefront6targetE1EEEvSM_
                                        ; -- End function
	.section	.AMDGPU.csdata,"",@progbits
; Kernel info:
; codeLenInByte = 0
; NumSgprs: 6
; NumVgprs: 0
; NumAgprs: 0
; TotalNumVgprs: 0
; ScratchSize: 0
; MemoryBound: 0
; FloatMode: 240
; IeeeMode: 1
; LDSByteSize: 0 bytes/workgroup (compile time only)
; SGPRBlocks: 0
; VGPRBlocks: 0
; NumSGPRsForWavesPerEU: 6
; NumVGPRsForWavesPerEU: 1
; AccumOffset: 4
; Occupancy: 8
; WaveLimiterHint : 0
; COMPUTE_PGM_RSRC2:SCRATCH_EN: 0
; COMPUTE_PGM_RSRC2:USER_SGPR: 2
; COMPUTE_PGM_RSRC2:TRAP_HANDLER: 0
; COMPUTE_PGM_RSRC2:TGID_X_EN: 1
; COMPUTE_PGM_RSRC2:TGID_Y_EN: 0
; COMPUTE_PGM_RSRC2:TGID_Z_EN: 0
; COMPUTE_PGM_RSRC2:TIDIG_COMP_CNT: 0
; COMPUTE_PGM_RSRC3_GFX90A:ACCUM_OFFSET: 0
; COMPUTE_PGM_RSRC3_GFX90A:TG_SPLIT: 0
	.section	.text._ZN7rocprim17ROCPRIM_400000_NS6detail17trampoline_kernelINS0_14default_configENS1_35adjacent_difference_config_selectorILb0ElEEZNS1_24adjacent_difference_implIS3_Lb0ELb0EPlS7_ZN2at6native12_GLOBAL__N_124unique_dim_cuda_templateItEESt5tupleIJNS8_6TensorESD_SD_EERKSD_lbbbEUlllE1_EE10hipError_tPvRmT2_T3_mT4_P12ihipStream_tbEUlT_E_NS1_11comp_targetILNS1_3genE0ELNS1_11target_archE4294967295ELNS1_3gpuE0ELNS1_3repE0EEENS1_30default_config_static_selectorELNS0_4arch9wavefront6targetE1EEEvT1_,"axG",@progbits,_ZN7rocprim17ROCPRIM_400000_NS6detail17trampoline_kernelINS0_14default_configENS1_35adjacent_difference_config_selectorILb0ElEEZNS1_24adjacent_difference_implIS3_Lb0ELb0EPlS7_ZN2at6native12_GLOBAL__N_124unique_dim_cuda_templateItEESt5tupleIJNS8_6TensorESD_SD_EERKSD_lbbbEUlllE1_EE10hipError_tPvRmT2_T3_mT4_P12ihipStream_tbEUlT_E_NS1_11comp_targetILNS1_3genE0ELNS1_11target_archE4294967295ELNS1_3gpuE0ELNS1_3repE0EEENS1_30default_config_static_selectorELNS0_4arch9wavefront6targetE1EEEvT1_,comdat
	.globl	_ZN7rocprim17ROCPRIM_400000_NS6detail17trampoline_kernelINS0_14default_configENS1_35adjacent_difference_config_selectorILb0ElEEZNS1_24adjacent_difference_implIS3_Lb0ELb0EPlS7_ZN2at6native12_GLOBAL__N_124unique_dim_cuda_templateItEESt5tupleIJNS8_6TensorESD_SD_EERKSD_lbbbEUlllE1_EE10hipError_tPvRmT2_T3_mT4_P12ihipStream_tbEUlT_E_NS1_11comp_targetILNS1_3genE0ELNS1_11target_archE4294967295ELNS1_3gpuE0ELNS1_3repE0EEENS1_30default_config_static_selectorELNS0_4arch9wavefront6targetE1EEEvT1_ ; -- Begin function _ZN7rocprim17ROCPRIM_400000_NS6detail17trampoline_kernelINS0_14default_configENS1_35adjacent_difference_config_selectorILb0ElEEZNS1_24adjacent_difference_implIS3_Lb0ELb0EPlS7_ZN2at6native12_GLOBAL__N_124unique_dim_cuda_templateItEESt5tupleIJNS8_6TensorESD_SD_EERKSD_lbbbEUlllE1_EE10hipError_tPvRmT2_T3_mT4_P12ihipStream_tbEUlT_E_NS1_11comp_targetILNS1_3genE0ELNS1_11target_archE4294967295ELNS1_3gpuE0ELNS1_3repE0EEENS1_30default_config_static_selectorELNS0_4arch9wavefront6targetE1EEEvT1_
	.p2align	8
	.type	_ZN7rocprim17ROCPRIM_400000_NS6detail17trampoline_kernelINS0_14default_configENS1_35adjacent_difference_config_selectorILb0ElEEZNS1_24adjacent_difference_implIS3_Lb0ELb0EPlS7_ZN2at6native12_GLOBAL__N_124unique_dim_cuda_templateItEESt5tupleIJNS8_6TensorESD_SD_EERKSD_lbbbEUlllE1_EE10hipError_tPvRmT2_T3_mT4_P12ihipStream_tbEUlT_E_NS1_11comp_targetILNS1_3genE0ELNS1_11target_archE4294967295ELNS1_3gpuE0ELNS1_3repE0EEENS1_30default_config_static_selectorELNS0_4arch9wavefront6targetE1EEEvT1_,@function
_ZN7rocprim17ROCPRIM_400000_NS6detail17trampoline_kernelINS0_14default_configENS1_35adjacent_difference_config_selectorILb0ElEEZNS1_24adjacent_difference_implIS3_Lb0ELb0EPlS7_ZN2at6native12_GLOBAL__N_124unique_dim_cuda_templateItEESt5tupleIJNS8_6TensorESD_SD_EERKSD_lbbbEUlllE1_EE10hipError_tPvRmT2_T3_mT4_P12ihipStream_tbEUlT_E_NS1_11comp_targetILNS1_3genE0ELNS1_11target_archE4294967295ELNS1_3gpuE0ELNS1_3repE0EEENS1_30default_config_static_selectorELNS0_4arch9wavefront6targetE1EEEvT1_: ; @_ZN7rocprim17ROCPRIM_400000_NS6detail17trampoline_kernelINS0_14default_configENS1_35adjacent_difference_config_selectorILb0ElEEZNS1_24adjacent_difference_implIS3_Lb0ELb0EPlS7_ZN2at6native12_GLOBAL__N_124unique_dim_cuda_templateItEESt5tupleIJNS8_6TensorESD_SD_EERKSD_lbbbEUlllE1_EE10hipError_tPvRmT2_T3_mT4_P12ihipStream_tbEUlT_E_NS1_11comp_targetILNS1_3genE0ELNS1_11target_archE4294967295ELNS1_3gpuE0ELNS1_3repE0EEENS1_30default_config_static_selectorELNS0_4arch9wavefront6targetE1EEEvT1_
; %bb.0:
	.section	.rodata,"a",@progbits
	.p2align	6, 0x0
	.amdhsa_kernel _ZN7rocprim17ROCPRIM_400000_NS6detail17trampoline_kernelINS0_14default_configENS1_35adjacent_difference_config_selectorILb0ElEEZNS1_24adjacent_difference_implIS3_Lb0ELb0EPlS7_ZN2at6native12_GLOBAL__N_124unique_dim_cuda_templateItEESt5tupleIJNS8_6TensorESD_SD_EERKSD_lbbbEUlllE1_EE10hipError_tPvRmT2_T3_mT4_P12ihipStream_tbEUlT_E_NS1_11comp_targetILNS1_3genE0ELNS1_11target_archE4294967295ELNS1_3gpuE0ELNS1_3repE0EEENS1_30default_config_static_selectorELNS0_4arch9wavefront6targetE1EEEvT1_
		.amdhsa_group_segment_fixed_size 0
		.amdhsa_private_segment_fixed_size 0
		.amdhsa_kernarg_size 64
		.amdhsa_user_sgpr_count 2
		.amdhsa_user_sgpr_dispatch_ptr 0
		.amdhsa_user_sgpr_queue_ptr 0
		.amdhsa_user_sgpr_kernarg_segment_ptr 1
		.amdhsa_user_sgpr_dispatch_id 0
		.amdhsa_user_sgpr_kernarg_preload_length 0
		.amdhsa_user_sgpr_kernarg_preload_offset 0
		.amdhsa_user_sgpr_private_segment_size 0
		.amdhsa_uses_dynamic_stack 0
		.amdhsa_enable_private_segment 0
		.amdhsa_system_sgpr_workgroup_id_x 1
		.amdhsa_system_sgpr_workgroup_id_y 0
		.amdhsa_system_sgpr_workgroup_id_z 0
		.amdhsa_system_sgpr_workgroup_info 0
		.amdhsa_system_vgpr_workitem_id 0
		.amdhsa_next_free_vgpr 1
		.amdhsa_next_free_sgpr 0
		.amdhsa_accum_offset 4
		.amdhsa_reserve_vcc 0
		.amdhsa_float_round_mode_32 0
		.amdhsa_float_round_mode_16_64 0
		.amdhsa_float_denorm_mode_32 3
		.amdhsa_float_denorm_mode_16_64 3
		.amdhsa_dx10_clamp 1
		.amdhsa_ieee_mode 1
		.amdhsa_fp16_overflow 0
		.amdhsa_tg_split 0
		.amdhsa_exception_fp_ieee_invalid_op 0
		.amdhsa_exception_fp_denorm_src 0
		.amdhsa_exception_fp_ieee_div_zero 0
		.amdhsa_exception_fp_ieee_overflow 0
		.amdhsa_exception_fp_ieee_underflow 0
		.amdhsa_exception_fp_ieee_inexact 0
		.amdhsa_exception_int_div_zero 0
	.end_amdhsa_kernel
	.section	.text._ZN7rocprim17ROCPRIM_400000_NS6detail17trampoline_kernelINS0_14default_configENS1_35adjacent_difference_config_selectorILb0ElEEZNS1_24adjacent_difference_implIS3_Lb0ELb0EPlS7_ZN2at6native12_GLOBAL__N_124unique_dim_cuda_templateItEESt5tupleIJNS8_6TensorESD_SD_EERKSD_lbbbEUlllE1_EE10hipError_tPvRmT2_T3_mT4_P12ihipStream_tbEUlT_E_NS1_11comp_targetILNS1_3genE0ELNS1_11target_archE4294967295ELNS1_3gpuE0ELNS1_3repE0EEENS1_30default_config_static_selectorELNS0_4arch9wavefront6targetE1EEEvT1_,"axG",@progbits,_ZN7rocprim17ROCPRIM_400000_NS6detail17trampoline_kernelINS0_14default_configENS1_35adjacent_difference_config_selectorILb0ElEEZNS1_24adjacent_difference_implIS3_Lb0ELb0EPlS7_ZN2at6native12_GLOBAL__N_124unique_dim_cuda_templateItEESt5tupleIJNS8_6TensorESD_SD_EERKSD_lbbbEUlllE1_EE10hipError_tPvRmT2_T3_mT4_P12ihipStream_tbEUlT_E_NS1_11comp_targetILNS1_3genE0ELNS1_11target_archE4294967295ELNS1_3gpuE0ELNS1_3repE0EEENS1_30default_config_static_selectorELNS0_4arch9wavefront6targetE1EEEvT1_,comdat
.Lfunc_end1403:
	.size	_ZN7rocprim17ROCPRIM_400000_NS6detail17trampoline_kernelINS0_14default_configENS1_35adjacent_difference_config_selectorILb0ElEEZNS1_24adjacent_difference_implIS3_Lb0ELb0EPlS7_ZN2at6native12_GLOBAL__N_124unique_dim_cuda_templateItEESt5tupleIJNS8_6TensorESD_SD_EERKSD_lbbbEUlllE1_EE10hipError_tPvRmT2_T3_mT4_P12ihipStream_tbEUlT_E_NS1_11comp_targetILNS1_3genE0ELNS1_11target_archE4294967295ELNS1_3gpuE0ELNS1_3repE0EEENS1_30default_config_static_selectorELNS0_4arch9wavefront6targetE1EEEvT1_, .Lfunc_end1403-_ZN7rocprim17ROCPRIM_400000_NS6detail17trampoline_kernelINS0_14default_configENS1_35adjacent_difference_config_selectorILb0ElEEZNS1_24adjacent_difference_implIS3_Lb0ELb0EPlS7_ZN2at6native12_GLOBAL__N_124unique_dim_cuda_templateItEESt5tupleIJNS8_6TensorESD_SD_EERKSD_lbbbEUlllE1_EE10hipError_tPvRmT2_T3_mT4_P12ihipStream_tbEUlT_E_NS1_11comp_targetILNS1_3genE0ELNS1_11target_archE4294967295ELNS1_3gpuE0ELNS1_3repE0EEENS1_30default_config_static_selectorELNS0_4arch9wavefront6targetE1EEEvT1_
                                        ; -- End function
	.section	.AMDGPU.csdata,"",@progbits
; Kernel info:
; codeLenInByte = 0
; NumSgprs: 6
; NumVgprs: 0
; NumAgprs: 0
; TotalNumVgprs: 0
; ScratchSize: 0
; MemoryBound: 0
; FloatMode: 240
; IeeeMode: 1
; LDSByteSize: 0 bytes/workgroup (compile time only)
; SGPRBlocks: 0
; VGPRBlocks: 0
; NumSGPRsForWavesPerEU: 6
; NumVGPRsForWavesPerEU: 1
; AccumOffset: 4
; Occupancy: 8
; WaveLimiterHint : 0
; COMPUTE_PGM_RSRC2:SCRATCH_EN: 0
; COMPUTE_PGM_RSRC2:USER_SGPR: 2
; COMPUTE_PGM_RSRC2:TRAP_HANDLER: 0
; COMPUTE_PGM_RSRC2:TGID_X_EN: 1
; COMPUTE_PGM_RSRC2:TGID_Y_EN: 0
; COMPUTE_PGM_RSRC2:TGID_Z_EN: 0
; COMPUTE_PGM_RSRC2:TIDIG_COMP_CNT: 0
; COMPUTE_PGM_RSRC3_GFX90A:ACCUM_OFFSET: 0
; COMPUTE_PGM_RSRC3_GFX90A:TG_SPLIT: 0
	.section	.text._ZN7rocprim17ROCPRIM_400000_NS6detail17trampoline_kernelINS0_14default_configENS1_35adjacent_difference_config_selectorILb0ElEEZNS1_24adjacent_difference_implIS3_Lb0ELb0EPlS7_ZN2at6native12_GLOBAL__N_124unique_dim_cuda_templateItEESt5tupleIJNS8_6TensorESD_SD_EERKSD_lbbbEUlllE1_EE10hipError_tPvRmT2_T3_mT4_P12ihipStream_tbEUlT_E_NS1_11comp_targetILNS1_3genE10ELNS1_11target_archE1201ELNS1_3gpuE5ELNS1_3repE0EEENS1_30default_config_static_selectorELNS0_4arch9wavefront6targetE1EEEvT1_,"axG",@progbits,_ZN7rocprim17ROCPRIM_400000_NS6detail17trampoline_kernelINS0_14default_configENS1_35adjacent_difference_config_selectorILb0ElEEZNS1_24adjacent_difference_implIS3_Lb0ELb0EPlS7_ZN2at6native12_GLOBAL__N_124unique_dim_cuda_templateItEESt5tupleIJNS8_6TensorESD_SD_EERKSD_lbbbEUlllE1_EE10hipError_tPvRmT2_T3_mT4_P12ihipStream_tbEUlT_E_NS1_11comp_targetILNS1_3genE10ELNS1_11target_archE1201ELNS1_3gpuE5ELNS1_3repE0EEENS1_30default_config_static_selectorELNS0_4arch9wavefront6targetE1EEEvT1_,comdat
	.globl	_ZN7rocprim17ROCPRIM_400000_NS6detail17trampoline_kernelINS0_14default_configENS1_35adjacent_difference_config_selectorILb0ElEEZNS1_24adjacent_difference_implIS3_Lb0ELb0EPlS7_ZN2at6native12_GLOBAL__N_124unique_dim_cuda_templateItEESt5tupleIJNS8_6TensorESD_SD_EERKSD_lbbbEUlllE1_EE10hipError_tPvRmT2_T3_mT4_P12ihipStream_tbEUlT_E_NS1_11comp_targetILNS1_3genE10ELNS1_11target_archE1201ELNS1_3gpuE5ELNS1_3repE0EEENS1_30default_config_static_selectorELNS0_4arch9wavefront6targetE1EEEvT1_ ; -- Begin function _ZN7rocprim17ROCPRIM_400000_NS6detail17trampoline_kernelINS0_14default_configENS1_35adjacent_difference_config_selectorILb0ElEEZNS1_24adjacent_difference_implIS3_Lb0ELb0EPlS7_ZN2at6native12_GLOBAL__N_124unique_dim_cuda_templateItEESt5tupleIJNS8_6TensorESD_SD_EERKSD_lbbbEUlllE1_EE10hipError_tPvRmT2_T3_mT4_P12ihipStream_tbEUlT_E_NS1_11comp_targetILNS1_3genE10ELNS1_11target_archE1201ELNS1_3gpuE5ELNS1_3repE0EEENS1_30default_config_static_selectorELNS0_4arch9wavefront6targetE1EEEvT1_
	.p2align	8
	.type	_ZN7rocprim17ROCPRIM_400000_NS6detail17trampoline_kernelINS0_14default_configENS1_35adjacent_difference_config_selectorILb0ElEEZNS1_24adjacent_difference_implIS3_Lb0ELb0EPlS7_ZN2at6native12_GLOBAL__N_124unique_dim_cuda_templateItEESt5tupleIJNS8_6TensorESD_SD_EERKSD_lbbbEUlllE1_EE10hipError_tPvRmT2_T3_mT4_P12ihipStream_tbEUlT_E_NS1_11comp_targetILNS1_3genE10ELNS1_11target_archE1201ELNS1_3gpuE5ELNS1_3repE0EEENS1_30default_config_static_selectorELNS0_4arch9wavefront6targetE1EEEvT1_,@function
_ZN7rocprim17ROCPRIM_400000_NS6detail17trampoline_kernelINS0_14default_configENS1_35adjacent_difference_config_selectorILb0ElEEZNS1_24adjacent_difference_implIS3_Lb0ELb0EPlS7_ZN2at6native12_GLOBAL__N_124unique_dim_cuda_templateItEESt5tupleIJNS8_6TensorESD_SD_EERKSD_lbbbEUlllE1_EE10hipError_tPvRmT2_T3_mT4_P12ihipStream_tbEUlT_E_NS1_11comp_targetILNS1_3genE10ELNS1_11target_archE1201ELNS1_3gpuE5ELNS1_3repE0EEENS1_30default_config_static_selectorELNS0_4arch9wavefront6targetE1EEEvT1_: ; @_ZN7rocprim17ROCPRIM_400000_NS6detail17trampoline_kernelINS0_14default_configENS1_35adjacent_difference_config_selectorILb0ElEEZNS1_24adjacent_difference_implIS3_Lb0ELb0EPlS7_ZN2at6native12_GLOBAL__N_124unique_dim_cuda_templateItEESt5tupleIJNS8_6TensorESD_SD_EERKSD_lbbbEUlllE1_EE10hipError_tPvRmT2_T3_mT4_P12ihipStream_tbEUlT_E_NS1_11comp_targetILNS1_3genE10ELNS1_11target_archE1201ELNS1_3gpuE5ELNS1_3repE0EEENS1_30default_config_static_selectorELNS0_4arch9wavefront6targetE1EEEvT1_
; %bb.0:
	.section	.rodata,"a",@progbits
	.p2align	6, 0x0
	.amdhsa_kernel _ZN7rocprim17ROCPRIM_400000_NS6detail17trampoline_kernelINS0_14default_configENS1_35adjacent_difference_config_selectorILb0ElEEZNS1_24adjacent_difference_implIS3_Lb0ELb0EPlS7_ZN2at6native12_GLOBAL__N_124unique_dim_cuda_templateItEESt5tupleIJNS8_6TensorESD_SD_EERKSD_lbbbEUlllE1_EE10hipError_tPvRmT2_T3_mT4_P12ihipStream_tbEUlT_E_NS1_11comp_targetILNS1_3genE10ELNS1_11target_archE1201ELNS1_3gpuE5ELNS1_3repE0EEENS1_30default_config_static_selectorELNS0_4arch9wavefront6targetE1EEEvT1_
		.amdhsa_group_segment_fixed_size 0
		.amdhsa_private_segment_fixed_size 0
		.amdhsa_kernarg_size 64
		.amdhsa_user_sgpr_count 2
		.amdhsa_user_sgpr_dispatch_ptr 0
		.amdhsa_user_sgpr_queue_ptr 0
		.amdhsa_user_sgpr_kernarg_segment_ptr 1
		.amdhsa_user_sgpr_dispatch_id 0
		.amdhsa_user_sgpr_kernarg_preload_length 0
		.amdhsa_user_sgpr_kernarg_preload_offset 0
		.amdhsa_user_sgpr_private_segment_size 0
		.amdhsa_uses_dynamic_stack 0
		.amdhsa_enable_private_segment 0
		.amdhsa_system_sgpr_workgroup_id_x 1
		.amdhsa_system_sgpr_workgroup_id_y 0
		.amdhsa_system_sgpr_workgroup_id_z 0
		.amdhsa_system_sgpr_workgroup_info 0
		.amdhsa_system_vgpr_workitem_id 0
		.amdhsa_next_free_vgpr 1
		.amdhsa_next_free_sgpr 0
		.amdhsa_accum_offset 4
		.amdhsa_reserve_vcc 0
		.amdhsa_float_round_mode_32 0
		.amdhsa_float_round_mode_16_64 0
		.amdhsa_float_denorm_mode_32 3
		.amdhsa_float_denorm_mode_16_64 3
		.amdhsa_dx10_clamp 1
		.amdhsa_ieee_mode 1
		.amdhsa_fp16_overflow 0
		.amdhsa_tg_split 0
		.amdhsa_exception_fp_ieee_invalid_op 0
		.amdhsa_exception_fp_denorm_src 0
		.amdhsa_exception_fp_ieee_div_zero 0
		.amdhsa_exception_fp_ieee_overflow 0
		.amdhsa_exception_fp_ieee_underflow 0
		.amdhsa_exception_fp_ieee_inexact 0
		.amdhsa_exception_int_div_zero 0
	.end_amdhsa_kernel
	.section	.text._ZN7rocprim17ROCPRIM_400000_NS6detail17trampoline_kernelINS0_14default_configENS1_35adjacent_difference_config_selectorILb0ElEEZNS1_24adjacent_difference_implIS3_Lb0ELb0EPlS7_ZN2at6native12_GLOBAL__N_124unique_dim_cuda_templateItEESt5tupleIJNS8_6TensorESD_SD_EERKSD_lbbbEUlllE1_EE10hipError_tPvRmT2_T3_mT4_P12ihipStream_tbEUlT_E_NS1_11comp_targetILNS1_3genE10ELNS1_11target_archE1201ELNS1_3gpuE5ELNS1_3repE0EEENS1_30default_config_static_selectorELNS0_4arch9wavefront6targetE1EEEvT1_,"axG",@progbits,_ZN7rocprim17ROCPRIM_400000_NS6detail17trampoline_kernelINS0_14default_configENS1_35adjacent_difference_config_selectorILb0ElEEZNS1_24adjacent_difference_implIS3_Lb0ELb0EPlS7_ZN2at6native12_GLOBAL__N_124unique_dim_cuda_templateItEESt5tupleIJNS8_6TensorESD_SD_EERKSD_lbbbEUlllE1_EE10hipError_tPvRmT2_T3_mT4_P12ihipStream_tbEUlT_E_NS1_11comp_targetILNS1_3genE10ELNS1_11target_archE1201ELNS1_3gpuE5ELNS1_3repE0EEENS1_30default_config_static_selectorELNS0_4arch9wavefront6targetE1EEEvT1_,comdat
.Lfunc_end1404:
	.size	_ZN7rocprim17ROCPRIM_400000_NS6detail17trampoline_kernelINS0_14default_configENS1_35adjacent_difference_config_selectorILb0ElEEZNS1_24adjacent_difference_implIS3_Lb0ELb0EPlS7_ZN2at6native12_GLOBAL__N_124unique_dim_cuda_templateItEESt5tupleIJNS8_6TensorESD_SD_EERKSD_lbbbEUlllE1_EE10hipError_tPvRmT2_T3_mT4_P12ihipStream_tbEUlT_E_NS1_11comp_targetILNS1_3genE10ELNS1_11target_archE1201ELNS1_3gpuE5ELNS1_3repE0EEENS1_30default_config_static_selectorELNS0_4arch9wavefront6targetE1EEEvT1_, .Lfunc_end1404-_ZN7rocprim17ROCPRIM_400000_NS6detail17trampoline_kernelINS0_14default_configENS1_35adjacent_difference_config_selectorILb0ElEEZNS1_24adjacent_difference_implIS3_Lb0ELb0EPlS7_ZN2at6native12_GLOBAL__N_124unique_dim_cuda_templateItEESt5tupleIJNS8_6TensorESD_SD_EERKSD_lbbbEUlllE1_EE10hipError_tPvRmT2_T3_mT4_P12ihipStream_tbEUlT_E_NS1_11comp_targetILNS1_3genE10ELNS1_11target_archE1201ELNS1_3gpuE5ELNS1_3repE0EEENS1_30default_config_static_selectorELNS0_4arch9wavefront6targetE1EEEvT1_
                                        ; -- End function
	.section	.AMDGPU.csdata,"",@progbits
; Kernel info:
; codeLenInByte = 0
; NumSgprs: 6
; NumVgprs: 0
; NumAgprs: 0
; TotalNumVgprs: 0
; ScratchSize: 0
; MemoryBound: 0
; FloatMode: 240
; IeeeMode: 1
; LDSByteSize: 0 bytes/workgroup (compile time only)
; SGPRBlocks: 0
; VGPRBlocks: 0
; NumSGPRsForWavesPerEU: 6
; NumVGPRsForWavesPerEU: 1
; AccumOffset: 4
; Occupancy: 8
; WaveLimiterHint : 0
; COMPUTE_PGM_RSRC2:SCRATCH_EN: 0
; COMPUTE_PGM_RSRC2:USER_SGPR: 2
; COMPUTE_PGM_RSRC2:TRAP_HANDLER: 0
; COMPUTE_PGM_RSRC2:TGID_X_EN: 1
; COMPUTE_PGM_RSRC2:TGID_Y_EN: 0
; COMPUTE_PGM_RSRC2:TGID_Z_EN: 0
; COMPUTE_PGM_RSRC2:TIDIG_COMP_CNT: 0
; COMPUTE_PGM_RSRC3_GFX90A:ACCUM_OFFSET: 0
; COMPUTE_PGM_RSRC3_GFX90A:TG_SPLIT: 0
	.section	.text._ZN7rocprim17ROCPRIM_400000_NS6detail17trampoline_kernelINS0_14default_configENS1_35adjacent_difference_config_selectorILb0ElEEZNS1_24adjacent_difference_implIS3_Lb0ELb0EPlS7_ZN2at6native12_GLOBAL__N_124unique_dim_cuda_templateItEESt5tupleIJNS8_6TensorESD_SD_EERKSD_lbbbEUlllE1_EE10hipError_tPvRmT2_T3_mT4_P12ihipStream_tbEUlT_E_NS1_11comp_targetILNS1_3genE5ELNS1_11target_archE942ELNS1_3gpuE9ELNS1_3repE0EEENS1_30default_config_static_selectorELNS0_4arch9wavefront6targetE1EEEvT1_,"axG",@progbits,_ZN7rocprim17ROCPRIM_400000_NS6detail17trampoline_kernelINS0_14default_configENS1_35adjacent_difference_config_selectorILb0ElEEZNS1_24adjacent_difference_implIS3_Lb0ELb0EPlS7_ZN2at6native12_GLOBAL__N_124unique_dim_cuda_templateItEESt5tupleIJNS8_6TensorESD_SD_EERKSD_lbbbEUlllE1_EE10hipError_tPvRmT2_T3_mT4_P12ihipStream_tbEUlT_E_NS1_11comp_targetILNS1_3genE5ELNS1_11target_archE942ELNS1_3gpuE9ELNS1_3repE0EEENS1_30default_config_static_selectorELNS0_4arch9wavefront6targetE1EEEvT1_,comdat
	.globl	_ZN7rocprim17ROCPRIM_400000_NS6detail17trampoline_kernelINS0_14default_configENS1_35adjacent_difference_config_selectorILb0ElEEZNS1_24adjacent_difference_implIS3_Lb0ELb0EPlS7_ZN2at6native12_GLOBAL__N_124unique_dim_cuda_templateItEESt5tupleIJNS8_6TensorESD_SD_EERKSD_lbbbEUlllE1_EE10hipError_tPvRmT2_T3_mT4_P12ihipStream_tbEUlT_E_NS1_11comp_targetILNS1_3genE5ELNS1_11target_archE942ELNS1_3gpuE9ELNS1_3repE0EEENS1_30default_config_static_selectorELNS0_4arch9wavefront6targetE1EEEvT1_ ; -- Begin function _ZN7rocprim17ROCPRIM_400000_NS6detail17trampoline_kernelINS0_14default_configENS1_35adjacent_difference_config_selectorILb0ElEEZNS1_24adjacent_difference_implIS3_Lb0ELb0EPlS7_ZN2at6native12_GLOBAL__N_124unique_dim_cuda_templateItEESt5tupleIJNS8_6TensorESD_SD_EERKSD_lbbbEUlllE1_EE10hipError_tPvRmT2_T3_mT4_P12ihipStream_tbEUlT_E_NS1_11comp_targetILNS1_3genE5ELNS1_11target_archE942ELNS1_3gpuE9ELNS1_3repE0EEENS1_30default_config_static_selectorELNS0_4arch9wavefront6targetE1EEEvT1_
	.p2align	8
	.type	_ZN7rocprim17ROCPRIM_400000_NS6detail17trampoline_kernelINS0_14default_configENS1_35adjacent_difference_config_selectorILb0ElEEZNS1_24adjacent_difference_implIS3_Lb0ELb0EPlS7_ZN2at6native12_GLOBAL__N_124unique_dim_cuda_templateItEESt5tupleIJNS8_6TensorESD_SD_EERKSD_lbbbEUlllE1_EE10hipError_tPvRmT2_T3_mT4_P12ihipStream_tbEUlT_E_NS1_11comp_targetILNS1_3genE5ELNS1_11target_archE942ELNS1_3gpuE9ELNS1_3repE0EEENS1_30default_config_static_selectorELNS0_4arch9wavefront6targetE1EEEvT1_,@function
_ZN7rocprim17ROCPRIM_400000_NS6detail17trampoline_kernelINS0_14default_configENS1_35adjacent_difference_config_selectorILb0ElEEZNS1_24adjacent_difference_implIS3_Lb0ELb0EPlS7_ZN2at6native12_GLOBAL__N_124unique_dim_cuda_templateItEESt5tupleIJNS8_6TensorESD_SD_EERKSD_lbbbEUlllE1_EE10hipError_tPvRmT2_T3_mT4_P12ihipStream_tbEUlT_E_NS1_11comp_targetILNS1_3genE5ELNS1_11target_archE942ELNS1_3gpuE9ELNS1_3repE0EEENS1_30default_config_static_selectorELNS0_4arch9wavefront6targetE1EEEvT1_: ; @_ZN7rocprim17ROCPRIM_400000_NS6detail17trampoline_kernelINS0_14default_configENS1_35adjacent_difference_config_selectorILb0ElEEZNS1_24adjacent_difference_implIS3_Lb0ELb0EPlS7_ZN2at6native12_GLOBAL__N_124unique_dim_cuda_templateItEESt5tupleIJNS8_6TensorESD_SD_EERKSD_lbbbEUlllE1_EE10hipError_tPvRmT2_T3_mT4_P12ihipStream_tbEUlT_E_NS1_11comp_targetILNS1_3genE5ELNS1_11target_archE942ELNS1_3gpuE9ELNS1_3repE0EEENS1_30default_config_static_selectorELNS0_4arch9wavefront6targetE1EEEvT1_
; %bb.0:
	s_load_dwordx8 s[4:11], s[0:1], 0x0
	s_load_dwordx4 s[12:15], s[0:1], 0x20
	s_load_dwordx2 s[18:19], s[0:1], 0x38
	s_mov_b32 s1, 0xcec4e8e0
	v_bfrev_b32_e32 v1, 1
	s_waitcnt lgkmcnt(0)
	s_lshl_b64 s[16:17], s[6:7], 3
	s_add_u32 s24, s4, s16
	s_addc_u32 s25, s5, s17
	s_add_u32 s1, 0x150, s1
	s_addc_u32 s3, 0, 0
	v_add_co_u32_e32 v1, vcc, s1, v1
	s_cmp_lg_u64 vcc, 0
	v_readfirstlane_b32 s4, v1
	s_addc_u32 s1, s3, 0x4ec4eb
	s_mul_hi_u32 s5, s4, 0xfffffcc0
	s_mul_i32 s3, s1, 0xfffffcc0
	s_sub_i32 s5, s5, s4
	s_add_i32 s5, s5, s3
	s_mul_i32 s21, s4, 0xfffffcc0
	s_mul_hi_u32 s3, s4, s5
	s_mul_i32 s20, s4, s5
	s_mul_hi_u32 s4, s4, s21
	s_add_u32 s4, s4, s20
	s_addc_u32 s3, 0, s3
	s_mul_hi_u32 s22, s1, s21
	s_mul_i32 s21, s1, s21
	s_add_u32 s4, s4, s21
	s_mul_hi_u32 s20, s1, s5
	s_addc_u32 s3, s3, s22
	s_addc_u32 s4, s20, 0
	s_mul_i32 s5, s1, s5
	s_add_u32 s3, s3, s5
	s_addc_u32 s4, 0, s4
	v_add_co_u32_e32 v1, vcc, s3, v1
	s_cmp_lg_u64 vcc, 0
	s_addc_u32 s1, s1, s4
	v_readfirstlane_b32 s5, v1
	s_mul_i32 s4, s10, s1
	s_mul_hi_u32 s20, s10, s5
	s_mul_hi_u32 s3, s10, s1
	s_add_u32 s4, s20, s4
	s_addc_u32 s3, 0, s3
	s_mul_hi_u32 s21, s11, s5
	s_mul_i32 s5, s11, s5
	s_add_u32 s4, s4, s5
	s_mul_hi_u32 s20, s11, s1
	s_addc_u32 s3, s3, s21
	s_addc_u32 s4, s20, 0
	s_mul_i32 s1, s11, s1
	s_add_u32 s1, s3, s1
	s_addc_u32 s3, 0, s4
	s_add_u32 s4, s1, 1
	s_addc_u32 s5, s3, 0
	s_add_u32 s20, s1, 2
	s_mul_i32 s22, s3, 0x340
	s_mul_hi_u32 s23, s1, 0x340
	s_addc_u32 s21, s3, 0
	s_add_i32 s23, s23, s22
	s_mul_i32 s22, s1, 0x340
	v_mov_b32_e32 v1, s22
	v_sub_co_u32_e32 v1, vcc, s10, v1
	s_movk_i32 s0, 0x340
	s_cmp_lg_u64 vcc, 0
	s_subb_u32 s22, s11, s23
	v_subrev_co_u32_e32 v2, vcc, s0, v1
	s_cmp_lg_u64 vcc, 0
	s_subb_u32 s0, s22, 0
	v_readfirstlane_b32 s23, v2
	s_cmpk_gt_u32 s23, 0x33f
	s_cselect_b32 s23, -1, 0
	s_cmp_eq_u32 s0, 0
	s_cselect_b32 s0, s23, -1
	s_cmp_lg_u32 s0, 0
	s_cselect_b32 s0, s20, s4
	s_cselect_b32 s4, s21, s5
	v_readfirstlane_b32 s5, v1
	s_cmpk_gt_u32 s5, 0x33f
	s_cselect_b32 s5, -1, 0
	s_cmp_eq_u32 s22, 0
	s_cselect_b32 s5, s5, -1
	s_cmp_lg_u32 s5, 0
	s_cselect_b32 s3, s4, s3
	s_cselect_b32 s4, s0, s1
	s_mul_i32 s0, s3, 0x340
	s_mul_hi_u32 s1, s4, 0x340
	s_add_i32 s1, s1, s0
	s_mul_i32 s0, s4, 0x340
	s_sub_u32 s0, s10, s0
	s_subb_u32 s1, s11, s1
	s_cmp_lg_u64 s[0:1], 0
	s_cselect_b64 s[0:1], -1, 0
	v_cndmask_b32_e64 v1, 0, 1, s[0:1]
	s_mul_i32 s6, s2, 0x340
	v_readfirstlane_b32 s0, v1
	s_add_u32 s4, s4, s0
	s_addc_u32 s5, s3, 0
	s_add_u32 s22, s18, s2
	s_addc_u32 s23, s19, 0
	s_add_u32 s2, s4, -1
	s_addc_u32 s3, s5, -1
	v_mov_b64_e32 v[2:3], s[2:3]
	v_cmp_ge_u64_e64 s[0:1], s[22:23], v[2:3]
	s_mov_b32 s7, 0
	s_mov_b64 s[18:19], -1
	s_and_b64 vcc, exec, s[0:1]
	s_mul_i32 s11, s2, 0xfffffcc0
	s_cbranch_vccz .LBB1405_28
; %bb.1:
	s_add_i32 s26, s11, s10
	s_lshl_b64 s[18:19], s[6:7], 3
	s_add_u32 s18, s24, s18
	s_addc_u32 s19, s25, s19
	v_cmp_gt_u32_e32 vcc, s26, v0
                                        ; implicit-def: $vgpr2_vgpr3_vgpr4_vgpr5_vgpr6_vgpr7_vgpr8_vgpr9_vgpr10_vgpr11_vgpr12_vgpr13_vgpr14_vgpr15_vgpr16_vgpr17_vgpr18_vgpr19_vgpr20_vgpr21_vgpr22_vgpr23_vgpr24_vgpr25_vgpr26_vgpr27_vgpr28_vgpr29_vgpr30_vgpr31_vgpr32_vgpr33
	s_and_saveexec_b64 s[20:21], vcc
	s_cbranch_execz .LBB1405_3
; %bb.2:
	v_lshlrev_b32_e32 v1, 3, v0
	global_load_dwordx2 v[2:3], v1, s[18:19]
.LBB1405_3:
	s_or_b64 exec, exec, s[20:21]
	v_or_b32_e32 v1, 64, v0
	v_cmp_gt_u32_e32 vcc, s26, v1
	s_and_saveexec_b64 s[20:21], vcc
	s_cbranch_execz .LBB1405_5
; %bb.4:
	v_lshlrev_b32_e32 v1, 3, v0
	global_load_dwordx2 v[4:5], v1, s[18:19] offset:512
.LBB1405_5:
	s_or_b64 exec, exec, s[20:21]
	v_or_b32_e32 v1, 0x80, v0
	v_cmp_gt_u32_e32 vcc, s26, v1
	s_and_saveexec_b64 s[20:21], vcc
	s_cbranch_execz .LBB1405_7
; %bb.6:
	v_lshlrev_b32_e32 v1, 3, v0
	global_load_dwordx2 v[6:7], v1, s[18:19] offset:1024
.LBB1405_7:
	;; [unrolled: 9-line block ×7, first 2 shown]
	s_or_b64 exec, exec, s[20:21]
	v_or_b32_e32 v1, 0x200, v0
	v_cmp_gt_u32_e32 vcc, s26, v1
	s_and_saveexec_b64 s[20:21], vcc
	s_cbranch_execz .LBB1405_19
; %bb.18:
	v_lshlrev_b32_e32 v1, 3, v1
	global_load_dwordx2 v[18:19], v1, s[18:19]
.LBB1405_19:
	s_or_b64 exec, exec, s[20:21]
	v_or_b32_e32 v1, 0x240, v0
	v_cmp_gt_u32_e32 vcc, s26, v1
	s_and_saveexec_b64 s[20:21], vcc
	s_cbranch_execz .LBB1405_21
; %bb.20:
	v_lshlrev_b32_e32 v1, 3, v1
	global_load_dwordx2 v[20:21], v1, s[18:19]
.LBB1405_21:
	;; [unrolled: 9-line block ×5, first 2 shown]
	s_or_b64 exec, exec, s[20:21]
	v_lshlrev_b32_e32 v1, 3, v0
	s_mov_b64 s[18:19], 0
	s_waitcnt vmcnt(0)
	ds_write2st64_b64 v1, v[2:3], v[4:5] offset1:1
	ds_write2st64_b64 v1, v[6:7], v[8:9] offset0:2 offset1:3
	ds_write2st64_b64 v1, v[10:11], v[12:13] offset0:4 offset1:5
	;; [unrolled: 1-line block ×5, first 2 shown]
	ds_write_b64 v1, v[26:27] offset:6144
	s_waitcnt lgkmcnt(0)
	; wave barrier
.LBB1405_28:
	s_and_b64 vcc, exec, s[18:19]
	v_lshlrev_b32_e32 v48, 3, v0
	s_cbranch_vccz .LBB1405_30
; %bb.29:
	s_lshl_b64 s[18:19], s[6:7], 3
	s_add_u32 s18, s24, s18
	s_addc_u32 s19, s25, s19
	v_mov_b32_e32 v49, 0
	v_lshl_add_u64 v[2:3], s[18:19], 0, v[48:49]
	s_movk_i32 s7, 0x1000
	v_add_co_u32_e32 v2, vcc, s7, v2
	global_load_dwordx2 v[4:5], v48, s[18:19]
	global_load_dwordx2 v[6:7], v48, s[18:19] offset:512
	global_load_dwordx2 v[8:9], v48, s[18:19] offset:1024
	;; [unrolled: 1-line block ×7, first 2 shown]
	v_addc_co_u32_e32 v3, vcc, 0, v3, vcc
	global_load_dwordx2 v[20:21], v[2:3], off
	global_load_dwordx2 v[22:23], v[2:3], off offset:512
	global_load_dwordx2 v[24:25], v[2:3], off offset:1024
	global_load_dwordx2 v[26:27], v[2:3], off offset:1536
	global_load_dwordx2 v[28:29], v[2:3], off offset:2048
	s_waitcnt vmcnt(11)
	ds_write2st64_b64 v48, v[4:5], v[6:7] offset1:1
	s_waitcnt vmcnt(9)
	ds_write2st64_b64 v48, v[8:9], v[10:11] offset0:2 offset1:3
	s_waitcnt vmcnt(7)
	ds_write2st64_b64 v48, v[12:13], v[14:15] offset0:4 offset1:5
	;; [unrolled: 2-line block ×5, first 2 shown]
	s_waitcnt vmcnt(0)
	ds_write_b64 v48, v[28:29] offset:6144
	s_waitcnt lgkmcnt(0)
	; wave barrier
.LBB1405_30:
	v_mul_u32_u24_e32 v1, 13, v0
	v_lshlrev_b32_e32 v1, 3, v1
	s_waitcnt lgkmcnt(0)
	ds_read2_b64 v[2:5], v1 offset1:1
	ds_read2_b64 v[6:9], v1 offset0:2 offset1:3
	ds_read2_b64 v[10:13], v1 offset0:4 offset1:5
	;; [unrolled: 1-line block ×5, first 2 shown]
	ds_read_b64 v[44:45], v1 offset:96
	s_cmp_eq_u64 s[22:23], 0
	s_mov_b64 s[18:19], 0
	s_waitcnt lgkmcnt(0)
	; wave barrier
	s_waitcnt lgkmcnt(0)
	s_cbranch_scc1 .LBB1405_39
; %bb.31:
	s_mov_b32 s7, 0
	s_lshl_b64 s[20:21], s[6:7], 3
	s_add_u32 s7, s24, s20
	s_addc_u32 s21, s25, s21
	s_add_u32 s20, s7, -8
	s_addc_u32 s21, s21, -1
	s_load_dwordx2 s[20:21], s[20:21], 0x0
	s_cmp_lg_u64 s[22:23], s[2:3]
	s_cbranch_scc0 .LBB1405_40
; %bb.32:
	v_mul_lo_u32 v1, v25, s12
	v_mul_lo_u32 v28, v24, s13
	v_mad_u64_u32 v[26:27], s[24:25], v24, s12, 0
	v_mov_b64_e32 v[46:47], 0
	v_cmp_lt_i64_e64 s[2:3], s[12:13], 1
	v_add3_u32 v27, v27, v28, v1
	v_cmp_gt_i64_e64 s[18:19], s[12:13], 0
	s_and_b64 vcc, exec, s[2:3]
	v_lshl_add_u64 v[26:27], v[26:27], 1, s[14:15]
	v_mov_b64_e32 v[50:51], v[46:47]
	ds_write_b64 v48, v[44:45]
	s_cbranch_vccnz .LBB1405_44
; %bb.33:
	v_mul_lo_u32 v1, v45, s12
	v_mul_lo_u32 v30, v44, s13
	v_mad_u64_u32 v[28:29], s[2:3], v44, s12, 0
	v_add3_u32 v29, v29, v30, v1
	v_lshl_add_u64 v[30:31], v[28:29], 1, s[14:15]
	global_load_ushort v1, v[30:31], off
	global_load_ushort v28, v[26:27], off
	v_mov_b64_e32 v[50:51], 1
	s_waitcnt vmcnt(0)
	v_cmp_eq_u16_e32 vcc, v1, v28
	s_and_saveexec_b64 s[2:3], vcc
	s_cbranch_execz .LBB1405_43
; %bb.34:
	s_add_u32 s24, s12, -1
	v_lshl_add_u64 v[28:29], v[26:27], 0, 2
	v_lshl_add_u64 v[30:31], v[30:31], 0, 2
	s_addc_u32 s25, s13, -1
	s_mov_b64 s[26:27], 0
	s_mov_b64 s[30:31], 0
                                        ; implicit-def: $sgpr28_sgpr29
	s_branch .LBB1405_37
.LBB1405_35:                            ;   in Loop: Header=BB1405_37 Depth=1
	global_load_ushort v1, v[30:31], off
	global_load_ushort v32, v[28:29], off
	s_add_u32 s30, s30, 1
	s_addc_u32 s31, s31, 0
	s_andn2_b64 s[28:29], s[28:29], exec
	v_lshl_add_u64 v[28:29], v[28:29], 0, 2
	v_lshl_add_u64 v[30:31], v[30:31], 0, 2
	s_waitcnt vmcnt(0)
	v_cmp_ne_u16_e32 vcc, v1, v32
	s_and_b64 s[34:35], vcc, exec
	s_or_b64 s[28:29], s[28:29], s[34:35]
.LBB1405_36:                            ;   in Loop: Header=BB1405_37 Depth=1
	s_and_b64 s[34:35], exec, s[28:29]
	s_or_b64 s[26:27], s[34:35], s[26:27]
	v_mov_b64_e32 v[32:33], s[30:31]
	s_andn2_b64 exec, exec, s[26:27]
	s_cbranch_execz .LBB1405_42
.LBB1405_37:                            ; =>This Inner Loop Header: Depth=1
	s_or_b64 s[28:29], s[28:29], exec
	s_cmp_eq_u64 s[24:25], s[30:31]
	s_cbranch_scc0 .LBB1405_35
; %bb.38:                               ;   in Loop: Header=BB1405_37 Depth=1
                                        ; implicit-def: $vgpr28_vgpr29
                                        ; implicit-def: $vgpr30_vgpr31
	s_mov_b64 s[30:31], s[12:13]
	s_branch .LBB1405_36
.LBB1405_39:
                                        ; implicit-def: $vgpr26_vgpr27_vgpr28_vgpr29
                                        ; implicit-def: $sgpr24_sgpr25
                                        ; implicit-def: $vgpr50_vgpr51
                                        ; implicit-def: $vgpr52_vgpr53
                                        ; implicit-def: $vgpr46_vgpr47
                                        ; implicit-def: $vgpr70_vgpr71
                                        ; implicit-def: $vgpr68_vgpr69
                                        ; implicit-def: $vgpr66_vgpr67
                                        ; implicit-def: $vgpr64_vgpr65
                                        ; implicit-def: $vgpr62_vgpr63
                                        ; implicit-def: $vgpr60_vgpr61
                                        ; implicit-def: $vgpr58_vgpr59
                                        ; implicit-def: $vgpr56_vgpr57
                                        ; implicit-def: $vgpr54_vgpr55
                                        ; implicit-def: $vgpr72_vgpr73
                                        ; implicit-def: $vgpr82_vgpr83
                                        ; implicit-def: $vgpr74_vgpr75
                                        ; implicit-def: $vgpr76_vgpr77
                                        ; implicit-def: $vgpr78_vgpr79
                                        ; implicit-def: $vgpr80_vgpr81
                                        ; implicit-def: $vgpr28_vgpr29_vgpr30_vgpr31
                                        ; implicit-def: $vgpr32_vgpr33_vgpr34_vgpr35
                                        ; implicit-def: $vgpr36_vgpr37_vgpr38_vgpr39
                                        ; implicit-def: $vgpr40_vgpr41_vgpr42_vgpr43
	s_cbranch_execnz .LBB1405_303
	s_branch .LBB1405_572
.LBB1405_40:
                                        ; implicit-def: $sgpr24_sgpr25
                                        ; implicit-def: $vgpr50_vgpr51
                                        ; implicit-def: $vgpr52_vgpr53
                                        ; implicit-def: $vgpr46_vgpr47
                                        ; implicit-def: $vgpr70_vgpr71
                                        ; implicit-def: $vgpr68_vgpr69
                                        ; implicit-def: $vgpr66_vgpr67
                                        ; implicit-def: $vgpr64_vgpr65
                                        ; implicit-def: $vgpr62_vgpr63
                                        ; implicit-def: $vgpr60_vgpr61
                                        ; implicit-def: $vgpr58_vgpr59
                                        ; implicit-def: $vgpr56_vgpr57
                                        ; implicit-def: $vgpr54_vgpr55
	s_cbranch_execnz .LBB1405_156
.LBB1405_41:
                                        ; implicit-def: $vgpr26_vgpr27_vgpr28_vgpr29
                                        ; implicit-def: $vgpr72_vgpr73
                                        ; implicit-def: $vgpr82_vgpr83
                                        ; implicit-def: $vgpr74_vgpr75
                                        ; implicit-def: $vgpr76_vgpr77
                                        ; implicit-def: $vgpr78_vgpr79
                                        ; implicit-def: $vgpr80_vgpr81
                                        ; implicit-def: $vgpr32_vgpr33_vgpr34_vgpr35
                                        ; implicit-def: $vgpr36_vgpr37_vgpr38_vgpr39
                                        ; implicit-def: $vgpr40_vgpr41_vgpr42_vgpr43
                                        ; implicit-def: $vgpr28_vgpr29_vgpr30_vgpr31
	s_branch .LBB1405_572
.LBB1405_42:
	s_or_b64 exec, exec, s[26:27]
	v_cmp_gt_i64_e32 vcc, s[12:13], v[32:33]
	s_mov_b32 s7, 0
	v_mov_b32_e32 v51, s7
	v_cndmask_b32_e64 v50, 0, 1, vcc
.LBB1405_43:
	s_or_b64 exec, exec, s[2:3]
.LBB1405_44:
	v_mul_lo_u32 v1, v23, s12
	v_mul_lo_u32 v30, v22, s13
	v_mad_u64_u32 v[28:29], s[2:3], v22, s12, 0
	v_add3_u32 v29, v29, v30, v1
	v_cndmask_b32_e64 v1, 0, 1, s[18:19]
	v_cmp_ne_u32_e64 s[2:3], 1, v1
	s_andn2_b64 vcc, exec, s[18:19]
	v_lshl_add_u64 v[28:29], v[28:29], 1, s[14:15]
	v_mov_b64_e32 v[52:53], v[46:47]
	s_cbranch_vccnz .LBB1405_53
; %bb.45:
	global_load_ushort v1, v[26:27], off
	global_load_ushort v30, v[28:29], off
	v_mov_b64_e32 v[52:53], 1
	s_waitcnt vmcnt(0)
	v_cmp_eq_u16_e32 vcc, v1, v30
	s_and_saveexec_b64 s[18:19], vcc
	s_cbranch_execz .LBB1405_52
; %bb.46:
	s_add_u32 s24, s12, -1
	v_lshl_add_u64 v[30:31], v[28:29], 0, 2
	v_lshl_add_u64 v[26:27], v[26:27], 0, 2
	s_addc_u32 s25, s13, -1
	s_mov_b64 s[26:27], 0
	s_mov_b64 s[30:31], 0
                                        ; implicit-def: $sgpr28_sgpr29
	s_branch .LBB1405_49
.LBB1405_47:                            ;   in Loop: Header=BB1405_49 Depth=1
	global_load_ushort v1, v[26:27], off
	global_load_ushort v32, v[30:31], off
	s_add_u32 s30, s30, 1
	s_addc_u32 s31, s31, 0
	s_andn2_b64 s[28:29], s[28:29], exec
	v_lshl_add_u64 v[30:31], v[30:31], 0, 2
	v_lshl_add_u64 v[26:27], v[26:27], 0, 2
	s_waitcnt vmcnt(0)
	v_cmp_ne_u16_e32 vcc, v1, v32
	s_and_b64 s[34:35], vcc, exec
	s_or_b64 s[28:29], s[28:29], s[34:35]
.LBB1405_48:                            ;   in Loop: Header=BB1405_49 Depth=1
	s_and_b64 s[34:35], exec, s[28:29]
	s_or_b64 s[26:27], s[34:35], s[26:27]
	v_mov_b64_e32 v[32:33], s[30:31]
	s_andn2_b64 exec, exec, s[26:27]
	s_cbranch_execz .LBB1405_51
.LBB1405_49:                            ; =>This Inner Loop Header: Depth=1
	s_or_b64 s[28:29], s[28:29], exec
	s_cmp_eq_u64 s[24:25], s[30:31]
	s_cbranch_scc0 .LBB1405_47
; %bb.50:                               ;   in Loop: Header=BB1405_49 Depth=1
                                        ; implicit-def: $vgpr30_vgpr31
                                        ; implicit-def: $vgpr26_vgpr27
	s_mov_b64 s[30:31], s[12:13]
	s_branch .LBB1405_48
.LBB1405_51:
	s_or_b64 exec, exec, s[26:27]
	v_cmp_gt_i64_e32 vcc, s[12:13], v[32:33]
	s_mov_b32 s7, 0
	v_mov_b32_e32 v53, s7
	v_cndmask_b32_e64 v52, 0, 1, vcc
.LBB1405_52:
	s_or_b64 exec, exec, s[18:19]
.LBB1405_53:
	v_mul_lo_u32 v1, v21, s12
	v_mul_lo_u32 v30, v20, s13
	v_mad_u64_u32 v[26:27], s[18:19], v20, s12, 0
	v_add3_u32 v27, v27, v30, v1
	s_and_b64 vcc, exec, s[2:3]
	v_lshl_add_u64 v[26:27], v[26:27], 1, s[14:15]
	s_cbranch_vccnz .LBB1405_62
; %bb.54:
	global_load_ushort v1, v[28:29], off
	global_load_ushort v30, v[26:27], off
	v_mov_b64_e32 v[46:47], 1
	s_waitcnt vmcnt(0)
	v_cmp_eq_u16_e32 vcc, v1, v30
	s_and_saveexec_b64 s[18:19], vcc
	s_cbranch_execz .LBB1405_61
; %bb.55:
	s_add_u32 s24, s12, -1
	v_lshl_add_u64 v[30:31], v[26:27], 0, 2
	v_lshl_add_u64 v[28:29], v[28:29], 0, 2
	s_addc_u32 s25, s13, -1
	s_mov_b64 s[26:27], 0
	s_mov_b64 s[30:31], 0
                                        ; implicit-def: $sgpr28_sgpr29
	s_branch .LBB1405_58
.LBB1405_56:                            ;   in Loop: Header=BB1405_58 Depth=1
	global_load_ushort v1, v[28:29], off
	global_load_ushort v32, v[30:31], off
	s_add_u32 s30, s30, 1
	s_addc_u32 s31, s31, 0
	s_andn2_b64 s[28:29], s[28:29], exec
	v_lshl_add_u64 v[30:31], v[30:31], 0, 2
	v_lshl_add_u64 v[28:29], v[28:29], 0, 2
	s_waitcnt vmcnt(0)
	v_cmp_ne_u16_e32 vcc, v1, v32
	s_and_b64 s[34:35], vcc, exec
	s_or_b64 s[28:29], s[28:29], s[34:35]
.LBB1405_57:                            ;   in Loop: Header=BB1405_58 Depth=1
	s_and_b64 s[34:35], exec, s[28:29]
	s_or_b64 s[26:27], s[34:35], s[26:27]
	v_mov_b64_e32 v[32:33], s[30:31]
	s_andn2_b64 exec, exec, s[26:27]
	s_cbranch_execz .LBB1405_60
.LBB1405_58:                            ; =>This Inner Loop Header: Depth=1
	s_or_b64 s[28:29], s[28:29], exec
	s_cmp_eq_u64 s[24:25], s[30:31]
	s_cbranch_scc0 .LBB1405_56
; %bb.59:                               ;   in Loop: Header=BB1405_58 Depth=1
                                        ; implicit-def: $vgpr30_vgpr31
                                        ; implicit-def: $vgpr28_vgpr29
	s_mov_b64 s[30:31], s[12:13]
	s_branch .LBB1405_57
.LBB1405_60:
	s_or_b64 exec, exec, s[26:27]
	v_cmp_gt_i64_e32 vcc, s[12:13], v[32:33]
	s_mov_b32 s7, 0
	v_mov_b32_e32 v47, s7
	v_cndmask_b32_e64 v46, 0, 1, vcc
.LBB1405_61:
	s_or_b64 exec, exec, s[18:19]
.LBB1405_62:
	v_mul_lo_u32 v1, v19, s12
	v_mul_lo_u32 v30, v18, s13
	v_mad_u64_u32 v[28:29], s[18:19], v18, s12, 0
	v_add3_u32 v29, v29, v30, v1
	v_mov_b64_e32 v[56:57], 0
	s_and_b64 vcc, exec, s[2:3]
	v_lshl_add_u64 v[28:29], v[28:29], 1, s[14:15]
	v_mov_b64_e32 v[54:55], v[56:57]
	s_cbranch_vccnz .LBB1405_71
; %bb.63:
	global_load_ushort v1, v[26:27], off
	global_load_ushort v30, v[28:29], off
	v_mov_b64_e32 v[54:55], 1
	s_waitcnt vmcnt(0)
	v_cmp_eq_u16_e32 vcc, v1, v30
	s_and_saveexec_b64 s[18:19], vcc
	s_cbranch_execz .LBB1405_70
; %bb.64:
	s_add_u32 s24, s12, -1
	v_lshl_add_u64 v[30:31], v[28:29], 0, 2
	v_lshl_add_u64 v[26:27], v[26:27], 0, 2
	s_addc_u32 s25, s13, -1
	s_mov_b64 s[26:27], 0
	s_mov_b64 s[30:31], 0
                                        ; implicit-def: $sgpr28_sgpr29
	s_branch .LBB1405_67
.LBB1405_65:                            ;   in Loop: Header=BB1405_67 Depth=1
	global_load_ushort v1, v[26:27], off
	global_load_ushort v32, v[30:31], off
	s_add_u32 s30, s30, 1
	s_addc_u32 s31, s31, 0
	s_andn2_b64 s[28:29], s[28:29], exec
	v_lshl_add_u64 v[30:31], v[30:31], 0, 2
	v_lshl_add_u64 v[26:27], v[26:27], 0, 2
	s_waitcnt vmcnt(0)
	v_cmp_ne_u16_e32 vcc, v1, v32
	s_and_b64 s[34:35], vcc, exec
	s_or_b64 s[28:29], s[28:29], s[34:35]
.LBB1405_66:                            ;   in Loop: Header=BB1405_67 Depth=1
	s_and_b64 s[34:35], exec, s[28:29]
	s_or_b64 s[26:27], s[34:35], s[26:27]
	v_mov_b64_e32 v[32:33], s[30:31]
	s_andn2_b64 exec, exec, s[26:27]
	s_cbranch_execz .LBB1405_69
.LBB1405_67:                            ; =>This Inner Loop Header: Depth=1
	s_or_b64 s[28:29], s[28:29], exec
	s_cmp_eq_u64 s[24:25], s[30:31]
	s_cbranch_scc0 .LBB1405_65
; %bb.68:                               ;   in Loop: Header=BB1405_67 Depth=1
                                        ; implicit-def: $vgpr30_vgpr31
                                        ; implicit-def: $vgpr26_vgpr27
	s_mov_b64 s[30:31], s[12:13]
	s_branch .LBB1405_66
.LBB1405_69:
	s_or_b64 exec, exec, s[26:27]
	v_cmp_gt_i64_e32 vcc, s[12:13], v[32:33]
	s_mov_b32 s7, 0
	v_mov_b32_e32 v55, s7
	v_cndmask_b32_e64 v54, 0, 1, vcc
.LBB1405_70:
	s_or_b64 exec, exec, s[18:19]
.LBB1405_71:
	v_mul_lo_u32 v1, v17, s12
	v_mul_lo_u32 v30, v16, s13
	v_mad_u64_u32 v[26:27], s[18:19], v16, s12, 0
	v_add3_u32 v27, v27, v30, v1
	s_and_b64 vcc, exec, s[2:3]
	v_lshl_add_u64 v[26:27], v[26:27], 1, s[14:15]
	s_cbranch_vccnz .LBB1405_80
; %bb.72:
	global_load_ushort v1, v[28:29], off
	global_load_ushort v30, v[26:27], off
	v_mov_b64_e32 v[56:57], 1
	s_waitcnt vmcnt(0)
	v_cmp_eq_u16_e32 vcc, v1, v30
	s_and_saveexec_b64 s[18:19], vcc
	s_cbranch_execz .LBB1405_79
; %bb.73:
	s_add_u32 s24, s12, -1
	v_lshl_add_u64 v[30:31], v[26:27], 0, 2
	v_lshl_add_u64 v[28:29], v[28:29], 0, 2
	s_addc_u32 s25, s13, -1
	s_mov_b64 s[26:27], 0
	s_mov_b64 s[30:31], 0
                                        ; implicit-def: $sgpr28_sgpr29
	s_branch .LBB1405_76
.LBB1405_74:                            ;   in Loop: Header=BB1405_76 Depth=1
	global_load_ushort v1, v[28:29], off
	global_load_ushort v32, v[30:31], off
	s_add_u32 s30, s30, 1
	s_addc_u32 s31, s31, 0
	s_andn2_b64 s[28:29], s[28:29], exec
	v_lshl_add_u64 v[30:31], v[30:31], 0, 2
	v_lshl_add_u64 v[28:29], v[28:29], 0, 2
	s_waitcnt vmcnt(0)
	v_cmp_ne_u16_e32 vcc, v1, v32
	s_and_b64 s[34:35], vcc, exec
	s_or_b64 s[28:29], s[28:29], s[34:35]
.LBB1405_75:                            ;   in Loop: Header=BB1405_76 Depth=1
	s_and_b64 s[34:35], exec, s[28:29]
	s_or_b64 s[26:27], s[34:35], s[26:27]
	v_mov_b64_e32 v[32:33], s[30:31]
	s_andn2_b64 exec, exec, s[26:27]
	s_cbranch_execz .LBB1405_78
.LBB1405_76:                            ; =>This Inner Loop Header: Depth=1
	s_or_b64 s[28:29], s[28:29], exec
	s_cmp_eq_u64 s[24:25], s[30:31]
	s_cbranch_scc0 .LBB1405_74
; %bb.77:                               ;   in Loop: Header=BB1405_76 Depth=1
                                        ; implicit-def: $vgpr30_vgpr31
                                        ; implicit-def: $vgpr28_vgpr29
	s_mov_b64 s[30:31], s[12:13]
	s_branch .LBB1405_75
.LBB1405_78:
	s_or_b64 exec, exec, s[26:27]
	v_cmp_gt_i64_e32 vcc, s[12:13], v[32:33]
	s_mov_b32 s7, 0
	v_mov_b32_e32 v57, s7
	v_cndmask_b32_e64 v56, 0, 1, vcc
.LBB1405_79:
	s_or_b64 exec, exec, s[18:19]
.LBB1405_80:
	v_mul_lo_u32 v1, v15, s12
	v_mul_lo_u32 v30, v14, s13
	v_mad_u64_u32 v[28:29], s[18:19], v14, s12, 0
	v_add3_u32 v29, v29, v30, v1
	v_mov_b64_e32 v[60:61], 0
	s_and_b64 vcc, exec, s[2:3]
	v_lshl_add_u64 v[28:29], v[28:29], 1, s[14:15]
	v_mov_b64_e32 v[58:59], v[60:61]
	s_cbranch_vccnz .LBB1405_89
; %bb.81:
	global_load_ushort v1, v[26:27], off
	global_load_ushort v30, v[28:29], off
	v_mov_b64_e32 v[58:59], 1
	s_waitcnt vmcnt(0)
	v_cmp_eq_u16_e32 vcc, v1, v30
	s_and_saveexec_b64 s[18:19], vcc
	s_cbranch_execz .LBB1405_88
; %bb.82:
	s_add_u32 s24, s12, -1
	v_lshl_add_u64 v[30:31], v[28:29], 0, 2
	v_lshl_add_u64 v[26:27], v[26:27], 0, 2
	s_addc_u32 s25, s13, -1
	s_mov_b64 s[26:27], 0
	s_mov_b64 s[30:31], 0
                                        ; implicit-def: $sgpr28_sgpr29
	s_branch .LBB1405_85
.LBB1405_83:                            ;   in Loop: Header=BB1405_85 Depth=1
	global_load_ushort v1, v[26:27], off
	global_load_ushort v32, v[30:31], off
	s_add_u32 s30, s30, 1
	s_addc_u32 s31, s31, 0
	s_andn2_b64 s[28:29], s[28:29], exec
	v_lshl_add_u64 v[30:31], v[30:31], 0, 2
	v_lshl_add_u64 v[26:27], v[26:27], 0, 2
	s_waitcnt vmcnt(0)
	v_cmp_ne_u16_e32 vcc, v1, v32
	s_and_b64 s[34:35], vcc, exec
	s_or_b64 s[28:29], s[28:29], s[34:35]
.LBB1405_84:                            ;   in Loop: Header=BB1405_85 Depth=1
	s_and_b64 s[34:35], exec, s[28:29]
	s_or_b64 s[26:27], s[34:35], s[26:27]
	v_mov_b64_e32 v[32:33], s[30:31]
	s_andn2_b64 exec, exec, s[26:27]
	s_cbranch_execz .LBB1405_87
.LBB1405_85:                            ; =>This Inner Loop Header: Depth=1
	s_or_b64 s[28:29], s[28:29], exec
	s_cmp_eq_u64 s[24:25], s[30:31]
	s_cbranch_scc0 .LBB1405_83
; %bb.86:                               ;   in Loop: Header=BB1405_85 Depth=1
                                        ; implicit-def: $vgpr30_vgpr31
                                        ; implicit-def: $vgpr26_vgpr27
	s_mov_b64 s[30:31], s[12:13]
	s_branch .LBB1405_84
.LBB1405_87:
	s_or_b64 exec, exec, s[26:27]
	v_cmp_gt_i64_e32 vcc, s[12:13], v[32:33]
	s_mov_b32 s7, 0
	v_mov_b32_e32 v59, s7
	v_cndmask_b32_e64 v58, 0, 1, vcc
.LBB1405_88:
	s_or_b64 exec, exec, s[18:19]
.LBB1405_89:
	v_mul_lo_u32 v1, v13, s12
	v_mul_lo_u32 v30, v12, s13
	v_mad_u64_u32 v[26:27], s[18:19], v12, s12, 0
	v_add3_u32 v27, v27, v30, v1
	s_and_b64 vcc, exec, s[2:3]
	v_lshl_add_u64 v[26:27], v[26:27], 1, s[14:15]
	s_cbranch_vccnz .LBB1405_98
; %bb.90:
	global_load_ushort v1, v[28:29], off
	global_load_ushort v30, v[26:27], off
	v_mov_b64_e32 v[60:61], 1
	s_waitcnt vmcnt(0)
	v_cmp_eq_u16_e32 vcc, v1, v30
	s_and_saveexec_b64 s[18:19], vcc
	s_cbranch_execz .LBB1405_97
; %bb.91:
	s_add_u32 s24, s12, -1
	v_lshl_add_u64 v[30:31], v[26:27], 0, 2
	v_lshl_add_u64 v[28:29], v[28:29], 0, 2
	s_addc_u32 s25, s13, -1
	s_mov_b64 s[26:27], 0
	s_mov_b64 s[30:31], 0
                                        ; implicit-def: $sgpr28_sgpr29
	s_branch .LBB1405_94
.LBB1405_92:                            ;   in Loop: Header=BB1405_94 Depth=1
	global_load_ushort v1, v[28:29], off
	global_load_ushort v32, v[30:31], off
	s_add_u32 s30, s30, 1
	s_addc_u32 s31, s31, 0
	s_andn2_b64 s[28:29], s[28:29], exec
	v_lshl_add_u64 v[30:31], v[30:31], 0, 2
	v_lshl_add_u64 v[28:29], v[28:29], 0, 2
	s_waitcnt vmcnt(0)
	v_cmp_ne_u16_e32 vcc, v1, v32
	s_and_b64 s[34:35], vcc, exec
	s_or_b64 s[28:29], s[28:29], s[34:35]
.LBB1405_93:                            ;   in Loop: Header=BB1405_94 Depth=1
	s_and_b64 s[34:35], exec, s[28:29]
	s_or_b64 s[26:27], s[34:35], s[26:27]
	v_mov_b64_e32 v[32:33], s[30:31]
	s_andn2_b64 exec, exec, s[26:27]
	s_cbranch_execz .LBB1405_96
.LBB1405_94:                            ; =>This Inner Loop Header: Depth=1
	s_or_b64 s[28:29], s[28:29], exec
	s_cmp_eq_u64 s[24:25], s[30:31]
	s_cbranch_scc0 .LBB1405_92
; %bb.95:                               ;   in Loop: Header=BB1405_94 Depth=1
                                        ; implicit-def: $vgpr30_vgpr31
                                        ; implicit-def: $vgpr28_vgpr29
	s_mov_b64 s[30:31], s[12:13]
	s_branch .LBB1405_93
.LBB1405_96:
	s_or_b64 exec, exec, s[26:27]
	v_cmp_gt_i64_e32 vcc, s[12:13], v[32:33]
	s_mov_b32 s7, 0
	v_mov_b32_e32 v61, s7
	v_cndmask_b32_e64 v60, 0, 1, vcc
.LBB1405_97:
	s_or_b64 exec, exec, s[18:19]
.LBB1405_98:
	v_mul_lo_u32 v1, v11, s12
	v_mul_lo_u32 v30, v10, s13
	v_mad_u64_u32 v[28:29], s[18:19], v10, s12, 0
	v_add3_u32 v29, v29, v30, v1
	v_mov_b64_e32 v[64:65], 0
	s_and_b64 vcc, exec, s[2:3]
	v_lshl_add_u64 v[28:29], v[28:29], 1, s[14:15]
	v_mov_b64_e32 v[62:63], v[64:65]
	s_cbranch_vccnz .LBB1405_107
; %bb.99:
	global_load_ushort v1, v[26:27], off
	global_load_ushort v30, v[28:29], off
	v_mov_b64_e32 v[62:63], 1
	s_waitcnt vmcnt(0)
	v_cmp_eq_u16_e32 vcc, v1, v30
	s_and_saveexec_b64 s[18:19], vcc
	s_cbranch_execz .LBB1405_106
; %bb.100:
	s_add_u32 s24, s12, -1
	v_lshl_add_u64 v[30:31], v[28:29], 0, 2
	v_lshl_add_u64 v[26:27], v[26:27], 0, 2
	s_addc_u32 s25, s13, -1
	s_mov_b64 s[26:27], 0
	s_mov_b64 s[30:31], 0
                                        ; implicit-def: $sgpr28_sgpr29
	s_branch .LBB1405_103
.LBB1405_101:                           ;   in Loop: Header=BB1405_103 Depth=1
	global_load_ushort v1, v[26:27], off
	global_load_ushort v32, v[30:31], off
	s_add_u32 s30, s30, 1
	s_addc_u32 s31, s31, 0
	s_andn2_b64 s[28:29], s[28:29], exec
	v_lshl_add_u64 v[30:31], v[30:31], 0, 2
	v_lshl_add_u64 v[26:27], v[26:27], 0, 2
	s_waitcnt vmcnt(0)
	v_cmp_ne_u16_e32 vcc, v1, v32
	s_and_b64 s[34:35], vcc, exec
	s_or_b64 s[28:29], s[28:29], s[34:35]
.LBB1405_102:                           ;   in Loop: Header=BB1405_103 Depth=1
	s_and_b64 s[34:35], exec, s[28:29]
	s_or_b64 s[26:27], s[34:35], s[26:27]
	v_mov_b64_e32 v[32:33], s[30:31]
	s_andn2_b64 exec, exec, s[26:27]
	s_cbranch_execz .LBB1405_105
.LBB1405_103:                           ; =>This Inner Loop Header: Depth=1
	s_or_b64 s[28:29], s[28:29], exec
	s_cmp_eq_u64 s[24:25], s[30:31]
	s_cbranch_scc0 .LBB1405_101
; %bb.104:                              ;   in Loop: Header=BB1405_103 Depth=1
                                        ; implicit-def: $vgpr30_vgpr31
                                        ; implicit-def: $vgpr26_vgpr27
	s_mov_b64 s[30:31], s[12:13]
	s_branch .LBB1405_102
.LBB1405_105:
	s_or_b64 exec, exec, s[26:27]
	v_cmp_gt_i64_e32 vcc, s[12:13], v[32:33]
	s_mov_b32 s7, 0
	v_mov_b32_e32 v63, s7
	v_cndmask_b32_e64 v62, 0, 1, vcc
.LBB1405_106:
	s_or_b64 exec, exec, s[18:19]
.LBB1405_107:
	v_mul_lo_u32 v1, v9, s12
	v_mul_lo_u32 v30, v8, s13
	v_mad_u64_u32 v[26:27], s[18:19], v8, s12, 0
	v_add3_u32 v27, v27, v30, v1
	s_and_b64 vcc, exec, s[2:3]
	v_lshl_add_u64 v[26:27], v[26:27], 1, s[14:15]
	s_cbranch_vccnz .LBB1405_116
; %bb.108:
	global_load_ushort v1, v[28:29], off
	global_load_ushort v30, v[26:27], off
	v_mov_b64_e32 v[64:65], 1
	s_waitcnt vmcnt(0)
	v_cmp_eq_u16_e32 vcc, v1, v30
	s_and_saveexec_b64 s[18:19], vcc
	s_cbranch_execz .LBB1405_115
; %bb.109:
	s_add_u32 s24, s12, -1
	v_lshl_add_u64 v[30:31], v[26:27], 0, 2
	v_lshl_add_u64 v[28:29], v[28:29], 0, 2
	s_addc_u32 s25, s13, -1
	s_mov_b64 s[26:27], 0
	s_mov_b64 s[30:31], 0
                                        ; implicit-def: $sgpr28_sgpr29
	s_branch .LBB1405_112
.LBB1405_110:                           ;   in Loop: Header=BB1405_112 Depth=1
	global_load_ushort v1, v[28:29], off
	global_load_ushort v32, v[30:31], off
	s_add_u32 s30, s30, 1
	s_addc_u32 s31, s31, 0
	s_andn2_b64 s[28:29], s[28:29], exec
	v_lshl_add_u64 v[30:31], v[30:31], 0, 2
	v_lshl_add_u64 v[28:29], v[28:29], 0, 2
	s_waitcnt vmcnt(0)
	v_cmp_ne_u16_e32 vcc, v1, v32
	s_and_b64 s[34:35], vcc, exec
	s_or_b64 s[28:29], s[28:29], s[34:35]
.LBB1405_111:                           ;   in Loop: Header=BB1405_112 Depth=1
	s_and_b64 s[34:35], exec, s[28:29]
	s_or_b64 s[26:27], s[34:35], s[26:27]
	v_mov_b64_e32 v[32:33], s[30:31]
	s_andn2_b64 exec, exec, s[26:27]
	s_cbranch_execz .LBB1405_114
.LBB1405_112:                           ; =>This Inner Loop Header: Depth=1
	s_or_b64 s[28:29], s[28:29], exec
	s_cmp_eq_u64 s[24:25], s[30:31]
	s_cbranch_scc0 .LBB1405_110
; %bb.113:                              ;   in Loop: Header=BB1405_112 Depth=1
                                        ; implicit-def: $vgpr30_vgpr31
                                        ; implicit-def: $vgpr28_vgpr29
	s_mov_b64 s[30:31], s[12:13]
	s_branch .LBB1405_111
.LBB1405_114:
	s_or_b64 exec, exec, s[26:27]
	v_cmp_gt_i64_e32 vcc, s[12:13], v[32:33]
	s_mov_b32 s7, 0
	v_mov_b32_e32 v65, s7
	v_cndmask_b32_e64 v64, 0, 1, vcc
.LBB1405_115:
	s_or_b64 exec, exec, s[18:19]
.LBB1405_116:
	v_mul_lo_u32 v1, v7, s12
	v_mul_lo_u32 v30, v6, s13
	v_mad_u64_u32 v[28:29], s[18:19], v6, s12, 0
	v_add3_u32 v29, v29, v30, v1
	v_mov_b64_e32 v[68:69], 0
	s_and_b64 vcc, exec, s[2:3]
	v_lshl_add_u64 v[28:29], v[28:29], 1, s[14:15]
	v_mov_b64_e32 v[66:67], v[68:69]
	s_cbranch_vccnz .LBB1405_125
; %bb.117:
	global_load_ushort v1, v[26:27], off
	global_load_ushort v30, v[28:29], off
	v_mov_b64_e32 v[66:67], 1
	s_waitcnt vmcnt(0)
	v_cmp_eq_u16_e32 vcc, v1, v30
	s_and_saveexec_b64 s[18:19], vcc
	s_cbranch_execz .LBB1405_124
; %bb.118:
	s_add_u32 s24, s12, -1
	v_lshl_add_u64 v[30:31], v[28:29], 0, 2
	v_lshl_add_u64 v[26:27], v[26:27], 0, 2
	s_addc_u32 s25, s13, -1
	s_mov_b64 s[26:27], 0
	s_mov_b64 s[30:31], 0
                                        ; implicit-def: $sgpr28_sgpr29
	s_branch .LBB1405_121
.LBB1405_119:                           ;   in Loop: Header=BB1405_121 Depth=1
	global_load_ushort v1, v[26:27], off
	global_load_ushort v32, v[30:31], off
	s_add_u32 s30, s30, 1
	s_addc_u32 s31, s31, 0
	s_andn2_b64 s[28:29], s[28:29], exec
	v_lshl_add_u64 v[30:31], v[30:31], 0, 2
	v_lshl_add_u64 v[26:27], v[26:27], 0, 2
	s_waitcnt vmcnt(0)
	v_cmp_ne_u16_e32 vcc, v1, v32
	s_and_b64 s[34:35], vcc, exec
	s_or_b64 s[28:29], s[28:29], s[34:35]
.LBB1405_120:                           ;   in Loop: Header=BB1405_121 Depth=1
	s_and_b64 s[34:35], exec, s[28:29]
	s_or_b64 s[26:27], s[34:35], s[26:27]
	v_mov_b64_e32 v[32:33], s[30:31]
	s_andn2_b64 exec, exec, s[26:27]
	s_cbranch_execz .LBB1405_123
.LBB1405_121:                           ; =>This Inner Loop Header: Depth=1
	s_or_b64 s[28:29], s[28:29], exec
	s_cmp_eq_u64 s[24:25], s[30:31]
	s_cbranch_scc0 .LBB1405_119
; %bb.122:                              ;   in Loop: Header=BB1405_121 Depth=1
                                        ; implicit-def: $vgpr30_vgpr31
                                        ; implicit-def: $vgpr26_vgpr27
	s_mov_b64 s[30:31], s[12:13]
	s_branch .LBB1405_120
.LBB1405_123:
	s_or_b64 exec, exec, s[26:27]
	v_cmp_gt_i64_e32 vcc, s[12:13], v[32:33]
	s_mov_b32 s7, 0
	v_mov_b32_e32 v67, s7
	v_cndmask_b32_e64 v66, 0, 1, vcc
.LBB1405_124:
	s_or_b64 exec, exec, s[18:19]
.LBB1405_125:
	v_mul_lo_u32 v1, v5, s12
	v_mul_lo_u32 v30, v4, s13
	v_mad_u64_u32 v[26:27], s[18:19], v4, s12, 0
	v_add3_u32 v27, v27, v30, v1
	s_and_b64 vcc, exec, s[2:3]
	v_lshl_add_u64 v[26:27], v[26:27], 1, s[14:15]
	s_cbranch_vccnz .LBB1405_134
; %bb.126:
	global_load_ushort v1, v[28:29], off
	global_load_ushort v30, v[26:27], off
	v_mov_b64_e32 v[68:69], 1
	s_waitcnt vmcnt(0)
	v_cmp_eq_u16_e32 vcc, v1, v30
	s_and_saveexec_b64 s[18:19], vcc
	s_cbranch_execz .LBB1405_133
; %bb.127:
	s_add_u32 s24, s12, -1
	v_lshl_add_u64 v[30:31], v[26:27], 0, 2
	v_lshl_add_u64 v[28:29], v[28:29], 0, 2
	s_addc_u32 s25, s13, -1
	s_mov_b64 s[26:27], 0
	s_mov_b64 s[30:31], 0
                                        ; implicit-def: $sgpr28_sgpr29
	s_branch .LBB1405_130
.LBB1405_128:                           ;   in Loop: Header=BB1405_130 Depth=1
	global_load_ushort v1, v[28:29], off
	global_load_ushort v32, v[30:31], off
	s_add_u32 s30, s30, 1
	s_addc_u32 s31, s31, 0
	s_andn2_b64 s[28:29], s[28:29], exec
	v_lshl_add_u64 v[30:31], v[30:31], 0, 2
	v_lshl_add_u64 v[28:29], v[28:29], 0, 2
	s_waitcnt vmcnt(0)
	v_cmp_ne_u16_e32 vcc, v1, v32
	s_and_b64 s[34:35], vcc, exec
	s_or_b64 s[28:29], s[28:29], s[34:35]
.LBB1405_129:                           ;   in Loop: Header=BB1405_130 Depth=1
	s_and_b64 s[34:35], exec, s[28:29]
	s_or_b64 s[26:27], s[34:35], s[26:27]
	v_mov_b64_e32 v[32:33], s[30:31]
	s_andn2_b64 exec, exec, s[26:27]
	s_cbranch_execz .LBB1405_132
.LBB1405_130:                           ; =>This Inner Loop Header: Depth=1
	s_or_b64 s[28:29], s[28:29], exec
	s_cmp_eq_u64 s[24:25], s[30:31]
	s_cbranch_scc0 .LBB1405_128
; %bb.131:                              ;   in Loop: Header=BB1405_130 Depth=1
                                        ; implicit-def: $vgpr30_vgpr31
                                        ; implicit-def: $vgpr28_vgpr29
	s_mov_b64 s[30:31], s[12:13]
	s_branch .LBB1405_129
.LBB1405_132:
	s_or_b64 exec, exec, s[26:27]
	v_cmp_gt_i64_e32 vcc, s[12:13], v[32:33]
	s_mov_b32 s7, 0
	v_mov_b32_e32 v69, s7
	v_cndmask_b32_e64 v68, 0, 1, vcc
.LBB1405_133:
	s_or_b64 exec, exec, s[18:19]
.LBB1405_134:
	s_and_b64 vcc, exec, s[2:3]
	s_cbranch_vccnz .LBB1405_141
; %bb.135:
	v_mul_lo_u32 v1, v3, s12
	v_mul_lo_u32 v30, v2, s13
	v_mad_u64_u32 v[28:29], s[18:19], v2, s12, 0
	v_add3_u32 v29, v29, v30, v1
	v_lshl_add_u64 v[28:29], v[28:29], 1, s[14:15]
	global_load_ushort v1, v[26:27], off
	global_load_ushort v30, v[28:29], off
	v_mov_b64_e32 v[70:71], 1
	s_waitcnt vmcnt(0)
	v_cmp_eq_u16_e32 vcc, v1, v30
	s_and_saveexec_b64 s[18:19], vcc
	s_cbranch_execz .LBB1405_143
; %bb.136:
	s_add_u32 s24, s12, -1
	v_lshl_add_u64 v[28:29], v[28:29], 0, 2
	v_lshl_add_u64 v[26:27], v[26:27], 0, 2
	s_addc_u32 s25, s13, -1
	s_mov_b64 s[26:27], 0
	s_mov_b64 s[30:31], 0
                                        ; implicit-def: $sgpr28_sgpr29
	s_branch .LBB1405_139
.LBB1405_137:                           ;   in Loop: Header=BB1405_139 Depth=1
	global_load_ushort v1, v[26:27], off
	global_load_ushort v30, v[28:29], off
	s_add_u32 s30, s30, 1
	s_addc_u32 s31, s31, 0
	s_andn2_b64 s[28:29], s[28:29], exec
	v_lshl_add_u64 v[28:29], v[28:29], 0, 2
	v_lshl_add_u64 v[26:27], v[26:27], 0, 2
	s_waitcnt vmcnt(0)
	v_cmp_ne_u16_e32 vcc, v1, v30
	s_and_b64 s[34:35], vcc, exec
	s_or_b64 s[28:29], s[28:29], s[34:35]
.LBB1405_138:                           ;   in Loop: Header=BB1405_139 Depth=1
	s_and_b64 s[34:35], exec, s[28:29]
	s_or_b64 s[26:27], s[34:35], s[26:27]
	v_mov_b64_e32 v[30:31], s[30:31]
	s_andn2_b64 exec, exec, s[26:27]
	s_cbranch_execz .LBB1405_142
.LBB1405_139:                           ; =>This Inner Loop Header: Depth=1
	s_or_b64 s[28:29], s[28:29], exec
	s_cmp_eq_u64 s[24:25], s[30:31]
	s_cbranch_scc0 .LBB1405_137
; %bb.140:                              ;   in Loop: Header=BB1405_139 Depth=1
                                        ; implicit-def: $vgpr28_vgpr29
                                        ; implicit-def: $vgpr26_vgpr27
	s_mov_b64 s[30:31], s[12:13]
	s_branch .LBB1405_138
.LBB1405_141:
	v_mov_b64_e32 v[70:71], 0
	s_branch .LBB1405_144
.LBB1405_142:
	s_or_b64 exec, exec, s[26:27]
	v_cmp_gt_i64_e32 vcc, s[12:13], v[30:31]
	s_mov_b32 s7, 0
	v_mov_b32_e32 v71, s7
	v_cndmask_b32_e64 v70, 0, 1, vcc
.LBB1405_143:
	s_or_b64 exec, exec, s[18:19]
.LBB1405_144:
	v_cmp_ne_u32_e32 vcc, 0, v0
	s_waitcnt lgkmcnt(0)
	v_mov_b64_e32 v[26:27], s[20:21]
	s_waitcnt lgkmcnt(0)
	; wave barrier
	s_and_saveexec_b64 s[18:19], vcc
	s_cbranch_execz .LBB1405_146
; %bb.145:
	v_add_u32_e32 v1, -8, v48
	ds_read_b64 v[26:27], v1
.LBB1405_146:
	s_or_b64 exec, exec, s[18:19]
	s_mov_b64 s[26:27], 0
	s_and_b64 vcc, exec, s[2:3]
	s_mov_b64 s[24:25], 0
	s_cbranch_vccnz .LBB1405_155
; %bb.147:
	v_mul_lo_u32 v1, v3, s12
	v_mul_lo_u32 v30, v2, s13
	v_mad_u64_u32 v[28:29], s[2:3], v2, s12, 0
	v_add3_u32 v29, v29, v30, v1
	s_waitcnt lgkmcnt(0)
	v_mul_lo_u32 v1, v27, s12
	v_mul_lo_u32 v30, v26, s13
	v_mad_u64_u32 v[26:27], s[2:3], v26, s12, 0
	v_add3_u32 v27, v27, v30, v1
	v_lshl_add_u64 v[28:29], v[28:29], 1, s[14:15]
	v_lshl_add_u64 v[26:27], v[26:27], 1, s[14:15]
	global_load_ushort v1, v[28:29], off
	global_load_ushort v30, v[26:27], off
	s_mov_b64 s[24:25], -1
	s_waitcnt vmcnt(0)
	v_cmp_eq_u16_e32 vcc, v1, v30
	s_and_saveexec_b64 s[2:3], vcc
	s_cbranch_execz .LBB1405_154
; %bb.148:
	s_add_u32 s18, s12, -1
	v_lshl_add_u64 v[26:27], v[26:27], 0, 2
	v_lshl_add_u64 v[28:29], v[28:29], 0, 2
	s_addc_u32 s19, s13, -1
	s_mov_b64 s[24:25], 0
	s_mov_b64 s[30:31], 0
                                        ; implicit-def: $sgpr28_sgpr29
	s_branch .LBB1405_151
.LBB1405_149:                           ;   in Loop: Header=BB1405_151 Depth=1
	global_load_ushort v1, v[28:29], off
	global_load_ushort v30, v[26:27], off
	s_add_u32 s30, s30, 1
	s_addc_u32 s31, s31, 0
	s_andn2_b64 s[28:29], s[28:29], exec
	v_lshl_add_u64 v[26:27], v[26:27], 0, 2
	v_lshl_add_u64 v[28:29], v[28:29], 0, 2
	s_waitcnt vmcnt(0)
	v_cmp_ne_u16_e32 vcc, v1, v30
	s_and_b64 s[34:35], vcc, exec
	s_or_b64 s[28:29], s[28:29], s[34:35]
.LBB1405_150:                           ;   in Loop: Header=BB1405_151 Depth=1
	s_and_b64 s[34:35], exec, s[28:29]
	s_or_b64 s[24:25], s[34:35], s[24:25]
	v_mov_b64_e32 v[30:31], s[30:31]
	s_andn2_b64 exec, exec, s[24:25]
	s_cbranch_execz .LBB1405_153
.LBB1405_151:                           ; =>This Inner Loop Header: Depth=1
	s_or_b64 s[28:29], s[28:29], exec
	s_cmp_eq_u64 s[18:19], s[30:31]
	s_cbranch_scc0 .LBB1405_149
; %bb.152:                              ;   in Loop: Header=BB1405_151 Depth=1
                                        ; implicit-def: $vgpr26_vgpr27
                                        ; implicit-def: $vgpr28_vgpr29
	s_mov_b64 s[30:31], s[12:13]
	s_branch .LBB1405_150
.LBB1405_153:
	s_or_b64 exec, exec, s[24:25]
	v_cmp_gt_i64_e32 vcc, s[12:13], v[30:31]
	s_orn2_b64 s[24:25], vcc, exec
.LBB1405_154:
	s_or_b64 exec, exec, s[2:3]
.LBB1405_155:
	s_mov_b64 s[18:19], -1
	s_and_b64 vcc, exec, s[26:27]
	s_cbranch_vccz .LBB1405_41
.LBB1405_156:
	s_mul_i32 s7, s22, 0xfffffcc0
	s_add_i32 s7, s7, s10
	s_waitcnt lgkmcnt(0)
	v_mad_u32_u24 v26, v0, 13, 12
	v_cmp_gt_i64_e64 s[2:3], s[12:13], 0
	v_cmp_gt_u32_e32 vcc, s7, v26
	v_mul_u32_u24_e32 v1, 13, v0
	v_cndmask_b32_e64 v26, 0, 1, s[2:3]
	v_cmp_ne_u32_e64 s[2:3], 1, v26
	v_mov_b64_e32 v[50:51], v[44:45]
	ds_write_b64 v48, v[44:45]
	s_and_saveexec_b64 s[22:23], vcc
	s_cbranch_execz .LBB1405_167
; %bb.157:
	s_and_b64 vcc, exec, s[2:3]
	s_cbranch_vccnz .LBB1405_164
; %bb.158:
	v_mul_lo_u32 v28, v45, s12
	v_mul_lo_u32 v29, v44, s13
	v_mad_u64_u32 v[26:27], s[24:25], v44, s12, 0
	v_add3_u32 v27, v27, v29, v28
	v_mul_lo_u32 v28, v25, s12
	v_mul_lo_u32 v29, v24, s13
	v_mad_u64_u32 v[30:31], s[24:25], v24, s12, 0
	v_add3_u32 v31, v31, v29, v28
	v_lshl_add_u64 v[28:29], v[26:27], 1, s[14:15]
	v_lshl_add_u64 v[26:27], v[30:31], 1, s[14:15]
	global_load_ushort v30, v[28:29], off
	global_load_ushort v31, v[26:27], off
	v_mov_b64_e32 v[50:51], 1
	s_waitcnt vmcnt(0)
	v_cmp_eq_u16_e32 vcc, v30, v31
	s_and_saveexec_b64 s[24:25], vcc
	s_cbranch_execz .LBB1405_166
; %bb.159:
	s_add_u32 s26, s12, -1
	v_lshl_add_u64 v[26:27], v[26:27], 0, 2
	v_lshl_add_u64 v[28:29], v[28:29], 0, 2
	s_addc_u32 s27, s13, -1
	s_mov_b64 s[28:29], 0
	s_mov_b64 s[34:35], 0
                                        ; implicit-def: $sgpr30_sgpr31
	s_branch .LBB1405_162
.LBB1405_160:                           ;   in Loop: Header=BB1405_162 Depth=1
	global_load_ushort v30, v[28:29], off
	global_load_ushort v31, v[26:27], off
	s_add_u32 s34, s34, 1
	s_addc_u32 s35, s35, 0
	s_andn2_b64 s[30:31], s[30:31], exec
	v_lshl_add_u64 v[26:27], v[26:27], 0, 2
	v_lshl_add_u64 v[28:29], v[28:29], 0, 2
	s_waitcnt vmcnt(0)
	v_cmp_ne_u16_e32 vcc, v30, v31
	s_and_b64 s[36:37], vcc, exec
	s_or_b64 s[30:31], s[30:31], s[36:37]
.LBB1405_161:                           ;   in Loop: Header=BB1405_162 Depth=1
	s_and_b64 s[36:37], exec, s[30:31]
	s_or_b64 s[28:29], s[36:37], s[28:29]
	v_mov_b64_e32 v[30:31], s[34:35]
	s_andn2_b64 exec, exec, s[28:29]
	s_cbranch_execz .LBB1405_165
.LBB1405_162:                           ; =>This Inner Loop Header: Depth=1
	s_or_b64 s[30:31], s[30:31], exec
	s_cmp_eq_u64 s[26:27], s[34:35]
	s_cbranch_scc0 .LBB1405_160
; %bb.163:                              ;   in Loop: Header=BB1405_162 Depth=1
                                        ; implicit-def: $vgpr26_vgpr27
                                        ; implicit-def: $vgpr28_vgpr29
	s_mov_b64 s[34:35], s[12:13]
	s_branch .LBB1405_161
.LBB1405_164:
	v_mov_b64_e32 v[50:51], 0
	s_branch .LBB1405_167
.LBB1405_165:
	s_or_b64 exec, exec, s[28:29]
	v_cmp_gt_i64_e32 vcc, s[12:13], v[30:31]
	s_mov_b32 s26, 0
	v_mov_b32_e32 v51, s26
	v_cndmask_b32_e64 v50, 0, 1, vcc
.LBB1405_166:
	s_or_b64 exec, exec, s[24:25]
.LBB1405_167:
	s_or_b64 exec, exec, s[22:23]
	v_add_u32_e32 v26, 11, v1
	v_cmp_gt_u32_e32 vcc, s7, v26
	v_mov_b64_e32 v[52:53], v[24:25]
	s_and_saveexec_b64 s[22:23], vcc
	s_cbranch_execz .LBB1405_178
; %bb.168:
	s_and_b64 vcc, exec, s[2:3]
	s_cbranch_vccnz .LBB1405_175
; %bb.169:
	v_mul_lo_u32 v28, v25, s12
	v_mul_lo_u32 v29, v24, s13
	v_mad_u64_u32 v[26:27], s[24:25], v24, s12, 0
	v_add3_u32 v27, v27, v29, v28
	v_mul_lo_u32 v28, v23, s12
	v_mul_lo_u32 v29, v22, s13
	v_mad_u64_u32 v[30:31], s[24:25], v22, s12, 0
	v_add3_u32 v31, v31, v29, v28
	v_lshl_add_u64 v[28:29], v[26:27], 1, s[14:15]
	v_lshl_add_u64 v[26:27], v[30:31], 1, s[14:15]
	global_load_ushort v30, v[28:29], off
	global_load_ushort v31, v[26:27], off
	v_mov_b64_e32 v[52:53], 1
	s_waitcnt vmcnt(0)
	v_cmp_eq_u16_e32 vcc, v30, v31
	s_and_saveexec_b64 s[24:25], vcc
	s_cbranch_execz .LBB1405_177
; %bb.170:
	s_add_u32 s26, s12, -1
	v_lshl_add_u64 v[26:27], v[26:27], 0, 2
	v_lshl_add_u64 v[28:29], v[28:29], 0, 2
	s_addc_u32 s27, s13, -1
	s_mov_b64 s[28:29], 0
	s_mov_b64 s[34:35], 0
                                        ; implicit-def: $sgpr30_sgpr31
	s_branch .LBB1405_173
.LBB1405_171:                           ;   in Loop: Header=BB1405_173 Depth=1
	global_load_ushort v30, v[28:29], off
	global_load_ushort v31, v[26:27], off
	s_add_u32 s34, s34, 1
	s_addc_u32 s35, s35, 0
	s_andn2_b64 s[30:31], s[30:31], exec
	v_lshl_add_u64 v[26:27], v[26:27], 0, 2
	v_lshl_add_u64 v[28:29], v[28:29], 0, 2
	s_waitcnt vmcnt(0)
	v_cmp_ne_u16_e32 vcc, v30, v31
	s_and_b64 s[36:37], vcc, exec
	s_or_b64 s[30:31], s[30:31], s[36:37]
.LBB1405_172:                           ;   in Loop: Header=BB1405_173 Depth=1
	s_and_b64 s[36:37], exec, s[30:31]
	s_or_b64 s[28:29], s[36:37], s[28:29]
	v_mov_b64_e32 v[30:31], s[34:35]
	s_andn2_b64 exec, exec, s[28:29]
	s_cbranch_execz .LBB1405_176
.LBB1405_173:                           ; =>This Inner Loop Header: Depth=1
	s_or_b64 s[30:31], s[30:31], exec
	s_cmp_eq_u64 s[26:27], s[34:35]
	s_cbranch_scc0 .LBB1405_171
; %bb.174:                              ;   in Loop: Header=BB1405_173 Depth=1
                                        ; implicit-def: $vgpr26_vgpr27
                                        ; implicit-def: $vgpr28_vgpr29
	s_mov_b64 s[34:35], s[12:13]
	s_branch .LBB1405_172
.LBB1405_175:
	v_mov_b64_e32 v[52:53], 0
	s_branch .LBB1405_178
.LBB1405_176:
	s_or_b64 exec, exec, s[28:29]
	v_cmp_gt_i64_e32 vcc, s[12:13], v[30:31]
	s_mov_b32 s26, 0
	v_mov_b32_e32 v53, s26
	v_cndmask_b32_e64 v52, 0, 1, vcc
.LBB1405_177:
	s_or_b64 exec, exec, s[24:25]
.LBB1405_178:
	s_or_b64 exec, exec, s[22:23]
	v_add_u32_e32 v26, 10, v1
	v_cmp_gt_u32_e32 vcc, s7, v26
	v_mov_b64_e32 v[46:47], v[22:23]
	s_and_saveexec_b64 s[22:23], vcc
	s_cbranch_execz .LBB1405_189
; %bb.179:
	s_and_b64 vcc, exec, s[2:3]
	s_cbranch_vccnz .LBB1405_186
; %bb.180:
	v_mul_lo_u32 v28, v23, s12
	v_mul_lo_u32 v29, v22, s13
	v_mad_u64_u32 v[26:27], s[24:25], v22, s12, 0
	v_add3_u32 v27, v27, v29, v28
	v_mul_lo_u32 v28, v21, s12
	v_mul_lo_u32 v29, v20, s13
	v_mad_u64_u32 v[30:31], s[24:25], v20, s12, 0
	v_add3_u32 v31, v31, v29, v28
	v_lshl_add_u64 v[28:29], v[26:27], 1, s[14:15]
	v_lshl_add_u64 v[26:27], v[30:31], 1, s[14:15]
	global_load_ushort v30, v[28:29], off
	global_load_ushort v31, v[26:27], off
	v_mov_b64_e32 v[46:47], 1
	s_waitcnt vmcnt(0)
	v_cmp_eq_u16_e32 vcc, v30, v31
	s_and_saveexec_b64 s[24:25], vcc
	s_cbranch_execz .LBB1405_188
; %bb.181:
	s_add_u32 s26, s12, -1
	v_lshl_add_u64 v[26:27], v[26:27], 0, 2
	v_lshl_add_u64 v[28:29], v[28:29], 0, 2
	s_addc_u32 s27, s13, -1
	s_mov_b64 s[28:29], 0
	s_mov_b64 s[34:35], 0
                                        ; implicit-def: $sgpr30_sgpr31
	s_branch .LBB1405_184
.LBB1405_182:                           ;   in Loop: Header=BB1405_184 Depth=1
	global_load_ushort v30, v[28:29], off
	global_load_ushort v31, v[26:27], off
	s_add_u32 s34, s34, 1
	s_addc_u32 s35, s35, 0
	s_andn2_b64 s[30:31], s[30:31], exec
	v_lshl_add_u64 v[26:27], v[26:27], 0, 2
	v_lshl_add_u64 v[28:29], v[28:29], 0, 2
	s_waitcnt vmcnt(0)
	v_cmp_ne_u16_e32 vcc, v30, v31
	s_and_b64 s[36:37], vcc, exec
	s_or_b64 s[30:31], s[30:31], s[36:37]
.LBB1405_183:                           ;   in Loop: Header=BB1405_184 Depth=1
	s_and_b64 s[36:37], exec, s[30:31]
	s_or_b64 s[28:29], s[36:37], s[28:29]
	v_mov_b64_e32 v[30:31], s[34:35]
	s_andn2_b64 exec, exec, s[28:29]
	s_cbranch_execz .LBB1405_187
.LBB1405_184:                           ; =>This Inner Loop Header: Depth=1
	s_or_b64 s[30:31], s[30:31], exec
	s_cmp_eq_u64 s[26:27], s[34:35]
	s_cbranch_scc0 .LBB1405_182
; %bb.185:                              ;   in Loop: Header=BB1405_184 Depth=1
                                        ; implicit-def: $vgpr26_vgpr27
                                        ; implicit-def: $vgpr28_vgpr29
	s_mov_b64 s[34:35], s[12:13]
	s_branch .LBB1405_183
.LBB1405_186:
	v_mov_b64_e32 v[46:47], 0
	s_branch .LBB1405_189
.LBB1405_187:
	s_or_b64 exec, exec, s[28:29]
	v_cmp_gt_i64_e32 vcc, s[12:13], v[30:31]
	s_mov_b32 s26, 0
	v_mov_b32_e32 v47, s26
	v_cndmask_b32_e64 v46, 0, 1, vcc
.LBB1405_188:
	s_or_b64 exec, exec, s[24:25]
.LBB1405_189:
	s_or_b64 exec, exec, s[22:23]
	v_add_u32_e32 v26, 9, v1
	v_cmp_gt_u32_e32 vcc, s7, v26
	v_mov_b64_e32 v[54:55], v[20:21]
	s_and_saveexec_b64 s[22:23], vcc
	s_cbranch_execz .LBB1405_200
; %bb.190:
	s_and_b64 vcc, exec, s[2:3]
	s_cbranch_vccnz .LBB1405_197
; %bb.191:
	v_mul_lo_u32 v28, v21, s12
	v_mul_lo_u32 v29, v20, s13
	v_mad_u64_u32 v[26:27], s[24:25], v20, s12, 0
	v_add3_u32 v27, v27, v29, v28
	v_mul_lo_u32 v28, v19, s12
	v_mul_lo_u32 v29, v18, s13
	v_mad_u64_u32 v[30:31], s[24:25], v18, s12, 0
	v_add3_u32 v31, v31, v29, v28
	v_lshl_add_u64 v[28:29], v[26:27], 1, s[14:15]
	v_lshl_add_u64 v[26:27], v[30:31], 1, s[14:15]
	global_load_ushort v30, v[28:29], off
	global_load_ushort v31, v[26:27], off
	v_mov_b64_e32 v[54:55], 1
	s_waitcnt vmcnt(0)
	v_cmp_eq_u16_e32 vcc, v30, v31
	s_and_saveexec_b64 s[24:25], vcc
	s_cbranch_execz .LBB1405_199
; %bb.192:
	s_add_u32 s26, s12, -1
	v_lshl_add_u64 v[26:27], v[26:27], 0, 2
	v_lshl_add_u64 v[28:29], v[28:29], 0, 2
	s_addc_u32 s27, s13, -1
	s_mov_b64 s[28:29], 0
	s_mov_b64 s[34:35], 0
                                        ; implicit-def: $sgpr30_sgpr31
	s_branch .LBB1405_195
.LBB1405_193:                           ;   in Loop: Header=BB1405_195 Depth=1
	global_load_ushort v30, v[28:29], off
	global_load_ushort v31, v[26:27], off
	s_add_u32 s34, s34, 1
	s_addc_u32 s35, s35, 0
	s_andn2_b64 s[30:31], s[30:31], exec
	v_lshl_add_u64 v[26:27], v[26:27], 0, 2
	v_lshl_add_u64 v[28:29], v[28:29], 0, 2
	s_waitcnt vmcnt(0)
	v_cmp_ne_u16_e32 vcc, v30, v31
	s_and_b64 s[36:37], vcc, exec
	s_or_b64 s[30:31], s[30:31], s[36:37]
.LBB1405_194:                           ;   in Loop: Header=BB1405_195 Depth=1
	s_and_b64 s[36:37], exec, s[30:31]
	s_or_b64 s[28:29], s[36:37], s[28:29]
	v_mov_b64_e32 v[30:31], s[34:35]
	s_andn2_b64 exec, exec, s[28:29]
	s_cbranch_execz .LBB1405_198
.LBB1405_195:                           ; =>This Inner Loop Header: Depth=1
	s_or_b64 s[30:31], s[30:31], exec
	s_cmp_eq_u64 s[26:27], s[34:35]
	s_cbranch_scc0 .LBB1405_193
; %bb.196:                              ;   in Loop: Header=BB1405_195 Depth=1
                                        ; implicit-def: $vgpr26_vgpr27
                                        ; implicit-def: $vgpr28_vgpr29
	s_mov_b64 s[34:35], s[12:13]
	s_branch .LBB1405_194
.LBB1405_197:
	v_mov_b64_e32 v[54:55], 0
	s_branch .LBB1405_200
.LBB1405_198:
	s_or_b64 exec, exec, s[28:29]
	v_cmp_gt_i64_e32 vcc, s[12:13], v[30:31]
	s_mov_b32 s26, 0
	v_mov_b32_e32 v55, s26
	v_cndmask_b32_e64 v54, 0, 1, vcc
.LBB1405_199:
	s_or_b64 exec, exec, s[24:25]
.LBB1405_200:
	s_or_b64 exec, exec, s[22:23]
	v_add_u32_e32 v26, 8, v1
	v_cmp_gt_u32_e32 vcc, s7, v26
	v_mov_b64_e32 v[56:57], v[18:19]
	s_and_saveexec_b64 s[22:23], vcc
	s_cbranch_execz .LBB1405_211
; %bb.201:
	s_and_b64 vcc, exec, s[2:3]
	s_cbranch_vccnz .LBB1405_208
; %bb.202:
	v_mul_lo_u32 v28, v19, s12
	v_mul_lo_u32 v29, v18, s13
	v_mad_u64_u32 v[26:27], s[24:25], v18, s12, 0
	v_add3_u32 v27, v27, v29, v28
	v_mul_lo_u32 v28, v17, s12
	v_mul_lo_u32 v29, v16, s13
	v_mad_u64_u32 v[30:31], s[24:25], v16, s12, 0
	v_add3_u32 v31, v31, v29, v28
	v_lshl_add_u64 v[28:29], v[26:27], 1, s[14:15]
	v_lshl_add_u64 v[26:27], v[30:31], 1, s[14:15]
	global_load_ushort v30, v[28:29], off
	global_load_ushort v31, v[26:27], off
	v_mov_b64_e32 v[56:57], 1
	s_waitcnt vmcnt(0)
	v_cmp_eq_u16_e32 vcc, v30, v31
	s_and_saveexec_b64 s[24:25], vcc
	s_cbranch_execz .LBB1405_210
; %bb.203:
	s_add_u32 s26, s12, -1
	v_lshl_add_u64 v[26:27], v[26:27], 0, 2
	v_lshl_add_u64 v[28:29], v[28:29], 0, 2
	s_addc_u32 s27, s13, -1
	s_mov_b64 s[28:29], 0
	s_mov_b64 s[34:35], 0
                                        ; implicit-def: $sgpr30_sgpr31
	s_branch .LBB1405_206
.LBB1405_204:                           ;   in Loop: Header=BB1405_206 Depth=1
	global_load_ushort v30, v[28:29], off
	global_load_ushort v31, v[26:27], off
	s_add_u32 s34, s34, 1
	s_addc_u32 s35, s35, 0
	s_andn2_b64 s[30:31], s[30:31], exec
	v_lshl_add_u64 v[26:27], v[26:27], 0, 2
	v_lshl_add_u64 v[28:29], v[28:29], 0, 2
	s_waitcnt vmcnt(0)
	v_cmp_ne_u16_e32 vcc, v30, v31
	s_and_b64 s[36:37], vcc, exec
	s_or_b64 s[30:31], s[30:31], s[36:37]
.LBB1405_205:                           ;   in Loop: Header=BB1405_206 Depth=1
	s_and_b64 s[36:37], exec, s[30:31]
	s_or_b64 s[28:29], s[36:37], s[28:29]
	v_mov_b64_e32 v[30:31], s[34:35]
	s_andn2_b64 exec, exec, s[28:29]
	s_cbranch_execz .LBB1405_209
.LBB1405_206:                           ; =>This Inner Loop Header: Depth=1
	s_or_b64 s[30:31], s[30:31], exec
	s_cmp_eq_u64 s[26:27], s[34:35]
	s_cbranch_scc0 .LBB1405_204
; %bb.207:                              ;   in Loop: Header=BB1405_206 Depth=1
                                        ; implicit-def: $vgpr26_vgpr27
                                        ; implicit-def: $vgpr28_vgpr29
	s_mov_b64 s[34:35], s[12:13]
	s_branch .LBB1405_205
.LBB1405_208:
	v_mov_b64_e32 v[56:57], 0
	s_branch .LBB1405_211
.LBB1405_209:
	s_or_b64 exec, exec, s[28:29]
	v_cmp_gt_i64_e32 vcc, s[12:13], v[30:31]
	s_mov_b32 s26, 0
	v_mov_b32_e32 v57, s26
	v_cndmask_b32_e64 v56, 0, 1, vcc
.LBB1405_210:
	s_or_b64 exec, exec, s[24:25]
.LBB1405_211:
	s_or_b64 exec, exec, s[22:23]
	v_add_u32_e32 v26, 7, v1
	v_cmp_gt_u32_e32 vcc, s7, v26
	v_mov_b64_e32 v[58:59], v[16:17]
	s_and_saveexec_b64 s[22:23], vcc
	s_cbranch_execz .LBB1405_222
; %bb.212:
	s_and_b64 vcc, exec, s[2:3]
	s_cbranch_vccnz .LBB1405_219
; %bb.213:
	v_mul_lo_u32 v28, v17, s12
	v_mul_lo_u32 v29, v16, s13
	v_mad_u64_u32 v[26:27], s[24:25], v16, s12, 0
	v_add3_u32 v27, v27, v29, v28
	v_mul_lo_u32 v28, v15, s12
	v_mul_lo_u32 v29, v14, s13
	v_mad_u64_u32 v[30:31], s[24:25], v14, s12, 0
	v_add3_u32 v31, v31, v29, v28
	v_lshl_add_u64 v[28:29], v[26:27], 1, s[14:15]
	v_lshl_add_u64 v[26:27], v[30:31], 1, s[14:15]
	global_load_ushort v30, v[28:29], off
	global_load_ushort v31, v[26:27], off
	v_mov_b64_e32 v[58:59], 1
	s_waitcnt vmcnt(0)
	v_cmp_eq_u16_e32 vcc, v30, v31
	s_and_saveexec_b64 s[24:25], vcc
	s_cbranch_execz .LBB1405_221
; %bb.214:
	s_add_u32 s26, s12, -1
	v_lshl_add_u64 v[26:27], v[26:27], 0, 2
	v_lshl_add_u64 v[28:29], v[28:29], 0, 2
	s_addc_u32 s27, s13, -1
	s_mov_b64 s[28:29], 0
	s_mov_b64 s[34:35], 0
                                        ; implicit-def: $sgpr30_sgpr31
	s_branch .LBB1405_217
.LBB1405_215:                           ;   in Loop: Header=BB1405_217 Depth=1
	global_load_ushort v30, v[28:29], off
	global_load_ushort v31, v[26:27], off
	s_add_u32 s34, s34, 1
	s_addc_u32 s35, s35, 0
	s_andn2_b64 s[30:31], s[30:31], exec
	v_lshl_add_u64 v[26:27], v[26:27], 0, 2
	v_lshl_add_u64 v[28:29], v[28:29], 0, 2
	s_waitcnt vmcnt(0)
	v_cmp_ne_u16_e32 vcc, v30, v31
	s_and_b64 s[36:37], vcc, exec
	s_or_b64 s[30:31], s[30:31], s[36:37]
.LBB1405_216:                           ;   in Loop: Header=BB1405_217 Depth=1
	s_and_b64 s[36:37], exec, s[30:31]
	s_or_b64 s[28:29], s[36:37], s[28:29]
	v_mov_b64_e32 v[30:31], s[34:35]
	s_andn2_b64 exec, exec, s[28:29]
	s_cbranch_execz .LBB1405_220
.LBB1405_217:                           ; =>This Inner Loop Header: Depth=1
	s_or_b64 s[30:31], s[30:31], exec
	s_cmp_eq_u64 s[26:27], s[34:35]
	s_cbranch_scc0 .LBB1405_215
; %bb.218:                              ;   in Loop: Header=BB1405_217 Depth=1
                                        ; implicit-def: $vgpr26_vgpr27
                                        ; implicit-def: $vgpr28_vgpr29
	s_mov_b64 s[34:35], s[12:13]
	s_branch .LBB1405_216
.LBB1405_219:
	v_mov_b64_e32 v[58:59], 0
	s_branch .LBB1405_222
.LBB1405_220:
	s_or_b64 exec, exec, s[28:29]
	v_cmp_gt_i64_e32 vcc, s[12:13], v[30:31]
	s_mov_b32 s26, 0
	v_mov_b32_e32 v59, s26
	v_cndmask_b32_e64 v58, 0, 1, vcc
.LBB1405_221:
	s_or_b64 exec, exec, s[24:25]
.LBB1405_222:
	s_or_b64 exec, exec, s[22:23]
	v_add_u32_e32 v26, 6, v1
	v_cmp_gt_u32_e32 vcc, s7, v26
	v_mov_b64_e32 v[60:61], v[14:15]
	s_and_saveexec_b64 s[22:23], vcc
	s_cbranch_execz .LBB1405_233
; %bb.223:
	s_and_b64 vcc, exec, s[2:3]
	s_cbranch_vccnz .LBB1405_230
; %bb.224:
	v_mul_lo_u32 v28, v15, s12
	v_mul_lo_u32 v29, v14, s13
	v_mad_u64_u32 v[26:27], s[24:25], v14, s12, 0
	v_add3_u32 v27, v27, v29, v28
	v_mul_lo_u32 v28, v13, s12
	v_mul_lo_u32 v29, v12, s13
	v_mad_u64_u32 v[30:31], s[24:25], v12, s12, 0
	v_add3_u32 v31, v31, v29, v28
	v_lshl_add_u64 v[28:29], v[26:27], 1, s[14:15]
	v_lshl_add_u64 v[26:27], v[30:31], 1, s[14:15]
	global_load_ushort v30, v[28:29], off
	global_load_ushort v31, v[26:27], off
	v_mov_b64_e32 v[60:61], 1
	s_waitcnt vmcnt(0)
	v_cmp_eq_u16_e32 vcc, v30, v31
	s_and_saveexec_b64 s[24:25], vcc
	s_cbranch_execz .LBB1405_232
; %bb.225:
	s_add_u32 s26, s12, -1
	v_lshl_add_u64 v[26:27], v[26:27], 0, 2
	v_lshl_add_u64 v[28:29], v[28:29], 0, 2
	s_addc_u32 s27, s13, -1
	s_mov_b64 s[28:29], 0
	s_mov_b64 s[34:35], 0
                                        ; implicit-def: $sgpr30_sgpr31
	s_branch .LBB1405_228
.LBB1405_226:                           ;   in Loop: Header=BB1405_228 Depth=1
	global_load_ushort v30, v[28:29], off
	global_load_ushort v31, v[26:27], off
	s_add_u32 s34, s34, 1
	s_addc_u32 s35, s35, 0
	s_andn2_b64 s[30:31], s[30:31], exec
	v_lshl_add_u64 v[26:27], v[26:27], 0, 2
	v_lshl_add_u64 v[28:29], v[28:29], 0, 2
	s_waitcnt vmcnt(0)
	v_cmp_ne_u16_e32 vcc, v30, v31
	s_and_b64 s[36:37], vcc, exec
	s_or_b64 s[30:31], s[30:31], s[36:37]
.LBB1405_227:                           ;   in Loop: Header=BB1405_228 Depth=1
	s_and_b64 s[36:37], exec, s[30:31]
	s_or_b64 s[28:29], s[36:37], s[28:29]
	v_mov_b64_e32 v[30:31], s[34:35]
	s_andn2_b64 exec, exec, s[28:29]
	s_cbranch_execz .LBB1405_231
.LBB1405_228:                           ; =>This Inner Loop Header: Depth=1
	s_or_b64 s[30:31], s[30:31], exec
	s_cmp_eq_u64 s[26:27], s[34:35]
	s_cbranch_scc0 .LBB1405_226
; %bb.229:                              ;   in Loop: Header=BB1405_228 Depth=1
                                        ; implicit-def: $vgpr26_vgpr27
                                        ; implicit-def: $vgpr28_vgpr29
	s_mov_b64 s[34:35], s[12:13]
	s_branch .LBB1405_227
.LBB1405_230:
	v_mov_b64_e32 v[60:61], 0
	s_branch .LBB1405_233
.LBB1405_231:
	s_or_b64 exec, exec, s[28:29]
	v_cmp_gt_i64_e32 vcc, s[12:13], v[30:31]
	s_mov_b32 s26, 0
	v_mov_b32_e32 v61, s26
	v_cndmask_b32_e64 v60, 0, 1, vcc
.LBB1405_232:
	s_or_b64 exec, exec, s[24:25]
.LBB1405_233:
	s_or_b64 exec, exec, s[22:23]
	v_add_u32_e32 v26, 5, v1
	v_cmp_gt_u32_e32 vcc, s7, v26
	v_mov_b64_e32 v[62:63], v[12:13]
	s_and_saveexec_b64 s[22:23], vcc
	s_cbranch_execz .LBB1405_244
; %bb.234:
	s_and_b64 vcc, exec, s[2:3]
	s_cbranch_vccnz .LBB1405_241
; %bb.235:
	v_mul_lo_u32 v28, v13, s12
	v_mul_lo_u32 v29, v12, s13
	v_mad_u64_u32 v[26:27], s[24:25], v12, s12, 0
	v_add3_u32 v27, v27, v29, v28
	v_mul_lo_u32 v28, v11, s12
	v_mul_lo_u32 v29, v10, s13
	v_mad_u64_u32 v[30:31], s[24:25], v10, s12, 0
	v_add3_u32 v31, v31, v29, v28
	v_lshl_add_u64 v[28:29], v[26:27], 1, s[14:15]
	v_lshl_add_u64 v[26:27], v[30:31], 1, s[14:15]
	global_load_ushort v30, v[28:29], off
	global_load_ushort v31, v[26:27], off
	v_mov_b64_e32 v[62:63], 1
	s_waitcnt vmcnt(0)
	v_cmp_eq_u16_e32 vcc, v30, v31
	s_and_saveexec_b64 s[24:25], vcc
	s_cbranch_execz .LBB1405_243
; %bb.236:
	s_add_u32 s26, s12, -1
	v_lshl_add_u64 v[26:27], v[26:27], 0, 2
	v_lshl_add_u64 v[28:29], v[28:29], 0, 2
	s_addc_u32 s27, s13, -1
	s_mov_b64 s[28:29], 0
	s_mov_b64 s[34:35], 0
                                        ; implicit-def: $sgpr30_sgpr31
	s_branch .LBB1405_239
.LBB1405_237:                           ;   in Loop: Header=BB1405_239 Depth=1
	global_load_ushort v30, v[28:29], off
	global_load_ushort v31, v[26:27], off
	s_add_u32 s34, s34, 1
	s_addc_u32 s35, s35, 0
	s_andn2_b64 s[30:31], s[30:31], exec
	v_lshl_add_u64 v[26:27], v[26:27], 0, 2
	v_lshl_add_u64 v[28:29], v[28:29], 0, 2
	s_waitcnt vmcnt(0)
	v_cmp_ne_u16_e32 vcc, v30, v31
	s_and_b64 s[36:37], vcc, exec
	s_or_b64 s[30:31], s[30:31], s[36:37]
.LBB1405_238:                           ;   in Loop: Header=BB1405_239 Depth=1
	s_and_b64 s[36:37], exec, s[30:31]
	s_or_b64 s[28:29], s[36:37], s[28:29]
	v_mov_b64_e32 v[30:31], s[34:35]
	s_andn2_b64 exec, exec, s[28:29]
	s_cbranch_execz .LBB1405_242
.LBB1405_239:                           ; =>This Inner Loop Header: Depth=1
	s_or_b64 s[30:31], s[30:31], exec
	s_cmp_eq_u64 s[26:27], s[34:35]
	s_cbranch_scc0 .LBB1405_237
; %bb.240:                              ;   in Loop: Header=BB1405_239 Depth=1
                                        ; implicit-def: $vgpr26_vgpr27
                                        ; implicit-def: $vgpr28_vgpr29
	s_mov_b64 s[34:35], s[12:13]
	s_branch .LBB1405_238
.LBB1405_241:
	v_mov_b64_e32 v[62:63], 0
	s_branch .LBB1405_244
.LBB1405_242:
	s_or_b64 exec, exec, s[28:29]
	v_cmp_gt_i64_e32 vcc, s[12:13], v[30:31]
	s_mov_b32 s26, 0
	v_mov_b32_e32 v63, s26
	v_cndmask_b32_e64 v62, 0, 1, vcc
.LBB1405_243:
	s_or_b64 exec, exec, s[24:25]
.LBB1405_244:
	s_or_b64 exec, exec, s[22:23]
	v_add_u32_e32 v26, 4, v1
	v_cmp_gt_u32_e32 vcc, s7, v26
	v_mov_b64_e32 v[64:65], v[10:11]
	s_and_saveexec_b64 s[22:23], vcc
	s_cbranch_execz .LBB1405_255
; %bb.245:
	s_and_b64 vcc, exec, s[2:3]
	s_cbranch_vccnz .LBB1405_252
; %bb.246:
	v_mul_lo_u32 v28, v11, s12
	v_mul_lo_u32 v29, v10, s13
	v_mad_u64_u32 v[26:27], s[24:25], v10, s12, 0
	v_add3_u32 v27, v27, v29, v28
	v_mul_lo_u32 v28, v9, s12
	v_mul_lo_u32 v29, v8, s13
	v_mad_u64_u32 v[30:31], s[24:25], v8, s12, 0
	v_add3_u32 v31, v31, v29, v28
	v_lshl_add_u64 v[28:29], v[26:27], 1, s[14:15]
	v_lshl_add_u64 v[26:27], v[30:31], 1, s[14:15]
	global_load_ushort v30, v[28:29], off
	global_load_ushort v31, v[26:27], off
	v_mov_b64_e32 v[64:65], 1
	s_waitcnt vmcnt(0)
	v_cmp_eq_u16_e32 vcc, v30, v31
	s_and_saveexec_b64 s[24:25], vcc
	s_cbranch_execz .LBB1405_254
; %bb.247:
	s_add_u32 s26, s12, -1
	v_lshl_add_u64 v[26:27], v[26:27], 0, 2
	v_lshl_add_u64 v[28:29], v[28:29], 0, 2
	s_addc_u32 s27, s13, -1
	s_mov_b64 s[28:29], 0
	s_mov_b64 s[34:35], 0
                                        ; implicit-def: $sgpr30_sgpr31
	s_branch .LBB1405_250
.LBB1405_248:                           ;   in Loop: Header=BB1405_250 Depth=1
	global_load_ushort v30, v[28:29], off
	global_load_ushort v31, v[26:27], off
	s_add_u32 s34, s34, 1
	s_addc_u32 s35, s35, 0
	s_andn2_b64 s[30:31], s[30:31], exec
	v_lshl_add_u64 v[26:27], v[26:27], 0, 2
	v_lshl_add_u64 v[28:29], v[28:29], 0, 2
	s_waitcnt vmcnt(0)
	v_cmp_ne_u16_e32 vcc, v30, v31
	s_and_b64 s[36:37], vcc, exec
	s_or_b64 s[30:31], s[30:31], s[36:37]
.LBB1405_249:                           ;   in Loop: Header=BB1405_250 Depth=1
	s_and_b64 s[36:37], exec, s[30:31]
	s_or_b64 s[28:29], s[36:37], s[28:29]
	v_mov_b64_e32 v[30:31], s[34:35]
	s_andn2_b64 exec, exec, s[28:29]
	s_cbranch_execz .LBB1405_253
.LBB1405_250:                           ; =>This Inner Loop Header: Depth=1
	s_or_b64 s[30:31], s[30:31], exec
	s_cmp_eq_u64 s[26:27], s[34:35]
	s_cbranch_scc0 .LBB1405_248
; %bb.251:                              ;   in Loop: Header=BB1405_250 Depth=1
                                        ; implicit-def: $vgpr26_vgpr27
                                        ; implicit-def: $vgpr28_vgpr29
	s_mov_b64 s[34:35], s[12:13]
	s_branch .LBB1405_249
.LBB1405_252:
	v_mov_b64_e32 v[64:65], 0
	s_branch .LBB1405_255
.LBB1405_253:
	s_or_b64 exec, exec, s[28:29]
	v_cmp_gt_i64_e32 vcc, s[12:13], v[30:31]
	s_mov_b32 s26, 0
	v_mov_b32_e32 v65, s26
	v_cndmask_b32_e64 v64, 0, 1, vcc
.LBB1405_254:
	s_or_b64 exec, exec, s[24:25]
.LBB1405_255:
	s_or_b64 exec, exec, s[22:23]
	v_add_u32_e32 v26, 3, v1
	v_cmp_gt_u32_e32 vcc, s7, v26
	v_mov_b64_e32 v[66:67], v[8:9]
	s_and_saveexec_b64 s[22:23], vcc
	s_cbranch_execz .LBB1405_266
; %bb.256:
	s_and_b64 vcc, exec, s[2:3]
	s_cbranch_vccnz .LBB1405_263
; %bb.257:
	v_mul_lo_u32 v28, v9, s12
	v_mul_lo_u32 v29, v8, s13
	v_mad_u64_u32 v[26:27], s[24:25], v8, s12, 0
	v_add3_u32 v27, v27, v29, v28
	v_mul_lo_u32 v28, v7, s12
	v_mul_lo_u32 v29, v6, s13
	v_mad_u64_u32 v[30:31], s[24:25], v6, s12, 0
	v_add3_u32 v31, v31, v29, v28
	v_lshl_add_u64 v[28:29], v[26:27], 1, s[14:15]
	v_lshl_add_u64 v[26:27], v[30:31], 1, s[14:15]
	global_load_ushort v30, v[28:29], off
	global_load_ushort v31, v[26:27], off
	v_mov_b64_e32 v[66:67], 1
	s_waitcnt vmcnt(0)
	v_cmp_eq_u16_e32 vcc, v30, v31
	s_and_saveexec_b64 s[24:25], vcc
	s_cbranch_execz .LBB1405_265
; %bb.258:
	s_add_u32 s26, s12, -1
	v_lshl_add_u64 v[26:27], v[26:27], 0, 2
	v_lshl_add_u64 v[28:29], v[28:29], 0, 2
	s_addc_u32 s27, s13, -1
	s_mov_b64 s[28:29], 0
	s_mov_b64 s[34:35], 0
                                        ; implicit-def: $sgpr30_sgpr31
	s_branch .LBB1405_261
.LBB1405_259:                           ;   in Loop: Header=BB1405_261 Depth=1
	global_load_ushort v30, v[28:29], off
	global_load_ushort v31, v[26:27], off
	s_add_u32 s34, s34, 1
	s_addc_u32 s35, s35, 0
	s_andn2_b64 s[30:31], s[30:31], exec
	v_lshl_add_u64 v[26:27], v[26:27], 0, 2
	v_lshl_add_u64 v[28:29], v[28:29], 0, 2
	s_waitcnt vmcnt(0)
	v_cmp_ne_u16_e32 vcc, v30, v31
	s_and_b64 s[36:37], vcc, exec
	s_or_b64 s[30:31], s[30:31], s[36:37]
.LBB1405_260:                           ;   in Loop: Header=BB1405_261 Depth=1
	s_and_b64 s[36:37], exec, s[30:31]
	s_or_b64 s[28:29], s[36:37], s[28:29]
	v_mov_b64_e32 v[30:31], s[34:35]
	s_andn2_b64 exec, exec, s[28:29]
	s_cbranch_execz .LBB1405_264
.LBB1405_261:                           ; =>This Inner Loop Header: Depth=1
	s_or_b64 s[30:31], s[30:31], exec
	s_cmp_eq_u64 s[26:27], s[34:35]
	s_cbranch_scc0 .LBB1405_259
; %bb.262:                              ;   in Loop: Header=BB1405_261 Depth=1
                                        ; implicit-def: $vgpr26_vgpr27
                                        ; implicit-def: $vgpr28_vgpr29
	s_mov_b64 s[34:35], s[12:13]
	s_branch .LBB1405_260
.LBB1405_263:
	v_mov_b64_e32 v[66:67], 0
	s_branch .LBB1405_266
.LBB1405_264:
	s_or_b64 exec, exec, s[28:29]
	v_cmp_gt_i64_e32 vcc, s[12:13], v[30:31]
	s_mov_b32 s26, 0
	v_mov_b32_e32 v67, s26
	v_cndmask_b32_e64 v66, 0, 1, vcc
.LBB1405_265:
	s_or_b64 exec, exec, s[24:25]
.LBB1405_266:
	s_or_b64 exec, exec, s[22:23]
	v_add_u32_e32 v26, 2, v1
	v_cmp_gt_u32_e32 vcc, s7, v26
	v_mov_b64_e32 v[68:69], v[6:7]
	s_and_saveexec_b64 s[22:23], vcc
	s_cbranch_execz .LBB1405_277
; %bb.267:
	s_and_b64 vcc, exec, s[2:3]
	s_cbranch_vccnz .LBB1405_274
; %bb.268:
	v_mul_lo_u32 v28, v7, s12
	v_mul_lo_u32 v29, v6, s13
	v_mad_u64_u32 v[26:27], s[24:25], v6, s12, 0
	v_add3_u32 v27, v27, v29, v28
	v_mul_lo_u32 v28, v5, s12
	v_mul_lo_u32 v29, v4, s13
	v_mad_u64_u32 v[30:31], s[24:25], v4, s12, 0
	v_add3_u32 v31, v31, v29, v28
	v_lshl_add_u64 v[28:29], v[26:27], 1, s[14:15]
	v_lshl_add_u64 v[26:27], v[30:31], 1, s[14:15]
	global_load_ushort v30, v[28:29], off
	global_load_ushort v31, v[26:27], off
	v_mov_b64_e32 v[68:69], 1
	s_waitcnt vmcnt(0)
	v_cmp_eq_u16_e32 vcc, v30, v31
	s_and_saveexec_b64 s[24:25], vcc
	s_cbranch_execz .LBB1405_276
; %bb.269:
	s_add_u32 s26, s12, -1
	v_lshl_add_u64 v[26:27], v[26:27], 0, 2
	v_lshl_add_u64 v[28:29], v[28:29], 0, 2
	s_addc_u32 s27, s13, -1
	s_mov_b64 s[28:29], 0
	s_mov_b64 s[34:35], 0
                                        ; implicit-def: $sgpr30_sgpr31
	s_branch .LBB1405_272
.LBB1405_270:                           ;   in Loop: Header=BB1405_272 Depth=1
	global_load_ushort v30, v[28:29], off
	global_load_ushort v31, v[26:27], off
	s_add_u32 s34, s34, 1
	s_addc_u32 s35, s35, 0
	s_andn2_b64 s[30:31], s[30:31], exec
	v_lshl_add_u64 v[26:27], v[26:27], 0, 2
	v_lshl_add_u64 v[28:29], v[28:29], 0, 2
	s_waitcnt vmcnt(0)
	v_cmp_ne_u16_e32 vcc, v30, v31
	s_and_b64 s[36:37], vcc, exec
	s_or_b64 s[30:31], s[30:31], s[36:37]
.LBB1405_271:                           ;   in Loop: Header=BB1405_272 Depth=1
	s_and_b64 s[36:37], exec, s[30:31]
	s_or_b64 s[28:29], s[36:37], s[28:29]
	v_mov_b64_e32 v[30:31], s[34:35]
	s_andn2_b64 exec, exec, s[28:29]
	s_cbranch_execz .LBB1405_275
.LBB1405_272:                           ; =>This Inner Loop Header: Depth=1
	s_or_b64 s[30:31], s[30:31], exec
	s_cmp_eq_u64 s[26:27], s[34:35]
	s_cbranch_scc0 .LBB1405_270
; %bb.273:                              ;   in Loop: Header=BB1405_272 Depth=1
                                        ; implicit-def: $vgpr26_vgpr27
                                        ; implicit-def: $vgpr28_vgpr29
	s_mov_b64 s[34:35], s[12:13]
	s_branch .LBB1405_271
.LBB1405_274:
	v_mov_b64_e32 v[68:69], 0
	s_branch .LBB1405_277
.LBB1405_275:
	s_or_b64 exec, exec, s[28:29]
	v_cmp_gt_i64_e32 vcc, s[12:13], v[30:31]
	s_mov_b32 s26, 0
	v_mov_b32_e32 v69, s26
	v_cndmask_b32_e64 v68, 0, 1, vcc
.LBB1405_276:
	s_or_b64 exec, exec, s[24:25]
.LBB1405_277:
	s_or_b64 exec, exec, s[22:23]
	v_add_u32_e32 v26, 1, v1
	v_cmp_gt_u32_e32 vcc, s7, v26
	v_mov_b64_e32 v[70:71], v[4:5]
	s_and_saveexec_b64 s[22:23], vcc
	s_cbranch_execz .LBB1405_288
; %bb.278:
	s_and_b64 vcc, exec, s[2:3]
	s_cbranch_vccnz .LBB1405_285
; %bb.279:
	v_mul_lo_u32 v28, v5, s12
	v_mul_lo_u32 v29, v4, s13
	v_mad_u64_u32 v[26:27], s[24:25], v4, s12, 0
	v_add3_u32 v27, v27, v29, v28
	v_mul_lo_u32 v28, v3, s12
	v_mul_lo_u32 v29, v2, s13
	v_mad_u64_u32 v[30:31], s[24:25], v2, s12, 0
	v_add3_u32 v31, v31, v29, v28
	v_lshl_add_u64 v[28:29], v[26:27], 1, s[14:15]
	v_lshl_add_u64 v[26:27], v[30:31], 1, s[14:15]
	global_load_ushort v30, v[28:29], off
	global_load_ushort v31, v[26:27], off
	v_mov_b64_e32 v[70:71], 1
	s_waitcnt vmcnt(0)
	v_cmp_eq_u16_e32 vcc, v30, v31
	s_and_saveexec_b64 s[24:25], vcc
	s_cbranch_execz .LBB1405_287
; %bb.280:
	s_add_u32 s26, s12, -1
	v_lshl_add_u64 v[26:27], v[26:27], 0, 2
	v_lshl_add_u64 v[28:29], v[28:29], 0, 2
	s_addc_u32 s27, s13, -1
	s_mov_b64 s[28:29], 0
	s_mov_b64 s[34:35], 0
                                        ; implicit-def: $sgpr30_sgpr31
	s_branch .LBB1405_283
.LBB1405_281:                           ;   in Loop: Header=BB1405_283 Depth=1
	global_load_ushort v30, v[28:29], off
	global_load_ushort v31, v[26:27], off
	s_add_u32 s34, s34, 1
	s_addc_u32 s35, s35, 0
	s_andn2_b64 s[30:31], s[30:31], exec
	v_lshl_add_u64 v[26:27], v[26:27], 0, 2
	v_lshl_add_u64 v[28:29], v[28:29], 0, 2
	s_waitcnt vmcnt(0)
	v_cmp_ne_u16_e32 vcc, v30, v31
	s_and_b64 s[36:37], vcc, exec
	s_or_b64 s[30:31], s[30:31], s[36:37]
.LBB1405_282:                           ;   in Loop: Header=BB1405_283 Depth=1
	s_and_b64 s[36:37], exec, s[30:31]
	s_or_b64 s[28:29], s[36:37], s[28:29]
	v_mov_b64_e32 v[30:31], s[34:35]
	s_andn2_b64 exec, exec, s[28:29]
	s_cbranch_execz .LBB1405_286
.LBB1405_283:                           ; =>This Inner Loop Header: Depth=1
	s_or_b64 s[30:31], s[30:31], exec
	s_cmp_eq_u64 s[26:27], s[34:35]
	s_cbranch_scc0 .LBB1405_281
; %bb.284:                              ;   in Loop: Header=BB1405_283 Depth=1
                                        ; implicit-def: $vgpr26_vgpr27
                                        ; implicit-def: $vgpr28_vgpr29
	s_mov_b64 s[34:35], s[12:13]
	s_branch .LBB1405_282
.LBB1405_285:
	v_mov_b64_e32 v[70:71], 0
	s_branch .LBB1405_288
.LBB1405_286:
	s_or_b64 exec, exec, s[28:29]
	v_cmp_gt_i64_e32 vcc, s[12:13], v[30:31]
	s_mov_b32 s26, 0
	v_mov_b32_e32 v71, s26
	v_cndmask_b32_e64 v70, 0, 1, vcc
.LBB1405_287:
	s_or_b64 exec, exec, s[24:25]
.LBB1405_288:
	s_or_b64 exec, exec, s[22:23]
	v_cmp_ne_u32_e32 vcc, 0, v0
	v_mov_b64_e32 v[26:27], s[20:21]
	s_waitcnt lgkmcnt(0)
	; wave barrier
	s_waitcnt lgkmcnt(0)
	s_and_saveexec_b64 s[20:21], vcc
	s_cbranch_execz .LBB1405_290
; %bb.289:
	v_add_u32_e32 v26, -8, v48
	ds_read_b64 v[26:27], v26
.LBB1405_290:
	s_or_b64 exec, exec, s[20:21]
	v_cmp_gt_u32_e32 vcc, s7, v1
                                        ; implicit-def: $sgpr24_sgpr25
	s_and_saveexec_b64 s[20:21], vcc
	s_cbranch_execz .LBB1405_302
; %bb.291:
	s_and_b64 vcc, exec, s[2:3]
	s_cbranch_vccnz .LBB1405_298
; %bb.292:
	v_mul_lo_u32 v1, v3, s12
	v_mul_lo_u32 v30, v2, s13
	v_mad_u64_u32 v[28:29], s[2:3], v2, s12, 0
	v_add3_u32 v29, v29, v30, v1
	s_waitcnt lgkmcnt(0)
	v_mul_lo_u32 v1, v27, s12
	v_mul_lo_u32 v30, v26, s13
	v_mad_u64_u32 v[26:27], s[2:3], v26, s12, 0
	v_add3_u32 v27, v27, v30, v1
	v_lshl_add_u64 v[28:29], v[28:29], 1, s[14:15]
	v_lshl_add_u64 v[26:27], v[26:27], 1, s[14:15]
	global_load_ushort v1, v[28:29], off
	global_load_ushort v30, v[26:27], off
	s_mov_b64 s[22:23], -1
	s_waitcnt vmcnt(0)
	v_cmp_eq_u16_e32 vcc, v1, v30
	s_and_saveexec_b64 s[2:3], vcc
	s_cbranch_execz .LBB1405_300
; %bb.293:
	s_add_u32 s22, s12, -1
	v_lshl_add_u64 v[26:27], v[26:27], 0, 2
	v_lshl_add_u64 v[28:29], v[28:29], 0, 2
	s_addc_u32 s23, s13, -1
	s_mov_b64 s[24:25], 0
	s_mov_b64 s[28:29], 0
                                        ; implicit-def: $sgpr26_sgpr27
	s_branch .LBB1405_296
.LBB1405_294:                           ;   in Loop: Header=BB1405_296 Depth=1
	global_load_ushort v1, v[28:29], off
	global_load_ushort v30, v[26:27], off
	s_add_u32 s28, s28, 1
	s_addc_u32 s29, s29, 0
	s_andn2_b64 s[26:27], s[26:27], exec
	v_lshl_add_u64 v[26:27], v[26:27], 0, 2
	v_lshl_add_u64 v[28:29], v[28:29], 0, 2
	s_waitcnt vmcnt(0)
	v_cmp_ne_u16_e32 vcc, v1, v30
	s_and_b64 s[30:31], vcc, exec
	s_or_b64 s[26:27], s[26:27], s[30:31]
.LBB1405_295:                           ;   in Loop: Header=BB1405_296 Depth=1
	s_and_b64 s[30:31], exec, s[26:27]
	s_or_b64 s[24:25], s[30:31], s[24:25]
	v_mov_b64_e32 v[30:31], s[28:29]
	s_andn2_b64 exec, exec, s[24:25]
	s_cbranch_execz .LBB1405_299
.LBB1405_296:                           ; =>This Inner Loop Header: Depth=1
	s_or_b64 s[26:27], s[26:27], exec
	s_cmp_eq_u64 s[22:23], s[28:29]
	s_cbranch_scc0 .LBB1405_294
; %bb.297:                              ;   in Loop: Header=BB1405_296 Depth=1
                                        ; implicit-def: $vgpr26_vgpr27
                                        ; implicit-def: $vgpr28_vgpr29
	s_mov_b64 s[28:29], s[12:13]
	s_branch .LBB1405_295
.LBB1405_298:
	s_mov_b64 s[22:23], 0
	s_branch .LBB1405_301
.LBB1405_299:
	s_or_b64 exec, exec, s[24:25]
	v_cmp_gt_i64_e32 vcc, s[12:13], v[30:31]
	s_orn2_b64 s[22:23], vcc, exec
.LBB1405_300:
	s_or_b64 exec, exec, s[2:3]
.LBB1405_301:
	s_and_b64 s[24:25], s[22:23], exec
	s_or_b64 s[18:19], s[18:19], exec
.LBB1405_302:
	s_or_b64 exec, exec, s[20:21]
	v_mov_b64_e32 v[72:73], v[52:53]
	s_waitcnt lgkmcnt(0)
	v_mov_b64_e32 v[26:27], v[46:47]
	v_mov_b64_e32 v[82:83], v[70:71]
	;; [unrolled: 1-line block ×10, first 2 shown]
	s_branch .LBB1405_572
.LBB1405_303:
	s_cmp_lg_u64 s[4:5], 1
	s_cbranch_scc0 .LBB1405_311
; %bb.304:
	v_mul_lo_u32 v1, v25, s12
	v_mul_lo_u32 v28, v24, s13
	s_waitcnt lgkmcnt(0)
	v_mad_u64_u32 v[26:27], s[20:21], v24, s12, 0
	v_mov_b64_e32 v[46:47], 0
	v_cmp_lt_i64_e64 s[2:3], s[12:13], 1
	v_add3_u32 v27, v27, v28, v1
	v_cmp_gt_i64_e64 s[4:5], s[12:13], 0
	s_and_b64 vcc, exec, s[2:3]
	v_lshl_add_u64 v[26:27], v[26:27], 1, s[14:15]
	v_mov_b64_e32 v[50:51], v[46:47]
	ds_write_b64 v48, v[44:45]
	s_cbranch_vccnz .LBB1405_314
; %bb.305:
	v_mul_lo_u32 v1, v45, s12
	v_mul_lo_u32 v30, v44, s13
	v_mad_u64_u32 v[28:29], s[2:3], v44, s12, 0
	v_add3_u32 v29, v29, v30, v1
	v_lshl_add_u64 v[30:31], v[28:29], 1, s[14:15]
	global_load_ushort v1, v[30:31], off
	global_load_ushort v28, v[26:27], off
	v_mov_b64_e32 v[50:51], 1
	s_waitcnt vmcnt(0)
	v_cmp_eq_u16_e32 vcc, v1, v28
	s_and_saveexec_b64 s[2:3], vcc
	s_cbranch_execz .LBB1405_313
; %bb.306:
	s_add_u32 s20, s12, -1
	v_lshl_add_u64 v[28:29], v[26:27], 0, 2
	v_lshl_add_u64 v[30:31], v[30:31], 0, 2
	s_addc_u32 s21, s13, -1
	s_mov_b64 s[22:23], 0
	s_mov_b64 s[26:27], 0
                                        ; implicit-def: $sgpr24_sgpr25
	s_branch .LBB1405_309
.LBB1405_307:                           ;   in Loop: Header=BB1405_309 Depth=1
	global_load_ushort v1, v[30:31], off
	global_load_ushort v32, v[28:29], off
	s_add_u32 s26, s26, 1
	s_addc_u32 s27, s27, 0
	s_andn2_b64 s[24:25], s[24:25], exec
	v_lshl_add_u64 v[28:29], v[28:29], 0, 2
	v_lshl_add_u64 v[30:31], v[30:31], 0, 2
	s_waitcnt vmcnt(0)
	v_cmp_ne_u16_e32 vcc, v1, v32
	s_and_b64 s[28:29], vcc, exec
	s_or_b64 s[24:25], s[24:25], s[28:29]
.LBB1405_308:                           ;   in Loop: Header=BB1405_309 Depth=1
	s_and_b64 s[28:29], exec, s[24:25]
	s_or_b64 s[22:23], s[28:29], s[22:23]
	v_mov_b64_e32 v[32:33], s[26:27]
	s_andn2_b64 exec, exec, s[22:23]
	s_cbranch_execz .LBB1405_312
.LBB1405_309:                           ; =>This Inner Loop Header: Depth=1
	s_or_b64 s[24:25], s[24:25], exec
	s_cmp_eq_u64 s[20:21], s[26:27]
	s_cbranch_scc0 .LBB1405_307
; %bb.310:                              ;   in Loop: Header=BB1405_309 Depth=1
                                        ; implicit-def: $vgpr28_vgpr29
                                        ; implicit-def: $vgpr30_vgpr31
	s_mov_b64 s[26:27], s[12:13]
	s_branch .LBB1405_308
.LBB1405_311:
                                        ; implicit-def: $vgpr26_vgpr27_vgpr28_vgpr29
                                        ; implicit-def: $sgpr24_sgpr25
                                        ; implicit-def: $vgpr50_vgpr51
                                        ; implicit-def: $vgpr52_vgpr53
                                        ; implicit-def: $vgpr46_vgpr47
                                        ; implicit-def: $vgpr70_vgpr71
                                        ; implicit-def: $vgpr68_vgpr69
                                        ; implicit-def: $vgpr66_vgpr67
                                        ; implicit-def: $vgpr64_vgpr65
                                        ; implicit-def: $vgpr62_vgpr63
                                        ; implicit-def: $vgpr60_vgpr61
                                        ; implicit-def: $vgpr58_vgpr59
                                        ; implicit-def: $vgpr56_vgpr57
                                        ; implicit-def: $vgpr54_vgpr55
                                        ; implicit-def: $vgpr72_vgpr73
                                        ; implicit-def: $vgpr82_vgpr83
                                        ; implicit-def: $vgpr74_vgpr75
                                        ; implicit-def: $vgpr76_vgpr77
                                        ; implicit-def: $vgpr78_vgpr79
                                        ; implicit-def: $vgpr80_vgpr81
                                        ; implicit-def: $vgpr28_vgpr29_vgpr30_vgpr31
                                        ; implicit-def: $vgpr32_vgpr33_vgpr34_vgpr35
                                        ; implicit-def: $vgpr36_vgpr37_vgpr38_vgpr39
                                        ; implicit-def: $vgpr40_vgpr41_vgpr42_vgpr43
	s_cbranch_execnz .LBB1405_427
	s_branch .LBB1405_572
.LBB1405_312:
	s_or_b64 exec, exec, s[22:23]
	v_cmp_gt_i64_e32 vcc, s[12:13], v[32:33]
	s_mov_b32 s7, 0
	v_mov_b32_e32 v51, s7
	v_cndmask_b32_e64 v50, 0, 1, vcc
.LBB1405_313:
	s_or_b64 exec, exec, s[2:3]
.LBB1405_314:
	v_mul_lo_u32 v1, v23, s12
	v_mul_lo_u32 v30, v22, s13
	v_mad_u64_u32 v[28:29], s[2:3], v22, s12, 0
	v_add3_u32 v29, v29, v30, v1
	v_cndmask_b32_e64 v1, 0, 1, s[4:5]
	v_cmp_ne_u32_e64 s[2:3], 1, v1
	s_andn2_b64 vcc, exec, s[4:5]
	v_lshl_add_u64 v[28:29], v[28:29], 1, s[14:15]
	v_mov_b64_e32 v[52:53], v[46:47]
	s_cbranch_vccnz .LBB1405_323
; %bb.315:
	global_load_ushort v1, v[26:27], off
	global_load_ushort v30, v[28:29], off
	v_mov_b64_e32 v[52:53], 1
	s_waitcnt vmcnt(0)
	v_cmp_eq_u16_e32 vcc, v1, v30
	s_and_saveexec_b64 s[4:5], vcc
	s_cbranch_execz .LBB1405_322
; %bb.316:
	s_add_u32 s20, s12, -1
	v_lshl_add_u64 v[30:31], v[28:29], 0, 2
	v_lshl_add_u64 v[26:27], v[26:27], 0, 2
	s_addc_u32 s21, s13, -1
	s_mov_b64 s[22:23], 0
	s_mov_b64 s[26:27], 0
                                        ; implicit-def: $sgpr24_sgpr25
	s_branch .LBB1405_319
.LBB1405_317:                           ;   in Loop: Header=BB1405_319 Depth=1
	global_load_ushort v1, v[26:27], off
	global_load_ushort v32, v[30:31], off
	s_add_u32 s26, s26, 1
	s_addc_u32 s27, s27, 0
	s_andn2_b64 s[24:25], s[24:25], exec
	v_lshl_add_u64 v[30:31], v[30:31], 0, 2
	v_lshl_add_u64 v[26:27], v[26:27], 0, 2
	s_waitcnt vmcnt(0)
	v_cmp_ne_u16_e32 vcc, v1, v32
	s_and_b64 s[28:29], vcc, exec
	s_or_b64 s[24:25], s[24:25], s[28:29]
.LBB1405_318:                           ;   in Loop: Header=BB1405_319 Depth=1
	s_and_b64 s[28:29], exec, s[24:25]
	s_or_b64 s[22:23], s[28:29], s[22:23]
	v_mov_b64_e32 v[32:33], s[26:27]
	s_andn2_b64 exec, exec, s[22:23]
	s_cbranch_execz .LBB1405_321
.LBB1405_319:                           ; =>This Inner Loop Header: Depth=1
	s_or_b64 s[24:25], s[24:25], exec
	s_cmp_eq_u64 s[20:21], s[26:27]
	s_cbranch_scc0 .LBB1405_317
; %bb.320:                              ;   in Loop: Header=BB1405_319 Depth=1
                                        ; implicit-def: $vgpr30_vgpr31
                                        ; implicit-def: $vgpr26_vgpr27
	s_mov_b64 s[26:27], s[12:13]
	s_branch .LBB1405_318
.LBB1405_321:
	s_or_b64 exec, exec, s[22:23]
	v_cmp_gt_i64_e32 vcc, s[12:13], v[32:33]
	s_mov_b32 s7, 0
	v_mov_b32_e32 v53, s7
	v_cndmask_b32_e64 v52, 0, 1, vcc
.LBB1405_322:
	s_or_b64 exec, exec, s[4:5]
.LBB1405_323:
	v_mul_lo_u32 v1, v21, s12
	v_mul_lo_u32 v30, v20, s13
	v_mad_u64_u32 v[26:27], s[4:5], v20, s12, 0
	v_add3_u32 v27, v27, v30, v1
	s_and_b64 vcc, exec, s[2:3]
	v_lshl_add_u64 v[26:27], v[26:27], 1, s[14:15]
	s_cbranch_vccnz .LBB1405_332
; %bb.324:
	global_load_ushort v1, v[28:29], off
	global_load_ushort v30, v[26:27], off
	v_mov_b64_e32 v[46:47], 1
	s_waitcnt vmcnt(0)
	v_cmp_eq_u16_e32 vcc, v1, v30
	s_and_saveexec_b64 s[4:5], vcc
	s_cbranch_execz .LBB1405_331
; %bb.325:
	s_add_u32 s20, s12, -1
	v_lshl_add_u64 v[30:31], v[26:27], 0, 2
	v_lshl_add_u64 v[28:29], v[28:29], 0, 2
	s_addc_u32 s21, s13, -1
	s_mov_b64 s[22:23], 0
	s_mov_b64 s[26:27], 0
                                        ; implicit-def: $sgpr24_sgpr25
	s_branch .LBB1405_328
.LBB1405_326:                           ;   in Loop: Header=BB1405_328 Depth=1
	global_load_ushort v1, v[28:29], off
	global_load_ushort v32, v[30:31], off
	s_add_u32 s26, s26, 1
	s_addc_u32 s27, s27, 0
	s_andn2_b64 s[24:25], s[24:25], exec
	v_lshl_add_u64 v[30:31], v[30:31], 0, 2
	v_lshl_add_u64 v[28:29], v[28:29], 0, 2
	s_waitcnt vmcnt(0)
	v_cmp_ne_u16_e32 vcc, v1, v32
	s_and_b64 s[28:29], vcc, exec
	s_or_b64 s[24:25], s[24:25], s[28:29]
.LBB1405_327:                           ;   in Loop: Header=BB1405_328 Depth=1
	s_and_b64 s[28:29], exec, s[24:25]
	s_or_b64 s[22:23], s[28:29], s[22:23]
	v_mov_b64_e32 v[32:33], s[26:27]
	s_andn2_b64 exec, exec, s[22:23]
	s_cbranch_execz .LBB1405_330
.LBB1405_328:                           ; =>This Inner Loop Header: Depth=1
	s_or_b64 s[24:25], s[24:25], exec
	s_cmp_eq_u64 s[20:21], s[26:27]
	s_cbranch_scc0 .LBB1405_326
; %bb.329:                              ;   in Loop: Header=BB1405_328 Depth=1
                                        ; implicit-def: $vgpr30_vgpr31
                                        ; implicit-def: $vgpr28_vgpr29
	s_mov_b64 s[26:27], s[12:13]
	s_branch .LBB1405_327
.LBB1405_330:
	s_or_b64 exec, exec, s[22:23]
	v_cmp_gt_i64_e32 vcc, s[12:13], v[32:33]
	s_mov_b32 s7, 0
	v_mov_b32_e32 v47, s7
	v_cndmask_b32_e64 v46, 0, 1, vcc
.LBB1405_331:
	s_or_b64 exec, exec, s[4:5]
.LBB1405_332:
	v_mul_lo_u32 v1, v19, s12
	v_mul_lo_u32 v30, v18, s13
	v_mad_u64_u32 v[28:29], s[4:5], v18, s12, 0
	v_add3_u32 v29, v29, v30, v1
	v_mov_b64_e32 v[56:57], 0
	s_and_b64 vcc, exec, s[2:3]
	v_lshl_add_u64 v[28:29], v[28:29], 1, s[14:15]
	v_mov_b64_e32 v[54:55], v[56:57]
	s_cbranch_vccnz .LBB1405_341
; %bb.333:
	global_load_ushort v1, v[26:27], off
	global_load_ushort v30, v[28:29], off
	v_mov_b64_e32 v[54:55], 1
	s_waitcnt vmcnt(0)
	v_cmp_eq_u16_e32 vcc, v1, v30
	s_and_saveexec_b64 s[4:5], vcc
	s_cbranch_execz .LBB1405_340
; %bb.334:
	s_add_u32 s20, s12, -1
	v_lshl_add_u64 v[30:31], v[28:29], 0, 2
	v_lshl_add_u64 v[26:27], v[26:27], 0, 2
	s_addc_u32 s21, s13, -1
	s_mov_b64 s[22:23], 0
	s_mov_b64 s[26:27], 0
                                        ; implicit-def: $sgpr24_sgpr25
	s_branch .LBB1405_337
.LBB1405_335:                           ;   in Loop: Header=BB1405_337 Depth=1
	global_load_ushort v1, v[26:27], off
	global_load_ushort v32, v[30:31], off
	s_add_u32 s26, s26, 1
	s_addc_u32 s27, s27, 0
	s_andn2_b64 s[24:25], s[24:25], exec
	v_lshl_add_u64 v[30:31], v[30:31], 0, 2
	v_lshl_add_u64 v[26:27], v[26:27], 0, 2
	s_waitcnt vmcnt(0)
	v_cmp_ne_u16_e32 vcc, v1, v32
	s_and_b64 s[28:29], vcc, exec
	s_or_b64 s[24:25], s[24:25], s[28:29]
.LBB1405_336:                           ;   in Loop: Header=BB1405_337 Depth=1
	s_and_b64 s[28:29], exec, s[24:25]
	s_or_b64 s[22:23], s[28:29], s[22:23]
	v_mov_b64_e32 v[32:33], s[26:27]
	s_andn2_b64 exec, exec, s[22:23]
	s_cbranch_execz .LBB1405_339
.LBB1405_337:                           ; =>This Inner Loop Header: Depth=1
	s_or_b64 s[24:25], s[24:25], exec
	s_cmp_eq_u64 s[20:21], s[26:27]
	s_cbranch_scc0 .LBB1405_335
; %bb.338:                              ;   in Loop: Header=BB1405_337 Depth=1
                                        ; implicit-def: $vgpr30_vgpr31
                                        ; implicit-def: $vgpr26_vgpr27
	s_mov_b64 s[26:27], s[12:13]
	s_branch .LBB1405_336
.LBB1405_339:
	s_or_b64 exec, exec, s[22:23]
	v_cmp_gt_i64_e32 vcc, s[12:13], v[32:33]
	s_mov_b32 s7, 0
	v_mov_b32_e32 v55, s7
	v_cndmask_b32_e64 v54, 0, 1, vcc
.LBB1405_340:
	s_or_b64 exec, exec, s[4:5]
.LBB1405_341:
	v_mul_lo_u32 v1, v17, s12
	v_mul_lo_u32 v30, v16, s13
	v_mad_u64_u32 v[26:27], s[4:5], v16, s12, 0
	v_add3_u32 v27, v27, v30, v1
	s_and_b64 vcc, exec, s[2:3]
	v_lshl_add_u64 v[26:27], v[26:27], 1, s[14:15]
	s_cbranch_vccnz .LBB1405_350
; %bb.342:
	global_load_ushort v1, v[28:29], off
	global_load_ushort v30, v[26:27], off
	v_mov_b64_e32 v[56:57], 1
	s_waitcnt vmcnt(0)
	v_cmp_eq_u16_e32 vcc, v1, v30
	s_and_saveexec_b64 s[4:5], vcc
	s_cbranch_execz .LBB1405_349
; %bb.343:
	s_add_u32 s20, s12, -1
	v_lshl_add_u64 v[30:31], v[26:27], 0, 2
	v_lshl_add_u64 v[28:29], v[28:29], 0, 2
	s_addc_u32 s21, s13, -1
	s_mov_b64 s[22:23], 0
	s_mov_b64 s[26:27], 0
                                        ; implicit-def: $sgpr24_sgpr25
	s_branch .LBB1405_346
.LBB1405_344:                           ;   in Loop: Header=BB1405_346 Depth=1
	global_load_ushort v1, v[28:29], off
	global_load_ushort v32, v[30:31], off
	s_add_u32 s26, s26, 1
	s_addc_u32 s27, s27, 0
	s_andn2_b64 s[24:25], s[24:25], exec
	v_lshl_add_u64 v[30:31], v[30:31], 0, 2
	v_lshl_add_u64 v[28:29], v[28:29], 0, 2
	s_waitcnt vmcnt(0)
	v_cmp_ne_u16_e32 vcc, v1, v32
	s_and_b64 s[28:29], vcc, exec
	s_or_b64 s[24:25], s[24:25], s[28:29]
.LBB1405_345:                           ;   in Loop: Header=BB1405_346 Depth=1
	s_and_b64 s[28:29], exec, s[24:25]
	s_or_b64 s[22:23], s[28:29], s[22:23]
	v_mov_b64_e32 v[32:33], s[26:27]
	s_andn2_b64 exec, exec, s[22:23]
	s_cbranch_execz .LBB1405_348
.LBB1405_346:                           ; =>This Inner Loop Header: Depth=1
	s_or_b64 s[24:25], s[24:25], exec
	s_cmp_eq_u64 s[20:21], s[26:27]
	s_cbranch_scc0 .LBB1405_344
; %bb.347:                              ;   in Loop: Header=BB1405_346 Depth=1
                                        ; implicit-def: $vgpr30_vgpr31
                                        ; implicit-def: $vgpr28_vgpr29
	s_mov_b64 s[26:27], s[12:13]
	s_branch .LBB1405_345
.LBB1405_348:
	s_or_b64 exec, exec, s[22:23]
	v_cmp_gt_i64_e32 vcc, s[12:13], v[32:33]
	s_mov_b32 s7, 0
	v_mov_b32_e32 v57, s7
	v_cndmask_b32_e64 v56, 0, 1, vcc
.LBB1405_349:
	s_or_b64 exec, exec, s[4:5]
.LBB1405_350:
	v_mul_lo_u32 v1, v15, s12
	v_mul_lo_u32 v30, v14, s13
	v_mad_u64_u32 v[28:29], s[4:5], v14, s12, 0
	v_add3_u32 v29, v29, v30, v1
	v_mov_b64_e32 v[60:61], 0
	s_and_b64 vcc, exec, s[2:3]
	v_lshl_add_u64 v[28:29], v[28:29], 1, s[14:15]
	v_mov_b64_e32 v[58:59], v[60:61]
	s_cbranch_vccnz .LBB1405_359
; %bb.351:
	global_load_ushort v1, v[26:27], off
	global_load_ushort v30, v[28:29], off
	v_mov_b64_e32 v[58:59], 1
	s_waitcnt vmcnt(0)
	v_cmp_eq_u16_e32 vcc, v1, v30
	s_and_saveexec_b64 s[4:5], vcc
	s_cbranch_execz .LBB1405_358
; %bb.352:
	s_add_u32 s20, s12, -1
	v_lshl_add_u64 v[30:31], v[28:29], 0, 2
	v_lshl_add_u64 v[26:27], v[26:27], 0, 2
	s_addc_u32 s21, s13, -1
	s_mov_b64 s[22:23], 0
	s_mov_b64 s[26:27], 0
                                        ; implicit-def: $sgpr24_sgpr25
	s_branch .LBB1405_355
.LBB1405_353:                           ;   in Loop: Header=BB1405_355 Depth=1
	global_load_ushort v1, v[26:27], off
	global_load_ushort v32, v[30:31], off
	s_add_u32 s26, s26, 1
	s_addc_u32 s27, s27, 0
	s_andn2_b64 s[24:25], s[24:25], exec
	v_lshl_add_u64 v[30:31], v[30:31], 0, 2
	v_lshl_add_u64 v[26:27], v[26:27], 0, 2
	s_waitcnt vmcnt(0)
	v_cmp_ne_u16_e32 vcc, v1, v32
	s_and_b64 s[28:29], vcc, exec
	s_or_b64 s[24:25], s[24:25], s[28:29]
.LBB1405_354:                           ;   in Loop: Header=BB1405_355 Depth=1
	s_and_b64 s[28:29], exec, s[24:25]
	s_or_b64 s[22:23], s[28:29], s[22:23]
	v_mov_b64_e32 v[32:33], s[26:27]
	s_andn2_b64 exec, exec, s[22:23]
	s_cbranch_execz .LBB1405_357
.LBB1405_355:                           ; =>This Inner Loop Header: Depth=1
	s_or_b64 s[24:25], s[24:25], exec
	s_cmp_eq_u64 s[20:21], s[26:27]
	s_cbranch_scc0 .LBB1405_353
; %bb.356:                              ;   in Loop: Header=BB1405_355 Depth=1
                                        ; implicit-def: $vgpr30_vgpr31
                                        ; implicit-def: $vgpr26_vgpr27
	s_mov_b64 s[26:27], s[12:13]
	s_branch .LBB1405_354
.LBB1405_357:
	s_or_b64 exec, exec, s[22:23]
	v_cmp_gt_i64_e32 vcc, s[12:13], v[32:33]
	s_mov_b32 s7, 0
	v_mov_b32_e32 v59, s7
	v_cndmask_b32_e64 v58, 0, 1, vcc
.LBB1405_358:
	s_or_b64 exec, exec, s[4:5]
.LBB1405_359:
	v_mul_lo_u32 v1, v13, s12
	v_mul_lo_u32 v30, v12, s13
	v_mad_u64_u32 v[26:27], s[4:5], v12, s12, 0
	v_add3_u32 v27, v27, v30, v1
	s_and_b64 vcc, exec, s[2:3]
	v_lshl_add_u64 v[26:27], v[26:27], 1, s[14:15]
	s_cbranch_vccnz .LBB1405_368
; %bb.360:
	global_load_ushort v1, v[28:29], off
	global_load_ushort v30, v[26:27], off
	v_mov_b64_e32 v[60:61], 1
	s_waitcnt vmcnt(0)
	v_cmp_eq_u16_e32 vcc, v1, v30
	s_and_saveexec_b64 s[4:5], vcc
	s_cbranch_execz .LBB1405_367
; %bb.361:
	s_add_u32 s20, s12, -1
	v_lshl_add_u64 v[30:31], v[26:27], 0, 2
	v_lshl_add_u64 v[28:29], v[28:29], 0, 2
	s_addc_u32 s21, s13, -1
	s_mov_b64 s[22:23], 0
	s_mov_b64 s[26:27], 0
                                        ; implicit-def: $sgpr24_sgpr25
	s_branch .LBB1405_364
.LBB1405_362:                           ;   in Loop: Header=BB1405_364 Depth=1
	global_load_ushort v1, v[28:29], off
	global_load_ushort v32, v[30:31], off
	s_add_u32 s26, s26, 1
	s_addc_u32 s27, s27, 0
	s_andn2_b64 s[24:25], s[24:25], exec
	v_lshl_add_u64 v[30:31], v[30:31], 0, 2
	v_lshl_add_u64 v[28:29], v[28:29], 0, 2
	s_waitcnt vmcnt(0)
	v_cmp_ne_u16_e32 vcc, v1, v32
	s_and_b64 s[28:29], vcc, exec
	s_or_b64 s[24:25], s[24:25], s[28:29]
.LBB1405_363:                           ;   in Loop: Header=BB1405_364 Depth=1
	s_and_b64 s[28:29], exec, s[24:25]
	s_or_b64 s[22:23], s[28:29], s[22:23]
	v_mov_b64_e32 v[32:33], s[26:27]
	s_andn2_b64 exec, exec, s[22:23]
	s_cbranch_execz .LBB1405_366
.LBB1405_364:                           ; =>This Inner Loop Header: Depth=1
	s_or_b64 s[24:25], s[24:25], exec
	s_cmp_eq_u64 s[20:21], s[26:27]
	s_cbranch_scc0 .LBB1405_362
; %bb.365:                              ;   in Loop: Header=BB1405_364 Depth=1
                                        ; implicit-def: $vgpr30_vgpr31
                                        ; implicit-def: $vgpr28_vgpr29
	s_mov_b64 s[26:27], s[12:13]
	s_branch .LBB1405_363
.LBB1405_366:
	s_or_b64 exec, exec, s[22:23]
	v_cmp_gt_i64_e32 vcc, s[12:13], v[32:33]
	s_mov_b32 s7, 0
	v_mov_b32_e32 v61, s7
	v_cndmask_b32_e64 v60, 0, 1, vcc
.LBB1405_367:
	s_or_b64 exec, exec, s[4:5]
.LBB1405_368:
	v_mul_lo_u32 v1, v11, s12
	v_mul_lo_u32 v30, v10, s13
	v_mad_u64_u32 v[28:29], s[4:5], v10, s12, 0
	v_add3_u32 v29, v29, v30, v1
	v_mov_b64_e32 v[64:65], 0
	s_and_b64 vcc, exec, s[2:3]
	v_lshl_add_u64 v[28:29], v[28:29], 1, s[14:15]
	v_mov_b64_e32 v[62:63], v[64:65]
	s_cbranch_vccnz .LBB1405_377
; %bb.369:
	global_load_ushort v1, v[26:27], off
	global_load_ushort v30, v[28:29], off
	v_mov_b64_e32 v[62:63], 1
	s_waitcnt vmcnt(0)
	v_cmp_eq_u16_e32 vcc, v1, v30
	s_and_saveexec_b64 s[4:5], vcc
	s_cbranch_execz .LBB1405_376
; %bb.370:
	s_add_u32 s20, s12, -1
	v_lshl_add_u64 v[30:31], v[28:29], 0, 2
	v_lshl_add_u64 v[26:27], v[26:27], 0, 2
	s_addc_u32 s21, s13, -1
	s_mov_b64 s[22:23], 0
	s_mov_b64 s[26:27], 0
                                        ; implicit-def: $sgpr24_sgpr25
	s_branch .LBB1405_373
.LBB1405_371:                           ;   in Loop: Header=BB1405_373 Depth=1
	global_load_ushort v1, v[26:27], off
	global_load_ushort v32, v[30:31], off
	s_add_u32 s26, s26, 1
	s_addc_u32 s27, s27, 0
	s_andn2_b64 s[24:25], s[24:25], exec
	v_lshl_add_u64 v[30:31], v[30:31], 0, 2
	v_lshl_add_u64 v[26:27], v[26:27], 0, 2
	s_waitcnt vmcnt(0)
	v_cmp_ne_u16_e32 vcc, v1, v32
	s_and_b64 s[28:29], vcc, exec
	s_or_b64 s[24:25], s[24:25], s[28:29]
.LBB1405_372:                           ;   in Loop: Header=BB1405_373 Depth=1
	s_and_b64 s[28:29], exec, s[24:25]
	s_or_b64 s[22:23], s[28:29], s[22:23]
	v_mov_b64_e32 v[32:33], s[26:27]
	s_andn2_b64 exec, exec, s[22:23]
	s_cbranch_execz .LBB1405_375
.LBB1405_373:                           ; =>This Inner Loop Header: Depth=1
	s_or_b64 s[24:25], s[24:25], exec
	s_cmp_eq_u64 s[20:21], s[26:27]
	s_cbranch_scc0 .LBB1405_371
; %bb.374:                              ;   in Loop: Header=BB1405_373 Depth=1
                                        ; implicit-def: $vgpr30_vgpr31
                                        ; implicit-def: $vgpr26_vgpr27
	s_mov_b64 s[26:27], s[12:13]
	s_branch .LBB1405_372
.LBB1405_375:
	s_or_b64 exec, exec, s[22:23]
	v_cmp_gt_i64_e32 vcc, s[12:13], v[32:33]
	s_mov_b32 s7, 0
	v_mov_b32_e32 v63, s7
	v_cndmask_b32_e64 v62, 0, 1, vcc
.LBB1405_376:
	s_or_b64 exec, exec, s[4:5]
.LBB1405_377:
	v_mul_lo_u32 v1, v9, s12
	v_mul_lo_u32 v30, v8, s13
	v_mad_u64_u32 v[26:27], s[4:5], v8, s12, 0
	v_add3_u32 v27, v27, v30, v1
	s_and_b64 vcc, exec, s[2:3]
	v_lshl_add_u64 v[26:27], v[26:27], 1, s[14:15]
	s_cbranch_vccnz .LBB1405_386
; %bb.378:
	global_load_ushort v1, v[28:29], off
	global_load_ushort v30, v[26:27], off
	v_mov_b64_e32 v[64:65], 1
	s_waitcnt vmcnt(0)
	v_cmp_eq_u16_e32 vcc, v1, v30
	s_and_saveexec_b64 s[4:5], vcc
	s_cbranch_execz .LBB1405_385
; %bb.379:
	s_add_u32 s20, s12, -1
	v_lshl_add_u64 v[30:31], v[26:27], 0, 2
	v_lshl_add_u64 v[28:29], v[28:29], 0, 2
	s_addc_u32 s21, s13, -1
	s_mov_b64 s[22:23], 0
	s_mov_b64 s[26:27], 0
                                        ; implicit-def: $sgpr24_sgpr25
	s_branch .LBB1405_382
.LBB1405_380:                           ;   in Loop: Header=BB1405_382 Depth=1
	global_load_ushort v1, v[28:29], off
	global_load_ushort v32, v[30:31], off
	s_add_u32 s26, s26, 1
	s_addc_u32 s27, s27, 0
	s_andn2_b64 s[24:25], s[24:25], exec
	v_lshl_add_u64 v[30:31], v[30:31], 0, 2
	v_lshl_add_u64 v[28:29], v[28:29], 0, 2
	s_waitcnt vmcnt(0)
	v_cmp_ne_u16_e32 vcc, v1, v32
	s_and_b64 s[28:29], vcc, exec
	s_or_b64 s[24:25], s[24:25], s[28:29]
.LBB1405_381:                           ;   in Loop: Header=BB1405_382 Depth=1
	s_and_b64 s[28:29], exec, s[24:25]
	s_or_b64 s[22:23], s[28:29], s[22:23]
	v_mov_b64_e32 v[32:33], s[26:27]
	s_andn2_b64 exec, exec, s[22:23]
	s_cbranch_execz .LBB1405_384
.LBB1405_382:                           ; =>This Inner Loop Header: Depth=1
	s_or_b64 s[24:25], s[24:25], exec
	s_cmp_eq_u64 s[20:21], s[26:27]
	s_cbranch_scc0 .LBB1405_380
; %bb.383:                              ;   in Loop: Header=BB1405_382 Depth=1
                                        ; implicit-def: $vgpr30_vgpr31
                                        ; implicit-def: $vgpr28_vgpr29
	s_mov_b64 s[26:27], s[12:13]
	s_branch .LBB1405_381
.LBB1405_384:
	s_or_b64 exec, exec, s[22:23]
	v_cmp_gt_i64_e32 vcc, s[12:13], v[32:33]
	s_mov_b32 s7, 0
	v_mov_b32_e32 v65, s7
	v_cndmask_b32_e64 v64, 0, 1, vcc
.LBB1405_385:
	s_or_b64 exec, exec, s[4:5]
.LBB1405_386:
	v_mul_lo_u32 v1, v7, s12
	v_mul_lo_u32 v30, v6, s13
	v_mad_u64_u32 v[28:29], s[4:5], v6, s12, 0
	v_add3_u32 v29, v29, v30, v1
	v_mov_b64_e32 v[68:69], 0
	s_and_b64 vcc, exec, s[2:3]
	v_lshl_add_u64 v[28:29], v[28:29], 1, s[14:15]
	v_mov_b64_e32 v[66:67], v[68:69]
	s_cbranch_vccnz .LBB1405_395
; %bb.387:
	global_load_ushort v1, v[26:27], off
	global_load_ushort v30, v[28:29], off
	v_mov_b64_e32 v[66:67], 1
	s_waitcnt vmcnt(0)
	v_cmp_eq_u16_e32 vcc, v1, v30
	s_and_saveexec_b64 s[4:5], vcc
	s_cbranch_execz .LBB1405_394
; %bb.388:
	s_add_u32 s20, s12, -1
	v_lshl_add_u64 v[30:31], v[28:29], 0, 2
	v_lshl_add_u64 v[26:27], v[26:27], 0, 2
	s_addc_u32 s21, s13, -1
	s_mov_b64 s[22:23], 0
	s_mov_b64 s[26:27], 0
                                        ; implicit-def: $sgpr24_sgpr25
	s_branch .LBB1405_391
.LBB1405_389:                           ;   in Loop: Header=BB1405_391 Depth=1
	global_load_ushort v1, v[26:27], off
	global_load_ushort v32, v[30:31], off
	s_add_u32 s26, s26, 1
	s_addc_u32 s27, s27, 0
	s_andn2_b64 s[24:25], s[24:25], exec
	v_lshl_add_u64 v[30:31], v[30:31], 0, 2
	v_lshl_add_u64 v[26:27], v[26:27], 0, 2
	s_waitcnt vmcnt(0)
	v_cmp_ne_u16_e32 vcc, v1, v32
	s_and_b64 s[28:29], vcc, exec
	s_or_b64 s[24:25], s[24:25], s[28:29]
.LBB1405_390:                           ;   in Loop: Header=BB1405_391 Depth=1
	s_and_b64 s[28:29], exec, s[24:25]
	s_or_b64 s[22:23], s[28:29], s[22:23]
	v_mov_b64_e32 v[32:33], s[26:27]
	s_andn2_b64 exec, exec, s[22:23]
	s_cbranch_execz .LBB1405_393
.LBB1405_391:                           ; =>This Inner Loop Header: Depth=1
	s_or_b64 s[24:25], s[24:25], exec
	s_cmp_eq_u64 s[20:21], s[26:27]
	s_cbranch_scc0 .LBB1405_389
; %bb.392:                              ;   in Loop: Header=BB1405_391 Depth=1
                                        ; implicit-def: $vgpr30_vgpr31
                                        ; implicit-def: $vgpr26_vgpr27
	s_mov_b64 s[26:27], s[12:13]
	s_branch .LBB1405_390
.LBB1405_393:
	s_or_b64 exec, exec, s[22:23]
	v_cmp_gt_i64_e32 vcc, s[12:13], v[32:33]
	s_mov_b32 s7, 0
	v_mov_b32_e32 v67, s7
	v_cndmask_b32_e64 v66, 0, 1, vcc
.LBB1405_394:
	s_or_b64 exec, exec, s[4:5]
.LBB1405_395:
	v_mul_lo_u32 v1, v5, s12
	v_mul_lo_u32 v30, v4, s13
	v_mad_u64_u32 v[26:27], s[4:5], v4, s12, 0
	v_add3_u32 v27, v27, v30, v1
	s_and_b64 vcc, exec, s[2:3]
	v_lshl_add_u64 v[26:27], v[26:27], 1, s[14:15]
	s_cbranch_vccnz .LBB1405_404
; %bb.396:
	global_load_ushort v1, v[28:29], off
	global_load_ushort v30, v[26:27], off
	v_mov_b64_e32 v[68:69], 1
	s_waitcnt vmcnt(0)
	v_cmp_eq_u16_e32 vcc, v1, v30
	s_and_saveexec_b64 s[4:5], vcc
	s_cbranch_execz .LBB1405_403
; %bb.397:
	s_add_u32 s20, s12, -1
	v_lshl_add_u64 v[30:31], v[26:27], 0, 2
	v_lshl_add_u64 v[28:29], v[28:29], 0, 2
	s_addc_u32 s21, s13, -1
	s_mov_b64 s[22:23], 0
	s_mov_b64 s[26:27], 0
                                        ; implicit-def: $sgpr24_sgpr25
	s_branch .LBB1405_400
.LBB1405_398:                           ;   in Loop: Header=BB1405_400 Depth=1
	global_load_ushort v1, v[28:29], off
	global_load_ushort v32, v[30:31], off
	s_add_u32 s26, s26, 1
	s_addc_u32 s27, s27, 0
	s_andn2_b64 s[24:25], s[24:25], exec
	v_lshl_add_u64 v[30:31], v[30:31], 0, 2
	v_lshl_add_u64 v[28:29], v[28:29], 0, 2
	s_waitcnt vmcnt(0)
	v_cmp_ne_u16_e32 vcc, v1, v32
	s_and_b64 s[28:29], vcc, exec
	s_or_b64 s[24:25], s[24:25], s[28:29]
.LBB1405_399:                           ;   in Loop: Header=BB1405_400 Depth=1
	s_and_b64 s[28:29], exec, s[24:25]
	s_or_b64 s[22:23], s[28:29], s[22:23]
	v_mov_b64_e32 v[32:33], s[26:27]
	s_andn2_b64 exec, exec, s[22:23]
	s_cbranch_execz .LBB1405_402
.LBB1405_400:                           ; =>This Inner Loop Header: Depth=1
	s_or_b64 s[24:25], s[24:25], exec
	s_cmp_eq_u64 s[20:21], s[26:27]
	s_cbranch_scc0 .LBB1405_398
; %bb.401:                              ;   in Loop: Header=BB1405_400 Depth=1
                                        ; implicit-def: $vgpr30_vgpr31
                                        ; implicit-def: $vgpr28_vgpr29
	s_mov_b64 s[26:27], s[12:13]
	s_branch .LBB1405_399
.LBB1405_402:
	s_or_b64 exec, exec, s[22:23]
	v_cmp_gt_i64_e32 vcc, s[12:13], v[32:33]
	s_mov_b32 s7, 0
	v_mov_b32_e32 v69, s7
	v_cndmask_b32_e64 v68, 0, 1, vcc
.LBB1405_403:
	s_or_b64 exec, exec, s[4:5]
.LBB1405_404:
	s_and_b64 vcc, exec, s[2:3]
	s_cbranch_vccnz .LBB1405_411
; %bb.405:
	v_mul_lo_u32 v1, v3, s12
	v_mul_lo_u32 v30, v2, s13
	v_mad_u64_u32 v[28:29], s[4:5], v2, s12, 0
	v_add3_u32 v29, v29, v30, v1
	v_lshl_add_u64 v[28:29], v[28:29], 1, s[14:15]
	global_load_ushort v1, v[26:27], off
	global_load_ushort v30, v[28:29], off
	v_mov_b64_e32 v[70:71], 1
	s_waitcnt vmcnt(0)
	v_cmp_eq_u16_e32 vcc, v1, v30
	s_and_saveexec_b64 s[4:5], vcc
	s_cbranch_execz .LBB1405_413
; %bb.406:
	s_add_u32 s20, s12, -1
	v_lshl_add_u64 v[28:29], v[28:29], 0, 2
	v_lshl_add_u64 v[26:27], v[26:27], 0, 2
	s_addc_u32 s21, s13, -1
	s_mov_b64 s[22:23], 0
	s_mov_b64 s[26:27], 0
                                        ; implicit-def: $sgpr24_sgpr25
	s_branch .LBB1405_409
.LBB1405_407:                           ;   in Loop: Header=BB1405_409 Depth=1
	global_load_ushort v1, v[26:27], off
	global_load_ushort v30, v[28:29], off
	s_add_u32 s26, s26, 1
	s_addc_u32 s27, s27, 0
	s_andn2_b64 s[24:25], s[24:25], exec
	v_lshl_add_u64 v[28:29], v[28:29], 0, 2
	v_lshl_add_u64 v[26:27], v[26:27], 0, 2
	s_waitcnt vmcnt(0)
	v_cmp_ne_u16_e32 vcc, v1, v30
	s_and_b64 s[28:29], vcc, exec
	s_or_b64 s[24:25], s[24:25], s[28:29]
.LBB1405_408:                           ;   in Loop: Header=BB1405_409 Depth=1
	s_and_b64 s[28:29], exec, s[24:25]
	s_or_b64 s[22:23], s[28:29], s[22:23]
	v_mov_b64_e32 v[30:31], s[26:27]
	s_andn2_b64 exec, exec, s[22:23]
	s_cbranch_execz .LBB1405_412
.LBB1405_409:                           ; =>This Inner Loop Header: Depth=1
	s_or_b64 s[24:25], s[24:25], exec
	s_cmp_eq_u64 s[20:21], s[26:27]
	s_cbranch_scc0 .LBB1405_407
; %bb.410:                              ;   in Loop: Header=BB1405_409 Depth=1
                                        ; implicit-def: $vgpr28_vgpr29
                                        ; implicit-def: $vgpr26_vgpr27
	s_mov_b64 s[26:27], s[12:13]
	s_branch .LBB1405_408
.LBB1405_411:
	v_mov_b64_e32 v[70:71], 0
	s_branch .LBB1405_414
.LBB1405_412:
	s_or_b64 exec, exec, s[22:23]
	v_cmp_gt_i64_e32 vcc, s[12:13], v[30:31]
	s_mov_b32 s7, 0
	v_mov_b32_e32 v71, s7
	v_cndmask_b32_e64 v70, 0, 1, vcc
.LBB1405_413:
	s_or_b64 exec, exec, s[4:5]
.LBB1405_414:
	v_cmp_ne_u32_e32 vcc, 0, v0
	s_waitcnt lgkmcnt(0)
	; wave barrier
	s_waitcnt lgkmcnt(0)
                                        ; implicit-def: $sgpr24_sgpr25
	s_and_saveexec_b64 s[4:5], vcc
	s_cbranch_execz .LBB1405_426
; %bb.415:
	s_and_b64 vcc, exec, s[2:3]
	s_cbranch_vccnz .LBB1405_422
; %bb.416:
	v_add_u32_e32 v26, -8, v48
	ds_read_b64 v[26:27], v26
	v_mul_lo_u32 v1, v3, s12
	v_mul_lo_u32 v30, v2, s13
	v_mad_u64_u32 v[28:29], s[2:3], v2, s12, 0
	v_add3_u32 v29, v29, v30, v1
	s_waitcnt lgkmcnt(0)
	v_mul_lo_u32 v1, v27, s12
	v_mul_lo_u32 v30, v26, s13
	v_mad_u64_u32 v[26:27], s[2:3], v26, s12, 0
	v_add3_u32 v27, v27, v30, v1
	v_lshl_add_u64 v[28:29], v[28:29], 1, s[14:15]
	v_lshl_add_u64 v[26:27], v[26:27], 1, s[14:15]
	global_load_ushort v1, v[28:29], off
	global_load_ushort v30, v[26:27], off
	s_mov_b64 s[20:21], -1
	s_waitcnt vmcnt(0)
	v_cmp_eq_u16_e32 vcc, v1, v30
	s_and_saveexec_b64 s[2:3], vcc
	s_cbranch_execz .LBB1405_424
; %bb.417:
	s_add_u32 s20, s12, -1
	v_lshl_add_u64 v[26:27], v[26:27], 0, 2
	v_lshl_add_u64 v[28:29], v[28:29], 0, 2
	s_addc_u32 s21, s13, -1
	s_mov_b64 s[22:23], 0
	s_mov_b64 s[26:27], 0
                                        ; implicit-def: $sgpr24_sgpr25
	s_branch .LBB1405_420
.LBB1405_418:                           ;   in Loop: Header=BB1405_420 Depth=1
	global_load_ushort v1, v[28:29], off
	global_load_ushort v30, v[26:27], off
	s_add_u32 s26, s26, 1
	s_addc_u32 s27, s27, 0
	s_andn2_b64 s[24:25], s[24:25], exec
	v_lshl_add_u64 v[26:27], v[26:27], 0, 2
	v_lshl_add_u64 v[28:29], v[28:29], 0, 2
	s_waitcnt vmcnt(0)
	v_cmp_ne_u16_e32 vcc, v1, v30
	s_and_b64 s[28:29], vcc, exec
	s_or_b64 s[24:25], s[24:25], s[28:29]
.LBB1405_419:                           ;   in Loop: Header=BB1405_420 Depth=1
	s_and_b64 s[28:29], exec, s[24:25]
	s_or_b64 s[22:23], s[28:29], s[22:23]
	v_mov_b64_e32 v[30:31], s[26:27]
	s_andn2_b64 exec, exec, s[22:23]
	s_cbranch_execz .LBB1405_423
.LBB1405_420:                           ; =>This Inner Loop Header: Depth=1
	s_or_b64 s[24:25], s[24:25], exec
	s_cmp_eq_u64 s[20:21], s[26:27]
	s_cbranch_scc0 .LBB1405_418
; %bb.421:                              ;   in Loop: Header=BB1405_420 Depth=1
                                        ; implicit-def: $vgpr26_vgpr27
                                        ; implicit-def: $vgpr28_vgpr29
	s_mov_b64 s[26:27], s[12:13]
	s_branch .LBB1405_419
.LBB1405_422:
	s_mov_b64 s[20:21], 0
	s_branch .LBB1405_425
.LBB1405_423:
	s_or_b64 exec, exec, s[22:23]
	v_cmp_gt_i64_e32 vcc, s[12:13], v[30:31]
	s_orn2_b64 s[20:21], vcc, exec
.LBB1405_424:
	s_or_b64 exec, exec, s[2:3]
.LBB1405_425:
	s_and_b64 s[24:25], s[20:21], exec
	s_or_b64 s[18:19], s[18:19], exec
.LBB1405_426:
	s_or_b64 exec, exec, s[4:5]
	v_mov_b64_e32 v[72:73], v[52:53]
	v_mov_b64_e32 v[26:27], v[46:47]
	;; [unrolled: 1-line block ×11, first 2 shown]
	s_branch .LBB1405_572
.LBB1405_427:
	s_waitcnt lgkmcnt(0)
	v_mad_u32_u24 v26, v0, 13, 12
	v_cmp_gt_i64_e64 s[2:3], s[12:13], 0
	v_cmp_gt_u32_e32 vcc, s10, v26
	v_mul_u32_u24_e32 v1, 13, v0
	v_cndmask_b32_e64 v26, 0, 1, s[2:3]
	v_cmp_ne_u32_e64 s[2:3], 1, v26
	ds_write_b64 v48, v[44:45]
	s_and_saveexec_b64 s[4:5], vcc
	s_cbranch_execz .LBB1405_438
; %bb.428:
	s_and_b64 vcc, exec, s[2:3]
	s_cbranch_vccnz .LBB1405_435
; %bb.429:
	v_mul_lo_u32 v28, v45, s12
	v_mul_lo_u32 v29, v44, s13
	v_mad_u64_u32 v[26:27], s[20:21], v44, s12, 0
	v_add3_u32 v27, v27, v29, v28
	v_mul_lo_u32 v28, v25, s12
	v_mul_lo_u32 v29, v24, s13
	v_mad_u64_u32 v[30:31], s[20:21], v24, s12, 0
	v_add3_u32 v31, v31, v29, v28
	v_lshl_add_u64 v[28:29], v[26:27], 1, s[14:15]
	v_lshl_add_u64 v[26:27], v[30:31], 1, s[14:15]
	global_load_ushort v30, v[28:29], off
	global_load_ushort v31, v[26:27], off
	v_mov_b64_e32 v[44:45], 1
	s_waitcnt vmcnt(0)
	v_cmp_eq_u16_e32 vcc, v30, v31
	s_and_saveexec_b64 s[20:21], vcc
	s_cbranch_execz .LBB1405_437
; %bb.430:
	s_add_u32 s22, s12, -1
	v_lshl_add_u64 v[26:27], v[26:27], 0, 2
	v_lshl_add_u64 v[28:29], v[28:29], 0, 2
	s_addc_u32 s23, s13, -1
	s_mov_b64 s[24:25], 0
	s_mov_b64 s[28:29], 0
                                        ; implicit-def: $sgpr26_sgpr27
	s_branch .LBB1405_433
.LBB1405_431:                           ;   in Loop: Header=BB1405_433 Depth=1
	global_load_ushort v30, v[28:29], off
	global_load_ushort v31, v[26:27], off
	s_add_u32 s28, s28, 1
	s_addc_u32 s29, s29, 0
	s_andn2_b64 s[26:27], s[26:27], exec
	v_lshl_add_u64 v[26:27], v[26:27], 0, 2
	v_lshl_add_u64 v[28:29], v[28:29], 0, 2
	s_waitcnt vmcnt(0)
	v_cmp_ne_u16_e32 vcc, v30, v31
	s_and_b64 s[30:31], vcc, exec
	s_or_b64 s[26:27], s[26:27], s[30:31]
.LBB1405_432:                           ;   in Loop: Header=BB1405_433 Depth=1
	s_and_b64 s[30:31], exec, s[26:27]
	s_or_b64 s[24:25], s[30:31], s[24:25]
	v_mov_b64_e32 v[30:31], s[28:29]
	s_andn2_b64 exec, exec, s[24:25]
	s_cbranch_execz .LBB1405_436
.LBB1405_433:                           ; =>This Inner Loop Header: Depth=1
	s_or_b64 s[26:27], s[26:27], exec
	s_cmp_eq_u64 s[22:23], s[28:29]
	s_cbranch_scc0 .LBB1405_431
; %bb.434:                              ;   in Loop: Header=BB1405_433 Depth=1
                                        ; implicit-def: $vgpr26_vgpr27
                                        ; implicit-def: $vgpr28_vgpr29
	s_mov_b64 s[28:29], s[12:13]
	s_branch .LBB1405_432
.LBB1405_435:
	v_mov_b64_e32 v[44:45], 0
	s_branch .LBB1405_438
.LBB1405_436:
	s_or_b64 exec, exec, s[24:25]
	v_cmp_gt_i64_e32 vcc, s[12:13], v[30:31]
	s_mov_b32 s7, 0
	v_mov_b32_e32 v45, s7
	v_cndmask_b32_e64 v44, 0, 1, vcc
.LBB1405_437:
	s_or_b64 exec, exec, s[20:21]
.LBB1405_438:
	s_or_b64 exec, exec, s[4:5]
	v_add_u32_e32 v26, 11, v1
	v_cmp_gt_u32_e32 vcc, s10, v26
	s_and_saveexec_b64 s[4:5], vcc
	s_cbranch_execz .LBB1405_449
; %bb.439:
	s_and_b64 vcc, exec, s[2:3]
	s_cbranch_vccnz .LBB1405_446
; %bb.440:
	v_mul_lo_u32 v26, v25, s12
	v_mul_lo_u32 v27, v24, s13
	v_mad_u64_u32 v[24:25], s[20:21], v24, s12, 0
	v_add3_u32 v25, v25, v27, v26
	v_mul_lo_u32 v26, v23, s12
	v_mul_lo_u32 v27, v22, s13
	v_mad_u64_u32 v[28:29], s[20:21], v22, s12, 0
	v_add3_u32 v29, v29, v27, v26
	v_lshl_add_u64 v[26:27], v[24:25], 1, s[14:15]
	v_lshl_add_u64 v[28:29], v[28:29], 1, s[14:15]
	global_load_ushort v24, v[26:27], off
	global_load_ushort v25, v[28:29], off
	s_waitcnt vmcnt(0)
	v_cmp_eq_u16_e32 vcc, v24, v25
	v_mov_b64_e32 v[24:25], 1
	s_and_saveexec_b64 s[20:21], vcc
	s_cbranch_execz .LBB1405_448
; %bb.441:
	s_add_u32 s22, s12, -1
	v_lshl_add_u64 v[24:25], v[28:29], 0, 2
	v_lshl_add_u64 v[26:27], v[26:27], 0, 2
	s_addc_u32 s23, s13, -1
	s_mov_b64 s[24:25], 0
	s_mov_b64 s[28:29], 0
                                        ; implicit-def: $sgpr26_sgpr27
	s_branch .LBB1405_444
.LBB1405_442:                           ;   in Loop: Header=BB1405_444 Depth=1
	global_load_ushort v28, v[26:27], off
	global_load_ushort v29, v[24:25], off
	s_add_u32 s28, s28, 1
	s_addc_u32 s29, s29, 0
	s_andn2_b64 s[26:27], s[26:27], exec
	v_lshl_add_u64 v[24:25], v[24:25], 0, 2
	v_lshl_add_u64 v[26:27], v[26:27], 0, 2
	s_waitcnt vmcnt(0)
	v_cmp_ne_u16_e32 vcc, v28, v29
	s_and_b64 s[30:31], vcc, exec
	s_or_b64 s[26:27], s[26:27], s[30:31]
.LBB1405_443:                           ;   in Loop: Header=BB1405_444 Depth=1
	s_and_b64 s[30:31], exec, s[26:27]
	s_or_b64 s[24:25], s[30:31], s[24:25]
	v_mov_b64_e32 v[28:29], s[28:29]
	s_andn2_b64 exec, exec, s[24:25]
	s_cbranch_execz .LBB1405_447
.LBB1405_444:                           ; =>This Inner Loop Header: Depth=1
	s_or_b64 s[26:27], s[26:27], exec
	s_cmp_eq_u64 s[22:23], s[28:29]
	s_cbranch_scc0 .LBB1405_442
; %bb.445:                              ;   in Loop: Header=BB1405_444 Depth=1
                                        ; implicit-def: $vgpr24_vgpr25
                                        ; implicit-def: $vgpr26_vgpr27
	s_mov_b64 s[28:29], s[12:13]
	s_branch .LBB1405_443
.LBB1405_446:
	v_mov_b64_e32 v[24:25], 0
	s_branch .LBB1405_449
.LBB1405_447:
	s_or_b64 exec, exec, s[24:25]
	v_cmp_gt_i64_e32 vcc, s[12:13], v[28:29]
	s_mov_b32 s7, 0
	v_mov_b32_e32 v25, s7
	v_cndmask_b32_e64 v24, 0, 1, vcc
.LBB1405_448:
	s_or_b64 exec, exec, s[20:21]
.LBB1405_449:
	s_or_b64 exec, exec, s[4:5]
	v_add_u32_e32 v26, 10, v1
	v_cmp_gt_u32_e32 vcc, s10, v26
	s_and_saveexec_b64 s[4:5], vcc
	s_cbranch_execz .LBB1405_460
; %bb.450:
	s_and_b64 vcc, exec, s[2:3]
	s_cbranch_vccnz .LBB1405_457
; %bb.451:
	v_mul_lo_u32 v26, v23, s12
	v_mul_lo_u32 v27, v22, s13
	v_mad_u64_u32 v[22:23], s[20:21], v22, s12, 0
	v_add3_u32 v23, v23, v27, v26
	v_mul_lo_u32 v26, v21, s12
	v_mul_lo_u32 v27, v20, s13
	v_mad_u64_u32 v[28:29], s[20:21], v20, s12, 0
	v_add3_u32 v29, v29, v27, v26
	v_lshl_add_u64 v[26:27], v[22:23], 1, s[14:15]
	v_lshl_add_u64 v[28:29], v[28:29], 1, s[14:15]
	global_load_ushort v22, v[26:27], off
	global_load_ushort v23, v[28:29], off
	s_waitcnt vmcnt(0)
	v_cmp_eq_u16_e32 vcc, v22, v23
	v_mov_b64_e32 v[22:23], 1
	s_and_saveexec_b64 s[20:21], vcc
	s_cbranch_execz .LBB1405_459
; %bb.452:
	s_add_u32 s22, s12, -1
	v_lshl_add_u64 v[22:23], v[28:29], 0, 2
	v_lshl_add_u64 v[26:27], v[26:27], 0, 2
	s_addc_u32 s23, s13, -1
	s_mov_b64 s[24:25], 0
	s_mov_b64 s[28:29], 0
                                        ; implicit-def: $sgpr26_sgpr27
	s_branch .LBB1405_455
.LBB1405_453:                           ;   in Loop: Header=BB1405_455 Depth=1
	global_load_ushort v28, v[26:27], off
	global_load_ushort v29, v[22:23], off
	s_add_u32 s28, s28, 1
	s_addc_u32 s29, s29, 0
	s_andn2_b64 s[26:27], s[26:27], exec
	v_lshl_add_u64 v[22:23], v[22:23], 0, 2
	v_lshl_add_u64 v[26:27], v[26:27], 0, 2
	s_waitcnt vmcnt(0)
	v_cmp_ne_u16_e32 vcc, v28, v29
	s_and_b64 s[30:31], vcc, exec
	s_or_b64 s[26:27], s[26:27], s[30:31]
.LBB1405_454:                           ;   in Loop: Header=BB1405_455 Depth=1
	s_and_b64 s[30:31], exec, s[26:27]
	s_or_b64 s[24:25], s[30:31], s[24:25]
	v_mov_b64_e32 v[28:29], s[28:29]
	s_andn2_b64 exec, exec, s[24:25]
	s_cbranch_execz .LBB1405_458
.LBB1405_455:                           ; =>This Inner Loop Header: Depth=1
	s_or_b64 s[26:27], s[26:27], exec
	s_cmp_eq_u64 s[22:23], s[28:29]
	s_cbranch_scc0 .LBB1405_453
; %bb.456:                              ;   in Loop: Header=BB1405_455 Depth=1
                                        ; implicit-def: $vgpr22_vgpr23
                                        ; implicit-def: $vgpr26_vgpr27
	s_mov_b64 s[28:29], s[12:13]
	s_branch .LBB1405_454
.LBB1405_457:
	v_mov_b64_e32 v[22:23], 0
	s_branch .LBB1405_460
.LBB1405_458:
	s_or_b64 exec, exec, s[24:25]
	v_cmp_gt_i64_e32 vcc, s[12:13], v[28:29]
	s_mov_b32 s7, 0
	v_mov_b32_e32 v23, s7
	v_cndmask_b32_e64 v22, 0, 1, vcc
.LBB1405_459:
	s_or_b64 exec, exec, s[20:21]
.LBB1405_460:
	s_or_b64 exec, exec, s[4:5]
	v_add_u32_e32 v26, 9, v1
	v_cmp_gt_u32_e32 vcc, s10, v26
	s_and_saveexec_b64 s[4:5], vcc
	s_cbranch_execz .LBB1405_471
; %bb.461:
	s_and_b64 vcc, exec, s[2:3]
	s_cbranch_vccnz .LBB1405_468
; %bb.462:
	v_mul_lo_u32 v26, v21, s12
	v_mul_lo_u32 v27, v20, s13
	v_mad_u64_u32 v[20:21], s[20:21], v20, s12, 0
	v_add3_u32 v21, v21, v27, v26
	v_mul_lo_u32 v26, v19, s12
	v_mul_lo_u32 v27, v18, s13
	v_mad_u64_u32 v[28:29], s[20:21], v18, s12, 0
	v_add3_u32 v29, v29, v27, v26
	v_lshl_add_u64 v[26:27], v[20:21], 1, s[14:15]
	v_lshl_add_u64 v[28:29], v[28:29], 1, s[14:15]
	global_load_ushort v20, v[26:27], off
	global_load_ushort v21, v[28:29], off
	s_waitcnt vmcnt(0)
	v_cmp_eq_u16_e32 vcc, v20, v21
	v_mov_b64_e32 v[20:21], 1
	s_and_saveexec_b64 s[20:21], vcc
	s_cbranch_execz .LBB1405_470
; %bb.463:
	s_add_u32 s22, s12, -1
	v_lshl_add_u64 v[20:21], v[28:29], 0, 2
	v_lshl_add_u64 v[26:27], v[26:27], 0, 2
	s_addc_u32 s23, s13, -1
	s_mov_b64 s[24:25], 0
	s_mov_b64 s[28:29], 0
                                        ; implicit-def: $sgpr26_sgpr27
	s_branch .LBB1405_466
.LBB1405_464:                           ;   in Loop: Header=BB1405_466 Depth=1
	global_load_ushort v28, v[26:27], off
	global_load_ushort v29, v[20:21], off
	s_add_u32 s28, s28, 1
	s_addc_u32 s29, s29, 0
	s_andn2_b64 s[26:27], s[26:27], exec
	v_lshl_add_u64 v[20:21], v[20:21], 0, 2
	v_lshl_add_u64 v[26:27], v[26:27], 0, 2
	s_waitcnt vmcnt(0)
	v_cmp_ne_u16_e32 vcc, v28, v29
	s_and_b64 s[30:31], vcc, exec
	s_or_b64 s[26:27], s[26:27], s[30:31]
.LBB1405_465:                           ;   in Loop: Header=BB1405_466 Depth=1
	s_and_b64 s[30:31], exec, s[26:27]
	s_or_b64 s[24:25], s[30:31], s[24:25]
	v_mov_b64_e32 v[28:29], s[28:29]
	s_andn2_b64 exec, exec, s[24:25]
	s_cbranch_execz .LBB1405_469
.LBB1405_466:                           ; =>This Inner Loop Header: Depth=1
	s_or_b64 s[26:27], s[26:27], exec
	s_cmp_eq_u64 s[22:23], s[28:29]
	s_cbranch_scc0 .LBB1405_464
; %bb.467:                              ;   in Loop: Header=BB1405_466 Depth=1
                                        ; implicit-def: $vgpr20_vgpr21
                                        ; implicit-def: $vgpr26_vgpr27
	s_mov_b64 s[28:29], s[12:13]
	s_branch .LBB1405_465
.LBB1405_468:
	v_mov_b64_e32 v[20:21], 0
	s_branch .LBB1405_471
.LBB1405_469:
	s_or_b64 exec, exec, s[24:25]
	v_cmp_gt_i64_e32 vcc, s[12:13], v[28:29]
	s_mov_b32 s7, 0
	v_mov_b32_e32 v21, s7
	v_cndmask_b32_e64 v20, 0, 1, vcc
.LBB1405_470:
	s_or_b64 exec, exec, s[20:21]
.LBB1405_471:
	s_or_b64 exec, exec, s[4:5]
	v_add_u32_e32 v26, 8, v1
	v_cmp_gt_u32_e32 vcc, s10, v26
	s_and_saveexec_b64 s[4:5], vcc
	s_cbranch_execz .LBB1405_482
; %bb.472:
	s_and_b64 vcc, exec, s[2:3]
	s_cbranch_vccnz .LBB1405_479
; %bb.473:
	v_mul_lo_u32 v26, v19, s12
	v_mul_lo_u32 v27, v18, s13
	v_mad_u64_u32 v[18:19], s[20:21], v18, s12, 0
	v_add3_u32 v19, v19, v27, v26
	v_mul_lo_u32 v26, v17, s12
	v_mul_lo_u32 v27, v16, s13
	v_mad_u64_u32 v[28:29], s[20:21], v16, s12, 0
	v_add3_u32 v29, v29, v27, v26
	v_lshl_add_u64 v[26:27], v[18:19], 1, s[14:15]
	v_lshl_add_u64 v[28:29], v[28:29], 1, s[14:15]
	global_load_ushort v18, v[26:27], off
	global_load_ushort v19, v[28:29], off
	s_waitcnt vmcnt(0)
	v_cmp_eq_u16_e32 vcc, v18, v19
	v_mov_b64_e32 v[18:19], 1
	s_and_saveexec_b64 s[20:21], vcc
	s_cbranch_execz .LBB1405_481
; %bb.474:
	s_add_u32 s22, s12, -1
	v_lshl_add_u64 v[18:19], v[28:29], 0, 2
	v_lshl_add_u64 v[26:27], v[26:27], 0, 2
	s_addc_u32 s23, s13, -1
	s_mov_b64 s[24:25], 0
	s_mov_b64 s[28:29], 0
                                        ; implicit-def: $sgpr26_sgpr27
	s_branch .LBB1405_477
.LBB1405_475:                           ;   in Loop: Header=BB1405_477 Depth=1
	global_load_ushort v28, v[26:27], off
	global_load_ushort v29, v[18:19], off
	s_add_u32 s28, s28, 1
	s_addc_u32 s29, s29, 0
	s_andn2_b64 s[26:27], s[26:27], exec
	v_lshl_add_u64 v[18:19], v[18:19], 0, 2
	v_lshl_add_u64 v[26:27], v[26:27], 0, 2
	s_waitcnt vmcnt(0)
	v_cmp_ne_u16_e32 vcc, v28, v29
	s_and_b64 s[30:31], vcc, exec
	s_or_b64 s[26:27], s[26:27], s[30:31]
.LBB1405_476:                           ;   in Loop: Header=BB1405_477 Depth=1
	s_and_b64 s[30:31], exec, s[26:27]
	s_or_b64 s[24:25], s[30:31], s[24:25]
	v_mov_b64_e32 v[28:29], s[28:29]
	s_andn2_b64 exec, exec, s[24:25]
	s_cbranch_execz .LBB1405_480
.LBB1405_477:                           ; =>This Inner Loop Header: Depth=1
	s_or_b64 s[26:27], s[26:27], exec
	s_cmp_eq_u64 s[22:23], s[28:29]
	s_cbranch_scc0 .LBB1405_475
; %bb.478:                              ;   in Loop: Header=BB1405_477 Depth=1
                                        ; implicit-def: $vgpr18_vgpr19
                                        ; implicit-def: $vgpr26_vgpr27
	s_mov_b64 s[28:29], s[12:13]
	s_branch .LBB1405_476
.LBB1405_479:
	v_mov_b64_e32 v[18:19], 0
	s_branch .LBB1405_482
.LBB1405_480:
	s_or_b64 exec, exec, s[24:25]
	v_cmp_gt_i64_e32 vcc, s[12:13], v[28:29]
	s_mov_b32 s7, 0
	v_mov_b32_e32 v19, s7
	v_cndmask_b32_e64 v18, 0, 1, vcc
.LBB1405_481:
	s_or_b64 exec, exec, s[20:21]
.LBB1405_482:
	s_or_b64 exec, exec, s[4:5]
	v_add_u32_e32 v26, 7, v1
	v_cmp_gt_u32_e32 vcc, s10, v26
	s_and_saveexec_b64 s[4:5], vcc
	s_cbranch_execz .LBB1405_493
; %bb.483:
	s_and_b64 vcc, exec, s[2:3]
	s_cbranch_vccnz .LBB1405_490
; %bb.484:
	v_mul_lo_u32 v26, v17, s12
	v_mul_lo_u32 v27, v16, s13
	v_mad_u64_u32 v[16:17], s[20:21], v16, s12, 0
	v_add3_u32 v17, v17, v27, v26
	v_mul_lo_u32 v26, v15, s12
	v_mul_lo_u32 v27, v14, s13
	v_mad_u64_u32 v[28:29], s[20:21], v14, s12, 0
	v_add3_u32 v29, v29, v27, v26
	v_lshl_add_u64 v[26:27], v[16:17], 1, s[14:15]
	v_lshl_add_u64 v[28:29], v[28:29], 1, s[14:15]
	global_load_ushort v16, v[26:27], off
	global_load_ushort v17, v[28:29], off
	s_waitcnt vmcnt(0)
	v_cmp_eq_u16_e32 vcc, v16, v17
	v_mov_b64_e32 v[16:17], 1
	s_and_saveexec_b64 s[20:21], vcc
	s_cbranch_execz .LBB1405_492
; %bb.485:
	s_add_u32 s22, s12, -1
	v_lshl_add_u64 v[16:17], v[28:29], 0, 2
	v_lshl_add_u64 v[26:27], v[26:27], 0, 2
	s_addc_u32 s23, s13, -1
	s_mov_b64 s[24:25], 0
	s_mov_b64 s[28:29], 0
                                        ; implicit-def: $sgpr26_sgpr27
	s_branch .LBB1405_488
.LBB1405_486:                           ;   in Loop: Header=BB1405_488 Depth=1
	global_load_ushort v28, v[26:27], off
	global_load_ushort v29, v[16:17], off
	s_add_u32 s28, s28, 1
	s_addc_u32 s29, s29, 0
	s_andn2_b64 s[26:27], s[26:27], exec
	v_lshl_add_u64 v[16:17], v[16:17], 0, 2
	v_lshl_add_u64 v[26:27], v[26:27], 0, 2
	s_waitcnt vmcnt(0)
	v_cmp_ne_u16_e32 vcc, v28, v29
	s_and_b64 s[30:31], vcc, exec
	s_or_b64 s[26:27], s[26:27], s[30:31]
.LBB1405_487:                           ;   in Loop: Header=BB1405_488 Depth=1
	s_and_b64 s[30:31], exec, s[26:27]
	s_or_b64 s[24:25], s[30:31], s[24:25]
	v_mov_b64_e32 v[28:29], s[28:29]
	s_andn2_b64 exec, exec, s[24:25]
	s_cbranch_execz .LBB1405_491
.LBB1405_488:                           ; =>This Inner Loop Header: Depth=1
	s_or_b64 s[26:27], s[26:27], exec
	s_cmp_eq_u64 s[22:23], s[28:29]
	s_cbranch_scc0 .LBB1405_486
; %bb.489:                              ;   in Loop: Header=BB1405_488 Depth=1
                                        ; implicit-def: $vgpr16_vgpr17
                                        ; implicit-def: $vgpr26_vgpr27
	s_mov_b64 s[28:29], s[12:13]
	s_branch .LBB1405_487
.LBB1405_490:
	v_mov_b64_e32 v[16:17], 0
	s_branch .LBB1405_493
.LBB1405_491:
	s_or_b64 exec, exec, s[24:25]
	v_cmp_gt_i64_e32 vcc, s[12:13], v[28:29]
	s_mov_b32 s7, 0
	v_mov_b32_e32 v17, s7
	v_cndmask_b32_e64 v16, 0, 1, vcc
.LBB1405_492:
	s_or_b64 exec, exec, s[20:21]
.LBB1405_493:
	s_or_b64 exec, exec, s[4:5]
	v_add_u32_e32 v26, 6, v1
	v_cmp_gt_u32_e32 vcc, s10, v26
	s_and_saveexec_b64 s[4:5], vcc
	s_cbranch_execz .LBB1405_504
; %bb.494:
	s_and_b64 vcc, exec, s[2:3]
	s_cbranch_vccnz .LBB1405_501
; %bb.495:
	v_mul_lo_u32 v26, v15, s12
	v_mul_lo_u32 v27, v14, s13
	v_mad_u64_u32 v[14:15], s[20:21], v14, s12, 0
	v_add3_u32 v15, v15, v27, v26
	v_mul_lo_u32 v26, v13, s12
	v_mul_lo_u32 v27, v12, s13
	v_mad_u64_u32 v[28:29], s[20:21], v12, s12, 0
	v_add3_u32 v29, v29, v27, v26
	v_lshl_add_u64 v[26:27], v[14:15], 1, s[14:15]
	v_lshl_add_u64 v[28:29], v[28:29], 1, s[14:15]
	global_load_ushort v14, v[26:27], off
	global_load_ushort v15, v[28:29], off
	s_waitcnt vmcnt(0)
	v_cmp_eq_u16_e32 vcc, v14, v15
	v_mov_b64_e32 v[14:15], 1
	s_and_saveexec_b64 s[20:21], vcc
	s_cbranch_execz .LBB1405_503
; %bb.496:
	s_add_u32 s22, s12, -1
	v_lshl_add_u64 v[14:15], v[28:29], 0, 2
	v_lshl_add_u64 v[26:27], v[26:27], 0, 2
	s_addc_u32 s23, s13, -1
	s_mov_b64 s[24:25], 0
	s_mov_b64 s[28:29], 0
                                        ; implicit-def: $sgpr26_sgpr27
	s_branch .LBB1405_499
.LBB1405_497:                           ;   in Loop: Header=BB1405_499 Depth=1
	global_load_ushort v28, v[26:27], off
	global_load_ushort v29, v[14:15], off
	s_add_u32 s28, s28, 1
	s_addc_u32 s29, s29, 0
	s_andn2_b64 s[26:27], s[26:27], exec
	v_lshl_add_u64 v[14:15], v[14:15], 0, 2
	v_lshl_add_u64 v[26:27], v[26:27], 0, 2
	s_waitcnt vmcnt(0)
	v_cmp_ne_u16_e32 vcc, v28, v29
	s_and_b64 s[30:31], vcc, exec
	s_or_b64 s[26:27], s[26:27], s[30:31]
.LBB1405_498:                           ;   in Loop: Header=BB1405_499 Depth=1
	s_and_b64 s[30:31], exec, s[26:27]
	s_or_b64 s[24:25], s[30:31], s[24:25]
	v_mov_b64_e32 v[28:29], s[28:29]
	s_andn2_b64 exec, exec, s[24:25]
	s_cbranch_execz .LBB1405_502
.LBB1405_499:                           ; =>This Inner Loop Header: Depth=1
	s_or_b64 s[26:27], s[26:27], exec
	s_cmp_eq_u64 s[22:23], s[28:29]
	s_cbranch_scc0 .LBB1405_497
; %bb.500:                              ;   in Loop: Header=BB1405_499 Depth=1
                                        ; implicit-def: $vgpr14_vgpr15
                                        ; implicit-def: $vgpr26_vgpr27
	s_mov_b64 s[28:29], s[12:13]
	s_branch .LBB1405_498
.LBB1405_501:
	v_mov_b64_e32 v[14:15], 0
	s_branch .LBB1405_504
.LBB1405_502:
	s_or_b64 exec, exec, s[24:25]
	v_cmp_gt_i64_e32 vcc, s[12:13], v[28:29]
	s_mov_b32 s7, 0
	v_mov_b32_e32 v15, s7
	v_cndmask_b32_e64 v14, 0, 1, vcc
.LBB1405_503:
	s_or_b64 exec, exec, s[20:21]
.LBB1405_504:
	s_or_b64 exec, exec, s[4:5]
	v_add_u32_e32 v26, 5, v1
	v_cmp_gt_u32_e32 vcc, s10, v26
	s_and_saveexec_b64 s[4:5], vcc
	s_cbranch_execz .LBB1405_515
; %bb.505:
	s_and_b64 vcc, exec, s[2:3]
	s_cbranch_vccnz .LBB1405_512
; %bb.506:
	v_mul_lo_u32 v26, v13, s12
	v_mul_lo_u32 v27, v12, s13
	v_mad_u64_u32 v[12:13], s[20:21], v12, s12, 0
	v_add3_u32 v13, v13, v27, v26
	v_mul_lo_u32 v26, v11, s12
	v_mul_lo_u32 v27, v10, s13
	v_mad_u64_u32 v[28:29], s[20:21], v10, s12, 0
	v_add3_u32 v29, v29, v27, v26
	v_lshl_add_u64 v[26:27], v[12:13], 1, s[14:15]
	v_lshl_add_u64 v[28:29], v[28:29], 1, s[14:15]
	global_load_ushort v12, v[26:27], off
	global_load_ushort v13, v[28:29], off
	s_waitcnt vmcnt(0)
	v_cmp_eq_u16_e32 vcc, v12, v13
	v_mov_b64_e32 v[12:13], 1
	s_and_saveexec_b64 s[20:21], vcc
	s_cbranch_execz .LBB1405_514
; %bb.507:
	s_add_u32 s22, s12, -1
	v_lshl_add_u64 v[12:13], v[28:29], 0, 2
	v_lshl_add_u64 v[26:27], v[26:27], 0, 2
	s_addc_u32 s23, s13, -1
	s_mov_b64 s[24:25], 0
	s_mov_b64 s[28:29], 0
                                        ; implicit-def: $sgpr26_sgpr27
	s_branch .LBB1405_510
.LBB1405_508:                           ;   in Loop: Header=BB1405_510 Depth=1
	global_load_ushort v28, v[26:27], off
	global_load_ushort v29, v[12:13], off
	s_add_u32 s28, s28, 1
	s_addc_u32 s29, s29, 0
	s_andn2_b64 s[26:27], s[26:27], exec
	v_lshl_add_u64 v[12:13], v[12:13], 0, 2
	v_lshl_add_u64 v[26:27], v[26:27], 0, 2
	s_waitcnt vmcnt(0)
	v_cmp_ne_u16_e32 vcc, v28, v29
	s_and_b64 s[30:31], vcc, exec
	s_or_b64 s[26:27], s[26:27], s[30:31]
.LBB1405_509:                           ;   in Loop: Header=BB1405_510 Depth=1
	s_and_b64 s[30:31], exec, s[26:27]
	s_or_b64 s[24:25], s[30:31], s[24:25]
	v_mov_b64_e32 v[28:29], s[28:29]
	s_andn2_b64 exec, exec, s[24:25]
	s_cbranch_execz .LBB1405_513
.LBB1405_510:                           ; =>This Inner Loop Header: Depth=1
	s_or_b64 s[26:27], s[26:27], exec
	s_cmp_eq_u64 s[22:23], s[28:29]
	s_cbranch_scc0 .LBB1405_508
; %bb.511:                              ;   in Loop: Header=BB1405_510 Depth=1
                                        ; implicit-def: $vgpr12_vgpr13
                                        ; implicit-def: $vgpr26_vgpr27
	s_mov_b64 s[28:29], s[12:13]
	s_branch .LBB1405_509
.LBB1405_512:
	v_mov_b64_e32 v[12:13], 0
	s_branch .LBB1405_515
.LBB1405_513:
	s_or_b64 exec, exec, s[24:25]
	v_cmp_gt_i64_e32 vcc, s[12:13], v[28:29]
	s_mov_b32 s7, 0
	v_mov_b32_e32 v13, s7
	v_cndmask_b32_e64 v12, 0, 1, vcc
.LBB1405_514:
	s_or_b64 exec, exec, s[20:21]
.LBB1405_515:
	s_or_b64 exec, exec, s[4:5]
	v_add_u32_e32 v26, 4, v1
	v_cmp_gt_u32_e32 vcc, s10, v26
	s_and_saveexec_b64 s[4:5], vcc
	s_cbranch_execz .LBB1405_526
; %bb.516:
	s_and_b64 vcc, exec, s[2:3]
	s_cbranch_vccnz .LBB1405_523
; %bb.517:
	v_mul_lo_u32 v26, v11, s12
	v_mul_lo_u32 v27, v10, s13
	v_mad_u64_u32 v[10:11], s[20:21], v10, s12, 0
	v_add3_u32 v11, v11, v27, v26
	v_mul_lo_u32 v26, v9, s12
	v_mul_lo_u32 v27, v8, s13
	v_mad_u64_u32 v[28:29], s[20:21], v8, s12, 0
	v_add3_u32 v29, v29, v27, v26
	v_lshl_add_u64 v[26:27], v[10:11], 1, s[14:15]
	v_lshl_add_u64 v[28:29], v[28:29], 1, s[14:15]
	global_load_ushort v10, v[26:27], off
	global_load_ushort v11, v[28:29], off
	s_waitcnt vmcnt(0)
	v_cmp_eq_u16_e32 vcc, v10, v11
	v_mov_b64_e32 v[10:11], 1
	s_and_saveexec_b64 s[20:21], vcc
	s_cbranch_execz .LBB1405_525
; %bb.518:
	s_add_u32 s22, s12, -1
	v_lshl_add_u64 v[10:11], v[28:29], 0, 2
	v_lshl_add_u64 v[26:27], v[26:27], 0, 2
	s_addc_u32 s23, s13, -1
	s_mov_b64 s[24:25], 0
	s_mov_b64 s[28:29], 0
                                        ; implicit-def: $sgpr26_sgpr27
	s_branch .LBB1405_521
.LBB1405_519:                           ;   in Loop: Header=BB1405_521 Depth=1
	global_load_ushort v28, v[26:27], off
	global_load_ushort v29, v[10:11], off
	s_add_u32 s28, s28, 1
	s_addc_u32 s29, s29, 0
	s_andn2_b64 s[26:27], s[26:27], exec
	v_lshl_add_u64 v[10:11], v[10:11], 0, 2
	v_lshl_add_u64 v[26:27], v[26:27], 0, 2
	s_waitcnt vmcnt(0)
	v_cmp_ne_u16_e32 vcc, v28, v29
	s_and_b64 s[30:31], vcc, exec
	s_or_b64 s[26:27], s[26:27], s[30:31]
.LBB1405_520:                           ;   in Loop: Header=BB1405_521 Depth=1
	s_and_b64 s[30:31], exec, s[26:27]
	s_or_b64 s[24:25], s[30:31], s[24:25]
	v_mov_b64_e32 v[28:29], s[28:29]
	s_andn2_b64 exec, exec, s[24:25]
	s_cbranch_execz .LBB1405_524
.LBB1405_521:                           ; =>This Inner Loop Header: Depth=1
	s_or_b64 s[26:27], s[26:27], exec
	s_cmp_eq_u64 s[22:23], s[28:29]
	s_cbranch_scc0 .LBB1405_519
; %bb.522:                              ;   in Loop: Header=BB1405_521 Depth=1
                                        ; implicit-def: $vgpr10_vgpr11
                                        ; implicit-def: $vgpr26_vgpr27
	s_mov_b64 s[28:29], s[12:13]
	s_branch .LBB1405_520
.LBB1405_523:
	v_mov_b64_e32 v[10:11], 0
	s_branch .LBB1405_526
.LBB1405_524:
	s_or_b64 exec, exec, s[24:25]
	v_cmp_gt_i64_e32 vcc, s[12:13], v[28:29]
	s_mov_b32 s7, 0
	v_mov_b32_e32 v11, s7
	v_cndmask_b32_e64 v10, 0, 1, vcc
.LBB1405_525:
	s_or_b64 exec, exec, s[20:21]
.LBB1405_526:
	s_or_b64 exec, exec, s[4:5]
	v_add_u32_e32 v26, 3, v1
	v_cmp_gt_u32_e32 vcc, s10, v26
	s_and_saveexec_b64 s[4:5], vcc
	s_cbranch_execz .LBB1405_537
; %bb.527:
	s_and_b64 vcc, exec, s[2:3]
	s_cbranch_vccnz .LBB1405_534
; %bb.528:
	v_mul_lo_u32 v26, v9, s12
	v_mul_lo_u32 v27, v8, s13
	v_mad_u64_u32 v[8:9], s[20:21], v8, s12, 0
	v_add3_u32 v9, v9, v27, v26
	v_mul_lo_u32 v26, v7, s12
	v_mul_lo_u32 v27, v6, s13
	v_mad_u64_u32 v[28:29], s[20:21], v6, s12, 0
	v_add3_u32 v29, v29, v27, v26
	v_lshl_add_u64 v[26:27], v[8:9], 1, s[14:15]
	v_lshl_add_u64 v[28:29], v[28:29], 1, s[14:15]
	global_load_ushort v8, v[26:27], off
	global_load_ushort v9, v[28:29], off
	s_waitcnt vmcnt(0)
	v_cmp_eq_u16_e32 vcc, v8, v9
	v_mov_b64_e32 v[8:9], 1
	s_and_saveexec_b64 s[20:21], vcc
	s_cbranch_execz .LBB1405_536
; %bb.529:
	s_add_u32 s22, s12, -1
	v_lshl_add_u64 v[8:9], v[28:29], 0, 2
	v_lshl_add_u64 v[26:27], v[26:27], 0, 2
	s_addc_u32 s23, s13, -1
	s_mov_b64 s[24:25], 0
	s_mov_b64 s[28:29], 0
                                        ; implicit-def: $sgpr26_sgpr27
	s_branch .LBB1405_532
.LBB1405_530:                           ;   in Loop: Header=BB1405_532 Depth=1
	global_load_ushort v28, v[26:27], off
	global_load_ushort v29, v[8:9], off
	s_add_u32 s28, s28, 1
	s_addc_u32 s29, s29, 0
	s_andn2_b64 s[26:27], s[26:27], exec
	v_lshl_add_u64 v[8:9], v[8:9], 0, 2
	v_lshl_add_u64 v[26:27], v[26:27], 0, 2
	s_waitcnt vmcnt(0)
	v_cmp_ne_u16_e32 vcc, v28, v29
	s_and_b64 s[30:31], vcc, exec
	s_or_b64 s[26:27], s[26:27], s[30:31]
.LBB1405_531:                           ;   in Loop: Header=BB1405_532 Depth=1
	s_and_b64 s[30:31], exec, s[26:27]
	s_or_b64 s[24:25], s[30:31], s[24:25]
	v_mov_b64_e32 v[28:29], s[28:29]
	s_andn2_b64 exec, exec, s[24:25]
	s_cbranch_execz .LBB1405_535
.LBB1405_532:                           ; =>This Inner Loop Header: Depth=1
	s_or_b64 s[26:27], s[26:27], exec
	s_cmp_eq_u64 s[22:23], s[28:29]
	s_cbranch_scc0 .LBB1405_530
; %bb.533:                              ;   in Loop: Header=BB1405_532 Depth=1
                                        ; implicit-def: $vgpr8_vgpr9
                                        ; implicit-def: $vgpr26_vgpr27
	s_mov_b64 s[28:29], s[12:13]
	s_branch .LBB1405_531
.LBB1405_534:
	v_mov_b64_e32 v[8:9], 0
	s_branch .LBB1405_537
.LBB1405_535:
	s_or_b64 exec, exec, s[24:25]
	v_cmp_gt_i64_e32 vcc, s[12:13], v[28:29]
	s_mov_b32 s7, 0
	v_mov_b32_e32 v9, s7
	v_cndmask_b32_e64 v8, 0, 1, vcc
.LBB1405_536:
	s_or_b64 exec, exec, s[20:21]
.LBB1405_537:
	s_or_b64 exec, exec, s[4:5]
	v_add_u32_e32 v26, 2, v1
	v_cmp_gt_u32_e32 vcc, s10, v26
	s_and_saveexec_b64 s[4:5], vcc
	s_cbranch_execz .LBB1405_548
; %bb.538:
	s_and_b64 vcc, exec, s[2:3]
	s_cbranch_vccnz .LBB1405_545
; %bb.539:
	v_mul_lo_u32 v26, v7, s12
	v_mul_lo_u32 v27, v6, s13
	v_mad_u64_u32 v[6:7], s[20:21], v6, s12, 0
	v_add3_u32 v7, v7, v27, v26
	v_mul_lo_u32 v26, v5, s12
	v_mul_lo_u32 v27, v4, s13
	v_mad_u64_u32 v[28:29], s[20:21], v4, s12, 0
	v_add3_u32 v29, v29, v27, v26
	v_lshl_add_u64 v[26:27], v[6:7], 1, s[14:15]
	v_lshl_add_u64 v[28:29], v[28:29], 1, s[14:15]
	global_load_ushort v6, v[26:27], off
	global_load_ushort v7, v[28:29], off
	s_waitcnt vmcnt(0)
	v_cmp_eq_u16_e32 vcc, v6, v7
	v_mov_b64_e32 v[6:7], 1
	s_and_saveexec_b64 s[20:21], vcc
	s_cbranch_execz .LBB1405_547
; %bb.540:
	s_add_u32 s22, s12, -1
	v_lshl_add_u64 v[6:7], v[28:29], 0, 2
	v_lshl_add_u64 v[26:27], v[26:27], 0, 2
	s_addc_u32 s23, s13, -1
	s_mov_b64 s[24:25], 0
	s_mov_b64 s[28:29], 0
                                        ; implicit-def: $sgpr26_sgpr27
	s_branch .LBB1405_543
.LBB1405_541:                           ;   in Loop: Header=BB1405_543 Depth=1
	global_load_ushort v28, v[26:27], off
	global_load_ushort v29, v[6:7], off
	s_add_u32 s28, s28, 1
	s_addc_u32 s29, s29, 0
	s_andn2_b64 s[26:27], s[26:27], exec
	v_lshl_add_u64 v[6:7], v[6:7], 0, 2
	v_lshl_add_u64 v[26:27], v[26:27], 0, 2
	s_waitcnt vmcnt(0)
	v_cmp_ne_u16_e32 vcc, v28, v29
	s_and_b64 s[30:31], vcc, exec
	s_or_b64 s[26:27], s[26:27], s[30:31]
.LBB1405_542:                           ;   in Loop: Header=BB1405_543 Depth=1
	s_and_b64 s[30:31], exec, s[26:27]
	s_or_b64 s[24:25], s[30:31], s[24:25]
	v_mov_b64_e32 v[28:29], s[28:29]
	s_andn2_b64 exec, exec, s[24:25]
	s_cbranch_execz .LBB1405_546
.LBB1405_543:                           ; =>This Inner Loop Header: Depth=1
	s_or_b64 s[26:27], s[26:27], exec
	s_cmp_eq_u64 s[22:23], s[28:29]
	s_cbranch_scc0 .LBB1405_541
; %bb.544:                              ;   in Loop: Header=BB1405_543 Depth=1
                                        ; implicit-def: $vgpr6_vgpr7
                                        ; implicit-def: $vgpr26_vgpr27
	s_mov_b64 s[28:29], s[12:13]
	s_branch .LBB1405_542
.LBB1405_545:
	v_mov_b64_e32 v[6:7], 0
	s_branch .LBB1405_548
.LBB1405_546:
	s_or_b64 exec, exec, s[24:25]
	v_cmp_gt_i64_e32 vcc, s[12:13], v[28:29]
	s_mov_b32 s7, 0
	v_mov_b32_e32 v7, s7
	v_cndmask_b32_e64 v6, 0, 1, vcc
.LBB1405_547:
	s_or_b64 exec, exec, s[20:21]
.LBB1405_548:
	s_or_b64 exec, exec, s[4:5]
	v_add_u32_e32 v26, 1, v1
	v_cmp_gt_u32_e32 vcc, s10, v26
	s_and_saveexec_b64 s[4:5], vcc
	s_cbranch_execz .LBB1405_559
; %bb.549:
	s_and_b64 vcc, exec, s[2:3]
	s_cbranch_vccnz .LBB1405_556
; %bb.550:
	v_mul_lo_u32 v26, v5, s12
	v_mul_lo_u32 v27, v4, s13
	v_mad_u64_u32 v[4:5], s[20:21], v4, s12, 0
	v_add3_u32 v5, v5, v27, v26
	v_mul_lo_u32 v26, v3, s12
	v_mul_lo_u32 v27, v2, s13
	v_mad_u64_u32 v[28:29], s[20:21], v2, s12, 0
	v_add3_u32 v29, v29, v27, v26
	v_lshl_add_u64 v[26:27], v[4:5], 1, s[14:15]
	v_lshl_add_u64 v[28:29], v[28:29], 1, s[14:15]
	global_load_ushort v4, v[26:27], off
	global_load_ushort v5, v[28:29], off
	s_waitcnt vmcnt(0)
	v_cmp_eq_u16_e32 vcc, v4, v5
	v_mov_b64_e32 v[4:5], 1
	s_and_saveexec_b64 s[20:21], vcc
	s_cbranch_execz .LBB1405_558
; %bb.551:
	s_add_u32 s22, s12, -1
	v_lshl_add_u64 v[4:5], v[28:29], 0, 2
	v_lshl_add_u64 v[26:27], v[26:27], 0, 2
	s_addc_u32 s23, s13, -1
	s_mov_b64 s[24:25], 0
	s_mov_b64 s[28:29], 0
                                        ; implicit-def: $sgpr26_sgpr27
	s_branch .LBB1405_554
.LBB1405_552:                           ;   in Loop: Header=BB1405_554 Depth=1
	global_load_ushort v28, v[26:27], off
	global_load_ushort v29, v[4:5], off
	s_add_u32 s28, s28, 1
	s_addc_u32 s29, s29, 0
	s_andn2_b64 s[26:27], s[26:27], exec
	v_lshl_add_u64 v[4:5], v[4:5], 0, 2
	v_lshl_add_u64 v[26:27], v[26:27], 0, 2
	s_waitcnt vmcnt(0)
	v_cmp_ne_u16_e32 vcc, v28, v29
	s_and_b64 s[30:31], vcc, exec
	s_or_b64 s[26:27], s[26:27], s[30:31]
.LBB1405_553:                           ;   in Loop: Header=BB1405_554 Depth=1
	s_and_b64 s[30:31], exec, s[26:27]
	s_or_b64 s[24:25], s[30:31], s[24:25]
	v_mov_b64_e32 v[28:29], s[28:29]
	s_andn2_b64 exec, exec, s[24:25]
	s_cbranch_execz .LBB1405_557
.LBB1405_554:                           ; =>This Inner Loop Header: Depth=1
	s_or_b64 s[26:27], s[26:27], exec
	s_cmp_eq_u64 s[22:23], s[28:29]
	s_cbranch_scc0 .LBB1405_552
; %bb.555:                              ;   in Loop: Header=BB1405_554 Depth=1
                                        ; implicit-def: $vgpr4_vgpr5
                                        ; implicit-def: $vgpr26_vgpr27
	s_mov_b64 s[28:29], s[12:13]
	s_branch .LBB1405_553
.LBB1405_556:
	v_mov_b64_e32 v[4:5], 0
	s_branch .LBB1405_559
.LBB1405_557:
	s_or_b64 exec, exec, s[24:25]
	v_cmp_gt_i64_e32 vcc, s[12:13], v[28:29]
	s_mov_b32 s7, 0
	v_mov_b32_e32 v5, s7
	v_cndmask_b32_e64 v4, 0, 1, vcc
.LBB1405_558:
	s_or_b64 exec, exec, s[20:21]
.LBB1405_559:
	s_or_b64 exec, exec, s[4:5]
	v_cmp_ne_u32_e32 vcc, 0, v0
	v_cmp_gt_u32_e64 s[4:5], s10, v1
	s_and_b64 s[20:21], vcc, s[4:5]
	s_waitcnt lgkmcnt(0)
	; wave barrier
	s_waitcnt lgkmcnt(0)
                                        ; implicit-def: $sgpr24_sgpr25
	s_and_saveexec_b64 s[4:5], s[20:21]
	s_cbranch_execz .LBB1405_571
; %bb.560:
	s_and_b64 vcc, exec, s[2:3]
	s_cbranch_vccnz .LBB1405_567
; %bb.561:
	v_mul_lo_u32 v1, v3, s12
	v_add_u32_e32 v3, -8, v48
	ds_read_b64 v[26:27], v3
	v_mul_lo_u32 v28, v2, s13
	v_mad_u64_u32 v[2:3], s[2:3], v2, s12, 0
	v_add3_u32 v3, v3, v28, v1
	s_waitcnt lgkmcnt(0)
	v_mul_lo_u32 v1, v27, s12
	v_mul_lo_u32 v27, v26, s13
	v_mad_u64_u32 v[28:29], s[2:3], v26, s12, 0
	v_add3_u32 v29, v29, v27, v1
	v_lshl_add_u64 v[26:27], v[2:3], 1, s[14:15]
	v_lshl_add_u64 v[2:3], v[28:29], 1, s[14:15]
	global_load_ushort v1, v[26:27], off
	global_load_ushort v28, v[2:3], off
	s_mov_b64 s[14:15], -1
	s_waitcnt vmcnt(0)
	v_cmp_eq_u16_e32 vcc, v1, v28
	s_and_saveexec_b64 s[2:3], vcc
	s_cbranch_execz .LBB1405_569
; %bb.562:
	s_add_u32 s14, s12, -1
	v_lshl_add_u64 v[2:3], v[2:3], 0, 2
	v_lshl_add_u64 v[26:27], v[26:27], 0, 2
	s_addc_u32 s15, s13, -1
	s_mov_b64 s[20:21], 0
	s_mov_b64 s[24:25], 0
                                        ; implicit-def: $sgpr22_sgpr23
	s_branch .LBB1405_565
.LBB1405_563:                           ;   in Loop: Header=BB1405_565 Depth=1
	global_load_ushort v1, v[26:27], off
	global_load_ushort v28, v[2:3], off
	s_add_u32 s24, s24, 1
	s_addc_u32 s25, s25, 0
	s_andn2_b64 s[22:23], s[22:23], exec
	v_lshl_add_u64 v[2:3], v[2:3], 0, 2
	v_lshl_add_u64 v[26:27], v[26:27], 0, 2
	s_waitcnt vmcnt(0)
	v_cmp_ne_u16_e32 vcc, v1, v28
	s_and_b64 s[26:27], vcc, exec
	s_or_b64 s[22:23], s[22:23], s[26:27]
.LBB1405_564:                           ;   in Loop: Header=BB1405_565 Depth=1
	s_and_b64 s[26:27], exec, s[22:23]
	s_or_b64 s[20:21], s[26:27], s[20:21]
	v_mov_b64_e32 v[28:29], s[24:25]
	s_andn2_b64 exec, exec, s[20:21]
	s_cbranch_execz .LBB1405_568
.LBB1405_565:                           ; =>This Inner Loop Header: Depth=1
	s_or_b64 s[22:23], s[22:23], exec
	s_cmp_eq_u64 s[14:15], s[24:25]
	s_cbranch_scc0 .LBB1405_563
; %bb.566:                              ;   in Loop: Header=BB1405_565 Depth=1
                                        ; implicit-def: $vgpr2_vgpr3
                                        ; implicit-def: $vgpr26_vgpr27
	s_mov_b64 s[24:25], s[12:13]
	s_branch .LBB1405_564
.LBB1405_567:
	s_mov_b64 s[14:15], 0
	s_branch .LBB1405_570
.LBB1405_568:
	s_or_b64 exec, exec, s[20:21]
	v_cmp_gt_i64_e32 vcc, s[12:13], v[28:29]
	s_orn2_b64 s[14:15], vcc, exec
.LBB1405_569:
	s_or_b64 exec, exec, s[2:3]
.LBB1405_570:
	s_and_b64 s[24:25], s[14:15], exec
	s_or_b64 s[18:19], s[18:19], exec
.LBB1405_571:
	s_or_b64 exec, exec, s[4:5]
	v_mov_b64_e32 v[50:51], v[44:45]
	v_mov_b64_e32 v[52:53], v[24:25]
	;; [unrolled: 1-line block ×23, first 2 shown]
.LBB1405_572:
	s_and_saveexec_b64 s[2:3], s[18:19]
	s_cbranch_execz .LBB1405_574
; %bb.573:
	s_mov_b32 s4, 0
	v_cndmask_b32_e64 v2, 0, 1, s[24:25]
	v_mov_b32_e32 v3, s4
	v_mov_b64_e32 v[30:31], v[54:55]
	v_mov_b64_e32 v[80:81], v[56:57]
	;; [unrolled: 1-line block ×9, first 2 shown]
	s_waitcnt lgkmcnt(0)
	v_mov_b64_e32 v[26:27], v[46:47]
	v_mov_b64_e32 v[72:73], v[52:53]
.LBB1405_574:
	s_or_b64 exec, exec, s[2:3]
	s_add_u32 s4, s8, s16
	s_addc_u32 s5, s9, s17
	s_and_b64 vcc, exec, s[0:1]
	s_waitcnt lgkmcnt(0)
	; wave barrier
	s_waitcnt lgkmcnt(0)
	s_cbranch_vccz .LBB1405_600
; %bb.575:
	s_movk_i32 s2, 0x68
	v_mul_u32_u24_e32 v1, 0x68, v0
	v_mov_b32_e32 v4, v82
	v_mov_b32_e32 v5, v83
	v_mul_i32_i24_e32 v28, 0xffffffa0, v0
	ds_write2_b64 v1, v[2:3], v[4:5] offset1:1
	ds_write2_b64 v1, v[74:75], v[42:43] offset0:2 offset1:3
	ds_write2_b64 v1, v[76:77], v[38:39] offset0:4 offset1:5
	;; [unrolled: 1-line block ×5, first 2 shown]
	ds_write_b64 v1, v[50:51] offset:96
	v_mad_u32_u24 v4, v0, s2, v28
	s_waitcnt lgkmcnt(0)
	; wave barrier
	s_waitcnt lgkmcnt(0)
	ds_read2st64_b64 v[44:47], v4 offset0:1 offset1:2
	ds_read2st64_b64 v[20:23], v4 offset0:3 offset1:4
	;; [unrolled: 1-line block ×6, first 2 shown]
	s_mov_b32 s7, 0
	s_add_i32 s11, s11, s10
	s_lshl_b64 s[0:1], s[6:7], 3
	s_add_u32 s0, s4, s0
	s_addc_u32 s1, s5, s1
	v_mov_b32_e32 v49, 0
	v_lshl_add_u64 v[24:25], s[0:1], 0, v[48:49]
	v_cmp_gt_u32_e32 vcc, s11, v0
	s_and_saveexec_b64 s[0:1], vcc
	s_cbranch_execz .LBB1405_577
; %bb.576:
	v_add_u32_e32 v1, v1, v28
	ds_read_b64 v[28:29], v1
	s_waitcnt lgkmcnt(0)
	global_store_dwordx2 v[24:25], v[28:29], off
.LBB1405_577:
	s_or_b64 exec, exec, s[0:1]
	v_or_b32_e32 v1, 64, v0
	v_cmp_gt_u32_e32 vcc, s11, v1
	s_and_saveexec_b64 s[0:1], vcc
	s_cbranch_execz .LBB1405_579
; %bb.578:
	s_waitcnt lgkmcnt(5)
	global_store_dwordx2 v[24:25], v[44:45], off offset:512
.LBB1405_579:
	s_or_b64 exec, exec, s[0:1]
	v_or_b32_e32 v1, 0x80, v0
	v_cmp_gt_u32_e32 vcc, s11, v1
	s_and_saveexec_b64 s[0:1], vcc
	s_cbranch_execz .LBB1405_581
; %bb.580:
	s_waitcnt lgkmcnt(5)
	global_store_dwordx2 v[24:25], v[46:47], off offset:1024
.LBB1405_581:
	;; [unrolled: 9-line block ×7, first 2 shown]
	s_or_b64 exec, exec, s[0:1]
	v_or_b32_e32 v1, 0x200, v0
	v_cmp_gt_u32_e32 vcc, s11, v1
	s_and_saveexec_b64 s[0:1], vcc
	s_cbranch_execz .LBB1405_593
; %bb.592:
	s_waitcnt lgkmcnt(2)
	v_add_co_u32_e32 v12, vcc, 0x1000, v24
	s_nop 1
	v_addc_co_u32_e32 v13, vcc, 0, v25, vcc
	global_store_dwordx2 v[12:13], v[14:15], off
.LBB1405_593:
	s_or_b64 exec, exec, s[0:1]
	v_or_b32_e32 v1, 0x240, v0
	v_cmp_gt_u32_e32 vcc, s11, v1
	s_and_saveexec_b64 s[0:1], vcc
	s_cbranch_execz .LBB1405_595
; %bb.594:
	s_waitcnt lgkmcnt(2)
	v_add_co_u32_e32 v12, vcc, 0x1000, v24
	s_nop 1
	v_addc_co_u32_e32 v13, vcc, 0, v25, vcc
	s_waitcnt lgkmcnt(1)
	global_store_dwordx2 v[12:13], v[8:9], off offset:512
.LBB1405_595:
	s_or_b64 exec, exec, s[0:1]
	v_or_b32_e32 v1, 0x280, v0
	v_cmp_gt_u32_e32 vcc, s11, v1
	s_and_saveexec_b64 s[0:1], vcc
	s_cbranch_execz .LBB1405_597
; %bb.596:
	s_waitcnt lgkmcnt(1)
	v_add_co_u32_e32 v8, vcc, 0x1000, v24
	s_nop 1
	v_addc_co_u32_e32 v9, vcc, 0, v25, vcc
	global_store_dwordx2 v[8:9], v[10:11], off offset:1024
.LBB1405_597:
	s_or_b64 exec, exec, s[0:1]
	v_or_b32_e32 v1, 0x2c0, v0
	v_cmp_gt_u32_e32 vcc, s11, v1
	s_and_saveexec_b64 s[0:1], vcc
	s_cbranch_execz .LBB1405_599
; %bb.598:
	s_waitcnt lgkmcnt(1)
	v_add_co_u32_e32 v8, vcc, 0x1000, v24
	s_nop 1
	v_addc_co_u32_e32 v9, vcc, 0, v25, vcc
	s_waitcnt lgkmcnt(0)
	global_store_dwordx2 v[8:9], v[4:5], off offset:1536
.LBB1405_599:
	s_or_b64 exec, exec, s[0:1]
	v_or_b32_e32 v1, 0x300, v0
	v_cmp_gt_u32_e64 s[0:1], s11, v1
	s_branch .LBB1405_602
.LBB1405_600:
	s_mov_b64 s[0:1], 0
                                        ; implicit-def: $vgpr6_vgpr7
                                        ; implicit-def: $vgpr24_vgpr25
	s_cbranch_execz .LBB1405_602
; %bb.601:
	s_mov_b32 s7, 0
	s_lshl_b64 s[2:3], s[6:7], 3
	v_mul_u32_u24_e32 v1, 0x68, v0
	s_add_u32 s2, s4, s2
	s_movk_i32 s4, 0x68
	ds_write2_b64 v1, v[2:3], v[82:83] offset1:1
	ds_write2_b64 v1, v[74:75], v[42:43] offset0:2 offset1:3
	ds_write2_b64 v1, v[76:77], v[38:39] offset0:4 offset1:5
	ds_write2_b64 v1, v[78:79], v[34:35] offset0:6 offset1:7
	ds_write2_b64 v1, v[80:81], v[30:31] offset0:8 offset1:9
	ds_write2_b64 v1, v[26:27], v[72:73] offset0:10 offset1:11
	ds_write_b64 v1, v[50:51] offset:96
	v_mul_i32_i24_e32 v1, 0xffffffa0, v0
	s_waitcnt lgkmcnt(7)
	v_mad_u32_u24 v4, v0, s4, v1
	s_addc_u32 s3, s5, s3
	s_waitcnt lgkmcnt(0)
	; wave barrier
	s_waitcnt lgkmcnt(0)
	ds_read2st64_b64 v[0:3], v4 offset1:1
	ds_read2st64_b64 v[8:11], v4 offset0:2 offset1:3
	ds_read2st64_b64 v[12:15], v4 offset0:4 offset1:5
	;; [unrolled: 1-line block ×5, first 2 shown]
	ds_read_b64 v[6:7], v4 offset:6144
	v_mov_b32_e32 v49, 0
	v_lshl_add_u64 v[24:25], s[2:3], 0, v[48:49]
	s_waitcnt lgkmcnt(6)
	global_store_dwordx2 v48, v[0:1], s[2:3]
	global_store_dwordx2 v48, v[2:3], s[2:3] offset:512
	s_waitcnt lgkmcnt(5)
	global_store_dwordx2 v48, v[8:9], s[2:3] offset:1024
	global_store_dwordx2 v48, v[10:11], s[2:3] offset:1536
	s_waitcnt lgkmcnt(4)
	global_store_dwordx2 v48, v[12:13], s[2:3] offset:2048
	;; [unrolled: 3-line block ×3, first 2 shown]
	global_store_dwordx2 v48, v[18:19], s[2:3] offset:3584
	v_add_co_u32_e32 v0, vcc, 0x1000, v24
	s_or_b64 s[0:1], s[0:1], exec
	s_nop 0
	v_addc_co_u32_e32 v1, vcc, 0, v25, vcc
	s_waitcnt lgkmcnt(2)
	global_store_dwordx2 v[0:1], v[20:21], off
	global_store_dwordx2 v[0:1], v[22:23], off offset:512
	s_waitcnt lgkmcnt(1)
	global_store_dwordx2 v[0:1], v[26:27], off offset:1024
	global_store_dwordx2 v[0:1], v[28:29], off offset:1536
.LBB1405_602:
	s_and_saveexec_b64 s[2:3], s[0:1]
	s_cbranch_execnz .LBB1405_604
; %bb.603:
	s_endpgm
.LBB1405_604:
	v_add_co_u32_e32 v0, vcc, 0x1000, v24
	s_nop 1
	v_addc_co_u32_e32 v1, vcc, 0, v25, vcc
	s_waitcnt lgkmcnt(0)
	global_store_dwordx2 v[0:1], v[6:7], off offset:2048
	s_endpgm
	.section	.rodata,"a",@progbits
	.p2align	6, 0x0
	.amdhsa_kernel _ZN7rocprim17ROCPRIM_400000_NS6detail17trampoline_kernelINS0_14default_configENS1_35adjacent_difference_config_selectorILb0ElEEZNS1_24adjacent_difference_implIS3_Lb0ELb0EPlS7_ZN2at6native12_GLOBAL__N_124unique_dim_cuda_templateItEESt5tupleIJNS8_6TensorESD_SD_EERKSD_lbbbEUlllE1_EE10hipError_tPvRmT2_T3_mT4_P12ihipStream_tbEUlT_E_NS1_11comp_targetILNS1_3genE5ELNS1_11target_archE942ELNS1_3gpuE9ELNS1_3repE0EEENS1_30default_config_static_selectorELNS0_4arch9wavefront6targetE1EEEvT1_
		.amdhsa_group_segment_fixed_size 6656
		.amdhsa_private_segment_fixed_size 0
		.amdhsa_kernarg_size 64
		.amdhsa_user_sgpr_count 2
		.amdhsa_user_sgpr_dispatch_ptr 0
		.amdhsa_user_sgpr_queue_ptr 0
		.amdhsa_user_sgpr_kernarg_segment_ptr 1
		.amdhsa_user_sgpr_dispatch_id 0
		.amdhsa_user_sgpr_kernarg_preload_length 0
		.amdhsa_user_sgpr_kernarg_preload_offset 0
		.amdhsa_user_sgpr_private_segment_size 0
		.amdhsa_uses_dynamic_stack 0
		.amdhsa_enable_private_segment 0
		.amdhsa_system_sgpr_workgroup_id_x 1
		.amdhsa_system_sgpr_workgroup_id_y 0
		.amdhsa_system_sgpr_workgroup_id_z 0
		.amdhsa_system_sgpr_workgroup_info 0
		.amdhsa_system_vgpr_workitem_id 0
		.amdhsa_next_free_vgpr 84
		.amdhsa_next_free_sgpr 38
		.amdhsa_accum_offset 84
		.amdhsa_reserve_vcc 1
		.amdhsa_float_round_mode_32 0
		.amdhsa_float_round_mode_16_64 0
		.amdhsa_float_denorm_mode_32 3
		.amdhsa_float_denorm_mode_16_64 3
		.amdhsa_dx10_clamp 1
		.amdhsa_ieee_mode 1
		.amdhsa_fp16_overflow 0
		.amdhsa_tg_split 0
		.amdhsa_exception_fp_ieee_invalid_op 0
		.amdhsa_exception_fp_denorm_src 0
		.amdhsa_exception_fp_ieee_div_zero 0
		.amdhsa_exception_fp_ieee_overflow 0
		.amdhsa_exception_fp_ieee_underflow 0
		.amdhsa_exception_fp_ieee_inexact 0
		.amdhsa_exception_int_div_zero 0
	.end_amdhsa_kernel
	.section	.text._ZN7rocprim17ROCPRIM_400000_NS6detail17trampoline_kernelINS0_14default_configENS1_35adjacent_difference_config_selectorILb0ElEEZNS1_24adjacent_difference_implIS3_Lb0ELb0EPlS7_ZN2at6native12_GLOBAL__N_124unique_dim_cuda_templateItEESt5tupleIJNS8_6TensorESD_SD_EERKSD_lbbbEUlllE1_EE10hipError_tPvRmT2_T3_mT4_P12ihipStream_tbEUlT_E_NS1_11comp_targetILNS1_3genE5ELNS1_11target_archE942ELNS1_3gpuE9ELNS1_3repE0EEENS1_30default_config_static_selectorELNS0_4arch9wavefront6targetE1EEEvT1_,"axG",@progbits,_ZN7rocprim17ROCPRIM_400000_NS6detail17trampoline_kernelINS0_14default_configENS1_35adjacent_difference_config_selectorILb0ElEEZNS1_24adjacent_difference_implIS3_Lb0ELb0EPlS7_ZN2at6native12_GLOBAL__N_124unique_dim_cuda_templateItEESt5tupleIJNS8_6TensorESD_SD_EERKSD_lbbbEUlllE1_EE10hipError_tPvRmT2_T3_mT4_P12ihipStream_tbEUlT_E_NS1_11comp_targetILNS1_3genE5ELNS1_11target_archE942ELNS1_3gpuE9ELNS1_3repE0EEENS1_30default_config_static_selectorELNS0_4arch9wavefront6targetE1EEEvT1_,comdat
.Lfunc_end1405:
	.size	_ZN7rocprim17ROCPRIM_400000_NS6detail17trampoline_kernelINS0_14default_configENS1_35adjacent_difference_config_selectorILb0ElEEZNS1_24adjacent_difference_implIS3_Lb0ELb0EPlS7_ZN2at6native12_GLOBAL__N_124unique_dim_cuda_templateItEESt5tupleIJNS8_6TensorESD_SD_EERKSD_lbbbEUlllE1_EE10hipError_tPvRmT2_T3_mT4_P12ihipStream_tbEUlT_E_NS1_11comp_targetILNS1_3genE5ELNS1_11target_archE942ELNS1_3gpuE9ELNS1_3repE0EEENS1_30default_config_static_selectorELNS0_4arch9wavefront6targetE1EEEvT1_, .Lfunc_end1405-_ZN7rocprim17ROCPRIM_400000_NS6detail17trampoline_kernelINS0_14default_configENS1_35adjacent_difference_config_selectorILb0ElEEZNS1_24adjacent_difference_implIS3_Lb0ELb0EPlS7_ZN2at6native12_GLOBAL__N_124unique_dim_cuda_templateItEESt5tupleIJNS8_6TensorESD_SD_EERKSD_lbbbEUlllE1_EE10hipError_tPvRmT2_T3_mT4_P12ihipStream_tbEUlT_E_NS1_11comp_targetILNS1_3genE5ELNS1_11target_archE942ELNS1_3gpuE9ELNS1_3repE0EEENS1_30default_config_static_selectorELNS0_4arch9wavefront6targetE1EEEvT1_
                                        ; -- End function
	.section	.AMDGPU.csdata,"",@progbits
; Kernel info:
; codeLenInByte = 18140
; NumSgprs: 44
; NumVgprs: 84
; NumAgprs: 0
; TotalNumVgprs: 84
; ScratchSize: 0
; MemoryBound: 0
; FloatMode: 240
; IeeeMode: 1
; LDSByteSize: 6656 bytes/workgroup (compile time only)
; SGPRBlocks: 5
; VGPRBlocks: 10
; NumSGPRsForWavesPerEU: 44
; NumVGPRsForWavesPerEU: 84
; AccumOffset: 84
; Occupancy: 3
; WaveLimiterHint : 1
; COMPUTE_PGM_RSRC2:SCRATCH_EN: 0
; COMPUTE_PGM_RSRC2:USER_SGPR: 2
; COMPUTE_PGM_RSRC2:TRAP_HANDLER: 0
; COMPUTE_PGM_RSRC2:TGID_X_EN: 1
; COMPUTE_PGM_RSRC2:TGID_Y_EN: 0
; COMPUTE_PGM_RSRC2:TGID_Z_EN: 0
; COMPUTE_PGM_RSRC2:TIDIG_COMP_CNT: 0
; COMPUTE_PGM_RSRC3_GFX90A:ACCUM_OFFSET: 20
; COMPUTE_PGM_RSRC3_GFX90A:TG_SPLIT: 0
	.section	.text._ZN7rocprim17ROCPRIM_400000_NS6detail17trampoline_kernelINS0_14default_configENS1_35adjacent_difference_config_selectorILb0ElEEZNS1_24adjacent_difference_implIS3_Lb0ELb0EPlS7_ZN2at6native12_GLOBAL__N_124unique_dim_cuda_templateItEESt5tupleIJNS8_6TensorESD_SD_EERKSD_lbbbEUlllE1_EE10hipError_tPvRmT2_T3_mT4_P12ihipStream_tbEUlT_E_NS1_11comp_targetILNS1_3genE4ELNS1_11target_archE910ELNS1_3gpuE8ELNS1_3repE0EEENS1_30default_config_static_selectorELNS0_4arch9wavefront6targetE1EEEvT1_,"axG",@progbits,_ZN7rocprim17ROCPRIM_400000_NS6detail17trampoline_kernelINS0_14default_configENS1_35adjacent_difference_config_selectorILb0ElEEZNS1_24adjacent_difference_implIS3_Lb0ELb0EPlS7_ZN2at6native12_GLOBAL__N_124unique_dim_cuda_templateItEESt5tupleIJNS8_6TensorESD_SD_EERKSD_lbbbEUlllE1_EE10hipError_tPvRmT2_T3_mT4_P12ihipStream_tbEUlT_E_NS1_11comp_targetILNS1_3genE4ELNS1_11target_archE910ELNS1_3gpuE8ELNS1_3repE0EEENS1_30default_config_static_selectorELNS0_4arch9wavefront6targetE1EEEvT1_,comdat
	.globl	_ZN7rocprim17ROCPRIM_400000_NS6detail17trampoline_kernelINS0_14default_configENS1_35adjacent_difference_config_selectorILb0ElEEZNS1_24adjacent_difference_implIS3_Lb0ELb0EPlS7_ZN2at6native12_GLOBAL__N_124unique_dim_cuda_templateItEESt5tupleIJNS8_6TensorESD_SD_EERKSD_lbbbEUlllE1_EE10hipError_tPvRmT2_T3_mT4_P12ihipStream_tbEUlT_E_NS1_11comp_targetILNS1_3genE4ELNS1_11target_archE910ELNS1_3gpuE8ELNS1_3repE0EEENS1_30default_config_static_selectorELNS0_4arch9wavefront6targetE1EEEvT1_ ; -- Begin function _ZN7rocprim17ROCPRIM_400000_NS6detail17trampoline_kernelINS0_14default_configENS1_35adjacent_difference_config_selectorILb0ElEEZNS1_24adjacent_difference_implIS3_Lb0ELb0EPlS7_ZN2at6native12_GLOBAL__N_124unique_dim_cuda_templateItEESt5tupleIJNS8_6TensorESD_SD_EERKSD_lbbbEUlllE1_EE10hipError_tPvRmT2_T3_mT4_P12ihipStream_tbEUlT_E_NS1_11comp_targetILNS1_3genE4ELNS1_11target_archE910ELNS1_3gpuE8ELNS1_3repE0EEENS1_30default_config_static_selectorELNS0_4arch9wavefront6targetE1EEEvT1_
	.p2align	8
	.type	_ZN7rocprim17ROCPRIM_400000_NS6detail17trampoline_kernelINS0_14default_configENS1_35adjacent_difference_config_selectorILb0ElEEZNS1_24adjacent_difference_implIS3_Lb0ELb0EPlS7_ZN2at6native12_GLOBAL__N_124unique_dim_cuda_templateItEESt5tupleIJNS8_6TensorESD_SD_EERKSD_lbbbEUlllE1_EE10hipError_tPvRmT2_T3_mT4_P12ihipStream_tbEUlT_E_NS1_11comp_targetILNS1_3genE4ELNS1_11target_archE910ELNS1_3gpuE8ELNS1_3repE0EEENS1_30default_config_static_selectorELNS0_4arch9wavefront6targetE1EEEvT1_,@function
_ZN7rocprim17ROCPRIM_400000_NS6detail17trampoline_kernelINS0_14default_configENS1_35adjacent_difference_config_selectorILb0ElEEZNS1_24adjacent_difference_implIS3_Lb0ELb0EPlS7_ZN2at6native12_GLOBAL__N_124unique_dim_cuda_templateItEESt5tupleIJNS8_6TensorESD_SD_EERKSD_lbbbEUlllE1_EE10hipError_tPvRmT2_T3_mT4_P12ihipStream_tbEUlT_E_NS1_11comp_targetILNS1_3genE4ELNS1_11target_archE910ELNS1_3gpuE8ELNS1_3repE0EEENS1_30default_config_static_selectorELNS0_4arch9wavefront6targetE1EEEvT1_: ; @_ZN7rocprim17ROCPRIM_400000_NS6detail17trampoline_kernelINS0_14default_configENS1_35adjacent_difference_config_selectorILb0ElEEZNS1_24adjacent_difference_implIS3_Lb0ELb0EPlS7_ZN2at6native12_GLOBAL__N_124unique_dim_cuda_templateItEESt5tupleIJNS8_6TensorESD_SD_EERKSD_lbbbEUlllE1_EE10hipError_tPvRmT2_T3_mT4_P12ihipStream_tbEUlT_E_NS1_11comp_targetILNS1_3genE4ELNS1_11target_archE910ELNS1_3gpuE8ELNS1_3repE0EEENS1_30default_config_static_selectorELNS0_4arch9wavefront6targetE1EEEvT1_
; %bb.0:
	.section	.rodata,"a",@progbits
	.p2align	6, 0x0
	.amdhsa_kernel _ZN7rocprim17ROCPRIM_400000_NS6detail17trampoline_kernelINS0_14default_configENS1_35adjacent_difference_config_selectorILb0ElEEZNS1_24adjacent_difference_implIS3_Lb0ELb0EPlS7_ZN2at6native12_GLOBAL__N_124unique_dim_cuda_templateItEESt5tupleIJNS8_6TensorESD_SD_EERKSD_lbbbEUlllE1_EE10hipError_tPvRmT2_T3_mT4_P12ihipStream_tbEUlT_E_NS1_11comp_targetILNS1_3genE4ELNS1_11target_archE910ELNS1_3gpuE8ELNS1_3repE0EEENS1_30default_config_static_selectorELNS0_4arch9wavefront6targetE1EEEvT1_
		.amdhsa_group_segment_fixed_size 0
		.amdhsa_private_segment_fixed_size 0
		.amdhsa_kernarg_size 64
		.amdhsa_user_sgpr_count 2
		.amdhsa_user_sgpr_dispatch_ptr 0
		.amdhsa_user_sgpr_queue_ptr 0
		.amdhsa_user_sgpr_kernarg_segment_ptr 1
		.amdhsa_user_sgpr_dispatch_id 0
		.amdhsa_user_sgpr_kernarg_preload_length 0
		.amdhsa_user_sgpr_kernarg_preload_offset 0
		.amdhsa_user_sgpr_private_segment_size 0
		.amdhsa_uses_dynamic_stack 0
		.amdhsa_enable_private_segment 0
		.amdhsa_system_sgpr_workgroup_id_x 1
		.amdhsa_system_sgpr_workgroup_id_y 0
		.amdhsa_system_sgpr_workgroup_id_z 0
		.amdhsa_system_sgpr_workgroup_info 0
		.amdhsa_system_vgpr_workitem_id 0
		.amdhsa_next_free_vgpr 1
		.amdhsa_next_free_sgpr 0
		.amdhsa_accum_offset 4
		.amdhsa_reserve_vcc 0
		.amdhsa_float_round_mode_32 0
		.amdhsa_float_round_mode_16_64 0
		.amdhsa_float_denorm_mode_32 3
		.amdhsa_float_denorm_mode_16_64 3
		.amdhsa_dx10_clamp 1
		.amdhsa_ieee_mode 1
		.amdhsa_fp16_overflow 0
		.amdhsa_tg_split 0
		.amdhsa_exception_fp_ieee_invalid_op 0
		.amdhsa_exception_fp_denorm_src 0
		.amdhsa_exception_fp_ieee_div_zero 0
		.amdhsa_exception_fp_ieee_overflow 0
		.amdhsa_exception_fp_ieee_underflow 0
		.amdhsa_exception_fp_ieee_inexact 0
		.amdhsa_exception_int_div_zero 0
	.end_amdhsa_kernel
	.section	.text._ZN7rocprim17ROCPRIM_400000_NS6detail17trampoline_kernelINS0_14default_configENS1_35adjacent_difference_config_selectorILb0ElEEZNS1_24adjacent_difference_implIS3_Lb0ELb0EPlS7_ZN2at6native12_GLOBAL__N_124unique_dim_cuda_templateItEESt5tupleIJNS8_6TensorESD_SD_EERKSD_lbbbEUlllE1_EE10hipError_tPvRmT2_T3_mT4_P12ihipStream_tbEUlT_E_NS1_11comp_targetILNS1_3genE4ELNS1_11target_archE910ELNS1_3gpuE8ELNS1_3repE0EEENS1_30default_config_static_selectorELNS0_4arch9wavefront6targetE1EEEvT1_,"axG",@progbits,_ZN7rocprim17ROCPRIM_400000_NS6detail17trampoline_kernelINS0_14default_configENS1_35adjacent_difference_config_selectorILb0ElEEZNS1_24adjacent_difference_implIS3_Lb0ELb0EPlS7_ZN2at6native12_GLOBAL__N_124unique_dim_cuda_templateItEESt5tupleIJNS8_6TensorESD_SD_EERKSD_lbbbEUlllE1_EE10hipError_tPvRmT2_T3_mT4_P12ihipStream_tbEUlT_E_NS1_11comp_targetILNS1_3genE4ELNS1_11target_archE910ELNS1_3gpuE8ELNS1_3repE0EEENS1_30default_config_static_selectorELNS0_4arch9wavefront6targetE1EEEvT1_,comdat
.Lfunc_end1406:
	.size	_ZN7rocprim17ROCPRIM_400000_NS6detail17trampoline_kernelINS0_14default_configENS1_35adjacent_difference_config_selectorILb0ElEEZNS1_24adjacent_difference_implIS3_Lb0ELb0EPlS7_ZN2at6native12_GLOBAL__N_124unique_dim_cuda_templateItEESt5tupleIJNS8_6TensorESD_SD_EERKSD_lbbbEUlllE1_EE10hipError_tPvRmT2_T3_mT4_P12ihipStream_tbEUlT_E_NS1_11comp_targetILNS1_3genE4ELNS1_11target_archE910ELNS1_3gpuE8ELNS1_3repE0EEENS1_30default_config_static_selectorELNS0_4arch9wavefront6targetE1EEEvT1_, .Lfunc_end1406-_ZN7rocprim17ROCPRIM_400000_NS6detail17trampoline_kernelINS0_14default_configENS1_35adjacent_difference_config_selectorILb0ElEEZNS1_24adjacent_difference_implIS3_Lb0ELb0EPlS7_ZN2at6native12_GLOBAL__N_124unique_dim_cuda_templateItEESt5tupleIJNS8_6TensorESD_SD_EERKSD_lbbbEUlllE1_EE10hipError_tPvRmT2_T3_mT4_P12ihipStream_tbEUlT_E_NS1_11comp_targetILNS1_3genE4ELNS1_11target_archE910ELNS1_3gpuE8ELNS1_3repE0EEENS1_30default_config_static_selectorELNS0_4arch9wavefront6targetE1EEEvT1_
                                        ; -- End function
	.section	.AMDGPU.csdata,"",@progbits
; Kernel info:
; codeLenInByte = 0
; NumSgprs: 6
; NumVgprs: 0
; NumAgprs: 0
; TotalNumVgprs: 0
; ScratchSize: 0
; MemoryBound: 0
; FloatMode: 240
; IeeeMode: 1
; LDSByteSize: 0 bytes/workgroup (compile time only)
; SGPRBlocks: 0
; VGPRBlocks: 0
; NumSGPRsForWavesPerEU: 6
; NumVGPRsForWavesPerEU: 1
; AccumOffset: 4
; Occupancy: 8
; WaveLimiterHint : 0
; COMPUTE_PGM_RSRC2:SCRATCH_EN: 0
; COMPUTE_PGM_RSRC2:USER_SGPR: 2
; COMPUTE_PGM_RSRC2:TRAP_HANDLER: 0
; COMPUTE_PGM_RSRC2:TGID_X_EN: 1
; COMPUTE_PGM_RSRC2:TGID_Y_EN: 0
; COMPUTE_PGM_RSRC2:TGID_Z_EN: 0
; COMPUTE_PGM_RSRC2:TIDIG_COMP_CNT: 0
; COMPUTE_PGM_RSRC3_GFX90A:ACCUM_OFFSET: 0
; COMPUTE_PGM_RSRC3_GFX90A:TG_SPLIT: 0
	.section	.text._ZN7rocprim17ROCPRIM_400000_NS6detail17trampoline_kernelINS0_14default_configENS1_35adjacent_difference_config_selectorILb0ElEEZNS1_24adjacent_difference_implIS3_Lb0ELb0EPlS7_ZN2at6native12_GLOBAL__N_124unique_dim_cuda_templateItEESt5tupleIJNS8_6TensorESD_SD_EERKSD_lbbbEUlllE1_EE10hipError_tPvRmT2_T3_mT4_P12ihipStream_tbEUlT_E_NS1_11comp_targetILNS1_3genE3ELNS1_11target_archE908ELNS1_3gpuE7ELNS1_3repE0EEENS1_30default_config_static_selectorELNS0_4arch9wavefront6targetE1EEEvT1_,"axG",@progbits,_ZN7rocprim17ROCPRIM_400000_NS6detail17trampoline_kernelINS0_14default_configENS1_35adjacent_difference_config_selectorILb0ElEEZNS1_24adjacent_difference_implIS3_Lb0ELb0EPlS7_ZN2at6native12_GLOBAL__N_124unique_dim_cuda_templateItEESt5tupleIJNS8_6TensorESD_SD_EERKSD_lbbbEUlllE1_EE10hipError_tPvRmT2_T3_mT4_P12ihipStream_tbEUlT_E_NS1_11comp_targetILNS1_3genE3ELNS1_11target_archE908ELNS1_3gpuE7ELNS1_3repE0EEENS1_30default_config_static_selectorELNS0_4arch9wavefront6targetE1EEEvT1_,comdat
	.globl	_ZN7rocprim17ROCPRIM_400000_NS6detail17trampoline_kernelINS0_14default_configENS1_35adjacent_difference_config_selectorILb0ElEEZNS1_24adjacent_difference_implIS3_Lb0ELb0EPlS7_ZN2at6native12_GLOBAL__N_124unique_dim_cuda_templateItEESt5tupleIJNS8_6TensorESD_SD_EERKSD_lbbbEUlllE1_EE10hipError_tPvRmT2_T3_mT4_P12ihipStream_tbEUlT_E_NS1_11comp_targetILNS1_3genE3ELNS1_11target_archE908ELNS1_3gpuE7ELNS1_3repE0EEENS1_30default_config_static_selectorELNS0_4arch9wavefront6targetE1EEEvT1_ ; -- Begin function _ZN7rocprim17ROCPRIM_400000_NS6detail17trampoline_kernelINS0_14default_configENS1_35adjacent_difference_config_selectorILb0ElEEZNS1_24adjacent_difference_implIS3_Lb0ELb0EPlS7_ZN2at6native12_GLOBAL__N_124unique_dim_cuda_templateItEESt5tupleIJNS8_6TensorESD_SD_EERKSD_lbbbEUlllE1_EE10hipError_tPvRmT2_T3_mT4_P12ihipStream_tbEUlT_E_NS1_11comp_targetILNS1_3genE3ELNS1_11target_archE908ELNS1_3gpuE7ELNS1_3repE0EEENS1_30default_config_static_selectorELNS0_4arch9wavefront6targetE1EEEvT1_
	.p2align	8
	.type	_ZN7rocprim17ROCPRIM_400000_NS6detail17trampoline_kernelINS0_14default_configENS1_35adjacent_difference_config_selectorILb0ElEEZNS1_24adjacent_difference_implIS3_Lb0ELb0EPlS7_ZN2at6native12_GLOBAL__N_124unique_dim_cuda_templateItEESt5tupleIJNS8_6TensorESD_SD_EERKSD_lbbbEUlllE1_EE10hipError_tPvRmT2_T3_mT4_P12ihipStream_tbEUlT_E_NS1_11comp_targetILNS1_3genE3ELNS1_11target_archE908ELNS1_3gpuE7ELNS1_3repE0EEENS1_30default_config_static_selectorELNS0_4arch9wavefront6targetE1EEEvT1_,@function
_ZN7rocprim17ROCPRIM_400000_NS6detail17trampoline_kernelINS0_14default_configENS1_35adjacent_difference_config_selectorILb0ElEEZNS1_24adjacent_difference_implIS3_Lb0ELb0EPlS7_ZN2at6native12_GLOBAL__N_124unique_dim_cuda_templateItEESt5tupleIJNS8_6TensorESD_SD_EERKSD_lbbbEUlllE1_EE10hipError_tPvRmT2_T3_mT4_P12ihipStream_tbEUlT_E_NS1_11comp_targetILNS1_3genE3ELNS1_11target_archE908ELNS1_3gpuE7ELNS1_3repE0EEENS1_30default_config_static_selectorELNS0_4arch9wavefront6targetE1EEEvT1_: ; @_ZN7rocprim17ROCPRIM_400000_NS6detail17trampoline_kernelINS0_14default_configENS1_35adjacent_difference_config_selectorILb0ElEEZNS1_24adjacent_difference_implIS3_Lb0ELb0EPlS7_ZN2at6native12_GLOBAL__N_124unique_dim_cuda_templateItEESt5tupleIJNS8_6TensorESD_SD_EERKSD_lbbbEUlllE1_EE10hipError_tPvRmT2_T3_mT4_P12ihipStream_tbEUlT_E_NS1_11comp_targetILNS1_3genE3ELNS1_11target_archE908ELNS1_3gpuE7ELNS1_3repE0EEENS1_30default_config_static_selectorELNS0_4arch9wavefront6targetE1EEEvT1_
; %bb.0:
	.section	.rodata,"a",@progbits
	.p2align	6, 0x0
	.amdhsa_kernel _ZN7rocprim17ROCPRIM_400000_NS6detail17trampoline_kernelINS0_14default_configENS1_35adjacent_difference_config_selectorILb0ElEEZNS1_24adjacent_difference_implIS3_Lb0ELb0EPlS7_ZN2at6native12_GLOBAL__N_124unique_dim_cuda_templateItEESt5tupleIJNS8_6TensorESD_SD_EERKSD_lbbbEUlllE1_EE10hipError_tPvRmT2_T3_mT4_P12ihipStream_tbEUlT_E_NS1_11comp_targetILNS1_3genE3ELNS1_11target_archE908ELNS1_3gpuE7ELNS1_3repE0EEENS1_30default_config_static_selectorELNS0_4arch9wavefront6targetE1EEEvT1_
		.amdhsa_group_segment_fixed_size 0
		.amdhsa_private_segment_fixed_size 0
		.amdhsa_kernarg_size 64
		.amdhsa_user_sgpr_count 2
		.amdhsa_user_sgpr_dispatch_ptr 0
		.amdhsa_user_sgpr_queue_ptr 0
		.amdhsa_user_sgpr_kernarg_segment_ptr 1
		.amdhsa_user_sgpr_dispatch_id 0
		.amdhsa_user_sgpr_kernarg_preload_length 0
		.amdhsa_user_sgpr_kernarg_preload_offset 0
		.amdhsa_user_sgpr_private_segment_size 0
		.amdhsa_uses_dynamic_stack 0
		.amdhsa_enable_private_segment 0
		.amdhsa_system_sgpr_workgroup_id_x 1
		.amdhsa_system_sgpr_workgroup_id_y 0
		.amdhsa_system_sgpr_workgroup_id_z 0
		.amdhsa_system_sgpr_workgroup_info 0
		.amdhsa_system_vgpr_workitem_id 0
		.amdhsa_next_free_vgpr 1
		.amdhsa_next_free_sgpr 0
		.amdhsa_accum_offset 4
		.amdhsa_reserve_vcc 0
		.amdhsa_float_round_mode_32 0
		.amdhsa_float_round_mode_16_64 0
		.amdhsa_float_denorm_mode_32 3
		.amdhsa_float_denorm_mode_16_64 3
		.amdhsa_dx10_clamp 1
		.amdhsa_ieee_mode 1
		.amdhsa_fp16_overflow 0
		.amdhsa_tg_split 0
		.amdhsa_exception_fp_ieee_invalid_op 0
		.amdhsa_exception_fp_denorm_src 0
		.amdhsa_exception_fp_ieee_div_zero 0
		.amdhsa_exception_fp_ieee_overflow 0
		.amdhsa_exception_fp_ieee_underflow 0
		.amdhsa_exception_fp_ieee_inexact 0
		.amdhsa_exception_int_div_zero 0
	.end_amdhsa_kernel
	.section	.text._ZN7rocprim17ROCPRIM_400000_NS6detail17trampoline_kernelINS0_14default_configENS1_35adjacent_difference_config_selectorILb0ElEEZNS1_24adjacent_difference_implIS3_Lb0ELb0EPlS7_ZN2at6native12_GLOBAL__N_124unique_dim_cuda_templateItEESt5tupleIJNS8_6TensorESD_SD_EERKSD_lbbbEUlllE1_EE10hipError_tPvRmT2_T3_mT4_P12ihipStream_tbEUlT_E_NS1_11comp_targetILNS1_3genE3ELNS1_11target_archE908ELNS1_3gpuE7ELNS1_3repE0EEENS1_30default_config_static_selectorELNS0_4arch9wavefront6targetE1EEEvT1_,"axG",@progbits,_ZN7rocprim17ROCPRIM_400000_NS6detail17trampoline_kernelINS0_14default_configENS1_35adjacent_difference_config_selectorILb0ElEEZNS1_24adjacent_difference_implIS3_Lb0ELb0EPlS7_ZN2at6native12_GLOBAL__N_124unique_dim_cuda_templateItEESt5tupleIJNS8_6TensorESD_SD_EERKSD_lbbbEUlllE1_EE10hipError_tPvRmT2_T3_mT4_P12ihipStream_tbEUlT_E_NS1_11comp_targetILNS1_3genE3ELNS1_11target_archE908ELNS1_3gpuE7ELNS1_3repE0EEENS1_30default_config_static_selectorELNS0_4arch9wavefront6targetE1EEEvT1_,comdat
.Lfunc_end1407:
	.size	_ZN7rocprim17ROCPRIM_400000_NS6detail17trampoline_kernelINS0_14default_configENS1_35adjacent_difference_config_selectorILb0ElEEZNS1_24adjacent_difference_implIS3_Lb0ELb0EPlS7_ZN2at6native12_GLOBAL__N_124unique_dim_cuda_templateItEESt5tupleIJNS8_6TensorESD_SD_EERKSD_lbbbEUlllE1_EE10hipError_tPvRmT2_T3_mT4_P12ihipStream_tbEUlT_E_NS1_11comp_targetILNS1_3genE3ELNS1_11target_archE908ELNS1_3gpuE7ELNS1_3repE0EEENS1_30default_config_static_selectorELNS0_4arch9wavefront6targetE1EEEvT1_, .Lfunc_end1407-_ZN7rocprim17ROCPRIM_400000_NS6detail17trampoline_kernelINS0_14default_configENS1_35adjacent_difference_config_selectorILb0ElEEZNS1_24adjacent_difference_implIS3_Lb0ELb0EPlS7_ZN2at6native12_GLOBAL__N_124unique_dim_cuda_templateItEESt5tupleIJNS8_6TensorESD_SD_EERKSD_lbbbEUlllE1_EE10hipError_tPvRmT2_T3_mT4_P12ihipStream_tbEUlT_E_NS1_11comp_targetILNS1_3genE3ELNS1_11target_archE908ELNS1_3gpuE7ELNS1_3repE0EEENS1_30default_config_static_selectorELNS0_4arch9wavefront6targetE1EEEvT1_
                                        ; -- End function
	.section	.AMDGPU.csdata,"",@progbits
; Kernel info:
; codeLenInByte = 0
; NumSgprs: 6
; NumVgprs: 0
; NumAgprs: 0
; TotalNumVgprs: 0
; ScratchSize: 0
; MemoryBound: 0
; FloatMode: 240
; IeeeMode: 1
; LDSByteSize: 0 bytes/workgroup (compile time only)
; SGPRBlocks: 0
; VGPRBlocks: 0
; NumSGPRsForWavesPerEU: 6
; NumVGPRsForWavesPerEU: 1
; AccumOffset: 4
; Occupancy: 8
; WaveLimiterHint : 0
; COMPUTE_PGM_RSRC2:SCRATCH_EN: 0
; COMPUTE_PGM_RSRC2:USER_SGPR: 2
; COMPUTE_PGM_RSRC2:TRAP_HANDLER: 0
; COMPUTE_PGM_RSRC2:TGID_X_EN: 1
; COMPUTE_PGM_RSRC2:TGID_Y_EN: 0
; COMPUTE_PGM_RSRC2:TGID_Z_EN: 0
; COMPUTE_PGM_RSRC2:TIDIG_COMP_CNT: 0
; COMPUTE_PGM_RSRC3_GFX90A:ACCUM_OFFSET: 0
; COMPUTE_PGM_RSRC3_GFX90A:TG_SPLIT: 0
	.section	.text._ZN7rocprim17ROCPRIM_400000_NS6detail17trampoline_kernelINS0_14default_configENS1_35adjacent_difference_config_selectorILb0ElEEZNS1_24adjacent_difference_implIS3_Lb0ELb0EPlS7_ZN2at6native12_GLOBAL__N_124unique_dim_cuda_templateItEESt5tupleIJNS8_6TensorESD_SD_EERKSD_lbbbEUlllE1_EE10hipError_tPvRmT2_T3_mT4_P12ihipStream_tbEUlT_E_NS1_11comp_targetILNS1_3genE2ELNS1_11target_archE906ELNS1_3gpuE6ELNS1_3repE0EEENS1_30default_config_static_selectorELNS0_4arch9wavefront6targetE1EEEvT1_,"axG",@progbits,_ZN7rocprim17ROCPRIM_400000_NS6detail17trampoline_kernelINS0_14default_configENS1_35adjacent_difference_config_selectorILb0ElEEZNS1_24adjacent_difference_implIS3_Lb0ELb0EPlS7_ZN2at6native12_GLOBAL__N_124unique_dim_cuda_templateItEESt5tupleIJNS8_6TensorESD_SD_EERKSD_lbbbEUlllE1_EE10hipError_tPvRmT2_T3_mT4_P12ihipStream_tbEUlT_E_NS1_11comp_targetILNS1_3genE2ELNS1_11target_archE906ELNS1_3gpuE6ELNS1_3repE0EEENS1_30default_config_static_selectorELNS0_4arch9wavefront6targetE1EEEvT1_,comdat
	.globl	_ZN7rocprim17ROCPRIM_400000_NS6detail17trampoline_kernelINS0_14default_configENS1_35adjacent_difference_config_selectorILb0ElEEZNS1_24adjacent_difference_implIS3_Lb0ELb0EPlS7_ZN2at6native12_GLOBAL__N_124unique_dim_cuda_templateItEESt5tupleIJNS8_6TensorESD_SD_EERKSD_lbbbEUlllE1_EE10hipError_tPvRmT2_T3_mT4_P12ihipStream_tbEUlT_E_NS1_11comp_targetILNS1_3genE2ELNS1_11target_archE906ELNS1_3gpuE6ELNS1_3repE0EEENS1_30default_config_static_selectorELNS0_4arch9wavefront6targetE1EEEvT1_ ; -- Begin function _ZN7rocprim17ROCPRIM_400000_NS6detail17trampoline_kernelINS0_14default_configENS1_35adjacent_difference_config_selectorILb0ElEEZNS1_24adjacent_difference_implIS3_Lb0ELb0EPlS7_ZN2at6native12_GLOBAL__N_124unique_dim_cuda_templateItEESt5tupleIJNS8_6TensorESD_SD_EERKSD_lbbbEUlllE1_EE10hipError_tPvRmT2_T3_mT4_P12ihipStream_tbEUlT_E_NS1_11comp_targetILNS1_3genE2ELNS1_11target_archE906ELNS1_3gpuE6ELNS1_3repE0EEENS1_30default_config_static_selectorELNS0_4arch9wavefront6targetE1EEEvT1_
	.p2align	8
	.type	_ZN7rocprim17ROCPRIM_400000_NS6detail17trampoline_kernelINS0_14default_configENS1_35adjacent_difference_config_selectorILb0ElEEZNS1_24adjacent_difference_implIS3_Lb0ELb0EPlS7_ZN2at6native12_GLOBAL__N_124unique_dim_cuda_templateItEESt5tupleIJNS8_6TensorESD_SD_EERKSD_lbbbEUlllE1_EE10hipError_tPvRmT2_T3_mT4_P12ihipStream_tbEUlT_E_NS1_11comp_targetILNS1_3genE2ELNS1_11target_archE906ELNS1_3gpuE6ELNS1_3repE0EEENS1_30default_config_static_selectorELNS0_4arch9wavefront6targetE1EEEvT1_,@function
_ZN7rocprim17ROCPRIM_400000_NS6detail17trampoline_kernelINS0_14default_configENS1_35adjacent_difference_config_selectorILb0ElEEZNS1_24adjacent_difference_implIS3_Lb0ELb0EPlS7_ZN2at6native12_GLOBAL__N_124unique_dim_cuda_templateItEESt5tupleIJNS8_6TensorESD_SD_EERKSD_lbbbEUlllE1_EE10hipError_tPvRmT2_T3_mT4_P12ihipStream_tbEUlT_E_NS1_11comp_targetILNS1_3genE2ELNS1_11target_archE906ELNS1_3gpuE6ELNS1_3repE0EEENS1_30default_config_static_selectorELNS0_4arch9wavefront6targetE1EEEvT1_: ; @_ZN7rocprim17ROCPRIM_400000_NS6detail17trampoline_kernelINS0_14default_configENS1_35adjacent_difference_config_selectorILb0ElEEZNS1_24adjacent_difference_implIS3_Lb0ELb0EPlS7_ZN2at6native12_GLOBAL__N_124unique_dim_cuda_templateItEESt5tupleIJNS8_6TensorESD_SD_EERKSD_lbbbEUlllE1_EE10hipError_tPvRmT2_T3_mT4_P12ihipStream_tbEUlT_E_NS1_11comp_targetILNS1_3genE2ELNS1_11target_archE906ELNS1_3gpuE6ELNS1_3repE0EEENS1_30default_config_static_selectorELNS0_4arch9wavefront6targetE1EEEvT1_
; %bb.0:
	.section	.rodata,"a",@progbits
	.p2align	6, 0x0
	.amdhsa_kernel _ZN7rocprim17ROCPRIM_400000_NS6detail17trampoline_kernelINS0_14default_configENS1_35adjacent_difference_config_selectorILb0ElEEZNS1_24adjacent_difference_implIS3_Lb0ELb0EPlS7_ZN2at6native12_GLOBAL__N_124unique_dim_cuda_templateItEESt5tupleIJNS8_6TensorESD_SD_EERKSD_lbbbEUlllE1_EE10hipError_tPvRmT2_T3_mT4_P12ihipStream_tbEUlT_E_NS1_11comp_targetILNS1_3genE2ELNS1_11target_archE906ELNS1_3gpuE6ELNS1_3repE0EEENS1_30default_config_static_selectorELNS0_4arch9wavefront6targetE1EEEvT1_
		.amdhsa_group_segment_fixed_size 0
		.amdhsa_private_segment_fixed_size 0
		.amdhsa_kernarg_size 64
		.amdhsa_user_sgpr_count 2
		.amdhsa_user_sgpr_dispatch_ptr 0
		.amdhsa_user_sgpr_queue_ptr 0
		.amdhsa_user_sgpr_kernarg_segment_ptr 1
		.amdhsa_user_sgpr_dispatch_id 0
		.amdhsa_user_sgpr_kernarg_preload_length 0
		.amdhsa_user_sgpr_kernarg_preload_offset 0
		.amdhsa_user_sgpr_private_segment_size 0
		.amdhsa_uses_dynamic_stack 0
		.amdhsa_enable_private_segment 0
		.amdhsa_system_sgpr_workgroup_id_x 1
		.amdhsa_system_sgpr_workgroup_id_y 0
		.amdhsa_system_sgpr_workgroup_id_z 0
		.amdhsa_system_sgpr_workgroup_info 0
		.amdhsa_system_vgpr_workitem_id 0
		.amdhsa_next_free_vgpr 1
		.amdhsa_next_free_sgpr 0
		.amdhsa_accum_offset 4
		.amdhsa_reserve_vcc 0
		.amdhsa_float_round_mode_32 0
		.amdhsa_float_round_mode_16_64 0
		.amdhsa_float_denorm_mode_32 3
		.amdhsa_float_denorm_mode_16_64 3
		.amdhsa_dx10_clamp 1
		.amdhsa_ieee_mode 1
		.amdhsa_fp16_overflow 0
		.amdhsa_tg_split 0
		.amdhsa_exception_fp_ieee_invalid_op 0
		.amdhsa_exception_fp_denorm_src 0
		.amdhsa_exception_fp_ieee_div_zero 0
		.amdhsa_exception_fp_ieee_overflow 0
		.amdhsa_exception_fp_ieee_underflow 0
		.amdhsa_exception_fp_ieee_inexact 0
		.amdhsa_exception_int_div_zero 0
	.end_amdhsa_kernel
	.section	.text._ZN7rocprim17ROCPRIM_400000_NS6detail17trampoline_kernelINS0_14default_configENS1_35adjacent_difference_config_selectorILb0ElEEZNS1_24adjacent_difference_implIS3_Lb0ELb0EPlS7_ZN2at6native12_GLOBAL__N_124unique_dim_cuda_templateItEESt5tupleIJNS8_6TensorESD_SD_EERKSD_lbbbEUlllE1_EE10hipError_tPvRmT2_T3_mT4_P12ihipStream_tbEUlT_E_NS1_11comp_targetILNS1_3genE2ELNS1_11target_archE906ELNS1_3gpuE6ELNS1_3repE0EEENS1_30default_config_static_selectorELNS0_4arch9wavefront6targetE1EEEvT1_,"axG",@progbits,_ZN7rocprim17ROCPRIM_400000_NS6detail17trampoline_kernelINS0_14default_configENS1_35adjacent_difference_config_selectorILb0ElEEZNS1_24adjacent_difference_implIS3_Lb0ELb0EPlS7_ZN2at6native12_GLOBAL__N_124unique_dim_cuda_templateItEESt5tupleIJNS8_6TensorESD_SD_EERKSD_lbbbEUlllE1_EE10hipError_tPvRmT2_T3_mT4_P12ihipStream_tbEUlT_E_NS1_11comp_targetILNS1_3genE2ELNS1_11target_archE906ELNS1_3gpuE6ELNS1_3repE0EEENS1_30default_config_static_selectorELNS0_4arch9wavefront6targetE1EEEvT1_,comdat
.Lfunc_end1408:
	.size	_ZN7rocprim17ROCPRIM_400000_NS6detail17trampoline_kernelINS0_14default_configENS1_35adjacent_difference_config_selectorILb0ElEEZNS1_24adjacent_difference_implIS3_Lb0ELb0EPlS7_ZN2at6native12_GLOBAL__N_124unique_dim_cuda_templateItEESt5tupleIJNS8_6TensorESD_SD_EERKSD_lbbbEUlllE1_EE10hipError_tPvRmT2_T3_mT4_P12ihipStream_tbEUlT_E_NS1_11comp_targetILNS1_3genE2ELNS1_11target_archE906ELNS1_3gpuE6ELNS1_3repE0EEENS1_30default_config_static_selectorELNS0_4arch9wavefront6targetE1EEEvT1_, .Lfunc_end1408-_ZN7rocprim17ROCPRIM_400000_NS6detail17trampoline_kernelINS0_14default_configENS1_35adjacent_difference_config_selectorILb0ElEEZNS1_24adjacent_difference_implIS3_Lb0ELb0EPlS7_ZN2at6native12_GLOBAL__N_124unique_dim_cuda_templateItEESt5tupleIJNS8_6TensorESD_SD_EERKSD_lbbbEUlllE1_EE10hipError_tPvRmT2_T3_mT4_P12ihipStream_tbEUlT_E_NS1_11comp_targetILNS1_3genE2ELNS1_11target_archE906ELNS1_3gpuE6ELNS1_3repE0EEENS1_30default_config_static_selectorELNS0_4arch9wavefront6targetE1EEEvT1_
                                        ; -- End function
	.section	.AMDGPU.csdata,"",@progbits
; Kernel info:
; codeLenInByte = 0
; NumSgprs: 6
; NumVgprs: 0
; NumAgprs: 0
; TotalNumVgprs: 0
; ScratchSize: 0
; MemoryBound: 0
; FloatMode: 240
; IeeeMode: 1
; LDSByteSize: 0 bytes/workgroup (compile time only)
; SGPRBlocks: 0
; VGPRBlocks: 0
; NumSGPRsForWavesPerEU: 6
; NumVGPRsForWavesPerEU: 1
; AccumOffset: 4
; Occupancy: 8
; WaveLimiterHint : 0
; COMPUTE_PGM_RSRC2:SCRATCH_EN: 0
; COMPUTE_PGM_RSRC2:USER_SGPR: 2
; COMPUTE_PGM_RSRC2:TRAP_HANDLER: 0
; COMPUTE_PGM_RSRC2:TGID_X_EN: 1
; COMPUTE_PGM_RSRC2:TGID_Y_EN: 0
; COMPUTE_PGM_RSRC2:TGID_Z_EN: 0
; COMPUTE_PGM_RSRC2:TIDIG_COMP_CNT: 0
; COMPUTE_PGM_RSRC3_GFX90A:ACCUM_OFFSET: 0
; COMPUTE_PGM_RSRC3_GFX90A:TG_SPLIT: 0
	.section	.text._ZN7rocprim17ROCPRIM_400000_NS6detail17trampoline_kernelINS0_14default_configENS1_35adjacent_difference_config_selectorILb0ElEEZNS1_24adjacent_difference_implIS3_Lb0ELb0EPlS7_ZN2at6native12_GLOBAL__N_124unique_dim_cuda_templateItEESt5tupleIJNS8_6TensorESD_SD_EERKSD_lbbbEUlllE1_EE10hipError_tPvRmT2_T3_mT4_P12ihipStream_tbEUlT_E_NS1_11comp_targetILNS1_3genE9ELNS1_11target_archE1100ELNS1_3gpuE3ELNS1_3repE0EEENS1_30default_config_static_selectorELNS0_4arch9wavefront6targetE1EEEvT1_,"axG",@progbits,_ZN7rocprim17ROCPRIM_400000_NS6detail17trampoline_kernelINS0_14default_configENS1_35adjacent_difference_config_selectorILb0ElEEZNS1_24adjacent_difference_implIS3_Lb0ELb0EPlS7_ZN2at6native12_GLOBAL__N_124unique_dim_cuda_templateItEESt5tupleIJNS8_6TensorESD_SD_EERKSD_lbbbEUlllE1_EE10hipError_tPvRmT2_T3_mT4_P12ihipStream_tbEUlT_E_NS1_11comp_targetILNS1_3genE9ELNS1_11target_archE1100ELNS1_3gpuE3ELNS1_3repE0EEENS1_30default_config_static_selectorELNS0_4arch9wavefront6targetE1EEEvT1_,comdat
	.globl	_ZN7rocprim17ROCPRIM_400000_NS6detail17trampoline_kernelINS0_14default_configENS1_35adjacent_difference_config_selectorILb0ElEEZNS1_24adjacent_difference_implIS3_Lb0ELb0EPlS7_ZN2at6native12_GLOBAL__N_124unique_dim_cuda_templateItEESt5tupleIJNS8_6TensorESD_SD_EERKSD_lbbbEUlllE1_EE10hipError_tPvRmT2_T3_mT4_P12ihipStream_tbEUlT_E_NS1_11comp_targetILNS1_3genE9ELNS1_11target_archE1100ELNS1_3gpuE3ELNS1_3repE0EEENS1_30default_config_static_selectorELNS0_4arch9wavefront6targetE1EEEvT1_ ; -- Begin function _ZN7rocprim17ROCPRIM_400000_NS6detail17trampoline_kernelINS0_14default_configENS1_35adjacent_difference_config_selectorILb0ElEEZNS1_24adjacent_difference_implIS3_Lb0ELb0EPlS7_ZN2at6native12_GLOBAL__N_124unique_dim_cuda_templateItEESt5tupleIJNS8_6TensorESD_SD_EERKSD_lbbbEUlllE1_EE10hipError_tPvRmT2_T3_mT4_P12ihipStream_tbEUlT_E_NS1_11comp_targetILNS1_3genE9ELNS1_11target_archE1100ELNS1_3gpuE3ELNS1_3repE0EEENS1_30default_config_static_selectorELNS0_4arch9wavefront6targetE1EEEvT1_
	.p2align	8
	.type	_ZN7rocprim17ROCPRIM_400000_NS6detail17trampoline_kernelINS0_14default_configENS1_35adjacent_difference_config_selectorILb0ElEEZNS1_24adjacent_difference_implIS3_Lb0ELb0EPlS7_ZN2at6native12_GLOBAL__N_124unique_dim_cuda_templateItEESt5tupleIJNS8_6TensorESD_SD_EERKSD_lbbbEUlllE1_EE10hipError_tPvRmT2_T3_mT4_P12ihipStream_tbEUlT_E_NS1_11comp_targetILNS1_3genE9ELNS1_11target_archE1100ELNS1_3gpuE3ELNS1_3repE0EEENS1_30default_config_static_selectorELNS0_4arch9wavefront6targetE1EEEvT1_,@function
_ZN7rocprim17ROCPRIM_400000_NS6detail17trampoline_kernelINS0_14default_configENS1_35adjacent_difference_config_selectorILb0ElEEZNS1_24adjacent_difference_implIS3_Lb0ELb0EPlS7_ZN2at6native12_GLOBAL__N_124unique_dim_cuda_templateItEESt5tupleIJNS8_6TensorESD_SD_EERKSD_lbbbEUlllE1_EE10hipError_tPvRmT2_T3_mT4_P12ihipStream_tbEUlT_E_NS1_11comp_targetILNS1_3genE9ELNS1_11target_archE1100ELNS1_3gpuE3ELNS1_3repE0EEENS1_30default_config_static_selectorELNS0_4arch9wavefront6targetE1EEEvT1_: ; @_ZN7rocprim17ROCPRIM_400000_NS6detail17trampoline_kernelINS0_14default_configENS1_35adjacent_difference_config_selectorILb0ElEEZNS1_24adjacent_difference_implIS3_Lb0ELb0EPlS7_ZN2at6native12_GLOBAL__N_124unique_dim_cuda_templateItEESt5tupleIJNS8_6TensorESD_SD_EERKSD_lbbbEUlllE1_EE10hipError_tPvRmT2_T3_mT4_P12ihipStream_tbEUlT_E_NS1_11comp_targetILNS1_3genE9ELNS1_11target_archE1100ELNS1_3gpuE3ELNS1_3repE0EEENS1_30default_config_static_selectorELNS0_4arch9wavefront6targetE1EEEvT1_
; %bb.0:
	.section	.rodata,"a",@progbits
	.p2align	6, 0x0
	.amdhsa_kernel _ZN7rocprim17ROCPRIM_400000_NS6detail17trampoline_kernelINS0_14default_configENS1_35adjacent_difference_config_selectorILb0ElEEZNS1_24adjacent_difference_implIS3_Lb0ELb0EPlS7_ZN2at6native12_GLOBAL__N_124unique_dim_cuda_templateItEESt5tupleIJNS8_6TensorESD_SD_EERKSD_lbbbEUlllE1_EE10hipError_tPvRmT2_T3_mT4_P12ihipStream_tbEUlT_E_NS1_11comp_targetILNS1_3genE9ELNS1_11target_archE1100ELNS1_3gpuE3ELNS1_3repE0EEENS1_30default_config_static_selectorELNS0_4arch9wavefront6targetE1EEEvT1_
		.amdhsa_group_segment_fixed_size 0
		.amdhsa_private_segment_fixed_size 0
		.amdhsa_kernarg_size 64
		.amdhsa_user_sgpr_count 2
		.amdhsa_user_sgpr_dispatch_ptr 0
		.amdhsa_user_sgpr_queue_ptr 0
		.amdhsa_user_sgpr_kernarg_segment_ptr 1
		.amdhsa_user_sgpr_dispatch_id 0
		.amdhsa_user_sgpr_kernarg_preload_length 0
		.amdhsa_user_sgpr_kernarg_preload_offset 0
		.amdhsa_user_sgpr_private_segment_size 0
		.amdhsa_uses_dynamic_stack 0
		.amdhsa_enable_private_segment 0
		.amdhsa_system_sgpr_workgroup_id_x 1
		.amdhsa_system_sgpr_workgroup_id_y 0
		.amdhsa_system_sgpr_workgroup_id_z 0
		.amdhsa_system_sgpr_workgroup_info 0
		.amdhsa_system_vgpr_workitem_id 0
		.amdhsa_next_free_vgpr 1
		.amdhsa_next_free_sgpr 0
		.amdhsa_accum_offset 4
		.amdhsa_reserve_vcc 0
		.amdhsa_float_round_mode_32 0
		.amdhsa_float_round_mode_16_64 0
		.amdhsa_float_denorm_mode_32 3
		.amdhsa_float_denorm_mode_16_64 3
		.amdhsa_dx10_clamp 1
		.amdhsa_ieee_mode 1
		.amdhsa_fp16_overflow 0
		.amdhsa_tg_split 0
		.amdhsa_exception_fp_ieee_invalid_op 0
		.amdhsa_exception_fp_denorm_src 0
		.amdhsa_exception_fp_ieee_div_zero 0
		.amdhsa_exception_fp_ieee_overflow 0
		.amdhsa_exception_fp_ieee_underflow 0
		.amdhsa_exception_fp_ieee_inexact 0
		.amdhsa_exception_int_div_zero 0
	.end_amdhsa_kernel
	.section	.text._ZN7rocprim17ROCPRIM_400000_NS6detail17trampoline_kernelINS0_14default_configENS1_35adjacent_difference_config_selectorILb0ElEEZNS1_24adjacent_difference_implIS3_Lb0ELb0EPlS7_ZN2at6native12_GLOBAL__N_124unique_dim_cuda_templateItEESt5tupleIJNS8_6TensorESD_SD_EERKSD_lbbbEUlllE1_EE10hipError_tPvRmT2_T3_mT4_P12ihipStream_tbEUlT_E_NS1_11comp_targetILNS1_3genE9ELNS1_11target_archE1100ELNS1_3gpuE3ELNS1_3repE0EEENS1_30default_config_static_selectorELNS0_4arch9wavefront6targetE1EEEvT1_,"axG",@progbits,_ZN7rocprim17ROCPRIM_400000_NS6detail17trampoline_kernelINS0_14default_configENS1_35adjacent_difference_config_selectorILb0ElEEZNS1_24adjacent_difference_implIS3_Lb0ELb0EPlS7_ZN2at6native12_GLOBAL__N_124unique_dim_cuda_templateItEESt5tupleIJNS8_6TensorESD_SD_EERKSD_lbbbEUlllE1_EE10hipError_tPvRmT2_T3_mT4_P12ihipStream_tbEUlT_E_NS1_11comp_targetILNS1_3genE9ELNS1_11target_archE1100ELNS1_3gpuE3ELNS1_3repE0EEENS1_30default_config_static_selectorELNS0_4arch9wavefront6targetE1EEEvT1_,comdat
.Lfunc_end1409:
	.size	_ZN7rocprim17ROCPRIM_400000_NS6detail17trampoline_kernelINS0_14default_configENS1_35adjacent_difference_config_selectorILb0ElEEZNS1_24adjacent_difference_implIS3_Lb0ELb0EPlS7_ZN2at6native12_GLOBAL__N_124unique_dim_cuda_templateItEESt5tupleIJNS8_6TensorESD_SD_EERKSD_lbbbEUlllE1_EE10hipError_tPvRmT2_T3_mT4_P12ihipStream_tbEUlT_E_NS1_11comp_targetILNS1_3genE9ELNS1_11target_archE1100ELNS1_3gpuE3ELNS1_3repE0EEENS1_30default_config_static_selectorELNS0_4arch9wavefront6targetE1EEEvT1_, .Lfunc_end1409-_ZN7rocprim17ROCPRIM_400000_NS6detail17trampoline_kernelINS0_14default_configENS1_35adjacent_difference_config_selectorILb0ElEEZNS1_24adjacent_difference_implIS3_Lb0ELb0EPlS7_ZN2at6native12_GLOBAL__N_124unique_dim_cuda_templateItEESt5tupleIJNS8_6TensorESD_SD_EERKSD_lbbbEUlllE1_EE10hipError_tPvRmT2_T3_mT4_P12ihipStream_tbEUlT_E_NS1_11comp_targetILNS1_3genE9ELNS1_11target_archE1100ELNS1_3gpuE3ELNS1_3repE0EEENS1_30default_config_static_selectorELNS0_4arch9wavefront6targetE1EEEvT1_
                                        ; -- End function
	.section	.AMDGPU.csdata,"",@progbits
; Kernel info:
; codeLenInByte = 0
; NumSgprs: 6
; NumVgprs: 0
; NumAgprs: 0
; TotalNumVgprs: 0
; ScratchSize: 0
; MemoryBound: 0
; FloatMode: 240
; IeeeMode: 1
; LDSByteSize: 0 bytes/workgroup (compile time only)
; SGPRBlocks: 0
; VGPRBlocks: 0
; NumSGPRsForWavesPerEU: 6
; NumVGPRsForWavesPerEU: 1
; AccumOffset: 4
; Occupancy: 8
; WaveLimiterHint : 0
; COMPUTE_PGM_RSRC2:SCRATCH_EN: 0
; COMPUTE_PGM_RSRC2:USER_SGPR: 2
; COMPUTE_PGM_RSRC2:TRAP_HANDLER: 0
; COMPUTE_PGM_RSRC2:TGID_X_EN: 1
; COMPUTE_PGM_RSRC2:TGID_Y_EN: 0
; COMPUTE_PGM_RSRC2:TGID_Z_EN: 0
; COMPUTE_PGM_RSRC2:TIDIG_COMP_CNT: 0
; COMPUTE_PGM_RSRC3_GFX90A:ACCUM_OFFSET: 0
; COMPUTE_PGM_RSRC3_GFX90A:TG_SPLIT: 0
	.section	.text._ZN7rocprim17ROCPRIM_400000_NS6detail17trampoline_kernelINS0_14default_configENS1_35adjacent_difference_config_selectorILb0ElEEZNS1_24adjacent_difference_implIS3_Lb0ELb0EPlS7_ZN2at6native12_GLOBAL__N_124unique_dim_cuda_templateItEESt5tupleIJNS8_6TensorESD_SD_EERKSD_lbbbEUlllE1_EE10hipError_tPvRmT2_T3_mT4_P12ihipStream_tbEUlT_E_NS1_11comp_targetILNS1_3genE8ELNS1_11target_archE1030ELNS1_3gpuE2ELNS1_3repE0EEENS1_30default_config_static_selectorELNS0_4arch9wavefront6targetE1EEEvT1_,"axG",@progbits,_ZN7rocprim17ROCPRIM_400000_NS6detail17trampoline_kernelINS0_14default_configENS1_35adjacent_difference_config_selectorILb0ElEEZNS1_24adjacent_difference_implIS3_Lb0ELb0EPlS7_ZN2at6native12_GLOBAL__N_124unique_dim_cuda_templateItEESt5tupleIJNS8_6TensorESD_SD_EERKSD_lbbbEUlllE1_EE10hipError_tPvRmT2_T3_mT4_P12ihipStream_tbEUlT_E_NS1_11comp_targetILNS1_3genE8ELNS1_11target_archE1030ELNS1_3gpuE2ELNS1_3repE0EEENS1_30default_config_static_selectorELNS0_4arch9wavefront6targetE1EEEvT1_,comdat
	.globl	_ZN7rocprim17ROCPRIM_400000_NS6detail17trampoline_kernelINS0_14default_configENS1_35adjacent_difference_config_selectorILb0ElEEZNS1_24adjacent_difference_implIS3_Lb0ELb0EPlS7_ZN2at6native12_GLOBAL__N_124unique_dim_cuda_templateItEESt5tupleIJNS8_6TensorESD_SD_EERKSD_lbbbEUlllE1_EE10hipError_tPvRmT2_T3_mT4_P12ihipStream_tbEUlT_E_NS1_11comp_targetILNS1_3genE8ELNS1_11target_archE1030ELNS1_3gpuE2ELNS1_3repE0EEENS1_30default_config_static_selectorELNS0_4arch9wavefront6targetE1EEEvT1_ ; -- Begin function _ZN7rocprim17ROCPRIM_400000_NS6detail17trampoline_kernelINS0_14default_configENS1_35adjacent_difference_config_selectorILb0ElEEZNS1_24adjacent_difference_implIS3_Lb0ELb0EPlS7_ZN2at6native12_GLOBAL__N_124unique_dim_cuda_templateItEESt5tupleIJNS8_6TensorESD_SD_EERKSD_lbbbEUlllE1_EE10hipError_tPvRmT2_T3_mT4_P12ihipStream_tbEUlT_E_NS1_11comp_targetILNS1_3genE8ELNS1_11target_archE1030ELNS1_3gpuE2ELNS1_3repE0EEENS1_30default_config_static_selectorELNS0_4arch9wavefront6targetE1EEEvT1_
	.p2align	8
	.type	_ZN7rocprim17ROCPRIM_400000_NS6detail17trampoline_kernelINS0_14default_configENS1_35adjacent_difference_config_selectorILb0ElEEZNS1_24adjacent_difference_implIS3_Lb0ELb0EPlS7_ZN2at6native12_GLOBAL__N_124unique_dim_cuda_templateItEESt5tupleIJNS8_6TensorESD_SD_EERKSD_lbbbEUlllE1_EE10hipError_tPvRmT2_T3_mT4_P12ihipStream_tbEUlT_E_NS1_11comp_targetILNS1_3genE8ELNS1_11target_archE1030ELNS1_3gpuE2ELNS1_3repE0EEENS1_30default_config_static_selectorELNS0_4arch9wavefront6targetE1EEEvT1_,@function
_ZN7rocprim17ROCPRIM_400000_NS6detail17trampoline_kernelINS0_14default_configENS1_35adjacent_difference_config_selectorILb0ElEEZNS1_24adjacent_difference_implIS3_Lb0ELb0EPlS7_ZN2at6native12_GLOBAL__N_124unique_dim_cuda_templateItEESt5tupleIJNS8_6TensorESD_SD_EERKSD_lbbbEUlllE1_EE10hipError_tPvRmT2_T3_mT4_P12ihipStream_tbEUlT_E_NS1_11comp_targetILNS1_3genE8ELNS1_11target_archE1030ELNS1_3gpuE2ELNS1_3repE0EEENS1_30default_config_static_selectorELNS0_4arch9wavefront6targetE1EEEvT1_: ; @_ZN7rocprim17ROCPRIM_400000_NS6detail17trampoline_kernelINS0_14default_configENS1_35adjacent_difference_config_selectorILb0ElEEZNS1_24adjacent_difference_implIS3_Lb0ELb0EPlS7_ZN2at6native12_GLOBAL__N_124unique_dim_cuda_templateItEESt5tupleIJNS8_6TensorESD_SD_EERKSD_lbbbEUlllE1_EE10hipError_tPvRmT2_T3_mT4_P12ihipStream_tbEUlT_E_NS1_11comp_targetILNS1_3genE8ELNS1_11target_archE1030ELNS1_3gpuE2ELNS1_3repE0EEENS1_30default_config_static_selectorELNS0_4arch9wavefront6targetE1EEEvT1_
; %bb.0:
	.section	.rodata,"a",@progbits
	.p2align	6, 0x0
	.amdhsa_kernel _ZN7rocprim17ROCPRIM_400000_NS6detail17trampoline_kernelINS0_14default_configENS1_35adjacent_difference_config_selectorILb0ElEEZNS1_24adjacent_difference_implIS3_Lb0ELb0EPlS7_ZN2at6native12_GLOBAL__N_124unique_dim_cuda_templateItEESt5tupleIJNS8_6TensorESD_SD_EERKSD_lbbbEUlllE1_EE10hipError_tPvRmT2_T3_mT4_P12ihipStream_tbEUlT_E_NS1_11comp_targetILNS1_3genE8ELNS1_11target_archE1030ELNS1_3gpuE2ELNS1_3repE0EEENS1_30default_config_static_selectorELNS0_4arch9wavefront6targetE1EEEvT1_
		.amdhsa_group_segment_fixed_size 0
		.amdhsa_private_segment_fixed_size 0
		.amdhsa_kernarg_size 64
		.amdhsa_user_sgpr_count 2
		.amdhsa_user_sgpr_dispatch_ptr 0
		.amdhsa_user_sgpr_queue_ptr 0
		.amdhsa_user_sgpr_kernarg_segment_ptr 1
		.amdhsa_user_sgpr_dispatch_id 0
		.amdhsa_user_sgpr_kernarg_preload_length 0
		.amdhsa_user_sgpr_kernarg_preload_offset 0
		.amdhsa_user_sgpr_private_segment_size 0
		.amdhsa_uses_dynamic_stack 0
		.amdhsa_enable_private_segment 0
		.amdhsa_system_sgpr_workgroup_id_x 1
		.amdhsa_system_sgpr_workgroup_id_y 0
		.amdhsa_system_sgpr_workgroup_id_z 0
		.amdhsa_system_sgpr_workgroup_info 0
		.amdhsa_system_vgpr_workitem_id 0
		.amdhsa_next_free_vgpr 1
		.amdhsa_next_free_sgpr 0
		.amdhsa_accum_offset 4
		.amdhsa_reserve_vcc 0
		.amdhsa_float_round_mode_32 0
		.amdhsa_float_round_mode_16_64 0
		.amdhsa_float_denorm_mode_32 3
		.amdhsa_float_denorm_mode_16_64 3
		.amdhsa_dx10_clamp 1
		.amdhsa_ieee_mode 1
		.amdhsa_fp16_overflow 0
		.amdhsa_tg_split 0
		.amdhsa_exception_fp_ieee_invalid_op 0
		.amdhsa_exception_fp_denorm_src 0
		.amdhsa_exception_fp_ieee_div_zero 0
		.amdhsa_exception_fp_ieee_overflow 0
		.amdhsa_exception_fp_ieee_underflow 0
		.amdhsa_exception_fp_ieee_inexact 0
		.amdhsa_exception_int_div_zero 0
	.end_amdhsa_kernel
	.section	.text._ZN7rocprim17ROCPRIM_400000_NS6detail17trampoline_kernelINS0_14default_configENS1_35adjacent_difference_config_selectorILb0ElEEZNS1_24adjacent_difference_implIS3_Lb0ELb0EPlS7_ZN2at6native12_GLOBAL__N_124unique_dim_cuda_templateItEESt5tupleIJNS8_6TensorESD_SD_EERKSD_lbbbEUlllE1_EE10hipError_tPvRmT2_T3_mT4_P12ihipStream_tbEUlT_E_NS1_11comp_targetILNS1_3genE8ELNS1_11target_archE1030ELNS1_3gpuE2ELNS1_3repE0EEENS1_30default_config_static_selectorELNS0_4arch9wavefront6targetE1EEEvT1_,"axG",@progbits,_ZN7rocprim17ROCPRIM_400000_NS6detail17trampoline_kernelINS0_14default_configENS1_35adjacent_difference_config_selectorILb0ElEEZNS1_24adjacent_difference_implIS3_Lb0ELb0EPlS7_ZN2at6native12_GLOBAL__N_124unique_dim_cuda_templateItEESt5tupleIJNS8_6TensorESD_SD_EERKSD_lbbbEUlllE1_EE10hipError_tPvRmT2_T3_mT4_P12ihipStream_tbEUlT_E_NS1_11comp_targetILNS1_3genE8ELNS1_11target_archE1030ELNS1_3gpuE2ELNS1_3repE0EEENS1_30default_config_static_selectorELNS0_4arch9wavefront6targetE1EEEvT1_,comdat
.Lfunc_end1410:
	.size	_ZN7rocprim17ROCPRIM_400000_NS6detail17trampoline_kernelINS0_14default_configENS1_35adjacent_difference_config_selectorILb0ElEEZNS1_24adjacent_difference_implIS3_Lb0ELb0EPlS7_ZN2at6native12_GLOBAL__N_124unique_dim_cuda_templateItEESt5tupleIJNS8_6TensorESD_SD_EERKSD_lbbbEUlllE1_EE10hipError_tPvRmT2_T3_mT4_P12ihipStream_tbEUlT_E_NS1_11comp_targetILNS1_3genE8ELNS1_11target_archE1030ELNS1_3gpuE2ELNS1_3repE0EEENS1_30default_config_static_selectorELNS0_4arch9wavefront6targetE1EEEvT1_, .Lfunc_end1410-_ZN7rocprim17ROCPRIM_400000_NS6detail17trampoline_kernelINS0_14default_configENS1_35adjacent_difference_config_selectorILb0ElEEZNS1_24adjacent_difference_implIS3_Lb0ELb0EPlS7_ZN2at6native12_GLOBAL__N_124unique_dim_cuda_templateItEESt5tupleIJNS8_6TensorESD_SD_EERKSD_lbbbEUlllE1_EE10hipError_tPvRmT2_T3_mT4_P12ihipStream_tbEUlT_E_NS1_11comp_targetILNS1_3genE8ELNS1_11target_archE1030ELNS1_3gpuE2ELNS1_3repE0EEENS1_30default_config_static_selectorELNS0_4arch9wavefront6targetE1EEEvT1_
                                        ; -- End function
	.section	.AMDGPU.csdata,"",@progbits
; Kernel info:
; codeLenInByte = 0
; NumSgprs: 6
; NumVgprs: 0
; NumAgprs: 0
; TotalNumVgprs: 0
; ScratchSize: 0
; MemoryBound: 0
; FloatMode: 240
; IeeeMode: 1
; LDSByteSize: 0 bytes/workgroup (compile time only)
; SGPRBlocks: 0
; VGPRBlocks: 0
; NumSGPRsForWavesPerEU: 6
; NumVGPRsForWavesPerEU: 1
; AccumOffset: 4
; Occupancy: 8
; WaveLimiterHint : 0
; COMPUTE_PGM_RSRC2:SCRATCH_EN: 0
; COMPUTE_PGM_RSRC2:USER_SGPR: 2
; COMPUTE_PGM_RSRC2:TRAP_HANDLER: 0
; COMPUTE_PGM_RSRC2:TGID_X_EN: 1
; COMPUTE_PGM_RSRC2:TGID_Y_EN: 0
; COMPUTE_PGM_RSRC2:TGID_Z_EN: 0
; COMPUTE_PGM_RSRC2:TIDIG_COMP_CNT: 0
; COMPUTE_PGM_RSRC3_GFX90A:ACCUM_OFFSET: 0
; COMPUTE_PGM_RSRC3_GFX90A:TG_SPLIT: 0
	.section	.text._ZN7rocprim17ROCPRIM_400000_NS6detail17trampoline_kernelINS0_14default_configENS1_25transform_config_selectorIlLb0EEEZNS1_14transform_implILb0ES3_S5_NS0_18transform_iteratorINS0_17counting_iteratorImlEEZNS1_24adjacent_difference_implIS3_Lb1ELb0EPlSB_ZN2at6native12_GLOBAL__N_124unique_dim_cuda_templateItEESt5tupleIJNSC_6TensorESH_SH_EERKSH_lbbbEUlllE1_EE10hipError_tPvRmT2_T3_mT4_P12ihipStream_tbEUlmE_lEESB_NS0_8identityIvEEEESM_SP_SQ_mSR_ST_bEUlT_E_NS1_11comp_targetILNS1_3genE0ELNS1_11target_archE4294967295ELNS1_3gpuE0ELNS1_3repE0EEENS1_30default_config_static_selectorELNS0_4arch9wavefront6targetE1EEEvT1_,"axG",@progbits,_ZN7rocprim17ROCPRIM_400000_NS6detail17trampoline_kernelINS0_14default_configENS1_25transform_config_selectorIlLb0EEEZNS1_14transform_implILb0ES3_S5_NS0_18transform_iteratorINS0_17counting_iteratorImlEEZNS1_24adjacent_difference_implIS3_Lb1ELb0EPlSB_ZN2at6native12_GLOBAL__N_124unique_dim_cuda_templateItEESt5tupleIJNSC_6TensorESH_SH_EERKSH_lbbbEUlllE1_EE10hipError_tPvRmT2_T3_mT4_P12ihipStream_tbEUlmE_lEESB_NS0_8identityIvEEEESM_SP_SQ_mSR_ST_bEUlT_E_NS1_11comp_targetILNS1_3genE0ELNS1_11target_archE4294967295ELNS1_3gpuE0ELNS1_3repE0EEENS1_30default_config_static_selectorELNS0_4arch9wavefront6targetE1EEEvT1_,comdat
	.globl	_ZN7rocprim17ROCPRIM_400000_NS6detail17trampoline_kernelINS0_14default_configENS1_25transform_config_selectorIlLb0EEEZNS1_14transform_implILb0ES3_S5_NS0_18transform_iteratorINS0_17counting_iteratorImlEEZNS1_24adjacent_difference_implIS3_Lb1ELb0EPlSB_ZN2at6native12_GLOBAL__N_124unique_dim_cuda_templateItEESt5tupleIJNSC_6TensorESH_SH_EERKSH_lbbbEUlllE1_EE10hipError_tPvRmT2_T3_mT4_P12ihipStream_tbEUlmE_lEESB_NS0_8identityIvEEEESM_SP_SQ_mSR_ST_bEUlT_E_NS1_11comp_targetILNS1_3genE0ELNS1_11target_archE4294967295ELNS1_3gpuE0ELNS1_3repE0EEENS1_30default_config_static_selectorELNS0_4arch9wavefront6targetE1EEEvT1_ ; -- Begin function _ZN7rocprim17ROCPRIM_400000_NS6detail17trampoline_kernelINS0_14default_configENS1_25transform_config_selectorIlLb0EEEZNS1_14transform_implILb0ES3_S5_NS0_18transform_iteratorINS0_17counting_iteratorImlEEZNS1_24adjacent_difference_implIS3_Lb1ELb0EPlSB_ZN2at6native12_GLOBAL__N_124unique_dim_cuda_templateItEESt5tupleIJNSC_6TensorESH_SH_EERKSH_lbbbEUlllE1_EE10hipError_tPvRmT2_T3_mT4_P12ihipStream_tbEUlmE_lEESB_NS0_8identityIvEEEESM_SP_SQ_mSR_ST_bEUlT_E_NS1_11comp_targetILNS1_3genE0ELNS1_11target_archE4294967295ELNS1_3gpuE0ELNS1_3repE0EEENS1_30default_config_static_selectorELNS0_4arch9wavefront6targetE1EEEvT1_
	.p2align	8
	.type	_ZN7rocprim17ROCPRIM_400000_NS6detail17trampoline_kernelINS0_14default_configENS1_25transform_config_selectorIlLb0EEEZNS1_14transform_implILb0ES3_S5_NS0_18transform_iteratorINS0_17counting_iteratorImlEEZNS1_24adjacent_difference_implIS3_Lb1ELb0EPlSB_ZN2at6native12_GLOBAL__N_124unique_dim_cuda_templateItEESt5tupleIJNSC_6TensorESH_SH_EERKSH_lbbbEUlllE1_EE10hipError_tPvRmT2_T3_mT4_P12ihipStream_tbEUlmE_lEESB_NS0_8identityIvEEEESM_SP_SQ_mSR_ST_bEUlT_E_NS1_11comp_targetILNS1_3genE0ELNS1_11target_archE4294967295ELNS1_3gpuE0ELNS1_3repE0EEENS1_30default_config_static_selectorELNS0_4arch9wavefront6targetE1EEEvT1_,@function
_ZN7rocprim17ROCPRIM_400000_NS6detail17trampoline_kernelINS0_14default_configENS1_25transform_config_selectorIlLb0EEEZNS1_14transform_implILb0ES3_S5_NS0_18transform_iteratorINS0_17counting_iteratorImlEEZNS1_24adjacent_difference_implIS3_Lb1ELb0EPlSB_ZN2at6native12_GLOBAL__N_124unique_dim_cuda_templateItEESt5tupleIJNSC_6TensorESH_SH_EERKSH_lbbbEUlllE1_EE10hipError_tPvRmT2_T3_mT4_P12ihipStream_tbEUlmE_lEESB_NS0_8identityIvEEEESM_SP_SQ_mSR_ST_bEUlT_E_NS1_11comp_targetILNS1_3genE0ELNS1_11target_archE4294967295ELNS1_3gpuE0ELNS1_3repE0EEENS1_30default_config_static_selectorELNS0_4arch9wavefront6targetE1EEEvT1_: ; @_ZN7rocprim17ROCPRIM_400000_NS6detail17trampoline_kernelINS0_14default_configENS1_25transform_config_selectorIlLb0EEEZNS1_14transform_implILb0ES3_S5_NS0_18transform_iteratorINS0_17counting_iteratorImlEEZNS1_24adjacent_difference_implIS3_Lb1ELb0EPlSB_ZN2at6native12_GLOBAL__N_124unique_dim_cuda_templateItEESt5tupleIJNSC_6TensorESH_SH_EERKSH_lbbbEUlllE1_EE10hipError_tPvRmT2_T3_mT4_P12ihipStream_tbEUlmE_lEESB_NS0_8identityIvEEEESM_SP_SQ_mSR_ST_bEUlT_E_NS1_11comp_targetILNS1_3genE0ELNS1_11target_archE4294967295ELNS1_3gpuE0ELNS1_3repE0EEENS1_30default_config_static_selectorELNS0_4arch9wavefront6targetE1EEEvT1_
; %bb.0:
	.section	.rodata,"a",@progbits
	.p2align	6, 0x0
	.amdhsa_kernel _ZN7rocprim17ROCPRIM_400000_NS6detail17trampoline_kernelINS0_14default_configENS1_25transform_config_selectorIlLb0EEEZNS1_14transform_implILb0ES3_S5_NS0_18transform_iteratorINS0_17counting_iteratorImlEEZNS1_24adjacent_difference_implIS3_Lb1ELb0EPlSB_ZN2at6native12_GLOBAL__N_124unique_dim_cuda_templateItEESt5tupleIJNSC_6TensorESH_SH_EERKSH_lbbbEUlllE1_EE10hipError_tPvRmT2_T3_mT4_P12ihipStream_tbEUlmE_lEESB_NS0_8identityIvEEEESM_SP_SQ_mSR_ST_bEUlT_E_NS1_11comp_targetILNS1_3genE0ELNS1_11target_archE4294967295ELNS1_3gpuE0ELNS1_3repE0EEENS1_30default_config_static_selectorELNS0_4arch9wavefront6targetE1EEEvT1_
		.amdhsa_group_segment_fixed_size 0
		.amdhsa_private_segment_fixed_size 0
		.amdhsa_kernarg_size 56
		.amdhsa_user_sgpr_count 2
		.amdhsa_user_sgpr_dispatch_ptr 0
		.amdhsa_user_sgpr_queue_ptr 0
		.amdhsa_user_sgpr_kernarg_segment_ptr 1
		.amdhsa_user_sgpr_dispatch_id 0
		.amdhsa_user_sgpr_kernarg_preload_length 0
		.amdhsa_user_sgpr_kernarg_preload_offset 0
		.amdhsa_user_sgpr_private_segment_size 0
		.amdhsa_uses_dynamic_stack 0
		.amdhsa_enable_private_segment 0
		.amdhsa_system_sgpr_workgroup_id_x 1
		.amdhsa_system_sgpr_workgroup_id_y 0
		.amdhsa_system_sgpr_workgroup_id_z 0
		.amdhsa_system_sgpr_workgroup_info 0
		.amdhsa_system_vgpr_workitem_id 0
		.amdhsa_next_free_vgpr 1
		.amdhsa_next_free_sgpr 0
		.amdhsa_accum_offset 4
		.amdhsa_reserve_vcc 0
		.amdhsa_float_round_mode_32 0
		.amdhsa_float_round_mode_16_64 0
		.amdhsa_float_denorm_mode_32 3
		.amdhsa_float_denorm_mode_16_64 3
		.amdhsa_dx10_clamp 1
		.amdhsa_ieee_mode 1
		.amdhsa_fp16_overflow 0
		.amdhsa_tg_split 0
		.amdhsa_exception_fp_ieee_invalid_op 0
		.amdhsa_exception_fp_denorm_src 0
		.amdhsa_exception_fp_ieee_div_zero 0
		.amdhsa_exception_fp_ieee_overflow 0
		.amdhsa_exception_fp_ieee_underflow 0
		.amdhsa_exception_fp_ieee_inexact 0
		.amdhsa_exception_int_div_zero 0
	.end_amdhsa_kernel
	.section	.text._ZN7rocprim17ROCPRIM_400000_NS6detail17trampoline_kernelINS0_14default_configENS1_25transform_config_selectorIlLb0EEEZNS1_14transform_implILb0ES3_S5_NS0_18transform_iteratorINS0_17counting_iteratorImlEEZNS1_24adjacent_difference_implIS3_Lb1ELb0EPlSB_ZN2at6native12_GLOBAL__N_124unique_dim_cuda_templateItEESt5tupleIJNSC_6TensorESH_SH_EERKSH_lbbbEUlllE1_EE10hipError_tPvRmT2_T3_mT4_P12ihipStream_tbEUlmE_lEESB_NS0_8identityIvEEEESM_SP_SQ_mSR_ST_bEUlT_E_NS1_11comp_targetILNS1_3genE0ELNS1_11target_archE4294967295ELNS1_3gpuE0ELNS1_3repE0EEENS1_30default_config_static_selectorELNS0_4arch9wavefront6targetE1EEEvT1_,"axG",@progbits,_ZN7rocprim17ROCPRIM_400000_NS6detail17trampoline_kernelINS0_14default_configENS1_25transform_config_selectorIlLb0EEEZNS1_14transform_implILb0ES3_S5_NS0_18transform_iteratorINS0_17counting_iteratorImlEEZNS1_24adjacent_difference_implIS3_Lb1ELb0EPlSB_ZN2at6native12_GLOBAL__N_124unique_dim_cuda_templateItEESt5tupleIJNSC_6TensorESH_SH_EERKSH_lbbbEUlllE1_EE10hipError_tPvRmT2_T3_mT4_P12ihipStream_tbEUlmE_lEESB_NS0_8identityIvEEEESM_SP_SQ_mSR_ST_bEUlT_E_NS1_11comp_targetILNS1_3genE0ELNS1_11target_archE4294967295ELNS1_3gpuE0ELNS1_3repE0EEENS1_30default_config_static_selectorELNS0_4arch9wavefront6targetE1EEEvT1_,comdat
.Lfunc_end1411:
	.size	_ZN7rocprim17ROCPRIM_400000_NS6detail17trampoline_kernelINS0_14default_configENS1_25transform_config_selectorIlLb0EEEZNS1_14transform_implILb0ES3_S5_NS0_18transform_iteratorINS0_17counting_iteratorImlEEZNS1_24adjacent_difference_implIS3_Lb1ELb0EPlSB_ZN2at6native12_GLOBAL__N_124unique_dim_cuda_templateItEESt5tupleIJNSC_6TensorESH_SH_EERKSH_lbbbEUlllE1_EE10hipError_tPvRmT2_T3_mT4_P12ihipStream_tbEUlmE_lEESB_NS0_8identityIvEEEESM_SP_SQ_mSR_ST_bEUlT_E_NS1_11comp_targetILNS1_3genE0ELNS1_11target_archE4294967295ELNS1_3gpuE0ELNS1_3repE0EEENS1_30default_config_static_selectorELNS0_4arch9wavefront6targetE1EEEvT1_, .Lfunc_end1411-_ZN7rocprim17ROCPRIM_400000_NS6detail17trampoline_kernelINS0_14default_configENS1_25transform_config_selectorIlLb0EEEZNS1_14transform_implILb0ES3_S5_NS0_18transform_iteratorINS0_17counting_iteratorImlEEZNS1_24adjacent_difference_implIS3_Lb1ELb0EPlSB_ZN2at6native12_GLOBAL__N_124unique_dim_cuda_templateItEESt5tupleIJNSC_6TensorESH_SH_EERKSH_lbbbEUlllE1_EE10hipError_tPvRmT2_T3_mT4_P12ihipStream_tbEUlmE_lEESB_NS0_8identityIvEEEESM_SP_SQ_mSR_ST_bEUlT_E_NS1_11comp_targetILNS1_3genE0ELNS1_11target_archE4294967295ELNS1_3gpuE0ELNS1_3repE0EEENS1_30default_config_static_selectorELNS0_4arch9wavefront6targetE1EEEvT1_
                                        ; -- End function
	.section	.AMDGPU.csdata,"",@progbits
; Kernel info:
; codeLenInByte = 0
; NumSgprs: 6
; NumVgprs: 0
; NumAgprs: 0
; TotalNumVgprs: 0
; ScratchSize: 0
; MemoryBound: 0
; FloatMode: 240
; IeeeMode: 1
; LDSByteSize: 0 bytes/workgroup (compile time only)
; SGPRBlocks: 0
; VGPRBlocks: 0
; NumSGPRsForWavesPerEU: 6
; NumVGPRsForWavesPerEU: 1
; AccumOffset: 4
; Occupancy: 8
; WaveLimiterHint : 0
; COMPUTE_PGM_RSRC2:SCRATCH_EN: 0
; COMPUTE_PGM_RSRC2:USER_SGPR: 2
; COMPUTE_PGM_RSRC2:TRAP_HANDLER: 0
; COMPUTE_PGM_RSRC2:TGID_X_EN: 1
; COMPUTE_PGM_RSRC2:TGID_Y_EN: 0
; COMPUTE_PGM_RSRC2:TGID_Z_EN: 0
; COMPUTE_PGM_RSRC2:TIDIG_COMP_CNT: 0
; COMPUTE_PGM_RSRC3_GFX90A:ACCUM_OFFSET: 0
; COMPUTE_PGM_RSRC3_GFX90A:TG_SPLIT: 0
	.section	.text._ZN7rocprim17ROCPRIM_400000_NS6detail17trampoline_kernelINS0_14default_configENS1_25transform_config_selectorIlLb0EEEZNS1_14transform_implILb0ES3_S5_NS0_18transform_iteratorINS0_17counting_iteratorImlEEZNS1_24adjacent_difference_implIS3_Lb1ELb0EPlSB_ZN2at6native12_GLOBAL__N_124unique_dim_cuda_templateItEESt5tupleIJNSC_6TensorESH_SH_EERKSH_lbbbEUlllE1_EE10hipError_tPvRmT2_T3_mT4_P12ihipStream_tbEUlmE_lEESB_NS0_8identityIvEEEESM_SP_SQ_mSR_ST_bEUlT_E_NS1_11comp_targetILNS1_3genE5ELNS1_11target_archE942ELNS1_3gpuE9ELNS1_3repE0EEENS1_30default_config_static_selectorELNS0_4arch9wavefront6targetE1EEEvT1_,"axG",@progbits,_ZN7rocprim17ROCPRIM_400000_NS6detail17trampoline_kernelINS0_14default_configENS1_25transform_config_selectorIlLb0EEEZNS1_14transform_implILb0ES3_S5_NS0_18transform_iteratorINS0_17counting_iteratorImlEEZNS1_24adjacent_difference_implIS3_Lb1ELb0EPlSB_ZN2at6native12_GLOBAL__N_124unique_dim_cuda_templateItEESt5tupleIJNSC_6TensorESH_SH_EERKSH_lbbbEUlllE1_EE10hipError_tPvRmT2_T3_mT4_P12ihipStream_tbEUlmE_lEESB_NS0_8identityIvEEEESM_SP_SQ_mSR_ST_bEUlT_E_NS1_11comp_targetILNS1_3genE5ELNS1_11target_archE942ELNS1_3gpuE9ELNS1_3repE0EEENS1_30default_config_static_selectorELNS0_4arch9wavefront6targetE1EEEvT1_,comdat
	.globl	_ZN7rocprim17ROCPRIM_400000_NS6detail17trampoline_kernelINS0_14default_configENS1_25transform_config_selectorIlLb0EEEZNS1_14transform_implILb0ES3_S5_NS0_18transform_iteratorINS0_17counting_iteratorImlEEZNS1_24adjacent_difference_implIS3_Lb1ELb0EPlSB_ZN2at6native12_GLOBAL__N_124unique_dim_cuda_templateItEESt5tupleIJNSC_6TensorESH_SH_EERKSH_lbbbEUlllE1_EE10hipError_tPvRmT2_T3_mT4_P12ihipStream_tbEUlmE_lEESB_NS0_8identityIvEEEESM_SP_SQ_mSR_ST_bEUlT_E_NS1_11comp_targetILNS1_3genE5ELNS1_11target_archE942ELNS1_3gpuE9ELNS1_3repE0EEENS1_30default_config_static_selectorELNS0_4arch9wavefront6targetE1EEEvT1_ ; -- Begin function _ZN7rocprim17ROCPRIM_400000_NS6detail17trampoline_kernelINS0_14default_configENS1_25transform_config_selectorIlLb0EEEZNS1_14transform_implILb0ES3_S5_NS0_18transform_iteratorINS0_17counting_iteratorImlEEZNS1_24adjacent_difference_implIS3_Lb1ELb0EPlSB_ZN2at6native12_GLOBAL__N_124unique_dim_cuda_templateItEESt5tupleIJNSC_6TensorESH_SH_EERKSH_lbbbEUlllE1_EE10hipError_tPvRmT2_T3_mT4_P12ihipStream_tbEUlmE_lEESB_NS0_8identityIvEEEESM_SP_SQ_mSR_ST_bEUlT_E_NS1_11comp_targetILNS1_3genE5ELNS1_11target_archE942ELNS1_3gpuE9ELNS1_3repE0EEENS1_30default_config_static_selectorELNS0_4arch9wavefront6targetE1EEEvT1_
	.p2align	8
	.type	_ZN7rocprim17ROCPRIM_400000_NS6detail17trampoline_kernelINS0_14default_configENS1_25transform_config_selectorIlLb0EEEZNS1_14transform_implILb0ES3_S5_NS0_18transform_iteratorINS0_17counting_iteratorImlEEZNS1_24adjacent_difference_implIS3_Lb1ELb0EPlSB_ZN2at6native12_GLOBAL__N_124unique_dim_cuda_templateItEESt5tupleIJNSC_6TensorESH_SH_EERKSH_lbbbEUlllE1_EE10hipError_tPvRmT2_T3_mT4_P12ihipStream_tbEUlmE_lEESB_NS0_8identityIvEEEESM_SP_SQ_mSR_ST_bEUlT_E_NS1_11comp_targetILNS1_3genE5ELNS1_11target_archE942ELNS1_3gpuE9ELNS1_3repE0EEENS1_30default_config_static_selectorELNS0_4arch9wavefront6targetE1EEEvT1_,@function
_ZN7rocprim17ROCPRIM_400000_NS6detail17trampoline_kernelINS0_14default_configENS1_25transform_config_selectorIlLb0EEEZNS1_14transform_implILb0ES3_S5_NS0_18transform_iteratorINS0_17counting_iteratorImlEEZNS1_24adjacent_difference_implIS3_Lb1ELb0EPlSB_ZN2at6native12_GLOBAL__N_124unique_dim_cuda_templateItEESt5tupleIJNSC_6TensorESH_SH_EERKSH_lbbbEUlllE1_EE10hipError_tPvRmT2_T3_mT4_P12ihipStream_tbEUlmE_lEESB_NS0_8identityIvEEEESM_SP_SQ_mSR_ST_bEUlT_E_NS1_11comp_targetILNS1_3genE5ELNS1_11target_archE942ELNS1_3gpuE9ELNS1_3repE0EEENS1_30default_config_static_selectorELNS0_4arch9wavefront6targetE1EEEvT1_: ; @_ZN7rocprim17ROCPRIM_400000_NS6detail17trampoline_kernelINS0_14default_configENS1_25transform_config_selectorIlLb0EEEZNS1_14transform_implILb0ES3_S5_NS0_18transform_iteratorINS0_17counting_iteratorImlEEZNS1_24adjacent_difference_implIS3_Lb1ELb0EPlSB_ZN2at6native12_GLOBAL__N_124unique_dim_cuda_templateItEESt5tupleIJNSC_6TensorESH_SH_EERKSH_lbbbEUlllE1_EE10hipError_tPvRmT2_T3_mT4_P12ihipStream_tbEUlmE_lEESB_NS0_8identityIvEEEESM_SP_SQ_mSR_ST_bEUlT_E_NS1_11comp_targetILNS1_3genE5ELNS1_11target_archE942ELNS1_3gpuE9ELNS1_3repE0EEENS1_30default_config_static_selectorELNS0_4arch9wavefront6targetE1EEEvT1_
; %bb.0:
	s_load_dwordx4 s[8:11], s[0:1], 0x18
	s_load_dwordx2 s[12:13], s[0:1], 0x28
	s_load_dwordx4 s[4:7], s[0:1], 0x0
	s_load_dword s14, s[0:1], 0x10
	s_load_dword s3, s[0:1], 0x38
	s_waitcnt lgkmcnt(0)
	s_lshl_b64 s[0:1], s[8:9], 3
	s_add_u32 s11, s12, s0
	s_addc_u32 s16, s13, s1
	s_lshl_b32 s12, s2, 10
	s_add_i32 s3, s3, -1
	s_add_u32 s0, s4, s12
	s_addc_u32 s1, s5, 0
	s_add_u32 s4, s0, s8
	s_addc_u32 s5, s1, s9
	s_mov_b32 s13, 0
	s_cmp_lg_u32 s2, s3
	v_lshlrev_b32_e32 v6, 3, v0
	s_cbranch_scc0 .LBB1412_2
; %bb.1:
	v_mov_b32_e32 v1, 0
	v_lshl_add_u64 v[2:3], s[4:5], 0, v[0:1]
	v_mad_u64_u32 v[4:5], s[0:1], v2, s14, 0
	v_mov_b32_e32 v2, v5
	v_mad_u64_u32 v[2:3], s[0:1], v3, s14, v[2:3]
	s_mov_b32 s15, s13
	v_mov_b32_e32 v5, v2
	v_lshl_add_u64 v[2:3], v[4:5], 3, s[6:7]
	s_lshl_b64 s[0:1], s[14:15], 12
	global_load_dwordx2 v[10:11], v[2:3], off
	v_lshl_add_u64 v[2:3], v[2:3], 0, s[0:1]
	global_load_dwordx2 v[4:5], v[2:3], off
	s_lshl_b64 s[2:3], s[12:13], 3
	s_add_u32 s2, s11, s2
	v_mov_b32_e32 v7, v1
	s_addc_u32 s3, s16, s3
	v_lshl_add_u64 v[8:9], s[2:3], 0, v[6:7]
	s_waitcnt vmcnt(1)
	global_store_dwordx2 v6, v[10:11], s[2:3]
	s_mov_b64 s[2:3], -1
	s_cbranch_execz .LBB1412_3
	s_branch .LBB1412_12
.LBB1412_2:
	s_mov_b64 s[2:3], 0
                                        ; implicit-def: $vgpr4_vgpr5
                                        ; implicit-def: $vgpr8_vgpr9
.LBB1412_3:
	s_sub_i32 s8, s10, s12
	v_cmp_gt_u32_e32 vcc, s8, v0
                                        ; implicit-def: $vgpr2_vgpr3_vgpr4_vgpr5
	s_and_saveexec_b64 s[0:1], vcc
	s_cbranch_execz .LBB1412_5
; %bb.4:
	v_mov_b32_e32 v1, 0
	v_lshl_add_u64 v[2:3], s[4:5], 0, v[0:1]
	s_waitcnt vmcnt(1)
	v_mad_u64_u32 v[4:5], s[18:19], v2, s14, 0
	v_mov_b32_e32 v2, v5
	v_mad_u64_u32 v[2:3], s[18:19], v3, s14, v[2:3]
	v_mov_b32_e32 v5, v2
	v_lshl_add_u64 v[2:3], v[4:5], 3, s[6:7]
	global_load_dwordx2 v[2:3], v[2:3], off
.LBB1412_5:
	s_or_b64 exec, exec, s[0:1]
	v_or_b32_e32 v0, 0x200, v0
	v_cmp_gt_u32_e64 s[0:1], s8, v0
	s_and_saveexec_b64 s[8:9], s[0:1]
	s_cbranch_execz .LBB1412_7
; %bb.6:
	v_mov_b32_e32 v1, 0
	v_lshl_add_u64 v[0:1], s[4:5], 0, v[0:1]
	s_waitcnt vmcnt(1)
	v_mad_u64_u32 v[4:5], s[4:5], v0, s14, 0
	v_mov_b32_e32 v0, v5
	v_mad_u64_u32 v[0:1], s[4:5], v1, s14, v[0:1]
	v_mov_b32_e32 v5, v0
	v_lshl_add_u64 v[0:1], v[4:5], 3, s[6:7]
	global_load_dwordx2 v[4:5], v[0:1], off
.LBB1412_7:
	s_or_b64 exec, exec, s[8:9]
	s_lshl_b64 s[4:5], s[12:13], 3
	s_add_u32 s4, s11, s4
	s_addc_u32 s5, s16, s5
	v_mov_b32_e32 v7, 0
	v_lshl_add_u64 v[8:9], s[4:5], 0, v[6:7]
	s_and_saveexec_b64 s[4:5], vcc
	s_cbranch_execz .LBB1412_9
; %bb.8:
	s_waitcnt vmcnt(0)
	global_store_dwordx2 v[8:9], v[2:3], off
.LBB1412_9:
	s_or_b64 exec, exec, s[4:5]
	s_and_saveexec_b64 s[4:5], s[0:1]
; %bb.10:
	s_or_b64 s[2:3], s[2:3], exec
; %bb.11:
	s_or_b64 exec, exec, s[4:5]
.LBB1412_12:
	s_and_saveexec_b64 s[0:1], s[2:3]
	s_cbranch_execnz .LBB1412_14
; %bb.13:
	s_endpgm
.LBB1412_14:
	v_add_co_u32_e32 v0, vcc, 0x1000, v8
	s_nop 1
	v_addc_co_u32_e32 v1, vcc, 0, v9, vcc
	s_waitcnt vmcnt(0)
	global_store_dwordx2 v[0:1], v[4:5], off
	s_endpgm
	.section	.rodata,"a",@progbits
	.p2align	6, 0x0
	.amdhsa_kernel _ZN7rocprim17ROCPRIM_400000_NS6detail17trampoline_kernelINS0_14default_configENS1_25transform_config_selectorIlLb0EEEZNS1_14transform_implILb0ES3_S5_NS0_18transform_iteratorINS0_17counting_iteratorImlEEZNS1_24adjacent_difference_implIS3_Lb1ELb0EPlSB_ZN2at6native12_GLOBAL__N_124unique_dim_cuda_templateItEESt5tupleIJNSC_6TensorESH_SH_EERKSH_lbbbEUlllE1_EE10hipError_tPvRmT2_T3_mT4_P12ihipStream_tbEUlmE_lEESB_NS0_8identityIvEEEESM_SP_SQ_mSR_ST_bEUlT_E_NS1_11comp_targetILNS1_3genE5ELNS1_11target_archE942ELNS1_3gpuE9ELNS1_3repE0EEENS1_30default_config_static_selectorELNS0_4arch9wavefront6targetE1EEEvT1_
		.amdhsa_group_segment_fixed_size 0
		.amdhsa_private_segment_fixed_size 0
		.amdhsa_kernarg_size 312
		.amdhsa_user_sgpr_count 2
		.amdhsa_user_sgpr_dispatch_ptr 0
		.amdhsa_user_sgpr_queue_ptr 0
		.amdhsa_user_sgpr_kernarg_segment_ptr 1
		.amdhsa_user_sgpr_dispatch_id 0
		.amdhsa_user_sgpr_kernarg_preload_length 0
		.amdhsa_user_sgpr_kernarg_preload_offset 0
		.amdhsa_user_sgpr_private_segment_size 0
		.amdhsa_uses_dynamic_stack 0
		.amdhsa_enable_private_segment 0
		.amdhsa_system_sgpr_workgroup_id_x 1
		.amdhsa_system_sgpr_workgroup_id_y 0
		.amdhsa_system_sgpr_workgroup_id_z 0
		.amdhsa_system_sgpr_workgroup_info 0
		.amdhsa_system_vgpr_workitem_id 0
		.amdhsa_next_free_vgpr 12
		.amdhsa_next_free_sgpr 20
		.amdhsa_accum_offset 12
		.amdhsa_reserve_vcc 1
		.amdhsa_float_round_mode_32 0
		.amdhsa_float_round_mode_16_64 0
		.amdhsa_float_denorm_mode_32 3
		.amdhsa_float_denorm_mode_16_64 3
		.amdhsa_dx10_clamp 1
		.amdhsa_ieee_mode 1
		.amdhsa_fp16_overflow 0
		.amdhsa_tg_split 0
		.amdhsa_exception_fp_ieee_invalid_op 0
		.amdhsa_exception_fp_denorm_src 0
		.amdhsa_exception_fp_ieee_div_zero 0
		.amdhsa_exception_fp_ieee_overflow 0
		.amdhsa_exception_fp_ieee_underflow 0
		.amdhsa_exception_fp_ieee_inexact 0
		.amdhsa_exception_int_div_zero 0
	.end_amdhsa_kernel
	.section	.text._ZN7rocprim17ROCPRIM_400000_NS6detail17trampoline_kernelINS0_14default_configENS1_25transform_config_selectorIlLb0EEEZNS1_14transform_implILb0ES3_S5_NS0_18transform_iteratorINS0_17counting_iteratorImlEEZNS1_24adjacent_difference_implIS3_Lb1ELb0EPlSB_ZN2at6native12_GLOBAL__N_124unique_dim_cuda_templateItEESt5tupleIJNSC_6TensorESH_SH_EERKSH_lbbbEUlllE1_EE10hipError_tPvRmT2_T3_mT4_P12ihipStream_tbEUlmE_lEESB_NS0_8identityIvEEEESM_SP_SQ_mSR_ST_bEUlT_E_NS1_11comp_targetILNS1_3genE5ELNS1_11target_archE942ELNS1_3gpuE9ELNS1_3repE0EEENS1_30default_config_static_selectorELNS0_4arch9wavefront6targetE1EEEvT1_,"axG",@progbits,_ZN7rocprim17ROCPRIM_400000_NS6detail17trampoline_kernelINS0_14default_configENS1_25transform_config_selectorIlLb0EEEZNS1_14transform_implILb0ES3_S5_NS0_18transform_iteratorINS0_17counting_iteratorImlEEZNS1_24adjacent_difference_implIS3_Lb1ELb0EPlSB_ZN2at6native12_GLOBAL__N_124unique_dim_cuda_templateItEESt5tupleIJNSC_6TensorESH_SH_EERKSH_lbbbEUlllE1_EE10hipError_tPvRmT2_T3_mT4_P12ihipStream_tbEUlmE_lEESB_NS0_8identityIvEEEESM_SP_SQ_mSR_ST_bEUlT_E_NS1_11comp_targetILNS1_3genE5ELNS1_11target_archE942ELNS1_3gpuE9ELNS1_3repE0EEENS1_30default_config_static_selectorELNS0_4arch9wavefront6targetE1EEEvT1_,comdat
.Lfunc_end1412:
	.size	_ZN7rocprim17ROCPRIM_400000_NS6detail17trampoline_kernelINS0_14default_configENS1_25transform_config_selectorIlLb0EEEZNS1_14transform_implILb0ES3_S5_NS0_18transform_iteratorINS0_17counting_iteratorImlEEZNS1_24adjacent_difference_implIS3_Lb1ELb0EPlSB_ZN2at6native12_GLOBAL__N_124unique_dim_cuda_templateItEESt5tupleIJNSC_6TensorESH_SH_EERKSH_lbbbEUlllE1_EE10hipError_tPvRmT2_T3_mT4_P12ihipStream_tbEUlmE_lEESB_NS0_8identityIvEEEESM_SP_SQ_mSR_ST_bEUlT_E_NS1_11comp_targetILNS1_3genE5ELNS1_11target_archE942ELNS1_3gpuE9ELNS1_3repE0EEENS1_30default_config_static_selectorELNS0_4arch9wavefront6targetE1EEEvT1_, .Lfunc_end1412-_ZN7rocprim17ROCPRIM_400000_NS6detail17trampoline_kernelINS0_14default_configENS1_25transform_config_selectorIlLb0EEEZNS1_14transform_implILb0ES3_S5_NS0_18transform_iteratorINS0_17counting_iteratorImlEEZNS1_24adjacent_difference_implIS3_Lb1ELb0EPlSB_ZN2at6native12_GLOBAL__N_124unique_dim_cuda_templateItEESt5tupleIJNSC_6TensorESH_SH_EERKSH_lbbbEUlllE1_EE10hipError_tPvRmT2_T3_mT4_P12ihipStream_tbEUlmE_lEESB_NS0_8identityIvEEEESM_SP_SQ_mSR_ST_bEUlT_E_NS1_11comp_targetILNS1_3genE5ELNS1_11target_archE942ELNS1_3gpuE9ELNS1_3repE0EEENS1_30default_config_static_selectorELNS0_4arch9wavefront6targetE1EEEvT1_
                                        ; -- End function
	.section	.AMDGPU.csdata,"",@progbits
; Kernel info:
; codeLenInByte = 488
; NumSgprs: 26
; NumVgprs: 12
; NumAgprs: 0
; TotalNumVgprs: 12
; ScratchSize: 0
; MemoryBound: 0
; FloatMode: 240
; IeeeMode: 1
; LDSByteSize: 0 bytes/workgroup (compile time only)
; SGPRBlocks: 3
; VGPRBlocks: 1
; NumSGPRsForWavesPerEU: 26
; NumVGPRsForWavesPerEU: 12
; AccumOffset: 12
; Occupancy: 8
; WaveLimiterHint : 0
; COMPUTE_PGM_RSRC2:SCRATCH_EN: 0
; COMPUTE_PGM_RSRC2:USER_SGPR: 2
; COMPUTE_PGM_RSRC2:TRAP_HANDLER: 0
; COMPUTE_PGM_RSRC2:TGID_X_EN: 1
; COMPUTE_PGM_RSRC2:TGID_Y_EN: 0
; COMPUTE_PGM_RSRC2:TGID_Z_EN: 0
; COMPUTE_PGM_RSRC2:TIDIG_COMP_CNT: 0
; COMPUTE_PGM_RSRC3_GFX90A:ACCUM_OFFSET: 2
; COMPUTE_PGM_RSRC3_GFX90A:TG_SPLIT: 0
	.section	.text._ZN7rocprim17ROCPRIM_400000_NS6detail17trampoline_kernelINS0_14default_configENS1_25transform_config_selectorIlLb0EEEZNS1_14transform_implILb0ES3_S5_NS0_18transform_iteratorINS0_17counting_iteratorImlEEZNS1_24adjacent_difference_implIS3_Lb1ELb0EPlSB_ZN2at6native12_GLOBAL__N_124unique_dim_cuda_templateItEESt5tupleIJNSC_6TensorESH_SH_EERKSH_lbbbEUlllE1_EE10hipError_tPvRmT2_T3_mT4_P12ihipStream_tbEUlmE_lEESB_NS0_8identityIvEEEESM_SP_SQ_mSR_ST_bEUlT_E_NS1_11comp_targetILNS1_3genE4ELNS1_11target_archE910ELNS1_3gpuE8ELNS1_3repE0EEENS1_30default_config_static_selectorELNS0_4arch9wavefront6targetE1EEEvT1_,"axG",@progbits,_ZN7rocprim17ROCPRIM_400000_NS6detail17trampoline_kernelINS0_14default_configENS1_25transform_config_selectorIlLb0EEEZNS1_14transform_implILb0ES3_S5_NS0_18transform_iteratorINS0_17counting_iteratorImlEEZNS1_24adjacent_difference_implIS3_Lb1ELb0EPlSB_ZN2at6native12_GLOBAL__N_124unique_dim_cuda_templateItEESt5tupleIJNSC_6TensorESH_SH_EERKSH_lbbbEUlllE1_EE10hipError_tPvRmT2_T3_mT4_P12ihipStream_tbEUlmE_lEESB_NS0_8identityIvEEEESM_SP_SQ_mSR_ST_bEUlT_E_NS1_11comp_targetILNS1_3genE4ELNS1_11target_archE910ELNS1_3gpuE8ELNS1_3repE0EEENS1_30default_config_static_selectorELNS0_4arch9wavefront6targetE1EEEvT1_,comdat
	.globl	_ZN7rocprim17ROCPRIM_400000_NS6detail17trampoline_kernelINS0_14default_configENS1_25transform_config_selectorIlLb0EEEZNS1_14transform_implILb0ES3_S5_NS0_18transform_iteratorINS0_17counting_iteratorImlEEZNS1_24adjacent_difference_implIS3_Lb1ELb0EPlSB_ZN2at6native12_GLOBAL__N_124unique_dim_cuda_templateItEESt5tupleIJNSC_6TensorESH_SH_EERKSH_lbbbEUlllE1_EE10hipError_tPvRmT2_T3_mT4_P12ihipStream_tbEUlmE_lEESB_NS0_8identityIvEEEESM_SP_SQ_mSR_ST_bEUlT_E_NS1_11comp_targetILNS1_3genE4ELNS1_11target_archE910ELNS1_3gpuE8ELNS1_3repE0EEENS1_30default_config_static_selectorELNS0_4arch9wavefront6targetE1EEEvT1_ ; -- Begin function _ZN7rocprim17ROCPRIM_400000_NS6detail17trampoline_kernelINS0_14default_configENS1_25transform_config_selectorIlLb0EEEZNS1_14transform_implILb0ES3_S5_NS0_18transform_iteratorINS0_17counting_iteratorImlEEZNS1_24adjacent_difference_implIS3_Lb1ELb0EPlSB_ZN2at6native12_GLOBAL__N_124unique_dim_cuda_templateItEESt5tupleIJNSC_6TensorESH_SH_EERKSH_lbbbEUlllE1_EE10hipError_tPvRmT2_T3_mT4_P12ihipStream_tbEUlmE_lEESB_NS0_8identityIvEEEESM_SP_SQ_mSR_ST_bEUlT_E_NS1_11comp_targetILNS1_3genE4ELNS1_11target_archE910ELNS1_3gpuE8ELNS1_3repE0EEENS1_30default_config_static_selectorELNS0_4arch9wavefront6targetE1EEEvT1_
	.p2align	8
	.type	_ZN7rocprim17ROCPRIM_400000_NS6detail17trampoline_kernelINS0_14default_configENS1_25transform_config_selectorIlLb0EEEZNS1_14transform_implILb0ES3_S5_NS0_18transform_iteratorINS0_17counting_iteratorImlEEZNS1_24adjacent_difference_implIS3_Lb1ELb0EPlSB_ZN2at6native12_GLOBAL__N_124unique_dim_cuda_templateItEESt5tupleIJNSC_6TensorESH_SH_EERKSH_lbbbEUlllE1_EE10hipError_tPvRmT2_T3_mT4_P12ihipStream_tbEUlmE_lEESB_NS0_8identityIvEEEESM_SP_SQ_mSR_ST_bEUlT_E_NS1_11comp_targetILNS1_3genE4ELNS1_11target_archE910ELNS1_3gpuE8ELNS1_3repE0EEENS1_30default_config_static_selectorELNS0_4arch9wavefront6targetE1EEEvT1_,@function
_ZN7rocprim17ROCPRIM_400000_NS6detail17trampoline_kernelINS0_14default_configENS1_25transform_config_selectorIlLb0EEEZNS1_14transform_implILb0ES3_S5_NS0_18transform_iteratorINS0_17counting_iteratorImlEEZNS1_24adjacent_difference_implIS3_Lb1ELb0EPlSB_ZN2at6native12_GLOBAL__N_124unique_dim_cuda_templateItEESt5tupleIJNSC_6TensorESH_SH_EERKSH_lbbbEUlllE1_EE10hipError_tPvRmT2_T3_mT4_P12ihipStream_tbEUlmE_lEESB_NS0_8identityIvEEEESM_SP_SQ_mSR_ST_bEUlT_E_NS1_11comp_targetILNS1_3genE4ELNS1_11target_archE910ELNS1_3gpuE8ELNS1_3repE0EEENS1_30default_config_static_selectorELNS0_4arch9wavefront6targetE1EEEvT1_: ; @_ZN7rocprim17ROCPRIM_400000_NS6detail17trampoline_kernelINS0_14default_configENS1_25transform_config_selectorIlLb0EEEZNS1_14transform_implILb0ES3_S5_NS0_18transform_iteratorINS0_17counting_iteratorImlEEZNS1_24adjacent_difference_implIS3_Lb1ELb0EPlSB_ZN2at6native12_GLOBAL__N_124unique_dim_cuda_templateItEESt5tupleIJNSC_6TensorESH_SH_EERKSH_lbbbEUlllE1_EE10hipError_tPvRmT2_T3_mT4_P12ihipStream_tbEUlmE_lEESB_NS0_8identityIvEEEESM_SP_SQ_mSR_ST_bEUlT_E_NS1_11comp_targetILNS1_3genE4ELNS1_11target_archE910ELNS1_3gpuE8ELNS1_3repE0EEENS1_30default_config_static_selectorELNS0_4arch9wavefront6targetE1EEEvT1_
; %bb.0:
	.section	.rodata,"a",@progbits
	.p2align	6, 0x0
	.amdhsa_kernel _ZN7rocprim17ROCPRIM_400000_NS6detail17trampoline_kernelINS0_14default_configENS1_25transform_config_selectorIlLb0EEEZNS1_14transform_implILb0ES3_S5_NS0_18transform_iteratorINS0_17counting_iteratorImlEEZNS1_24adjacent_difference_implIS3_Lb1ELb0EPlSB_ZN2at6native12_GLOBAL__N_124unique_dim_cuda_templateItEESt5tupleIJNSC_6TensorESH_SH_EERKSH_lbbbEUlllE1_EE10hipError_tPvRmT2_T3_mT4_P12ihipStream_tbEUlmE_lEESB_NS0_8identityIvEEEESM_SP_SQ_mSR_ST_bEUlT_E_NS1_11comp_targetILNS1_3genE4ELNS1_11target_archE910ELNS1_3gpuE8ELNS1_3repE0EEENS1_30default_config_static_selectorELNS0_4arch9wavefront6targetE1EEEvT1_
		.amdhsa_group_segment_fixed_size 0
		.amdhsa_private_segment_fixed_size 0
		.amdhsa_kernarg_size 56
		.amdhsa_user_sgpr_count 2
		.amdhsa_user_sgpr_dispatch_ptr 0
		.amdhsa_user_sgpr_queue_ptr 0
		.amdhsa_user_sgpr_kernarg_segment_ptr 1
		.amdhsa_user_sgpr_dispatch_id 0
		.amdhsa_user_sgpr_kernarg_preload_length 0
		.amdhsa_user_sgpr_kernarg_preload_offset 0
		.amdhsa_user_sgpr_private_segment_size 0
		.amdhsa_uses_dynamic_stack 0
		.amdhsa_enable_private_segment 0
		.amdhsa_system_sgpr_workgroup_id_x 1
		.amdhsa_system_sgpr_workgroup_id_y 0
		.amdhsa_system_sgpr_workgroup_id_z 0
		.amdhsa_system_sgpr_workgroup_info 0
		.amdhsa_system_vgpr_workitem_id 0
		.amdhsa_next_free_vgpr 1
		.amdhsa_next_free_sgpr 0
		.amdhsa_accum_offset 4
		.amdhsa_reserve_vcc 0
		.amdhsa_float_round_mode_32 0
		.amdhsa_float_round_mode_16_64 0
		.amdhsa_float_denorm_mode_32 3
		.amdhsa_float_denorm_mode_16_64 3
		.amdhsa_dx10_clamp 1
		.amdhsa_ieee_mode 1
		.amdhsa_fp16_overflow 0
		.amdhsa_tg_split 0
		.amdhsa_exception_fp_ieee_invalid_op 0
		.amdhsa_exception_fp_denorm_src 0
		.amdhsa_exception_fp_ieee_div_zero 0
		.amdhsa_exception_fp_ieee_overflow 0
		.amdhsa_exception_fp_ieee_underflow 0
		.amdhsa_exception_fp_ieee_inexact 0
		.amdhsa_exception_int_div_zero 0
	.end_amdhsa_kernel
	.section	.text._ZN7rocprim17ROCPRIM_400000_NS6detail17trampoline_kernelINS0_14default_configENS1_25transform_config_selectorIlLb0EEEZNS1_14transform_implILb0ES3_S5_NS0_18transform_iteratorINS0_17counting_iteratorImlEEZNS1_24adjacent_difference_implIS3_Lb1ELb0EPlSB_ZN2at6native12_GLOBAL__N_124unique_dim_cuda_templateItEESt5tupleIJNSC_6TensorESH_SH_EERKSH_lbbbEUlllE1_EE10hipError_tPvRmT2_T3_mT4_P12ihipStream_tbEUlmE_lEESB_NS0_8identityIvEEEESM_SP_SQ_mSR_ST_bEUlT_E_NS1_11comp_targetILNS1_3genE4ELNS1_11target_archE910ELNS1_3gpuE8ELNS1_3repE0EEENS1_30default_config_static_selectorELNS0_4arch9wavefront6targetE1EEEvT1_,"axG",@progbits,_ZN7rocprim17ROCPRIM_400000_NS6detail17trampoline_kernelINS0_14default_configENS1_25transform_config_selectorIlLb0EEEZNS1_14transform_implILb0ES3_S5_NS0_18transform_iteratorINS0_17counting_iteratorImlEEZNS1_24adjacent_difference_implIS3_Lb1ELb0EPlSB_ZN2at6native12_GLOBAL__N_124unique_dim_cuda_templateItEESt5tupleIJNSC_6TensorESH_SH_EERKSH_lbbbEUlllE1_EE10hipError_tPvRmT2_T3_mT4_P12ihipStream_tbEUlmE_lEESB_NS0_8identityIvEEEESM_SP_SQ_mSR_ST_bEUlT_E_NS1_11comp_targetILNS1_3genE4ELNS1_11target_archE910ELNS1_3gpuE8ELNS1_3repE0EEENS1_30default_config_static_selectorELNS0_4arch9wavefront6targetE1EEEvT1_,comdat
.Lfunc_end1413:
	.size	_ZN7rocprim17ROCPRIM_400000_NS6detail17trampoline_kernelINS0_14default_configENS1_25transform_config_selectorIlLb0EEEZNS1_14transform_implILb0ES3_S5_NS0_18transform_iteratorINS0_17counting_iteratorImlEEZNS1_24adjacent_difference_implIS3_Lb1ELb0EPlSB_ZN2at6native12_GLOBAL__N_124unique_dim_cuda_templateItEESt5tupleIJNSC_6TensorESH_SH_EERKSH_lbbbEUlllE1_EE10hipError_tPvRmT2_T3_mT4_P12ihipStream_tbEUlmE_lEESB_NS0_8identityIvEEEESM_SP_SQ_mSR_ST_bEUlT_E_NS1_11comp_targetILNS1_3genE4ELNS1_11target_archE910ELNS1_3gpuE8ELNS1_3repE0EEENS1_30default_config_static_selectorELNS0_4arch9wavefront6targetE1EEEvT1_, .Lfunc_end1413-_ZN7rocprim17ROCPRIM_400000_NS6detail17trampoline_kernelINS0_14default_configENS1_25transform_config_selectorIlLb0EEEZNS1_14transform_implILb0ES3_S5_NS0_18transform_iteratorINS0_17counting_iteratorImlEEZNS1_24adjacent_difference_implIS3_Lb1ELb0EPlSB_ZN2at6native12_GLOBAL__N_124unique_dim_cuda_templateItEESt5tupleIJNSC_6TensorESH_SH_EERKSH_lbbbEUlllE1_EE10hipError_tPvRmT2_T3_mT4_P12ihipStream_tbEUlmE_lEESB_NS0_8identityIvEEEESM_SP_SQ_mSR_ST_bEUlT_E_NS1_11comp_targetILNS1_3genE4ELNS1_11target_archE910ELNS1_3gpuE8ELNS1_3repE0EEENS1_30default_config_static_selectorELNS0_4arch9wavefront6targetE1EEEvT1_
                                        ; -- End function
	.section	.AMDGPU.csdata,"",@progbits
; Kernel info:
; codeLenInByte = 0
; NumSgprs: 6
; NumVgprs: 0
; NumAgprs: 0
; TotalNumVgprs: 0
; ScratchSize: 0
; MemoryBound: 0
; FloatMode: 240
; IeeeMode: 1
; LDSByteSize: 0 bytes/workgroup (compile time only)
; SGPRBlocks: 0
; VGPRBlocks: 0
; NumSGPRsForWavesPerEU: 6
; NumVGPRsForWavesPerEU: 1
; AccumOffset: 4
; Occupancy: 8
; WaveLimiterHint : 0
; COMPUTE_PGM_RSRC2:SCRATCH_EN: 0
; COMPUTE_PGM_RSRC2:USER_SGPR: 2
; COMPUTE_PGM_RSRC2:TRAP_HANDLER: 0
; COMPUTE_PGM_RSRC2:TGID_X_EN: 1
; COMPUTE_PGM_RSRC2:TGID_Y_EN: 0
; COMPUTE_PGM_RSRC2:TGID_Z_EN: 0
; COMPUTE_PGM_RSRC2:TIDIG_COMP_CNT: 0
; COMPUTE_PGM_RSRC3_GFX90A:ACCUM_OFFSET: 0
; COMPUTE_PGM_RSRC3_GFX90A:TG_SPLIT: 0
	.section	.text._ZN7rocprim17ROCPRIM_400000_NS6detail17trampoline_kernelINS0_14default_configENS1_25transform_config_selectorIlLb0EEEZNS1_14transform_implILb0ES3_S5_NS0_18transform_iteratorINS0_17counting_iteratorImlEEZNS1_24adjacent_difference_implIS3_Lb1ELb0EPlSB_ZN2at6native12_GLOBAL__N_124unique_dim_cuda_templateItEESt5tupleIJNSC_6TensorESH_SH_EERKSH_lbbbEUlllE1_EE10hipError_tPvRmT2_T3_mT4_P12ihipStream_tbEUlmE_lEESB_NS0_8identityIvEEEESM_SP_SQ_mSR_ST_bEUlT_E_NS1_11comp_targetILNS1_3genE3ELNS1_11target_archE908ELNS1_3gpuE7ELNS1_3repE0EEENS1_30default_config_static_selectorELNS0_4arch9wavefront6targetE1EEEvT1_,"axG",@progbits,_ZN7rocprim17ROCPRIM_400000_NS6detail17trampoline_kernelINS0_14default_configENS1_25transform_config_selectorIlLb0EEEZNS1_14transform_implILb0ES3_S5_NS0_18transform_iteratorINS0_17counting_iteratorImlEEZNS1_24adjacent_difference_implIS3_Lb1ELb0EPlSB_ZN2at6native12_GLOBAL__N_124unique_dim_cuda_templateItEESt5tupleIJNSC_6TensorESH_SH_EERKSH_lbbbEUlllE1_EE10hipError_tPvRmT2_T3_mT4_P12ihipStream_tbEUlmE_lEESB_NS0_8identityIvEEEESM_SP_SQ_mSR_ST_bEUlT_E_NS1_11comp_targetILNS1_3genE3ELNS1_11target_archE908ELNS1_3gpuE7ELNS1_3repE0EEENS1_30default_config_static_selectorELNS0_4arch9wavefront6targetE1EEEvT1_,comdat
	.globl	_ZN7rocprim17ROCPRIM_400000_NS6detail17trampoline_kernelINS0_14default_configENS1_25transform_config_selectorIlLb0EEEZNS1_14transform_implILb0ES3_S5_NS0_18transform_iteratorINS0_17counting_iteratorImlEEZNS1_24adjacent_difference_implIS3_Lb1ELb0EPlSB_ZN2at6native12_GLOBAL__N_124unique_dim_cuda_templateItEESt5tupleIJNSC_6TensorESH_SH_EERKSH_lbbbEUlllE1_EE10hipError_tPvRmT2_T3_mT4_P12ihipStream_tbEUlmE_lEESB_NS0_8identityIvEEEESM_SP_SQ_mSR_ST_bEUlT_E_NS1_11comp_targetILNS1_3genE3ELNS1_11target_archE908ELNS1_3gpuE7ELNS1_3repE0EEENS1_30default_config_static_selectorELNS0_4arch9wavefront6targetE1EEEvT1_ ; -- Begin function _ZN7rocprim17ROCPRIM_400000_NS6detail17trampoline_kernelINS0_14default_configENS1_25transform_config_selectorIlLb0EEEZNS1_14transform_implILb0ES3_S5_NS0_18transform_iteratorINS0_17counting_iteratorImlEEZNS1_24adjacent_difference_implIS3_Lb1ELb0EPlSB_ZN2at6native12_GLOBAL__N_124unique_dim_cuda_templateItEESt5tupleIJNSC_6TensorESH_SH_EERKSH_lbbbEUlllE1_EE10hipError_tPvRmT2_T3_mT4_P12ihipStream_tbEUlmE_lEESB_NS0_8identityIvEEEESM_SP_SQ_mSR_ST_bEUlT_E_NS1_11comp_targetILNS1_3genE3ELNS1_11target_archE908ELNS1_3gpuE7ELNS1_3repE0EEENS1_30default_config_static_selectorELNS0_4arch9wavefront6targetE1EEEvT1_
	.p2align	8
	.type	_ZN7rocprim17ROCPRIM_400000_NS6detail17trampoline_kernelINS0_14default_configENS1_25transform_config_selectorIlLb0EEEZNS1_14transform_implILb0ES3_S5_NS0_18transform_iteratorINS0_17counting_iteratorImlEEZNS1_24adjacent_difference_implIS3_Lb1ELb0EPlSB_ZN2at6native12_GLOBAL__N_124unique_dim_cuda_templateItEESt5tupleIJNSC_6TensorESH_SH_EERKSH_lbbbEUlllE1_EE10hipError_tPvRmT2_T3_mT4_P12ihipStream_tbEUlmE_lEESB_NS0_8identityIvEEEESM_SP_SQ_mSR_ST_bEUlT_E_NS1_11comp_targetILNS1_3genE3ELNS1_11target_archE908ELNS1_3gpuE7ELNS1_3repE0EEENS1_30default_config_static_selectorELNS0_4arch9wavefront6targetE1EEEvT1_,@function
_ZN7rocprim17ROCPRIM_400000_NS6detail17trampoline_kernelINS0_14default_configENS1_25transform_config_selectorIlLb0EEEZNS1_14transform_implILb0ES3_S5_NS0_18transform_iteratorINS0_17counting_iteratorImlEEZNS1_24adjacent_difference_implIS3_Lb1ELb0EPlSB_ZN2at6native12_GLOBAL__N_124unique_dim_cuda_templateItEESt5tupleIJNSC_6TensorESH_SH_EERKSH_lbbbEUlllE1_EE10hipError_tPvRmT2_T3_mT4_P12ihipStream_tbEUlmE_lEESB_NS0_8identityIvEEEESM_SP_SQ_mSR_ST_bEUlT_E_NS1_11comp_targetILNS1_3genE3ELNS1_11target_archE908ELNS1_3gpuE7ELNS1_3repE0EEENS1_30default_config_static_selectorELNS0_4arch9wavefront6targetE1EEEvT1_: ; @_ZN7rocprim17ROCPRIM_400000_NS6detail17trampoline_kernelINS0_14default_configENS1_25transform_config_selectorIlLb0EEEZNS1_14transform_implILb0ES3_S5_NS0_18transform_iteratorINS0_17counting_iteratorImlEEZNS1_24adjacent_difference_implIS3_Lb1ELb0EPlSB_ZN2at6native12_GLOBAL__N_124unique_dim_cuda_templateItEESt5tupleIJNSC_6TensorESH_SH_EERKSH_lbbbEUlllE1_EE10hipError_tPvRmT2_T3_mT4_P12ihipStream_tbEUlmE_lEESB_NS0_8identityIvEEEESM_SP_SQ_mSR_ST_bEUlT_E_NS1_11comp_targetILNS1_3genE3ELNS1_11target_archE908ELNS1_3gpuE7ELNS1_3repE0EEENS1_30default_config_static_selectorELNS0_4arch9wavefront6targetE1EEEvT1_
; %bb.0:
	.section	.rodata,"a",@progbits
	.p2align	6, 0x0
	.amdhsa_kernel _ZN7rocprim17ROCPRIM_400000_NS6detail17trampoline_kernelINS0_14default_configENS1_25transform_config_selectorIlLb0EEEZNS1_14transform_implILb0ES3_S5_NS0_18transform_iteratorINS0_17counting_iteratorImlEEZNS1_24adjacent_difference_implIS3_Lb1ELb0EPlSB_ZN2at6native12_GLOBAL__N_124unique_dim_cuda_templateItEESt5tupleIJNSC_6TensorESH_SH_EERKSH_lbbbEUlllE1_EE10hipError_tPvRmT2_T3_mT4_P12ihipStream_tbEUlmE_lEESB_NS0_8identityIvEEEESM_SP_SQ_mSR_ST_bEUlT_E_NS1_11comp_targetILNS1_3genE3ELNS1_11target_archE908ELNS1_3gpuE7ELNS1_3repE0EEENS1_30default_config_static_selectorELNS0_4arch9wavefront6targetE1EEEvT1_
		.amdhsa_group_segment_fixed_size 0
		.amdhsa_private_segment_fixed_size 0
		.amdhsa_kernarg_size 56
		.amdhsa_user_sgpr_count 2
		.amdhsa_user_sgpr_dispatch_ptr 0
		.amdhsa_user_sgpr_queue_ptr 0
		.amdhsa_user_sgpr_kernarg_segment_ptr 1
		.amdhsa_user_sgpr_dispatch_id 0
		.amdhsa_user_sgpr_kernarg_preload_length 0
		.amdhsa_user_sgpr_kernarg_preload_offset 0
		.amdhsa_user_sgpr_private_segment_size 0
		.amdhsa_uses_dynamic_stack 0
		.amdhsa_enable_private_segment 0
		.amdhsa_system_sgpr_workgroup_id_x 1
		.amdhsa_system_sgpr_workgroup_id_y 0
		.amdhsa_system_sgpr_workgroup_id_z 0
		.amdhsa_system_sgpr_workgroup_info 0
		.amdhsa_system_vgpr_workitem_id 0
		.amdhsa_next_free_vgpr 1
		.amdhsa_next_free_sgpr 0
		.amdhsa_accum_offset 4
		.amdhsa_reserve_vcc 0
		.amdhsa_float_round_mode_32 0
		.amdhsa_float_round_mode_16_64 0
		.amdhsa_float_denorm_mode_32 3
		.amdhsa_float_denorm_mode_16_64 3
		.amdhsa_dx10_clamp 1
		.amdhsa_ieee_mode 1
		.amdhsa_fp16_overflow 0
		.amdhsa_tg_split 0
		.amdhsa_exception_fp_ieee_invalid_op 0
		.amdhsa_exception_fp_denorm_src 0
		.amdhsa_exception_fp_ieee_div_zero 0
		.amdhsa_exception_fp_ieee_overflow 0
		.amdhsa_exception_fp_ieee_underflow 0
		.amdhsa_exception_fp_ieee_inexact 0
		.amdhsa_exception_int_div_zero 0
	.end_amdhsa_kernel
	.section	.text._ZN7rocprim17ROCPRIM_400000_NS6detail17trampoline_kernelINS0_14default_configENS1_25transform_config_selectorIlLb0EEEZNS1_14transform_implILb0ES3_S5_NS0_18transform_iteratorINS0_17counting_iteratorImlEEZNS1_24adjacent_difference_implIS3_Lb1ELb0EPlSB_ZN2at6native12_GLOBAL__N_124unique_dim_cuda_templateItEESt5tupleIJNSC_6TensorESH_SH_EERKSH_lbbbEUlllE1_EE10hipError_tPvRmT2_T3_mT4_P12ihipStream_tbEUlmE_lEESB_NS0_8identityIvEEEESM_SP_SQ_mSR_ST_bEUlT_E_NS1_11comp_targetILNS1_3genE3ELNS1_11target_archE908ELNS1_3gpuE7ELNS1_3repE0EEENS1_30default_config_static_selectorELNS0_4arch9wavefront6targetE1EEEvT1_,"axG",@progbits,_ZN7rocprim17ROCPRIM_400000_NS6detail17trampoline_kernelINS0_14default_configENS1_25transform_config_selectorIlLb0EEEZNS1_14transform_implILb0ES3_S5_NS0_18transform_iteratorINS0_17counting_iteratorImlEEZNS1_24adjacent_difference_implIS3_Lb1ELb0EPlSB_ZN2at6native12_GLOBAL__N_124unique_dim_cuda_templateItEESt5tupleIJNSC_6TensorESH_SH_EERKSH_lbbbEUlllE1_EE10hipError_tPvRmT2_T3_mT4_P12ihipStream_tbEUlmE_lEESB_NS0_8identityIvEEEESM_SP_SQ_mSR_ST_bEUlT_E_NS1_11comp_targetILNS1_3genE3ELNS1_11target_archE908ELNS1_3gpuE7ELNS1_3repE0EEENS1_30default_config_static_selectorELNS0_4arch9wavefront6targetE1EEEvT1_,comdat
.Lfunc_end1414:
	.size	_ZN7rocprim17ROCPRIM_400000_NS6detail17trampoline_kernelINS0_14default_configENS1_25transform_config_selectorIlLb0EEEZNS1_14transform_implILb0ES3_S5_NS0_18transform_iteratorINS0_17counting_iteratorImlEEZNS1_24adjacent_difference_implIS3_Lb1ELb0EPlSB_ZN2at6native12_GLOBAL__N_124unique_dim_cuda_templateItEESt5tupleIJNSC_6TensorESH_SH_EERKSH_lbbbEUlllE1_EE10hipError_tPvRmT2_T3_mT4_P12ihipStream_tbEUlmE_lEESB_NS0_8identityIvEEEESM_SP_SQ_mSR_ST_bEUlT_E_NS1_11comp_targetILNS1_3genE3ELNS1_11target_archE908ELNS1_3gpuE7ELNS1_3repE0EEENS1_30default_config_static_selectorELNS0_4arch9wavefront6targetE1EEEvT1_, .Lfunc_end1414-_ZN7rocprim17ROCPRIM_400000_NS6detail17trampoline_kernelINS0_14default_configENS1_25transform_config_selectorIlLb0EEEZNS1_14transform_implILb0ES3_S5_NS0_18transform_iteratorINS0_17counting_iteratorImlEEZNS1_24adjacent_difference_implIS3_Lb1ELb0EPlSB_ZN2at6native12_GLOBAL__N_124unique_dim_cuda_templateItEESt5tupleIJNSC_6TensorESH_SH_EERKSH_lbbbEUlllE1_EE10hipError_tPvRmT2_T3_mT4_P12ihipStream_tbEUlmE_lEESB_NS0_8identityIvEEEESM_SP_SQ_mSR_ST_bEUlT_E_NS1_11comp_targetILNS1_3genE3ELNS1_11target_archE908ELNS1_3gpuE7ELNS1_3repE0EEENS1_30default_config_static_selectorELNS0_4arch9wavefront6targetE1EEEvT1_
                                        ; -- End function
	.section	.AMDGPU.csdata,"",@progbits
; Kernel info:
; codeLenInByte = 0
; NumSgprs: 6
; NumVgprs: 0
; NumAgprs: 0
; TotalNumVgprs: 0
; ScratchSize: 0
; MemoryBound: 0
; FloatMode: 240
; IeeeMode: 1
; LDSByteSize: 0 bytes/workgroup (compile time only)
; SGPRBlocks: 0
; VGPRBlocks: 0
; NumSGPRsForWavesPerEU: 6
; NumVGPRsForWavesPerEU: 1
; AccumOffset: 4
; Occupancy: 8
; WaveLimiterHint : 0
; COMPUTE_PGM_RSRC2:SCRATCH_EN: 0
; COMPUTE_PGM_RSRC2:USER_SGPR: 2
; COMPUTE_PGM_RSRC2:TRAP_HANDLER: 0
; COMPUTE_PGM_RSRC2:TGID_X_EN: 1
; COMPUTE_PGM_RSRC2:TGID_Y_EN: 0
; COMPUTE_PGM_RSRC2:TGID_Z_EN: 0
; COMPUTE_PGM_RSRC2:TIDIG_COMP_CNT: 0
; COMPUTE_PGM_RSRC3_GFX90A:ACCUM_OFFSET: 0
; COMPUTE_PGM_RSRC3_GFX90A:TG_SPLIT: 0
	.section	.text._ZN7rocprim17ROCPRIM_400000_NS6detail17trampoline_kernelINS0_14default_configENS1_25transform_config_selectorIlLb0EEEZNS1_14transform_implILb0ES3_S5_NS0_18transform_iteratorINS0_17counting_iteratorImlEEZNS1_24adjacent_difference_implIS3_Lb1ELb0EPlSB_ZN2at6native12_GLOBAL__N_124unique_dim_cuda_templateItEESt5tupleIJNSC_6TensorESH_SH_EERKSH_lbbbEUlllE1_EE10hipError_tPvRmT2_T3_mT4_P12ihipStream_tbEUlmE_lEESB_NS0_8identityIvEEEESM_SP_SQ_mSR_ST_bEUlT_E_NS1_11comp_targetILNS1_3genE2ELNS1_11target_archE906ELNS1_3gpuE6ELNS1_3repE0EEENS1_30default_config_static_selectorELNS0_4arch9wavefront6targetE1EEEvT1_,"axG",@progbits,_ZN7rocprim17ROCPRIM_400000_NS6detail17trampoline_kernelINS0_14default_configENS1_25transform_config_selectorIlLb0EEEZNS1_14transform_implILb0ES3_S5_NS0_18transform_iteratorINS0_17counting_iteratorImlEEZNS1_24adjacent_difference_implIS3_Lb1ELb0EPlSB_ZN2at6native12_GLOBAL__N_124unique_dim_cuda_templateItEESt5tupleIJNSC_6TensorESH_SH_EERKSH_lbbbEUlllE1_EE10hipError_tPvRmT2_T3_mT4_P12ihipStream_tbEUlmE_lEESB_NS0_8identityIvEEEESM_SP_SQ_mSR_ST_bEUlT_E_NS1_11comp_targetILNS1_3genE2ELNS1_11target_archE906ELNS1_3gpuE6ELNS1_3repE0EEENS1_30default_config_static_selectorELNS0_4arch9wavefront6targetE1EEEvT1_,comdat
	.globl	_ZN7rocprim17ROCPRIM_400000_NS6detail17trampoline_kernelINS0_14default_configENS1_25transform_config_selectorIlLb0EEEZNS1_14transform_implILb0ES3_S5_NS0_18transform_iteratorINS0_17counting_iteratorImlEEZNS1_24adjacent_difference_implIS3_Lb1ELb0EPlSB_ZN2at6native12_GLOBAL__N_124unique_dim_cuda_templateItEESt5tupleIJNSC_6TensorESH_SH_EERKSH_lbbbEUlllE1_EE10hipError_tPvRmT2_T3_mT4_P12ihipStream_tbEUlmE_lEESB_NS0_8identityIvEEEESM_SP_SQ_mSR_ST_bEUlT_E_NS1_11comp_targetILNS1_3genE2ELNS1_11target_archE906ELNS1_3gpuE6ELNS1_3repE0EEENS1_30default_config_static_selectorELNS0_4arch9wavefront6targetE1EEEvT1_ ; -- Begin function _ZN7rocprim17ROCPRIM_400000_NS6detail17trampoline_kernelINS0_14default_configENS1_25transform_config_selectorIlLb0EEEZNS1_14transform_implILb0ES3_S5_NS0_18transform_iteratorINS0_17counting_iteratorImlEEZNS1_24adjacent_difference_implIS3_Lb1ELb0EPlSB_ZN2at6native12_GLOBAL__N_124unique_dim_cuda_templateItEESt5tupleIJNSC_6TensorESH_SH_EERKSH_lbbbEUlllE1_EE10hipError_tPvRmT2_T3_mT4_P12ihipStream_tbEUlmE_lEESB_NS0_8identityIvEEEESM_SP_SQ_mSR_ST_bEUlT_E_NS1_11comp_targetILNS1_3genE2ELNS1_11target_archE906ELNS1_3gpuE6ELNS1_3repE0EEENS1_30default_config_static_selectorELNS0_4arch9wavefront6targetE1EEEvT1_
	.p2align	8
	.type	_ZN7rocprim17ROCPRIM_400000_NS6detail17trampoline_kernelINS0_14default_configENS1_25transform_config_selectorIlLb0EEEZNS1_14transform_implILb0ES3_S5_NS0_18transform_iteratorINS0_17counting_iteratorImlEEZNS1_24adjacent_difference_implIS3_Lb1ELb0EPlSB_ZN2at6native12_GLOBAL__N_124unique_dim_cuda_templateItEESt5tupleIJNSC_6TensorESH_SH_EERKSH_lbbbEUlllE1_EE10hipError_tPvRmT2_T3_mT4_P12ihipStream_tbEUlmE_lEESB_NS0_8identityIvEEEESM_SP_SQ_mSR_ST_bEUlT_E_NS1_11comp_targetILNS1_3genE2ELNS1_11target_archE906ELNS1_3gpuE6ELNS1_3repE0EEENS1_30default_config_static_selectorELNS0_4arch9wavefront6targetE1EEEvT1_,@function
_ZN7rocprim17ROCPRIM_400000_NS6detail17trampoline_kernelINS0_14default_configENS1_25transform_config_selectorIlLb0EEEZNS1_14transform_implILb0ES3_S5_NS0_18transform_iteratorINS0_17counting_iteratorImlEEZNS1_24adjacent_difference_implIS3_Lb1ELb0EPlSB_ZN2at6native12_GLOBAL__N_124unique_dim_cuda_templateItEESt5tupleIJNSC_6TensorESH_SH_EERKSH_lbbbEUlllE1_EE10hipError_tPvRmT2_T3_mT4_P12ihipStream_tbEUlmE_lEESB_NS0_8identityIvEEEESM_SP_SQ_mSR_ST_bEUlT_E_NS1_11comp_targetILNS1_3genE2ELNS1_11target_archE906ELNS1_3gpuE6ELNS1_3repE0EEENS1_30default_config_static_selectorELNS0_4arch9wavefront6targetE1EEEvT1_: ; @_ZN7rocprim17ROCPRIM_400000_NS6detail17trampoline_kernelINS0_14default_configENS1_25transform_config_selectorIlLb0EEEZNS1_14transform_implILb0ES3_S5_NS0_18transform_iteratorINS0_17counting_iteratorImlEEZNS1_24adjacent_difference_implIS3_Lb1ELb0EPlSB_ZN2at6native12_GLOBAL__N_124unique_dim_cuda_templateItEESt5tupleIJNSC_6TensorESH_SH_EERKSH_lbbbEUlllE1_EE10hipError_tPvRmT2_T3_mT4_P12ihipStream_tbEUlmE_lEESB_NS0_8identityIvEEEESM_SP_SQ_mSR_ST_bEUlT_E_NS1_11comp_targetILNS1_3genE2ELNS1_11target_archE906ELNS1_3gpuE6ELNS1_3repE0EEENS1_30default_config_static_selectorELNS0_4arch9wavefront6targetE1EEEvT1_
; %bb.0:
	.section	.rodata,"a",@progbits
	.p2align	6, 0x0
	.amdhsa_kernel _ZN7rocprim17ROCPRIM_400000_NS6detail17trampoline_kernelINS0_14default_configENS1_25transform_config_selectorIlLb0EEEZNS1_14transform_implILb0ES3_S5_NS0_18transform_iteratorINS0_17counting_iteratorImlEEZNS1_24adjacent_difference_implIS3_Lb1ELb0EPlSB_ZN2at6native12_GLOBAL__N_124unique_dim_cuda_templateItEESt5tupleIJNSC_6TensorESH_SH_EERKSH_lbbbEUlllE1_EE10hipError_tPvRmT2_T3_mT4_P12ihipStream_tbEUlmE_lEESB_NS0_8identityIvEEEESM_SP_SQ_mSR_ST_bEUlT_E_NS1_11comp_targetILNS1_3genE2ELNS1_11target_archE906ELNS1_3gpuE6ELNS1_3repE0EEENS1_30default_config_static_selectorELNS0_4arch9wavefront6targetE1EEEvT1_
		.amdhsa_group_segment_fixed_size 0
		.amdhsa_private_segment_fixed_size 0
		.amdhsa_kernarg_size 56
		.amdhsa_user_sgpr_count 2
		.amdhsa_user_sgpr_dispatch_ptr 0
		.amdhsa_user_sgpr_queue_ptr 0
		.amdhsa_user_sgpr_kernarg_segment_ptr 1
		.amdhsa_user_sgpr_dispatch_id 0
		.amdhsa_user_sgpr_kernarg_preload_length 0
		.amdhsa_user_sgpr_kernarg_preload_offset 0
		.amdhsa_user_sgpr_private_segment_size 0
		.amdhsa_uses_dynamic_stack 0
		.amdhsa_enable_private_segment 0
		.amdhsa_system_sgpr_workgroup_id_x 1
		.amdhsa_system_sgpr_workgroup_id_y 0
		.amdhsa_system_sgpr_workgroup_id_z 0
		.amdhsa_system_sgpr_workgroup_info 0
		.amdhsa_system_vgpr_workitem_id 0
		.amdhsa_next_free_vgpr 1
		.amdhsa_next_free_sgpr 0
		.amdhsa_accum_offset 4
		.amdhsa_reserve_vcc 0
		.amdhsa_float_round_mode_32 0
		.amdhsa_float_round_mode_16_64 0
		.amdhsa_float_denorm_mode_32 3
		.amdhsa_float_denorm_mode_16_64 3
		.amdhsa_dx10_clamp 1
		.amdhsa_ieee_mode 1
		.amdhsa_fp16_overflow 0
		.amdhsa_tg_split 0
		.amdhsa_exception_fp_ieee_invalid_op 0
		.amdhsa_exception_fp_denorm_src 0
		.amdhsa_exception_fp_ieee_div_zero 0
		.amdhsa_exception_fp_ieee_overflow 0
		.amdhsa_exception_fp_ieee_underflow 0
		.amdhsa_exception_fp_ieee_inexact 0
		.amdhsa_exception_int_div_zero 0
	.end_amdhsa_kernel
	.section	.text._ZN7rocprim17ROCPRIM_400000_NS6detail17trampoline_kernelINS0_14default_configENS1_25transform_config_selectorIlLb0EEEZNS1_14transform_implILb0ES3_S5_NS0_18transform_iteratorINS0_17counting_iteratorImlEEZNS1_24adjacent_difference_implIS3_Lb1ELb0EPlSB_ZN2at6native12_GLOBAL__N_124unique_dim_cuda_templateItEESt5tupleIJNSC_6TensorESH_SH_EERKSH_lbbbEUlllE1_EE10hipError_tPvRmT2_T3_mT4_P12ihipStream_tbEUlmE_lEESB_NS0_8identityIvEEEESM_SP_SQ_mSR_ST_bEUlT_E_NS1_11comp_targetILNS1_3genE2ELNS1_11target_archE906ELNS1_3gpuE6ELNS1_3repE0EEENS1_30default_config_static_selectorELNS0_4arch9wavefront6targetE1EEEvT1_,"axG",@progbits,_ZN7rocprim17ROCPRIM_400000_NS6detail17trampoline_kernelINS0_14default_configENS1_25transform_config_selectorIlLb0EEEZNS1_14transform_implILb0ES3_S5_NS0_18transform_iteratorINS0_17counting_iteratorImlEEZNS1_24adjacent_difference_implIS3_Lb1ELb0EPlSB_ZN2at6native12_GLOBAL__N_124unique_dim_cuda_templateItEESt5tupleIJNSC_6TensorESH_SH_EERKSH_lbbbEUlllE1_EE10hipError_tPvRmT2_T3_mT4_P12ihipStream_tbEUlmE_lEESB_NS0_8identityIvEEEESM_SP_SQ_mSR_ST_bEUlT_E_NS1_11comp_targetILNS1_3genE2ELNS1_11target_archE906ELNS1_3gpuE6ELNS1_3repE0EEENS1_30default_config_static_selectorELNS0_4arch9wavefront6targetE1EEEvT1_,comdat
.Lfunc_end1415:
	.size	_ZN7rocprim17ROCPRIM_400000_NS6detail17trampoline_kernelINS0_14default_configENS1_25transform_config_selectorIlLb0EEEZNS1_14transform_implILb0ES3_S5_NS0_18transform_iteratorINS0_17counting_iteratorImlEEZNS1_24adjacent_difference_implIS3_Lb1ELb0EPlSB_ZN2at6native12_GLOBAL__N_124unique_dim_cuda_templateItEESt5tupleIJNSC_6TensorESH_SH_EERKSH_lbbbEUlllE1_EE10hipError_tPvRmT2_T3_mT4_P12ihipStream_tbEUlmE_lEESB_NS0_8identityIvEEEESM_SP_SQ_mSR_ST_bEUlT_E_NS1_11comp_targetILNS1_3genE2ELNS1_11target_archE906ELNS1_3gpuE6ELNS1_3repE0EEENS1_30default_config_static_selectorELNS0_4arch9wavefront6targetE1EEEvT1_, .Lfunc_end1415-_ZN7rocprim17ROCPRIM_400000_NS6detail17trampoline_kernelINS0_14default_configENS1_25transform_config_selectorIlLb0EEEZNS1_14transform_implILb0ES3_S5_NS0_18transform_iteratorINS0_17counting_iteratorImlEEZNS1_24adjacent_difference_implIS3_Lb1ELb0EPlSB_ZN2at6native12_GLOBAL__N_124unique_dim_cuda_templateItEESt5tupleIJNSC_6TensorESH_SH_EERKSH_lbbbEUlllE1_EE10hipError_tPvRmT2_T3_mT4_P12ihipStream_tbEUlmE_lEESB_NS0_8identityIvEEEESM_SP_SQ_mSR_ST_bEUlT_E_NS1_11comp_targetILNS1_3genE2ELNS1_11target_archE906ELNS1_3gpuE6ELNS1_3repE0EEENS1_30default_config_static_selectorELNS0_4arch9wavefront6targetE1EEEvT1_
                                        ; -- End function
	.section	.AMDGPU.csdata,"",@progbits
; Kernel info:
; codeLenInByte = 0
; NumSgprs: 6
; NumVgprs: 0
; NumAgprs: 0
; TotalNumVgprs: 0
; ScratchSize: 0
; MemoryBound: 0
; FloatMode: 240
; IeeeMode: 1
; LDSByteSize: 0 bytes/workgroup (compile time only)
; SGPRBlocks: 0
; VGPRBlocks: 0
; NumSGPRsForWavesPerEU: 6
; NumVGPRsForWavesPerEU: 1
; AccumOffset: 4
; Occupancy: 8
; WaveLimiterHint : 0
; COMPUTE_PGM_RSRC2:SCRATCH_EN: 0
; COMPUTE_PGM_RSRC2:USER_SGPR: 2
; COMPUTE_PGM_RSRC2:TRAP_HANDLER: 0
; COMPUTE_PGM_RSRC2:TGID_X_EN: 1
; COMPUTE_PGM_RSRC2:TGID_Y_EN: 0
; COMPUTE_PGM_RSRC2:TGID_Z_EN: 0
; COMPUTE_PGM_RSRC2:TIDIG_COMP_CNT: 0
; COMPUTE_PGM_RSRC3_GFX90A:ACCUM_OFFSET: 0
; COMPUTE_PGM_RSRC3_GFX90A:TG_SPLIT: 0
	.section	.text._ZN7rocprim17ROCPRIM_400000_NS6detail17trampoline_kernelINS0_14default_configENS1_25transform_config_selectorIlLb0EEEZNS1_14transform_implILb0ES3_S5_NS0_18transform_iteratorINS0_17counting_iteratorImlEEZNS1_24adjacent_difference_implIS3_Lb1ELb0EPlSB_ZN2at6native12_GLOBAL__N_124unique_dim_cuda_templateItEESt5tupleIJNSC_6TensorESH_SH_EERKSH_lbbbEUlllE1_EE10hipError_tPvRmT2_T3_mT4_P12ihipStream_tbEUlmE_lEESB_NS0_8identityIvEEEESM_SP_SQ_mSR_ST_bEUlT_E_NS1_11comp_targetILNS1_3genE10ELNS1_11target_archE1201ELNS1_3gpuE5ELNS1_3repE0EEENS1_30default_config_static_selectorELNS0_4arch9wavefront6targetE1EEEvT1_,"axG",@progbits,_ZN7rocprim17ROCPRIM_400000_NS6detail17trampoline_kernelINS0_14default_configENS1_25transform_config_selectorIlLb0EEEZNS1_14transform_implILb0ES3_S5_NS0_18transform_iteratorINS0_17counting_iteratorImlEEZNS1_24adjacent_difference_implIS3_Lb1ELb0EPlSB_ZN2at6native12_GLOBAL__N_124unique_dim_cuda_templateItEESt5tupleIJNSC_6TensorESH_SH_EERKSH_lbbbEUlllE1_EE10hipError_tPvRmT2_T3_mT4_P12ihipStream_tbEUlmE_lEESB_NS0_8identityIvEEEESM_SP_SQ_mSR_ST_bEUlT_E_NS1_11comp_targetILNS1_3genE10ELNS1_11target_archE1201ELNS1_3gpuE5ELNS1_3repE0EEENS1_30default_config_static_selectorELNS0_4arch9wavefront6targetE1EEEvT1_,comdat
	.globl	_ZN7rocprim17ROCPRIM_400000_NS6detail17trampoline_kernelINS0_14default_configENS1_25transform_config_selectorIlLb0EEEZNS1_14transform_implILb0ES3_S5_NS0_18transform_iteratorINS0_17counting_iteratorImlEEZNS1_24adjacent_difference_implIS3_Lb1ELb0EPlSB_ZN2at6native12_GLOBAL__N_124unique_dim_cuda_templateItEESt5tupleIJNSC_6TensorESH_SH_EERKSH_lbbbEUlllE1_EE10hipError_tPvRmT2_T3_mT4_P12ihipStream_tbEUlmE_lEESB_NS0_8identityIvEEEESM_SP_SQ_mSR_ST_bEUlT_E_NS1_11comp_targetILNS1_3genE10ELNS1_11target_archE1201ELNS1_3gpuE5ELNS1_3repE0EEENS1_30default_config_static_selectorELNS0_4arch9wavefront6targetE1EEEvT1_ ; -- Begin function _ZN7rocprim17ROCPRIM_400000_NS6detail17trampoline_kernelINS0_14default_configENS1_25transform_config_selectorIlLb0EEEZNS1_14transform_implILb0ES3_S5_NS0_18transform_iteratorINS0_17counting_iteratorImlEEZNS1_24adjacent_difference_implIS3_Lb1ELb0EPlSB_ZN2at6native12_GLOBAL__N_124unique_dim_cuda_templateItEESt5tupleIJNSC_6TensorESH_SH_EERKSH_lbbbEUlllE1_EE10hipError_tPvRmT2_T3_mT4_P12ihipStream_tbEUlmE_lEESB_NS0_8identityIvEEEESM_SP_SQ_mSR_ST_bEUlT_E_NS1_11comp_targetILNS1_3genE10ELNS1_11target_archE1201ELNS1_3gpuE5ELNS1_3repE0EEENS1_30default_config_static_selectorELNS0_4arch9wavefront6targetE1EEEvT1_
	.p2align	8
	.type	_ZN7rocprim17ROCPRIM_400000_NS6detail17trampoline_kernelINS0_14default_configENS1_25transform_config_selectorIlLb0EEEZNS1_14transform_implILb0ES3_S5_NS0_18transform_iteratorINS0_17counting_iteratorImlEEZNS1_24adjacent_difference_implIS3_Lb1ELb0EPlSB_ZN2at6native12_GLOBAL__N_124unique_dim_cuda_templateItEESt5tupleIJNSC_6TensorESH_SH_EERKSH_lbbbEUlllE1_EE10hipError_tPvRmT2_T3_mT4_P12ihipStream_tbEUlmE_lEESB_NS0_8identityIvEEEESM_SP_SQ_mSR_ST_bEUlT_E_NS1_11comp_targetILNS1_3genE10ELNS1_11target_archE1201ELNS1_3gpuE5ELNS1_3repE0EEENS1_30default_config_static_selectorELNS0_4arch9wavefront6targetE1EEEvT1_,@function
_ZN7rocprim17ROCPRIM_400000_NS6detail17trampoline_kernelINS0_14default_configENS1_25transform_config_selectorIlLb0EEEZNS1_14transform_implILb0ES3_S5_NS0_18transform_iteratorINS0_17counting_iteratorImlEEZNS1_24adjacent_difference_implIS3_Lb1ELb0EPlSB_ZN2at6native12_GLOBAL__N_124unique_dim_cuda_templateItEESt5tupleIJNSC_6TensorESH_SH_EERKSH_lbbbEUlllE1_EE10hipError_tPvRmT2_T3_mT4_P12ihipStream_tbEUlmE_lEESB_NS0_8identityIvEEEESM_SP_SQ_mSR_ST_bEUlT_E_NS1_11comp_targetILNS1_3genE10ELNS1_11target_archE1201ELNS1_3gpuE5ELNS1_3repE0EEENS1_30default_config_static_selectorELNS0_4arch9wavefront6targetE1EEEvT1_: ; @_ZN7rocprim17ROCPRIM_400000_NS6detail17trampoline_kernelINS0_14default_configENS1_25transform_config_selectorIlLb0EEEZNS1_14transform_implILb0ES3_S5_NS0_18transform_iteratorINS0_17counting_iteratorImlEEZNS1_24adjacent_difference_implIS3_Lb1ELb0EPlSB_ZN2at6native12_GLOBAL__N_124unique_dim_cuda_templateItEESt5tupleIJNSC_6TensorESH_SH_EERKSH_lbbbEUlllE1_EE10hipError_tPvRmT2_T3_mT4_P12ihipStream_tbEUlmE_lEESB_NS0_8identityIvEEEESM_SP_SQ_mSR_ST_bEUlT_E_NS1_11comp_targetILNS1_3genE10ELNS1_11target_archE1201ELNS1_3gpuE5ELNS1_3repE0EEENS1_30default_config_static_selectorELNS0_4arch9wavefront6targetE1EEEvT1_
; %bb.0:
	.section	.rodata,"a",@progbits
	.p2align	6, 0x0
	.amdhsa_kernel _ZN7rocprim17ROCPRIM_400000_NS6detail17trampoline_kernelINS0_14default_configENS1_25transform_config_selectorIlLb0EEEZNS1_14transform_implILb0ES3_S5_NS0_18transform_iteratorINS0_17counting_iteratorImlEEZNS1_24adjacent_difference_implIS3_Lb1ELb0EPlSB_ZN2at6native12_GLOBAL__N_124unique_dim_cuda_templateItEESt5tupleIJNSC_6TensorESH_SH_EERKSH_lbbbEUlllE1_EE10hipError_tPvRmT2_T3_mT4_P12ihipStream_tbEUlmE_lEESB_NS0_8identityIvEEEESM_SP_SQ_mSR_ST_bEUlT_E_NS1_11comp_targetILNS1_3genE10ELNS1_11target_archE1201ELNS1_3gpuE5ELNS1_3repE0EEENS1_30default_config_static_selectorELNS0_4arch9wavefront6targetE1EEEvT1_
		.amdhsa_group_segment_fixed_size 0
		.amdhsa_private_segment_fixed_size 0
		.amdhsa_kernarg_size 56
		.amdhsa_user_sgpr_count 2
		.amdhsa_user_sgpr_dispatch_ptr 0
		.amdhsa_user_sgpr_queue_ptr 0
		.amdhsa_user_sgpr_kernarg_segment_ptr 1
		.amdhsa_user_sgpr_dispatch_id 0
		.amdhsa_user_sgpr_kernarg_preload_length 0
		.amdhsa_user_sgpr_kernarg_preload_offset 0
		.amdhsa_user_sgpr_private_segment_size 0
		.amdhsa_uses_dynamic_stack 0
		.amdhsa_enable_private_segment 0
		.amdhsa_system_sgpr_workgroup_id_x 1
		.amdhsa_system_sgpr_workgroup_id_y 0
		.amdhsa_system_sgpr_workgroup_id_z 0
		.amdhsa_system_sgpr_workgroup_info 0
		.amdhsa_system_vgpr_workitem_id 0
		.amdhsa_next_free_vgpr 1
		.amdhsa_next_free_sgpr 0
		.amdhsa_accum_offset 4
		.amdhsa_reserve_vcc 0
		.amdhsa_float_round_mode_32 0
		.amdhsa_float_round_mode_16_64 0
		.amdhsa_float_denorm_mode_32 3
		.amdhsa_float_denorm_mode_16_64 3
		.amdhsa_dx10_clamp 1
		.amdhsa_ieee_mode 1
		.amdhsa_fp16_overflow 0
		.amdhsa_tg_split 0
		.amdhsa_exception_fp_ieee_invalid_op 0
		.amdhsa_exception_fp_denorm_src 0
		.amdhsa_exception_fp_ieee_div_zero 0
		.amdhsa_exception_fp_ieee_overflow 0
		.amdhsa_exception_fp_ieee_underflow 0
		.amdhsa_exception_fp_ieee_inexact 0
		.amdhsa_exception_int_div_zero 0
	.end_amdhsa_kernel
	.section	.text._ZN7rocprim17ROCPRIM_400000_NS6detail17trampoline_kernelINS0_14default_configENS1_25transform_config_selectorIlLb0EEEZNS1_14transform_implILb0ES3_S5_NS0_18transform_iteratorINS0_17counting_iteratorImlEEZNS1_24adjacent_difference_implIS3_Lb1ELb0EPlSB_ZN2at6native12_GLOBAL__N_124unique_dim_cuda_templateItEESt5tupleIJNSC_6TensorESH_SH_EERKSH_lbbbEUlllE1_EE10hipError_tPvRmT2_T3_mT4_P12ihipStream_tbEUlmE_lEESB_NS0_8identityIvEEEESM_SP_SQ_mSR_ST_bEUlT_E_NS1_11comp_targetILNS1_3genE10ELNS1_11target_archE1201ELNS1_3gpuE5ELNS1_3repE0EEENS1_30default_config_static_selectorELNS0_4arch9wavefront6targetE1EEEvT1_,"axG",@progbits,_ZN7rocprim17ROCPRIM_400000_NS6detail17trampoline_kernelINS0_14default_configENS1_25transform_config_selectorIlLb0EEEZNS1_14transform_implILb0ES3_S5_NS0_18transform_iteratorINS0_17counting_iteratorImlEEZNS1_24adjacent_difference_implIS3_Lb1ELb0EPlSB_ZN2at6native12_GLOBAL__N_124unique_dim_cuda_templateItEESt5tupleIJNSC_6TensorESH_SH_EERKSH_lbbbEUlllE1_EE10hipError_tPvRmT2_T3_mT4_P12ihipStream_tbEUlmE_lEESB_NS0_8identityIvEEEESM_SP_SQ_mSR_ST_bEUlT_E_NS1_11comp_targetILNS1_3genE10ELNS1_11target_archE1201ELNS1_3gpuE5ELNS1_3repE0EEENS1_30default_config_static_selectorELNS0_4arch9wavefront6targetE1EEEvT1_,comdat
.Lfunc_end1416:
	.size	_ZN7rocprim17ROCPRIM_400000_NS6detail17trampoline_kernelINS0_14default_configENS1_25transform_config_selectorIlLb0EEEZNS1_14transform_implILb0ES3_S5_NS0_18transform_iteratorINS0_17counting_iteratorImlEEZNS1_24adjacent_difference_implIS3_Lb1ELb0EPlSB_ZN2at6native12_GLOBAL__N_124unique_dim_cuda_templateItEESt5tupleIJNSC_6TensorESH_SH_EERKSH_lbbbEUlllE1_EE10hipError_tPvRmT2_T3_mT4_P12ihipStream_tbEUlmE_lEESB_NS0_8identityIvEEEESM_SP_SQ_mSR_ST_bEUlT_E_NS1_11comp_targetILNS1_3genE10ELNS1_11target_archE1201ELNS1_3gpuE5ELNS1_3repE0EEENS1_30default_config_static_selectorELNS0_4arch9wavefront6targetE1EEEvT1_, .Lfunc_end1416-_ZN7rocprim17ROCPRIM_400000_NS6detail17trampoline_kernelINS0_14default_configENS1_25transform_config_selectorIlLb0EEEZNS1_14transform_implILb0ES3_S5_NS0_18transform_iteratorINS0_17counting_iteratorImlEEZNS1_24adjacent_difference_implIS3_Lb1ELb0EPlSB_ZN2at6native12_GLOBAL__N_124unique_dim_cuda_templateItEESt5tupleIJNSC_6TensorESH_SH_EERKSH_lbbbEUlllE1_EE10hipError_tPvRmT2_T3_mT4_P12ihipStream_tbEUlmE_lEESB_NS0_8identityIvEEEESM_SP_SQ_mSR_ST_bEUlT_E_NS1_11comp_targetILNS1_3genE10ELNS1_11target_archE1201ELNS1_3gpuE5ELNS1_3repE0EEENS1_30default_config_static_selectorELNS0_4arch9wavefront6targetE1EEEvT1_
                                        ; -- End function
	.section	.AMDGPU.csdata,"",@progbits
; Kernel info:
; codeLenInByte = 0
; NumSgprs: 6
; NumVgprs: 0
; NumAgprs: 0
; TotalNumVgprs: 0
; ScratchSize: 0
; MemoryBound: 0
; FloatMode: 240
; IeeeMode: 1
; LDSByteSize: 0 bytes/workgroup (compile time only)
; SGPRBlocks: 0
; VGPRBlocks: 0
; NumSGPRsForWavesPerEU: 6
; NumVGPRsForWavesPerEU: 1
; AccumOffset: 4
; Occupancy: 8
; WaveLimiterHint : 0
; COMPUTE_PGM_RSRC2:SCRATCH_EN: 0
; COMPUTE_PGM_RSRC2:USER_SGPR: 2
; COMPUTE_PGM_RSRC2:TRAP_HANDLER: 0
; COMPUTE_PGM_RSRC2:TGID_X_EN: 1
; COMPUTE_PGM_RSRC2:TGID_Y_EN: 0
; COMPUTE_PGM_RSRC2:TGID_Z_EN: 0
; COMPUTE_PGM_RSRC2:TIDIG_COMP_CNT: 0
; COMPUTE_PGM_RSRC3_GFX90A:ACCUM_OFFSET: 0
; COMPUTE_PGM_RSRC3_GFX90A:TG_SPLIT: 0
	.section	.text._ZN7rocprim17ROCPRIM_400000_NS6detail17trampoline_kernelINS0_14default_configENS1_25transform_config_selectorIlLb0EEEZNS1_14transform_implILb0ES3_S5_NS0_18transform_iteratorINS0_17counting_iteratorImlEEZNS1_24adjacent_difference_implIS3_Lb1ELb0EPlSB_ZN2at6native12_GLOBAL__N_124unique_dim_cuda_templateItEESt5tupleIJNSC_6TensorESH_SH_EERKSH_lbbbEUlllE1_EE10hipError_tPvRmT2_T3_mT4_P12ihipStream_tbEUlmE_lEESB_NS0_8identityIvEEEESM_SP_SQ_mSR_ST_bEUlT_E_NS1_11comp_targetILNS1_3genE10ELNS1_11target_archE1200ELNS1_3gpuE4ELNS1_3repE0EEENS1_30default_config_static_selectorELNS0_4arch9wavefront6targetE1EEEvT1_,"axG",@progbits,_ZN7rocprim17ROCPRIM_400000_NS6detail17trampoline_kernelINS0_14default_configENS1_25transform_config_selectorIlLb0EEEZNS1_14transform_implILb0ES3_S5_NS0_18transform_iteratorINS0_17counting_iteratorImlEEZNS1_24adjacent_difference_implIS3_Lb1ELb0EPlSB_ZN2at6native12_GLOBAL__N_124unique_dim_cuda_templateItEESt5tupleIJNSC_6TensorESH_SH_EERKSH_lbbbEUlllE1_EE10hipError_tPvRmT2_T3_mT4_P12ihipStream_tbEUlmE_lEESB_NS0_8identityIvEEEESM_SP_SQ_mSR_ST_bEUlT_E_NS1_11comp_targetILNS1_3genE10ELNS1_11target_archE1200ELNS1_3gpuE4ELNS1_3repE0EEENS1_30default_config_static_selectorELNS0_4arch9wavefront6targetE1EEEvT1_,comdat
	.globl	_ZN7rocprim17ROCPRIM_400000_NS6detail17trampoline_kernelINS0_14default_configENS1_25transform_config_selectorIlLb0EEEZNS1_14transform_implILb0ES3_S5_NS0_18transform_iteratorINS0_17counting_iteratorImlEEZNS1_24adjacent_difference_implIS3_Lb1ELb0EPlSB_ZN2at6native12_GLOBAL__N_124unique_dim_cuda_templateItEESt5tupleIJNSC_6TensorESH_SH_EERKSH_lbbbEUlllE1_EE10hipError_tPvRmT2_T3_mT4_P12ihipStream_tbEUlmE_lEESB_NS0_8identityIvEEEESM_SP_SQ_mSR_ST_bEUlT_E_NS1_11comp_targetILNS1_3genE10ELNS1_11target_archE1200ELNS1_3gpuE4ELNS1_3repE0EEENS1_30default_config_static_selectorELNS0_4arch9wavefront6targetE1EEEvT1_ ; -- Begin function _ZN7rocprim17ROCPRIM_400000_NS6detail17trampoline_kernelINS0_14default_configENS1_25transform_config_selectorIlLb0EEEZNS1_14transform_implILb0ES3_S5_NS0_18transform_iteratorINS0_17counting_iteratorImlEEZNS1_24adjacent_difference_implIS3_Lb1ELb0EPlSB_ZN2at6native12_GLOBAL__N_124unique_dim_cuda_templateItEESt5tupleIJNSC_6TensorESH_SH_EERKSH_lbbbEUlllE1_EE10hipError_tPvRmT2_T3_mT4_P12ihipStream_tbEUlmE_lEESB_NS0_8identityIvEEEESM_SP_SQ_mSR_ST_bEUlT_E_NS1_11comp_targetILNS1_3genE10ELNS1_11target_archE1200ELNS1_3gpuE4ELNS1_3repE0EEENS1_30default_config_static_selectorELNS0_4arch9wavefront6targetE1EEEvT1_
	.p2align	8
	.type	_ZN7rocprim17ROCPRIM_400000_NS6detail17trampoline_kernelINS0_14default_configENS1_25transform_config_selectorIlLb0EEEZNS1_14transform_implILb0ES3_S5_NS0_18transform_iteratorINS0_17counting_iteratorImlEEZNS1_24adjacent_difference_implIS3_Lb1ELb0EPlSB_ZN2at6native12_GLOBAL__N_124unique_dim_cuda_templateItEESt5tupleIJNSC_6TensorESH_SH_EERKSH_lbbbEUlllE1_EE10hipError_tPvRmT2_T3_mT4_P12ihipStream_tbEUlmE_lEESB_NS0_8identityIvEEEESM_SP_SQ_mSR_ST_bEUlT_E_NS1_11comp_targetILNS1_3genE10ELNS1_11target_archE1200ELNS1_3gpuE4ELNS1_3repE0EEENS1_30default_config_static_selectorELNS0_4arch9wavefront6targetE1EEEvT1_,@function
_ZN7rocprim17ROCPRIM_400000_NS6detail17trampoline_kernelINS0_14default_configENS1_25transform_config_selectorIlLb0EEEZNS1_14transform_implILb0ES3_S5_NS0_18transform_iteratorINS0_17counting_iteratorImlEEZNS1_24adjacent_difference_implIS3_Lb1ELb0EPlSB_ZN2at6native12_GLOBAL__N_124unique_dim_cuda_templateItEESt5tupleIJNSC_6TensorESH_SH_EERKSH_lbbbEUlllE1_EE10hipError_tPvRmT2_T3_mT4_P12ihipStream_tbEUlmE_lEESB_NS0_8identityIvEEEESM_SP_SQ_mSR_ST_bEUlT_E_NS1_11comp_targetILNS1_3genE10ELNS1_11target_archE1200ELNS1_3gpuE4ELNS1_3repE0EEENS1_30default_config_static_selectorELNS0_4arch9wavefront6targetE1EEEvT1_: ; @_ZN7rocprim17ROCPRIM_400000_NS6detail17trampoline_kernelINS0_14default_configENS1_25transform_config_selectorIlLb0EEEZNS1_14transform_implILb0ES3_S5_NS0_18transform_iteratorINS0_17counting_iteratorImlEEZNS1_24adjacent_difference_implIS3_Lb1ELb0EPlSB_ZN2at6native12_GLOBAL__N_124unique_dim_cuda_templateItEESt5tupleIJNSC_6TensorESH_SH_EERKSH_lbbbEUlllE1_EE10hipError_tPvRmT2_T3_mT4_P12ihipStream_tbEUlmE_lEESB_NS0_8identityIvEEEESM_SP_SQ_mSR_ST_bEUlT_E_NS1_11comp_targetILNS1_3genE10ELNS1_11target_archE1200ELNS1_3gpuE4ELNS1_3repE0EEENS1_30default_config_static_selectorELNS0_4arch9wavefront6targetE1EEEvT1_
; %bb.0:
	.section	.rodata,"a",@progbits
	.p2align	6, 0x0
	.amdhsa_kernel _ZN7rocprim17ROCPRIM_400000_NS6detail17trampoline_kernelINS0_14default_configENS1_25transform_config_selectorIlLb0EEEZNS1_14transform_implILb0ES3_S5_NS0_18transform_iteratorINS0_17counting_iteratorImlEEZNS1_24adjacent_difference_implIS3_Lb1ELb0EPlSB_ZN2at6native12_GLOBAL__N_124unique_dim_cuda_templateItEESt5tupleIJNSC_6TensorESH_SH_EERKSH_lbbbEUlllE1_EE10hipError_tPvRmT2_T3_mT4_P12ihipStream_tbEUlmE_lEESB_NS0_8identityIvEEEESM_SP_SQ_mSR_ST_bEUlT_E_NS1_11comp_targetILNS1_3genE10ELNS1_11target_archE1200ELNS1_3gpuE4ELNS1_3repE0EEENS1_30default_config_static_selectorELNS0_4arch9wavefront6targetE1EEEvT1_
		.amdhsa_group_segment_fixed_size 0
		.amdhsa_private_segment_fixed_size 0
		.amdhsa_kernarg_size 56
		.amdhsa_user_sgpr_count 2
		.amdhsa_user_sgpr_dispatch_ptr 0
		.amdhsa_user_sgpr_queue_ptr 0
		.amdhsa_user_sgpr_kernarg_segment_ptr 1
		.amdhsa_user_sgpr_dispatch_id 0
		.amdhsa_user_sgpr_kernarg_preload_length 0
		.amdhsa_user_sgpr_kernarg_preload_offset 0
		.amdhsa_user_sgpr_private_segment_size 0
		.amdhsa_uses_dynamic_stack 0
		.amdhsa_enable_private_segment 0
		.amdhsa_system_sgpr_workgroup_id_x 1
		.amdhsa_system_sgpr_workgroup_id_y 0
		.amdhsa_system_sgpr_workgroup_id_z 0
		.amdhsa_system_sgpr_workgroup_info 0
		.amdhsa_system_vgpr_workitem_id 0
		.amdhsa_next_free_vgpr 1
		.amdhsa_next_free_sgpr 0
		.amdhsa_accum_offset 4
		.amdhsa_reserve_vcc 0
		.amdhsa_float_round_mode_32 0
		.amdhsa_float_round_mode_16_64 0
		.amdhsa_float_denorm_mode_32 3
		.amdhsa_float_denorm_mode_16_64 3
		.amdhsa_dx10_clamp 1
		.amdhsa_ieee_mode 1
		.amdhsa_fp16_overflow 0
		.amdhsa_tg_split 0
		.amdhsa_exception_fp_ieee_invalid_op 0
		.amdhsa_exception_fp_denorm_src 0
		.amdhsa_exception_fp_ieee_div_zero 0
		.amdhsa_exception_fp_ieee_overflow 0
		.amdhsa_exception_fp_ieee_underflow 0
		.amdhsa_exception_fp_ieee_inexact 0
		.amdhsa_exception_int_div_zero 0
	.end_amdhsa_kernel
	.section	.text._ZN7rocprim17ROCPRIM_400000_NS6detail17trampoline_kernelINS0_14default_configENS1_25transform_config_selectorIlLb0EEEZNS1_14transform_implILb0ES3_S5_NS0_18transform_iteratorINS0_17counting_iteratorImlEEZNS1_24adjacent_difference_implIS3_Lb1ELb0EPlSB_ZN2at6native12_GLOBAL__N_124unique_dim_cuda_templateItEESt5tupleIJNSC_6TensorESH_SH_EERKSH_lbbbEUlllE1_EE10hipError_tPvRmT2_T3_mT4_P12ihipStream_tbEUlmE_lEESB_NS0_8identityIvEEEESM_SP_SQ_mSR_ST_bEUlT_E_NS1_11comp_targetILNS1_3genE10ELNS1_11target_archE1200ELNS1_3gpuE4ELNS1_3repE0EEENS1_30default_config_static_selectorELNS0_4arch9wavefront6targetE1EEEvT1_,"axG",@progbits,_ZN7rocprim17ROCPRIM_400000_NS6detail17trampoline_kernelINS0_14default_configENS1_25transform_config_selectorIlLb0EEEZNS1_14transform_implILb0ES3_S5_NS0_18transform_iteratorINS0_17counting_iteratorImlEEZNS1_24adjacent_difference_implIS3_Lb1ELb0EPlSB_ZN2at6native12_GLOBAL__N_124unique_dim_cuda_templateItEESt5tupleIJNSC_6TensorESH_SH_EERKSH_lbbbEUlllE1_EE10hipError_tPvRmT2_T3_mT4_P12ihipStream_tbEUlmE_lEESB_NS0_8identityIvEEEESM_SP_SQ_mSR_ST_bEUlT_E_NS1_11comp_targetILNS1_3genE10ELNS1_11target_archE1200ELNS1_3gpuE4ELNS1_3repE0EEENS1_30default_config_static_selectorELNS0_4arch9wavefront6targetE1EEEvT1_,comdat
.Lfunc_end1417:
	.size	_ZN7rocprim17ROCPRIM_400000_NS6detail17trampoline_kernelINS0_14default_configENS1_25transform_config_selectorIlLb0EEEZNS1_14transform_implILb0ES3_S5_NS0_18transform_iteratorINS0_17counting_iteratorImlEEZNS1_24adjacent_difference_implIS3_Lb1ELb0EPlSB_ZN2at6native12_GLOBAL__N_124unique_dim_cuda_templateItEESt5tupleIJNSC_6TensorESH_SH_EERKSH_lbbbEUlllE1_EE10hipError_tPvRmT2_T3_mT4_P12ihipStream_tbEUlmE_lEESB_NS0_8identityIvEEEESM_SP_SQ_mSR_ST_bEUlT_E_NS1_11comp_targetILNS1_3genE10ELNS1_11target_archE1200ELNS1_3gpuE4ELNS1_3repE0EEENS1_30default_config_static_selectorELNS0_4arch9wavefront6targetE1EEEvT1_, .Lfunc_end1417-_ZN7rocprim17ROCPRIM_400000_NS6detail17trampoline_kernelINS0_14default_configENS1_25transform_config_selectorIlLb0EEEZNS1_14transform_implILb0ES3_S5_NS0_18transform_iteratorINS0_17counting_iteratorImlEEZNS1_24adjacent_difference_implIS3_Lb1ELb0EPlSB_ZN2at6native12_GLOBAL__N_124unique_dim_cuda_templateItEESt5tupleIJNSC_6TensorESH_SH_EERKSH_lbbbEUlllE1_EE10hipError_tPvRmT2_T3_mT4_P12ihipStream_tbEUlmE_lEESB_NS0_8identityIvEEEESM_SP_SQ_mSR_ST_bEUlT_E_NS1_11comp_targetILNS1_3genE10ELNS1_11target_archE1200ELNS1_3gpuE4ELNS1_3repE0EEENS1_30default_config_static_selectorELNS0_4arch9wavefront6targetE1EEEvT1_
                                        ; -- End function
	.section	.AMDGPU.csdata,"",@progbits
; Kernel info:
; codeLenInByte = 0
; NumSgprs: 6
; NumVgprs: 0
; NumAgprs: 0
; TotalNumVgprs: 0
; ScratchSize: 0
; MemoryBound: 0
; FloatMode: 240
; IeeeMode: 1
; LDSByteSize: 0 bytes/workgroup (compile time only)
; SGPRBlocks: 0
; VGPRBlocks: 0
; NumSGPRsForWavesPerEU: 6
; NumVGPRsForWavesPerEU: 1
; AccumOffset: 4
; Occupancy: 8
; WaveLimiterHint : 0
; COMPUTE_PGM_RSRC2:SCRATCH_EN: 0
; COMPUTE_PGM_RSRC2:USER_SGPR: 2
; COMPUTE_PGM_RSRC2:TRAP_HANDLER: 0
; COMPUTE_PGM_RSRC2:TGID_X_EN: 1
; COMPUTE_PGM_RSRC2:TGID_Y_EN: 0
; COMPUTE_PGM_RSRC2:TGID_Z_EN: 0
; COMPUTE_PGM_RSRC2:TIDIG_COMP_CNT: 0
; COMPUTE_PGM_RSRC3_GFX90A:ACCUM_OFFSET: 0
; COMPUTE_PGM_RSRC3_GFX90A:TG_SPLIT: 0
	.section	.text._ZN7rocprim17ROCPRIM_400000_NS6detail17trampoline_kernelINS0_14default_configENS1_25transform_config_selectorIlLb0EEEZNS1_14transform_implILb0ES3_S5_NS0_18transform_iteratorINS0_17counting_iteratorImlEEZNS1_24adjacent_difference_implIS3_Lb1ELb0EPlSB_ZN2at6native12_GLOBAL__N_124unique_dim_cuda_templateItEESt5tupleIJNSC_6TensorESH_SH_EERKSH_lbbbEUlllE1_EE10hipError_tPvRmT2_T3_mT4_P12ihipStream_tbEUlmE_lEESB_NS0_8identityIvEEEESM_SP_SQ_mSR_ST_bEUlT_E_NS1_11comp_targetILNS1_3genE9ELNS1_11target_archE1100ELNS1_3gpuE3ELNS1_3repE0EEENS1_30default_config_static_selectorELNS0_4arch9wavefront6targetE1EEEvT1_,"axG",@progbits,_ZN7rocprim17ROCPRIM_400000_NS6detail17trampoline_kernelINS0_14default_configENS1_25transform_config_selectorIlLb0EEEZNS1_14transform_implILb0ES3_S5_NS0_18transform_iteratorINS0_17counting_iteratorImlEEZNS1_24adjacent_difference_implIS3_Lb1ELb0EPlSB_ZN2at6native12_GLOBAL__N_124unique_dim_cuda_templateItEESt5tupleIJNSC_6TensorESH_SH_EERKSH_lbbbEUlllE1_EE10hipError_tPvRmT2_T3_mT4_P12ihipStream_tbEUlmE_lEESB_NS0_8identityIvEEEESM_SP_SQ_mSR_ST_bEUlT_E_NS1_11comp_targetILNS1_3genE9ELNS1_11target_archE1100ELNS1_3gpuE3ELNS1_3repE0EEENS1_30default_config_static_selectorELNS0_4arch9wavefront6targetE1EEEvT1_,comdat
	.globl	_ZN7rocprim17ROCPRIM_400000_NS6detail17trampoline_kernelINS0_14default_configENS1_25transform_config_selectorIlLb0EEEZNS1_14transform_implILb0ES3_S5_NS0_18transform_iteratorINS0_17counting_iteratorImlEEZNS1_24adjacent_difference_implIS3_Lb1ELb0EPlSB_ZN2at6native12_GLOBAL__N_124unique_dim_cuda_templateItEESt5tupleIJNSC_6TensorESH_SH_EERKSH_lbbbEUlllE1_EE10hipError_tPvRmT2_T3_mT4_P12ihipStream_tbEUlmE_lEESB_NS0_8identityIvEEEESM_SP_SQ_mSR_ST_bEUlT_E_NS1_11comp_targetILNS1_3genE9ELNS1_11target_archE1100ELNS1_3gpuE3ELNS1_3repE0EEENS1_30default_config_static_selectorELNS0_4arch9wavefront6targetE1EEEvT1_ ; -- Begin function _ZN7rocprim17ROCPRIM_400000_NS6detail17trampoline_kernelINS0_14default_configENS1_25transform_config_selectorIlLb0EEEZNS1_14transform_implILb0ES3_S5_NS0_18transform_iteratorINS0_17counting_iteratorImlEEZNS1_24adjacent_difference_implIS3_Lb1ELb0EPlSB_ZN2at6native12_GLOBAL__N_124unique_dim_cuda_templateItEESt5tupleIJNSC_6TensorESH_SH_EERKSH_lbbbEUlllE1_EE10hipError_tPvRmT2_T3_mT4_P12ihipStream_tbEUlmE_lEESB_NS0_8identityIvEEEESM_SP_SQ_mSR_ST_bEUlT_E_NS1_11comp_targetILNS1_3genE9ELNS1_11target_archE1100ELNS1_3gpuE3ELNS1_3repE0EEENS1_30default_config_static_selectorELNS0_4arch9wavefront6targetE1EEEvT1_
	.p2align	8
	.type	_ZN7rocprim17ROCPRIM_400000_NS6detail17trampoline_kernelINS0_14default_configENS1_25transform_config_selectorIlLb0EEEZNS1_14transform_implILb0ES3_S5_NS0_18transform_iteratorINS0_17counting_iteratorImlEEZNS1_24adjacent_difference_implIS3_Lb1ELb0EPlSB_ZN2at6native12_GLOBAL__N_124unique_dim_cuda_templateItEESt5tupleIJNSC_6TensorESH_SH_EERKSH_lbbbEUlllE1_EE10hipError_tPvRmT2_T3_mT4_P12ihipStream_tbEUlmE_lEESB_NS0_8identityIvEEEESM_SP_SQ_mSR_ST_bEUlT_E_NS1_11comp_targetILNS1_3genE9ELNS1_11target_archE1100ELNS1_3gpuE3ELNS1_3repE0EEENS1_30default_config_static_selectorELNS0_4arch9wavefront6targetE1EEEvT1_,@function
_ZN7rocprim17ROCPRIM_400000_NS6detail17trampoline_kernelINS0_14default_configENS1_25transform_config_selectorIlLb0EEEZNS1_14transform_implILb0ES3_S5_NS0_18transform_iteratorINS0_17counting_iteratorImlEEZNS1_24adjacent_difference_implIS3_Lb1ELb0EPlSB_ZN2at6native12_GLOBAL__N_124unique_dim_cuda_templateItEESt5tupleIJNSC_6TensorESH_SH_EERKSH_lbbbEUlllE1_EE10hipError_tPvRmT2_T3_mT4_P12ihipStream_tbEUlmE_lEESB_NS0_8identityIvEEEESM_SP_SQ_mSR_ST_bEUlT_E_NS1_11comp_targetILNS1_3genE9ELNS1_11target_archE1100ELNS1_3gpuE3ELNS1_3repE0EEENS1_30default_config_static_selectorELNS0_4arch9wavefront6targetE1EEEvT1_: ; @_ZN7rocprim17ROCPRIM_400000_NS6detail17trampoline_kernelINS0_14default_configENS1_25transform_config_selectorIlLb0EEEZNS1_14transform_implILb0ES3_S5_NS0_18transform_iteratorINS0_17counting_iteratorImlEEZNS1_24adjacent_difference_implIS3_Lb1ELb0EPlSB_ZN2at6native12_GLOBAL__N_124unique_dim_cuda_templateItEESt5tupleIJNSC_6TensorESH_SH_EERKSH_lbbbEUlllE1_EE10hipError_tPvRmT2_T3_mT4_P12ihipStream_tbEUlmE_lEESB_NS0_8identityIvEEEESM_SP_SQ_mSR_ST_bEUlT_E_NS1_11comp_targetILNS1_3genE9ELNS1_11target_archE1100ELNS1_3gpuE3ELNS1_3repE0EEENS1_30default_config_static_selectorELNS0_4arch9wavefront6targetE1EEEvT1_
; %bb.0:
	.section	.rodata,"a",@progbits
	.p2align	6, 0x0
	.amdhsa_kernel _ZN7rocprim17ROCPRIM_400000_NS6detail17trampoline_kernelINS0_14default_configENS1_25transform_config_selectorIlLb0EEEZNS1_14transform_implILb0ES3_S5_NS0_18transform_iteratorINS0_17counting_iteratorImlEEZNS1_24adjacent_difference_implIS3_Lb1ELb0EPlSB_ZN2at6native12_GLOBAL__N_124unique_dim_cuda_templateItEESt5tupleIJNSC_6TensorESH_SH_EERKSH_lbbbEUlllE1_EE10hipError_tPvRmT2_T3_mT4_P12ihipStream_tbEUlmE_lEESB_NS0_8identityIvEEEESM_SP_SQ_mSR_ST_bEUlT_E_NS1_11comp_targetILNS1_3genE9ELNS1_11target_archE1100ELNS1_3gpuE3ELNS1_3repE0EEENS1_30default_config_static_selectorELNS0_4arch9wavefront6targetE1EEEvT1_
		.amdhsa_group_segment_fixed_size 0
		.amdhsa_private_segment_fixed_size 0
		.amdhsa_kernarg_size 56
		.amdhsa_user_sgpr_count 2
		.amdhsa_user_sgpr_dispatch_ptr 0
		.amdhsa_user_sgpr_queue_ptr 0
		.amdhsa_user_sgpr_kernarg_segment_ptr 1
		.amdhsa_user_sgpr_dispatch_id 0
		.amdhsa_user_sgpr_kernarg_preload_length 0
		.amdhsa_user_sgpr_kernarg_preload_offset 0
		.amdhsa_user_sgpr_private_segment_size 0
		.amdhsa_uses_dynamic_stack 0
		.amdhsa_enable_private_segment 0
		.amdhsa_system_sgpr_workgroup_id_x 1
		.amdhsa_system_sgpr_workgroup_id_y 0
		.amdhsa_system_sgpr_workgroup_id_z 0
		.amdhsa_system_sgpr_workgroup_info 0
		.amdhsa_system_vgpr_workitem_id 0
		.amdhsa_next_free_vgpr 1
		.amdhsa_next_free_sgpr 0
		.amdhsa_accum_offset 4
		.amdhsa_reserve_vcc 0
		.amdhsa_float_round_mode_32 0
		.amdhsa_float_round_mode_16_64 0
		.amdhsa_float_denorm_mode_32 3
		.amdhsa_float_denorm_mode_16_64 3
		.amdhsa_dx10_clamp 1
		.amdhsa_ieee_mode 1
		.amdhsa_fp16_overflow 0
		.amdhsa_tg_split 0
		.amdhsa_exception_fp_ieee_invalid_op 0
		.amdhsa_exception_fp_denorm_src 0
		.amdhsa_exception_fp_ieee_div_zero 0
		.amdhsa_exception_fp_ieee_overflow 0
		.amdhsa_exception_fp_ieee_underflow 0
		.amdhsa_exception_fp_ieee_inexact 0
		.amdhsa_exception_int_div_zero 0
	.end_amdhsa_kernel
	.section	.text._ZN7rocprim17ROCPRIM_400000_NS6detail17trampoline_kernelINS0_14default_configENS1_25transform_config_selectorIlLb0EEEZNS1_14transform_implILb0ES3_S5_NS0_18transform_iteratorINS0_17counting_iteratorImlEEZNS1_24adjacent_difference_implIS3_Lb1ELb0EPlSB_ZN2at6native12_GLOBAL__N_124unique_dim_cuda_templateItEESt5tupleIJNSC_6TensorESH_SH_EERKSH_lbbbEUlllE1_EE10hipError_tPvRmT2_T3_mT4_P12ihipStream_tbEUlmE_lEESB_NS0_8identityIvEEEESM_SP_SQ_mSR_ST_bEUlT_E_NS1_11comp_targetILNS1_3genE9ELNS1_11target_archE1100ELNS1_3gpuE3ELNS1_3repE0EEENS1_30default_config_static_selectorELNS0_4arch9wavefront6targetE1EEEvT1_,"axG",@progbits,_ZN7rocprim17ROCPRIM_400000_NS6detail17trampoline_kernelINS0_14default_configENS1_25transform_config_selectorIlLb0EEEZNS1_14transform_implILb0ES3_S5_NS0_18transform_iteratorINS0_17counting_iteratorImlEEZNS1_24adjacent_difference_implIS3_Lb1ELb0EPlSB_ZN2at6native12_GLOBAL__N_124unique_dim_cuda_templateItEESt5tupleIJNSC_6TensorESH_SH_EERKSH_lbbbEUlllE1_EE10hipError_tPvRmT2_T3_mT4_P12ihipStream_tbEUlmE_lEESB_NS0_8identityIvEEEESM_SP_SQ_mSR_ST_bEUlT_E_NS1_11comp_targetILNS1_3genE9ELNS1_11target_archE1100ELNS1_3gpuE3ELNS1_3repE0EEENS1_30default_config_static_selectorELNS0_4arch9wavefront6targetE1EEEvT1_,comdat
.Lfunc_end1418:
	.size	_ZN7rocprim17ROCPRIM_400000_NS6detail17trampoline_kernelINS0_14default_configENS1_25transform_config_selectorIlLb0EEEZNS1_14transform_implILb0ES3_S5_NS0_18transform_iteratorINS0_17counting_iteratorImlEEZNS1_24adjacent_difference_implIS3_Lb1ELb0EPlSB_ZN2at6native12_GLOBAL__N_124unique_dim_cuda_templateItEESt5tupleIJNSC_6TensorESH_SH_EERKSH_lbbbEUlllE1_EE10hipError_tPvRmT2_T3_mT4_P12ihipStream_tbEUlmE_lEESB_NS0_8identityIvEEEESM_SP_SQ_mSR_ST_bEUlT_E_NS1_11comp_targetILNS1_3genE9ELNS1_11target_archE1100ELNS1_3gpuE3ELNS1_3repE0EEENS1_30default_config_static_selectorELNS0_4arch9wavefront6targetE1EEEvT1_, .Lfunc_end1418-_ZN7rocprim17ROCPRIM_400000_NS6detail17trampoline_kernelINS0_14default_configENS1_25transform_config_selectorIlLb0EEEZNS1_14transform_implILb0ES3_S5_NS0_18transform_iteratorINS0_17counting_iteratorImlEEZNS1_24adjacent_difference_implIS3_Lb1ELb0EPlSB_ZN2at6native12_GLOBAL__N_124unique_dim_cuda_templateItEESt5tupleIJNSC_6TensorESH_SH_EERKSH_lbbbEUlllE1_EE10hipError_tPvRmT2_T3_mT4_P12ihipStream_tbEUlmE_lEESB_NS0_8identityIvEEEESM_SP_SQ_mSR_ST_bEUlT_E_NS1_11comp_targetILNS1_3genE9ELNS1_11target_archE1100ELNS1_3gpuE3ELNS1_3repE0EEENS1_30default_config_static_selectorELNS0_4arch9wavefront6targetE1EEEvT1_
                                        ; -- End function
	.section	.AMDGPU.csdata,"",@progbits
; Kernel info:
; codeLenInByte = 0
; NumSgprs: 6
; NumVgprs: 0
; NumAgprs: 0
; TotalNumVgprs: 0
; ScratchSize: 0
; MemoryBound: 0
; FloatMode: 240
; IeeeMode: 1
; LDSByteSize: 0 bytes/workgroup (compile time only)
; SGPRBlocks: 0
; VGPRBlocks: 0
; NumSGPRsForWavesPerEU: 6
; NumVGPRsForWavesPerEU: 1
; AccumOffset: 4
; Occupancy: 8
; WaveLimiterHint : 0
; COMPUTE_PGM_RSRC2:SCRATCH_EN: 0
; COMPUTE_PGM_RSRC2:USER_SGPR: 2
; COMPUTE_PGM_RSRC2:TRAP_HANDLER: 0
; COMPUTE_PGM_RSRC2:TGID_X_EN: 1
; COMPUTE_PGM_RSRC2:TGID_Y_EN: 0
; COMPUTE_PGM_RSRC2:TGID_Z_EN: 0
; COMPUTE_PGM_RSRC2:TIDIG_COMP_CNT: 0
; COMPUTE_PGM_RSRC3_GFX90A:ACCUM_OFFSET: 0
; COMPUTE_PGM_RSRC3_GFX90A:TG_SPLIT: 0
	.section	.text._ZN7rocprim17ROCPRIM_400000_NS6detail17trampoline_kernelINS0_14default_configENS1_25transform_config_selectorIlLb0EEEZNS1_14transform_implILb0ES3_S5_NS0_18transform_iteratorINS0_17counting_iteratorImlEEZNS1_24adjacent_difference_implIS3_Lb1ELb0EPlSB_ZN2at6native12_GLOBAL__N_124unique_dim_cuda_templateItEESt5tupleIJNSC_6TensorESH_SH_EERKSH_lbbbEUlllE1_EE10hipError_tPvRmT2_T3_mT4_P12ihipStream_tbEUlmE_lEESB_NS0_8identityIvEEEESM_SP_SQ_mSR_ST_bEUlT_E_NS1_11comp_targetILNS1_3genE8ELNS1_11target_archE1030ELNS1_3gpuE2ELNS1_3repE0EEENS1_30default_config_static_selectorELNS0_4arch9wavefront6targetE1EEEvT1_,"axG",@progbits,_ZN7rocprim17ROCPRIM_400000_NS6detail17trampoline_kernelINS0_14default_configENS1_25transform_config_selectorIlLb0EEEZNS1_14transform_implILb0ES3_S5_NS0_18transform_iteratorINS0_17counting_iteratorImlEEZNS1_24adjacent_difference_implIS3_Lb1ELb0EPlSB_ZN2at6native12_GLOBAL__N_124unique_dim_cuda_templateItEESt5tupleIJNSC_6TensorESH_SH_EERKSH_lbbbEUlllE1_EE10hipError_tPvRmT2_T3_mT4_P12ihipStream_tbEUlmE_lEESB_NS0_8identityIvEEEESM_SP_SQ_mSR_ST_bEUlT_E_NS1_11comp_targetILNS1_3genE8ELNS1_11target_archE1030ELNS1_3gpuE2ELNS1_3repE0EEENS1_30default_config_static_selectorELNS0_4arch9wavefront6targetE1EEEvT1_,comdat
	.globl	_ZN7rocprim17ROCPRIM_400000_NS6detail17trampoline_kernelINS0_14default_configENS1_25transform_config_selectorIlLb0EEEZNS1_14transform_implILb0ES3_S5_NS0_18transform_iteratorINS0_17counting_iteratorImlEEZNS1_24adjacent_difference_implIS3_Lb1ELb0EPlSB_ZN2at6native12_GLOBAL__N_124unique_dim_cuda_templateItEESt5tupleIJNSC_6TensorESH_SH_EERKSH_lbbbEUlllE1_EE10hipError_tPvRmT2_T3_mT4_P12ihipStream_tbEUlmE_lEESB_NS0_8identityIvEEEESM_SP_SQ_mSR_ST_bEUlT_E_NS1_11comp_targetILNS1_3genE8ELNS1_11target_archE1030ELNS1_3gpuE2ELNS1_3repE0EEENS1_30default_config_static_selectorELNS0_4arch9wavefront6targetE1EEEvT1_ ; -- Begin function _ZN7rocprim17ROCPRIM_400000_NS6detail17trampoline_kernelINS0_14default_configENS1_25transform_config_selectorIlLb0EEEZNS1_14transform_implILb0ES3_S5_NS0_18transform_iteratorINS0_17counting_iteratorImlEEZNS1_24adjacent_difference_implIS3_Lb1ELb0EPlSB_ZN2at6native12_GLOBAL__N_124unique_dim_cuda_templateItEESt5tupleIJNSC_6TensorESH_SH_EERKSH_lbbbEUlllE1_EE10hipError_tPvRmT2_T3_mT4_P12ihipStream_tbEUlmE_lEESB_NS0_8identityIvEEEESM_SP_SQ_mSR_ST_bEUlT_E_NS1_11comp_targetILNS1_3genE8ELNS1_11target_archE1030ELNS1_3gpuE2ELNS1_3repE0EEENS1_30default_config_static_selectorELNS0_4arch9wavefront6targetE1EEEvT1_
	.p2align	8
	.type	_ZN7rocprim17ROCPRIM_400000_NS6detail17trampoline_kernelINS0_14default_configENS1_25transform_config_selectorIlLb0EEEZNS1_14transform_implILb0ES3_S5_NS0_18transform_iteratorINS0_17counting_iteratorImlEEZNS1_24adjacent_difference_implIS3_Lb1ELb0EPlSB_ZN2at6native12_GLOBAL__N_124unique_dim_cuda_templateItEESt5tupleIJNSC_6TensorESH_SH_EERKSH_lbbbEUlllE1_EE10hipError_tPvRmT2_T3_mT4_P12ihipStream_tbEUlmE_lEESB_NS0_8identityIvEEEESM_SP_SQ_mSR_ST_bEUlT_E_NS1_11comp_targetILNS1_3genE8ELNS1_11target_archE1030ELNS1_3gpuE2ELNS1_3repE0EEENS1_30default_config_static_selectorELNS0_4arch9wavefront6targetE1EEEvT1_,@function
_ZN7rocprim17ROCPRIM_400000_NS6detail17trampoline_kernelINS0_14default_configENS1_25transform_config_selectorIlLb0EEEZNS1_14transform_implILb0ES3_S5_NS0_18transform_iteratorINS0_17counting_iteratorImlEEZNS1_24adjacent_difference_implIS3_Lb1ELb0EPlSB_ZN2at6native12_GLOBAL__N_124unique_dim_cuda_templateItEESt5tupleIJNSC_6TensorESH_SH_EERKSH_lbbbEUlllE1_EE10hipError_tPvRmT2_T3_mT4_P12ihipStream_tbEUlmE_lEESB_NS0_8identityIvEEEESM_SP_SQ_mSR_ST_bEUlT_E_NS1_11comp_targetILNS1_3genE8ELNS1_11target_archE1030ELNS1_3gpuE2ELNS1_3repE0EEENS1_30default_config_static_selectorELNS0_4arch9wavefront6targetE1EEEvT1_: ; @_ZN7rocprim17ROCPRIM_400000_NS6detail17trampoline_kernelINS0_14default_configENS1_25transform_config_selectorIlLb0EEEZNS1_14transform_implILb0ES3_S5_NS0_18transform_iteratorINS0_17counting_iteratorImlEEZNS1_24adjacent_difference_implIS3_Lb1ELb0EPlSB_ZN2at6native12_GLOBAL__N_124unique_dim_cuda_templateItEESt5tupleIJNSC_6TensorESH_SH_EERKSH_lbbbEUlllE1_EE10hipError_tPvRmT2_T3_mT4_P12ihipStream_tbEUlmE_lEESB_NS0_8identityIvEEEESM_SP_SQ_mSR_ST_bEUlT_E_NS1_11comp_targetILNS1_3genE8ELNS1_11target_archE1030ELNS1_3gpuE2ELNS1_3repE0EEENS1_30default_config_static_selectorELNS0_4arch9wavefront6targetE1EEEvT1_
; %bb.0:
	.section	.rodata,"a",@progbits
	.p2align	6, 0x0
	.amdhsa_kernel _ZN7rocprim17ROCPRIM_400000_NS6detail17trampoline_kernelINS0_14default_configENS1_25transform_config_selectorIlLb0EEEZNS1_14transform_implILb0ES3_S5_NS0_18transform_iteratorINS0_17counting_iteratorImlEEZNS1_24adjacent_difference_implIS3_Lb1ELb0EPlSB_ZN2at6native12_GLOBAL__N_124unique_dim_cuda_templateItEESt5tupleIJNSC_6TensorESH_SH_EERKSH_lbbbEUlllE1_EE10hipError_tPvRmT2_T3_mT4_P12ihipStream_tbEUlmE_lEESB_NS0_8identityIvEEEESM_SP_SQ_mSR_ST_bEUlT_E_NS1_11comp_targetILNS1_3genE8ELNS1_11target_archE1030ELNS1_3gpuE2ELNS1_3repE0EEENS1_30default_config_static_selectorELNS0_4arch9wavefront6targetE1EEEvT1_
		.amdhsa_group_segment_fixed_size 0
		.amdhsa_private_segment_fixed_size 0
		.amdhsa_kernarg_size 56
		.amdhsa_user_sgpr_count 2
		.amdhsa_user_sgpr_dispatch_ptr 0
		.amdhsa_user_sgpr_queue_ptr 0
		.amdhsa_user_sgpr_kernarg_segment_ptr 1
		.amdhsa_user_sgpr_dispatch_id 0
		.amdhsa_user_sgpr_kernarg_preload_length 0
		.amdhsa_user_sgpr_kernarg_preload_offset 0
		.amdhsa_user_sgpr_private_segment_size 0
		.amdhsa_uses_dynamic_stack 0
		.amdhsa_enable_private_segment 0
		.amdhsa_system_sgpr_workgroup_id_x 1
		.amdhsa_system_sgpr_workgroup_id_y 0
		.amdhsa_system_sgpr_workgroup_id_z 0
		.amdhsa_system_sgpr_workgroup_info 0
		.amdhsa_system_vgpr_workitem_id 0
		.amdhsa_next_free_vgpr 1
		.amdhsa_next_free_sgpr 0
		.amdhsa_accum_offset 4
		.amdhsa_reserve_vcc 0
		.amdhsa_float_round_mode_32 0
		.amdhsa_float_round_mode_16_64 0
		.amdhsa_float_denorm_mode_32 3
		.amdhsa_float_denorm_mode_16_64 3
		.amdhsa_dx10_clamp 1
		.amdhsa_ieee_mode 1
		.amdhsa_fp16_overflow 0
		.amdhsa_tg_split 0
		.amdhsa_exception_fp_ieee_invalid_op 0
		.amdhsa_exception_fp_denorm_src 0
		.amdhsa_exception_fp_ieee_div_zero 0
		.amdhsa_exception_fp_ieee_overflow 0
		.amdhsa_exception_fp_ieee_underflow 0
		.amdhsa_exception_fp_ieee_inexact 0
		.amdhsa_exception_int_div_zero 0
	.end_amdhsa_kernel
	.section	.text._ZN7rocprim17ROCPRIM_400000_NS6detail17trampoline_kernelINS0_14default_configENS1_25transform_config_selectorIlLb0EEEZNS1_14transform_implILb0ES3_S5_NS0_18transform_iteratorINS0_17counting_iteratorImlEEZNS1_24adjacent_difference_implIS3_Lb1ELb0EPlSB_ZN2at6native12_GLOBAL__N_124unique_dim_cuda_templateItEESt5tupleIJNSC_6TensorESH_SH_EERKSH_lbbbEUlllE1_EE10hipError_tPvRmT2_T3_mT4_P12ihipStream_tbEUlmE_lEESB_NS0_8identityIvEEEESM_SP_SQ_mSR_ST_bEUlT_E_NS1_11comp_targetILNS1_3genE8ELNS1_11target_archE1030ELNS1_3gpuE2ELNS1_3repE0EEENS1_30default_config_static_selectorELNS0_4arch9wavefront6targetE1EEEvT1_,"axG",@progbits,_ZN7rocprim17ROCPRIM_400000_NS6detail17trampoline_kernelINS0_14default_configENS1_25transform_config_selectorIlLb0EEEZNS1_14transform_implILb0ES3_S5_NS0_18transform_iteratorINS0_17counting_iteratorImlEEZNS1_24adjacent_difference_implIS3_Lb1ELb0EPlSB_ZN2at6native12_GLOBAL__N_124unique_dim_cuda_templateItEESt5tupleIJNSC_6TensorESH_SH_EERKSH_lbbbEUlllE1_EE10hipError_tPvRmT2_T3_mT4_P12ihipStream_tbEUlmE_lEESB_NS0_8identityIvEEEESM_SP_SQ_mSR_ST_bEUlT_E_NS1_11comp_targetILNS1_3genE8ELNS1_11target_archE1030ELNS1_3gpuE2ELNS1_3repE0EEENS1_30default_config_static_selectorELNS0_4arch9wavefront6targetE1EEEvT1_,comdat
.Lfunc_end1419:
	.size	_ZN7rocprim17ROCPRIM_400000_NS6detail17trampoline_kernelINS0_14default_configENS1_25transform_config_selectorIlLb0EEEZNS1_14transform_implILb0ES3_S5_NS0_18transform_iteratorINS0_17counting_iteratorImlEEZNS1_24adjacent_difference_implIS3_Lb1ELb0EPlSB_ZN2at6native12_GLOBAL__N_124unique_dim_cuda_templateItEESt5tupleIJNSC_6TensorESH_SH_EERKSH_lbbbEUlllE1_EE10hipError_tPvRmT2_T3_mT4_P12ihipStream_tbEUlmE_lEESB_NS0_8identityIvEEEESM_SP_SQ_mSR_ST_bEUlT_E_NS1_11comp_targetILNS1_3genE8ELNS1_11target_archE1030ELNS1_3gpuE2ELNS1_3repE0EEENS1_30default_config_static_selectorELNS0_4arch9wavefront6targetE1EEEvT1_, .Lfunc_end1419-_ZN7rocprim17ROCPRIM_400000_NS6detail17trampoline_kernelINS0_14default_configENS1_25transform_config_selectorIlLb0EEEZNS1_14transform_implILb0ES3_S5_NS0_18transform_iteratorINS0_17counting_iteratorImlEEZNS1_24adjacent_difference_implIS3_Lb1ELb0EPlSB_ZN2at6native12_GLOBAL__N_124unique_dim_cuda_templateItEESt5tupleIJNSC_6TensorESH_SH_EERKSH_lbbbEUlllE1_EE10hipError_tPvRmT2_T3_mT4_P12ihipStream_tbEUlmE_lEESB_NS0_8identityIvEEEESM_SP_SQ_mSR_ST_bEUlT_E_NS1_11comp_targetILNS1_3genE8ELNS1_11target_archE1030ELNS1_3gpuE2ELNS1_3repE0EEENS1_30default_config_static_selectorELNS0_4arch9wavefront6targetE1EEEvT1_
                                        ; -- End function
	.section	.AMDGPU.csdata,"",@progbits
; Kernel info:
; codeLenInByte = 0
; NumSgprs: 6
; NumVgprs: 0
; NumAgprs: 0
; TotalNumVgprs: 0
; ScratchSize: 0
; MemoryBound: 0
; FloatMode: 240
; IeeeMode: 1
; LDSByteSize: 0 bytes/workgroup (compile time only)
; SGPRBlocks: 0
; VGPRBlocks: 0
; NumSGPRsForWavesPerEU: 6
; NumVGPRsForWavesPerEU: 1
; AccumOffset: 4
; Occupancy: 8
; WaveLimiterHint : 0
; COMPUTE_PGM_RSRC2:SCRATCH_EN: 0
; COMPUTE_PGM_RSRC2:USER_SGPR: 2
; COMPUTE_PGM_RSRC2:TRAP_HANDLER: 0
; COMPUTE_PGM_RSRC2:TGID_X_EN: 1
; COMPUTE_PGM_RSRC2:TGID_Y_EN: 0
; COMPUTE_PGM_RSRC2:TGID_Z_EN: 0
; COMPUTE_PGM_RSRC2:TIDIG_COMP_CNT: 0
; COMPUTE_PGM_RSRC3_GFX90A:ACCUM_OFFSET: 0
; COMPUTE_PGM_RSRC3_GFX90A:TG_SPLIT: 0
	.section	.text._ZN7rocprim17ROCPRIM_400000_NS6detail17trampoline_kernelINS0_14default_configENS1_35adjacent_difference_config_selectorILb1ElEEZNS1_24adjacent_difference_implIS3_Lb1ELb0EPlS7_ZN2at6native12_GLOBAL__N_124unique_dim_cuda_templateItEESt5tupleIJNS8_6TensorESD_SD_EERKSD_lbbbEUlllE1_EE10hipError_tPvRmT2_T3_mT4_P12ihipStream_tbEUlT_E_NS1_11comp_targetILNS1_3genE0ELNS1_11target_archE4294967295ELNS1_3gpuE0ELNS1_3repE0EEENS1_30default_config_static_selectorELNS0_4arch9wavefront6targetE1EEEvT1_,"axG",@progbits,_ZN7rocprim17ROCPRIM_400000_NS6detail17trampoline_kernelINS0_14default_configENS1_35adjacent_difference_config_selectorILb1ElEEZNS1_24adjacent_difference_implIS3_Lb1ELb0EPlS7_ZN2at6native12_GLOBAL__N_124unique_dim_cuda_templateItEESt5tupleIJNS8_6TensorESD_SD_EERKSD_lbbbEUlllE1_EE10hipError_tPvRmT2_T3_mT4_P12ihipStream_tbEUlT_E_NS1_11comp_targetILNS1_3genE0ELNS1_11target_archE4294967295ELNS1_3gpuE0ELNS1_3repE0EEENS1_30default_config_static_selectorELNS0_4arch9wavefront6targetE1EEEvT1_,comdat
	.globl	_ZN7rocprim17ROCPRIM_400000_NS6detail17trampoline_kernelINS0_14default_configENS1_35adjacent_difference_config_selectorILb1ElEEZNS1_24adjacent_difference_implIS3_Lb1ELb0EPlS7_ZN2at6native12_GLOBAL__N_124unique_dim_cuda_templateItEESt5tupleIJNS8_6TensorESD_SD_EERKSD_lbbbEUlllE1_EE10hipError_tPvRmT2_T3_mT4_P12ihipStream_tbEUlT_E_NS1_11comp_targetILNS1_3genE0ELNS1_11target_archE4294967295ELNS1_3gpuE0ELNS1_3repE0EEENS1_30default_config_static_selectorELNS0_4arch9wavefront6targetE1EEEvT1_ ; -- Begin function _ZN7rocprim17ROCPRIM_400000_NS6detail17trampoline_kernelINS0_14default_configENS1_35adjacent_difference_config_selectorILb1ElEEZNS1_24adjacent_difference_implIS3_Lb1ELb0EPlS7_ZN2at6native12_GLOBAL__N_124unique_dim_cuda_templateItEESt5tupleIJNS8_6TensorESD_SD_EERKSD_lbbbEUlllE1_EE10hipError_tPvRmT2_T3_mT4_P12ihipStream_tbEUlT_E_NS1_11comp_targetILNS1_3genE0ELNS1_11target_archE4294967295ELNS1_3gpuE0ELNS1_3repE0EEENS1_30default_config_static_selectorELNS0_4arch9wavefront6targetE1EEEvT1_
	.p2align	8
	.type	_ZN7rocprim17ROCPRIM_400000_NS6detail17trampoline_kernelINS0_14default_configENS1_35adjacent_difference_config_selectorILb1ElEEZNS1_24adjacent_difference_implIS3_Lb1ELb0EPlS7_ZN2at6native12_GLOBAL__N_124unique_dim_cuda_templateItEESt5tupleIJNS8_6TensorESD_SD_EERKSD_lbbbEUlllE1_EE10hipError_tPvRmT2_T3_mT4_P12ihipStream_tbEUlT_E_NS1_11comp_targetILNS1_3genE0ELNS1_11target_archE4294967295ELNS1_3gpuE0ELNS1_3repE0EEENS1_30default_config_static_selectorELNS0_4arch9wavefront6targetE1EEEvT1_,@function
_ZN7rocprim17ROCPRIM_400000_NS6detail17trampoline_kernelINS0_14default_configENS1_35adjacent_difference_config_selectorILb1ElEEZNS1_24adjacent_difference_implIS3_Lb1ELb0EPlS7_ZN2at6native12_GLOBAL__N_124unique_dim_cuda_templateItEESt5tupleIJNS8_6TensorESD_SD_EERKSD_lbbbEUlllE1_EE10hipError_tPvRmT2_T3_mT4_P12ihipStream_tbEUlT_E_NS1_11comp_targetILNS1_3genE0ELNS1_11target_archE4294967295ELNS1_3gpuE0ELNS1_3repE0EEENS1_30default_config_static_selectorELNS0_4arch9wavefront6targetE1EEEvT1_: ; @_ZN7rocprim17ROCPRIM_400000_NS6detail17trampoline_kernelINS0_14default_configENS1_35adjacent_difference_config_selectorILb1ElEEZNS1_24adjacent_difference_implIS3_Lb1ELb0EPlS7_ZN2at6native12_GLOBAL__N_124unique_dim_cuda_templateItEESt5tupleIJNS8_6TensorESD_SD_EERKSD_lbbbEUlllE1_EE10hipError_tPvRmT2_T3_mT4_P12ihipStream_tbEUlT_E_NS1_11comp_targetILNS1_3genE0ELNS1_11target_archE4294967295ELNS1_3gpuE0ELNS1_3repE0EEENS1_30default_config_static_selectorELNS0_4arch9wavefront6targetE1EEEvT1_
; %bb.0:
	.section	.rodata,"a",@progbits
	.p2align	6, 0x0
	.amdhsa_kernel _ZN7rocprim17ROCPRIM_400000_NS6detail17trampoline_kernelINS0_14default_configENS1_35adjacent_difference_config_selectorILb1ElEEZNS1_24adjacent_difference_implIS3_Lb1ELb0EPlS7_ZN2at6native12_GLOBAL__N_124unique_dim_cuda_templateItEESt5tupleIJNS8_6TensorESD_SD_EERKSD_lbbbEUlllE1_EE10hipError_tPvRmT2_T3_mT4_P12ihipStream_tbEUlT_E_NS1_11comp_targetILNS1_3genE0ELNS1_11target_archE4294967295ELNS1_3gpuE0ELNS1_3repE0EEENS1_30default_config_static_selectorELNS0_4arch9wavefront6targetE1EEEvT1_
		.amdhsa_group_segment_fixed_size 0
		.amdhsa_private_segment_fixed_size 0
		.amdhsa_kernarg_size 64
		.amdhsa_user_sgpr_count 2
		.amdhsa_user_sgpr_dispatch_ptr 0
		.amdhsa_user_sgpr_queue_ptr 0
		.amdhsa_user_sgpr_kernarg_segment_ptr 1
		.amdhsa_user_sgpr_dispatch_id 0
		.amdhsa_user_sgpr_kernarg_preload_length 0
		.amdhsa_user_sgpr_kernarg_preload_offset 0
		.amdhsa_user_sgpr_private_segment_size 0
		.amdhsa_uses_dynamic_stack 0
		.amdhsa_enable_private_segment 0
		.amdhsa_system_sgpr_workgroup_id_x 1
		.amdhsa_system_sgpr_workgroup_id_y 0
		.amdhsa_system_sgpr_workgroup_id_z 0
		.amdhsa_system_sgpr_workgroup_info 0
		.amdhsa_system_vgpr_workitem_id 0
		.amdhsa_next_free_vgpr 1
		.amdhsa_next_free_sgpr 0
		.amdhsa_accum_offset 4
		.amdhsa_reserve_vcc 0
		.amdhsa_float_round_mode_32 0
		.amdhsa_float_round_mode_16_64 0
		.amdhsa_float_denorm_mode_32 3
		.amdhsa_float_denorm_mode_16_64 3
		.amdhsa_dx10_clamp 1
		.amdhsa_ieee_mode 1
		.amdhsa_fp16_overflow 0
		.amdhsa_tg_split 0
		.amdhsa_exception_fp_ieee_invalid_op 0
		.amdhsa_exception_fp_denorm_src 0
		.amdhsa_exception_fp_ieee_div_zero 0
		.amdhsa_exception_fp_ieee_overflow 0
		.amdhsa_exception_fp_ieee_underflow 0
		.amdhsa_exception_fp_ieee_inexact 0
		.amdhsa_exception_int_div_zero 0
	.end_amdhsa_kernel
	.section	.text._ZN7rocprim17ROCPRIM_400000_NS6detail17trampoline_kernelINS0_14default_configENS1_35adjacent_difference_config_selectorILb1ElEEZNS1_24adjacent_difference_implIS3_Lb1ELb0EPlS7_ZN2at6native12_GLOBAL__N_124unique_dim_cuda_templateItEESt5tupleIJNS8_6TensorESD_SD_EERKSD_lbbbEUlllE1_EE10hipError_tPvRmT2_T3_mT4_P12ihipStream_tbEUlT_E_NS1_11comp_targetILNS1_3genE0ELNS1_11target_archE4294967295ELNS1_3gpuE0ELNS1_3repE0EEENS1_30default_config_static_selectorELNS0_4arch9wavefront6targetE1EEEvT1_,"axG",@progbits,_ZN7rocprim17ROCPRIM_400000_NS6detail17trampoline_kernelINS0_14default_configENS1_35adjacent_difference_config_selectorILb1ElEEZNS1_24adjacent_difference_implIS3_Lb1ELb0EPlS7_ZN2at6native12_GLOBAL__N_124unique_dim_cuda_templateItEESt5tupleIJNS8_6TensorESD_SD_EERKSD_lbbbEUlllE1_EE10hipError_tPvRmT2_T3_mT4_P12ihipStream_tbEUlT_E_NS1_11comp_targetILNS1_3genE0ELNS1_11target_archE4294967295ELNS1_3gpuE0ELNS1_3repE0EEENS1_30default_config_static_selectorELNS0_4arch9wavefront6targetE1EEEvT1_,comdat
.Lfunc_end1420:
	.size	_ZN7rocprim17ROCPRIM_400000_NS6detail17trampoline_kernelINS0_14default_configENS1_35adjacent_difference_config_selectorILb1ElEEZNS1_24adjacent_difference_implIS3_Lb1ELb0EPlS7_ZN2at6native12_GLOBAL__N_124unique_dim_cuda_templateItEESt5tupleIJNS8_6TensorESD_SD_EERKSD_lbbbEUlllE1_EE10hipError_tPvRmT2_T3_mT4_P12ihipStream_tbEUlT_E_NS1_11comp_targetILNS1_3genE0ELNS1_11target_archE4294967295ELNS1_3gpuE0ELNS1_3repE0EEENS1_30default_config_static_selectorELNS0_4arch9wavefront6targetE1EEEvT1_, .Lfunc_end1420-_ZN7rocprim17ROCPRIM_400000_NS6detail17trampoline_kernelINS0_14default_configENS1_35adjacent_difference_config_selectorILb1ElEEZNS1_24adjacent_difference_implIS3_Lb1ELb0EPlS7_ZN2at6native12_GLOBAL__N_124unique_dim_cuda_templateItEESt5tupleIJNS8_6TensorESD_SD_EERKSD_lbbbEUlllE1_EE10hipError_tPvRmT2_T3_mT4_P12ihipStream_tbEUlT_E_NS1_11comp_targetILNS1_3genE0ELNS1_11target_archE4294967295ELNS1_3gpuE0ELNS1_3repE0EEENS1_30default_config_static_selectorELNS0_4arch9wavefront6targetE1EEEvT1_
                                        ; -- End function
	.section	.AMDGPU.csdata,"",@progbits
; Kernel info:
; codeLenInByte = 0
; NumSgprs: 6
; NumVgprs: 0
; NumAgprs: 0
; TotalNumVgprs: 0
; ScratchSize: 0
; MemoryBound: 0
; FloatMode: 240
; IeeeMode: 1
; LDSByteSize: 0 bytes/workgroup (compile time only)
; SGPRBlocks: 0
; VGPRBlocks: 0
; NumSGPRsForWavesPerEU: 6
; NumVGPRsForWavesPerEU: 1
; AccumOffset: 4
; Occupancy: 8
; WaveLimiterHint : 0
; COMPUTE_PGM_RSRC2:SCRATCH_EN: 0
; COMPUTE_PGM_RSRC2:USER_SGPR: 2
; COMPUTE_PGM_RSRC2:TRAP_HANDLER: 0
; COMPUTE_PGM_RSRC2:TGID_X_EN: 1
; COMPUTE_PGM_RSRC2:TGID_Y_EN: 0
; COMPUTE_PGM_RSRC2:TGID_Z_EN: 0
; COMPUTE_PGM_RSRC2:TIDIG_COMP_CNT: 0
; COMPUTE_PGM_RSRC3_GFX90A:ACCUM_OFFSET: 0
; COMPUTE_PGM_RSRC3_GFX90A:TG_SPLIT: 0
	.section	.text._ZN7rocprim17ROCPRIM_400000_NS6detail17trampoline_kernelINS0_14default_configENS1_35adjacent_difference_config_selectorILb1ElEEZNS1_24adjacent_difference_implIS3_Lb1ELb0EPlS7_ZN2at6native12_GLOBAL__N_124unique_dim_cuda_templateItEESt5tupleIJNS8_6TensorESD_SD_EERKSD_lbbbEUlllE1_EE10hipError_tPvRmT2_T3_mT4_P12ihipStream_tbEUlT_E_NS1_11comp_targetILNS1_3genE10ELNS1_11target_archE1201ELNS1_3gpuE5ELNS1_3repE0EEENS1_30default_config_static_selectorELNS0_4arch9wavefront6targetE1EEEvT1_,"axG",@progbits,_ZN7rocprim17ROCPRIM_400000_NS6detail17trampoline_kernelINS0_14default_configENS1_35adjacent_difference_config_selectorILb1ElEEZNS1_24adjacent_difference_implIS3_Lb1ELb0EPlS7_ZN2at6native12_GLOBAL__N_124unique_dim_cuda_templateItEESt5tupleIJNS8_6TensorESD_SD_EERKSD_lbbbEUlllE1_EE10hipError_tPvRmT2_T3_mT4_P12ihipStream_tbEUlT_E_NS1_11comp_targetILNS1_3genE10ELNS1_11target_archE1201ELNS1_3gpuE5ELNS1_3repE0EEENS1_30default_config_static_selectorELNS0_4arch9wavefront6targetE1EEEvT1_,comdat
	.globl	_ZN7rocprim17ROCPRIM_400000_NS6detail17trampoline_kernelINS0_14default_configENS1_35adjacent_difference_config_selectorILb1ElEEZNS1_24adjacent_difference_implIS3_Lb1ELb0EPlS7_ZN2at6native12_GLOBAL__N_124unique_dim_cuda_templateItEESt5tupleIJNS8_6TensorESD_SD_EERKSD_lbbbEUlllE1_EE10hipError_tPvRmT2_T3_mT4_P12ihipStream_tbEUlT_E_NS1_11comp_targetILNS1_3genE10ELNS1_11target_archE1201ELNS1_3gpuE5ELNS1_3repE0EEENS1_30default_config_static_selectorELNS0_4arch9wavefront6targetE1EEEvT1_ ; -- Begin function _ZN7rocprim17ROCPRIM_400000_NS6detail17trampoline_kernelINS0_14default_configENS1_35adjacent_difference_config_selectorILb1ElEEZNS1_24adjacent_difference_implIS3_Lb1ELb0EPlS7_ZN2at6native12_GLOBAL__N_124unique_dim_cuda_templateItEESt5tupleIJNS8_6TensorESD_SD_EERKSD_lbbbEUlllE1_EE10hipError_tPvRmT2_T3_mT4_P12ihipStream_tbEUlT_E_NS1_11comp_targetILNS1_3genE10ELNS1_11target_archE1201ELNS1_3gpuE5ELNS1_3repE0EEENS1_30default_config_static_selectorELNS0_4arch9wavefront6targetE1EEEvT1_
	.p2align	8
	.type	_ZN7rocprim17ROCPRIM_400000_NS6detail17trampoline_kernelINS0_14default_configENS1_35adjacent_difference_config_selectorILb1ElEEZNS1_24adjacent_difference_implIS3_Lb1ELb0EPlS7_ZN2at6native12_GLOBAL__N_124unique_dim_cuda_templateItEESt5tupleIJNS8_6TensorESD_SD_EERKSD_lbbbEUlllE1_EE10hipError_tPvRmT2_T3_mT4_P12ihipStream_tbEUlT_E_NS1_11comp_targetILNS1_3genE10ELNS1_11target_archE1201ELNS1_3gpuE5ELNS1_3repE0EEENS1_30default_config_static_selectorELNS0_4arch9wavefront6targetE1EEEvT1_,@function
_ZN7rocprim17ROCPRIM_400000_NS6detail17trampoline_kernelINS0_14default_configENS1_35adjacent_difference_config_selectorILb1ElEEZNS1_24adjacent_difference_implIS3_Lb1ELb0EPlS7_ZN2at6native12_GLOBAL__N_124unique_dim_cuda_templateItEESt5tupleIJNS8_6TensorESD_SD_EERKSD_lbbbEUlllE1_EE10hipError_tPvRmT2_T3_mT4_P12ihipStream_tbEUlT_E_NS1_11comp_targetILNS1_3genE10ELNS1_11target_archE1201ELNS1_3gpuE5ELNS1_3repE0EEENS1_30default_config_static_selectorELNS0_4arch9wavefront6targetE1EEEvT1_: ; @_ZN7rocprim17ROCPRIM_400000_NS6detail17trampoline_kernelINS0_14default_configENS1_35adjacent_difference_config_selectorILb1ElEEZNS1_24adjacent_difference_implIS3_Lb1ELb0EPlS7_ZN2at6native12_GLOBAL__N_124unique_dim_cuda_templateItEESt5tupleIJNS8_6TensorESD_SD_EERKSD_lbbbEUlllE1_EE10hipError_tPvRmT2_T3_mT4_P12ihipStream_tbEUlT_E_NS1_11comp_targetILNS1_3genE10ELNS1_11target_archE1201ELNS1_3gpuE5ELNS1_3repE0EEENS1_30default_config_static_selectorELNS0_4arch9wavefront6targetE1EEEvT1_
; %bb.0:
	.section	.rodata,"a",@progbits
	.p2align	6, 0x0
	.amdhsa_kernel _ZN7rocprim17ROCPRIM_400000_NS6detail17trampoline_kernelINS0_14default_configENS1_35adjacent_difference_config_selectorILb1ElEEZNS1_24adjacent_difference_implIS3_Lb1ELb0EPlS7_ZN2at6native12_GLOBAL__N_124unique_dim_cuda_templateItEESt5tupleIJNS8_6TensorESD_SD_EERKSD_lbbbEUlllE1_EE10hipError_tPvRmT2_T3_mT4_P12ihipStream_tbEUlT_E_NS1_11comp_targetILNS1_3genE10ELNS1_11target_archE1201ELNS1_3gpuE5ELNS1_3repE0EEENS1_30default_config_static_selectorELNS0_4arch9wavefront6targetE1EEEvT1_
		.amdhsa_group_segment_fixed_size 0
		.amdhsa_private_segment_fixed_size 0
		.amdhsa_kernarg_size 64
		.amdhsa_user_sgpr_count 2
		.amdhsa_user_sgpr_dispatch_ptr 0
		.amdhsa_user_sgpr_queue_ptr 0
		.amdhsa_user_sgpr_kernarg_segment_ptr 1
		.amdhsa_user_sgpr_dispatch_id 0
		.amdhsa_user_sgpr_kernarg_preload_length 0
		.amdhsa_user_sgpr_kernarg_preload_offset 0
		.amdhsa_user_sgpr_private_segment_size 0
		.amdhsa_uses_dynamic_stack 0
		.amdhsa_enable_private_segment 0
		.amdhsa_system_sgpr_workgroup_id_x 1
		.amdhsa_system_sgpr_workgroup_id_y 0
		.amdhsa_system_sgpr_workgroup_id_z 0
		.amdhsa_system_sgpr_workgroup_info 0
		.amdhsa_system_vgpr_workitem_id 0
		.amdhsa_next_free_vgpr 1
		.amdhsa_next_free_sgpr 0
		.amdhsa_accum_offset 4
		.amdhsa_reserve_vcc 0
		.amdhsa_float_round_mode_32 0
		.amdhsa_float_round_mode_16_64 0
		.amdhsa_float_denorm_mode_32 3
		.amdhsa_float_denorm_mode_16_64 3
		.amdhsa_dx10_clamp 1
		.amdhsa_ieee_mode 1
		.amdhsa_fp16_overflow 0
		.amdhsa_tg_split 0
		.amdhsa_exception_fp_ieee_invalid_op 0
		.amdhsa_exception_fp_denorm_src 0
		.amdhsa_exception_fp_ieee_div_zero 0
		.amdhsa_exception_fp_ieee_overflow 0
		.amdhsa_exception_fp_ieee_underflow 0
		.amdhsa_exception_fp_ieee_inexact 0
		.amdhsa_exception_int_div_zero 0
	.end_amdhsa_kernel
	.section	.text._ZN7rocprim17ROCPRIM_400000_NS6detail17trampoline_kernelINS0_14default_configENS1_35adjacent_difference_config_selectorILb1ElEEZNS1_24adjacent_difference_implIS3_Lb1ELb0EPlS7_ZN2at6native12_GLOBAL__N_124unique_dim_cuda_templateItEESt5tupleIJNS8_6TensorESD_SD_EERKSD_lbbbEUlllE1_EE10hipError_tPvRmT2_T3_mT4_P12ihipStream_tbEUlT_E_NS1_11comp_targetILNS1_3genE10ELNS1_11target_archE1201ELNS1_3gpuE5ELNS1_3repE0EEENS1_30default_config_static_selectorELNS0_4arch9wavefront6targetE1EEEvT1_,"axG",@progbits,_ZN7rocprim17ROCPRIM_400000_NS6detail17trampoline_kernelINS0_14default_configENS1_35adjacent_difference_config_selectorILb1ElEEZNS1_24adjacent_difference_implIS3_Lb1ELb0EPlS7_ZN2at6native12_GLOBAL__N_124unique_dim_cuda_templateItEESt5tupleIJNS8_6TensorESD_SD_EERKSD_lbbbEUlllE1_EE10hipError_tPvRmT2_T3_mT4_P12ihipStream_tbEUlT_E_NS1_11comp_targetILNS1_3genE10ELNS1_11target_archE1201ELNS1_3gpuE5ELNS1_3repE0EEENS1_30default_config_static_selectorELNS0_4arch9wavefront6targetE1EEEvT1_,comdat
.Lfunc_end1421:
	.size	_ZN7rocprim17ROCPRIM_400000_NS6detail17trampoline_kernelINS0_14default_configENS1_35adjacent_difference_config_selectorILb1ElEEZNS1_24adjacent_difference_implIS3_Lb1ELb0EPlS7_ZN2at6native12_GLOBAL__N_124unique_dim_cuda_templateItEESt5tupleIJNS8_6TensorESD_SD_EERKSD_lbbbEUlllE1_EE10hipError_tPvRmT2_T3_mT4_P12ihipStream_tbEUlT_E_NS1_11comp_targetILNS1_3genE10ELNS1_11target_archE1201ELNS1_3gpuE5ELNS1_3repE0EEENS1_30default_config_static_selectorELNS0_4arch9wavefront6targetE1EEEvT1_, .Lfunc_end1421-_ZN7rocprim17ROCPRIM_400000_NS6detail17trampoline_kernelINS0_14default_configENS1_35adjacent_difference_config_selectorILb1ElEEZNS1_24adjacent_difference_implIS3_Lb1ELb0EPlS7_ZN2at6native12_GLOBAL__N_124unique_dim_cuda_templateItEESt5tupleIJNS8_6TensorESD_SD_EERKSD_lbbbEUlllE1_EE10hipError_tPvRmT2_T3_mT4_P12ihipStream_tbEUlT_E_NS1_11comp_targetILNS1_3genE10ELNS1_11target_archE1201ELNS1_3gpuE5ELNS1_3repE0EEENS1_30default_config_static_selectorELNS0_4arch9wavefront6targetE1EEEvT1_
                                        ; -- End function
	.section	.AMDGPU.csdata,"",@progbits
; Kernel info:
; codeLenInByte = 0
; NumSgprs: 6
; NumVgprs: 0
; NumAgprs: 0
; TotalNumVgprs: 0
; ScratchSize: 0
; MemoryBound: 0
; FloatMode: 240
; IeeeMode: 1
; LDSByteSize: 0 bytes/workgroup (compile time only)
; SGPRBlocks: 0
; VGPRBlocks: 0
; NumSGPRsForWavesPerEU: 6
; NumVGPRsForWavesPerEU: 1
; AccumOffset: 4
; Occupancy: 8
; WaveLimiterHint : 0
; COMPUTE_PGM_RSRC2:SCRATCH_EN: 0
; COMPUTE_PGM_RSRC2:USER_SGPR: 2
; COMPUTE_PGM_RSRC2:TRAP_HANDLER: 0
; COMPUTE_PGM_RSRC2:TGID_X_EN: 1
; COMPUTE_PGM_RSRC2:TGID_Y_EN: 0
; COMPUTE_PGM_RSRC2:TGID_Z_EN: 0
; COMPUTE_PGM_RSRC2:TIDIG_COMP_CNT: 0
; COMPUTE_PGM_RSRC3_GFX90A:ACCUM_OFFSET: 0
; COMPUTE_PGM_RSRC3_GFX90A:TG_SPLIT: 0
	.section	.text._ZN7rocprim17ROCPRIM_400000_NS6detail17trampoline_kernelINS0_14default_configENS1_35adjacent_difference_config_selectorILb1ElEEZNS1_24adjacent_difference_implIS3_Lb1ELb0EPlS7_ZN2at6native12_GLOBAL__N_124unique_dim_cuda_templateItEESt5tupleIJNS8_6TensorESD_SD_EERKSD_lbbbEUlllE1_EE10hipError_tPvRmT2_T3_mT4_P12ihipStream_tbEUlT_E_NS1_11comp_targetILNS1_3genE5ELNS1_11target_archE942ELNS1_3gpuE9ELNS1_3repE0EEENS1_30default_config_static_selectorELNS0_4arch9wavefront6targetE1EEEvT1_,"axG",@progbits,_ZN7rocprim17ROCPRIM_400000_NS6detail17trampoline_kernelINS0_14default_configENS1_35adjacent_difference_config_selectorILb1ElEEZNS1_24adjacent_difference_implIS3_Lb1ELb0EPlS7_ZN2at6native12_GLOBAL__N_124unique_dim_cuda_templateItEESt5tupleIJNS8_6TensorESD_SD_EERKSD_lbbbEUlllE1_EE10hipError_tPvRmT2_T3_mT4_P12ihipStream_tbEUlT_E_NS1_11comp_targetILNS1_3genE5ELNS1_11target_archE942ELNS1_3gpuE9ELNS1_3repE0EEENS1_30default_config_static_selectorELNS0_4arch9wavefront6targetE1EEEvT1_,comdat
	.globl	_ZN7rocprim17ROCPRIM_400000_NS6detail17trampoline_kernelINS0_14default_configENS1_35adjacent_difference_config_selectorILb1ElEEZNS1_24adjacent_difference_implIS3_Lb1ELb0EPlS7_ZN2at6native12_GLOBAL__N_124unique_dim_cuda_templateItEESt5tupleIJNS8_6TensorESD_SD_EERKSD_lbbbEUlllE1_EE10hipError_tPvRmT2_T3_mT4_P12ihipStream_tbEUlT_E_NS1_11comp_targetILNS1_3genE5ELNS1_11target_archE942ELNS1_3gpuE9ELNS1_3repE0EEENS1_30default_config_static_selectorELNS0_4arch9wavefront6targetE1EEEvT1_ ; -- Begin function _ZN7rocprim17ROCPRIM_400000_NS6detail17trampoline_kernelINS0_14default_configENS1_35adjacent_difference_config_selectorILb1ElEEZNS1_24adjacent_difference_implIS3_Lb1ELb0EPlS7_ZN2at6native12_GLOBAL__N_124unique_dim_cuda_templateItEESt5tupleIJNS8_6TensorESD_SD_EERKSD_lbbbEUlllE1_EE10hipError_tPvRmT2_T3_mT4_P12ihipStream_tbEUlT_E_NS1_11comp_targetILNS1_3genE5ELNS1_11target_archE942ELNS1_3gpuE9ELNS1_3repE0EEENS1_30default_config_static_selectorELNS0_4arch9wavefront6targetE1EEEvT1_
	.p2align	8
	.type	_ZN7rocprim17ROCPRIM_400000_NS6detail17trampoline_kernelINS0_14default_configENS1_35adjacent_difference_config_selectorILb1ElEEZNS1_24adjacent_difference_implIS3_Lb1ELb0EPlS7_ZN2at6native12_GLOBAL__N_124unique_dim_cuda_templateItEESt5tupleIJNS8_6TensorESD_SD_EERKSD_lbbbEUlllE1_EE10hipError_tPvRmT2_T3_mT4_P12ihipStream_tbEUlT_E_NS1_11comp_targetILNS1_3genE5ELNS1_11target_archE942ELNS1_3gpuE9ELNS1_3repE0EEENS1_30default_config_static_selectorELNS0_4arch9wavefront6targetE1EEEvT1_,@function
_ZN7rocprim17ROCPRIM_400000_NS6detail17trampoline_kernelINS0_14default_configENS1_35adjacent_difference_config_selectorILb1ElEEZNS1_24adjacent_difference_implIS3_Lb1ELb0EPlS7_ZN2at6native12_GLOBAL__N_124unique_dim_cuda_templateItEESt5tupleIJNS8_6TensorESD_SD_EERKSD_lbbbEUlllE1_EE10hipError_tPvRmT2_T3_mT4_P12ihipStream_tbEUlT_E_NS1_11comp_targetILNS1_3genE5ELNS1_11target_archE942ELNS1_3gpuE9ELNS1_3repE0EEENS1_30default_config_static_selectorELNS0_4arch9wavefront6targetE1EEEvT1_: ; @_ZN7rocprim17ROCPRIM_400000_NS6detail17trampoline_kernelINS0_14default_configENS1_35adjacent_difference_config_selectorILb1ElEEZNS1_24adjacent_difference_implIS3_Lb1ELb0EPlS7_ZN2at6native12_GLOBAL__N_124unique_dim_cuda_templateItEESt5tupleIJNS8_6TensorESD_SD_EERKSD_lbbbEUlllE1_EE10hipError_tPvRmT2_T3_mT4_P12ihipStream_tbEUlT_E_NS1_11comp_targetILNS1_3genE5ELNS1_11target_archE942ELNS1_3gpuE9ELNS1_3repE0EEENS1_30default_config_static_selectorELNS0_4arch9wavefront6targetE1EEEvT1_
; %bb.0:
	s_load_dwordx16 s[4:19], s[0:1], 0x0
	s_mov_b32 s1, 0x545d15a0
	v_bfrev_b32_e32 v1, 4
	s_movk_i32 s0, 0xb00
	s_mul_i32 s20, s2, 0xb00
	s_waitcnt lgkmcnt(0)
	s_lshl_b64 s[6:7], s[6:7], 3
	s_add_u32 s30, s4, s6
	s_addc_u32 s31, s5, s7
	s_add_u32 s1, 0x74, s1
	s_addc_u32 s4, 0, 0
	v_add_co_u32_e32 v1, vcc, s1, v1
	s_cmp_lg_u64 vcc, 0
	v_readfirstlane_b32 s5, v1
	s_addc_u32 s1, s4, 0x1745d1
	s_mul_hi_u32 s21, s5, 0xfffff500
	s_mul_i32 s4, s1, 0xfffff500
	s_sub_i32 s21, s21, s5
	s_add_i32 s21, s21, s4
	s_mul_i32 s23, s5, 0xfffff500
	s_mul_hi_u32 s4, s5, s21
	s_mul_i32 s22, s5, s21
	s_mul_hi_u32 s5, s5, s23
	s_add_u32 s5, s5, s22
	s_addc_u32 s4, 0, s4
	s_mul_hi_u32 s24, s1, s23
	s_mul_i32 s23, s1, s23
	s_add_u32 s5, s5, s23
	s_mul_hi_u32 s22, s1, s21
	s_addc_u32 s4, s4, s24
	s_addc_u32 s5, s22, 0
	s_mul_i32 s21, s1, s21
	s_add_u32 s4, s4, s21
	s_addc_u32 s5, 0, s5
	v_add_co_u32_e32 v1, vcc, s4, v1
	s_cmp_lg_u64 vcc, 0
	s_addc_u32 s1, s1, s5
	v_readfirstlane_b32 s21, v1
	s_mul_i32 s5, s10, s1
	s_mul_hi_u32 s22, s10, s21
	s_mul_hi_u32 s4, s10, s1
	s_add_u32 s5, s22, s5
	s_addc_u32 s4, 0, s4
	s_mul_hi_u32 s23, s11, s21
	s_mul_i32 s21, s11, s21
	s_add_u32 s5, s5, s21
	s_mul_hi_u32 s22, s11, s1
	s_addc_u32 s4, s4, s23
	s_addc_u32 s5, s22, 0
	s_mul_i32 s1, s11, s1
	s_add_u32 s1, s4, s1
	s_addc_u32 s4, 0, s5
	s_add_u32 s5, s1, 1
	s_addc_u32 s21, s4, 0
	s_add_u32 s22, s1, 2
	s_mul_i32 s24, s4, 0xb00
	s_mul_hi_u32 s25, s1, 0xb00
	s_addc_u32 s23, s4, 0
	s_add_i32 s25, s25, s24
	s_mul_i32 s24, s1, 0xb00
	v_mov_b32_e32 v1, s24
	v_sub_co_u32_e32 v1, vcc, s10, v1
	s_cmp_lg_u64 vcc, 0
	s_subb_u32 s24, s11, s25
	v_subrev_co_u32_e32 v2, vcc, s0, v1
	s_cmp_lg_u64 vcc, 0
	s_subb_u32 s0, s24, 0
	v_readfirstlane_b32 s25, v2
	s_cmpk_gt_u32 s25, 0xaff
	s_cselect_b32 s25, -1, 0
	s_cmp_eq_u32 s0, 0
	s_cselect_b32 s0, s25, -1
	s_cmp_lg_u32 s0, 0
	s_cselect_b32 s0, s22, s5
	s_cselect_b32 s5, s23, s21
	v_readfirstlane_b32 s21, v1
	s_cmpk_gt_u32 s21, 0xaff
	s_cselect_b32 s21, -1, 0
	s_cmp_eq_u32 s24, 0
	s_cselect_b32 s21, s21, -1
	s_cmp_lg_u32 s21, 0
	s_cselect_b32 s5, s5, s4
	s_cselect_b32 s4, s0, s1
	s_mul_i32 s0, s5, 0xb00
	s_mul_hi_u32 s1, s4, 0xb00
	s_add_i32 s1, s1, s0
	s_mul_i32 s0, s4, 0xb00
	s_sub_u32 s0, s10, s0
	s_subb_u32 s1, s11, s1
	s_cmp_lg_u64 s[0:1], 0
	s_cselect_b64 s[0:1], -1, 0
	v_cndmask_b32_e64 v1, 0, 1, s[0:1]
	s_mov_b32 s3, 0
	v_readfirstlane_b32 s0, v1
	s_add_u32 s4, s4, s0
	s_addc_u32 s5, s5, 0
	s_add_u32 s24, s18, s2
	s_addc_u32 s25, s19, 0
	s_add_u32 s26, s4, -1
	s_addc_u32 s27, s5, -1
	v_mov_b64_e32 v[2:3], s[26:27]
	v_cmp_ge_u64_e64 s[0:1], s[24:25], v[2:3]
	s_mov_b64 s[22:23], -1
	s_and_b64 vcc, exec, s[0:1]
	s_mul_i32 s11, s26, 0xfffff500
	s_cbranch_vccz .LBB1422_24
; %bb.1:
	s_mov_b32 s21, s3
	s_add_i32 s33, s11, s10
	s_lshl_b64 s[22:23], s[20:21], 3
	s_add_u32 s22, s30, s22
	s_addc_u32 s23, s31, s23
	v_cmp_gt_u32_e32 vcc, s33, v0
                                        ; implicit-def: $vgpr2_vgpr3_vgpr4_vgpr5_vgpr6_vgpr7_vgpr8_vgpr9_vgpr10_vgpr11_vgpr12_vgpr13_vgpr14_vgpr15_vgpr16_vgpr17_vgpr18_vgpr19_vgpr20_vgpr21_vgpr22_vgpr23_vgpr24_vgpr25_vgpr26_vgpr27_vgpr28_vgpr29_vgpr30_vgpr31_vgpr32_vgpr33
	s_and_saveexec_b64 s[28:29], vcc
	s_cbranch_execz .LBB1422_3
; %bb.2:
	v_lshlrev_b32_e32 v1, 3, v0
	global_load_dwordx2 v[2:3], v1, s[22:23]
.LBB1422_3:
	s_or_b64 exec, exec, s[28:29]
	v_or_b32_e32 v1, 0x100, v0
	v_cmp_gt_u32_e32 vcc, s33, v1
	s_and_saveexec_b64 s[28:29], vcc
	s_cbranch_execz .LBB1422_5
; %bb.4:
	v_lshlrev_b32_e32 v1, 3, v0
	global_load_dwordx2 v[4:5], v1, s[22:23] offset:2048
.LBB1422_5:
	s_or_b64 exec, exec, s[28:29]
	v_or_b32_e32 v1, 0x200, v0
	v_cmp_gt_u32_e32 vcc, s33, v1
	s_and_saveexec_b64 s[28:29], vcc
	s_cbranch_execz .LBB1422_7
; %bb.6:
	v_lshlrev_b32_e32 v1, 3, v1
	global_load_dwordx2 v[6:7], v1, s[22:23]
.LBB1422_7:
	s_or_b64 exec, exec, s[28:29]
	v_or_b32_e32 v1, 0x300, v0
	v_cmp_gt_u32_e32 vcc, s33, v1
	s_and_saveexec_b64 s[28:29], vcc
	s_cbranch_execz .LBB1422_9
; %bb.8:
	v_lshlrev_b32_e32 v1, 3, v1
	global_load_dwordx2 v[8:9], v1, s[22:23]
.LBB1422_9:
	;; [unrolled: 9-line block ×9, first 2 shown]
	s_or_b64 exec, exec, s[28:29]
	v_lshlrev_b32_e32 v1, 3, v0
	s_mov_b64 s[22:23], 0
	s_waitcnt vmcnt(0)
	ds_write2st64_b64 v1, v[2:3], v[4:5] offset1:4
	ds_write2st64_b64 v1, v[6:7], v[8:9] offset0:8 offset1:12
	ds_write2st64_b64 v1, v[10:11], v[12:13] offset0:16 offset1:20
	ds_write2st64_b64 v1, v[14:15], v[16:17] offset0:24 offset1:28
	ds_write2st64_b64 v1, v[18:19], v[20:21] offset0:32 offset1:36
	ds_write_b64 v1, v[22:23] offset:20480
	s_waitcnt lgkmcnt(0)
	s_barrier
.LBB1422_24:
	s_and_b64 vcc, exec, s[22:23]
	v_lshlrev_b32_e32 v40, 3, v0
	s_cbranch_vccz .LBB1422_26
; %bb.25:
	s_mov_b32 s21, 0
	s_lshl_b64 s[22:23], s[20:21], 3
	s_add_u32 s22, s30, s22
	s_addc_u32 s23, s31, s23
	v_mov_b32_e32 v41, 0
	v_lshl_add_u64 v[2:3], s[22:23], 0, v[40:41]
	v_add_co_u32_e32 v8, vcc, 0x1000, v2
	global_load_dwordx2 v[4:5], v40, s[22:23]
	global_load_dwordx2 v[6:7], v40, s[22:23] offset:2048
	v_addc_co_u32_e32 v9, vcc, 0, v3, vcc
	v_add_co_u32_e32 v10, vcc, 0x2000, v2
	s_nop 1
	v_addc_co_u32_e32 v11, vcc, 0, v3, vcc
	global_load_dwordx2 v[12:13], v[8:9], off
	global_load_dwordx2 v[14:15], v[8:9], off offset:2048
	global_load_dwordx2 v[16:17], v[10:11], off
	global_load_dwordx2 v[18:19], v[10:11], off offset:2048
	v_add_co_u32_e32 v8, vcc, 0x3000, v2
	s_nop 1
	v_addc_co_u32_e32 v9, vcc, 0, v3, vcc
	v_add_co_u32_e32 v10, vcc, 0x4000, v2
	s_nop 1
	v_addc_co_u32_e32 v11, vcc, 0, v3, vcc
	global_load_dwordx2 v[20:21], v[8:9], off
	global_load_dwordx2 v[22:23], v[8:9], off offset:2048
	global_load_dwordx2 v[24:25], v[10:11], off
	global_load_dwordx2 v[26:27], v[10:11], off offset:2048
	v_add_co_u32_e32 v2, vcc, 0x5000, v2
	s_nop 1
	v_addc_co_u32_e32 v3, vcc, 0, v3, vcc
	global_load_dwordx2 v[2:3], v[2:3], off
	s_waitcnt vmcnt(9)
	ds_write2st64_b64 v40, v[4:5], v[6:7] offset1:4
	s_waitcnt vmcnt(7)
	ds_write2st64_b64 v40, v[12:13], v[14:15] offset0:8 offset1:12
	s_waitcnt vmcnt(5)
	ds_write2st64_b64 v40, v[16:17], v[18:19] offset0:16 offset1:20
	;; [unrolled: 2-line block ×4, first 2 shown]
	s_waitcnt vmcnt(0)
	ds_write_b64 v40, v[2:3] offset:20480
	s_waitcnt lgkmcnt(0)
	s_barrier
.LBB1422_26:
	v_mul_u32_u24_e32 v1, 11, v0
	v_lshlrev_b32_e32 v1, 3, v1
	ds_read2_b64 v[2:5], v1 offset1:1
	ds_read2_b64 v[6:9], v1 offset0:2 offset1:3
	ds_read2_b64 v[10:13], v1 offset0:4 offset1:5
	;; [unrolled: 1-line block ×4, first 2 shown]
	ds_read_b64 v[36:37], v1 offset:80
	s_cmp_eq_u64 s[24:25], 0
	s_mov_b64 s[22:23], 0
	s_waitcnt lgkmcnt(0)
	s_barrier
	s_cbranch_scc1 .LBB1422_35
; %bb.27:
	s_lshl_b64 s[18:19], s[18:19], 3
	s_add_u32 s16, s16, s18
	s_addc_u32 s17, s17, s19
	s_lshl_b64 s[2:3], s[2:3], 3
	s_add_u32 s2, s16, s2
	s_addc_u32 s3, s17, s3
	s_add_u32 s2, s2, -8
	s_addc_u32 s3, s3, -1
	s_load_dwordx2 s[16:17], s[2:3], 0x0
	s_cmp_lg_u64 s[24:25], s[26:27]
	s_cbranch_scc0 .LBB1422_36
; %bb.28:
	v_mul_lo_u32 v1, v21, s12
	v_mul_lo_u32 v24, v20, s13
	v_mad_u64_u32 v[22:23], s[22:23], v20, s12, 0
	v_mov_b64_e32 v[38:39], 0
	v_cmp_lt_i64_e64 s[2:3], s[12:13], 1
	v_add3_u32 v23, v23, v24, v1
	v_cmp_gt_i64_e64 s[18:19], s[12:13], 0
	s_and_b64 vcc, exec, s[2:3]
	v_lshl_add_u64 v[22:23], v[22:23], 1, s[14:15]
	v_mov_b64_e32 v[42:43], v[38:39]
	ds_write_b64 v40, v[36:37]
	s_cbranch_vccnz .LBB1422_40
; %bb.29:
	v_mul_lo_u32 v1, v37, s12
	v_mul_lo_u32 v26, v36, s13
	v_mad_u64_u32 v[24:25], s[2:3], v36, s12, 0
	v_add3_u32 v25, v25, v26, v1
	v_lshl_add_u64 v[26:27], v[24:25], 1, s[14:15]
	global_load_ushort v1, v[26:27], off
	global_load_ushort v24, v[22:23], off
	v_mov_b64_e32 v[42:43], 1
	s_waitcnt vmcnt(0)
	v_cmp_eq_u16_e32 vcc, v1, v24
	s_and_saveexec_b64 s[2:3], vcc
	s_cbranch_execz .LBB1422_39
; %bb.30:
	s_add_u32 s22, s12, -1
	v_lshl_add_u64 v[24:25], v[22:23], 0, 2
	v_lshl_add_u64 v[26:27], v[26:27], 0, 2
	s_addc_u32 s23, s13, -1
	s_mov_b64 s[26:27], 0
	s_mov_b64 s[30:31], 0
                                        ; implicit-def: $sgpr28_sgpr29
	s_branch .LBB1422_33
.LBB1422_31:                            ;   in Loop: Header=BB1422_33 Depth=1
	global_load_ushort v1, v[26:27], off
	global_load_ushort v28, v[24:25], off
	s_add_u32 s30, s30, 1
	s_addc_u32 s31, s31, 0
	s_andn2_b64 s[28:29], s[28:29], exec
	v_lshl_add_u64 v[24:25], v[24:25], 0, 2
	v_lshl_add_u64 v[26:27], v[26:27], 0, 2
	s_waitcnt vmcnt(0)
	v_cmp_ne_u16_e32 vcc, v1, v28
	s_and_b64 s[34:35], vcc, exec
	s_or_b64 s[28:29], s[28:29], s[34:35]
.LBB1422_32:                            ;   in Loop: Header=BB1422_33 Depth=1
	s_and_b64 s[34:35], exec, s[28:29]
	s_or_b64 s[26:27], s[34:35], s[26:27]
	v_mov_b64_e32 v[28:29], s[30:31]
	s_andn2_b64 exec, exec, s[26:27]
	s_cbranch_execz .LBB1422_38
.LBB1422_33:                            ; =>This Inner Loop Header: Depth=1
	s_or_b64 s[28:29], s[28:29], exec
	s_cmp_eq_u64 s[22:23], s[30:31]
	s_cbranch_scc0 .LBB1422_31
; %bb.34:                               ;   in Loop: Header=BB1422_33 Depth=1
                                        ; implicit-def: $vgpr24_vgpr25
                                        ; implicit-def: $vgpr26_vgpr27
	s_mov_b64 s[30:31], s[12:13]
	s_branch .LBB1422_32
.LBB1422_35:
                                        ; implicit-def: $vgpr22_vgpr23_vgpr24_vgpr25
                                        ; implicit-def: $sgpr18_sgpr19
                                        ; implicit-def: $vgpr42_vgpr43
                                        ; implicit-def: $vgpr44_vgpr45
                                        ; implicit-def: $vgpr38_vgpr39
                                        ; implicit-def: $vgpr58_vgpr59
                                        ; implicit-def: $vgpr56_vgpr57
                                        ; implicit-def: $vgpr54_vgpr55
                                        ; implicit-def: $vgpr52_vgpr53
                                        ; implicit-def: $vgpr50_vgpr51
                                        ; implicit-def: $vgpr48_vgpr49
                                        ; implicit-def: $vgpr46_vgpr47
                                        ; implicit-def: $vgpr60_vgpr61
                                        ; implicit-def: $vgpr68_vgpr69
                                        ; implicit-def: $vgpr62_vgpr63
                                        ; implicit-def: $vgpr64_vgpr65
                                        ; implicit-def: $vgpr66_vgpr67
                                        ; implicit-def: $vgpr24_vgpr25_vgpr26_vgpr27
                                        ; implicit-def: $vgpr28_vgpr29_vgpr30_vgpr31
                                        ; implicit-def: $vgpr32_vgpr33_vgpr34_vgpr35
	s_cbranch_execnz .LBB1422_259
	s_branch .LBB1422_488
.LBB1422_36:
                                        ; implicit-def: $sgpr18_sgpr19
                                        ; implicit-def: $vgpr42_vgpr43
                                        ; implicit-def: $vgpr44_vgpr45
                                        ; implicit-def: $vgpr38_vgpr39
                                        ; implicit-def: $vgpr58_vgpr59
                                        ; implicit-def: $vgpr56_vgpr57
                                        ; implicit-def: $vgpr54_vgpr55
                                        ; implicit-def: $vgpr52_vgpr53
                                        ; implicit-def: $vgpr50_vgpr51
                                        ; implicit-def: $vgpr48_vgpr49
                                        ; implicit-def: $vgpr46_vgpr47
	s_cbranch_execnz .LBB1422_134
.LBB1422_37:
                                        ; implicit-def: $vgpr22_vgpr23_vgpr24_vgpr25
                                        ; implicit-def: $vgpr60_vgpr61
                                        ; implicit-def: $vgpr68_vgpr69
                                        ; implicit-def: $vgpr62_vgpr63
                                        ; implicit-def: $vgpr64_vgpr65
                                        ; implicit-def: $vgpr66_vgpr67
                                        ; implicit-def: $vgpr28_vgpr29_vgpr30_vgpr31
                                        ; implicit-def: $vgpr32_vgpr33_vgpr34_vgpr35
                                        ; implicit-def: $vgpr24_vgpr25_vgpr26_vgpr27
	s_branch .LBB1422_488
.LBB1422_38:
	s_or_b64 exec, exec, s[26:27]
	v_cmp_gt_i64_e32 vcc, s[12:13], v[28:29]
	s_mov_b32 s21, 0
	v_mov_b32_e32 v43, s21
	v_cndmask_b32_e64 v42, 0, 1, vcc
.LBB1422_39:
	s_or_b64 exec, exec, s[2:3]
.LBB1422_40:
	v_mul_lo_u32 v1, v19, s12
	v_mul_lo_u32 v26, v18, s13
	v_mad_u64_u32 v[24:25], s[2:3], v18, s12, 0
	v_add3_u32 v25, v25, v26, v1
	v_cndmask_b32_e64 v1, 0, 1, s[18:19]
	v_cmp_ne_u32_e64 s[2:3], 1, v1
	s_andn2_b64 vcc, exec, s[18:19]
	v_lshl_add_u64 v[24:25], v[24:25], 1, s[14:15]
	v_mov_b64_e32 v[44:45], v[38:39]
	s_cbranch_vccnz .LBB1422_49
; %bb.41:
	global_load_ushort v1, v[22:23], off
	global_load_ushort v26, v[24:25], off
	v_mov_b64_e32 v[44:45], 1
	s_waitcnt vmcnt(0)
	v_cmp_eq_u16_e32 vcc, v1, v26
	s_and_saveexec_b64 s[18:19], vcc
	s_cbranch_execz .LBB1422_48
; %bb.42:
	s_add_u32 s22, s12, -1
	v_lshl_add_u64 v[26:27], v[24:25], 0, 2
	v_lshl_add_u64 v[22:23], v[22:23], 0, 2
	s_addc_u32 s23, s13, -1
	s_mov_b64 s[26:27], 0
	s_mov_b64 s[30:31], 0
                                        ; implicit-def: $sgpr28_sgpr29
	s_branch .LBB1422_45
.LBB1422_43:                            ;   in Loop: Header=BB1422_45 Depth=1
	global_load_ushort v1, v[22:23], off
	global_load_ushort v28, v[26:27], off
	s_add_u32 s30, s30, 1
	s_addc_u32 s31, s31, 0
	s_andn2_b64 s[28:29], s[28:29], exec
	v_lshl_add_u64 v[26:27], v[26:27], 0, 2
	v_lshl_add_u64 v[22:23], v[22:23], 0, 2
	s_waitcnt vmcnt(0)
	v_cmp_ne_u16_e32 vcc, v1, v28
	s_and_b64 s[34:35], vcc, exec
	s_or_b64 s[28:29], s[28:29], s[34:35]
.LBB1422_44:                            ;   in Loop: Header=BB1422_45 Depth=1
	s_and_b64 s[34:35], exec, s[28:29]
	s_or_b64 s[26:27], s[34:35], s[26:27]
	v_mov_b64_e32 v[28:29], s[30:31]
	s_andn2_b64 exec, exec, s[26:27]
	s_cbranch_execz .LBB1422_47
.LBB1422_45:                            ; =>This Inner Loop Header: Depth=1
	s_or_b64 s[28:29], s[28:29], exec
	s_cmp_eq_u64 s[22:23], s[30:31]
	s_cbranch_scc0 .LBB1422_43
; %bb.46:                               ;   in Loop: Header=BB1422_45 Depth=1
                                        ; implicit-def: $vgpr26_vgpr27
                                        ; implicit-def: $vgpr22_vgpr23
	s_mov_b64 s[30:31], s[12:13]
	s_branch .LBB1422_44
.LBB1422_47:
	s_or_b64 exec, exec, s[26:27]
	v_cmp_gt_i64_e32 vcc, s[12:13], v[28:29]
	s_mov_b32 s21, 0
	v_mov_b32_e32 v45, s21
	v_cndmask_b32_e64 v44, 0, 1, vcc
.LBB1422_48:
	s_or_b64 exec, exec, s[18:19]
.LBB1422_49:
	v_mul_lo_u32 v1, v17, s12
	v_mul_lo_u32 v26, v16, s13
	v_mad_u64_u32 v[22:23], s[18:19], v16, s12, 0
	v_add3_u32 v23, v23, v26, v1
	s_and_b64 vcc, exec, s[2:3]
	v_lshl_add_u64 v[22:23], v[22:23], 1, s[14:15]
	s_cbranch_vccnz .LBB1422_58
; %bb.50:
	global_load_ushort v1, v[24:25], off
	global_load_ushort v26, v[22:23], off
	v_mov_b64_e32 v[38:39], 1
	s_waitcnt vmcnt(0)
	v_cmp_eq_u16_e32 vcc, v1, v26
	s_and_saveexec_b64 s[18:19], vcc
	s_cbranch_execz .LBB1422_57
; %bb.51:
	s_add_u32 s22, s12, -1
	v_lshl_add_u64 v[26:27], v[22:23], 0, 2
	v_lshl_add_u64 v[24:25], v[24:25], 0, 2
	s_addc_u32 s23, s13, -1
	s_mov_b64 s[26:27], 0
	s_mov_b64 s[30:31], 0
                                        ; implicit-def: $sgpr28_sgpr29
	s_branch .LBB1422_54
.LBB1422_52:                            ;   in Loop: Header=BB1422_54 Depth=1
	global_load_ushort v1, v[24:25], off
	global_load_ushort v28, v[26:27], off
	s_add_u32 s30, s30, 1
	s_addc_u32 s31, s31, 0
	s_andn2_b64 s[28:29], s[28:29], exec
	v_lshl_add_u64 v[26:27], v[26:27], 0, 2
	v_lshl_add_u64 v[24:25], v[24:25], 0, 2
	s_waitcnt vmcnt(0)
	v_cmp_ne_u16_e32 vcc, v1, v28
	s_and_b64 s[34:35], vcc, exec
	s_or_b64 s[28:29], s[28:29], s[34:35]
.LBB1422_53:                            ;   in Loop: Header=BB1422_54 Depth=1
	s_and_b64 s[34:35], exec, s[28:29]
	s_or_b64 s[26:27], s[34:35], s[26:27]
	v_mov_b64_e32 v[28:29], s[30:31]
	s_andn2_b64 exec, exec, s[26:27]
	s_cbranch_execz .LBB1422_56
.LBB1422_54:                            ; =>This Inner Loop Header: Depth=1
	s_or_b64 s[28:29], s[28:29], exec
	s_cmp_eq_u64 s[22:23], s[30:31]
	s_cbranch_scc0 .LBB1422_52
; %bb.55:                               ;   in Loop: Header=BB1422_54 Depth=1
                                        ; implicit-def: $vgpr26_vgpr27
                                        ; implicit-def: $vgpr24_vgpr25
	s_mov_b64 s[30:31], s[12:13]
	s_branch .LBB1422_53
.LBB1422_56:
	s_or_b64 exec, exec, s[26:27]
	v_cmp_gt_i64_e32 vcc, s[12:13], v[28:29]
	s_mov_b32 s21, 0
	v_mov_b32_e32 v39, s21
	v_cndmask_b32_e64 v38, 0, 1, vcc
.LBB1422_57:
	s_or_b64 exec, exec, s[18:19]
.LBB1422_58:
	v_mul_lo_u32 v1, v15, s12
	v_mul_lo_u32 v26, v14, s13
	v_mad_u64_u32 v[24:25], s[18:19], v14, s12, 0
	v_add3_u32 v25, v25, v26, v1
	v_mov_b64_e32 v[48:49], 0
	s_and_b64 vcc, exec, s[2:3]
	v_lshl_add_u64 v[24:25], v[24:25], 1, s[14:15]
	v_mov_b64_e32 v[46:47], v[48:49]
	s_cbranch_vccnz .LBB1422_67
; %bb.59:
	global_load_ushort v1, v[22:23], off
	global_load_ushort v26, v[24:25], off
	v_mov_b64_e32 v[46:47], 1
	s_waitcnt vmcnt(0)
	v_cmp_eq_u16_e32 vcc, v1, v26
	s_and_saveexec_b64 s[18:19], vcc
	s_cbranch_execz .LBB1422_66
; %bb.60:
	s_add_u32 s22, s12, -1
	v_lshl_add_u64 v[26:27], v[24:25], 0, 2
	v_lshl_add_u64 v[22:23], v[22:23], 0, 2
	s_addc_u32 s23, s13, -1
	s_mov_b64 s[26:27], 0
	s_mov_b64 s[30:31], 0
                                        ; implicit-def: $sgpr28_sgpr29
	s_branch .LBB1422_63
.LBB1422_61:                            ;   in Loop: Header=BB1422_63 Depth=1
	global_load_ushort v1, v[22:23], off
	global_load_ushort v28, v[26:27], off
	s_add_u32 s30, s30, 1
	s_addc_u32 s31, s31, 0
	s_andn2_b64 s[28:29], s[28:29], exec
	v_lshl_add_u64 v[26:27], v[26:27], 0, 2
	v_lshl_add_u64 v[22:23], v[22:23], 0, 2
	s_waitcnt vmcnt(0)
	v_cmp_ne_u16_e32 vcc, v1, v28
	s_and_b64 s[34:35], vcc, exec
	s_or_b64 s[28:29], s[28:29], s[34:35]
.LBB1422_62:                            ;   in Loop: Header=BB1422_63 Depth=1
	s_and_b64 s[34:35], exec, s[28:29]
	s_or_b64 s[26:27], s[34:35], s[26:27]
	v_mov_b64_e32 v[28:29], s[30:31]
	s_andn2_b64 exec, exec, s[26:27]
	s_cbranch_execz .LBB1422_65
.LBB1422_63:                            ; =>This Inner Loop Header: Depth=1
	s_or_b64 s[28:29], s[28:29], exec
	s_cmp_eq_u64 s[22:23], s[30:31]
	s_cbranch_scc0 .LBB1422_61
; %bb.64:                               ;   in Loop: Header=BB1422_63 Depth=1
                                        ; implicit-def: $vgpr26_vgpr27
                                        ; implicit-def: $vgpr22_vgpr23
	s_mov_b64 s[30:31], s[12:13]
	s_branch .LBB1422_62
.LBB1422_65:
	s_or_b64 exec, exec, s[26:27]
	v_cmp_gt_i64_e32 vcc, s[12:13], v[28:29]
	s_mov_b32 s21, 0
	v_mov_b32_e32 v47, s21
	v_cndmask_b32_e64 v46, 0, 1, vcc
.LBB1422_66:
	s_or_b64 exec, exec, s[18:19]
.LBB1422_67:
	v_mul_lo_u32 v1, v13, s12
	v_mul_lo_u32 v26, v12, s13
	v_mad_u64_u32 v[22:23], s[18:19], v12, s12, 0
	v_add3_u32 v23, v23, v26, v1
	s_and_b64 vcc, exec, s[2:3]
	v_lshl_add_u64 v[22:23], v[22:23], 1, s[14:15]
	s_cbranch_vccnz .LBB1422_76
; %bb.68:
	global_load_ushort v1, v[24:25], off
	global_load_ushort v26, v[22:23], off
	v_mov_b64_e32 v[48:49], 1
	s_waitcnt vmcnt(0)
	v_cmp_eq_u16_e32 vcc, v1, v26
	s_and_saveexec_b64 s[18:19], vcc
	s_cbranch_execz .LBB1422_75
; %bb.69:
	s_add_u32 s22, s12, -1
	v_lshl_add_u64 v[26:27], v[22:23], 0, 2
	v_lshl_add_u64 v[24:25], v[24:25], 0, 2
	s_addc_u32 s23, s13, -1
	s_mov_b64 s[26:27], 0
	s_mov_b64 s[30:31], 0
                                        ; implicit-def: $sgpr28_sgpr29
	s_branch .LBB1422_72
.LBB1422_70:                            ;   in Loop: Header=BB1422_72 Depth=1
	global_load_ushort v1, v[24:25], off
	global_load_ushort v28, v[26:27], off
	s_add_u32 s30, s30, 1
	s_addc_u32 s31, s31, 0
	s_andn2_b64 s[28:29], s[28:29], exec
	v_lshl_add_u64 v[26:27], v[26:27], 0, 2
	v_lshl_add_u64 v[24:25], v[24:25], 0, 2
	s_waitcnt vmcnt(0)
	v_cmp_ne_u16_e32 vcc, v1, v28
	s_and_b64 s[34:35], vcc, exec
	s_or_b64 s[28:29], s[28:29], s[34:35]
.LBB1422_71:                            ;   in Loop: Header=BB1422_72 Depth=1
	s_and_b64 s[34:35], exec, s[28:29]
	s_or_b64 s[26:27], s[34:35], s[26:27]
	v_mov_b64_e32 v[28:29], s[30:31]
	s_andn2_b64 exec, exec, s[26:27]
	s_cbranch_execz .LBB1422_74
.LBB1422_72:                            ; =>This Inner Loop Header: Depth=1
	s_or_b64 s[28:29], s[28:29], exec
	s_cmp_eq_u64 s[22:23], s[30:31]
	s_cbranch_scc0 .LBB1422_70
; %bb.73:                               ;   in Loop: Header=BB1422_72 Depth=1
                                        ; implicit-def: $vgpr26_vgpr27
                                        ; implicit-def: $vgpr24_vgpr25
	s_mov_b64 s[30:31], s[12:13]
	s_branch .LBB1422_71
.LBB1422_74:
	s_or_b64 exec, exec, s[26:27]
	v_cmp_gt_i64_e32 vcc, s[12:13], v[28:29]
	s_mov_b32 s21, 0
	v_mov_b32_e32 v49, s21
	v_cndmask_b32_e64 v48, 0, 1, vcc
.LBB1422_75:
	s_or_b64 exec, exec, s[18:19]
.LBB1422_76:
	v_mul_lo_u32 v1, v11, s12
	v_mul_lo_u32 v26, v10, s13
	v_mad_u64_u32 v[24:25], s[18:19], v10, s12, 0
	v_add3_u32 v25, v25, v26, v1
	v_mov_b64_e32 v[52:53], 0
	s_and_b64 vcc, exec, s[2:3]
	v_lshl_add_u64 v[24:25], v[24:25], 1, s[14:15]
	v_mov_b64_e32 v[50:51], v[52:53]
	s_cbranch_vccnz .LBB1422_85
; %bb.77:
	global_load_ushort v1, v[22:23], off
	global_load_ushort v26, v[24:25], off
	v_mov_b64_e32 v[50:51], 1
	s_waitcnt vmcnt(0)
	v_cmp_eq_u16_e32 vcc, v1, v26
	s_and_saveexec_b64 s[18:19], vcc
	s_cbranch_execz .LBB1422_84
; %bb.78:
	s_add_u32 s22, s12, -1
	v_lshl_add_u64 v[26:27], v[24:25], 0, 2
	v_lshl_add_u64 v[22:23], v[22:23], 0, 2
	s_addc_u32 s23, s13, -1
	s_mov_b64 s[26:27], 0
	s_mov_b64 s[30:31], 0
                                        ; implicit-def: $sgpr28_sgpr29
	s_branch .LBB1422_81
.LBB1422_79:                            ;   in Loop: Header=BB1422_81 Depth=1
	global_load_ushort v1, v[22:23], off
	global_load_ushort v28, v[26:27], off
	s_add_u32 s30, s30, 1
	s_addc_u32 s31, s31, 0
	s_andn2_b64 s[28:29], s[28:29], exec
	v_lshl_add_u64 v[26:27], v[26:27], 0, 2
	v_lshl_add_u64 v[22:23], v[22:23], 0, 2
	s_waitcnt vmcnt(0)
	v_cmp_ne_u16_e32 vcc, v1, v28
	s_and_b64 s[34:35], vcc, exec
	s_or_b64 s[28:29], s[28:29], s[34:35]
.LBB1422_80:                            ;   in Loop: Header=BB1422_81 Depth=1
	s_and_b64 s[34:35], exec, s[28:29]
	s_or_b64 s[26:27], s[34:35], s[26:27]
	v_mov_b64_e32 v[28:29], s[30:31]
	s_andn2_b64 exec, exec, s[26:27]
	s_cbranch_execz .LBB1422_83
.LBB1422_81:                            ; =>This Inner Loop Header: Depth=1
	s_or_b64 s[28:29], s[28:29], exec
	s_cmp_eq_u64 s[22:23], s[30:31]
	s_cbranch_scc0 .LBB1422_79
; %bb.82:                               ;   in Loop: Header=BB1422_81 Depth=1
                                        ; implicit-def: $vgpr26_vgpr27
                                        ; implicit-def: $vgpr22_vgpr23
	s_mov_b64 s[30:31], s[12:13]
	s_branch .LBB1422_80
.LBB1422_83:
	s_or_b64 exec, exec, s[26:27]
	v_cmp_gt_i64_e32 vcc, s[12:13], v[28:29]
	s_mov_b32 s21, 0
	v_mov_b32_e32 v51, s21
	v_cndmask_b32_e64 v50, 0, 1, vcc
.LBB1422_84:
	s_or_b64 exec, exec, s[18:19]
.LBB1422_85:
	v_mul_lo_u32 v1, v9, s12
	v_mul_lo_u32 v26, v8, s13
	v_mad_u64_u32 v[22:23], s[18:19], v8, s12, 0
	v_add3_u32 v23, v23, v26, v1
	s_and_b64 vcc, exec, s[2:3]
	v_lshl_add_u64 v[22:23], v[22:23], 1, s[14:15]
	s_cbranch_vccnz .LBB1422_94
; %bb.86:
	global_load_ushort v1, v[24:25], off
	global_load_ushort v26, v[22:23], off
	v_mov_b64_e32 v[52:53], 1
	s_waitcnt vmcnt(0)
	v_cmp_eq_u16_e32 vcc, v1, v26
	s_and_saveexec_b64 s[18:19], vcc
	s_cbranch_execz .LBB1422_93
; %bb.87:
	s_add_u32 s22, s12, -1
	v_lshl_add_u64 v[26:27], v[22:23], 0, 2
	v_lshl_add_u64 v[24:25], v[24:25], 0, 2
	s_addc_u32 s23, s13, -1
	s_mov_b64 s[26:27], 0
	s_mov_b64 s[30:31], 0
                                        ; implicit-def: $sgpr28_sgpr29
	s_branch .LBB1422_90
.LBB1422_88:                            ;   in Loop: Header=BB1422_90 Depth=1
	global_load_ushort v1, v[24:25], off
	global_load_ushort v28, v[26:27], off
	s_add_u32 s30, s30, 1
	s_addc_u32 s31, s31, 0
	s_andn2_b64 s[28:29], s[28:29], exec
	v_lshl_add_u64 v[26:27], v[26:27], 0, 2
	v_lshl_add_u64 v[24:25], v[24:25], 0, 2
	s_waitcnt vmcnt(0)
	v_cmp_ne_u16_e32 vcc, v1, v28
	s_and_b64 s[34:35], vcc, exec
	s_or_b64 s[28:29], s[28:29], s[34:35]
.LBB1422_89:                            ;   in Loop: Header=BB1422_90 Depth=1
	s_and_b64 s[34:35], exec, s[28:29]
	s_or_b64 s[26:27], s[34:35], s[26:27]
	v_mov_b64_e32 v[28:29], s[30:31]
	s_andn2_b64 exec, exec, s[26:27]
	s_cbranch_execz .LBB1422_92
.LBB1422_90:                            ; =>This Inner Loop Header: Depth=1
	s_or_b64 s[28:29], s[28:29], exec
	s_cmp_eq_u64 s[22:23], s[30:31]
	s_cbranch_scc0 .LBB1422_88
; %bb.91:                               ;   in Loop: Header=BB1422_90 Depth=1
                                        ; implicit-def: $vgpr26_vgpr27
                                        ; implicit-def: $vgpr24_vgpr25
	s_mov_b64 s[30:31], s[12:13]
	s_branch .LBB1422_89
.LBB1422_92:
	s_or_b64 exec, exec, s[26:27]
	v_cmp_gt_i64_e32 vcc, s[12:13], v[28:29]
	s_mov_b32 s21, 0
	v_mov_b32_e32 v53, s21
	v_cndmask_b32_e64 v52, 0, 1, vcc
.LBB1422_93:
	s_or_b64 exec, exec, s[18:19]
.LBB1422_94:
	v_mul_lo_u32 v1, v7, s12
	v_mul_lo_u32 v26, v6, s13
	v_mad_u64_u32 v[24:25], s[18:19], v6, s12, 0
	v_add3_u32 v25, v25, v26, v1
	v_mov_b64_e32 v[56:57], 0
	s_and_b64 vcc, exec, s[2:3]
	v_lshl_add_u64 v[24:25], v[24:25], 1, s[14:15]
	v_mov_b64_e32 v[54:55], v[56:57]
	s_cbranch_vccnz .LBB1422_103
; %bb.95:
	global_load_ushort v1, v[22:23], off
	global_load_ushort v26, v[24:25], off
	v_mov_b64_e32 v[54:55], 1
	s_waitcnt vmcnt(0)
	v_cmp_eq_u16_e32 vcc, v1, v26
	s_and_saveexec_b64 s[18:19], vcc
	s_cbranch_execz .LBB1422_102
; %bb.96:
	s_add_u32 s22, s12, -1
	v_lshl_add_u64 v[26:27], v[24:25], 0, 2
	v_lshl_add_u64 v[22:23], v[22:23], 0, 2
	s_addc_u32 s23, s13, -1
	s_mov_b64 s[26:27], 0
	s_mov_b64 s[30:31], 0
                                        ; implicit-def: $sgpr28_sgpr29
	s_branch .LBB1422_99
.LBB1422_97:                            ;   in Loop: Header=BB1422_99 Depth=1
	global_load_ushort v1, v[22:23], off
	global_load_ushort v28, v[26:27], off
	s_add_u32 s30, s30, 1
	s_addc_u32 s31, s31, 0
	s_andn2_b64 s[28:29], s[28:29], exec
	v_lshl_add_u64 v[26:27], v[26:27], 0, 2
	v_lshl_add_u64 v[22:23], v[22:23], 0, 2
	s_waitcnt vmcnt(0)
	v_cmp_ne_u16_e32 vcc, v1, v28
	s_and_b64 s[34:35], vcc, exec
	s_or_b64 s[28:29], s[28:29], s[34:35]
.LBB1422_98:                            ;   in Loop: Header=BB1422_99 Depth=1
	s_and_b64 s[34:35], exec, s[28:29]
	s_or_b64 s[26:27], s[34:35], s[26:27]
	v_mov_b64_e32 v[28:29], s[30:31]
	s_andn2_b64 exec, exec, s[26:27]
	s_cbranch_execz .LBB1422_101
.LBB1422_99:                            ; =>This Inner Loop Header: Depth=1
	s_or_b64 s[28:29], s[28:29], exec
	s_cmp_eq_u64 s[22:23], s[30:31]
	s_cbranch_scc0 .LBB1422_97
; %bb.100:                              ;   in Loop: Header=BB1422_99 Depth=1
                                        ; implicit-def: $vgpr26_vgpr27
                                        ; implicit-def: $vgpr22_vgpr23
	s_mov_b64 s[30:31], s[12:13]
	s_branch .LBB1422_98
.LBB1422_101:
	s_or_b64 exec, exec, s[26:27]
	v_cmp_gt_i64_e32 vcc, s[12:13], v[28:29]
	s_mov_b32 s21, 0
	v_mov_b32_e32 v55, s21
	v_cndmask_b32_e64 v54, 0, 1, vcc
.LBB1422_102:
	s_or_b64 exec, exec, s[18:19]
.LBB1422_103:
	v_mul_lo_u32 v1, v5, s12
	v_mul_lo_u32 v26, v4, s13
	v_mad_u64_u32 v[22:23], s[18:19], v4, s12, 0
	v_add3_u32 v23, v23, v26, v1
	s_and_b64 vcc, exec, s[2:3]
	v_lshl_add_u64 v[22:23], v[22:23], 1, s[14:15]
	s_cbranch_vccnz .LBB1422_112
; %bb.104:
	global_load_ushort v1, v[24:25], off
	global_load_ushort v26, v[22:23], off
	v_mov_b64_e32 v[56:57], 1
	s_waitcnt vmcnt(0)
	v_cmp_eq_u16_e32 vcc, v1, v26
	s_and_saveexec_b64 s[18:19], vcc
	s_cbranch_execz .LBB1422_111
; %bb.105:
	s_add_u32 s22, s12, -1
	v_lshl_add_u64 v[26:27], v[22:23], 0, 2
	v_lshl_add_u64 v[24:25], v[24:25], 0, 2
	s_addc_u32 s23, s13, -1
	s_mov_b64 s[26:27], 0
	s_mov_b64 s[30:31], 0
                                        ; implicit-def: $sgpr28_sgpr29
	s_branch .LBB1422_108
.LBB1422_106:                           ;   in Loop: Header=BB1422_108 Depth=1
	global_load_ushort v1, v[24:25], off
	global_load_ushort v28, v[26:27], off
	s_add_u32 s30, s30, 1
	s_addc_u32 s31, s31, 0
	s_andn2_b64 s[28:29], s[28:29], exec
	v_lshl_add_u64 v[26:27], v[26:27], 0, 2
	v_lshl_add_u64 v[24:25], v[24:25], 0, 2
	s_waitcnt vmcnt(0)
	v_cmp_ne_u16_e32 vcc, v1, v28
	s_and_b64 s[34:35], vcc, exec
	s_or_b64 s[28:29], s[28:29], s[34:35]
.LBB1422_107:                           ;   in Loop: Header=BB1422_108 Depth=1
	s_and_b64 s[34:35], exec, s[28:29]
	s_or_b64 s[26:27], s[34:35], s[26:27]
	v_mov_b64_e32 v[28:29], s[30:31]
	s_andn2_b64 exec, exec, s[26:27]
	s_cbranch_execz .LBB1422_110
.LBB1422_108:                           ; =>This Inner Loop Header: Depth=1
	s_or_b64 s[28:29], s[28:29], exec
	s_cmp_eq_u64 s[22:23], s[30:31]
	s_cbranch_scc0 .LBB1422_106
; %bb.109:                              ;   in Loop: Header=BB1422_108 Depth=1
                                        ; implicit-def: $vgpr26_vgpr27
                                        ; implicit-def: $vgpr24_vgpr25
	s_mov_b64 s[30:31], s[12:13]
	s_branch .LBB1422_107
.LBB1422_110:
	s_or_b64 exec, exec, s[26:27]
	v_cmp_gt_i64_e32 vcc, s[12:13], v[28:29]
	s_mov_b32 s21, 0
	v_mov_b32_e32 v57, s21
	v_cndmask_b32_e64 v56, 0, 1, vcc
.LBB1422_111:
	s_or_b64 exec, exec, s[18:19]
.LBB1422_112:
	s_and_b64 vcc, exec, s[2:3]
	s_cbranch_vccnz .LBB1422_119
; %bb.113:
	v_mul_lo_u32 v1, v3, s12
	v_mul_lo_u32 v26, v2, s13
	v_mad_u64_u32 v[24:25], s[18:19], v2, s12, 0
	v_add3_u32 v25, v25, v26, v1
	v_lshl_add_u64 v[24:25], v[24:25], 1, s[14:15]
	global_load_ushort v1, v[22:23], off
	global_load_ushort v26, v[24:25], off
	v_mov_b64_e32 v[58:59], 1
	s_waitcnt vmcnt(0)
	v_cmp_eq_u16_e32 vcc, v1, v26
	s_and_saveexec_b64 s[18:19], vcc
	s_cbranch_execz .LBB1422_121
; %bb.114:
	s_add_u32 s22, s12, -1
	v_lshl_add_u64 v[24:25], v[24:25], 0, 2
	v_lshl_add_u64 v[22:23], v[22:23], 0, 2
	s_addc_u32 s23, s13, -1
	s_mov_b64 s[26:27], 0
	s_mov_b64 s[30:31], 0
                                        ; implicit-def: $sgpr28_sgpr29
	s_branch .LBB1422_117
.LBB1422_115:                           ;   in Loop: Header=BB1422_117 Depth=1
	global_load_ushort v1, v[22:23], off
	global_load_ushort v26, v[24:25], off
	s_add_u32 s30, s30, 1
	s_addc_u32 s31, s31, 0
	s_andn2_b64 s[28:29], s[28:29], exec
	v_lshl_add_u64 v[24:25], v[24:25], 0, 2
	v_lshl_add_u64 v[22:23], v[22:23], 0, 2
	s_waitcnt vmcnt(0)
	v_cmp_ne_u16_e32 vcc, v1, v26
	s_and_b64 s[34:35], vcc, exec
	s_or_b64 s[28:29], s[28:29], s[34:35]
.LBB1422_116:                           ;   in Loop: Header=BB1422_117 Depth=1
	s_and_b64 s[34:35], exec, s[28:29]
	s_or_b64 s[26:27], s[34:35], s[26:27]
	v_mov_b64_e32 v[26:27], s[30:31]
	s_andn2_b64 exec, exec, s[26:27]
	s_cbranch_execz .LBB1422_120
.LBB1422_117:                           ; =>This Inner Loop Header: Depth=1
	s_or_b64 s[28:29], s[28:29], exec
	s_cmp_eq_u64 s[22:23], s[30:31]
	s_cbranch_scc0 .LBB1422_115
; %bb.118:                              ;   in Loop: Header=BB1422_117 Depth=1
                                        ; implicit-def: $vgpr24_vgpr25
                                        ; implicit-def: $vgpr22_vgpr23
	s_mov_b64 s[30:31], s[12:13]
	s_branch .LBB1422_116
.LBB1422_119:
	v_mov_b64_e32 v[58:59], 0
	s_branch .LBB1422_122
.LBB1422_120:
	s_or_b64 exec, exec, s[26:27]
	v_cmp_gt_i64_e32 vcc, s[12:13], v[26:27]
	s_mov_b32 s21, 0
	v_mov_b32_e32 v59, s21
	v_cndmask_b32_e64 v58, 0, 1, vcc
.LBB1422_121:
	s_or_b64 exec, exec, s[18:19]
.LBB1422_122:
	v_cmp_ne_u32_e32 vcc, 0, v0
	s_waitcnt lgkmcnt(0)
	v_mov_b64_e32 v[22:23], s[16:17]
	s_barrier
	s_and_saveexec_b64 s[18:19], vcc
	s_cbranch_execz .LBB1422_124
; %bb.123:
	v_add_u32_e32 v1, -8, v40
	ds_read_b64 v[22:23], v1
.LBB1422_124:
	s_or_b64 exec, exec, s[18:19]
	s_mov_b64 s[26:27], 0
	s_and_b64 vcc, exec, s[2:3]
	s_mov_b64 s[18:19], 0
	s_cbranch_vccnz .LBB1422_133
; %bb.125:
	v_mul_lo_u32 v1, v3, s12
	v_mul_lo_u32 v26, v2, s13
	v_mad_u64_u32 v[24:25], s[2:3], v2, s12, 0
	v_add3_u32 v25, v25, v26, v1
	s_waitcnt lgkmcnt(0)
	v_mul_lo_u32 v1, v23, s12
	v_mul_lo_u32 v26, v22, s13
	v_mad_u64_u32 v[22:23], s[2:3], v22, s12, 0
	v_add3_u32 v23, v23, v26, v1
	v_lshl_add_u64 v[24:25], v[24:25], 1, s[14:15]
	v_lshl_add_u64 v[22:23], v[22:23], 1, s[14:15]
	global_load_ushort v1, v[24:25], off
	global_load_ushort v26, v[22:23], off
	s_mov_b64 s[18:19], -1
	s_waitcnt vmcnt(0)
	v_cmp_eq_u16_e32 vcc, v1, v26
	s_and_saveexec_b64 s[2:3], vcc
	s_cbranch_execz .LBB1422_132
; %bb.126:
	s_add_u32 s18, s12, -1
	v_lshl_add_u64 v[22:23], v[22:23], 0, 2
	v_lshl_add_u64 v[24:25], v[24:25], 0, 2
	s_addc_u32 s19, s13, -1
	s_mov_b64 s[22:23], 0
	s_mov_b64 s[30:31], 0
                                        ; implicit-def: $sgpr28_sgpr29
	s_branch .LBB1422_129
.LBB1422_127:                           ;   in Loop: Header=BB1422_129 Depth=1
	global_load_ushort v1, v[24:25], off
	global_load_ushort v26, v[22:23], off
	s_add_u32 s30, s30, 1
	s_addc_u32 s31, s31, 0
	s_andn2_b64 s[28:29], s[28:29], exec
	v_lshl_add_u64 v[22:23], v[22:23], 0, 2
	v_lshl_add_u64 v[24:25], v[24:25], 0, 2
	s_waitcnt vmcnt(0)
	v_cmp_ne_u16_e32 vcc, v1, v26
	s_and_b64 s[34:35], vcc, exec
	s_or_b64 s[28:29], s[28:29], s[34:35]
.LBB1422_128:                           ;   in Loop: Header=BB1422_129 Depth=1
	s_and_b64 s[34:35], exec, s[28:29]
	s_or_b64 s[22:23], s[34:35], s[22:23]
	v_mov_b64_e32 v[26:27], s[30:31]
	s_andn2_b64 exec, exec, s[22:23]
	s_cbranch_execz .LBB1422_131
.LBB1422_129:                           ; =>This Inner Loop Header: Depth=1
	s_or_b64 s[28:29], s[28:29], exec
	s_cmp_eq_u64 s[18:19], s[30:31]
	s_cbranch_scc0 .LBB1422_127
; %bb.130:                              ;   in Loop: Header=BB1422_129 Depth=1
                                        ; implicit-def: $vgpr22_vgpr23
                                        ; implicit-def: $vgpr24_vgpr25
	s_mov_b64 s[30:31], s[12:13]
	s_branch .LBB1422_128
.LBB1422_131:
	s_or_b64 exec, exec, s[22:23]
	v_cmp_gt_i64_e32 vcc, s[12:13], v[26:27]
	s_orn2_b64 s[18:19], vcc, exec
.LBB1422_132:
	s_or_b64 exec, exec, s[2:3]
.LBB1422_133:
	s_mov_b64 s[22:23], -1
	s_and_b64 vcc, exec, s[26:27]
	s_cbranch_vccz .LBB1422_37
.LBB1422_134:
	s_mul_i32 s21, s24, 0xfffff500
	s_add_i32 s21, s21, s10
	s_waitcnt lgkmcnt(0)
	v_mad_u32_u24 v22, v0, 11, 10
	v_cmp_gt_i64_e64 s[2:3], s[12:13], 0
	v_cmp_gt_u32_e32 vcc, s21, v22
	v_mul_u32_u24_e32 v1, 11, v0
	v_cndmask_b32_e64 v22, 0, 1, s[2:3]
	v_cmp_ne_u32_e64 s[2:3], 1, v22
	v_mov_b64_e32 v[42:43], v[36:37]
	ds_write_b64 v40, v[36:37]
	s_and_saveexec_b64 s[18:19], vcc
	s_cbranch_execz .LBB1422_145
; %bb.135:
	s_and_b64 vcc, exec, s[2:3]
	s_cbranch_vccnz .LBB1422_142
; %bb.136:
	v_mul_lo_u32 v24, v37, s12
	v_mul_lo_u32 v25, v36, s13
	v_mad_u64_u32 v[22:23], s[24:25], v36, s12, 0
	v_add3_u32 v23, v23, v25, v24
	v_mul_lo_u32 v24, v21, s12
	v_mul_lo_u32 v25, v20, s13
	v_mad_u64_u32 v[26:27], s[24:25], v20, s12, 0
	v_add3_u32 v27, v27, v25, v24
	v_lshl_add_u64 v[24:25], v[22:23], 1, s[14:15]
	v_lshl_add_u64 v[22:23], v[26:27], 1, s[14:15]
	global_load_ushort v26, v[24:25], off
	global_load_ushort v27, v[22:23], off
	v_mov_b64_e32 v[42:43], 1
	s_waitcnt vmcnt(0)
	v_cmp_eq_u16_e32 vcc, v26, v27
	s_and_saveexec_b64 s[24:25], vcc
	s_cbranch_execz .LBB1422_144
; %bb.137:
	s_add_u32 s26, s12, -1
	v_lshl_add_u64 v[22:23], v[22:23], 0, 2
	v_lshl_add_u64 v[24:25], v[24:25], 0, 2
	s_addc_u32 s27, s13, -1
	s_mov_b64 s[28:29], 0
	s_mov_b64 s[34:35], 0
                                        ; implicit-def: $sgpr30_sgpr31
	s_branch .LBB1422_140
.LBB1422_138:                           ;   in Loop: Header=BB1422_140 Depth=1
	global_load_ushort v26, v[24:25], off
	global_load_ushort v27, v[22:23], off
	s_add_u32 s34, s34, 1
	s_addc_u32 s35, s35, 0
	s_andn2_b64 s[30:31], s[30:31], exec
	v_lshl_add_u64 v[22:23], v[22:23], 0, 2
	v_lshl_add_u64 v[24:25], v[24:25], 0, 2
	s_waitcnt vmcnt(0)
	v_cmp_ne_u16_e32 vcc, v26, v27
	s_and_b64 s[36:37], vcc, exec
	s_or_b64 s[30:31], s[30:31], s[36:37]
.LBB1422_139:                           ;   in Loop: Header=BB1422_140 Depth=1
	s_and_b64 s[36:37], exec, s[30:31]
	s_or_b64 s[28:29], s[36:37], s[28:29]
	v_mov_b64_e32 v[26:27], s[34:35]
	s_andn2_b64 exec, exec, s[28:29]
	s_cbranch_execz .LBB1422_143
.LBB1422_140:                           ; =>This Inner Loop Header: Depth=1
	s_or_b64 s[30:31], s[30:31], exec
	s_cmp_eq_u64 s[26:27], s[34:35]
	s_cbranch_scc0 .LBB1422_138
; %bb.141:                              ;   in Loop: Header=BB1422_140 Depth=1
                                        ; implicit-def: $vgpr22_vgpr23
                                        ; implicit-def: $vgpr24_vgpr25
	s_mov_b64 s[34:35], s[12:13]
	s_branch .LBB1422_139
.LBB1422_142:
	v_mov_b64_e32 v[42:43], 0
	s_branch .LBB1422_145
.LBB1422_143:
	s_or_b64 exec, exec, s[28:29]
	v_cmp_gt_i64_e32 vcc, s[12:13], v[26:27]
	s_mov_b32 s26, 0
	v_mov_b32_e32 v43, s26
	v_cndmask_b32_e64 v42, 0, 1, vcc
.LBB1422_144:
	s_or_b64 exec, exec, s[24:25]
.LBB1422_145:
	s_or_b64 exec, exec, s[18:19]
	v_add_u32_e32 v22, 9, v1
	v_cmp_gt_u32_e32 vcc, s21, v22
	v_mov_b64_e32 v[44:45], v[20:21]
	s_and_saveexec_b64 s[18:19], vcc
	s_cbranch_execz .LBB1422_156
; %bb.146:
	s_and_b64 vcc, exec, s[2:3]
	s_cbranch_vccnz .LBB1422_153
; %bb.147:
	v_mul_lo_u32 v24, v21, s12
	v_mul_lo_u32 v25, v20, s13
	v_mad_u64_u32 v[22:23], s[24:25], v20, s12, 0
	v_add3_u32 v23, v23, v25, v24
	v_mul_lo_u32 v24, v19, s12
	v_mul_lo_u32 v25, v18, s13
	v_mad_u64_u32 v[26:27], s[24:25], v18, s12, 0
	v_add3_u32 v27, v27, v25, v24
	v_lshl_add_u64 v[24:25], v[22:23], 1, s[14:15]
	v_lshl_add_u64 v[22:23], v[26:27], 1, s[14:15]
	global_load_ushort v26, v[24:25], off
	global_load_ushort v27, v[22:23], off
	v_mov_b64_e32 v[44:45], 1
	s_waitcnt vmcnt(0)
	v_cmp_eq_u16_e32 vcc, v26, v27
	s_and_saveexec_b64 s[24:25], vcc
	s_cbranch_execz .LBB1422_155
; %bb.148:
	s_add_u32 s26, s12, -1
	v_lshl_add_u64 v[22:23], v[22:23], 0, 2
	v_lshl_add_u64 v[24:25], v[24:25], 0, 2
	s_addc_u32 s27, s13, -1
	s_mov_b64 s[28:29], 0
	s_mov_b64 s[34:35], 0
                                        ; implicit-def: $sgpr30_sgpr31
	s_branch .LBB1422_151
.LBB1422_149:                           ;   in Loop: Header=BB1422_151 Depth=1
	global_load_ushort v26, v[24:25], off
	global_load_ushort v27, v[22:23], off
	s_add_u32 s34, s34, 1
	s_addc_u32 s35, s35, 0
	s_andn2_b64 s[30:31], s[30:31], exec
	v_lshl_add_u64 v[22:23], v[22:23], 0, 2
	v_lshl_add_u64 v[24:25], v[24:25], 0, 2
	s_waitcnt vmcnt(0)
	v_cmp_ne_u16_e32 vcc, v26, v27
	s_and_b64 s[36:37], vcc, exec
	s_or_b64 s[30:31], s[30:31], s[36:37]
.LBB1422_150:                           ;   in Loop: Header=BB1422_151 Depth=1
	s_and_b64 s[36:37], exec, s[30:31]
	s_or_b64 s[28:29], s[36:37], s[28:29]
	v_mov_b64_e32 v[26:27], s[34:35]
	s_andn2_b64 exec, exec, s[28:29]
	s_cbranch_execz .LBB1422_154
.LBB1422_151:                           ; =>This Inner Loop Header: Depth=1
	s_or_b64 s[30:31], s[30:31], exec
	s_cmp_eq_u64 s[26:27], s[34:35]
	s_cbranch_scc0 .LBB1422_149
; %bb.152:                              ;   in Loop: Header=BB1422_151 Depth=1
                                        ; implicit-def: $vgpr22_vgpr23
                                        ; implicit-def: $vgpr24_vgpr25
	s_mov_b64 s[34:35], s[12:13]
	s_branch .LBB1422_150
.LBB1422_153:
	v_mov_b64_e32 v[44:45], 0
	s_branch .LBB1422_156
.LBB1422_154:
	s_or_b64 exec, exec, s[28:29]
	v_cmp_gt_i64_e32 vcc, s[12:13], v[26:27]
	s_mov_b32 s26, 0
	v_mov_b32_e32 v45, s26
	v_cndmask_b32_e64 v44, 0, 1, vcc
.LBB1422_155:
	s_or_b64 exec, exec, s[24:25]
.LBB1422_156:
	s_or_b64 exec, exec, s[18:19]
	v_add_u32_e32 v22, 8, v1
	v_cmp_gt_u32_e32 vcc, s21, v22
	v_mov_b64_e32 v[38:39], v[18:19]
	s_and_saveexec_b64 s[18:19], vcc
	s_cbranch_execz .LBB1422_167
; %bb.157:
	s_and_b64 vcc, exec, s[2:3]
	s_cbranch_vccnz .LBB1422_164
; %bb.158:
	v_mul_lo_u32 v24, v19, s12
	v_mul_lo_u32 v25, v18, s13
	v_mad_u64_u32 v[22:23], s[24:25], v18, s12, 0
	v_add3_u32 v23, v23, v25, v24
	v_mul_lo_u32 v24, v17, s12
	v_mul_lo_u32 v25, v16, s13
	v_mad_u64_u32 v[26:27], s[24:25], v16, s12, 0
	v_add3_u32 v27, v27, v25, v24
	v_lshl_add_u64 v[24:25], v[22:23], 1, s[14:15]
	v_lshl_add_u64 v[22:23], v[26:27], 1, s[14:15]
	global_load_ushort v26, v[24:25], off
	global_load_ushort v27, v[22:23], off
	v_mov_b64_e32 v[38:39], 1
	s_waitcnt vmcnt(0)
	v_cmp_eq_u16_e32 vcc, v26, v27
	s_and_saveexec_b64 s[24:25], vcc
	s_cbranch_execz .LBB1422_166
; %bb.159:
	s_add_u32 s26, s12, -1
	v_lshl_add_u64 v[22:23], v[22:23], 0, 2
	v_lshl_add_u64 v[24:25], v[24:25], 0, 2
	s_addc_u32 s27, s13, -1
	s_mov_b64 s[28:29], 0
	s_mov_b64 s[34:35], 0
                                        ; implicit-def: $sgpr30_sgpr31
	s_branch .LBB1422_162
.LBB1422_160:                           ;   in Loop: Header=BB1422_162 Depth=1
	global_load_ushort v26, v[24:25], off
	global_load_ushort v27, v[22:23], off
	s_add_u32 s34, s34, 1
	s_addc_u32 s35, s35, 0
	s_andn2_b64 s[30:31], s[30:31], exec
	v_lshl_add_u64 v[22:23], v[22:23], 0, 2
	v_lshl_add_u64 v[24:25], v[24:25], 0, 2
	s_waitcnt vmcnt(0)
	v_cmp_ne_u16_e32 vcc, v26, v27
	s_and_b64 s[36:37], vcc, exec
	s_or_b64 s[30:31], s[30:31], s[36:37]
.LBB1422_161:                           ;   in Loop: Header=BB1422_162 Depth=1
	s_and_b64 s[36:37], exec, s[30:31]
	s_or_b64 s[28:29], s[36:37], s[28:29]
	v_mov_b64_e32 v[26:27], s[34:35]
	s_andn2_b64 exec, exec, s[28:29]
	s_cbranch_execz .LBB1422_165
.LBB1422_162:                           ; =>This Inner Loop Header: Depth=1
	s_or_b64 s[30:31], s[30:31], exec
	s_cmp_eq_u64 s[26:27], s[34:35]
	s_cbranch_scc0 .LBB1422_160
; %bb.163:                              ;   in Loop: Header=BB1422_162 Depth=1
                                        ; implicit-def: $vgpr22_vgpr23
                                        ; implicit-def: $vgpr24_vgpr25
	s_mov_b64 s[34:35], s[12:13]
	s_branch .LBB1422_161
.LBB1422_164:
	v_mov_b64_e32 v[38:39], 0
	s_branch .LBB1422_167
.LBB1422_165:
	s_or_b64 exec, exec, s[28:29]
	v_cmp_gt_i64_e32 vcc, s[12:13], v[26:27]
	s_mov_b32 s26, 0
	v_mov_b32_e32 v39, s26
	v_cndmask_b32_e64 v38, 0, 1, vcc
.LBB1422_166:
	s_or_b64 exec, exec, s[24:25]
.LBB1422_167:
	s_or_b64 exec, exec, s[18:19]
	v_add_u32_e32 v22, 7, v1
	v_cmp_gt_u32_e32 vcc, s21, v22
	v_mov_b64_e32 v[46:47], v[16:17]
	s_and_saveexec_b64 s[18:19], vcc
	s_cbranch_execz .LBB1422_178
; %bb.168:
	s_and_b64 vcc, exec, s[2:3]
	s_cbranch_vccnz .LBB1422_175
; %bb.169:
	v_mul_lo_u32 v24, v17, s12
	v_mul_lo_u32 v25, v16, s13
	v_mad_u64_u32 v[22:23], s[24:25], v16, s12, 0
	v_add3_u32 v23, v23, v25, v24
	v_mul_lo_u32 v24, v15, s12
	v_mul_lo_u32 v25, v14, s13
	v_mad_u64_u32 v[26:27], s[24:25], v14, s12, 0
	v_add3_u32 v27, v27, v25, v24
	v_lshl_add_u64 v[24:25], v[22:23], 1, s[14:15]
	v_lshl_add_u64 v[22:23], v[26:27], 1, s[14:15]
	global_load_ushort v26, v[24:25], off
	global_load_ushort v27, v[22:23], off
	v_mov_b64_e32 v[46:47], 1
	s_waitcnt vmcnt(0)
	v_cmp_eq_u16_e32 vcc, v26, v27
	s_and_saveexec_b64 s[24:25], vcc
	s_cbranch_execz .LBB1422_177
; %bb.170:
	s_add_u32 s26, s12, -1
	v_lshl_add_u64 v[22:23], v[22:23], 0, 2
	v_lshl_add_u64 v[24:25], v[24:25], 0, 2
	s_addc_u32 s27, s13, -1
	s_mov_b64 s[28:29], 0
	s_mov_b64 s[34:35], 0
                                        ; implicit-def: $sgpr30_sgpr31
	s_branch .LBB1422_173
.LBB1422_171:                           ;   in Loop: Header=BB1422_173 Depth=1
	global_load_ushort v26, v[24:25], off
	global_load_ushort v27, v[22:23], off
	s_add_u32 s34, s34, 1
	s_addc_u32 s35, s35, 0
	s_andn2_b64 s[30:31], s[30:31], exec
	v_lshl_add_u64 v[22:23], v[22:23], 0, 2
	v_lshl_add_u64 v[24:25], v[24:25], 0, 2
	s_waitcnt vmcnt(0)
	v_cmp_ne_u16_e32 vcc, v26, v27
	s_and_b64 s[36:37], vcc, exec
	s_or_b64 s[30:31], s[30:31], s[36:37]
.LBB1422_172:                           ;   in Loop: Header=BB1422_173 Depth=1
	s_and_b64 s[36:37], exec, s[30:31]
	s_or_b64 s[28:29], s[36:37], s[28:29]
	v_mov_b64_e32 v[26:27], s[34:35]
	s_andn2_b64 exec, exec, s[28:29]
	s_cbranch_execz .LBB1422_176
.LBB1422_173:                           ; =>This Inner Loop Header: Depth=1
	s_or_b64 s[30:31], s[30:31], exec
	s_cmp_eq_u64 s[26:27], s[34:35]
	s_cbranch_scc0 .LBB1422_171
; %bb.174:                              ;   in Loop: Header=BB1422_173 Depth=1
                                        ; implicit-def: $vgpr22_vgpr23
                                        ; implicit-def: $vgpr24_vgpr25
	s_mov_b64 s[34:35], s[12:13]
	s_branch .LBB1422_172
.LBB1422_175:
	v_mov_b64_e32 v[46:47], 0
	s_branch .LBB1422_178
.LBB1422_176:
	s_or_b64 exec, exec, s[28:29]
	v_cmp_gt_i64_e32 vcc, s[12:13], v[26:27]
	s_mov_b32 s26, 0
	v_mov_b32_e32 v47, s26
	v_cndmask_b32_e64 v46, 0, 1, vcc
.LBB1422_177:
	s_or_b64 exec, exec, s[24:25]
.LBB1422_178:
	s_or_b64 exec, exec, s[18:19]
	v_add_u32_e32 v22, 6, v1
	v_cmp_gt_u32_e32 vcc, s21, v22
	v_mov_b64_e32 v[48:49], v[14:15]
	s_and_saveexec_b64 s[18:19], vcc
	s_cbranch_execz .LBB1422_189
; %bb.179:
	s_and_b64 vcc, exec, s[2:3]
	s_cbranch_vccnz .LBB1422_186
; %bb.180:
	v_mul_lo_u32 v24, v15, s12
	v_mul_lo_u32 v25, v14, s13
	v_mad_u64_u32 v[22:23], s[24:25], v14, s12, 0
	v_add3_u32 v23, v23, v25, v24
	v_mul_lo_u32 v24, v13, s12
	v_mul_lo_u32 v25, v12, s13
	v_mad_u64_u32 v[26:27], s[24:25], v12, s12, 0
	v_add3_u32 v27, v27, v25, v24
	v_lshl_add_u64 v[24:25], v[22:23], 1, s[14:15]
	v_lshl_add_u64 v[22:23], v[26:27], 1, s[14:15]
	global_load_ushort v26, v[24:25], off
	global_load_ushort v27, v[22:23], off
	v_mov_b64_e32 v[48:49], 1
	s_waitcnt vmcnt(0)
	v_cmp_eq_u16_e32 vcc, v26, v27
	s_and_saveexec_b64 s[24:25], vcc
	s_cbranch_execz .LBB1422_188
; %bb.181:
	s_add_u32 s26, s12, -1
	v_lshl_add_u64 v[22:23], v[22:23], 0, 2
	v_lshl_add_u64 v[24:25], v[24:25], 0, 2
	s_addc_u32 s27, s13, -1
	s_mov_b64 s[28:29], 0
	s_mov_b64 s[34:35], 0
                                        ; implicit-def: $sgpr30_sgpr31
	s_branch .LBB1422_184
.LBB1422_182:                           ;   in Loop: Header=BB1422_184 Depth=1
	global_load_ushort v26, v[24:25], off
	global_load_ushort v27, v[22:23], off
	s_add_u32 s34, s34, 1
	s_addc_u32 s35, s35, 0
	s_andn2_b64 s[30:31], s[30:31], exec
	v_lshl_add_u64 v[22:23], v[22:23], 0, 2
	v_lshl_add_u64 v[24:25], v[24:25], 0, 2
	s_waitcnt vmcnt(0)
	v_cmp_ne_u16_e32 vcc, v26, v27
	s_and_b64 s[36:37], vcc, exec
	s_or_b64 s[30:31], s[30:31], s[36:37]
.LBB1422_183:                           ;   in Loop: Header=BB1422_184 Depth=1
	s_and_b64 s[36:37], exec, s[30:31]
	s_or_b64 s[28:29], s[36:37], s[28:29]
	v_mov_b64_e32 v[26:27], s[34:35]
	s_andn2_b64 exec, exec, s[28:29]
	s_cbranch_execz .LBB1422_187
.LBB1422_184:                           ; =>This Inner Loop Header: Depth=1
	s_or_b64 s[30:31], s[30:31], exec
	s_cmp_eq_u64 s[26:27], s[34:35]
	s_cbranch_scc0 .LBB1422_182
; %bb.185:                              ;   in Loop: Header=BB1422_184 Depth=1
                                        ; implicit-def: $vgpr22_vgpr23
                                        ; implicit-def: $vgpr24_vgpr25
	s_mov_b64 s[34:35], s[12:13]
	s_branch .LBB1422_183
.LBB1422_186:
	v_mov_b64_e32 v[48:49], 0
	s_branch .LBB1422_189
.LBB1422_187:
	s_or_b64 exec, exec, s[28:29]
	v_cmp_gt_i64_e32 vcc, s[12:13], v[26:27]
	s_mov_b32 s26, 0
	v_mov_b32_e32 v49, s26
	v_cndmask_b32_e64 v48, 0, 1, vcc
.LBB1422_188:
	s_or_b64 exec, exec, s[24:25]
.LBB1422_189:
	s_or_b64 exec, exec, s[18:19]
	v_add_u32_e32 v22, 5, v1
	v_cmp_gt_u32_e32 vcc, s21, v22
	v_mov_b64_e32 v[50:51], v[12:13]
	s_and_saveexec_b64 s[18:19], vcc
	s_cbranch_execz .LBB1422_200
; %bb.190:
	s_and_b64 vcc, exec, s[2:3]
	s_cbranch_vccnz .LBB1422_197
; %bb.191:
	v_mul_lo_u32 v24, v13, s12
	v_mul_lo_u32 v25, v12, s13
	v_mad_u64_u32 v[22:23], s[24:25], v12, s12, 0
	v_add3_u32 v23, v23, v25, v24
	v_mul_lo_u32 v24, v11, s12
	v_mul_lo_u32 v25, v10, s13
	v_mad_u64_u32 v[26:27], s[24:25], v10, s12, 0
	v_add3_u32 v27, v27, v25, v24
	v_lshl_add_u64 v[24:25], v[22:23], 1, s[14:15]
	v_lshl_add_u64 v[22:23], v[26:27], 1, s[14:15]
	global_load_ushort v26, v[24:25], off
	global_load_ushort v27, v[22:23], off
	v_mov_b64_e32 v[50:51], 1
	s_waitcnt vmcnt(0)
	v_cmp_eq_u16_e32 vcc, v26, v27
	s_and_saveexec_b64 s[24:25], vcc
	s_cbranch_execz .LBB1422_199
; %bb.192:
	s_add_u32 s26, s12, -1
	v_lshl_add_u64 v[22:23], v[22:23], 0, 2
	v_lshl_add_u64 v[24:25], v[24:25], 0, 2
	s_addc_u32 s27, s13, -1
	s_mov_b64 s[28:29], 0
	s_mov_b64 s[34:35], 0
                                        ; implicit-def: $sgpr30_sgpr31
	s_branch .LBB1422_195
.LBB1422_193:                           ;   in Loop: Header=BB1422_195 Depth=1
	global_load_ushort v26, v[24:25], off
	global_load_ushort v27, v[22:23], off
	s_add_u32 s34, s34, 1
	s_addc_u32 s35, s35, 0
	s_andn2_b64 s[30:31], s[30:31], exec
	v_lshl_add_u64 v[22:23], v[22:23], 0, 2
	v_lshl_add_u64 v[24:25], v[24:25], 0, 2
	s_waitcnt vmcnt(0)
	v_cmp_ne_u16_e32 vcc, v26, v27
	s_and_b64 s[36:37], vcc, exec
	s_or_b64 s[30:31], s[30:31], s[36:37]
.LBB1422_194:                           ;   in Loop: Header=BB1422_195 Depth=1
	s_and_b64 s[36:37], exec, s[30:31]
	s_or_b64 s[28:29], s[36:37], s[28:29]
	v_mov_b64_e32 v[26:27], s[34:35]
	s_andn2_b64 exec, exec, s[28:29]
	s_cbranch_execz .LBB1422_198
.LBB1422_195:                           ; =>This Inner Loop Header: Depth=1
	s_or_b64 s[30:31], s[30:31], exec
	s_cmp_eq_u64 s[26:27], s[34:35]
	s_cbranch_scc0 .LBB1422_193
; %bb.196:                              ;   in Loop: Header=BB1422_195 Depth=1
                                        ; implicit-def: $vgpr22_vgpr23
                                        ; implicit-def: $vgpr24_vgpr25
	s_mov_b64 s[34:35], s[12:13]
	s_branch .LBB1422_194
.LBB1422_197:
	v_mov_b64_e32 v[50:51], 0
	s_branch .LBB1422_200
.LBB1422_198:
	s_or_b64 exec, exec, s[28:29]
	v_cmp_gt_i64_e32 vcc, s[12:13], v[26:27]
	s_mov_b32 s26, 0
	v_mov_b32_e32 v51, s26
	v_cndmask_b32_e64 v50, 0, 1, vcc
.LBB1422_199:
	s_or_b64 exec, exec, s[24:25]
.LBB1422_200:
	s_or_b64 exec, exec, s[18:19]
	v_add_u32_e32 v22, 4, v1
	v_cmp_gt_u32_e32 vcc, s21, v22
	v_mov_b64_e32 v[52:53], v[10:11]
	s_and_saveexec_b64 s[18:19], vcc
	s_cbranch_execz .LBB1422_211
; %bb.201:
	s_and_b64 vcc, exec, s[2:3]
	s_cbranch_vccnz .LBB1422_208
; %bb.202:
	v_mul_lo_u32 v24, v11, s12
	v_mul_lo_u32 v25, v10, s13
	v_mad_u64_u32 v[22:23], s[24:25], v10, s12, 0
	v_add3_u32 v23, v23, v25, v24
	v_mul_lo_u32 v24, v9, s12
	v_mul_lo_u32 v25, v8, s13
	v_mad_u64_u32 v[26:27], s[24:25], v8, s12, 0
	v_add3_u32 v27, v27, v25, v24
	v_lshl_add_u64 v[24:25], v[22:23], 1, s[14:15]
	v_lshl_add_u64 v[22:23], v[26:27], 1, s[14:15]
	global_load_ushort v26, v[24:25], off
	global_load_ushort v27, v[22:23], off
	v_mov_b64_e32 v[52:53], 1
	s_waitcnt vmcnt(0)
	v_cmp_eq_u16_e32 vcc, v26, v27
	s_and_saveexec_b64 s[24:25], vcc
	s_cbranch_execz .LBB1422_210
; %bb.203:
	s_add_u32 s26, s12, -1
	v_lshl_add_u64 v[22:23], v[22:23], 0, 2
	v_lshl_add_u64 v[24:25], v[24:25], 0, 2
	s_addc_u32 s27, s13, -1
	s_mov_b64 s[28:29], 0
	s_mov_b64 s[34:35], 0
                                        ; implicit-def: $sgpr30_sgpr31
	s_branch .LBB1422_206
.LBB1422_204:                           ;   in Loop: Header=BB1422_206 Depth=1
	global_load_ushort v26, v[24:25], off
	global_load_ushort v27, v[22:23], off
	s_add_u32 s34, s34, 1
	s_addc_u32 s35, s35, 0
	s_andn2_b64 s[30:31], s[30:31], exec
	v_lshl_add_u64 v[22:23], v[22:23], 0, 2
	v_lshl_add_u64 v[24:25], v[24:25], 0, 2
	s_waitcnt vmcnt(0)
	v_cmp_ne_u16_e32 vcc, v26, v27
	s_and_b64 s[36:37], vcc, exec
	s_or_b64 s[30:31], s[30:31], s[36:37]
.LBB1422_205:                           ;   in Loop: Header=BB1422_206 Depth=1
	s_and_b64 s[36:37], exec, s[30:31]
	s_or_b64 s[28:29], s[36:37], s[28:29]
	v_mov_b64_e32 v[26:27], s[34:35]
	s_andn2_b64 exec, exec, s[28:29]
	s_cbranch_execz .LBB1422_209
.LBB1422_206:                           ; =>This Inner Loop Header: Depth=1
	s_or_b64 s[30:31], s[30:31], exec
	s_cmp_eq_u64 s[26:27], s[34:35]
	s_cbranch_scc0 .LBB1422_204
; %bb.207:                              ;   in Loop: Header=BB1422_206 Depth=1
                                        ; implicit-def: $vgpr22_vgpr23
                                        ; implicit-def: $vgpr24_vgpr25
	s_mov_b64 s[34:35], s[12:13]
	s_branch .LBB1422_205
.LBB1422_208:
	v_mov_b64_e32 v[52:53], 0
	s_branch .LBB1422_211
.LBB1422_209:
	s_or_b64 exec, exec, s[28:29]
	v_cmp_gt_i64_e32 vcc, s[12:13], v[26:27]
	s_mov_b32 s26, 0
	v_mov_b32_e32 v53, s26
	v_cndmask_b32_e64 v52, 0, 1, vcc
.LBB1422_210:
	s_or_b64 exec, exec, s[24:25]
.LBB1422_211:
	s_or_b64 exec, exec, s[18:19]
	v_add_u32_e32 v22, 3, v1
	v_cmp_gt_u32_e32 vcc, s21, v22
	v_mov_b64_e32 v[54:55], v[8:9]
	s_and_saveexec_b64 s[18:19], vcc
	s_cbranch_execz .LBB1422_222
; %bb.212:
	s_and_b64 vcc, exec, s[2:3]
	s_cbranch_vccnz .LBB1422_219
; %bb.213:
	v_mul_lo_u32 v24, v9, s12
	v_mul_lo_u32 v25, v8, s13
	v_mad_u64_u32 v[22:23], s[24:25], v8, s12, 0
	v_add3_u32 v23, v23, v25, v24
	v_mul_lo_u32 v24, v7, s12
	v_mul_lo_u32 v25, v6, s13
	v_mad_u64_u32 v[26:27], s[24:25], v6, s12, 0
	v_add3_u32 v27, v27, v25, v24
	v_lshl_add_u64 v[24:25], v[22:23], 1, s[14:15]
	v_lshl_add_u64 v[22:23], v[26:27], 1, s[14:15]
	global_load_ushort v26, v[24:25], off
	global_load_ushort v27, v[22:23], off
	v_mov_b64_e32 v[54:55], 1
	s_waitcnt vmcnt(0)
	v_cmp_eq_u16_e32 vcc, v26, v27
	s_and_saveexec_b64 s[24:25], vcc
	s_cbranch_execz .LBB1422_221
; %bb.214:
	s_add_u32 s26, s12, -1
	v_lshl_add_u64 v[22:23], v[22:23], 0, 2
	v_lshl_add_u64 v[24:25], v[24:25], 0, 2
	s_addc_u32 s27, s13, -1
	s_mov_b64 s[28:29], 0
	s_mov_b64 s[34:35], 0
                                        ; implicit-def: $sgpr30_sgpr31
	s_branch .LBB1422_217
.LBB1422_215:                           ;   in Loop: Header=BB1422_217 Depth=1
	global_load_ushort v26, v[24:25], off
	global_load_ushort v27, v[22:23], off
	s_add_u32 s34, s34, 1
	s_addc_u32 s35, s35, 0
	s_andn2_b64 s[30:31], s[30:31], exec
	v_lshl_add_u64 v[22:23], v[22:23], 0, 2
	v_lshl_add_u64 v[24:25], v[24:25], 0, 2
	s_waitcnt vmcnt(0)
	v_cmp_ne_u16_e32 vcc, v26, v27
	s_and_b64 s[36:37], vcc, exec
	s_or_b64 s[30:31], s[30:31], s[36:37]
.LBB1422_216:                           ;   in Loop: Header=BB1422_217 Depth=1
	s_and_b64 s[36:37], exec, s[30:31]
	s_or_b64 s[28:29], s[36:37], s[28:29]
	v_mov_b64_e32 v[26:27], s[34:35]
	s_andn2_b64 exec, exec, s[28:29]
	s_cbranch_execz .LBB1422_220
.LBB1422_217:                           ; =>This Inner Loop Header: Depth=1
	s_or_b64 s[30:31], s[30:31], exec
	s_cmp_eq_u64 s[26:27], s[34:35]
	s_cbranch_scc0 .LBB1422_215
; %bb.218:                              ;   in Loop: Header=BB1422_217 Depth=1
                                        ; implicit-def: $vgpr22_vgpr23
                                        ; implicit-def: $vgpr24_vgpr25
	s_mov_b64 s[34:35], s[12:13]
	s_branch .LBB1422_216
.LBB1422_219:
	v_mov_b64_e32 v[54:55], 0
	s_branch .LBB1422_222
.LBB1422_220:
	s_or_b64 exec, exec, s[28:29]
	v_cmp_gt_i64_e32 vcc, s[12:13], v[26:27]
	s_mov_b32 s26, 0
	v_mov_b32_e32 v55, s26
	v_cndmask_b32_e64 v54, 0, 1, vcc
.LBB1422_221:
	s_or_b64 exec, exec, s[24:25]
.LBB1422_222:
	s_or_b64 exec, exec, s[18:19]
	v_add_u32_e32 v22, 2, v1
	v_cmp_gt_u32_e32 vcc, s21, v22
	v_mov_b64_e32 v[56:57], v[6:7]
	s_and_saveexec_b64 s[18:19], vcc
	s_cbranch_execz .LBB1422_233
; %bb.223:
	s_and_b64 vcc, exec, s[2:3]
	s_cbranch_vccnz .LBB1422_230
; %bb.224:
	v_mul_lo_u32 v24, v7, s12
	v_mul_lo_u32 v25, v6, s13
	v_mad_u64_u32 v[22:23], s[24:25], v6, s12, 0
	v_add3_u32 v23, v23, v25, v24
	v_mul_lo_u32 v24, v5, s12
	v_mul_lo_u32 v25, v4, s13
	v_mad_u64_u32 v[26:27], s[24:25], v4, s12, 0
	v_add3_u32 v27, v27, v25, v24
	v_lshl_add_u64 v[24:25], v[22:23], 1, s[14:15]
	v_lshl_add_u64 v[22:23], v[26:27], 1, s[14:15]
	global_load_ushort v26, v[24:25], off
	global_load_ushort v27, v[22:23], off
	v_mov_b64_e32 v[56:57], 1
	s_waitcnt vmcnt(0)
	v_cmp_eq_u16_e32 vcc, v26, v27
	s_and_saveexec_b64 s[24:25], vcc
	s_cbranch_execz .LBB1422_232
; %bb.225:
	s_add_u32 s26, s12, -1
	v_lshl_add_u64 v[22:23], v[22:23], 0, 2
	v_lshl_add_u64 v[24:25], v[24:25], 0, 2
	s_addc_u32 s27, s13, -1
	s_mov_b64 s[28:29], 0
	s_mov_b64 s[34:35], 0
                                        ; implicit-def: $sgpr30_sgpr31
	s_branch .LBB1422_228
.LBB1422_226:                           ;   in Loop: Header=BB1422_228 Depth=1
	global_load_ushort v26, v[24:25], off
	global_load_ushort v27, v[22:23], off
	s_add_u32 s34, s34, 1
	s_addc_u32 s35, s35, 0
	s_andn2_b64 s[30:31], s[30:31], exec
	v_lshl_add_u64 v[22:23], v[22:23], 0, 2
	v_lshl_add_u64 v[24:25], v[24:25], 0, 2
	s_waitcnt vmcnt(0)
	v_cmp_ne_u16_e32 vcc, v26, v27
	s_and_b64 s[36:37], vcc, exec
	s_or_b64 s[30:31], s[30:31], s[36:37]
.LBB1422_227:                           ;   in Loop: Header=BB1422_228 Depth=1
	s_and_b64 s[36:37], exec, s[30:31]
	s_or_b64 s[28:29], s[36:37], s[28:29]
	v_mov_b64_e32 v[26:27], s[34:35]
	s_andn2_b64 exec, exec, s[28:29]
	s_cbranch_execz .LBB1422_231
.LBB1422_228:                           ; =>This Inner Loop Header: Depth=1
	s_or_b64 s[30:31], s[30:31], exec
	s_cmp_eq_u64 s[26:27], s[34:35]
	s_cbranch_scc0 .LBB1422_226
; %bb.229:                              ;   in Loop: Header=BB1422_228 Depth=1
                                        ; implicit-def: $vgpr22_vgpr23
                                        ; implicit-def: $vgpr24_vgpr25
	s_mov_b64 s[34:35], s[12:13]
	s_branch .LBB1422_227
.LBB1422_230:
	v_mov_b64_e32 v[56:57], 0
	s_branch .LBB1422_233
.LBB1422_231:
	s_or_b64 exec, exec, s[28:29]
	v_cmp_gt_i64_e32 vcc, s[12:13], v[26:27]
	s_mov_b32 s26, 0
	v_mov_b32_e32 v57, s26
	v_cndmask_b32_e64 v56, 0, 1, vcc
.LBB1422_232:
	s_or_b64 exec, exec, s[24:25]
.LBB1422_233:
	s_or_b64 exec, exec, s[18:19]
	v_add_u32_e32 v22, 1, v1
	v_cmp_gt_u32_e32 vcc, s21, v22
	v_mov_b64_e32 v[58:59], v[4:5]
	s_and_saveexec_b64 s[18:19], vcc
	s_cbranch_execz .LBB1422_244
; %bb.234:
	s_and_b64 vcc, exec, s[2:3]
	s_cbranch_vccnz .LBB1422_241
; %bb.235:
	v_mul_lo_u32 v24, v5, s12
	v_mul_lo_u32 v25, v4, s13
	v_mad_u64_u32 v[22:23], s[24:25], v4, s12, 0
	v_add3_u32 v23, v23, v25, v24
	v_mul_lo_u32 v24, v3, s12
	v_mul_lo_u32 v25, v2, s13
	v_mad_u64_u32 v[26:27], s[24:25], v2, s12, 0
	v_add3_u32 v27, v27, v25, v24
	v_lshl_add_u64 v[24:25], v[22:23], 1, s[14:15]
	v_lshl_add_u64 v[22:23], v[26:27], 1, s[14:15]
	global_load_ushort v26, v[24:25], off
	global_load_ushort v27, v[22:23], off
	v_mov_b64_e32 v[58:59], 1
	s_waitcnt vmcnt(0)
	v_cmp_eq_u16_e32 vcc, v26, v27
	s_and_saveexec_b64 s[24:25], vcc
	s_cbranch_execz .LBB1422_243
; %bb.236:
	s_add_u32 s26, s12, -1
	v_lshl_add_u64 v[22:23], v[22:23], 0, 2
	v_lshl_add_u64 v[24:25], v[24:25], 0, 2
	s_addc_u32 s27, s13, -1
	s_mov_b64 s[28:29], 0
	s_mov_b64 s[34:35], 0
                                        ; implicit-def: $sgpr30_sgpr31
	s_branch .LBB1422_239
.LBB1422_237:                           ;   in Loop: Header=BB1422_239 Depth=1
	global_load_ushort v26, v[24:25], off
	global_load_ushort v27, v[22:23], off
	s_add_u32 s34, s34, 1
	s_addc_u32 s35, s35, 0
	s_andn2_b64 s[30:31], s[30:31], exec
	v_lshl_add_u64 v[22:23], v[22:23], 0, 2
	v_lshl_add_u64 v[24:25], v[24:25], 0, 2
	s_waitcnt vmcnt(0)
	v_cmp_ne_u16_e32 vcc, v26, v27
	s_and_b64 s[36:37], vcc, exec
	s_or_b64 s[30:31], s[30:31], s[36:37]
.LBB1422_238:                           ;   in Loop: Header=BB1422_239 Depth=1
	s_and_b64 s[36:37], exec, s[30:31]
	s_or_b64 s[28:29], s[36:37], s[28:29]
	v_mov_b64_e32 v[26:27], s[34:35]
	s_andn2_b64 exec, exec, s[28:29]
	s_cbranch_execz .LBB1422_242
.LBB1422_239:                           ; =>This Inner Loop Header: Depth=1
	s_or_b64 s[30:31], s[30:31], exec
	s_cmp_eq_u64 s[26:27], s[34:35]
	s_cbranch_scc0 .LBB1422_237
; %bb.240:                              ;   in Loop: Header=BB1422_239 Depth=1
                                        ; implicit-def: $vgpr22_vgpr23
                                        ; implicit-def: $vgpr24_vgpr25
	s_mov_b64 s[34:35], s[12:13]
	s_branch .LBB1422_238
.LBB1422_241:
	v_mov_b64_e32 v[58:59], 0
	s_branch .LBB1422_244
.LBB1422_242:
	s_or_b64 exec, exec, s[28:29]
	v_cmp_gt_i64_e32 vcc, s[12:13], v[26:27]
	s_mov_b32 s26, 0
	v_mov_b32_e32 v59, s26
	v_cndmask_b32_e64 v58, 0, 1, vcc
.LBB1422_243:
	s_or_b64 exec, exec, s[24:25]
.LBB1422_244:
	s_or_b64 exec, exec, s[18:19]
	v_cmp_ne_u32_e32 vcc, 0, v0
	v_mov_b64_e32 v[22:23], s[16:17]
	s_waitcnt lgkmcnt(0)
	s_barrier
	s_and_saveexec_b64 s[16:17], vcc
	s_cbranch_execz .LBB1422_246
; %bb.245:
	v_add_u32_e32 v22, -8, v40
	ds_read_b64 v[22:23], v22
.LBB1422_246:
	s_or_b64 exec, exec, s[16:17]
	v_cmp_gt_u32_e32 vcc, s21, v1
                                        ; implicit-def: $sgpr18_sgpr19
	s_and_saveexec_b64 s[16:17], vcc
	s_cbranch_execz .LBB1422_258
; %bb.247:
	s_and_b64 vcc, exec, s[2:3]
	s_cbranch_vccnz .LBB1422_254
; %bb.248:
	v_mul_lo_u32 v1, v3, s12
	v_mul_lo_u32 v26, v2, s13
	v_mad_u64_u32 v[24:25], s[2:3], v2, s12, 0
	v_add3_u32 v25, v25, v26, v1
	s_waitcnt lgkmcnt(0)
	v_mul_lo_u32 v1, v23, s12
	v_mul_lo_u32 v26, v22, s13
	v_mad_u64_u32 v[22:23], s[2:3], v22, s12, 0
	v_add3_u32 v23, v23, v26, v1
	v_lshl_add_u64 v[24:25], v[24:25], 1, s[14:15]
	v_lshl_add_u64 v[22:23], v[22:23], 1, s[14:15]
	global_load_ushort v1, v[24:25], off
	global_load_ushort v26, v[22:23], off
	s_mov_b64 s[18:19], -1
	s_waitcnt vmcnt(0)
	v_cmp_eq_u16_e32 vcc, v1, v26
	s_and_saveexec_b64 s[2:3], vcc
	s_cbranch_execz .LBB1422_256
; %bb.249:
	s_add_u32 s18, s12, -1
	v_lshl_add_u64 v[22:23], v[22:23], 0, 2
	v_lshl_add_u64 v[24:25], v[24:25], 0, 2
	s_addc_u32 s19, s13, -1
	s_mov_b64 s[24:25], 0
	s_mov_b64 s[28:29], 0
                                        ; implicit-def: $sgpr26_sgpr27
	s_branch .LBB1422_252
.LBB1422_250:                           ;   in Loop: Header=BB1422_252 Depth=1
	global_load_ushort v1, v[24:25], off
	global_load_ushort v26, v[22:23], off
	s_add_u32 s28, s28, 1
	s_addc_u32 s29, s29, 0
	s_andn2_b64 s[26:27], s[26:27], exec
	v_lshl_add_u64 v[22:23], v[22:23], 0, 2
	v_lshl_add_u64 v[24:25], v[24:25], 0, 2
	s_waitcnt vmcnt(0)
	v_cmp_ne_u16_e32 vcc, v1, v26
	s_and_b64 s[30:31], vcc, exec
	s_or_b64 s[26:27], s[26:27], s[30:31]
.LBB1422_251:                           ;   in Loop: Header=BB1422_252 Depth=1
	s_and_b64 s[30:31], exec, s[26:27]
	s_or_b64 s[24:25], s[30:31], s[24:25]
	v_mov_b64_e32 v[26:27], s[28:29]
	s_andn2_b64 exec, exec, s[24:25]
	s_cbranch_execz .LBB1422_255
.LBB1422_252:                           ; =>This Inner Loop Header: Depth=1
	s_or_b64 s[26:27], s[26:27], exec
	s_cmp_eq_u64 s[18:19], s[28:29]
	s_cbranch_scc0 .LBB1422_250
; %bb.253:                              ;   in Loop: Header=BB1422_252 Depth=1
                                        ; implicit-def: $vgpr22_vgpr23
                                        ; implicit-def: $vgpr24_vgpr25
	s_mov_b64 s[28:29], s[12:13]
	s_branch .LBB1422_251
.LBB1422_254:
	s_mov_b64 s[18:19], 0
	s_branch .LBB1422_257
.LBB1422_255:
	s_or_b64 exec, exec, s[24:25]
	v_cmp_gt_i64_e32 vcc, s[12:13], v[26:27]
	s_orn2_b64 s[18:19], vcc, exec
.LBB1422_256:
	s_or_b64 exec, exec, s[2:3]
.LBB1422_257:
	s_and_b64 s[18:19], s[18:19], exec
	s_or_b64 s[22:23], s[22:23], exec
.LBB1422_258:
	s_or_b64 exec, exec, s[16:17]
	v_mov_b64_e32 v[60:61], v[44:45]
	s_waitcnt lgkmcnt(0)
	v_mov_b64_e32 v[22:23], v[38:39]
	v_mov_b64_e32 v[68:69], v[58:59]
	;; [unrolled: 1-line block ×8, first 2 shown]
	s_branch .LBB1422_488
.LBB1422_259:
	s_cmp_lg_u64 s[4:5], 1
	s_cbranch_scc0 .LBB1422_267
; %bb.260:
	v_mul_lo_u32 v1, v21, s12
	v_mul_lo_u32 v24, v20, s13
	s_waitcnt lgkmcnt(0)
	v_mad_u64_u32 v[22:23], s[16:17], v20, s12, 0
	v_mov_b64_e32 v[38:39], 0
	v_cmp_lt_i64_e64 s[2:3], s[12:13], 1
	v_add3_u32 v23, v23, v24, v1
	v_cmp_gt_i64_e64 s[4:5], s[12:13], 0
	s_and_b64 vcc, exec, s[2:3]
	v_lshl_add_u64 v[22:23], v[22:23], 1, s[14:15]
	v_mov_b64_e32 v[42:43], v[38:39]
	ds_write_b64 v40, v[36:37]
	s_cbranch_vccnz .LBB1422_270
; %bb.261:
	v_mul_lo_u32 v1, v37, s12
	v_mul_lo_u32 v26, v36, s13
	v_mad_u64_u32 v[24:25], s[2:3], v36, s12, 0
	v_add3_u32 v25, v25, v26, v1
	v_lshl_add_u64 v[26:27], v[24:25], 1, s[14:15]
	global_load_ushort v1, v[26:27], off
	global_load_ushort v24, v[22:23], off
	v_mov_b64_e32 v[42:43], 1
	s_waitcnt vmcnt(0)
	v_cmp_eq_u16_e32 vcc, v1, v24
	s_and_saveexec_b64 s[2:3], vcc
	s_cbranch_execz .LBB1422_269
; %bb.262:
	s_add_u32 s16, s12, -1
	v_lshl_add_u64 v[24:25], v[22:23], 0, 2
	v_lshl_add_u64 v[26:27], v[26:27], 0, 2
	s_addc_u32 s17, s13, -1
	s_mov_b64 s[18:19], 0
	s_mov_b64 s[26:27], 0
                                        ; implicit-def: $sgpr24_sgpr25
	s_branch .LBB1422_265
.LBB1422_263:                           ;   in Loop: Header=BB1422_265 Depth=1
	global_load_ushort v1, v[26:27], off
	global_load_ushort v28, v[24:25], off
	s_add_u32 s26, s26, 1
	s_addc_u32 s27, s27, 0
	s_andn2_b64 s[24:25], s[24:25], exec
	v_lshl_add_u64 v[24:25], v[24:25], 0, 2
	v_lshl_add_u64 v[26:27], v[26:27], 0, 2
	s_waitcnt vmcnt(0)
	v_cmp_ne_u16_e32 vcc, v1, v28
	s_and_b64 s[28:29], vcc, exec
	s_or_b64 s[24:25], s[24:25], s[28:29]
.LBB1422_264:                           ;   in Loop: Header=BB1422_265 Depth=1
	s_and_b64 s[28:29], exec, s[24:25]
	s_or_b64 s[18:19], s[28:29], s[18:19]
	v_mov_b64_e32 v[28:29], s[26:27]
	s_andn2_b64 exec, exec, s[18:19]
	s_cbranch_execz .LBB1422_268
.LBB1422_265:                           ; =>This Inner Loop Header: Depth=1
	s_or_b64 s[24:25], s[24:25], exec
	s_cmp_eq_u64 s[16:17], s[26:27]
	s_cbranch_scc0 .LBB1422_263
; %bb.266:                              ;   in Loop: Header=BB1422_265 Depth=1
                                        ; implicit-def: $vgpr24_vgpr25
                                        ; implicit-def: $vgpr26_vgpr27
	s_mov_b64 s[26:27], s[12:13]
	s_branch .LBB1422_264
.LBB1422_267:
                                        ; implicit-def: $vgpr22_vgpr23_vgpr24_vgpr25
                                        ; implicit-def: $sgpr18_sgpr19
                                        ; implicit-def: $vgpr42_vgpr43
                                        ; implicit-def: $vgpr44_vgpr45
                                        ; implicit-def: $vgpr38_vgpr39
                                        ; implicit-def: $vgpr58_vgpr59
                                        ; implicit-def: $vgpr56_vgpr57
                                        ; implicit-def: $vgpr54_vgpr55
                                        ; implicit-def: $vgpr52_vgpr53
                                        ; implicit-def: $vgpr50_vgpr51
                                        ; implicit-def: $vgpr48_vgpr49
                                        ; implicit-def: $vgpr46_vgpr47
                                        ; implicit-def: $vgpr60_vgpr61
                                        ; implicit-def: $vgpr68_vgpr69
                                        ; implicit-def: $vgpr62_vgpr63
                                        ; implicit-def: $vgpr64_vgpr65
                                        ; implicit-def: $vgpr66_vgpr67
                                        ; implicit-def: $vgpr24_vgpr25_vgpr26_vgpr27
                                        ; implicit-def: $vgpr28_vgpr29_vgpr30_vgpr31
                                        ; implicit-def: $vgpr32_vgpr33_vgpr34_vgpr35
	s_cbranch_execnz .LBB1422_365
	s_branch .LBB1422_488
.LBB1422_268:
	s_or_b64 exec, exec, s[18:19]
	v_cmp_gt_i64_e32 vcc, s[12:13], v[28:29]
	s_mov_b32 s16, 0
	v_mov_b32_e32 v43, s16
	v_cndmask_b32_e64 v42, 0, 1, vcc
.LBB1422_269:
	s_or_b64 exec, exec, s[2:3]
.LBB1422_270:
	v_mul_lo_u32 v1, v19, s12
	v_mul_lo_u32 v26, v18, s13
	v_mad_u64_u32 v[24:25], s[2:3], v18, s12, 0
	v_add3_u32 v25, v25, v26, v1
	v_cndmask_b32_e64 v1, 0, 1, s[4:5]
	v_cmp_ne_u32_e64 s[2:3], 1, v1
	s_andn2_b64 vcc, exec, s[4:5]
	v_lshl_add_u64 v[24:25], v[24:25], 1, s[14:15]
	v_mov_b64_e32 v[44:45], v[38:39]
	s_cbranch_vccnz .LBB1422_279
; %bb.271:
	global_load_ushort v1, v[22:23], off
	global_load_ushort v26, v[24:25], off
	v_mov_b64_e32 v[44:45], 1
	s_waitcnt vmcnt(0)
	v_cmp_eq_u16_e32 vcc, v1, v26
	s_and_saveexec_b64 s[4:5], vcc
	s_cbranch_execz .LBB1422_278
; %bb.272:
	s_add_u32 s16, s12, -1
	v_lshl_add_u64 v[26:27], v[24:25], 0, 2
	v_lshl_add_u64 v[22:23], v[22:23], 0, 2
	s_addc_u32 s17, s13, -1
	s_mov_b64 s[18:19], 0
	s_mov_b64 s[26:27], 0
                                        ; implicit-def: $sgpr24_sgpr25
	s_branch .LBB1422_275
.LBB1422_273:                           ;   in Loop: Header=BB1422_275 Depth=1
	global_load_ushort v1, v[22:23], off
	global_load_ushort v28, v[26:27], off
	s_add_u32 s26, s26, 1
	s_addc_u32 s27, s27, 0
	s_andn2_b64 s[24:25], s[24:25], exec
	v_lshl_add_u64 v[26:27], v[26:27], 0, 2
	v_lshl_add_u64 v[22:23], v[22:23], 0, 2
	s_waitcnt vmcnt(0)
	v_cmp_ne_u16_e32 vcc, v1, v28
	s_and_b64 s[28:29], vcc, exec
	s_or_b64 s[24:25], s[24:25], s[28:29]
.LBB1422_274:                           ;   in Loop: Header=BB1422_275 Depth=1
	s_and_b64 s[28:29], exec, s[24:25]
	s_or_b64 s[18:19], s[28:29], s[18:19]
	v_mov_b64_e32 v[28:29], s[26:27]
	s_andn2_b64 exec, exec, s[18:19]
	s_cbranch_execz .LBB1422_277
.LBB1422_275:                           ; =>This Inner Loop Header: Depth=1
	s_or_b64 s[24:25], s[24:25], exec
	s_cmp_eq_u64 s[16:17], s[26:27]
	s_cbranch_scc0 .LBB1422_273
; %bb.276:                              ;   in Loop: Header=BB1422_275 Depth=1
                                        ; implicit-def: $vgpr26_vgpr27
                                        ; implicit-def: $vgpr22_vgpr23
	s_mov_b64 s[26:27], s[12:13]
	s_branch .LBB1422_274
.LBB1422_277:
	s_or_b64 exec, exec, s[18:19]
	v_cmp_gt_i64_e32 vcc, s[12:13], v[28:29]
	s_mov_b32 s16, 0
	v_mov_b32_e32 v45, s16
	v_cndmask_b32_e64 v44, 0, 1, vcc
.LBB1422_278:
	s_or_b64 exec, exec, s[4:5]
.LBB1422_279:
	v_mul_lo_u32 v1, v17, s12
	v_mul_lo_u32 v26, v16, s13
	v_mad_u64_u32 v[22:23], s[4:5], v16, s12, 0
	v_add3_u32 v23, v23, v26, v1
	s_and_b64 vcc, exec, s[2:3]
	v_lshl_add_u64 v[22:23], v[22:23], 1, s[14:15]
	s_cbranch_vccnz .LBB1422_288
; %bb.280:
	global_load_ushort v1, v[24:25], off
	global_load_ushort v26, v[22:23], off
	v_mov_b64_e32 v[38:39], 1
	s_waitcnt vmcnt(0)
	v_cmp_eq_u16_e32 vcc, v1, v26
	s_and_saveexec_b64 s[4:5], vcc
	s_cbranch_execz .LBB1422_287
; %bb.281:
	s_add_u32 s16, s12, -1
	v_lshl_add_u64 v[26:27], v[22:23], 0, 2
	v_lshl_add_u64 v[24:25], v[24:25], 0, 2
	s_addc_u32 s17, s13, -1
	s_mov_b64 s[18:19], 0
	s_mov_b64 s[26:27], 0
                                        ; implicit-def: $sgpr24_sgpr25
	s_branch .LBB1422_284
.LBB1422_282:                           ;   in Loop: Header=BB1422_284 Depth=1
	global_load_ushort v1, v[24:25], off
	global_load_ushort v28, v[26:27], off
	s_add_u32 s26, s26, 1
	s_addc_u32 s27, s27, 0
	s_andn2_b64 s[24:25], s[24:25], exec
	v_lshl_add_u64 v[26:27], v[26:27], 0, 2
	v_lshl_add_u64 v[24:25], v[24:25], 0, 2
	s_waitcnt vmcnt(0)
	v_cmp_ne_u16_e32 vcc, v1, v28
	s_and_b64 s[28:29], vcc, exec
	s_or_b64 s[24:25], s[24:25], s[28:29]
.LBB1422_283:                           ;   in Loop: Header=BB1422_284 Depth=1
	s_and_b64 s[28:29], exec, s[24:25]
	s_or_b64 s[18:19], s[28:29], s[18:19]
	v_mov_b64_e32 v[28:29], s[26:27]
	s_andn2_b64 exec, exec, s[18:19]
	s_cbranch_execz .LBB1422_286
.LBB1422_284:                           ; =>This Inner Loop Header: Depth=1
	s_or_b64 s[24:25], s[24:25], exec
	s_cmp_eq_u64 s[16:17], s[26:27]
	s_cbranch_scc0 .LBB1422_282
; %bb.285:                              ;   in Loop: Header=BB1422_284 Depth=1
                                        ; implicit-def: $vgpr26_vgpr27
                                        ; implicit-def: $vgpr24_vgpr25
	s_mov_b64 s[26:27], s[12:13]
	s_branch .LBB1422_283
.LBB1422_286:
	s_or_b64 exec, exec, s[18:19]
	v_cmp_gt_i64_e32 vcc, s[12:13], v[28:29]
	s_mov_b32 s16, 0
	v_mov_b32_e32 v39, s16
	v_cndmask_b32_e64 v38, 0, 1, vcc
.LBB1422_287:
	s_or_b64 exec, exec, s[4:5]
.LBB1422_288:
	v_mul_lo_u32 v1, v15, s12
	v_mul_lo_u32 v26, v14, s13
	v_mad_u64_u32 v[24:25], s[4:5], v14, s12, 0
	v_add3_u32 v25, v25, v26, v1
	v_mov_b64_e32 v[48:49], 0
	s_and_b64 vcc, exec, s[2:3]
	v_lshl_add_u64 v[24:25], v[24:25], 1, s[14:15]
	v_mov_b64_e32 v[46:47], v[48:49]
	s_cbranch_vccnz .LBB1422_297
; %bb.289:
	global_load_ushort v1, v[22:23], off
	global_load_ushort v26, v[24:25], off
	v_mov_b64_e32 v[46:47], 1
	s_waitcnt vmcnt(0)
	v_cmp_eq_u16_e32 vcc, v1, v26
	s_and_saveexec_b64 s[4:5], vcc
	s_cbranch_execz .LBB1422_296
; %bb.290:
	s_add_u32 s16, s12, -1
	v_lshl_add_u64 v[26:27], v[24:25], 0, 2
	v_lshl_add_u64 v[22:23], v[22:23], 0, 2
	s_addc_u32 s17, s13, -1
	s_mov_b64 s[18:19], 0
	s_mov_b64 s[26:27], 0
                                        ; implicit-def: $sgpr24_sgpr25
	s_branch .LBB1422_293
.LBB1422_291:                           ;   in Loop: Header=BB1422_293 Depth=1
	global_load_ushort v1, v[22:23], off
	global_load_ushort v28, v[26:27], off
	s_add_u32 s26, s26, 1
	s_addc_u32 s27, s27, 0
	s_andn2_b64 s[24:25], s[24:25], exec
	v_lshl_add_u64 v[26:27], v[26:27], 0, 2
	v_lshl_add_u64 v[22:23], v[22:23], 0, 2
	s_waitcnt vmcnt(0)
	v_cmp_ne_u16_e32 vcc, v1, v28
	s_and_b64 s[28:29], vcc, exec
	s_or_b64 s[24:25], s[24:25], s[28:29]
.LBB1422_292:                           ;   in Loop: Header=BB1422_293 Depth=1
	s_and_b64 s[28:29], exec, s[24:25]
	s_or_b64 s[18:19], s[28:29], s[18:19]
	v_mov_b64_e32 v[28:29], s[26:27]
	s_andn2_b64 exec, exec, s[18:19]
	s_cbranch_execz .LBB1422_295
.LBB1422_293:                           ; =>This Inner Loop Header: Depth=1
	s_or_b64 s[24:25], s[24:25], exec
	s_cmp_eq_u64 s[16:17], s[26:27]
	s_cbranch_scc0 .LBB1422_291
; %bb.294:                              ;   in Loop: Header=BB1422_293 Depth=1
                                        ; implicit-def: $vgpr26_vgpr27
                                        ; implicit-def: $vgpr22_vgpr23
	s_mov_b64 s[26:27], s[12:13]
	s_branch .LBB1422_292
.LBB1422_295:
	s_or_b64 exec, exec, s[18:19]
	v_cmp_gt_i64_e32 vcc, s[12:13], v[28:29]
	s_mov_b32 s16, 0
	v_mov_b32_e32 v47, s16
	v_cndmask_b32_e64 v46, 0, 1, vcc
.LBB1422_296:
	s_or_b64 exec, exec, s[4:5]
.LBB1422_297:
	v_mul_lo_u32 v1, v13, s12
	v_mul_lo_u32 v26, v12, s13
	v_mad_u64_u32 v[22:23], s[4:5], v12, s12, 0
	v_add3_u32 v23, v23, v26, v1
	s_and_b64 vcc, exec, s[2:3]
	v_lshl_add_u64 v[22:23], v[22:23], 1, s[14:15]
	s_cbranch_vccnz .LBB1422_306
; %bb.298:
	global_load_ushort v1, v[24:25], off
	global_load_ushort v26, v[22:23], off
	v_mov_b64_e32 v[48:49], 1
	s_waitcnt vmcnt(0)
	v_cmp_eq_u16_e32 vcc, v1, v26
	s_and_saveexec_b64 s[4:5], vcc
	s_cbranch_execz .LBB1422_305
; %bb.299:
	s_add_u32 s16, s12, -1
	v_lshl_add_u64 v[26:27], v[22:23], 0, 2
	v_lshl_add_u64 v[24:25], v[24:25], 0, 2
	s_addc_u32 s17, s13, -1
	s_mov_b64 s[18:19], 0
	s_mov_b64 s[26:27], 0
                                        ; implicit-def: $sgpr24_sgpr25
	s_branch .LBB1422_302
.LBB1422_300:                           ;   in Loop: Header=BB1422_302 Depth=1
	global_load_ushort v1, v[24:25], off
	global_load_ushort v28, v[26:27], off
	s_add_u32 s26, s26, 1
	s_addc_u32 s27, s27, 0
	s_andn2_b64 s[24:25], s[24:25], exec
	v_lshl_add_u64 v[26:27], v[26:27], 0, 2
	v_lshl_add_u64 v[24:25], v[24:25], 0, 2
	s_waitcnt vmcnt(0)
	v_cmp_ne_u16_e32 vcc, v1, v28
	s_and_b64 s[28:29], vcc, exec
	s_or_b64 s[24:25], s[24:25], s[28:29]
.LBB1422_301:                           ;   in Loop: Header=BB1422_302 Depth=1
	s_and_b64 s[28:29], exec, s[24:25]
	s_or_b64 s[18:19], s[28:29], s[18:19]
	v_mov_b64_e32 v[28:29], s[26:27]
	s_andn2_b64 exec, exec, s[18:19]
	s_cbranch_execz .LBB1422_304
.LBB1422_302:                           ; =>This Inner Loop Header: Depth=1
	s_or_b64 s[24:25], s[24:25], exec
	s_cmp_eq_u64 s[16:17], s[26:27]
	s_cbranch_scc0 .LBB1422_300
; %bb.303:                              ;   in Loop: Header=BB1422_302 Depth=1
                                        ; implicit-def: $vgpr26_vgpr27
                                        ; implicit-def: $vgpr24_vgpr25
	s_mov_b64 s[26:27], s[12:13]
	s_branch .LBB1422_301
.LBB1422_304:
	s_or_b64 exec, exec, s[18:19]
	v_cmp_gt_i64_e32 vcc, s[12:13], v[28:29]
	s_mov_b32 s16, 0
	v_mov_b32_e32 v49, s16
	v_cndmask_b32_e64 v48, 0, 1, vcc
.LBB1422_305:
	s_or_b64 exec, exec, s[4:5]
.LBB1422_306:
	v_mul_lo_u32 v1, v11, s12
	v_mul_lo_u32 v26, v10, s13
	v_mad_u64_u32 v[24:25], s[4:5], v10, s12, 0
	v_add3_u32 v25, v25, v26, v1
	v_mov_b64_e32 v[52:53], 0
	s_and_b64 vcc, exec, s[2:3]
	v_lshl_add_u64 v[24:25], v[24:25], 1, s[14:15]
	v_mov_b64_e32 v[50:51], v[52:53]
	s_cbranch_vccnz .LBB1422_315
; %bb.307:
	global_load_ushort v1, v[22:23], off
	global_load_ushort v26, v[24:25], off
	v_mov_b64_e32 v[50:51], 1
	s_waitcnt vmcnt(0)
	v_cmp_eq_u16_e32 vcc, v1, v26
	s_and_saveexec_b64 s[4:5], vcc
	s_cbranch_execz .LBB1422_314
; %bb.308:
	s_add_u32 s16, s12, -1
	v_lshl_add_u64 v[26:27], v[24:25], 0, 2
	v_lshl_add_u64 v[22:23], v[22:23], 0, 2
	s_addc_u32 s17, s13, -1
	s_mov_b64 s[18:19], 0
	s_mov_b64 s[26:27], 0
                                        ; implicit-def: $sgpr24_sgpr25
	s_branch .LBB1422_311
.LBB1422_309:                           ;   in Loop: Header=BB1422_311 Depth=1
	global_load_ushort v1, v[22:23], off
	global_load_ushort v28, v[26:27], off
	s_add_u32 s26, s26, 1
	s_addc_u32 s27, s27, 0
	s_andn2_b64 s[24:25], s[24:25], exec
	v_lshl_add_u64 v[26:27], v[26:27], 0, 2
	v_lshl_add_u64 v[22:23], v[22:23], 0, 2
	s_waitcnt vmcnt(0)
	v_cmp_ne_u16_e32 vcc, v1, v28
	s_and_b64 s[28:29], vcc, exec
	s_or_b64 s[24:25], s[24:25], s[28:29]
.LBB1422_310:                           ;   in Loop: Header=BB1422_311 Depth=1
	s_and_b64 s[28:29], exec, s[24:25]
	s_or_b64 s[18:19], s[28:29], s[18:19]
	v_mov_b64_e32 v[28:29], s[26:27]
	s_andn2_b64 exec, exec, s[18:19]
	s_cbranch_execz .LBB1422_313
.LBB1422_311:                           ; =>This Inner Loop Header: Depth=1
	s_or_b64 s[24:25], s[24:25], exec
	s_cmp_eq_u64 s[16:17], s[26:27]
	s_cbranch_scc0 .LBB1422_309
; %bb.312:                              ;   in Loop: Header=BB1422_311 Depth=1
                                        ; implicit-def: $vgpr26_vgpr27
                                        ; implicit-def: $vgpr22_vgpr23
	s_mov_b64 s[26:27], s[12:13]
	s_branch .LBB1422_310
.LBB1422_313:
	s_or_b64 exec, exec, s[18:19]
	v_cmp_gt_i64_e32 vcc, s[12:13], v[28:29]
	s_mov_b32 s16, 0
	v_mov_b32_e32 v51, s16
	v_cndmask_b32_e64 v50, 0, 1, vcc
.LBB1422_314:
	s_or_b64 exec, exec, s[4:5]
.LBB1422_315:
	v_mul_lo_u32 v1, v9, s12
	v_mul_lo_u32 v26, v8, s13
	v_mad_u64_u32 v[22:23], s[4:5], v8, s12, 0
	v_add3_u32 v23, v23, v26, v1
	s_and_b64 vcc, exec, s[2:3]
	v_lshl_add_u64 v[22:23], v[22:23], 1, s[14:15]
	s_cbranch_vccnz .LBB1422_324
; %bb.316:
	global_load_ushort v1, v[24:25], off
	global_load_ushort v26, v[22:23], off
	v_mov_b64_e32 v[52:53], 1
	s_waitcnt vmcnt(0)
	v_cmp_eq_u16_e32 vcc, v1, v26
	s_and_saveexec_b64 s[4:5], vcc
	s_cbranch_execz .LBB1422_323
; %bb.317:
	s_add_u32 s16, s12, -1
	v_lshl_add_u64 v[26:27], v[22:23], 0, 2
	v_lshl_add_u64 v[24:25], v[24:25], 0, 2
	s_addc_u32 s17, s13, -1
	s_mov_b64 s[18:19], 0
	s_mov_b64 s[26:27], 0
                                        ; implicit-def: $sgpr24_sgpr25
	s_branch .LBB1422_320
.LBB1422_318:                           ;   in Loop: Header=BB1422_320 Depth=1
	global_load_ushort v1, v[24:25], off
	global_load_ushort v28, v[26:27], off
	s_add_u32 s26, s26, 1
	s_addc_u32 s27, s27, 0
	s_andn2_b64 s[24:25], s[24:25], exec
	v_lshl_add_u64 v[26:27], v[26:27], 0, 2
	v_lshl_add_u64 v[24:25], v[24:25], 0, 2
	s_waitcnt vmcnt(0)
	v_cmp_ne_u16_e32 vcc, v1, v28
	s_and_b64 s[28:29], vcc, exec
	s_or_b64 s[24:25], s[24:25], s[28:29]
.LBB1422_319:                           ;   in Loop: Header=BB1422_320 Depth=1
	s_and_b64 s[28:29], exec, s[24:25]
	s_or_b64 s[18:19], s[28:29], s[18:19]
	v_mov_b64_e32 v[28:29], s[26:27]
	s_andn2_b64 exec, exec, s[18:19]
	s_cbranch_execz .LBB1422_322
.LBB1422_320:                           ; =>This Inner Loop Header: Depth=1
	s_or_b64 s[24:25], s[24:25], exec
	s_cmp_eq_u64 s[16:17], s[26:27]
	s_cbranch_scc0 .LBB1422_318
; %bb.321:                              ;   in Loop: Header=BB1422_320 Depth=1
                                        ; implicit-def: $vgpr26_vgpr27
                                        ; implicit-def: $vgpr24_vgpr25
	s_mov_b64 s[26:27], s[12:13]
	s_branch .LBB1422_319
.LBB1422_322:
	s_or_b64 exec, exec, s[18:19]
	v_cmp_gt_i64_e32 vcc, s[12:13], v[28:29]
	s_mov_b32 s16, 0
	v_mov_b32_e32 v53, s16
	v_cndmask_b32_e64 v52, 0, 1, vcc
.LBB1422_323:
	s_or_b64 exec, exec, s[4:5]
.LBB1422_324:
	v_mul_lo_u32 v1, v7, s12
	v_mul_lo_u32 v26, v6, s13
	v_mad_u64_u32 v[24:25], s[4:5], v6, s12, 0
	v_add3_u32 v25, v25, v26, v1
	v_mov_b64_e32 v[56:57], 0
	s_and_b64 vcc, exec, s[2:3]
	v_lshl_add_u64 v[24:25], v[24:25], 1, s[14:15]
	v_mov_b64_e32 v[54:55], v[56:57]
	s_cbranch_vccnz .LBB1422_333
; %bb.325:
	global_load_ushort v1, v[22:23], off
	global_load_ushort v26, v[24:25], off
	v_mov_b64_e32 v[54:55], 1
	s_waitcnt vmcnt(0)
	v_cmp_eq_u16_e32 vcc, v1, v26
	s_and_saveexec_b64 s[4:5], vcc
	s_cbranch_execz .LBB1422_332
; %bb.326:
	s_add_u32 s16, s12, -1
	v_lshl_add_u64 v[26:27], v[24:25], 0, 2
	v_lshl_add_u64 v[22:23], v[22:23], 0, 2
	s_addc_u32 s17, s13, -1
	s_mov_b64 s[18:19], 0
	s_mov_b64 s[26:27], 0
                                        ; implicit-def: $sgpr24_sgpr25
	s_branch .LBB1422_329
.LBB1422_327:                           ;   in Loop: Header=BB1422_329 Depth=1
	global_load_ushort v1, v[22:23], off
	global_load_ushort v28, v[26:27], off
	s_add_u32 s26, s26, 1
	s_addc_u32 s27, s27, 0
	s_andn2_b64 s[24:25], s[24:25], exec
	v_lshl_add_u64 v[26:27], v[26:27], 0, 2
	v_lshl_add_u64 v[22:23], v[22:23], 0, 2
	s_waitcnt vmcnt(0)
	v_cmp_ne_u16_e32 vcc, v1, v28
	s_and_b64 s[28:29], vcc, exec
	s_or_b64 s[24:25], s[24:25], s[28:29]
.LBB1422_328:                           ;   in Loop: Header=BB1422_329 Depth=1
	s_and_b64 s[28:29], exec, s[24:25]
	s_or_b64 s[18:19], s[28:29], s[18:19]
	v_mov_b64_e32 v[28:29], s[26:27]
	s_andn2_b64 exec, exec, s[18:19]
	s_cbranch_execz .LBB1422_331
.LBB1422_329:                           ; =>This Inner Loop Header: Depth=1
	s_or_b64 s[24:25], s[24:25], exec
	s_cmp_eq_u64 s[16:17], s[26:27]
	s_cbranch_scc0 .LBB1422_327
; %bb.330:                              ;   in Loop: Header=BB1422_329 Depth=1
                                        ; implicit-def: $vgpr26_vgpr27
                                        ; implicit-def: $vgpr22_vgpr23
	s_mov_b64 s[26:27], s[12:13]
	s_branch .LBB1422_328
.LBB1422_331:
	s_or_b64 exec, exec, s[18:19]
	v_cmp_gt_i64_e32 vcc, s[12:13], v[28:29]
	s_mov_b32 s16, 0
	v_mov_b32_e32 v55, s16
	v_cndmask_b32_e64 v54, 0, 1, vcc
.LBB1422_332:
	s_or_b64 exec, exec, s[4:5]
.LBB1422_333:
	v_mul_lo_u32 v1, v5, s12
	v_mul_lo_u32 v26, v4, s13
	v_mad_u64_u32 v[22:23], s[4:5], v4, s12, 0
	v_add3_u32 v23, v23, v26, v1
	s_and_b64 vcc, exec, s[2:3]
	v_lshl_add_u64 v[22:23], v[22:23], 1, s[14:15]
	s_cbranch_vccnz .LBB1422_342
; %bb.334:
	global_load_ushort v1, v[24:25], off
	global_load_ushort v26, v[22:23], off
	v_mov_b64_e32 v[56:57], 1
	s_waitcnt vmcnt(0)
	v_cmp_eq_u16_e32 vcc, v1, v26
	s_and_saveexec_b64 s[4:5], vcc
	s_cbranch_execz .LBB1422_341
; %bb.335:
	s_add_u32 s16, s12, -1
	v_lshl_add_u64 v[26:27], v[22:23], 0, 2
	v_lshl_add_u64 v[24:25], v[24:25], 0, 2
	s_addc_u32 s17, s13, -1
	s_mov_b64 s[18:19], 0
	s_mov_b64 s[26:27], 0
                                        ; implicit-def: $sgpr24_sgpr25
	s_branch .LBB1422_338
.LBB1422_336:                           ;   in Loop: Header=BB1422_338 Depth=1
	global_load_ushort v1, v[24:25], off
	global_load_ushort v28, v[26:27], off
	s_add_u32 s26, s26, 1
	s_addc_u32 s27, s27, 0
	s_andn2_b64 s[24:25], s[24:25], exec
	v_lshl_add_u64 v[26:27], v[26:27], 0, 2
	v_lshl_add_u64 v[24:25], v[24:25], 0, 2
	s_waitcnt vmcnt(0)
	v_cmp_ne_u16_e32 vcc, v1, v28
	s_and_b64 s[28:29], vcc, exec
	s_or_b64 s[24:25], s[24:25], s[28:29]
.LBB1422_337:                           ;   in Loop: Header=BB1422_338 Depth=1
	s_and_b64 s[28:29], exec, s[24:25]
	s_or_b64 s[18:19], s[28:29], s[18:19]
	v_mov_b64_e32 v[28:29], s[26:27]
	s_andn2_b64 exec, exec, s[18:19]
	s_cbranch_execz .LBB1422_340
.LBB1422_338:                           ; =>This Inner Loop Header: Depth=1
	s_or_b64 s[24:25], s[24:25], exec
	s_cmp_eq_u64 s[16:17], s[26:27]
	s_cbranch_scc0 .LBB1422_336
; %bb.339:                              ;   in Loop: Header=BB1422_338 Depth=1
                                        ; implicit-def: $vgpr26_vgpr27
                                        ; implicit-def: $vgpr24_vgpr25
	s_mov_b64 s[26:27], s[12:13]
	s_branch .LBB1422_337
.LBB1422_340:
	s_or_b64 exec, exec, s[18:19]
	v_cmp_gt_i64_e32 vcc, s[12:13], v[28:29]
	s_mov_b32 s16, 0
	v_mov_b32_e32 v57, s16
	v_cndmask_b32_e64 v56, 0, 1, vcc
.LBB1422_341:
	s_or_b64 exec, exec, s[4:5]
.LBB1422_342:
	s_and_b64 vcc, exec, s[2:3]
	s_cbranch_vccnz .LBB1422_349
; %bb.343:
	v_mul_lo_u32 v1, v3, s12
	v_mul_lo_u32 v26, v2, s13
	v_mad_u64_u32 v[24:25], s[4:5], v2, s12, 0
	v_add3_u32 v25, v25, v26, v1
	v_lshl_add_u64 v[24:25], v[24:25], 1, s[14:15]
	global_load_ushort v1, v[22:23], off
	global_load_ushort v26, v[24:25], off
	v_mov_b64_e32 v[58:59], 1
	s_waitcnt vmcnt(0)
	v_cmp_eq_u16_e32 vcc, v1, v26
	s_and_saveexec_b64 s[4:5], vcc
	s_cbranch_execz .LBB1422_351
; %bb.344:
	s_add_u32 s16, s12, -1
	v_lshl_add_u64 v[24:25], v[24:25], 0, 2
	v_lshl_add_u64 v[22:23], v[22:23], 0, 2
	s_addc_u32 s17, s13, -1
	s_mov_b64 s[18:19], 0
	s_mov_b64 s[26:27], 0
                                        ; implicit-def: $sgpr24_sgpr25
	s_branch .LBB1422_347
.LBB1422_345:                           ;   in Loop: Header=BB1422_347 Depth=1
	global_load_ushort v1, v[22:23], off
	global_load_ushort v26, v[24:25], off
	s_add_u32 s26, s26, 1
	s_addc_u32 s27, s27, 0
	s_andn2_b64 s[24:25], s[24:25], exec
	v_lshl_add_u64 v[24:25], v[24:25], 0, 2
	v_lshl_add_u64 v[22:23], v[22:23], 0, 2
	s_waitcnt vmcnt(0)
	v_cmp_ne_u16_e32 vcc, v1, v26
	s_and_b64 s[28:29], vcc, exec
	s_or_b64 s[24:25], s[24:25], s[28:29]
.LBB1422_346:                           ;   in Loop: Header=BB1422_347 Depth=1
	s_and_b64 s[28:29], exec, s[24:25]
	s_or_b64 s[18:19], s[28:29], s[18:19]
	v_mov_b64_e32 v[26:27], s[26:27]
	s_andn2_b64 exec, exec, s[18:19]
	s_cbranch_execz .LBB1422_350
.LBB1422_347:                           ; =>This Inner Loop Header: Depth=1
	s_or_b64 s[24:25], s[24:25], exec
	s_cmp_eq_u64 s[16:17], s[26:27]
	s_cbranch_scc0 .LBB1422_345
; %bb.348:                              ;   in Loop: Header=BB1422_347 Depth=1
                                        ; implicit-def: $vgpr24_vgpr25
                                        ; implicit-def: $vgpr22_vgpr23
	s_mov_b64 s[26:27], s[12:13]
	s_branch .LBB1422_346
.LBB1422_349:
	v_mov_b64_e32 v[58:59], 0
	s_branch .LBB1422_352
.LBB1422_350:
	s_or_b64 exec, exec, s[18:19]
	v_cmp_gt_i64_e32 vcc, s[12:13], v[26:27]
	s_mov_b32 s16, 0
	v_mov_b32_e32 v59, s16
	v_cndmask_b32_e64 v58, 0, 1, vcc
.LBB1422_351:
	s_or_b64 exec, exec, s[4:5]
.LBB1422_352:
	v_cmp_ne_u32_e32 vcc, 0, v0
	s_waitcnt lgkmcnt(0)
	s_barrier
	s_waitcnt lgkmcnt(0)
                                        ; implicit-def: $sgpr18_sgpr19
	s_and_saveexec_b64 s[4:5], vcc
	s_cbranch_execz .LBB1422_364
; %bb.353:
	s_and_b64 vcc, exec, s[2:3]
	s_cbranch_vccnz .LBB1422_360
; %bb.354:
	v_add_u32_e32 v22, -8, v40
	ds_read_b64 v[22:23], v22
	v_mul_lo_u32 v1, v3, s12
	v_mul_lo_u32 v26, v2, s13
	v_mad_u64_u32 v[24:25], s[2:3], v2, s12, 0
	v_add3_u32 v25, v25, v26, v1
	s_waitcnt lgkmcnt(0)
	v_mul_lo_u32 v1, v23, s12
	v_mul_lo_u32 v26, v22, s13
	v_mad_u64_u32 v[22:23], s[2:3], v22, s12, 0
	v_add3_u32 v23, v23, v26, v1
	v_lshl_add_u64 v[24:25], v[24:25], 1, s[14:15]
	v_lshl_add_u64 v[22:23], v[22:23], 1, s[14:15]
	global_load_ushort v1, v[24:25], off
	global_load_ushort v26, v[22:23], off
	s_mov_b64 s[16:17], -1
	s_waitcnt vmcnt(0)
	v_cmp_eq_u16_e32 vcc, v1, v26
	s_and_saveexec_b64 s[2:3], vcc
	s_cbranch_execz .LBB1422_362
; %bb.355:
	s_add_u32 s16, s12, -1
	v_lshl_add_u64 v[22:23], v[22:23], 0, 2
	v_lshl_add_u64 v[24:25], v[24:25], 0, 2
	s_addc_u32 s17, s13, -1
	s_mov_b64 s[18:19], 0
	s_mov_b64 s[26:27], 0
                                        ; implicit-def: $sgpr24_sgpr25
	s_branch .LBB1422_358
.LBB1422_356:                           ;   in Loop: Header=BB1422_358 Depth=1
	global_load_ushort v1, v[24:25], off
	global_load_ushort v26, v[22:23], off
	s_add_u32 s26, s26, 1
	s_addc_u32 s27, s27, 0
	s_andn2_b64 s[24:25], s[24:25], exec
	v_lshl_add_u64 v[22:23], v[22:23], 0, 2
	v_lshl_add_u64 v[24:25], v[24:25], 0, 2
	s_waitcnt vmcnt(0)
	v_cmp_ne_u16_e32 vcc, v1, v26
	s_and_b64 s[28:29], vcc, exec
	s_or_b64 s[24:25], s[24:25], s[28:29]
.LBB1422_357:                           ;   in Loop: Header=BB1422_358 Depth=1
	s_and_b64 s[28:29], exec, s[24:25]
	s_or_b64 s[18:19], s[28:29], s[18:19]
	v_mov_b64_e32 v[26:27], s[26:27]
	s_andn2_b64 exec, exec, s[18:19]
	s_cbranch_execz .LBB1422_361
.LBB1422_358:                           ; =>This Inner Loop Header: Depth=1
	s_or_b64 s[24:25], s[24:25], exec
	s_cmp_eq_u64 s[16:17], s[26:27]
	s_cbranch_scc0 .LBB1422_356
; %bb.359:                              ;   in Loop: Header=BB1422_358 Depth=1
                                        ; implicit-def: $vgpr22_vgpr23
                                        ; implicit-def: $vgpr24_vgpr25
	s_mov_b64 s[26:27], s[12:13]
	s_branch .LBB1422_357
.LBB1422_360:
	s_mov_b64 s[16:17], 0
	s_branch .LBB1422_363
.LBB1422_361:
	s_or_b64 exec, exec, s[18:19]
	v_cmp_gt_i64_e32 vcc, s[12:13], v[26:27]
	s_orn2_b64 s[16:17], vcc, exec
.LBB1422_362:
	s_or_b64 exec, exec, s[2:3]
.LBB1422_363:
	s_and_b64 s[18:19], s[16:17], exec
	s_or_b64 s[22:23], s[22:23], exec
.LBB1422_364:
	s_or_b64 exec, exec, s[4:5]
	v_mov_b64_e32 v[60:61], v[44:45]
	v_mov_b64_e32 v[22:23], v[38:39]
	;; [unrolled: 1-line block ×9, first 2 shown]
	s_branch .LBB1422_488
.LBB1422_365:
	s_waitcnt lgkmcnt(0)
	v_mad_u32_u24 v22, v0, 11, 10
	v_cmp_gt_i64_e64 s[2:3], s[12:13], 0
	v_cmp_gt_u32_e32 vcc, s10, v22
	v_mul_u32_u24_e32 v1, 11, v0
	v_cndmask_b32_e64 v22, 0, 1, s[2:3]
	v_cmp_ne_u32_e64 s[2:3], 1, v22
	ds_write_b64 v40, v[36:37]
	s_and_saveexec_b64 s[4:5], vcc
	s_cbranch_execz .LBB1422_376
; %bb.366:
	s_and_b64 vcc, exec, s[2:3]
	s_cbranch_vccnz .LBB1422_373
; %bb.367:
	v_mul_lo_u32 v24, v37, s12
	v_mul_lo_u32 v25, v36, s13
	v_mad_u64_u32 v[22:23], s[16:17], v36, s12, 0
	v_add3_u32 v23, v23, v25, v24
	v_mul_lo_u32 v24, v21, s12
	v_mul_lo_u32 v25, v20, s13
	v_mad_u64_u32 v[26:27], s[16:17], v20, s12, 0
	v_add3_u32 v27, v27, v25, v24
	v_lshl_add_u64 v[24:25], v[22:23], 1, s[14:15]
	v_lshl_add_u64 v[22:23], v[26:27], 1, s[14:15]
	global_load_ushort v26, v[24:25], off
	global_load_ushort v27, v[22:23], off
	v_mov_b64_e32 v[36:37], 1
	s_waitcnt vmcnt(0)
	v_cmp_eq_u16_e32 vcc, v26, v27
	s_and_saveexec_b64 s[16:17], vcc
	s_cbranch_execz .LBB1422_375
; %bb.368:
	s_add_u32 s18, s12, -1
	v_lshl_add_u64 v[22:23], v[22:23], 0, 2
	v_lshl_add_u64 v[24:25], v[24:25], 0, 2
	s_addc_u32 s19, s13, -1
	s_mov_b64 s[24:25], 0
	s_mov_b64 s[28:29], 0
                                        ; implicit-def: $sgpr26_sgpr27
	s_branch .LBB1422_371
.LBB1422_369:                           ;   in Loop: Header=BB1422_371 Depth=1
	global_load_ushort v26, v[24:25], off
	global_load_ushort v27, v[22:23], off
	s_add_u32 s28, s28, 1
	s_addc_u32 s29, s29, 0
	s_andn2_b64 s[26:27], s[26:27], exec
	v_lshl_add_u64 v[22:23], v[22:23], 0, 2
	v_lshl_add_u64 v[24:25], v[24:25], 0, 2
	s_waitcnt vmcnt(0)
	v_cmp_ne_u16_e32 vcc, v26, v27
	s_and_b64 s[30:31], vcc, exec
	s_or_b64 s[26:27], s[26:27], s[30:31]
.LBB1422_370:                           ;   in Loop: Header=BB1422_371 Depth=1
	s_and_b64 s[30:31], exec, s[26:27]
	s_or_b64 s[24:25], s[30:31], s[24:25]
	v_mov_b64_e32 v[26:27], s[28:29]
	s_andn2_b64 exec, exec, s[24:25]
	s_cbranch_execz .LBB1422_374
.LBB1422_371:                           ; =>This Inner Loop Header: Depth=1
	s_or_b64 s[26:27], s[26:27], exec
	s_cmp_eq_u64 s[18:19], s[28:29]
	s_cbranch_scc0 .LBB1422_369
; %bb.372:                              ;   in Loop: Header=BB1422_371 Depth=1
                                        ; implicit-def: $vgpr22_vgpr23
                                        ; implicit-def: $vgpr24_vgpr25
	s_mov_b64 s[28:29], s[12:13]
	s_branch .LBB1422_370
.LBB1422_373:
	v_mov_b64_e32 v[36:37], 0
	s_branch .LBB1422_376
.LBB1422_374:
	s_or_b64 exec, exec, s[24:25]
	v_cmp_gt_i64_e32 vcc, s[12:13], v[26:27]
	s_mov_b32 s18, 0
	v_mov_b32_e32 v37, s18
	v_cndmask_b32_e64 v36, 0, 1, vcc
.LBB1422_375:
	s_or_b64 exec, exec, s[16:17]
.LBB1422_376:
	s_or_b64 exec, exec, s[4:5]
	v_add_u32_e32 v22, 9, v1
	v_cmp_gt_u32_e32 vcc, s10, v22
	s_and_saveexec_b64 s[4:5], vcc
	s_cbranch_execz .LBB1422_387
; %bb.377:
	s_and_b64 vcc, exec, s[2:3]
	s_cbranch_vccnz .LBB1422_384
; %bb.378:
	v_mul_lo_u32 v22, v21, s12
	v_mul_lo_u32 v23, v20, s13
	v_mad_u64_u32 v[20:21], s[16:17], v20, s12, 0
	v_add3_u32 v21, v21, v23, v22
	v_mul_lo_u32 v22, v19, s12
	v_mul_lo_u32 v23, v18, s13
	v_mad_u64_u32 v[24:25], s[16:17], v18, s12, 0
	v_add3_u32 v25, v25, v23, v22
	v_lshl_add_u64 v[22:23], v[20:21], 1, s[14:15]
	v_lshl_add_u64 v[24:25], v[24:25], 1, s[14:15]
	global_load_ushort v20, v[22:23], off
	global_load_ushort v21, v[24:25], off
	s_waitcnt vmcnt(0)
	v_cmp_eq_u16_e32 vcc, v20, v21
	v_mov_b64_e32 v[20:21], 1
	s_and_saveexec_b64 s[16:17], vcc
	s_cbranch_execz .LBB1422_386
; %bb.379:
	s_add_u32 s18, s12, -1
	v_lshl_add_u64 v[20:21], v[24:25], 0, 2
	v_lshl_add_u64 v[22:23], v[22:23], 0, 2
	s_addc_u32 s19, s13, -1
	s_mov_b64 s[24:25], 0
	s_mov_b64 s[28:29], 0
                                        ; implicit-def: $sgpr26_sgpr27
	s_branch .LBB1422_382
.LBB1422_380:                           ;   in Loop: Header=BB1422_382 Depth=1
	global_load_ushort v24, v[22:23], off
	global_load_ushort v25, v[20:21], off
	s_add_u32 s28, s28, 1
	s_addc_u32 s29, s29, 0
	s_andn2_b64 s[26:27], s[26:27], exec
	v_lshl_add_u64 v[20:21], v[20:21], 0, 2
	v_lshl_add_u64 v[22:23], v[22:23], 0, 2
	s_waitcnt vmcnt(0)
	v_cmp_ne_u16_e32 vcc, v24, v25
	s_and_b64 s[30:31], vcc, exec
	s_or_b64 s[26:27], s[26:27], s[30:31]
.LBB1422_381:                           ;   in Loop: Header=BB1422_382 Depth=1
	s_and_b64 s[30:31], exec, s[26:27]
	s_or_b64 s[24:25], s[30:31], s[24:25]
	v_mov_b64_e32 v[24:25], s[28:29]
	s_andn2_b64 exec, exec, s[24:25]
	s_cbranch_execz .LBB1422_385
.LBB1422_382:                           ; =>This Inner Loop Header: Depth=1
	s_or_b64 s[26:27], s[26:27], exec
	s_cmp_eq_u64 s[18:19], s[28:29]
	s_cbranch_scc0 .LBB1422_380
; %bb.383:                              ;   in Loop: Header=BB1422_382 Depth=1
                                        ; implicit-def: $vgpr20_vgpr21
                                        ; implicit-def: $vgpr22_vgpr23
	s_mov_b64 s[28:29], s[12:13]
	s_branch .LBB1422_381
.LBB1422_384:
	v_mov_b64_e32 v[20:21], 0
	s_branch .LBB1422_387
.LBB1422_385:
	s_or_b64 exec, exec, s[24:25]
	v_cmp_gt_i64_e32 vcc, s[12:13], v[24:25]
	s_mov_b32 s18, 0
	v_mov_b32_e32 v21, s18
	v_cndmask_b32_e64 v20, 0, 1, vcc
.LBB1422_386:
	s_or_b64 exec, exec, s[16:17]
.LBB1422_387:
	s_or_b64 exec, exec, s[4:5]
	v_add_u32_e32 v22, 8, v1
	v_cmp_gt_u32_e32 vcc, s10, v22
	s_and_saveexec_b64 s[4:5], vcc
	s_cbranch_execz .LBB1422_398
; %bb.388:
	s_and_b64 vcc, exec, s[2:3]
	s_cbranch_vccnz .LBB1422_395
; %bb.389:
	v_mul_lo_u32 v22, v19, s12
	v_mul_lo_u32 v23, v18, s13
	v_mad_u64_u32 v[18:19], s[16:17], v18, s12, 0
	v_add3_u32 v19, v19, v23, v22
	v_mul_lo_u32 v22, v17, s12
	v_mul_lo_u32 v23, v16, s13
	v_mad_u64_u32 v[24:25], s[16:17], v16, s12, 0
	v_add3_u32 v25, v25, v23, v22
	v_lshl_add_u64 v[22:23], v[18:19], 1, s[14:15]
	v_lshl_add_u64 v[24:25], v[24:25], 1, s[14:15]
	global_load_ushort v18, v[22:23], off
	global_load_ushort v19, v[24:25], off
	s_waitcnt vmcnt(0)
	v_cmp_eq_u16_e32 vcc, v18, v19
	v_mov_b64_e32 v[18:19], 1
	s_and_saveexec_b64 s[16:17], vcc
	s_cbranch_execz .LBB1422_397
; %bb.390:
	s_add_u32 s18, s12, -1
	v_lshl_add_u64 v[18:19], v[24:25], 0, 2
	v_lshl_add_u64 v[22:23], v[22:23], 0, 2
	s_addc_u32 s19, s13, -1
	s_mov_b64 s[24:25], 0
	s_mov_b64 s[28:29], 0
                                        ; implicit-def: $sgpr26_sgpr27
	s_branch .LBB1422_393
.LBB1422_391:                           ;   in Loop: Header=BB1422_393 Depth=1
	global_load_ushort v24, v[22:23], off
	global_load_ushort v25, v[18:19], off
	s_add_u32 s28, s28, 1
	s_addc_u32 s29, s29, 0
	s_andn2_b64 s[26:27], s[26:27], exec
	v_lshl_add_u64 v[18:19], v[18:19], 0, 2
	v_lshl_add_u64 v[22:23], v[22:23], 0, 2
	s_waitcnt vmcnt(0)
	v_cmp_ne_u16_e32 vcc, v24, v25
	s_and_b64 s[30:31], vcc, exec
	s_or_b64 s[26:27], s[26:27], s[30:31]
.LBB1422_392:                           ;   in Loop: Header=BB1422_393 Depth=1
	s_and_b64 s[30:31], exec, s[26:27]
	s_or_b64 s[24:25], s[30:31], s[24:25]
	v_mov_b64_e32 v[24:25], s[28:29]
	s_andn2_b64 exec, exec, s[24:25]
	s_cbranch_execz .LBB1422_396
.LBB1422_393:                           ; =>This Inner Loop Header: Depth=1
	s_or_b64 s[26:27], s[26:27], exec
	s_cmp_eq_u64 s[18:19], s[28:29]
	s_cbranch_scc0 .LBB1422_391
; %bb.394:                              ;   in Loop: Header=BB1422_393 Depth=1
                                        ; implicit-def: $vgpr18_vgpr19
                                        ; implicit-def: $vgpr22_vgpr23
	s_mov_b64 s[28:29], s[12:13]
	s_branch .LBB1422_392
.LBB1422_395:
	v_mov_b64_e32 v[18:19], 0
	s_branch .LBB1422_398
.LBB1422_396:
	s_or_b64 exec, exec, s[24:25]
	v_cmp_gt_i64_e32 vcc, s[12:13], v[24:25]
	s_mov_b32 s18, 0
	v_mov_b32_e32 v19, s18
	v_cndmask_b32_e64 v18, 0, 1, vcc
.LBB1422_397:
	s_or_b64 exec, exec, s[16:17]
.LBB1422_398:
	s_or_b64 exec, exec, s[4:5]
	v_add_u32_e32 v22, 7, v1
	v_cmp_gt_u32_e32 vcc, s10, v22
	s_and_saveexec_b64 s[4:5], vcc
	s_cbranch_execz .LBB1422_409
; %bb.399:
	s_and_b64 vcc, exec, s[2:3]
	s_cbranch_vccnz .LBB1422_406
; %bb.400:
	v_mul_lo_u32 v22, v17, s12
	v_mul_lo_u32 v23, v16, s13
	v_mad_u64_u32 v[16:17], s[16:17], v16, s12, 0
	v_add3_u32 v17, v17, v23, v22
	v_mul_lo_u32 v22, v15, s12
	v_mul_lo_u32 v23, v14, s13
	v_mad_u64_u32 v[24:25], s[16:17], v14, s12, 0
	v_add3_u32 v25, v25, v23, v22
	v_lshl_add_u64 v[22:23], v[16:17], 1, s[14:15]
	v_lshl_add_u64 v[24:25], v[24:25], 1, s[14:15]
	global_load_ushort v16, v[22:23], off
	global_load_ushort v17, v[24:25], off
	s_waitcnt vmcnt(0)
	v_cmp_eq_u16_e32 vcc, v16, v17
	v_mov_b64_e32 v[16:17], 1
	s_and_saveexec_b64 s[16:17], vcc
	s_cbranch_execz .LBB1422_408
; %bb.401:
	s_add_u32 s18, s12, -1
	v_lshl_add_u64 v[16:17], v[24:25], 0, 2
	v_lshl_add_u64 v[22:23], v[22:23], 0, 2
	s_addc_u32 s19, s13, -1
	s_mov_b64 s[24:25], 0
	s_mov_b64 s[28:29], 0
                                        ; implicit-def: $sgpr26_sgpr27
	s_branch .LBB1422_404
.LBB1422_402:                           ;   in Loop: Header=BB1422_404 Depth=1
	global_load_ushort v24, v[22:23], off
	global_load_ushort v25, v[16:17], off
	s_add_u32 s28, s28, 1
	s_addc_u32 s29, s29, 0
	s_andn2_b64 s[26:27], s[26:27], exec
	v_lshl_add_u64 v[16:17], v[16:17], 0, 2
	v_lshl_add_u64 v[22:23], v[22:23], 0, 2
	s_waitcnt vmcnt(0)
	v_cmp_ne_u16_e32 vcc, v24, v25
	s_and_b64 s[30:31], vcc, exec
	s_or_b64 s[26:27], s[26:27], s[30:31]
.LBB1422_403:                           ;   in Loop: Header=BB1422_404 Depth=1
	s_and_b64 s[30:31], exec, s[26:27]
	s_or_b64 s[24:25], s[30:31], s[24:25]
	v_mov_b64_e32 v[24:25], s[28:29]
	s_andn2_b64 exec, exec, s[24:25]
	s_cbranch_execz .LBB1422_407
.LBB1422_404:                           ; =>This Inner Loop Header: Depth=1
	s_or_b64 s[26:27], s[26:27], exec
	s_cmp_eq_u64 s[18:19], s[28:29]
	s_cbranch_scc0 .LBB1422_402
; %bb.405:                              ;   in Loop: Header=BB1422_404 Depth=1
                                        ; implicit-def: $vgpr16_vgpr17
                                        ; implicit-def: $vgpr22_vgpr23
	s_mov_b64 s[28:29], s[12:13]
	s_branch .LBB1422_403
.LBB1422_406:
	v_mov_b64_e32 v[16:17], 0
	s_branch .LBB1422_409
.LBB1422_407:
	s_or_b64 exec, exec, s[24:25]
	v_cmp_gt_i64_e32 vcc, s[12:13], v[24:25]
	s_mov_b32 s18, 0
	v_mov_b32_e32 v17, s18
	v_cndmask_b32_e64 v16, 0, 1, vcc
.LBB1422_408:
	s_or_b64 exec, exec, s[16:17]
.LBB1422_409:
	s_or_b64 exec, exec, s[4:5]
	v_add_u32_e32 v22, 6, v1
	v_cmp_gt_u32_e32 vcc, s10, v22
	s_and_saveexec_b64 s[4:5], vcc
	s_cbranch_execz .LBB1422_420
; %bb.410:
	s_and_b64 vcc, exec, s[2:3]
	s_cbranch_vccnz .LBB1422_417
; %bb.411:
	v_mul_lo_u32 v22, v15, s12
	v_mul_lo_u32 v23, v14, s13
	v_mad_u64_u32 v[14:15], s[16:17], v14, s12, 0
	v_add3_u32 v15, v15, v23, v22
	v_mul_lo_u32 v22, v13, s12
	v_mul_lo_u32 v23, v12, s13
	v_mad_u64_u32 v[24:25], s[16:17], v12, s12, 0
	v_add3_u32 v25, v25, v23, v22
	v_lshl_add_u64 v[22:23], v[14:15], 1, s[14:15]
	v_lshl_add_u64 v[24:25], v[24:25], 1, s[14:15]
	global_load_ushort v14, v[22:23], off
	global_load_ushort v15, v[24:25], off
	s_waitcnt vmcnt(0)
	v_cmp_eq_u16_e32 vcc, v14, v15
	v_mov_b64_e32 v[14:15], 1
	s_and_saveexec_b64 s[16:17], vcc
	s_cbranch_execz .LBB1422_419
; %bb.412:
	s_add_u32 s18, s12, -1
	v_lshl_add_u64 v[14:15], v[24:25], 0, 2
	v_lshl_add_u64 v[22:23], v[22:23], 0, 2
	s_addc_u32 s19, s13, -1
	s_mov_b64 s[24:25], 0
	s_mov_b64 s[28:29], 0
                                        ; implicit-def: $sgpr26_sgpr27
	s_branch .LBB1422_415
.LBB1422_413:                           ;   in Loop: Header=BB1422_415 Depth=1
	global_load_ushort v24, v[22:23], off
	global_load_ushort v25, v[14:15], off
	s_add_u32 s28, s28, 1
	s_addc_u32 s29, s29, 0
	s_andn2_b64 s[26:27], s[26:27], exec
	v_lshl_add_u64 v[14:15], v[14:15], 0, 2
	v_lshl_add_u64 v[22:23], v[22:23], 0, 2
	s_waitcnt vmcnt(0)
	v_cmp_ne_u16_e32 vcc, v24, v25
	s_and_b64 s[30:31], vcc, exec
	s_or_b64 s[26:27], s[26:27], s[30:31]
.LBB1422_414:                           ;   in Loop: Header=BB1422_415 Depth=1
	s_and_b64 s[30:31], exec, s[26:27]
	s_or_b64 s[24:25], s[30:31], s[24:25]
	v_mov_b64_e32 v[24:25], s[28:29]
	s_andn2_b64 exec, exec, s[24:25]
	s_cbranch_execz .LBB1422_418
.LBB1422_415:                           ; =>This Inner Loop Header: Depth=1
	s_or_b64 s[26:27], s[26:27], exec
	s_cmp_eq_u64 s[18:19], s[28:29]
	s_cbranch_scc0 .LBB1422_413
; %bb.416:                              ;   in Loop: Header=BB1422_415 Depth=1
                                        ; implicit-def: $vgpr14_vgpr15
                                        ; implicit-def: $vgpr22_vgpr23
	s_mov_b64 s[28:29], s[12:13]
	s_branch .LBB1422_414
.LBB1422_417:
	v_mov_b64_e32 v[14:15], 0
	s_branch .LBB1422_420
.LBB1422_418:
	s_or_b64 exec, exec, s[24:25]
	v_cmp_gt_i64_e32 vcc, s[12:13], v[24:25]
	s_mov_b32 s18, 0
	v_mov_b32_e32 v15, s18
	v_cndmask_b32_e64 v14, 0, 1, vcc
.LBB1422_419:
	s_or_b64 exec, exec, s[16:17]
.LBB1422_420:
	s_or_b64 exec, exec, s[4:5]
	v_add_u32_e32 v22, 5, v1
	v_cmp_gt_u32_e32 vcc, s10, v22
	s_and_saveexec_b64 s[4:5], vcc
	s_cbranch_execz .LBB1422_431
; %bb.421:
	s_and_b64 vcc, exec, s[2:3]
	s_cbranch_vccnz .LBB1422_428
; %bb.422:
	v_mul_lo_u32 v22, v13, s12
	v_mul_lo_u32 v23, v12, s13
	v_mad_u64_u32 v[12:13], s[16:17], v12, s12, 0
	v_add3_u32 v13, v13, v23, v22
	v_mul_lo_u32 v22, v11, s12
	v_mul_lo_u32 v23, v10, s13
	v_mad_u64_u32 v[24:25], s[16:17], v10, s12, 0
	v_add3_u32 v25, v25, v23, v22
	v_lshl_add_u64 v[22:23], v[12:13], 1, s[14:15]
	v_lshl_add_u64 v[24:25], v[24:25], 1, s[14:15]
	global_load_ushort v12, v[22:23], off
	global_load_ushort v13, v[24:25], off
	s_waitcnt vmcnt(0)
	v_cmp_eq_u16_e32 vcc, v12, v13
	v_mov_b64_e32 v[12:13], 1
	s_and_saveexec_b64 s[16:17], vcc
	s_cbranch_execz .LBB1422_430
; %bb.423:
	s_add_u32 s18, s12, -1
	v_lshl_add_u64 v[12:13], v[24:25], 0, 2
	v_lshl_add_u64 v[22:23], v[22:23], 0, 2
	s_addc_u32 s19, s13, -1
	s_mov_b64 s[24:25], 0
	s_mov_b64 s[28:29], 0
                                        ; implicit-def: $sgpr26_sgpr27
	s_branch .LBB1422_426
.LBB1422_424:                           ;   in Loop: Header=BB1422_426 Depth=1
	global_load_ushort v24, v[22:23], off
	global_load_ushort v25, v[12:13], off
	s_add_u32 s28, s28, 1
	s_addc_u32 s29, s29, 0
	s_andn2_b64 s[26:27], s[26:27], exec
	v_lshl_add_u64 v[12:13], v[12:13], 0, 2
	v_lshl_add_u64 v[22:23], v[22:23], 0, 2
	s_waitcnt vmcnt(0)
	v_cmp_ne_u16_e32 vcc, v24, v25
	s_and_b64 s[30:31], vcc, exec
	s_or_b64 s[26:27], s[26:27], s[30:31]
.LBB1422_425:                           ;   in Loop: Header=BB1422_426 Depth=1
	s_and_b64 s[30:31], exec, s[26:27]
	s_or_b64 s[24:25], s[30:31], s[24:25]
	v_mov_b64_e32 v[24:25], s[28:29]
	s_andn2_b64 exec, exec, s[24:25]
	s_cbranch_execz .LBB1422_429
.LBB1422_426:                           ; =>This Inner Loop Header: Depth=1
	s_or_b64 s[26:27], s[26:27], exec
	s_cmp_eq_u64 s[18:19], s[28:29]
	s_cbranch_scc0 .LBB1422_424
; %bb.427:                              ;   in Loop: Header=BB1422_426 Depth=1
                                        ; implicit-def: $vgpr12_vgpr13
                                        ; implicit-def: $vgpr22_vgpr23
	s_mov_b64 s[28:29], s[12:13]
	s_branch .LBB1422_425
.LBB1422_428:
	v_mov_b64_e32 v[12:13], 0
	s_branch .LBB1422_431
.LBB1422_429:
	s_or_b64 exec, exec, s[24:25]
	v_cmp_gt_i64_e32 vcc, s[12:13], v[24:25]
	s_mov_b32 s18, 0
	v_mov_b32_e32 v13, s18
	v_cndmask_b32_e64 v12, 0, 1, vcc
.LBB1422_430:
	s_or_b64 exec, exec, s[16:17]
.LBB1422_431:
	s_or_b64 exec, exec, s[4:5]
	v_add_u32_e32 v22, 4, v1
	v_cmp_gt_u32_e32 vcc, s10, v22
	s_and_saveexec_b64 s[4:5], vcc
	s_cbranch_execz .LBB1422_442
; %bb.432:
	s_and_b64 vcc, exec, s[2:3]
	s_cbranch_vccnz .LBB1422_439
; %bb.433:
	v_mul_lo_u32 v22, v11, s12
	v_mul_lo_u32 v23, v10, s13
	v_mad_u64_u32 v[10:11], s[16:17], v10, s12, 0
	v_add3_u32 v11, v11, v23, v22
	v_mul_lo_u32 v22, v9, s12
	v_mul_lo_u32 v23, v8, s13
	v_mad_u64_u32 v[24:25], s[16:17], v8, s12, 0
	v_add3_u32 v25, v25, v23, v22
	v_lshl_add_u64 v[22:23], v[10:11], 1, s[14:15]
	v_lshl_add_u64 v[24:25], v[24:25], 1, s[14:15]
	global_load_ushort v10, v[22:23], off
	global_load_ushort v11, v[24:25], off
	s_waitcnt vmcnt(0)
	v_cmp_eq_u16_e32 vcc, v10, v11
	v_mov_b64_e32 v[10:11], 1
	s_and_saveexec_b64 s[16:17], vcc
	s_cbranch_execz .LBB1422_441
; %bb.434:
	s_add_u32 s18, s12, -1
	v_lshl_add_u64 v[10:11], v[24:25], 0, 2
	v_lshl_add_u64 v[22:23], v[22:23], 0, 2
	s_addc_u32 s19, s13, -1
	s_mov_b64 s[24:25], 0
	s_mov_b64 s[28:29], 0
                                        ; implicit-def: $sgpr26_sgpr27
	s_branch .LBB1422_437
.LBB1422_435:                           ;   in Loop: Header=BB1422_437 Depth=1
	global_load_ushort v24, v[22:23], off
	global_load_ushort v25, v[10:11], off
	s_add_u32 s28, s28, 1
	s_addc_u32 s29, s29, 0
	s_andn2_b64 s[26:27], s[26:27], exec
	v_lshl_add_u64 v[10:11], v[10:11], 0, 2
	v_lshl_add_u64 v[22:23], v[22:23], 0, 2
	s_waitcnt vmcnt(0)
	v_cmp_ne_u16_e32 vcc, v24, v25
	s_and_b64 s[30:31], vcc, exec
	s_or_b64 s[26:27], s[26:27], s[30:31]
.LBB1422_436:                           ;   in Loop: Header=BB1422_437 Depth=1
	s_and_b64 s[30:31], exec, s[26:27]
	s_or_b64 s[24:25], s[30:31], s[24:25]
	v_mov_b64_e32 v[24:25], s[28:29]
	s_andn2_b64 exec, exec, s[24:25]
	s_cbranch_execz .LBB1422_440
.LBB1422_437:                           ; =>This Inner Loop Header: Depth=1
	s_or_b64 s[26:27], s[26:27], exec
	s_cmp_eq_u64 s[18:19], s[28:29]
	s_cbranch_scc0 .LBB1422_435
; %bb.438:                              ;   in Loop: Header=BB1422_437 Depth=1
                                        ; implicit-def: $vgpr10_vgpr11
                                        ; implicit-def: $vgpr22_vgpr23
	s_mov_b64 s[28:29], s[12:13]
	s_branch .LBB1422_436
.LBB1422_439:
	v_mov_b64_e32 v[10:11], 0
	s_branch .LBB1422_442
.LBB1422_440:
	s_or_b64 exec, exec, s[24:25]
	v_cmp_gt_i64_e32 vcc, s[12:13], v[24:25]
	s_mov_b32 s18, 0
	v_mov_b32_e32 v11, s18
	v_cndmask_b32_e64 v10, 0, 1, vcc
.LBB1422_441:
	s_or_b64 exec, exec, s[16:17]
.LBB1422_442:
	s_or_b64 exec, exec, s[4:5]
	v_add_u32_e32 v22, 3, v1
	v_cmp_gt_u32_e32 vcc, s10, v22
	s_and_saveexec_b64 s[4:5], vcc
	s_cbranch_execz .LBB1422_453
; %bb.443:
	s_and_b64 vcc, exec, s[2:3]
	s_cbranch_vccnz .LBB1422_450
; %bb.444:
	v_mul_lo_u32 v22, v9, s12
	v_mul_lo_u32 v23, v8, s13
	v_mad_u64_u32 v[8:9], s[16:17], v8, s12, 0
	v_add3_u32 v9, v9, v23, v22
	v_mul_lo_u32 v22, v7, s12
	v_mul_lo_u32 v23, v6, s13
	v_mad_u64_u32 v[24:25], s[16:17], v6, s12, 0
	v_add3_u32 v25, v25, v23, v22
	v_lshl_add_u64 v[22:23], v[8:9], 1, s[14:15]
	v_lshl_add_u64 v[24:25], v[24:25], 1, s[14:15]
	global_load_ushort v8, v[22:23], off
	global_load_ushort v9, v[24:25], off
	s_waitcnt vmcnt(0)
	v_cmp_eq_u16_e32 vcc, v8, v9
	v_mov_b64_e32 v[8:9], 1
	s_and_saveexec_b64 s[16:17], vcc
	s_cbranch_execz .LBB1422_452
; %bb.445:
	s_add_u32 s18, s12, -1
	v_lshl_add_u64 v[8:9], v[24:25], 0, 2
	v_lshl_add_u64 v[22:23], v[22:23], 0, 2
	s_addc_u32 s19, s13, -1
	s_mov_b64 s[24:25], 0
	s_mov_b64 s[28:29], 0
                                        ; implicit-def: $sgpr26_sgpr27
	s_branch .LBB1422_448
.LBB1422_446:                           ;   in Loop: Header=BB1422_448 Depth=1
	global_load_ushort v24, v[22:23], off
	global_load_ushort v25, v[8:9], off
	s_add_u32 s28, s28, 1
	s_addc_u32 s29, s29, 0
	s_andn2_b64 s[26:27], s[26:27], exec
	v_lshl_add_u64 v[8:9], v[8:9], 0, 2
	v_lshl_add_u64 v[22:23], v[22:23], 0, 2
	s_waitcnt vmcnt(0)
	v_cmp_ne_u16_e32 vcc, v24, v25
	s_and_b64 s[30:31], vcc, exec
	s_or_b64 s[26:27], s[26:27], s[30:31]
.LBB1422_447:                           ;   in Loop: Header=BB1422_448 Depth=1
	s_and_b64 s[30:31], exec, s[26:27]
	s_or_b64 s[24:25], s[30:31], s[24:25]
	v_mov_b64_e32 v[24:25], s[28:29]
	s_andn2_b64 exec, exec, s[24:25]
	s_cbranch_execz .LBB1422_451
.LBB1422_448:                           ; =>This Inner Loop Header: Depth=1
	s_or_b64 s[26:27], s[26:27], exec
	s_cmp_eq_u64 s[18:19], s[28:29]
	s_cbranch_scc0 .LBB1422_446
; %bb.449:                              ;   in Loop: Header=BB1422_448 Depth=1
                                        ; implicit-def: $vgpr8_vgpr9
                                        ; implicit-def: $vgpr22_vgpr23
	s_mov_b64 s[28:29], s[12:13]
	s_branch .LBB1422_447
.LBB1422_450:
	v_mov_b64_e32 v[8:9], 0
	s_branch .LBB1422_453
.LBB1422_451:
	s_or_b64 exec, exec, s[24:25]
	v_cmp_gt_i64_e32 vcc, s[12:13], v[24:25]
	s_mov_b32 s18, 0
	v_mov_b32_e32 v9, s18
	v_cndmask_b32_e64 v8, 0, 1, vcc
.LBB1422_452:
	s_or_b64 exec, exec, s[16:17]
.LBB1422_453:
	s_or_b64 exec, exec, s[4:5]
	v_add_u32_e32 v22, 2, v1
	v_cmp_gt_u32_e32 vcc, s10, v22
	s_and_saveexec_b64 s[4:5], vcc
	s_cbranch_execz .LBB1422_464
; %bb.454:
	s_and_b64 vcc, exec, s[2:3]
	s_cbranch_vccnz .LBB1422_461
; %bb.455:
	v_mul_lo_u32 v22, v7, s12
	v_mul_lo_u32 v23, v6, s13
	v_mad_u64_u32 v[6:7], s[16:17], v6, s12, 0
	v_add3_u32 v7, v7, v23, v22
	v_mul_lo_u32 v22, v5, s12
	v_mul_lo_u32 v23, v4, s13
	v_mad_u64_u32 v[24:25], s[16:17], v4, s12, 0
	v_add3_u32 v25, v25, v23, v22
	v_lshl_add_u64 v[22:23], v[6:7], 1, s[14:15]
	v_lshl_add_u64 v[24:25], v[24:25], 1, s[14:15]
	global_load_ushort v6, v[22:23], off
	global_load_ushort v7, v[24:25], off
	s_waitcnt vmcnt(0)
	v_cmp_eq_u16_e32 vcc, v6, v7
	v_mov_b64_e32 v[6:7], 1
	s_and_saveexec_b64 s[16:17], vcc
	s_cbranch_execz .LBB1422_463
; %bb.456:
	s_add_u32 s18, s12, -1
	v_lshl_add_u64 v[6:7], v[24:25], 0, 2
	v_lshl_add_u64 v[22:23], v[22:23], 0, 2
	s_addc_u32 s19, s13, -1
	s_mov_b64 s[24:25], 0
	s_mov_b64 s[28:29], 0
                                        ; implicit-def: $sgpr26_sgpr27
	s_branch .LBB1422_459
.LBB1422_457:                           ;   in Loop: Header=BB1422_459 Depth=1
	global_load_ushort v24, v[22:23], off
	global_load_ushort v25, v[6:7], off
	s_add_u32 s28, s28, 1
	s_addc_u32 s29, s29, 0
	s_andn2_b64 s[26:27], s[26:27], exec
	v_lshl_add_u64 v[6:7], v[6:7], 0, 2
	v_lshl_add_u64 v[22:23], v[22:23], 0, 2
	s_waitcnt vmcnt(0)
	v_cmp_ne_u16_e32 vcc, v24, v25
	s_and_b64 s[30:31], vcc, exec
	s_or_b64 s[26:27], s[26:27], s[30:31]
.LBB1422_458:                           ;   in Loop: Header=BB1422_459 Depth=1
	s_and_b64 s[30:31], exec, s[26:27]
	s_or_b64 s[24:25], s[30:31], s[24:25]
	v_mov_b64_e32 v[24:25], s[28:29]
	s_andn2_b64 exec, exec, s[24:25]
	s_cbranch_execz .LBB1422_462
.LBB1422_459:                           ; =>This Inner Loop Header: Depth=1
	s_or_b64 s[26:27], s[26:27], exec
	s_cmp_eq_u64 s[18:19], s[28:29]
	s_cbranch_scc0 .LBB1422_457
; %bb.460:                              ;   in Loop: Header=BB1422_459 Depth=1
                                        ; implicit-def: $vgpr6_vgpr7
                                        ; implicit-def: $vgpr22_vgpr23
	s_mov_b64 s[28:29], s[12:13]
	s_branch .LBB1422_458
.LBB1422_461:
	v_mov_b64_e32 v[6:7], 0
	s_branch .LBB1422_464
.LBB1422_462:
	s_or_b64 exec, exec, s[24:25]
	v_cmp_gt_i64_e32 vcc, s[12:13], v[24:25]
	s_mov_b32 s18, 0
	v_mov_b32_e32 v7, s18
	v_cndmask_b32_e64 v6, 0, 1, vcc
.LBB1422_463:
	s_or_b64 exec, exec, s[16:17]
.LBB1422_464:
	s_or_b64 exec, exec, s[4:5]
	v_add_u32_e32 v22, 1, v1
	v_cmp_gt_u32_e32 vcc, s10, v22
	s_and_saveexec_b64 s[4:5], vcc
	s_cbranch_execz .LBB1422_475
; %bb.465:
	s_and_b64 vcc, exec, s[2:3]
	s_cbranch_vccnz .LBB1422_472
; %bb.466:
	v_mul_lo_u32 v22, v5, s12
	v_mul_lo_u32 v23, v4, s13
	v_mad_u64_u32 v[4:5], s[16:17], v4, s12, 0
	v_add3_u32 v5, v5, v23, v22
	v_mul_lo_u32 v22, v3, s12
	v_mul_lo_u32 v23, v2, s13
	v_mad_u64_u32 v[24:25], s[16:17], v2, s12, 0
	v_add3_u32 v25, v25, v23, v22
	v_lshl_add_u64 v[22:23], v[4:5], 1, s[14:15]
	v_lshl_add_u64 v[24:25], v[24:25], 1, s[14:15]
	global_load_ushort v4, v[22:23], off
	global_load_ushort v5, v[24:25], off
	s_waitcnt vmcnt(0)
	v_cmp_eq_u16_e32 vcc, v4, v5
	v_mov_b64_e32 v[4:5], 1
	s_and_saveexec_b64 s[16:17], vcc
	s_cbranch_execz .LBB1422_474
; %bb.467:
	s_add_u32 s18, s12, -1
	v_lshl_add_u64 v[4:5], v[24:25], 0, 2
	v_lshl_add_u64 v[22:23], v[22:23], 0, 2
	s_addc_u32 s19, s13, -1
	s_mov_b64 s[24:25], 0
	s_mov_b64 s[28:29], 0
                                        ; implicit-def: $sgpr26_sgpr27
	s_branch .LBB1422_470
.LBB1422_468:                           ;   in Loop: Header=BB1422_470 Depth=1
	global_load_ushort v24, v[22:23], off
	global_load_ushort v25, v[4:5], off
	s_add_u32 s28, s28, 1
	s_addc_u32 s29, s29, 0
	s_andn2_b64 s[26:27], s[26:27], exec
	v_lshl_add_u64 v[4:5], v[4:5], 0, 2
	v_lshl_add_u64 v[22:23], v[22:23], 0, 2
	s_waitcnt vmcnt(0)
	v_cmp_ne_u16_e32 vcc, v24, v25
	s_and_b64 s[30:31], vcc, exec
	s_or_b64 s[26:27], s[26:27], s[30:31]
.LBB1422_469:                           ;   in Loop: Header=BB1422_470 Depth=1
	s_and_b64 s[30:31], exec, s[26:27]
	s_or_b64 s[24:25], s[30:31], s[24:25]
	v_mov_b64_e32 v[24:25], s[28:29]
	s_andn2_b64 exec, exec, s[24:25]
	s_cbranch_execz .LBB1422_473
.LBB1422_470:                           ; =>This Inner Loop Header: Depth=1
	s_or_b64 s[26:27], s[26:27], exec
	s_cmp_eq_u64 s[18:19], s[28:29]
	s_cbranch_scc0 .LBB1422_468
; %bb.471:                              ;   in Loop: Header=BB1422_470 Depth=1
                                        ; implicit-def: $vgpr4_vgpr5
                                        ; implicit-def: $vgpr22_vgpr23
	s_mov_b64 s[28:29], s[12:13]
	s_branch .LBB1422_469
.LBB1422_472:
	v_mov_b64_e32 v[4:5], 0
	s_branch .LBB1422_475
.LBB1422_473:
	s_or_b64 exec, exec, s[24:25]
	v_cmp_gt_i64_e32 vcc, s[12:13], v[24:25]
	s_mov_b32 s18, 0
	v_mov_b32_e32 v5, s18
	v_cndmask_b32_e64 v4, 0, 1, vcc
.LBB1422_474:
	s_or_b64 exec, exec, s[16:17]
.LBB1422_475:
	s_or_b64 exec, exec, s[4:5]
	v_cmp_ne_u32_e32 vcc, 0, v0
	v_cmp_gt_u32_e64 s[4:5], s10, v1
	s_and_b64 s[16:17], vcc, s[4:5]
	s_waitcnt lgkmcnt(0)
	s_barrier
	s_waitcnt lgkmcnt(0)
                                        ; implicit-def: $sgpr18_sgpr19
	s_and_saveexec_b64 s[4:5], s[16:17]
	s_cbranch_execz .LBB1422_487
; %bb.476:
	s_and_b64 vcc, exec, s[2:3]
	s_cbranch_vccnz .LBB1422_483
; %bb.477:
	v_mul_lo_u32 v1, v3, s12
	v_add_u32_e32 v3, -8, v40
	ds_read_b64 v[22:23], v3
	v_mul_lo_u32 v24, v2, s13
	v_mad_u64_u32 v[2:3], s[2:3], v2, s12, 0
	v_add3_u32 v3, v3, v24, v1
	s_waitcnt lgkmcnt(0)
	v_mul_lo_u32 v1, v23, s12
	v_mul_lo_u32 v23, v22, s13
	v_mad_u64_u32 v[24:25], s[2:3], v22, s12, 0
	v_add3_u32 v25, v25, v23, v1
	v_lshl_add_u64 v[22:23], v[2:3], 1, s[14:15]
	v_lshl_add_u64 v[2:3], v[24:25], 1, s[14:15]
	global_load_ushort v1, v[22:23], off
	global_load_ushort v24, v[2:3], off
	s_mov_b64 s[14:15], -1
	s_waitcnt vmcnt(0)
	v_cmp_eq_u16_e32 vcc, v1, v24
	s_and_saveexec_b64 s[2:3], vcc
	s_cbranch_execz .LBB1422_485
; %bb.478:
	s_add_u32 s14, s12, -1
	v_lshl_add_u64 v[2:3], v[2:3], 0, 2
	v_lshl_add_u64 v[22:23], v[22:23], 0, 2
	s_addc_u32 s15, s13, -1
	s_mov_b64 s[16:17], 0
	s_mov_b64 s[24:25], 0
                                        ; implicit-def: $sgpr18_sgpr19
	s_branch .LBB1422_481
.LBB1422_479:                           ;   in Loop: Header=BB1422_481 Depth=1
	global_load_ushort v1, v[22:23], off
	global_load_ushort v24, v[2:3], off
	s_add_u32 s24, s24, 1
	s_addc_u32 s25, s25, 0
	s_andn2_b64 s[18:19], s[18:19], exec
	v_lshl_add_u64 v[2:3], v[2:3], 0, 2
	v_lshl_add_u64 v[22:23], v[22:23], 0, 2
	s_waitcnt vmcnt(0)
	v_cmp_ne_u16_e32 vcc, v1, v24
	s_and_b64 s[26:27], vcc, exec
	s_or_b64 s[18:19], s[18:19], s[26:27]
.LBB1422_480:                           ;   in Loop: Header=BB1422_481 Depth=1
	s_and_b64 s[26:27], exec, s[18:19]
	s_or_b64 s[16:17], s[26:27], s[16:17]
	v_mov_b64_e32 v[24:25], s[24:25]
	s_andn2_b64 exec, exec, s[16:17]
	s_cbranch_execz .LBB1422_484
.LBB1422_481:                           ; =>This Inner Loop Header: Depth=1
	s_or_b64 s[18:19], s[18:19], exec
	s_cmp_eq_u64 s[14:15], s[24:25]
	s_cbranch_scc0 .LBB1422_479
; %bb.482:                              ;   in Loop: Header=BB1422_481 Depth=1
                                        ; implicit-def: $vgpr2_vgpr3
                                        ; implicit-def: $vgpr22_vgpr23
	s_mov_b64 s[24:25], s[12:13]
	s_branch .LBB1422_480
.LBB1422_483:
	s_mov_b64 s[14:15], 0
	s_branch .LBB1422_486
.LBB1422_484:
	s_or_b64 exec, exec, s[16:17]
	v_cmp_gt_i64_e32 vcc, s[12:13], v[24:25]
	s_orn2_b64 s[14:15], vcc, exec
.LBB1422_485:
	s_or_b64 exec, exec, s[2:3]
.LBB1422_486:
	s_and_b64 s[18:19], s[14:15], exec
	s_or_b64 s[22:23], s[22:23], exec
.LBB1422_487:
	s_or_b64 exec, exec, s[4:5]
	v_mov_b64_e32 v[42:43], v[36:37]
	v_mov_b64_e32 v[44:45], v[20:21]
	;; [unrolled: 1-line block ×19, first 2 shown]
.LBB1422_488:
	s_and_saveexec_b64 s[2:3], s[22:23]
	s_cbranch_execz .LBB1422_490
; %bb.489:
	s_mov_b32 s4, 0
	v_cndmask_b32_e64 v2, 0, 1, s[18:19]
	v_mov_b32_e32 v3, s4
	v_mov_b64_e32 v[26:27], v[46:47]
	v_mov_b64_e32 v[66:67], v[48:49]
	;; [unrolled: 1-line block ×7, first 2 shown]
	s_waitcnt lgkmcnt(0)
	v_mov_b64_e32 v[22:23], v[38:39]
	v_mov_b64_e32 v[60:61], v[44:45]
.LBB1422_490:
	s_or_b64 exec, exec, s[2:3]
	s_add_u32 s4, s8, s6
	s_addc_u32 s5, s9, s7
	s_and_b64 vcc, exec, s[0:1]
	s_waitcnt lgkmcnt(0)
	s_barrier
	s_cbranch_vccz .LBB1422_512
; %bb.491:
	s_movk_i32 s2, 0x58
	v_mul_u32_u24_e32 v1, 0x58, v0
	v_mov_b32_e32 v4, v68
	v_mov_b32_e32 v5, v69
	v_mul_i32_i24_e32 v24, 0xffffffb0, v0
	ds_write2_b64 v1, v[2:3], v[4:5] offset1:1
	ds_write2_b64 v1, v[62:63], v[34:35] offset0:2 offset1:3
	ds_write2_b64 v1, v[64:65], v[30:31] offset0:4 offset1:5
	;; [unrolled: 1-line block ×4, first 2 shown]
	ds_write_b64 v1, v[42:43] offset:80
	v_mad_u32_u24 v4, v0, s2, v24
	s_waitcnt lgkmcnt(0)
	s_barrier
	ds_read2st64_b64 v[36:39], v4 offset0:4 offset1:8
	ds_read2st64_b64 v[16:19], v4 offset0:12 offset1:16
	;; [unrolled: 1-line block ×5, first 2 shown]
	s_mov_b32 s21, 0
	s_add_i32 s11, s11, s10
	s_lshl_b64 s[0:1], s[20:21], 3
	s_add_u32 s0, s4, s0
	s_addc_u32 s1, s5, s1
	v_mov_b32_e32 v41, 0
	v_lshl_add_u64 v[20:21], s[0:1], 0, v[40:41]
	v_cmp_gt_u32_e32 vcc, s11, v0
	s_and_saveexec_b64 s[0:1], vcc
	s_cbranch_execz .LBB1422_493
; %bb.492:
	v_add_u32_e32 v1, v1, v24
	ds_read_b64 v[24:25], v1
	s_waitcnt lgkmcnt(0)
	global_store_dwordx2 v[20:21], v[24:25], off
.LBB1422_493:
	s_or_b64 exec, exec, s[0:1]
	v_or_b32_e32 v1, 0x100, v0
	v_cmp_gt_u32_e32 vcc, s11, v1
	s_and_saveexec_b64 s[0:1], vcc
	s_cbranch_execz .LBB1422_495
; %bb.494:
	s_waitcnt lgkmcnt(4)
	global_store_dwordx2 v[20:21], v[36:37], off offset:2048
.LBB1422_495:
	s_or_b64 exec, exec, s[0:1]
	v_or_b32_e32 v1, 0x200, v0
	v_cmp_gt_u32_e32 vcc, s11, v1
	s_and_saveexec_b64 s[0:1], vcc
	s_cbranch_execz .LBB1422_497
; %bb.496:
	v_add_co_u32_e32 v24, vcc, 0x1000, v20
	s_nop 1
	v_addc_co_u32_e32 v25, vcc, 0, v21, vcc
	s_waitcnt lgkmcnt(4)
	global_store_dwordx2 v[24:25], v[38:39], off
.LBB1422_497:
	s_or_b64 exec, exec, s[0:1]
	v_or_b32_e32 v1, 0x300, v0
	v_cmp_gt_u32_e32 vcc, s11, v1
	s_and_saveexec_b64 s[0:1], vcc
	s_cbranch_execz .LBB1422_499
; %bb.498:
	v_add_co_u32_e32 v24, vcc, 0x1000, v20
	s_nop 1
	v_addc_co_u32_e32 v25, vcc, 0, v21, vcc
	s_waitcnt lgkmcnt(3)
	global_store_dwordx2 v[24:25], v[16:17], off offset:2048
.LBB1422_499:
	s_or_b64 exec, exec, s[0:1]
	v_or_b32_e32 v1, 0x400, v0
	v_cmp_gt_u32_e32 vcc, s11, v1
	s_and_saveexec_b64 s[0:1], vcc
	s_cbranch_execz .LBB1422_501
; %bb.500:
	s_waitcnt lgkmcnt(3)
	v_add_co_u32_e32 v16, vcc, 0x2000, v20
	s_nop 1
	v_addc_co_u32_e32 v17, vcc, 0, v21, vcc
	global_store_dwordx2 v[16:17], v[18:19], off
.LBB1422_501:
	s_or_b64 exec, exec, s[0:1]
	v_or_b32_e32 v1, 0x500, v0
	v_cmp_gt_u32_e32 vcc, s11, v1
	s_and_saveexec_b64 s[0:1], vcc
	s_cbranch_execz .LBB1422_503
; %bb.502:
	s_waitcnt lgkmcnt(3)
	v_add_co_u32_e32 v16, vcc, 0x2000, v20
	s_nop 1
	v_addc_co_u32_e32 v17, vcc, 0, v21, vcc
	s_waitcnt lgkmcnt(2)
	global_store_dwordx2 v[16:17], v[12:13], off offset:2048
.LBB1422_503:
	s_or_b64 exec, exec, s[0:1]
	v_or_b32_e32 v1, 0x600, v0
	v_cmp_gt_u32_e32 vcc, s11, v1
	s_and_saveexec_b64 s[0:1], vcc
	s_cbranch_execz .LBB1422_505
; %bb.504:
	s_waitcnt lgkmcnt(2)
	v_add_co_u32_e32 v12, vcc, 0x3000, v20
	s_nop 1
	v_addc_co_u32_e32 v13, vcc, 0, v21, vcc
	global_store_dwordx2 v[12:13], v[14:15], off
.LBB1422_505:
	s_or_b64 exec, exec, s[0:1]
	v_or_b32_e32 v1, 0x700, v0
	v_cmp_gt_u32_e32 vcc, s11, v1
	s_and_saveexec_b64 s[0:1], vcc
	s_cbranch_execz .LBB1422_507
; %bb.506:
	s_waitcnt lgkmcnt(2)
	v_add_co_u32_e32 v12, vcc, 0x3000, v20
	s_nop 1
	v_addc_co_u32_e32 v13, vcc, 0, v21, vcc
	s_waitcnt lgkmcnt(1)
	global_store_dwordx2 v[12:13], v[8:9], off offset:2048
.LBB1422_507:
	;; [unrolled: 25-line block ×3, first 2 shown]
	s_or_b64 exec, exec, s[0:1]
	v_or_b32_e32 v1, 0xa00, v0
	v_cmp_gt_u32_e64 s[0:1], s11, v1
	s_branch .LBB1422_514
.LBB1422_512:
	s_mov_b64 s[0:1], 0
                                        ; implicit-def: $vgpr6_vgpr7
                                        ; implicit-def: $vgpr20_vgpr21
	s_cbranch_execz .LBB1422_514
; %bb.513:
	s_mov_b32 s21, 0
	s_lshl_b64 s[2:3], s[20:21], 3
	v_mul_u32_u24_e32 v1, 0x58, v0
	s_add_u32 s2, s4, s2
	s_movk_i32 s4, 0x58
	ds_write2_b64 v1, v[2:3], v[68:69] offset1:1
	ds_write2_b64 v1, v[62:63], v[34:35] offset0:2 offset1:3
	ds_write2_b64 v1, v[64:65], v[30:31] offset0:4 offset1:5
	;; [unrolled: 1-line block ×4, first 2 shown]
	ds_write_b64 v1, v[42:43] offset:80
	v_mul_i32_i24_e32 v1, 0xffffffb0, v0
	s_addc_u32 s3, s5, s3
	s_waitcnt lgkmcnt(6)
	v_mad_u32_u24 v4, v0, s4, v1
	v_mov_b32_e32 v41, 0
	s_waitcnt lgkmcnt(0)
	s_barrier
	ds_read2st64_b64 v[0:3], v4 offset1:4
	ds_read2st64_b64 v[8:11], v4 offset0:8 offset1:12
	ds_read2st64_b64 v[12:15], v4 offset0:16 offset1:20
	;; [unrolled: 1-line block ×4, first 2 shown]
	ds_read_b64 v[6:7], v4 offset:20480
	v_lshl_add_u64 v[20:21], s[2:3], 0, v[40:41]
	s_waitcnt lgkmcnt(5)
	global_store_dwordx2 v40, v[0:1], s[2:3]
	global_store_dwordx2 v40, v[2:3], s[2:3] offset:2048
	s_movk_i32 s2, 0x1000
	v_add_co_u32_e32 v0, vcc, s2, v20
	s_movk_i32 s2, 0x2000
	s_nop 0
	v_addc_co_u32_e32 v1, vcc, 0, v21, vcc
	v_add_co_u32_e32 v2, vcc, s2, v20
	s_or_b64 s[0:1], s[0:1], exec
	s_nop 0
	v_addc_co_u32_e32 v3, vcc, 0, v21, vcc
	s_waitcnt lgkmcnt(4)
	global_store_dwordx2 v[2:3], v[8:9], off offset:-4096
	global_store_dwordx2 v[0:1], v[10:11], off offset:2048
	s_waitcnt lgkmcnt(3)
	global_store_dwordx2 v[2:3], v[12:13], off
	global_store_dwordx2 v[2:3], v[14:15], off offset:2048
	v_add_co_u32_e32 v0, vcc, 0x3000, v20
	s_nop 1
	v_addc_co_u32_e32 v1, vcc, 0, v21, vcc
	s_waitcnt lgkmcnt(2)
	global_store_dwordx2 v[0:1], v[16:17], off
	global_store_dwordx2 v[0:1], v[18:19], off offset:2048
	v_add_co_u32_e32 v0, vcc, 0x4000, v20
	s_nop 1
	v_addc_co_u32_e32 v1, vcc, 0, v21, vcc
	s_waitcnt lgkmcnt(1)
	global_store_dwordx2 v[0:1], v[22:23], off
	global_store_dwordx2 v[0:1], v[24:25], off offset:2048
.LBB1422_514:
	s_and_saveexec_b64 s[2:3], s[0:1]
	s_cbranch_execnz .LBB1422_516
; %bb.515:
	s_endpgm
.LBB1422_516:
	v_add_co_u32_e32 v0, vcc, 0x5000, v20
	s_nop 1
	v_addc_co_u32_e32 v1, vcc, 0, v21, vcc
	s_waitcnt lgkmcnt(0)
	global_store_dwordx2 v[0:1], v[6:7], off
	s_endpgm
	.section	.rodata,"a",@progbits
	.p2align	6, 0x0
	.amdhsa_kernel _ZN7rocprim17ROCPRIM_400000_NS6detail17trampoline_kernelINS0_14default_configENS1_35adjacent_difference_config_selectorILb1ElEEZNS1_24adjacent_difference_implIS3_Lb1ELb0EPlS7_ZN2at6native12_GLOBAL__N_124unique_dim_cuda_templateItEESt5tupleIJNS8_6TensorESD_SD_EERKSD_lbbbEUlllE1_EE10hipError_tPvRmT2_T3_mT4_P12ihipStream_tbEUlT_E_NS1_11comp_targetILNS1_3genE5ELNS1_11target_archE942ELNS1_3gpuE9ELNS1_3repE0EEENS1_30default_config_static_selectorELNS0_4arch9wavefront6targetE1EEEvT1_
		.amdhsa_group_segment_fixed_size 22528
		.amdhsa_private_segment_fixed_size 0
		.amdhsa_kernarg_size 64
		.amdhsa_user_sgpr_count 2
		.amdhsa_user_sgpr_dispatch_ptr 0
		.amdhsa_user_sgpr_queue_ptr 0
		.amdhsa_user_sgpr_kernarg_segment_ptr 1
		.amdhsa_user_sgpr_dispatch_id 0
		.amdhsa_user_sgpr_kernarg_preload_length 0
		.amdhsa_user_sgpr_kernarg_preload_offset 0
		.amdhsa_user_sgpr_private_segment_size 0
		.amdhsa_uses_dynamic_stack 0
		.amdhsa_enable_private_segment 0
		.amdhsa_system_sgpr_workgroup_id_x 1
		.amdhsa_system_sgpr_workgroup_id_y 0
		.amdhsa_system_sgpr_workgroup_id_z 0
		.amdhsa_system_sgpr_workgroup_info 0
		.amdhsa_system_vgpr_workitem_id 0
		.amdhsa_next_free_vgpr 70
		.amdhsa_next_free_sgpr 38
		.amdhsa_accum_offset 72
		.amdhsa_reserve_vcc 1
		.amdhsa_float_round_mode_32 0
		.amdhsa_float_round_mode_16_64 0
		.amdhsa_float_denorm_mode_32 3
		.amdhsa_float_denorm_mode_16_64 3
		.amdhsa_dx10_clamp 1
		.amdhsa_ieee_mode 1
		.amdhsa_fp16_overflow 0
		.amdhsa_tg_split 0
		.amdhsa_exception_fp_ieee_invalid_op 0
		.amdhsa_exception_fp_denorm_src 0
		.amdhsa_exception_fp_ieee_div_zero 0
		.amdhsa_exception_fp_ieee_overflow 0
		.amdhsa_exception_fp_ieee_underflow 0
		.amdhsa_exception_fp_ieee_inexact 0
		.amdhsa_exception_int_div_zero 0
	.end_amdhsa_kernel
	.section	.text._ZN7rocprim17ROCPRIM_400000_NS6detail17trampoline_kernelINS0_14default_configENS1_35adjacent_difference_config_selectorILb1ElEEZNS1_24adjacent_difference_implIS3_Lb1ELb0EPlS7_ZN2at6native12_GLOBAL__N_124unique_dim_cuda_templateItEESt5tupleIJNS8_6TensorESD_SD_EERKSD_lbbbEUlllE1_EE10hipError_tPvRmT2_T3_mT4_P12ihipStream_tbEUlT_E_NS1_11comp_targetILNS1_3genE5ELNS1_11target_archE942ELNS1_3gpuE9ELNS1_3repE0EEENS1_30default_config_static_selectorELNS0_4arch9wavefront6targetE1EEEvT1_,"axG",@progbits,_ZN7rocprim17ROCPRIM_400000_NS6detail17trampoline_kernelINS0_14default_configENS1_35adjacent_difference_config_selectorILb1ElEEZNS1_24adjacent_difference_implIS3_Lb1ELb0EPlS7_ZN2at6native12_GLOBAL__N_124unique_dim_cuda_templateItEESt5tupleIJNS8_6TensorESD_SD_EERKSD_lbbbEUlllE1_EE10hipError_tPvRmT2_T3_mT4_P12ihipStream_tbEUlT_E_NS1_11comp_targetILNS1_3genE5ELNS1_11target_archE942ELNS1_3gpuE9ELNS1_3repE0EEENS1_30default_config_static_selectorELNS0_4arch9wavefront6targetE1EEEvT1_,comdat
.Lfunc_end1422:
	.size	_ZN7rocprim17ROCPRIM_400000_NS6detail17trampoline_kernelINS0_14default_configENS1_35adjacent_difference_config_selectorILb1ElEEZNS1_24adjacent_difference_implIS3_Lb1ELb0EPlS7_ZN2at6native12_GLOBAL__N_124unique_dim_cuda_templateItEESt5tupleIJNS8_6TensorESD_SD_EERKSD_lbbbEUlllE1_EE10hipError_tPvRmT2_T3_mT4_P12ihipStream_tbEUlT_E_NS1_11comp_targetILNS1_3genE5ELNS1_11target_archE942ELNS1_3gpuE9ELNS1_3repE0EEENS1_30default_config_static_selectorELNS0_4arch9wavefront6targetE1EEEvT1_, .Lfunc_end1422-_ZN7rocprim17ROCPRIM_400000_NS6detail17trampoline_kernelINS0_14default_configENS1_35adjacent_difference_config_selectorILb1ElEEZNS1_24adjacent_difference_implIS3_Lb1ELb0EPlS7_ZN2at6native12_GLOBAL__N_124unique_dim_cuda_templateItEESt5tupleIJNS8_6TensorESD_SD_EERKSD_lbbbEUlllE1_EE10hipError_tPvRmT2_T3_mT4_P12ihipStream_tbEUlT_E_NS1_11comp_targetILNS1_3genE5ELNS1_11target_archE942ELNS1_3gpuE9ELNS1_3repE0EEENS1_30default_config_static_selectorELNS0_4arch9wavefront6targetE1EEEvT1_
                                        ; -- End function
	.section	.AMDGPU.csdata,"",@progbits
; Kernel info:
; codeLenInByte = 15780
; NumSgprs: 44
; NumVgprs: 70
; NumAgprs: 0
; TotalNumVgprs: 70
; ScratchSize: 0
; MemoryBound: 0
; FloatMode: 240
; IeeeMode: 1
; LDSByteSize: 22528 bytes/workgroup (compile time only)
; SGPRBlocks: 5
; VGPRBlocks: 8
; NumSGPRsForWavesPerEU: 44
; NumVGPRsForWavesPerEU: 70
; AccumOffset: 72
; Occupancy: 2
; WaveLimiterHint : 1
; COMPUTE_PGM_RSRC2:SCRATCH_EN: 0
; COMPUTE_PGM_RSRC2:USER_SGPR: 2
; COMPUTE_PGM_RSRC2:TRAP_HANDLER: 0
; COMPUTE_PGM_RSRC2:TGID_X_EN: 1
; COMPUTE_PGM_RSRC2:TGID_Y_EN: 0
; COMPUTE_PGM_RSRC2:TGID_Z_EN: 0
; COMPUTE_PGM_RSRC2:TIDIG_COMP_CNT: 0
; COMPUTE_PGM_RSRC3_GFX90A:ACCUM_OFFSET: 17
; COMPUTE_PGM_RSRC3_GFX90A:TG_SPLIT: 0
	.section	.text._ZN7rocprim17ROCPRIM_400000_NS6detail17trampoline_kernelINS0_14default_configENS1_35adjacent_difference_config_selectorILb1ElEEZNS1_24adjacent_difference_implIS3_Lb1ELb0EPlS7_ZN2at6native12_GLOBAL__N_124unique_dim_cuda_templateItEESt5tupleIJNS8_6TensorESD_SD_EERKSD_lbbbEUlllE1_EE10hipError_tPvRmT2_T3_mT4_P12ihipStream_tbEUlT_E_NS1_11comp_targetILNS1_3genE4ELNS1_11target_archE910ELNS1_3gpuE8ELNS1_3repE0EEENS1_30default_config_static_selectorELNS0_4arch9wavefront6targetE1EEEvT1_,"axG",@progbits,_ZN7rocprim17ROCPRIM_400000_NS6detail17trampoline_kernelINS0_14default_configENS1_35adjacent_difference_config_selectorILb1ElEEZNS1_24adjacent_difference_implIS3_Lb1ELb0EPlS7_ZN2at6native12_GLOBAL__N_124unique_dim_cuda_templateItEESt5tupleIJNS8_6TensorESD_SD_EERKSD_lbbbEUlllE1_EE10hipError_tPvRmT2_T3_mT4_P12ihipStream_tbEUlT_E_NS1_11comp_targetILNS1_3genE4ELNS1_11target_archE910ELNS1_3gpuE8ELNS1_3repE0EEENS1_30default_config_static_selectorELNS0_4arch9wavefront6targetE1EEEvT1_,comdat
	.globl	_ZN7rocprim17ROCPRIM_400000_NS6detail17trampoline_kernelINS0_14default_configENS1_35adjacent_difference_config_selectorILb1ElEEZNS1_24adjacent_difference_implIS3_Lb1ELb0EPlS7_ZN2at6native12_GLOBAL__N_124unique_dim_cuda_templateItEESt5tupleIJNS8_6TensorESD_SD_EERKSD_lbbbEUlllE1_EE10hipError_tPvRmT2_T3_mT4_P12ihipStream_tbEUlT_E_NS1_11comp_targetILNS1_3genE4ELNS1_11target_archE910ELNS1_3gpuE8ELNS1_3repE0EEENS1_30default_config_static_selectorELNS0_4arch9wavefront6targetE1EEEvT1_ ; -- Begin function _ZN7rocprim17ROCPRIM_400000_NS6detail17trampoline_kernelINS0_14default_configENS1_35adjacent_difference_config_selectorILb1ElEEZNS1_24adjacent_difference_implIS3_Lb1ELb0EPlS7_ZN2at6native12_GLOBAL__N_124unique_dim_cuda_templateItEESt5tupleIJNS8_6TensorESD_SD_EERKSD_lbbbEUlllE1_EE10hipError_tPvRmT2_T3_mT4_P12ihipStream_tbEUlT_E_NS1_11comp_targetILNS1_3genE4ELNS1_11target_archE910ELNS1_3gpuE8ELNS1_3repE0EEENS1_30default_config_static_selectorELNS0_4arch9wavefront6targetE1EEEvT1_
	.p2align	8
	.type	_ZN7rocprim17ROCPRIM_400000_NS6detail17trampoline_kernelINS0_14default_configENS1_35adjacent_difference_config_selectorILb1ElEEZNS1_24adjacent_difference_implIS3_Lb1ELb0EPlS7_ZN2at6native12_GLOBAL__N_124unique_dim_cuda_templateItEESt5tupleIJNS8_6TensorESD_SD_EERKSD_lbbbEUlllE1_EE10hipError_tPvRmT2_T3_mT4_P12ihipStream_tbEUlT_E_NS1_11comp_targetILNS1_3genE4ELNS1_11target_archE910ELNS1_3gpuE8ELNS1_3repE0EEENS1_30default_config_static_selectorELNS0_4arch9wavefront6targetE1EEEvT1_,@function
_ZN7rocprim17ROCPRIM_400000_NS6detail17trampoline_kernelINS0_14default_configENS1_35adjacent_difference_config_selectorILb1ElEEZNS1_24adjacent_difference_implIS3_Lb1ELb0EPlS7_ZN2at6native12_GLOBAL__N_124unique_dim_cuda_templateItEESt5tupleIJNS8_6TensorESD_SD_EERKSD_lbbbEUlllE1_EE10hipError_tPvRmT2_T3_mT4_P12ihipStream_tbEUlT_E_NS1_11comp_targetILNS1_3genE4ELNS1_11target_archE910ELNS1_3gpuE8ELNS1_3repE0EEENS1_30default_config_static_selectorELNS0_4arch9wavefront6targetE1EEEvT1_: ; @_ZN7rocprim17ROCPRIM_400000_NS6detail17trampoline_kernelINS0_14default_configENS1_35adjacent_difference_config_selectorILb1ElEEZNS1_24adjacent_difference_implIS3_Lb1ELb0EPlS7_ZN2at6native12_GLOBAL__N_124unique_dim_cuda_templateItEESt5tupleIJNS8_6TensorESD_SD_EERKSD_lbbbEUlllE1_EE10hipError_tPvRmT2_T3_mT4_P12ihipStream_tbEUlT_E_NS1_11comp_targetILNS1_3genE4ELNS1_11target_archE910ELNS1_3gpuE8ELNS1_3repE0EEENS1_30default_config_static_selectorELNS0_4arch9wavefront6targetE1EEEvT1_
; %bb.0:
	.section	.rodata,"a",@progbits
	.p2align	6, 0x0
	.amdhsa_kernel _ZN7rocprim17ROCPRIM_400000_NS6detail17trampoline_kernelINS0_14default_configENS1_35adjacent_difference_config_selectorILb1ElEEZNS1_24adjacent_difference_implIS3_Lb1ELb0EPlS7_ZN2at6native12_GLOBAL__N_124unique_dim_cuda_templateItEESt5tupleIJNS8_6TensorESD_SD_EERKSD_lbbbEUlllE1_EE10hipError_tPvRmT2_T3_mT4_P12ihipStream_tbEUlT_E_NS1_11comp_targetILNS1_3genE4ELNS1_11target_archE910ELNS1_3gpuE8ELNS1_3repE0EEENS1_30default_config_static_selectorELNS0_4arch9wavefront6targetE1EEEvT1_
		.amdhsa_group_segment_fixed_size 0
		.amdhsa_private_segment_fixed_size 0
		.amdhsa_kernarg_size 64
		.amdhsa_user_sgpr_count 2
		.amdhsa_user_sgpr_dispatch_ptr 0
		.amdhsa_user_sgpr_queue_ptr 0
		.amdhsa_user_sgpr_kernarg_segment_ptr 1
		.amdhsa_user_sgpr_dispatch_id 0
		.amdhsa_user_sgpr_kernarg_preload_length 0
		.amdhsa_user_sgpr_kernarg_preload_offset 0
		.amdhsa_user_sgpr_private_segment_size 0
		.amdhsa_uses_dynamic_stack 0
		.amdhsa_enable_private_segment 0
		.amdhsa_system_sgpr_workgroup_id_x 1
		.amdhsa_system_sgpr_workgroup_id_y 0
		.amdhsa_system_sgpr_workgroup_id_z 0
		.amdhsa_system_sgpr_workgroup_info 0
		.amdhsa_system_vgpr_workitem_id 0
		.amdhsa_next_free_vgpr 1
		.amdhsa_next_free_sgpr 0
		.amdhsa_accum_offset 4
		.amdhsa_reserve_vcc 0
		.amdhsa_float_round_mode_32 0
		.amdhsa_float_round_mode_16_64 0
		.amdhsa_float_denorm_mode_32 3
		.amdhsa_float_denorm_mode_16_64 3
		.amdhsa_dx10_clamp 1
		.amdhsa_ieee_mode 1
		.amdhsa_fp16_overflow 0
		.amdhsa_tg_split 0
		.amdhsa_exception_fp_ieee_invalid_op 0
		.amdhsa_exception_fp_denorm_src 0
		.amdhsa_exception_fp_ieee_div_zero 0
		.amdhsa_exception_fp_ieee_overflow 0
		.amdhsa_exception_fp_ieee_underflow 0
		.amdhsa_exception_fp_ieee_inexact 0
		.amdhsa_exception_int_div_zero 0
	.end_amdhsa_kernel
	.section	.text._ZN7rocprim17ROCPRIM_400000_NS6detail17trampoline_kernelINS0_14default_configENS1_35adjacent_difference_config_selectorILb1ElEEZNS1_24adjacent_difference_implIS3_Lb1ELb0EPlS7_ZN2at6native12_GLOBAL__N_124unique_dim_cuda_templateItEESt5tupleIJNS8_6TensorESD_SD_EERKSD_lbbbEUlllE1_EE10hipError_tPvRmT2_T3_mT4_P12ihipStream_tbEUlT_E_NS1_11comp_targetILNS1_3genE4ELNS1_11target_archE910ELNS1_3gpuE8ELNS1_3repE0EEENS1_30default_config_static_selectorELNS0_4arch9wavefront6targetE1EEEvT1_,"axG",@progbits,_ZN7rocprim17ROCPRIM_400000_NS6detail17trampoline_kernelINS0_14default_configENS1_35adjacent_difference_config_selectorILb1ElEEZNS1_24adjacent_difference_implIS3_Lb1ELb0EPlS7_ZN2at6native12_GLOBAL__N_124unique_dim_cuda_templateItEESt5tupleIJNS8_6TensorESD_SD_EERKSD_lbbbEUlllE1_EE10hipError_tPvRmT2_T3_mT4_P12ihipStream_tbEUlT_E_NS1_11comp_targetILNS1_3genE4ELNS1_11target_archE910ELNS1_3gpuE8ELNS1_3repE0EEENS1_30default_config_static_selectorELNS0_4arch9wavefront6targetE1EEEvT1_,comdat
.Lfunc_end1423:
	.size	_ZN7rocprim17ROCPRIM_400000_NS6detail17trampoline_kernelINS0_14default_configENS1_35adjacent_difference_config_selectorILb1ElEEZNS1_24adjacent_difference_implIS3_Lb1ELb0EPlS7_ZN2at6native12_GLOBAL__N_124unique_dim_cuda_templateItEESt5tupleIJNS8_6TensorESD_SD_EERKSD_lbbbEUlllE1_EE10hipError_tPvRmT2_T3_mT4_P12ihipStream_tbEUlT_E_NS1_11comp_targetILNS1_3genE4ELNS1_11target_archE910ELNS1_3gpuE8ELNS1_3repE0EEENS1_30default_config_static_selectorELNS0_4arch9wavefront6targetE1EEEvT1_, .Lfunc_end1423-_ZN7rocprim17ROCPRIM_400000_NS6detail17trampoline_kernelINS0_14default_configENS1_35adjacent_difference_config_selectorILb1ElEEZNS1_24adjacent_difference_implIS3_Lb1ELb0EPlS7_ZN2at6native12_GLOBAL__N_124unique_dim_cuda_templateItEESt5tupleIJNS8_6TensorESD_SD_EERKSD_lbbbEUlllE1_EE10hipError_tPvRmT2_T3_mT4_P12ihipStream_tbEUlT_E_NS1_11comp_targetILNS1_3genE4ELNS1_11target_archE910ELNS1_3gpuE8ELNS1_3repE0EEENS1_30default_config_static_selectorELNS0_4arch9wavefront6targetE1EEEvT1_
                                        ; -- End function
	.section	.AMDGPU.csdata,"",@progbits
; Kernel info:
; codeLenInByte = 0
; NumSgprs: 6
; NumVgprs: 0
; NumAgprs: 0
; TotalNumVgprs: 0
; ScratchSize: 0
; MemoryBound: 0
; FloatMode: 240
; IeeeMode: 1
; LDSByteSize: 0 bytes/workgroup (compile time only)
; SGPRBlocks: 0
; VGPRBlocks: 0
; NumSGPRsForWavesPerEU: 6
; NumVGPRsForWavesPerEU: 1
; AccumOffset: 4
; Occupancy: 8
; WaveLimiterHint : 0
; COMPUTE_PGM_RSRC2:SCRATCH_EN: 0
; COMPUTE_PGM_RSRC2:USER_SGPR: 2
; COMPUTE_PGM_RSRC2:TRAP_HANDLER: 0
; COMPUTE_PGM_RSRC2:TGID_X_EN: 1
; COMPUTE_PGM_RSRC2:TGID_Y_EN: 0
; COMPUTE_PGM_RSRC2:TGID_Z_EN: 0
; COMPUTE_PGM_RSRC2:TIDIG_COMP_CNT: 0
; COMPUTE_PGM_RSRC3_GFX90A:ACCUM_OFFSET: 0
; COMPUTE_PGM_RSRC3_GFX90A:TG_SPLIT: 0
	.section	.text._ZN7rocprim17ROCPRIM_400000_NS6detail17trampoline_kernelINS0_14default_configENS1_35adjacent_difference_config_selectorILb1ElEEZNS1_24adjacent_difference_implIS3_Lb1ELb0EPlS7_ZN2at6native12_GLOBAL__N_124unique_dim_cuda_templateItEESt5tupleIJNS8_6TensorESD_SD_EERKSD_lbbbEUlllE1_EE10hipError_tPvRmT2_T3_mT4_P12ihipStream_tbEUlT_E_NS1_11comp_targetILNS1_3genE3ELNS1_11target_archE908ELNS1_3gpuE7ELNS1_3repE0EEENS1_30default_config_static_selectorELNS0_4arch9wavefront6targetE1EEEvT1_,"axG",@progbits,_ZN7rocprim17ROCPRIM_400000_NS6detail17trampoline_kernelINS0_14default_configENS1_35adjacent_difference_config_selectorILb1ElEEZNS1_24adjacent_difference_implIS3_Lb1ELb0EPlS7_ZN2at6native12_GLOBAL__N_124unique_dim_cuda_templateItEESt5tupleIJNS8_6TensorESD_SD_EERKSD_lbbbEUlllE1_EE10hipError_tPvRmT2_T3_mT4_P12ihipStream_tbEUlT_E_NS1_11comp_targetILNS1_3genE3ELNS1_11target_archE908ELNS1_3gpuE7ELNS1_3repE0EEENS1_30default_config_static_selectorELNS0_4arch9wavefront6targetE1EEEvT1_,comdat
	.globl	_ZN7rocprim17ROCPRIM_400000_NS6detail17trampoline_kernelINS0_14default_configENS1_35adjacent_difference_config_selectorILb1ElEEZNS1_24adjacent_difference_implIS3_Lb1ELb0EPlS7_ZN2at6native12_GLOBAL__N_124unique_dim_cuda_templateItEESt5tupleIJNS8_6TensorESD_SD_EERKSD_lbbbEUlllE1_EE10hipError_tPvRmT2_T3_mT4_P12ihipStream_tbEUlT_E_NS1_11comp_targetILNS1_3genE3ELNS1_11target_archE908ELNS1_3gpuE7ELNS1_3repE0EEENS1_30default_config_static_selectorELNS0_4arch9wavefront6targetE1EEEvT1_ ; -- Begin function _ZN7rocprim17ROCPRIM_400000_NS6detail17trampoline_kernelINS0_14default_configENS1_35adjacent_difference_config_selectorILb1ElEEZNS1_24adjacent_difference_implIS3_Lb1ELb0EPlS7_ZN2at6native12_GLOBAL__N_124unique_dim_cuda_templateItEESt5tupleIJNS8_6TensorESD_SD_EERKSD_lbbbEUlllE1_EE10hipError_tPvRmT2_T3_mT4_P12ihipStream_tbEUlT_E_NS1_11comp_targetILNS1_3genE3ELNS1_11target_archE908ELNS1_3gpuE7ELNS1_3repE0EEENS1_30default_config_static_selectorELNS0_4arch9wavefront6targetE1EEEvT1_
	.p2align	8
	.type	_ZN7rocprim17ROCPRIM_400000_NS6detail17trampoline_kernelINS0_14default_configENS1_35adjacent_difference_config_selectorILb1ElEEZNS1_24adjacent_difference_implIS3_Lb1ELb0EPlS7_ZN2at6native12_GLOBAL__N_124unique_dim_cuda_templateItEESt5tupleIJNS8_6TensorESD_SD_EERKSD_lbbbEUlllE1_EE10hipError_tPvRmT2_T3_mT4_P12ihipStream_tbEUlT_E_NS1_11comp_targetILNS1_3genE3ELNS1_11target_archE908ELNS1_3gpuE7ELNS1_3repE0EEENS1_30default_config_static_selectorELNS0_4arch9wavefront6targetE1EEEvT1_,@function
_ZN7rocprim17ROCPRIM_400000_NS6detail17trampoline_kernelINS0_14default_configENS1_35adjacent_difference_config_selectorILb1ElEEZNS1_24adjacent_difference_implIS3_Lb1ELb0EPlS7_ZN2at6native12_GLOBAL__N_124unique_dim_cuda_templateItEESt5tupleIJNS8_6TensorESD_SD_EERKSD_lbbbEUlllE1_EE10hipError_tPvRmT2_T3_mT4_P12ihipStream_tbEUlT_E_NS1_11comp_targetILNS1_3genE3ELNS1_11target_archE908ELNS1_3gpuE7ELNS1_3repE0EEENS1_30default_config_static_selectorELNS0_4arch9wavefront6targetE1EEEvT1_: ; @_ZN7rocprim17ROCPRIM_400000_NS6detail17trampoline_kernelINS0_14default_configENS1_35adjacent_difference_config_selectorILb1ElEEZNS1_24adjacent_difference_implIS3_Lb1ELb0EPlS7_ZN2at6native12_GLOBAL__N_124unique_dim_cuda_templateItEESt5tupleIJNS8_6TensorESD_SD_EERKSD_lbbbEUlllE1_EE10hipError_tPvRmT2_T3_mT4_P12ihipStream_tbEUlT_E_NS1_11comp_targetILNS1_3genE3ELNS1_11target_archE908ELNS1_3gpuE7ELNS1_3repE0EEENS1_30default_config_static_selectorELNS0_4arch9wavefront6targetE1EEEvT1_
; %bb.0:
	.section	.rodata,"a",@progbits
	.p2align	6, 0x0
	.amdhsa_kernel _ZN7rocprim17ROCPRIM_400000_NS6detail17trampoline_kernelINS0_14default_configENS1_35adjacent_difference_config_selectorILb1ElEEZNS1_24adjacent_difference_implIS3_Lb1ELb0EPlS7_ZN2at6native12_GLOBAL__N_124unique_dim_cuda_templateItEESt5tupleIJNS8_6TensorESD_SD_EERKSD_lbbbEUlllE1_EE10hipError_tPvRmT2_T3_mT4_P12ihipStream_tbEUlT_E_NS1_11comp_targetILNS1_3genE3ELNS1_11target_archE908ELNS1_3gpuE7ELNS1_3repE0EEENS1_30default_config_static_selectorELNS0_4arch9wavefront6targetE1EEEvT1_
		.amdhsa_group_segment_fixed_size 0
		.amdhsa_private_segment_fixed_size 0
		.amdhsa_kernarg_size 64
		.amdhsa_user_sgpr_count 2
		.amdhsa_user_sgpr_dispatch_ptr 0
		.amdhsa_user_sgpr_queue_ptr 0
		.amdhsa_user_sgpr_kernarg_segment_ptr 1
		.amdhsa_user_sgpr_dispatch_id 0
		.amdhsa_user_sgpr_kernarg_preload_length 0
		.amdhsa_user_sgpr_kernarg_preload_offset 0
		.amdhsa_user_sgpr_private_segment_size 0
		.amdhsa_uses_dynamic_stack 0
		.amdhsa_enable_private_segment 0
		.amdhsa_system_sgpr_workgroup_id_x 1
		.amdhsa_system_sgpr_workgroup_id_y 0
		.amdhsa_system_sgpr_workgroup_id_z 0
		.amdhsa_system_sgpr_workgroup_info 0
		.amdhsa_system_vgpr_workitem_id 0
		.amdhsa_next_free_vgpr 1
		.amdhsa_next_free_sgpr 0
		.amdhsa_accum_offset 4
		.amdhsa_reserve_vcc 0
		.amdhsa_float_round_mode_32 0
		.amdhsa_float_round_mode_16_64 0
		.amdhsa_float_denorm_mode_32 3
		.amdhsa_float_denorm_mode_16_64 3
		.amdhsa_dx10_clamp 1
		.amdhsa_ieee_mode 1
		.amdhsa_fp16_overflow 0
		.amdhsa_tg_split 0
		.amdhsa_exception_fp_ieee_invalid_op 0
		.amdhsa_exception_fp_denorm_src 0
		.amdhsa_exception_fp_ieee_div_zero 0
		.amdhsa_exception_fp_ieee_overflow 0
		.amdhsa_exception_fp_ieee_underflow 0
		.amdhsa_exception_fp_ieee_inexact 0
		.amdhsa_exception_int_div_zero 0
	.end_amdhsa_kernel
	.section	.text._ZN7rocprim17ROCPRIM_400000_NS6detail17trampoline_kernelINS0_14default_configENS1_35adjacent_difference_config_selectorILb1ElEEZNS1_24adjacent_difference_implIS3_Lb1ELb0EPlS7_ZN2at6native12_GLOBAL__N_124unique_dim_cuda_templateItEESt5tupleIJNS8_6TensorESD_SD_EERKSD_lbbbEUlllE1_EE10hipError_tPvRmT2_T3_mT4_P12ihipStream_tbEUlT_E_NS1_11comp_targetILNS1_3genE3ELNS1_11target_archE908ELNS1_3gpuE7ELNS1_3repE0EEENS1_30default_config_static_selectorELNS0_4arch9wavefront6targetE1EEEvT1_,"axG",@progbits,_ZN7rocprim17ROCPRIM_400000_NS6detail17trampoline_kernelINS0_14default_configENS1_35adjacent_difference_config_selectorILb1ElEEZNS1_24adjacent_difference_implIS3_Lb1ELb0EPlS7_ZN2at6native12_GLOBAL__N_124unique_dim_cuda_templateItEESt5tupleIJNS8_6TensorESD_SD_EERKSD_lbbbEUlllE1_EE10hipError_tPvRmT2_T3_mT4_P12ihipStream_tbEUlT_E_NS1_11comp_targetILNS1_3genE3ELNS1_11target_archE908ELNS1_3gpuE7ELNS1_3repE0EEENS1_30default_config_static_selectorELNS0_4arch9wavefront6targetE1EEEvT1_,comdat
.Lfunc_end1424:
	.size	_ZN7rocprim17ROCPRIM_400000_NS6detail17trampoline_kernelINS0_14default_configENS1_35adjacent_difference_config_selectorILb1ElEEZNS1_24adjacent_difference_implIS3_Lb1ELb0EPlS7_ZN2at6native12_GLOBAL__N_124unique_dim_cuda_templateItEESt5tupleIJNS8_6TensorESD_SD_EERKSD_lbbbEUlllE1_EE10hipError_tPvRmT2_T3_mT4_P12ihipStream_tbEUlT_E_NS1_11comp_targetILNS1_3genE3ELNS1_11target_archE908ELNS1_3gpuE7ELNS1_3repE0EEENS1_30default_config_static_selectorELNS0_4arch9wavefront6targetE1EEEvT1_, .Lfunc_end1424-_ZN7rocprim17ROCPRIM_400000_NS6detail17trampoline_kernelINS0_14default_configENS1_35adjacent_difference_config_selectorILb1ElEEZNS1_24adjacent_difference_implIS3_Lb1ELb0EPlS7_ZN2at6native12_GLOBAL__N_124unique_dim_cuda_templateItEESt5tupleIJNS8_6TensorESD_SD_EERKSD_lbbbEUlllE1_EE10hipError_tPvRmT2_T3_mT4_P12ihipStream_tbEUlT_E_NS1_11comp_targetILNS1_3genE3ELNS1_11target_archE908ELNS1_3gpuE7ELNS1_3repE0EEENS1_30default_config_static_selectorELNS0_4arch9wavefront6targetE1EEEvT1_
                                        ; -- End function
	.section	.AMDGPU.csdata,"",@progbits
; Kernel info:
; codeLenInByte = 0
; NumSgprs: 6
; NumVgprs: 0
; NumAgprs: 0
; TotalNumVgprs: 0
; ScratchSize: 0
; MemoryBound: 0
; FloatMode: 240
; IeeeMode: 1
; LDSByteSize: 0 bytes/workgroup (compile time only)
; SGPRBlocks: 0
; VGPRBlocks: 0
; NumSGPRsForWavesPerEU: 6
; NumVGPRsForWavesPerEU: 1
; AccumOffset: 4
; Occupancy: 8
; WaveLimiterHint : 0
; COMPUTE_PGM_RSRC2:SCRATCH_EN: 0
; COMPUTE_PGM_RSRC2:USER_SGPR: 2
; COMPUTE_PGM_RSRC2:TRAP_HANDLER: 0
; COMPUTE_PGM_RSRC2:TGID_X_EN: 1
; COMPUTE_PGM_RSRC2:TGID_Y_EN: 0
; COMPUTE_PGM_RSRC2:TGID_Z_EN: 0
; COMPUTE_PGM_RSRC2:TIDIG_COMP_CNT: 0
; COMPUTE_PGM_RSRC3_GFX90A:ACCUM_OFFSET: 0
; COMPUTE_PGM_RSRC3_GFX90A:TG_SPLIT: 0
	.section	.text._ZN7rocprim17ROCPRIM_400000_NS6detail17trampoline_kernelINS0_14default_configENS1_35adjacent_difference_config_selectorILb1ElEEZNS1_24adjacent_difference_implIS3_Lb1ELb0EPlS7_ZN2at6native12_GLOBAL__N_124unique_dim_cuda_templateItEESt5tupleIJNS8_6TensorESD_SD_EERKSD_lbbbEUlllE1_EE10hipError_tPvRmT2_T3_mT4_P12ihipStream_tbEUlT_E_NS1_11comp_targetILNS1_3genE2ELNS1_11target_archE906ELNS1_3gpuE6ELNS1_3repE0EEENS1_30default_config_static_selectorELNS0_4arch9wavefront6targetE1EEEvT1_,"axG",@progbits,_ZN7rocprim17ROCPRIM_400000_NS6detail17trampoline_kernelINS0_14default_configENS1_35adjacent_difference_config_selectorILb1ElEEZNS1_24adjacent_difference_implIS3_Lb1ELb0EPlS7_ZN2at6native12_GLOBAL__N_124unique_dim_cuda_templateItEESt5tupleIJNS8_6TensorESD_SD_EERKSD_lbbbEUlllE1_EE10hipError_tPvRmT2_T3_mT4_P12ihipStream_tbEUlT_E_NS1_11comp_targetILNS1_3genE2ELNS1_11target_archE906ELNS1_3gpuE6ELNS1_3repE0EEENS1_30default_config_static_selectorELNS0_4arch9wavefront6targetE1EEEvT1_,comdat
	.globl	_ZN7rocprim17ROCPRIM_400000_NS6detail17trampoline_kernelINS0_14default_configENS1_35adjacent_difference_config_selectorILb1ElEEZNS1_24adjacent_difference_implIS3_Lb1ELb0EPlS7_ZN2at6native12_GLOBAL__N_124unique_dim_cuda_templateItEESt5tupleIJNS8_6TensorESD_SD_EERKSD_lbbbEUlllE1_EE10hipError_tPvRmT2_T3_mT4_P12ihipStream_tbEUlT_E_NS1_11comp_targetILNS1_3genE2ELNS1_11target_archE906ELNS1_3gpuE6ELNS1_3repE0EEENS1_30default_config_static_selectorELNS0_4arch9wavefront6targetE1EEEvT1_ ; -- Begin function _ZN7rocprim17ROCPRIM_400000_NS6detail17trampoline_kernelINS0_14default_configENS1_35adjacent_difference_config_selectorILb1ElEEZNS1_24adjacent_difference_implIS3_Lb1ELb0EPlS7_ZN2at6native12_GLOBAL__N_124unique_dim_cuda_templateItEESt5tupleIJNS8_6TensorESD_SD_EERKSD_lbbbEUlllE1_EE10hipError_tPvRmT2_T3_mT4_P12ihipStream_tbEUlT_E_NS1_11comp_targetILNS1_3genE2ELNS1_11target_archE906ELNS1_3gpuE6ELNS1_3repE0EEENS1_30default_config_static_selectorELNS0_4arch9wavefront6targetE1EEEvT1_
	.p2align	8
	.type	_ZN7rocprim17ROCPRIM_400000_NS6detail17trampoline_kernelINS0_14default_configENS1_35adjacent_difference_config_selectorILb1ElEEZNS1_24adjacent_difference_implIS3_Lb1ELb0EPlS7_ZN2at6native12_GLOBAL__N_124unique_dim_cuda_templateItEESt5tupleIJNS8_6TensorESD_SD_EERKSD_lbbbEUlllE1_EE10hipError_tPvRmT2_T3_mT4_P12ihipStream_tbEUlT_E_NS1_11comp_targetILNS1_3genE2ELNS1_11target_archE906ELNS1_3gpuE6ELNS1_3repE0EEENS1_30default_config_static_selectorELNS0_4arch9wavefront6targetE1EEEvT1_,@function
_ZN7rocprim17ROCPRIM_400000_NS6detail17trampoline_kernelINS0_14default_configENS1_35adjacent_difference_config_selectorILb1ElEEZNS1_24adjacent_difference_implIS3_Lb1ELb0EPlS7_ZN2at6native12_GLOBAL__N_124unique_dim_cuda_templateItEESt5tupleIJNS8_6TensorESD_SD_EERKSD_lbbbEUlllE1_EE10hipError_tPvRmT2_T3_mT4_P12ihipStream_tbEUlT_E_NS1_11comp_targetILNS1_3genE2ELNS1_11target_archE906ELNS1_3gpuE6ELNS1_3repE0EEENS1_30default_config_static_selectorELNS0_4arch9wavefront6targetE1EEEvT1_: ; @_ZN7rocprim17ROCPRIM_400000_NS6detail17trampoline_kernelINS0_14default_configENS1_35adjacent_difference_config_selectorILb1ElEEZNS1_24adjacent_difference_implIS3_Lb1ELb0EPlS7_ZN2at6native12_GLOBAL__N_124unique_dim_cuda_templateItEESt5tupleIJNS8_6TensorESD_SD_EERKSD_lbbbEUlllE1_EE10hipError_tPvRmT2_T3_mT4_P12ihipStream_tbEUlT_E_NS1_11comp_targetILNS1_3genE2ELNS1_11target_archE906ELNS1_3gpuE6ELNS1_3repE0EEENS1_30default_config_static_selectorELNS0_4arch9wavefront6targetE1EEEvT1_
; %bb.0:
	.section	.rodata,"a",@progbits
	.p2align	6, 0x0
	.amdhsa_kernel _ZN7rocprim17ROCPRIM_400000_NS6detail17trampoline_kernelINS0_14default_configENS1_35adjacent_difference_config_selectorILb1ElEEZNS1_24adjacent_difference_implIS3_Lb1ELb0EPlS7_ZN2at6native12_GLOBAL__N_124unique_dim_cuda_templateItEESt5tupleIJNS8_6TensorESD_SD_EERKSD_lbbbEUlllE1_EE10hipError_tPvRmT2_T3_mT4_P12ihipStream_tbEUlT_E_NS1_11comp_targetILNS1_3genE2ELNS1_11target_archE906ELNS1_3gpuE6ELNS1_3repE0EEENS1_30default_config_static_selectorELNS0_4arch9wavefront6targetE1EEEvT1_
		.amdhsa_group_segment_fixed_size 0
		.amdhsa_private_segment_fixed_size 0
		.amdhsa_kernarg_size 64
		.amdhsa_user_sgpr_count 2
		.amdhsa_user_sgpr_dispatch_ptr 0
		.amdhsa_user_sgpr_queue_ptr 0
		.amdhsa_user_sgpr_kernarg_segment_ptr 1
		.amdhsa_user_sgpr_dispatch_id 0
		.amdhsa_user_sgpr_kernarg_preload_length 0
		.amdhsa_user_sgpr_kernarg_preload_offset 0
		.amdhsa_user_sgpr_private_segment_size 0
		.amdhsa_uses_dynamic_stack 0
		.amdhsa_enable_private_segment 0
		.amdhsa_system_sgpr_workgroup_id_x 1
		.amdhsa_system_sgpr_workgroup_id_y 0
		.amdhsa_system_sgpr_workgroup_id_z 0
		.amdhsa_system_sgpr_workgroup_info 0
		.amdhsa_system_vgpr_workitem_id 0
		.amdhsa_next_free_vgpr 1
		.amdhsa_next_free_sgpr 0
		.amdhsa_accum_offset 4
		.amdhsa_reserve_vcc 0
		.amdhsa_float_round_mode_32 0
		.amdhsa_float_round_mode_16_64 0
		.amdhsa_float_denorm_mode_32 3
		.amdhsa_float_denorm_mode_16_64 3
		.amdhsa_dx10_clamp 1
		.amdhsa_ieee_mode 1
		.amdhsa_fp16_overflow 0
		.amdhsa_tg_split 0
		.amdhsa_exception_fp_ieee_invalid_op 0
		.amdhsa_exception_fp_denorm_src 0
		.amdhsa_exception_fp_ieee_div_zero 0
		.amdhsa_exception_fp_ieee_overflow 0
		.amdhsa_exception_fp_ieee_underflow 0
		.amdhsa_exception_fp_ieee_inexact 0
		.amdhsa_exception_int_div_zero 0
	.end_amdhsa_kernel
	.section	.text._ZN7rocprim17ROCPRIM_400000_NS6detail17trampoline_kernelINS0_14default_configENS1_35adjacent_difference_config_selectorILb1ElEEZNS1_24adjacent_difference_implIS3_Lb1ELb0EPlS7_ZN2at6native12_GLOBAL__N_124unique_dim_cuda_templateItEESt5tupleIJNS8_6TensorESD_SD_EERKSD_lbbbEUlllE1_EE10hipError_tPvRmT2_T3_mT4_P12ihipStream_tbEUlT_E_NS1_11comp_targetILNS1_3genE2ELNS1_11target_archE906ELNS1_3gpuE6ELNS1_3repE0EEENS1_30default_config_static_selectorELNS0_4arch9wavefront6targetE1EEEvT1_,"axG",@progbits,_ZN7rocprim17ROCPRIM_400000_NS6detail17trampoline_kernelINS0_14default_configENS1_35adjacent_difference_config_selectorILb1ElEEZNS1_24adjacent_difference_implIS3_Lb1ELb0EPlS7_ZN2at6native12_GLOBAL__N_124unique_dim_cuda_templateItEESt5tupleIJNS8_6TensorESD_SD_EERKSD_lbbbEUlllE1_EE10hipError_tPvRmT2_T3_mT4_P12ihipStream_tbEUlT_E_NS1_11comp_targetILNS1_3genE2ELNS1_11target_archE906ELNS1_3gpuE6ELNS1_3repE0EEENS1_30default_config_static_selectorELNS0_4arch9wavefront6targetE1EEEvT1_,comdat
.Lfunc_end1425:
	.size	_ZN7rocprim17ROCPRIM_400000_NS6detail17trampoline_kernelINS0_14default_configENS1_35adjacent_difference_config_selectorILb1ElEEZNS1_24adjacent_difference_implIS3_Lb1ELb0EPlS7_ZN2at6native12_GLOBAL__N_124unique_dim_cuda_templateItEESt5tupleIJNS8_6TensorESD_SD_EERKSD_lbbbEUlllE1_EE10hipError_tPvRmT2_T3_mT4_P12ihipStream_tbEUlT_E_NS1_11comp_targetILNS1_3genE2ELNS1_11target_archE906ELNS1_3gpuE6ELNS1_3repE0EEENS1_30default_config_static_selectorELNS0_4arch9wavefront6targetE1EEEvT1_, .Lfunc_end1425-_ZN7rocprim17ROCPRIM_400000_NS6detail17trampoline_kernelINS0_14default_configENS1_35adjacent_difference_config_selectorILb1ElEEZNS1_24adjacent_difference_implIS3_Lb1ELb0EPlS7_ZN2at6native12_GLOBAL__N_124unique_dim_cuda_templateItEESt5tupleIJNS8_6TensorESD_SD_EERKSD_lbbbEUlllE1_EE10hipError_tPvRmT2_T3_mT4_P12ihipStream_tbEUlT_E_NS1_11comp_targetILNS1_3genE2ELNS1_11target_archE906ELNS1_3gpuE6ELNS1_3repE0EEENS1_30default_config_static_selectorELNS0_4arch9wavefront6targetE1EEEvT1_
                                        ; -- End function
	.section	.AMDGPU.csdata,"",@progbits
; Kernel info:
; codeLenInByte = 0
; NumSgprs: 6
; NumVgprs: 0
; NumAgprs: 0
; TotalNumVgprs: 0
; ScratchSize: 0
; MemoryBound: 0
; FloatMode: 240
; IeeeMode: 1
; LDSByteSize: 0 bytes/workgroup (compile time only)
; SGPRBlocks: 0
; VGPRBlocks: 0
; NumSGPRsForWavesPerEU: 6
; NumVGPRsForWavesPerEU: 1
; AccumOffset: 4
; Occupancy: 8
; WaveLimiterHint : 0
; COMPUTE_PGM_RSRC2:SCRATCH_EN: 0
; COMPUTE_PGM_RSRC2:USER_SGPR: 2
; COMPUTE_PGM_RSRC2:TRAP_HANDLER: 0
; COMPUTE_PGM_RSRC2:TGID_X_EN: 1
; COMPUTE_PGM_RSRC2:TGID_Y_EN: 0
; COMPUTE_PGM_RSRC2:TGID_Z_EN: 0
; COMPUTE_PGM_RSRC2:TIDIG_COMP_CNT: 0
; COMPUTE_PGM_RSRC3_GFX90A:ACCUM_OFFSET: 0
; COMPUTE_PGM_RSRC3_GFX90A:TG_SPLIT: 0
	.section	.text._ZN7rocprim17ROCPRIM_400000_NS6detail17trampoline_kernelINS0_14default_configENS1_35adjacent_difference_config_selectorILb1ElEEZNS1_24adjacent_difference_implIS3_Lb1ELb0EPlS7_ZN2at6native12_GLOBAL__N_124unique_dim_cuda_templateItEESt5tupleIJNS8_6TensorESD_SD_EERKSD_lbbbEUlllE1_EE10hipError_tPvRmT2_T3_mT4_P12ihipStream_tbEUlT_E_NS1_11comp_targetILNS1_3genE9ELNS1_11target_archE1100ELNS1_3gpuE3ELNS1_3repE0EEENS1_30default_config_static_selectorELNS0_4arch9wavefront6targetE1EEEvT1_,"axG",@progbits,_ZN7rocprim17ROCPRIM_400000_NS6detail17trampoline_kernelINS0_14default_configENS1_35adjacent_difference_config_selectorILb1ElEEZNS1_24adjacent_difference_implIS3_Lb1ELb0EPlS7_ZN2at6native12_GLOBAL__N_124unique_dim_cuda_templateItEESt5tupleIJNS8_6TensorESD_SD_EERKSD_lbbbEUlllE1_EE10hipError_tPvRmT2_T3_mT4_P12ihipStream_tbEUlT_E_NS1_11comp_targetILNS1_3genE9ELNS1_11target_archE1100ELNS1_3gpuE3ELNS1_3repE0EEENS1_30default_config_static_selectorELNS0_4arch9wavefront6targetE1EEEvT1_,comdat
	.globl	_ZN7rocprim17ROCPRIM_400000_NS6detail17trampoline_kernelINS0_14default_configENS1_35adjacent_difference_config_selectorILb1ElEEZNS1_24adjacent_difference_implIS3_Lb1ELb0EPlS7_ZN2at6native12_GLOBAL__N_124unique_dim_cuda_templateItEESt5tupleIJNS8_6TensorESD_SD_EERKSD_lbbbEUlllE1_EE10hipError_tPvRmT2_T3_mT4_P12ihipStream_tbEUlT_E_NS1_11comp_targetILNS1_3genE9ELNS1_11target_archE1100ELNS1_3gpuE3ELNS1_3repE0EEENS1_30default_config_static_selectorELNS0_4arch9wavefront6targetE1EEEvT1_ ; -- Begin function _ZN7rocprim17ROCPRIM_400000_NS6detail17trampoline_kernelINS0_14default_configENS1_35adjacent_difference_config_selectorILb1ElEEZNS1_24adjacent_difference_implIS3_Lb1ELb0EPlS7_ZN2at6native12_GLOBAL__N_124unique_dim_cuda_templateItEESt5tupleIJNS8_6TensorESD_SD_EERKSD_lbbbEUlllE1_EE10hipError_tPvRmT2_T3_mT4_P12ihipStream_tbEUlT_E_NS1_11comp_targetILNS1_3genE9ELNS1_11target_archE1100ELNS1_3gpuE3ELNS1_3repE0EEENS1_30default_config_static_selectorELNS0_4arch9wavefront6targetE1EEEvT1_
	.p2align	8
	.type	_ZN7rocprim17ROCPRIM_400000_NS6detail17trampoline_kernelINS0_14default_configENS1_35adjacent_difference_config_selectorILb1ElEEZNS1_24adjacent_difference_implIS3_Lb1ELb0EPlS7_ZN2at6native12_GLOBAL__N_124unique_dim_cuda_templateItEESt5tupleIJNS8_6TensorESD_SD_EERKSD_lbbbEUlllE1_EE10hipError_tPvRmT2_T3_mT4_P12ihipStream_tbEUlT_E_NS1_11comp_targetILNS1_3genE9ELNS1_11target_archE1100ELNS1_3gpuE3ELNS1_3repE0EEENS1_30default_config_static_selectorELNS0_4arch9wavefront6targetE1EEEvT1_,@function
_ZN7rocprim17ROCPRIM_400000_NS6detail17trampoline_kernelINS0_14default_configENS1_35adjacent_difference_config_selectorILb1ElEEZNS1_24adjacent_difference_implIS3_Lb1ELb0EPlS7_ZN2at6native12_GLOBAL__N_124unique_dim_cuda_templateItEESt5tupleIJNS8_6TensorESD_SD_EERKSD_lbbbEUlllE1_EE10hipError_tPvRmT2_T3_mT4_P12ihipStream_tbEUlT_E_NS1_11comp_targetILNS1_3genE9ELNS1_11target_archE1100ELNS1_3gpuE3ELNS1_3repE0EEENS1_30default_config_static_selectorELNS0_4arch9wavefront6targetE1EEEvT1_: ; @_ZN7rocprim17ROCPRIM_400000_NS6detail17trampoline_kernelINS0_14default_configENS1_35adjacent_difference_config_selectorILb1ElEEZNS1_24adjacent_difference_implIS3_Lb1ELb0EPlS7_ZN2at6native12_GLOBAL__N_124unique_dim_cuda_templateItEESt5tupleIJNS8_6TensorESD_SD_EERKSD_lbbbEUlllE1_EE10hipError_tPvRmT2_T3_mT4_P12ihipStream_tbEUlT_E_NS1_11comp_targetILNS1_3genE9ELNS1_11target_archE1100ELNS1_3gpuE3ELNS1_3repE0EEENS1_30default_config_static_selectorELNS0_4arch9wavefront6targetE1EEEvT1_
; %bb.0:
	.section	.rodata,"a",@progbits
	.p2align	6, 0x0
	.amdhsa_kernel _ZN7rocprim17ROCPRIM_400000_NS6detail17trampoline_kernelINS0_14default_configENS1_35adjacent_difference_config_selectorILb1ElEEZNS1_24adjacent_difference_implIS3_Lb1ELb0EPlS7_ZN2at6native12_GLOBAL__N_124unique_dim_cuda_templateItEESt5tupleIJNS8_6TensorESD_SD_EERKSD_lbbbEUlllE1_EE10hipError_tPvRmT2_T3_mT4_P12ihipStream_tbEUlT_E_NS1_11comp_targetILNS1_3genE9ELNS1_11target_archE1100ELNS1_3gpuE3ELNS1_3repE0EEENS1_30default_config_static_selectorELNS0_4arch9wavefront6targetE1EEEvT1_
		.amdhsa_group_segment_fixed_size 0
		.amdhsa_private_segment_fixed_size 0
		.amdhsa_kernarg_size 64
		.amdhsa_user_sgpr_count 2
		.amdhsa_user_sgpr_dispatch_ptr 0
		.amdhsa_user_sgpr_queue_ptr 0
		.amdhsa_user_sgpr_kernarg_segment_ptr 1
		.amdhsa_user_sgpr_dispatch_id 0
		.amdhsa_user_sgpr_kernarg_preload_length 0
		.amdhsa_user_sgpr_kernarg_preload_offset 0
		.amdhsa_user_sgpr_private_segment_size 0
		.amdhsa_uses_dynamic_stack 0
		.amdhsa_enable_private_segment 0
		.amdhsa_system_sgpr_workgroup_id_x 1
		.amdhsa_system_sgpr_workgroup_id_y 0
		.amdhsa_system_sgpr_workgroup_id_z 0
		.amdhsa_system_sgpr_workgroup_info 0
		.amdhsa_system_vgpr_workitem_id 0
		.amdhsa_next_free_vgpr 1
		.amdhsa_next_free_sgpr 0
		.amdhsa_accum_offset 4
		.amdhsa_reserve_vcc 0
		.amdhsa_float_round_mode_32 0
		.amdhsa_float_round_mode_16_64 0
		.amdhsa_float_denorm_mode_32 3
		.amdhsa_float_denorm_mode_16_64 3
		.amdhsa_dx10_clamp 1
		.amdhsa_ieee_mode 1
		.amdhsa_fp16_overflow 0
		.amdhsa_tg_split 0
		.amdhsa_exception_fp_ieee_invalid_op 0
		.amdhsa_exception_fp_denorm_src 0
		.amdhsa_exception_fp_ieee_div_zero 0
		.amdhsa_exception_fp_ieee_overflow 0
		.amdhsa_exception_fp_ieee_underflow 0
		.amdhsa_exception_fp_ieee_inexact 0
		.amdhsa_exception_int_div_zero 0
	.end_amdhsa_kernel
	.section	.text._ZN7rocprim17ROCPRIM_400000_NS6detail17trampoline_kernelINS0_14default_configENS1_35adjacent_difference_config_selectorILb1ElEEZNS1_24adjacent_difference_implIS3_Lb1ELb0EPlS7_ZN2at6native12_GLOBAL__N_124unique_dim_cuda_templateItEESt5tupleIJNS8_6TensorESD_SD_EERKSD_lbbbEUlllE1_EE10hipError_tPvRmT2_T3_mT4_P12ihipStream_tbEUlT_E_NS1_11comp_targetILNS1_3genE9ELNS1_11target_archE1100ELNS1_3gpuE3ELNS1_3repE0EEENS1_30default_config_static_selectorELNS0_4arch9wavefront6targetE1EEEvT1_,"axG",@progbits,_ZN7rocprim17ROCPRIM_400000_NS6detail17trampoline_kernelINS0_14default_configENS1_35adjacent_difference_config_selectorILb1ElEEZNS1_24adjacent_difference_implIS3_Lb1ELb0EPlS7_ZN2at6native12_GLOBAL__N_124unique_dim_cuda_templateItEESt5tupleIJNS8_6TensorESD_SD_EERKSD_lbbbEUlllE1_EE10hipError_tPvRmT2_T3_mT4_P12ihipStream_tbEUlT_E_NS1_11comp_targetILNS1_3genE9ELNS1_11target_archE1100ELNS1_3gpuE3ELNS1_3repE0EEENS1_30default_config_static_selectorELNS0_4arch9wavefront6targetE1EEEvT1_,comdat
.Lfunc_end1426:
	.size	_ZN7rocprim17ROCPRIM_400000_NS6detail17trampoline_kernelINS0_14default_configENS1_35adjacent_difference_config_selectorILb1ElEEZNS1_24adjacent_difference_implIS3_Lb1ELb0EPlS7_ZN2at6native12_GLOBAL__N_124unique_dim_cuda_templateItEESt5tupleIJNS8_6TensorESD_SD_EERKSD_lbbbEUlllE1_EE10hipError_tPvRmT2_T3_mT4_P12ihipStream_tbEUlT_E_NS1_11comp_targetILNS1_3genE9ELNS1_11target_archE1100ELNS1_3gpuE3ELNS1_3repE0EEENS1_30default_config_static_selectorELNS0_4arch9wavefront6targetE1EEEvT1_, .Lfunc_end1426-_ZN7rocprim17ROCPRIM_400000_NS6detail17trampoline_kernelINS0_14default_configENS1_35adjacent_difference_config_selectorILb1ElEEZNS1_24adjacent_difference_implIS3_Lb1ELb0EPlS7_ZN2at6native12_GLOBAL__N_124unique_dim_cuda_templateItEESt5tupleIJNS8_6TensorESD_SD_EERKSD_lbbbEUlllE1_EE10hipError_tPvRmT2_T3_mT4_P12ihipStream_tbEUlT_E_NS1_11comp_targetILNS1_3genE9ELNS1_11target_archE1100ELNS1_3gpuE3ELNS1_3repE0EEENS1_30default_config_static_selectorELNS0_4arch9wavefront6targetE1EEEvT1_
                                        ; -- End function
	.section	.AMDGPU.csdata,"",@progbits
; Kernel info:
; codeLenInByte = 0
; NumSgprs: 6
; NumVgprs: 0
; NumAgprs: 0
; TotalNumVgprs: 0
; ScratchSize: 0
; MemoryBound: 0
; FloatMode: 240
; IeeeMode: 1
; LDSByteSize: 0 bytes/workgroup (compile time only)
; SGPRBlocks: 0
; VGPRBlocks: 0
; NumSGPRsForWavesPerEU: 6
; NumVGPRsForWavesPerEU: 1
; AccumOffset: 4
; Occupancy: 8
; WaveLimiterHint : 0
; COMPUTE_PGM_RSRC2:SCRATCH_EN: 0
; COMPUTE_PGM_RSRC2:USER_SGPR: 2
; COMPUTE_PGM_RSRC2:TRAP_HANDLER: 0
; COMPUTE_PGM_RSRC2:TGID_X_EN: 1
; COMPUTE_PGM_RSRC2:TGID_Y_EN: 0
; COMPUTE_PGM_RSRC2:TGID_Z_EN: 0
; COMPUTE_PGM_RSRC2:TIDIG_COMP_CNT: 0
; COMPUTE_PGM_RSRC3_GFX90A:ACCUM_OFFSET: 0
; COMPUTE_PGM_RSRC3_GFX90A:TG_SPLIT: 0
	.section	.text._ZN7rocprim17ROCPRIM_400000_NS6detail17trampoline_kernelINS0_14default_configENS1_35adjacent_difference_config_selectorILb1ElEEZNS1_24adjacent_difference_implIS3_Lb1ELb0EPlS7_ZN2at6native12_GLOBAL__N_124unique_dim_cuda_templateItEESt5tupleIJNS8_6TensorESD_SD_EERKSD_lbbbEUlllE1_EE10hipError_tPvRmT2_T3_mT4_P12ihipStream_tbEUlT_E_NS1_11comp_targetILNS1_3genE8ELNS1_11target_archE1030ELNS1_3gpuE2ELNS1_3repE0EEENS1_30default_config_static_selectorELNS0_4arch9wavefront6targetE1EEEvT1_,"axG",@progbits,_ZN7rocprim17ROCPRIM_400000_NS6detail17trampoline_kernelINS0_14default_configENS1_35adjacent_difference_config_selectorILb1ElEEZNS1_24adjacent_difference_implIS3_Lb1ELb0EPlS7_ZN2at6native12_GLOBAL__N_124unique_dim_cuda_templateItEESt5tupleIJNS8_6TensorESD_SD_EERKSD_lbbbEUlllE1_EE10hipError_tPvRmT2_T3_mT4_P12ihipStream_tbEUlT_E_NS1_11comp_targetILNS1_3genE8ELNS1_11target_archE1030ELNS1_3gpuE2ELNS1_3repE0EEENS1_30default_config_static_selectorELNS0_4arch9wavefront6targetE1EEEvT1_,comdat
	.globl	_ZN7rocprim17ROCPRIM_400000_NS6detail17trampoline_kernelINS0_14default_configENS1_35adjacent_difference_config_selectorILb1ElEEZNS1_24adjacent_difference_implIS3_Lb1ELb0EPlS7_ZN2at6native12_GLOBAL__N_124unique_dim_cuda_templateItEESt5tupleIJNS8_6TensorESD_SD_EERKSD_lbbbEUlllE1_EE10hipError_tPvRmT2_T3_mT4_P12ihipStream_tbEUlT_E_NS1_11comp_targetILNS1_3genE8ELNS1_11target_archE1030ELNS1_3gpuE2ELNS1_3repE0EEENS1_30default_config_static_selectorELNS0_4arch9wavefront6targetE1EEEvT1_ ; -- Begin function _ZN7rocprim17ROCPRIM_400000_NS6detail17trampoline_kernelINS0_14default_configENS1_35adjacent_difference_config_selectorILb1ElEEZNS1_24adjacent_difference_implIS3_Lb1ELb0EPlS7_ZN2at6native12_GLOBAL__N_124unique_dim_cuda_templateItEESt5tupleIJNS8_6TensorESD_SD_EERKSD_lbbbEUlllE1_EE10hipError_tPvRmT2_T3_mT4_P12ihipStream_tbEUlT_E_NS1_11comp_targetILNS1_3genE8ELNS1_11target_archE1030ELNS1_3gpuE2ELNS1_3repE0EEENS1_30default_config_static_selectorELNS0_4arch9wavefront6targetE1EEEvT1_
	.p2align	8
	.type	_ZN7rocprim17ROCPRIM_400000_NS6detail17trampoline_kernelINS0_14default_configENS1_35adjacent_difference_config_selectorILb1ElEEZNS1_24adjacent_difference_implIS3_Lb1ELb0EPlS7_ZN2at6native12_GLOBAL__N_124unique_dim_cuda_templateItEESt5tupleIJNS8_6TensorESD_SD_EERKSD_lbbbEUlllE1_EE10hipError_tPvRmT2_T3_mT4_P12ihipStream_tbEUlT_E_NS1_11comp_targetILNS1_3genE8ELNS1_11target_archE1030ELNS1_3gpuE2ELNS1_3repE0EEENS1_30default_config_static_selectorELNS0_4arch9wavefront6targetE1EEEvT1_,@function
_ZN7rocprim17ROCPRIM_400000_NS6detail17trampoline_kernelINS0_14default_configENS1_35adjacent_difference_config_selectorILb1ElEEZNS1_24adjacent_difference_implIS3_Lb1ELb0EPlS7_ZN2at6native12_GLOBAL__N_124unique_dim_cuda_templateItEESt5tupleIJNS8_6TensorESD_SD_EERKSD_lbbbEUlllE1_EE10hipError_tPvRmT2_T3_mT4_P12ihipStream_tbEUlT_E_NS1_11comp_targetILNS1_3genE8ELNS1_11target_archE1030ELNS1_3gpuE2ELNS1_3repE0EEENS1_30default_config_static_selectorELNS0_4arch9wavefront6targetE1EEEvT1_: ; @_ZN7rocprim17ROCPRIM_400000_NS6detail17trampoline_kernelINS0_14default_configENS1_35adjacent_difference_config_selectorILb1ElEEZNS1_24adjacent_difference_implIS3_Lb1ELb0EPlS7_ZN2at6native12_GLOBAL__N_124unique_dim_cuda_templateItEESt5tupleIJNS8_6TensorESD_SD_EERKSD_lbbbEUlllE1_EE10hipError_tPvRmT2_T3_mT4_P12ihipStream_tbEUlT_E_NS1_11comp_targetILNS1_3genE8ELNS1_11target_archE1030ELNS1_3gpuE2ELNS1_3repE0EEENS1_30default_config_static_selectorELNS0_4arch9wavefront6targetE1EEEvT1_
; %bb.0:
	.section	.rodata,"a",@progbits
	.p2align	6, 0x0
	.amdhsa_kernel _ZN7rocprim17ROCPRIM_400000_NS6detail17trampoline_kernelINS0_14default_configENS1_35adjacent_difference_config_selectorILb1ElEEZNS1_24adjacent_difference_implIS3_Lb1ELb0EPlS7_ZN2at6native12_GLOBAL__N_124unique_dim_cuda_templateItEESt5tupleIJNS8_6TensorESD_SD_EERKSD_lbbbEUlllE1_EE10hipError_tPvRmT2_T3_mT4_P12ihipStream_tbEUlT_E_NS1_11comp_targetILNS1_3genE8ELNS1_11target_archE1030ELNS1_3gpuE2ELNS1_3repE0EEENS1_30default_config_static_selectorELNS0_4arch9wavefront6targetE1EEEvT1_
		.amdhsa_group_segment_fixed_size 0
		.amdhsa_private_segment_fixed_size 0
		.amdhsa_kernarg_size 64
		.amdhsa_user_sgpr_count 2
		.amdhsa_user_sgpr_dispatch_ptr 0
		.amdhsa_user_sgpr_queue_ptr 0
		.amdhsa_user_sgpr_kernarg_segment_ptr 1
		.amdhsa_user_sgpr_dispatch_id 0
		.amdhsa_user_sgpr_kernarg_preload_length 0
		.amdhsa_user_sgpr_kernarg_preload_offset 0
		.amdhsa_user_sgpr_private_segment_size 0
		.amdhsa_uses_dynamic_stack 0
		.amdhsa_enable_private_segment 0
		.amdhsa_system_sgpr_workgroup_id_x 1
		.amdhsa_system_sgpr_workgroup_id_y 0
		.amdhsa_system_sgpr_workgroup_id_z 0
		.amdhsa_system_sgpr_workgroup_info 0
		.amdhsa_system_vgpr_workitem_id 0
		.amdhsa_next_free_vgpr 1
		.amdhsa_next_free_sgpr 0
		.amdhsa_accum_offset 4
		.amdhsa_reserve_vcc 0
		.amdhsa_float_round_mode_32 0
		.amdhsa_float_round_mode_16_64 0
		.amdhsa_float_denorm_mode_32 3
		.amdhsa_float_denorm_mode_16_64 3
		.amdhsa_dx10_clamp 1
		.amdhsa_ieee_mode 1
		.amdhsa_fp16_overflow 0
		.amdhsa_tg_split 0
		.amdhsa_exception_fp_ieee_invalid_op 0
		.amdhsa_exception_fp_denorm_src 0
		.amdhsa_exception_fp_ieee_div_zero 0
		.amdhsa_exception_fp_ieee_overflow 0
		.amdhsa_exception_fp_ieee_underflow 0
		.amdhsa_exception_fp_ieee_inexact 0
		.amdhsa_exception_int_div_zero 0
	.end_amdhsa_kernel
	.section	.text._ZN7rocprim17ROCPRIM_400000_NS6detail17trampoline_kernelINS0_14default_configENS1_35adjacent_difference_config_selectorILb1ElEEZNS1_24adjacent_difference_implIS3_Lb1ELb0EPlS7_ZN2at6native12_GLOBAL__N_124unique_dim_cuda_templateItEESt5tupleIJNS8_6TensorESD_SD_EERKSD_lbbbEUlllE1_EE10hipError_tPvRmT2_T3_mT4_P12ihipStream_tbEUlT_E_NS1_11comp_targetILNS1_3genE8ELNS1_11target_archE1030ELNS1_3gpuE2ELNS1_3repE0EEENS1_30default_config_static_selectorELNS0_4arch9wavefront6targetE1EEEvT1_,"axG",@progbits,_ZN7rocprim17ROCPRIM_400000_NS6detail17trampoline_kernelINS0_14default_configENS1_35adjacent_difference_config_selectorILb1ElEEZNS1_24adjacent_difference_implIS3_Lb1ELb0EPlS7_ZN2at6native12_GLOBAL__N_124unique_dim_cuda_templateItEESt5tupleIJNS8_6TensorESD_SD_EERKSD_lbbbEUlllE1_EE10hipError_tPvRmT2_T3_mT4_P12ihipStream_tbEUlT_E_NS1_11comp_targetILNS1_3genE8ELNS1_11target_archE1030ELNS1_3gpuE2ELNS1_3repE0EEENS1_30default_config_static_selectorELNS0_4arch9wavefront6targetE1EEEvT1_,comdat
.Lfunc_end1427:
	.size	_ZN7rocprim17ROCPRIM_400000_NS6detail17trampoline_kernelINS0_14default_configENS1_35adjacent_difference_config_selectorILb1ElEEZNS1_24adjacent_difference_implIS3_Lb1ELb0EPlS7_ZN2at6native12_GLOBAL__N_124unique_dim_cuda_templateItEESt5tupleIJNS8_6TensorESD_SD_EERKSD_lbbbEUlllE1_EE10hipError_tPvRmT2_T3_mT4_P12ihipStream_tbEUlT_E_NS1_11comp_targetILNS1_3genE8ELNS1_11target_archE1030ELNS1_3gpuE2ELNS1_3repE0EEENS1_30default_config_static_selectorELNS0_4arch9wavefront6targetE1EEEvT1_, .Lfunc_end1427-_ZN7rocprim17ROCPRIM_400000_NS6detail17trampoline_kernelINS0_14default_configENS1_35adjacent_difference_config_selectorILb1ElEEZNS1_24adjacent_difference_implIS3_Lb1ELb0EPlS7_ZN2at6native12_GLOBAL__N_124unique_dim_cuda_templateItEESt5tupleIJNS8_6TensorESD_SD_EERKSD_lbbbEUlllE1_EE10hipError_tPvRmT2_T3_mT4_P12ihipStream_tbEUlT_E_NS1_11comp_targetILNS1_3genE8ELNS1_11target_archE1030ELNS1_3gpuE2ELNS1_3repE0EEENS1_30default_config_static_selectorELNS0_4arch9wavefront6targetE1EEEvT1_
                                        ; -- End function
	.section	.AMDGPU.csdata,"",@progbits
; Kernel info:
; codeLenInByte = 0
; NumSgprs: 6
; NumVgprs: 0
; NumAgprs: 0
; TotalNumVgprs: 0
; ScratchSize: 0
; MemoryBound: 0
; FloatMode: 240
; IeeeMode: 1
; LDSByteSize: 0 bytes/workgroup (compile time only)
; SGPRBlocks: 0
; VGPRBlocks: 0
; NumSGPRsForWavesPerEU: 6
; NumVGPRsForWavesPerEU: 1
; AccumOffset: 4
; Occupancy: 8
; WaveLimiterHint : 0
; COMPUTE_PGM_RSRC2:SCRATCH_EN: 0
; COMPUTE_PGM_RSRC2:USER_SGPR: 2
; COMPUTE_PGM_RSRC2:TRAP_HANDLER: 0
; COMPUTE_PGM_RSRC2:TGID_X_EN: 1
; COMPUTE_PGM_RSRC2:TGID_Y_EN: 0
; COMPUTE_PGM_RSRC2:TGID_Z_EN: 0
; COMPUTE_PGM_RSRC2:TIDIG_COMP_CNT: 0
; COMPUTE_PGM_RSRC3_GFX90A:ACCUM_OFFSET: 0
; COMPUTE_PGM_RSRC3_GFX90A:TG_SPLIT: 0
	.section	.text._ZN7rocprim17ROCPRIM_400000_NS6detail17trampoline_kernelINS0_14default_configENS1_25partition_config_selectorILNS1_17partition_subalgoE8ElNS0_10empty_typeEbEEZZNS1_14partition_implILS5_8ELb0ES3_jPlPS6_PKS6_NS0_5tupleIJS9_S6_EEENSD_IJSA_SA_EEENS0_18inequality_wrapperIZN2at6native12_GLOBAL__N_124unique_dim_cuda_templateItEESt5tupleIJNSH_6TensorESM_SM_EERKSM_lbbbEUlllE0_EEPmJS6_EEE10hipError_tPvRmT3_T4_T5_T6_T7_T9_mT8_P12ihipStream_tbDpT10_ENKUlT_T0_E_clISt17integral_constantIbLb0EES1C_EEDaS17_S18_EUlS17_E_NS1_11comp_targetILNS1_3genE0ELNS1_11target_archE4294967295ELNS1_3gpuE0ELNS1_3repE0EEENS1_30default_config_static_selectorELNS0_4arch9wavefront6targetE1EEEvT1_,"axG",@progbits,_ZN7rocprim17ROCPRIM_400000_NS6detail17trampoline_kernelINS0_14default_configENS1_25partition_config_selectorILNS1_17partition_subalgoE8ElNS0_10empty_typeEbEEZZNS1_14partition_implILS5_8ELb0ES3_jPlPS6_PKS6_NS0_5tupleIJS9_S6_EEENSD_IJSA_SA_EEENS0_18inequality_wrapperIZN2at6native12_GLOBAL__N_124unique_dim_cuda_templateItEESt5tupleIJNSH_6TensorESM_SM_EERKSM_lbbbEUlllE0_EEPmJS6_EEE10hipError_tPvRmT3_T4_T5_T6_T7_T9_mT8_P12ihipStream_tbDpT10_ENKUlT_T0_E_clISt17integral_constantIbLb0EES1C_EEDaS17_S18_EUlS17_E_NS1_11comp_targetILNS1_3genE0ELNS1_11target_archE4294967295ELNS1_3gpuE0ELNS1_3repE0EEENS1_30default_config_static_selectorELNS0_4arch9wavefront6targetE1EEEvT1_,comdat
	.globl	_ZN7rocprim17ROCPRIM_400000_NS6detail17trampoline_kernelINS0_14default_configENS1_25partition_config_selectorILNS1_17partition_subalgoE8ElNS0_10empty_typeEbEEZZNS1_14partition_implILS5_8ELb0ES3_jPlPS6_PKS6_NS0_5tupleIJS9_S6_EEENSD_IJSA_SA_EEENS0_18inequality_wrapperIZN2at6native12_GLOBAL__N_124unique_dim_cuda_templateItEESt5tupleIJNSH_6TensorESM_SM_EERKSM_lbbbEUlllE0_EEPmJS6_EEE10hipError_tPvRmT3_T4_T5_T6_T7_T9_mT8_P12ihipStream_tbDpT10_ENKUlT_T0_E_clISt17integral_constantIbLb0EES1C_EEDaS17_S18_EUlS17_E_NS1_11comp_targetILNS1_3genE0ELNS1_11target_archE4294967295ELNS1_3gpuE0ELNS1_3repE0EEENS1_30default_config_static_selectorELNS0_4arch9wavefront6targetE1EEEvT1_ ; -- Begin function _ZN7rocprim17ROCPRIM_400000_NS6detail17trampoline_kernelINS0_14default_configENS1_25partition_config_selectorILNS1_17partition_subalgoE8ElNS0_10empty_typeEbEEZZNS1_14partition_implILS5_8ELb0ES3_jPlPS6_PKS6_NS0_5tupleIJS9_S6_EEENSD_IJSA_SA_EEENS0_18inequality_wrapperIZN2at6native12_GLOBAL__N_124unique_dim_cuda_templateItEESt5tupleIJNSH_6TensorESM_SM_EERKSM_lbbbEUlllE0_EEPmJS6_EEE10hipError_tPvRmT3_T4_T5_T6_T7_T9_mT8_P12ihipStream_tbDpT10_ENKUlT_T0_E_clISt17integral_constantIbLb0EES1C_EEDaS17_S18_EUlS17_E_NS1_11comp_targetILNS1_3genE0ELNS1_11target_archE4294967295ELNS1_3gpuE0ELNS1_3repE0EEENS1_30default_config_static_selectorELNS0_4arch9wavefront6targetE1EEEvT1_
	.p2align	8
	.type	_ZN7rocprim17ROCPRIM_400000_NS6detail17trampoline_kernelINS0_14default_configENS1_25partition_config_selectorILNS1_17partition_subalgoE8ElNS0_10empty_typeEbEEZZNS1_14partition_implILS5_8ELb0ES3_jPlPS6_PKS6_NS0_5tupleIJS9_S6_EEENSD_IJSA_SA_EEENS0_18inequality_wrapperIZN2at6native12_GLOBAL__N_124unique_dim_cuda_templateItEESt5tupleIJNSH_6TensorESM_SM_EERKSM_lbbbEUlllE0_EEPmJS6_EEE10hipError_tPvRmT3_T4_T5_T6_T7_T9_mT8_P12ihipStream_tbDpT10_ENKUlT_T0_E_clISt17integral_constantIbLb0EES1C_EEDaS17_S18_EUlS17_E_NS1_11comp_targetILNS1_3genE0ELNS1_11target_archE4294967295ELNS1_3gpuE0ELNS1_3repE0EEENS1_30default_config_static_selectorELNS0_4arch9wavefront6targetE1EEEvT1_,@function
_ZN7rocprim17ROCPRIM_400000_NS6detail17trampoline_kernelINS0_14default_configENS1_25partition_config_selectorILNS1_17partition_subalgoE8ElNS0_10empty_typeEbEEZZNS1_14partition_implILS5_8ELb0ES3_jPlPS6_PKS6_NS0_5tupleIJS9_S6_EEENSD_IJSA_SA_EEENS0_18inequality_wrapperIZN2at6native12_GLOBAL__N_124unique_dim_cuda_templateItEESt5tupleIJNSH_6TensorESM_SM_EERKSM_lbbbEUlllE0_EEPmJS6_EEE10hipError_tPvRmT3_T4_T5_T6_T7_T9_mT8_P12ihipStream_tbDpT10_ENKUlT_T0_E_clISt17integral_constantIbLb0EES1C_EEDaS17_S18_EUlS17_E_NS1_11comp_targetILNS1_3genE0ELNS1_11target_archE4294967295ELNS1_3gpuE0ELNS1_3repE0EEENS1_30default_config_static_selectorELNS0_4arch9wavefront6targetE1EEEvT1_: ; @_ZN7rocprim17ROCPRIM_400000_NS6detail17trampoline_kernelINS0_14default_configENS1_25partition_config_selectorILNS1_17partition_subalgoE8ElNS0_10empty_typeEbEEZZNS1_14partition_implILS5_8ELb0ES3_jPlPS6_PKS6_NS0_5tupleIJS9_S6_EEENSD_IJSA_SA_EEENS0_18inequality_wrapperIZN2at6native12_GLOBAL__N_124unique_dim_cuda_templateItEESt5tupleIJNSH_6TensorESM_SM_EERKSM_lbbbEUlllE0_EEPmJS6_EEE10hipError_tPvRmT3_T4_T5_T6_T7_T9_mT8_P12ihipStream_tbDpT10_ENKUlT_T0_E_clISt17integral_constantIbLb0EES1C_EEDaS17_S18_EUlS17_E_NS1_11comp_targetILNS1_3genE0ELNS1_11target_archE4294967295ELNS1_3gpuE0ELNS1_3repE0EEENS1_30default_config_static_selectorELNS0_4arch9wavefront6targetE1EEEvT1_
; %bb.0:
	.section	.rodata,"a",@progbits
	.p2align	6, 0x0
	.amdhsa_kernel _ZN7rocprim17ROCPRIM_400000_NS6detail17trampoline_kernelINS0_14default_configENS1_25partition_config_selectorILNS1_17partition_subalgoE8ElNS0_10empty_typeEbEEZZNS1_14partition_implILS5_8ELb0ES3_jPlPS6_PKS6_NS0_5tupleIJS9_S6_EEENSD_IJSA_SA_EEENS0_18inequality_wrapperIZN2at6native12_GLOBAL__N_124unique_dim_cuda_templateItEESt5tupleIJNSH_6TensorESM_SM_EERKSM_lbbbEUlllE0_EEPmJS6_EEE10hipError_tPvRmT3_T4_T5_T6_T7_T9_mT8_P12ihipStream_tbDpT10_ENKUlT_T0_E_clISt17integral_constantIbLb0EES1C_EEDaS17_S18_EUlS17_E_NS1_11comp_targetILNS1_3genE0ELNS1_11target_archE4294967295ELNS1_3gpuE0ELNS1_3repE0EEENS1_30default_config_static_selectorELNS0_4arch9wavefront6targetE1EEEvT1_
		.amdhsa_group_segment_fixed_size 0
		.amdhsa_private_segment_fixed_size 0
		.amdhsa_kernarg_size 120
		.amdhsa_user_sgpr_count 2
		.amdhsa_user_sgpr_dispatch_ptr 0
		.amdhsa_user_sgpr_queue_ptr 0
		.amdhsa_user_sgpr_kernarg_segment_ptr 1
		.amdhsa_user_sgpr_dispatch_id 0
		.amdhsa_user_sgpr_kernarg_preload_length 0
		.amdhsa_user_sgpr_kernarg_preload_offset 0
		.amdhsa_user_sgpr_private_segment_size 0
		.amdhsa_uses_dynamic_stack 0
		.amdhsa_enable_private_segment 0
		.amdhsa_system_sgpr_workgroup_id_x 1
		.amdhsa_system_sgpr_workgroup_id_y 0
		.amdhsa_system_sgpr_workgroup_id_z 0
		.amdhsa_system_sgpr_workgroup_info 0
		.amdhsa_system_vgpr_workitem_id 0
		.amdhsa_next_free_vgpr 1
		.amdhsa_next_free_sgpr 0
		.amdhsa_accum_offset 4
		.amdhsa_reserve_vcc 0
		.amdhsa_float_round_mode_32 0
		.amdhsa_float_round_mode_16_64 0
		.amdhsa_float_denorm_mode_32 3
		.amdhsa_float_denorm_mode_16_64 3
		.amdhsa_dx10_clamp 1
		.amdhsa_ieee_mode 1
		.amdhsa_fp16_overflow 0
		.amdhsa_tg_split 0
		.amdhsa_exception_fp_ieee_invalid_op 0
		.amdhsa_exception_fp_denorm_src 0
		.amdhsa_exception_fp_ieee_div_zero 0
		.amdhsa_exception_fp_ieee_overflow 0
		.amdhsa_exception_fp_ieee_underflow 0
		.amdhsa_exception_fp_ieee_inexact 0
		.amdhsa_exception_int_div_zero 0
	.end_amdhsa_kernel
	.section	.text._ZN7rocprim17ROCPRIM_400000_NS6detail17trampoline_kernelINS0_14default_configENS1_25partition_config_selectorILNS1_17partition_subalgoE8ElNS0_10empty_typeEbEEZZNS1_14partition_implILS5_8ELb0ES3_jPlPS6_PKS6_NS0_5tupleIJS9_S6_EEENSD_IJSA_SA_EEENS0_18inequality_wrapperIZN2at6native12_GLOBAL__N_124unique_dim_cuda_templateItEESt5tupleIJNSH_6TensorESM_SM_EERKSM_lbbbEUlllE0_EEPmJS6_EEE10hipError_tPvRmT3_T4_T5_T6_T7_T9_mT8_P12ihipStream_tbDpT10_ENKUlT_T0_E_clISt17integral_constantIbLb0EES1C_EEDaS17_S18_EUlS17_E_NS1_11comp_targetILNS1_3genE0ELNS1_11target_archE4294967295ELNS1_3gpuE0ELNS1_3repE0EEENS1_30default_config_static_selectorELNS0_4arch9wavefront6targetE1EEEvT1_,"axG",@progbits,_ZN7rocprim17ROCPRIM_400000_NS6detail17trampoline_kernelINS0_14default_configENS1_25partition_config_selectorILNS1_17partition_subalgoE8ElNS0_10empty_typeEbEEZZNS1_14partition_implILS5_8ELb0ES3_jPlPS6_PKS6_NS0_5tupleIJS9_S6_EEENSD_IJSA_SA_EEENS0_18inequality_wrapperIZN2at6native12_GLOBAL__N_124unique_dim_cuda_templateItEESt5tupleIJNSH_6TensorESM_SM_EERKSM_lbbbEUlllE0_EEPmJS6_EEE10hipError_tPvRmT3_T4_T5_T6_T7_T9_mT8_P12ihipStream_tbDpT10_ENKUlT_T0_E_clISt17integral_constantIbLb0EES1C_EEDaS17_S18_EUlS17_E_NS1_11comp_targetILNS1_3genE0ELNS1_11target_archE4294967295ELNS1_3gpuE0ELNS1_3repE0EEENS1_30default_config_static_selectorELNS0_4arch9wavefront6targetE1EEEvT1_,comdat
.Lfunc_end1428:
	.size	_ZN7rocprim17ROCPRIM_400000_NS6detail17trampoline_kernelINS0_14default_configENS1_25partition_config_selectorILNS1_17partition_subalgoE8ElNS0_10empty_typeEbEEZZNS1_14partition_implILS5_8ELb0ES3_jPlPS6_PKS6_NS0_5tupleIJS9_S6_EEENSD_IJSA_SA_EEENS0_18inequality_wrapperIZN2at6native12_GLOBAL__N_124unique_dim_cuda_templateItEESt5tupleIJNSH_6TensorESM_SM_EERKSM_lbbbEUlllE0_EEPmJS6_EEE10hipError_tPvRmT3_T4_T5_T6_T7_T9_mT8_P12ihipStream_tbDpT10_ENKUlT_T0_E_clISt17integral_constantIbLb0EES1C_EEDaS17_S18_EUlS17_E_NS1_11comp_targetILNS1_3genE0ELNS1_11target_archE4294967295ELNS1_3gpuE0ELNS1_3repE0EEENS1_30default_config_static_selectorELNS0_4arch9wavefront6targetE1EEEvT1_, .Lfunc_end1428-_ZN7rocprim17ROCPRIM_400000_NS6detail17trampoline_kernelINS0_14default_configENS1_25partition_config_selectorILNS1_17partition_subalgoE8ElNS0_10empty_typeEbEEZZNS1_14partition_implILS5_8ELb0ES3_jPlPS6_PKS6_NS0_5tupleIJS9_S6_EEENSD_IJSA_SA_EEENS0_18inequality_wrapperIZN2at6native12_GLOBAL__N_124unique_dim_cuda_templateItEESt5tupleIJNSH_6TensorESM_SM_EERKSM_lbbbEUlllE0_EEPmJS6_EEE10hipError_tPvRmT3_T4_T5_T6_T7_T9_mT8_P12ihipStream_tbDpT10_ENKUlT_T0_E_clISt17integral_constantIbLb0EES1C_EEDaS17_S18_EUlS17_E_NS1_11comp_targetILNS1_3genE0ELNS1_11target_archE4294967295ELNS1_3gpuE0ELNS1_3repE0EEENS1_30default_config_static_selectorELNS0_4arch9wavefront6targetE1EEEvT1_
                                        ; -- End function
	.section	.AMDGPU.csdata,"",@progbits
; Kernel info:
; codeLenInByte = 0
; NumSgprs: 6
; NumVgprs: 0
; NumAgprs: 0
; TotalNumVgprs: 0
; ScratchSize: 0
; MemoryBound: 0
; FloatMode: 240
; IeeeMode: 1
; LDSByteSize: 0 bytes/workgroup (compile time only)
; SGPRBlocks: 0
; VGPRBlocks: 0
; NumSGPRsForWavesPerEU: 6
; NumVGPRsForWavesPerEU: 1
; AccumOffset: 4
; Occupancy: 8
; WaveLimiterHint : 0
; COMPUTE_PGM_RSRC2:SCRATCH_EN: 0
; COMPUTE_PGM_RSRC2:USER_SGPR: 2
; COMPUTE_PGM_RSRC2:TRAP_HANDLER: 0
; COMPUTE_PGM_RSRC2:TGID_X_EN: 1
; COMPUTE_PGM_RSRC2:TGID_Y_EN: 0
; COMPUTE_PGM_RSRC2:TGID_Z_EN: 0
; COMPUTE_PGM_RSRC2:TIDIG_COMP_CNT: 0
; COMPUTE_PGM_RSRC3_GFX90A:ACCUM_OFFSET: 0
; COMPUTE_PGM_RSRC3_GFX90A:TG_SPLIT: 0
	.section	.text._ZN7rocprim17ROCPRIM_400000_NS6detail17trampoline_kernelINS0_14default_configENS1_25partition_config_selectorILNS1_17partition_subalgoE8ElNS0_10empty_typeEbEEZZNS1_14partition_implILS5_8ELb0ES3_jPlPS6_PKS6_NS0_5tupleIJS9_S6_EEENSD_IJSA_SA_EEENS0_18inequality_wrapperIZN2at6native12_GLOBAL__N_124unique_dim_cuda_templateItEESt5tupleIJNSH_6TensorESM_SM_EERKSM_lbbbEUlllE0_EEPmJS6_EEE10hipError_tPvRmT3_T4_T5_T6_T7_T9_mT8_P12ihipStream_tbDpT10_ENKUlT_T0_E_clISt17integral_constantIbLb0EES1C_EEDaS17_S18_EUlS17_E_NS1_11comp_targetILNS1_3genE5ELNS1_11target_archE942ELNS1_3gpuE9ELNS1_3repE0EEENS1_30default_config_static_selectorELNS0_4arch9wavefront6targetE1EEEvT1_,"axG",@progbits,_ZN7rocprim17ROCPRIM_400000_NS6detail17trampoline_kernelINS0_14default_configENS1_25partition_config_selectorILNS1_17partition_subalgoE8ElNS0_10empty_typeEbEEZZNS1_14partition_implILS5_8ELb0ES3_jPlPS6_PKS6_NS0_5tupleIJS9_S6_EEENSD_IJSA_SA_EEENS0_18inequality_wrapperIZN2at6native12_GLOBAL__N_124unique_dim_cuda_templateItEESt5tupleIJNSH_6TensorESM_SM_EERKSM_lbbbEUlllE0_EEPmJS6_EEE10hipError_tPvRmT3_T4_T5_T6_T7_T9_mT8_P12ihipStream_tbDpT10_ENKUlT_T0_E_clISt17integral_constantIbLb0EES1C_EEDaS17_S18_EUlS17_E_NS1_11comp_targetILNS1_3genE5ELNS1_11target_archE942ELNS1_3gpuE9ELNS1_3repE0EEENS1_30default_config_static_selectorELNS0_4arch9wavefront6targetE1EEEvT1_,comdat
	.globl	_ZN7rocprim17ROCPRIM_400000_NS6detail17trampoline_kernelINS0_14default_configENS1_25partition_config_selectorILNS1_17partition_subalgoE8ElNS0_10empty_typeEbEEZZNS1_14partition_implILS5_8ELb0ES3_jPlPS6_PKS6_NS0_5tupleIJS9_S6_EEENSD_IJSA_SA_EEENS0_18inequality_wrapperIZN2at6native12_GLOBAL__N_124unique_dim_cuda_templateItEESt5tupleIJNSH_6TensorESM_SM_EERKSM_lbbbEUlllE0_EEPmJS6_EEE10hipError_tPvRmT3_T4_T5_T6_T7_T9_mT8_P12ihipStream_tbDpT10_ENKUlT_T0_E_clISt17integral_constantIbLb0EES1C_EEDaS17_S18_EUlS17_E_NS1_11comp_targetILNS1_3genE5ELNS1_11target_archE942ELNS1_3gpuE9ELNS1_3repE0EEENS1_30default_config_static_selectorELNS0_4arch9wavefront6targetE1EEEvT1_ ; -- Begin function _ZN7rocprim17ROCPRIM_400000_NS6detail17trampoline_kernelINS0_14default_configENS1_25partition_config_selectorILNS1_17partition_subalgoE8ElNS0_10empty_typeEbEEZZNS1_14partition_implILS5_8ELb0ES3_jPlPS6_PKS6_NS0_5tupleIJS9_S6_EEENSD_IJSA_SA_EEENS0_18inequality_wrapperIZN2at6native12_GLOBAL__N_124unique_dim_cuda_templateItEESt5tupleIJNSH_6TensorESM_SM_EERKSM_lbbbEUlllE0_EEPmJS6_EEE10hipError_tPvRmT3_T4_T5_T6_T7_T9_mT8_P12ihipStream_tbDpT10_ENKUlT_T0_E_clISt17integral_constantIbLb0EES1C_EEDaS17_S18_EUlS17_E_NS1_11comp_targetILNS1_3genE5ELNS1_11target_archE942ELNS1_3gpuE9ELNS1_3repE0EEENS1_30default_config_static_selectorELNS0_4arch9wavefront6targetE1EEEvT1_
	.p2align	8
	.type	_ZN7rocprim17ROCPRIM_400000_NS6detail17trampoline_kernelINS0_14default_configENS1_25partition_config_selectorILNS1_17partition_subalgoE8ElNS0_10empty_typeEbEEZZNS1_14partition_implILS5_8ELb0ES3_jPlPS6_PKS6_NS0_5tupleIJS9_S6_EEENSD_IJSA_SA_EEENS0_18inequality_wrapperIZN2at6native12_GLOBAL__N_124unique_dim_cuda_templateItEESt5tupleIJNSH_6TensorESM_SM_EERKSM_lbbbEUlllE0_EEPmJS6_EEE10hipError_tPvRmT3_T4_T5_T6_T7_T9_mT8_P12ihipStream_tbDpT10_ENKUlT_T0_E_clISt17integral_constantIbLb0EES1C_EEDaS17_S18_EUlS17_E_NS1_11comp_targetILNS1_3genE5ELNS1_11target_archE942ELNS1_3gpuE9ELNS1_3repE0EEENS1_30default_config_static_selectorELNS0_4arch9wavefront6targetE1EEEvT1_,@function
_ZN7rocprim17ROCPRIM_400000_NS6detail17trampoline_kernelINS0_14default_configENS1_25partition_config_selectorILNS1_17partition_subalgoE8ElNS0_10empty_typeEbEEZZNS1_14partition_implILS5_8ELb0ES3_jPlPS6_PKS6_NS0_5tupleIJS9_S6_EEENSD_IJSA_SA_EEENS0_18inequality_wrapperIZN2at6native12_GLOBAL__N_124unique_dim_cuda_templateItEESt5tupleIJNSH_6TensorESM_SM_EERKSM_lbbbEUlllE0_EEPmJS6_EEE10hipError_tPvRmT3_T4_T5_T6_T7_T9_mT8_P12ihipStream_tbDpT10_ENKUlT_T0_E_clISt17integral_constantIbLb0EES1C_EEDaS17_S18_EUlS17_E_NS1_11comp_targetILNS1_3genE5ELNS1_11target_archE942ELNS1_3gpuE9ELNS1_3repE0EEENS1_30default_config_static_selectorELNS0_4arch9wavefront6targetE1EEEvT1_: ; @_ZN7rocprim17ROCPRIM_400000_NS6detail17trampoline_kernelINS0_14default_configENS1_25partition_config_selectorILNS1_17partition_subalgoE8ElNS0_10empty_typeEbEEZZNS1_14partition_implILS5_8ELb0ES3_jPlPS6_PKS6_NS0_5tupleIJS9_S6_EEENSD_IJSA_SA_EEENS0_18inequality_wrapperIZN2at6native12_GLOBAL__N_124unique_dim_cuda_templateItEESt5tupleIJNSH_6TensorESM_SM_EERKSM_lbbbEUlllE0_EEPmJS6_EEE10hipError_tPvRmT3_T4_T5_T6_T7_T9_mT8_P12ihipStream_tbDpT10_ENKUlT_T0_E_clISt17integral_constantIbLb0EES1C_EEDaS17_S18_EUlS17_E_NS1_11comp_targetILNS1_3genE5ELNS1_11target_archE942ELNS1_3gpuE9ELNS1_3repE0EEENS1_30default_config_static_selectorELNS0_4arch9wavefront6targetE1EEEvT1_
; %bb.0:
	s_load_dwordx8 s[20:27], s[0:1], 0x40
	s_load_dwordx4 s[4:7], s[0:1], 0x8
	s_load_dwordx4 s[28:31], s[0:1], 0x60
	s_load_dword s3, s[0:1], 0x70
	s_waitcnt lgkmcnt(0)
	v_mov_b32_e32 v2, s24
	s_lshl_b64 s[8:9], s[6:7], 3
	s_add_u32 s12, s4, s8
	s_mul_i32 s8, s3, 0xe00
	s_addc_u32 s13, s5, s9
	s_add_i32 s10, s3, -1
	s_add_i32 s3, s8, s6
	s_sub_i32 s3, s24, s3
	s_add_u32 s8, s6, s8
	s_addc_u32 s9, s7, 0
	v_mov_b32_e32 v3, s25
	s_cmp_eq_u32 s2, s10
	s_load_dwordx2 s[22:23], s[22:23], 0x0
	v_cmp_ge_u64_e32 vcc, s[8:9], v[2:3]
	s_cselect_b64 s[24:25], -1, 0
	s_mul_i32 s4, s2, 0xe00
	s_mov_b32 s5, 0
	s_and_b64 s[8:9], s[24:25], vcc
	s_xor_b64 s[34:35], s[8:9], -1
	s_lshl_b64 s[4:5], s[4:5], 3
	s_add_u32 s4, s12, s4
	s_mov_b64 s[10:11], -1
	s_addc_u32 s5, s13, s5
	s_and_b64 vcc, exec, s[34:35]
	s_cbranch_vccz .LBB1429_2
; %bb.1:
	v_lshlrev_b32_e32 v2, 3, v0
	v_mov_b32_e32 v3, 0
	v_lshl_add_u64 v[4:5], s[4:5], 0, v[2:3]
	v_add_co_u32_e32 v8, vcc, 0x1000, v4
	global_load_dwordx2 v[6:7], v2, s[4:5]
	s_nop 0
	v_addc_co_u32_e32 v9, vcc, 0, v5, vcc
	v_add_co_u32_e32 v10, vcc, 0x2000, v4
	s_mov_b64 s[10:11], 0
	s_nop 0
	v_addc_co_u32_e32 v11, vcc, 0, v5, vcc
	v_add_co_u32_e32 v12, vcc, 0x3000, v4
	s_nop 1
	v_addc_co_u32_e32 v13, vcc, 0, v5, vcc
	v_add_co_u32_e32 v14, vcc, 0x4000, v4
	s_nop 1
	v_addc_co_u32_e32 v15, vcc, 0, v5, vcc
	global_load_dwordx2 v[16:17], v[8:9], off
	global_load_dwordx2 v[18:19], v[10:11], off
	;; [unrolled: 1-line block ×4, first 2 shown]
	v_add_co_u32_e32 v8, vcc, 0x5000, v4
	s_nop 1
	v_addc_co_u32_e32 v9, vcc, 0, v5, vcc
	v_add_co_u32_e32 v4, vcc, 0x6000, v4
	global_load_dwordx2 v[8:9], v[8:9], off
	s_nop 0
	v_addc_co_u32_e32 v5, vcc, 0, v5, vcc
	global_load_dwordx2 v[4:5], v[4:5], off
	s_waitcnt vmcnt(5)
	ds_write2st64_b64 v2, v[6:7], v[16:17] offset1:8
	s_waitcnt vmcnt(3)
	ds_write2st64_b64 v2, v[18:19], v[20:21] offset0:16 offset1:24
	s_waitcnt vmcnt(1)
	ds_write2st64_b64 v2, v[22:23], v[8:9] offset0:32 offset1:40
	s_waitcnt vmcnt(0)
	ds_write_b64 v2, v[4:5] offset:24576
	s_waitcnt lgkmcnt(0)
	s_barrier
.LBB1429_2:
	s_andn2_b64 vcc, exec, s[10:11]
	s_addk_i32 s3, 0xe00
	s_cbranch_vccnz .LBB1429_18
; %bb.3:
	v_cmp_gt_u32_e32 vcc, s3, v0
                                        ; implicit-def: $vgpr2_vgpr3_vgpr4_vgpr5_vgpr6_vgpr7_vgpr8_vgpr9_vgpr10_vgpr11_vgpr12_vgpr13_vgpr14_vgpr15_vgpr16_vgpr17
	s_and_saveexec_b64 s[10:11], vcc
	s_cbranch_execz .LBB1429_5
; %bb.4:
	v_lshlrev_b32_e32 v1, 3, v0
	global_load_dwordx2 v[2:3], v1, s[4:5]
.LBB1429_5:
	s_or_b64 exec, exec, s[10:11]
	v_or_b32_e32 v1, 0x200, v0
	v_cmp_gt_u32_e32 vcc, s3, v1
	s_and_saveexec_b64 s[10:11], vcc
	s_cbranch_execz .LBB1429_7
; %bb.6:
	v_lshlrev_b32_e32 v1, 3, v1
	global_load_dwordx2 v[4:5], v1, s[4:5]
.LBB1429_7:
	s_or_b64 exec, exec, s[10:11]
	v_or_b32_e32 v1, 0x400, v0
	v_cmp_gt_u32_e32 vcc, s3, v1
	;; [unrolled: 9-line block ×6, first 2 shown]
	s_and_saveexec_b64 s[10:11], vcc
	s_cbranch_execz .LBB1429_17
; %bb.16:
	v_lshlrev_b32_e32 v1, 3, v1
	global_load_dwordx2 v[14:15], v1, s[4:5]
.LBB1429_17:
	s_or_b64 exec, exec, s[10:11]
	v_lshlrev_b32_e32 v1, 3, v0
	s_waitcnt vmcnt(0)
	ds_write2st64_b64 v1, v[2:3], v[4:5] offset1:8
	ds_write2st64_b64 v1, v[6:7], v[8:9] offset0:16 offset1:24
	ds_write2st64_b64 v1, v[10:11], v[12:13] offset0:32 offset1:40
	ds_write_b64 v1, v[14:15] offset:24576
	s_waitcnt lgkmcnt(0)
	s_barrier
.LBB1429_18:
	v_mul_u32_u24_e32 v1, 7, v0
	v_lshlrev_b32_e32 v30, 3, v1
	s_waitcnt lgkmcnt(0)
	ds_read2_b64 v[10:13], v30 offset1:1
	ds_read2_b64 v[6:9], v30 offset0:2 offset1:3
	ds_read2_b64 v[2:5], v30 offset0:4 offset1:5
	ds_read_b64 v[14:15], v30 offset:48
	s_cmp_lg_u32 s2, 0
	s_cselect_b64 s[16:17], -1, 0
	s_cmp_lg_u64 s[6:7], 0
	s_cselect_b64 s[6:7], -1, 0
	s_or_b64 s[6:7], s[16:17], s[6:7]
	v_mad_u32_u24 v25, v0, 7, 1
	v_mad_u32_u24 v24, v0, 7, 2
	v_mad_u32_u24 v28, v0, 7, 3
	v_mad_u32_u24 v26, v0, 7, 4
	v_mad_u32_u24 v29, v0, 7, 5
	v_mad_u32_u24 v27, v0, 7, 6
	s_mov_b64 s[10:11], 0
	s_and_b64 vcc, exec, s[6:7]
	v_cmp_gt_i64_e64 s[12:13], s[26:27], 0
	s_waitcnt lgkmcnt(0)
	s_barrier
	s_cbranch_vccz .LBB1429_27
; %bb.19:
	s_add_u32 s4, s4, -8
	s_addc_u32 s5, s5, -1
	s_load_dwordx2 s[6:7], s[4:5], 0x0
	v_cndmask_b32_e64 v16, 0, 1, s[12:13]
	v_lshlrev_b32_e32 v31, 3, v0
	s_and_b64 vcc, exec, s[34:35]
	v_cmp_ne_u32_e64 s[4:5], 1, v16
	ds_write_b64 v31, v[14:15]
	s_cbranch_vccz .LBB1429_29
; %bb.20:
	v_mul_lo_u32 v18, v5, s26
	v_mul_lo_u32 v19, v4, s27
	v_mad_u64_u32 v[16:17], s[12:13], v4, s26, 0
	v_add3_u32 v17, v17, v19, v18
	s_and_b64 vcc, exec, s[4:5]
	v_lshl_add_u64 v[16:17], v[16:17], 1, s[28:29]
	s_cbranch_vccnz .LBB1429_32
; %bb.21:
	v_mul_lo_u32 v20, v15, s26
	v_mul_lo_u32 v21, v14, s27
	v_mad_u64_u32 v[18:19], s[10:11], v14, s26, 0
	v_add3_u32 v19, v19, v21, v20
	v_lshl_add_u64 v[18:19], v[18:19], 1, s[28:29]
	global_load_ushort v20, v[16:17], off
	global_load_ushort v21, v[18:19], off
	s_mov_b64 s[10:11], -1
	s_waitcnt vmcnt(0)
	v_cmp_eq_u16_e32 vcc, v20, v21
	s_and_saveexec_b64 s[12:13], vcc
	s_cbranch_execz .LBB1429_31
; %bb.22:
	s_add_u32 s10, s26, -1
	v_lshl_add_u64 v[18:19], v[18:19], 0, 2
	v_lshl_add_u64 v[20:21], v[16:17], 0, 2
	s_addc_u32 s11, s27, -1
	s_mov_b64 s[14:15], 0
	s_mov_b64 s[36:37], 0
                                        ; implicit-def: $sgpr18_sgpr19
	s_branch .LBB1429_25
.LBB1429_23:                            ;   in Loop: Header=BB1429_25 Depth=1
	global_load_ushort v22, v[20:21], off
	global_load_ushort v23, v[18:19], off
	s_add_u32 s36, s36, 1
	s_addc_u32 s37, s37, 0
	s_andn2_b64 s[18:19], s[18:19], exec
	v_lshl_add_u64 v[18:19], v[18:19], 0, 2
	v_lshl_add_u64 v[20:21], v[20:21], 0, 2
	s_waitcnt vmcnt(0)
	v_cmp_ne_u16_e32 vcc, v22, v23
	s_and_b64 s[38:39], vcc, exec
	s_or_b64 s[18:19], s[18:19], s[38:39]
.LBB1429_24:                            ;   in Loop: Header=BB1429_25 Depth=1
	s_and_b64 s[38:39], exec, s[18:19]
	s_or_b64 s[14:15], s[38:39], s[14:15]
	v_mov_b64_e32 v[22:23], s[36:37]
	s_andn2_b64 exec, exec, s[14:15]
	s_cbranch_execz .LBB1429_30
.LBB1429_25:                            ; =>This Inner Loop Header: Depth=1
	s_or_b64 s[18:19], s[18:19], exec
	s_cmp_eq_u64 s[10:11], s[36:37]
	s_cbranch_scc0 .LBB1429_23
; %bb.26:                               ;   in Loop: Header=BB1429_25 Depth=1
                                        ; implicit-def: $vgpr18_vgpr19
                                        ; implicit-def: $vgpr20_vgpr21
	s_mov_b64 s[36:37], s[26:27]
	s_branch .LBB1429_24
.LBB1429_27:
                                        ; implicit-def: $sgpr18_sgpr19
                                        ; implicit-def: $vgpr34
                                        ; implicit-def: $vgpr33
                                        ; implicit-def: $vgpr32
                                        ; implicit-def: $vgpr20
	s_branch .LBB1429_170
.LBB1429_28:
                                        ; implicit-def: $vgpr16_vgpr17
	s_branch .LBB1429_318
.LBB1429_29:
                                        ; implicit-def: $sgpr18_sgpr19
                                        ; implicit-def: $vgpr34
                                        ; implicit-def: $vgpr33
                                        ; implicit-def: $vgpr32
                                        ; implicit-def: $vgpr20
	s_cbranch_execnz .LBB1429_89
	s_branch .LBB1429_169
.LBB1429_30:
	s_or_b64 exec, exec, s[14:15]
	v_cmp_gt_i64_e32 vcc, s[26:27], v[22:23]
	s_orn2_b64 s[10:11], vcc, exec
.LBB1429_31:
	s_or_b64 exec, exec, s[12:13]
.LBB1429_32:
	v_mul_lo_u32 v20, v3, s26
	v_mul_lo_u32 v21, v2, s27
	v_mad_u64_u32 v[18:19], s[12:13], v2, s26, 0
	v_add3_u32 v19, v19, v21, v20
	s_mov_b64 s[12:13], 0
	s_and_b64 vcc, exec, s[4:5]
	v_lshl_add_u64 v[18:19], v[18:19], 1, s[28:29]
	s_mov_b64 s[14:15], 0
	s_cbranch_vccnz .LBB1429_41
; %bb.33:
	global_load_ushort v20, v[18:19], off
	global_load_ushort v21, v[16:17], off
	s_mov_b64 s[14:15], -1
	s_waitcnt vmcnt(0)
	v_cmp_eq_u16_e32 vcc, v20, v21
	s_and_saveexec_b64 s[18:19], vcc
	s_cbranch_execz .LBB1429_40
; %bb.34:
	s_add_u32 s14, s26, -1
	v_lshl_add_u64 v[16:17], v[16:17], 0, 2
	v_lshl_add_u64 v[20:21], v[18:19], 0, 2
	s_addc_u32 s15, s27, -1
	s_mov_b64 s[36:37], 0
	s_mov_b64 s[40:41], 0
                                        ; implicit-def: $sgpr38_sgpr39
	s_branch .LBB1429_37
.LBB1429_35:                            ;   in Loop: Header=BB1429_37 Depth=1
	global_load_ushort v22, v[20:21], off
	global_load_ushort v23, v[16:17], off
	s_add_u32 s40, s40, 1
	s_addc_u32 s41, s41, 0
	s_andn2_b64 s[38:39], s[38:39], exec
	v_lshl_add_u64 v[16:17], v[16:17], 0, 2
	v_lshl_add_u64 v[20:21], v[20:21], 0, 2
	s_waitcnt vmcnt(0)
	v_cmp_ne_u16_e32 vcc, v22, v23
	s_and_b64 s[42:43], vcc, exec
	s_or_b64 s[38:39], s[38:39], s[42:43]
.LBB1429_36:                            ;   in Loop: Header=BB1429_37 Depth=1
	s_and_b64 s[42:43], exec, s[38:39]
	s_or_b64 s[36:37], s[42:43], s[36:37]
	v_mov_b64_e32 v[22:23], s[40:41]
	s_andn2_b64 exec, exec, s[36:37]
	s_cbranch_execz .LBB1429_39
.LBB1429_37:                            ; =>This Inner Loop Header: Depth=1
	s_or_b64 s[38:39], s[38:39], exec
	s_cmp_eq_u64 s[14:15], s[40:41]
	s_cbranch_scc0 .LBB1429_35
; %bb.38:                               ;   in Loop: Header=BB1429_37 Depth=1
                                        ; implicit-def: $vgpr16_vgpr17
                                        ; implicit-def: $vgpr20_vgpr21
	s_mov_b64 s[40:41], s[26:27]
	s_branch .LBB1429_36
.LBB1429_39:
	s_or_b64 exec, exec, s[36:37]
	v_cmp_gt_i64_e32 vcc, s[26:27], v[22:23]
	s_orn2_b64 s[14:15], vcc, exec
.LBB1429_40:
	s_or_b64 exec, exec, s[18:19]
.LBB1429_41:
	v_mul_lo_u32 v20, v9, s26
	v_mul_lo_u32 v21, v8, s27
	v_mad_u64_u32 v[16:17], s[18:19], v8, s26, 0
	v_add3_u32 v17, v17, v21, v20
	s_and_b64 vcc, exec, s[4:5]
	v_lshl_add_u64 v[16:17], v[16:17], 1, s[28:29]
	s_cbranch_vccnz .LBB1429_50
; %bb.42:
	global_load_ushort v20, v[16:17], off
	global_load_ushort v21, v[18:19], off
	s_mov_b64 s[12:13], -1
	s_waitcnt vmcnt(0)
	v_cmp_eq_u16_e32 vcc, v20, v21
	s_and_saveexec_b64 s[18:19], vcc
	s_cbranch_execz .LBB1429_49
; %bb.43:
	s_add_u32 s12, s26, -1
	v_lshl_add_u64 v[18:19], v[18:19], 0, 2
	v_lshl_add_u64 v[20:21], v[16:17], 0, 2
	s_addc_u32 s13, s27, -1
	s_mov_b64 s[36:37], 0
	s_mov_b64 s[40:41], 0
                                        ; implicit-def: $sgpr38_sgpr39
	s_branch .LBB1429_46
.LBB1429_44:                            ;   in Loop: Header=BB1429_46 Depth=1
	global_load_ushort v22, v[20:21], off
	global_load_ushort v23, v[18:19], off
	s_add_u32 s40, s40, 1
	s_addc_u32 s41, s41, 0
	s_andn2_b64 s[38:39], s[38:39], exec
	v_lshl_add_u64 v[18:19], v[18:19], 0, 2
	v_lshl_add_u64 v[20:21], v[20:21], 0, 2
	s_waitcnt vmcnt(0)
	v_cmp_ne_u16_e32 vcc, v22, v23
	s_and_b64 s[42:43], vcc, exec
	s_or_b64 s[38:39], s[38:39], s[42:43]
.LBB1429_45:                            ;   in Loop: Header=BB1429_46 Depth=1
	s_and_b64 s[42:43], exec, s[38:39]
	s_or_b64 s[36:37], s[42:43], s[36:37]
	v_mov_b64_e32 v[22:23], s[40:41]
	s_andn2_b64 exec, exec, s[36:37]
	s_cbranch_execz .LBB1429_48
.LBB1429_46:                            ; =>This Inner Loop Header: Depth=1
	s_or_b64 s[38:39], s[38:39], exec
	s_cmp_eq_u64 s[12:13], s[40:41]
	s_cbranch_scc0 .LBB1429_44
; %bb.47:                               ;   in Loop: Header=BB1429_46 Depth=1
                                        ; implicit-def: $vgpr18_vgpr19
                                        ; implicit-def: $vgpr20_vgpr21
	s_mov_b64 s[40:41], s[26:27]
	s_branch .LBB1429_45
.LBB1429_48:
	s_or_b64 exec, exec, s[36:37]
	v_cmp_gt_i64_e32 vcc, s[26:27], v[22:23]
	s_orn2_b64 s[12:13], vcc, exec
.LBB1429_49:
	s_or_b64 exec, exec, s[18:19]
.LBB1429_50:
	v_mul_lo_u32 v20, v7, s26
	v_mul_lo_u32 v21, v6, s27
	v_mad_u64_u32 v[18:19], s[18:19], v6, s26, 0
	v_add3_u32 v19, v19, v21, v20
	s_mov_b64 s[18:19], 0
	s_and_b64 vcc, exec, s[4:5]
	v_lshl_add_u64 v[20:21], v[18:19], 1, s[28:29]
	s_mov_b64 s[36:37], 0
	s_cbranch_vccnz .LBB1429_59
; %bb.51:
	global_load_ushort v18, v[20:21], off
	global_load_ushort v19, v[16:17], off
	s_mov_b64 s[36:37], -1
	s_waitcnt vmcnt(0)
	v_cmp_eq_u16_e32 vcc, v18, v19
	s_and_saveexec_b64 s[38:39], vcc
	s_cbranch_execz .LBB1429_58
; %bb.52:
	s_add_u32 s36, s26, -1
	v_lshl_add_u64 v[16:17], v[16:17], 0, 2
	v_lshl_add_u64 v[18:19], v[20:21], 0, 2
	s_addc_u32 s37, s27, -1
	s_mov_b64 s[40:41], 0
	s_mov_b64 s[44:45], 0
                                        ; implicit-def: $sgpr42_sgpr43
	s_branch .LBB1429_55
.LBB1429_53:                            ;   in Loop: Header=BB1429_55 Depth=1
	global_load_ushort v22, v[18:19], off
	global_load_ushort v23, v[16:17], off
	s_add_u32 s44, s44, 1
	s_addc_u32 s45, s45, 0
	s_andn2_b64 s[42:43], s[42:43], exec
	v_lshl_add_u64 v[16:17], v[16:17], 0, 2
	v_lshl_add_u64 v[18:19], v[18:19], 0, 2
	s_waitcnt vmcnt(0)
	v_cmp_ne_u16_e32 vcc, v22, v23
	s_and_b64 s[46:47], vcc, exec
	s_or_b64 s[42:43], s[42:43], s[46:47]
.LBB1429_54:                            ;   in Loop: Header=BB1429_55 Depth=1
	s_and_b64 s[46:47], exec, s[42:43]
	s_or_b64 s[40:41], s[46:47], s[40:41]
	v_mov_b64_e32 v[22:23], s[44:45]
	s_andn2_b64 exec, exec, s[40:41]
	s_cbranch_execz .LBB1429_57
.LBB1429_55:                            ; =>This Inner Loop Header: Depth=1
	s_or_b64 s[42:43], s[42:43], exec
	s_cmp_eq_u64 s[36:37], s[44:45]
	s_cbranch_scc0 .LBB1429_53
; %bb.56:                               ;   in Loop: Header=BB1429_55 Depth=1
                                        ; implicit-def: $vgpr16_vgpr17
                                        ; implicit-def: $vgpr18_vgpr19
	s_mov_b64 s[44:45], s[26:27]
	s_branch .LBB1429_54
.LBB1429_57:
	s_or_b64 exec, exec, s[40:41]
	v_cmp_gt_i64_e32 vcc, s[26:27], v[22:23]
	s_orn2_b64 s[36:37], vcc, exec
.LBB1429_58:
	s_or_b64 exec, exec, s[38:39]
.LBB1429_59:
	v_mul_lo_u32 v18, v13, s26
	v_mul_lo_u32 v19, v12, s27
	v_mad_u64_u32 v[16:17], s[38:39], v12, s26, 0
	v_add3_u32 v17, v17, v19, v18
	s_and_b64 vcc, exec, s[4:5]
	v_lshl_add_u64 v[18:19], v[16:17], 1, s[28:29]
	s_cbranch_vccnz .LBB1429_68
; %bb.60:
	global_load_ushort v16, v[18:19], off
	global_load_ushort v17, v[20:21], off
	s_mov_b64 s[18:19], -1
	s_waitcnt vmcnt(0)
	v_cmp_eq_u16_e32 vcc, v16, v17
	s_and_saveexec_b64 s[38:39], vcc
	s_cbranch_execz .LBB1429_67
; %bb.61:
	s_add_u32 s18, s26, -1
	v_lshl_add_u64 v[16:17], v[20:21], 0, 2
	v_lshl_add_u64 v[20:21], v[18:19], 0, 2
	s_addc_u32 s19, s27, -1
	s_mov_b64 s[40:41], 0
	s_mov_b64 s[44:45], 0
                                        ; implicit-def: $sgpr42_sgpr43
	s_branch .LBB1429_64
.LBB1429_62:                            ;   in Loop: Header=BB1429_64 Depth=1
	global_load_ushort v22, v[20:21], off
	global_load_ushort v23, v[16:17], off
	s_add_u32 s44, s44, 1
	s_addc_u32 s45, s45, 0
	s_andn2_b64 s[42:43], s[42:43], exec
	v_lshl_add_u64 v[16:17], v[16:17], 0, 2
	v_lshl_add_u64 v[20:21], v[20:21], 0, 2
	s_waitcnt vmcnt(0)
	v_cmp_ne_u16_e32 vcc, v22, v23
	s_and_b64 s[46:47], vcc, exec
	s_or_b64 s[42:43], s[42:43], s[46:47]
.LBB1429_63:                            ;   in Loop: Header=BB1429_64 Depth=1
	s_and_b64 s[46:47], exec, s[42:43]
	s_or_b64 s[40:41], s[46:47], s[40:41]
	v_mov_b64_e32 v[22:23], s[44:45]
	s_andn2_b64 exec, exec, s[40:41]
	s_cbranch_execz .LBB1429_66
.LBB1429_64:                            ; =>This Inner Loop Header: Depth=1
	s_or_b64 s[42:43], s[42:43], exec
	s_cmp_eq_u64 s[18:19], s[44:45]
	s_cbranch_scc0 .LBB1429_62
; %bb.65:                               ;   in Loop: Header=BB1429_64 Depth=1
                                        ; implicit-def: $vgpr16_vgpr17
                                        ; implicit-def: $vgpr20_vgpr21
	s_mov_b64 s[44:45], s[26:27]
	s_branch .LBB1429_63
.LBB1429_66:
	s_or_b64 exec, exec, s[40:41]
	v_cmp_gt_i64_e32 vcc, s[26:27], v[22:23]
	s_orn2_b64 s[18:19], vcc, exec
.LBB1429_67:
	s_or_b64 exec, exec, s[38:39]
.LBB1429_68:
	v_mul_lo_u32 v20, v11, s26
	v_mul_lo_u32 v21, v10, s27
	v_mad_u64_u32 v[16:17], s[38:39], v10, s26, 0
	v_add3_u32 v17, v17, v21, v20
	s_mov_b64 s[40:41], 0
	s_and_b64 vcc, exec, s[4:5]
	v_lshl_add_u64 v[16:17], v[16:17], 1, s[28:29]
	s_cbranch_vccnz .LBB1429_77
; %bb.69:
	global_load_ushort v20, v[16:17], off
	global_load_ushort v21, v[18:19], off
	s_mov_b64 s[40:41], -1
	s_waitcnt vmcnt(0)
	v_cmp_eq_u16_e32 vcc, v20, v21
	s_and_saveexec_b64 s[38:39], vcc
	s_cbranch_execz .LBB1429_76
; %bb.70:
	s_add_u32 s40, s26, -1
	v_lshl_add_u64 v[18:19], v[18:19], 0, 2
	v_lshl_add_u64 v[20:21], v[16:17], 0, 2
	s_addc_u32 s41, s27, -1
	s_mov_b64 s[42:43], 0
	s_mov_b64 s[46:47], 0
                                        ; implicit-def: $sgpr44_sgpr45
	s_branch .LBB1429_73
.LBB1429_71:                            ;   in Loop: Header=BB1429_73 Depth=1
	global_load_ushort v22, v[20:21], off
	global_load_ushort v23, v[18:19], off
	s_add_u32 s46, s46, 1
	s_addc_u32 s47, s47, 0
	s_andn2_b64 s[44:45], s[44:45], exec
	v_lshl_add_u64 v[18:19], v[18:19], 0, 2
	v_lshl_add_u64 v[20:21], v[20:21], 0, 2
	s_waitcnt vmcnt(0)
	v_cmp_ne_u16_e32 vcc, v22, v23
	s_and_b64 s[48:49], vcc, exec
	s_or_b64 s[44:45], s[44:45], s[48:49]
.LBB1429_72:                            ;   in Loop: Header=BB1429_73 Depth=1
	s_and_b64 s[48:49], exec, s[44:45]
	s_or_b64 s[42:43], s[48:49], s[42:43]
	v_mov_b64_e32 v[22:23], s[46:47]
	s_andn2_b64 exec, exec, s[42:43]
	s_cbranch_execz .LBB1429_75
.LBB1429_73:                            ; =>This Inner Loop Header: Depth=1
	s_or_b64 s[44:45], s[44:45], exec
	s_cmp_eq_u64 s[40:41], s[46:47]
	s_cbranch_scc0 .LBB1429_71
; %bb.74:                               ;   in Loop: Header=BB1429_73 Depth=1
                                        ; implicit-def: $vgpr18_vgpr19
                                        ; implicit-def: $vgpr20_vgpr21
	s_mov_b64 s[46:47], s[26:27]
	s_branch .LBB1429_72
.LBB1429_75:
	s_or_b64 exec, exec, s[42:43]
	v_cmp_gt_i64_e32 vcc, s[26:27], v[22:23]
	s_orn2_b64 s[40:41], vcc, exec
.LBB1429_76:
	s_or_b64 exec, exec, s[38:39]
.LBB1429_77:
	v_cmp_ne_u32_e32 vcc, 0, v0
	s_waitcnt lgkmcnt(0)
	v_mov_b64_e32 v[18:19], s[6:7]
	s_barrier
	s_and_saveexec_b64 s[38:39], vcc
	s_cbranch_execz .LBB1429_79
; %bb.78:
	v_add_u32_e32 v18, -8, v31
	ds_read_b64 v[18:19], v18
.LBB1429_79:
	s_or_b64 exec, exec, s[38:39]
	v_cndmask_b32_e64 v21, 0, 1, s[36:37]
	v_cndmask_b32_e64 v20, 0, 1, s[18:19]
	;; [unrolled: 1-line block ×3, first 2 shown]
	v_lshlrev_b16_e32 v21, 8, v21
	v_lshlrev_b16_e32 v22, 8, v22
	v_or_b32_sdwa v23, v20, v21 dst_sel:WORD_1 dst_unused:UNUSED_PAD src0_sel:DWORD src1_sel:DWORD
	s_mov_b64 s[36:37], 0
	s_and_b64 vcc, exec, s[4:5]
	s_mov_b64 s[18:19], 0
	s_cbranch_vccnz .LBB1429_88
; %bb.80:
	s_waitcnt lgkmcnt(0)
	v_mul_lo_u32 v20, v19, s26
	v_mul_lo_u32 v21, v18, s27
	v_mad_u64_u32 v[18:19], s[18:19], v18, s26, 0
	v_add3_u32 v19, v19, v21, v20
	v_lshl_add_u64 v[18:19], v[18:19], 1, s[28:29]
	global_load_ushort v20, v[18:19], off
	global_load_ushort v21, v[16:17], off
	s_mov_b64 s[18:19], -1
	s_waitcnt vmcnt(0)
	v_cmp_eq_u16_e32 vcc, v20, v21
	s_and_saveexec_b64 s[38:39], vcc
	s_cbranch_execz .LBB1429_87
; %bb.81:
	s_add_u32 s18, s26, -1
	v_lshl_add_u64 v[16:17], v[16:17], 0, 2
	v_lshl_add_u64 v[18:19], v[18:19], 0, 2
	s_addc_u32 s19, s27, -1
	s_mov_b64 s[40:41], 0
	s_mov_b64 s[44:45], 0
                                        ; implicit-def: $sgpr42_sgpr43
	s_branch .LBB1429_84
.LBB1429_82:                            ;   in Loop: Header=BB1429_84 Depth=1
	global_load_ushort v20, v[18:19], off
	global_load_ushort v21, v[16:17], off
	s_add_u32 s44, s44, 1
	s_addc_u32 s45, s45, 0
	s_andn2_b64 s[42:43], s[42:43], exec
	v_lshl_add_u64 v[16:17], v[16:17], 0, 2
	v_lshl_add_u64 v[18:19], v[18:19], 0, 2
	s_waitcnt vmcnt(0)
	v_cmp_ne_u16_e32 vcc, v20, v21
	s_and_b64 s[46:47], vcc, exec
	s_or_b64 s[42:43], s[42:43], s[46:47]
.LBB1429_83:                            ;   in Loop: Header=BB1429_84 Depth=1
	s_and_b64 s[46:47], exec, s[42:43]
	s_or_b64 s[40:41], s[46:47], s[40:41]
	v_mov_b64_e32 v[20:21], s[44:45]
	s_andn2_b64 exec, exec, s[40:41]
	s_cbranch_execz .LBB1429_86
.LBB1429_84:                            ; =>This Inner Loop Header: Depth=1
	s_or_b64 s[42:43], s[42:43], exec
	s_cmp_eq_u64 s[18:19], s[44:45]
	s_cbranch_scc0 .LBB1429_82
; %bb.85:                               ;   in Loop: Header=BB1429_84 Depth=1
                                        ; implicit-def: $vgpr16_vgpr17
                                        ; implicit-def: $vgpr18_vgpr19
	s_mov_b64 s[44:45], s[26:27]
	s_branch .LBB1429_83
.LBB1429_86:
	s_or_b64 exec, exec, s[40:41]
	v_cmp_gt_i64_e32 vcc, s[26:27], v[20:21]
	s_orn2_b64 s[18:19], vcc, exec
.LBB1429_87:
	s_or_b64 exec, exec, s[38:39]
.LBB1429_88:
	v_cndmask_b32_e64 v32, 0, 1, s[12:13]
	v_cndmask_b32_e64 v33, 0, 1, s[14:15]
	;; [unrolled: 1-line block ×3, first 2 shown]
	v_or_b32_e32 v20, v22, v23
	s_and_b64 vcc, exec, s[36:37]
	s_cbranch_vccz .LBB1429_169
.LBB1429_89:
	v_cmp_gt_u32_e32 vcc, s3, v27
	s_mov_b64 s[12:13], 0
	s_mov_b64 s[10:11], 0
	s_and_saveexec_b64 s[14:15], vcc
	s_cbranch_execz .LBB1429_100
; %bb.90:
	s_and_b64 vcc, exec, s[4:5]
	s_mov_b64 s[18:19], 0
	s_cbranch_vccnz .LBB1429_99
; %bb.91:
	s_waitcnt lgkmcnt(0)
	v_mul_lo_u32 v18, v5, s26
	v_mul_lo_u32 v19, v4, s27
	v_mad_u64_u32 v[16:17], s[10:11], v4, s26, 0
	v_add3_u32 v17, v17, v19, v18
	v_mul_lo_u32 v18, v15, s26
	v_mul_lo_u32 v19, v14, s27
	v_mad_u64_u32 v[20:21], s[10:11], v14, s26, 0
	v_add3_u32 v21, v21, v19, v18
	v_lshl_add_u64 v[18:19], v[16:17], 1, s[28:29]
	v_lshl_add_u64 v[16:17], v[20:21], 1, s[28:29]
	global_load_ushort v20, v[18:19], off
	global_load_ushort v21, v[16:17], off
	s_mov_b64 s[18:19], -1
	s_waitcnt vmcnt(0)
	v_cmp_eq_u16_e32 vcc, v20, v21
	s_and_saveexec_b64 s[10:11], vcc
	s_cbranch_execz .LBB1429_98
; %bb.92:
	s_add_u32 s18, s26, -1
	v_lshl_add_u64 v[16:17], v[16:17], 0, 2
	v_lshl_add_u64 v[18:19], v[18:19], 0, 2
	s_addc_u32 s19, s27, -1
	s_mov_b64 s[36:37], 0
	s_mov_b64 s[40:41], 0
                                        ; implicit-def: $sgpr38_sgpr39
	s_branch .LBB1429_95
.LBB1429_93:                            ;   in Loop: Header=BB1429_95 Depth=1
	global_load_ushort v20, v[18:19], off
	global_load_ushort v21, v[16:17], off
	s_add_u32 s40, s40, 1
	s_addc_u32 s41, s41, 0
	s_andn2_b64 s[38:39], s[38:39], exec
	v_lshl_add_u64 v[16:17], v[16:17], 0, 2
	v_lshl_add_u64 v[18:19], v[18:19], 0, 2
	s_waitcnt vmcnt(0)
	v_cmp_ne_u16_e32 vcc, v20, v21
	s_and_b64 s[42:43], vcc, exec
	s_or_b64 s[38:39], s[38:39], s[42:43]
.LBB1429_94:                            ;   in Loop: Header=BB1429_95 Depth=1
	s_and_b64 s[42:43], exec, s[38:39]
	s_or_b64 s[36:37], s[42:43], s[36:37]
	v_mov_b64_e32 v[20:21], s[40:41]
	s_andn2_b64 exec, exec, s[36:37]
	s_cbranch_execz .LBB1429_97
.LBB1429_95:                            ; =>This Inner Loop Header: Depth=1
	s_or_b64 s[38:39], s[38:39], exec
	s_cmp_eq_u64 s[18:19], s[40:41]
	s_cbranch_scc0 .LBB1429_93
; %bb.96:                               ;   in Loop: Header=BB1429_95 Depth=1
                                        ; implicit-def: $vgpr16_vgpr17
                                        ; implicit-def: $vgpr18_vgpr19
	s_mov_b64 s[40:41], s[26:27]
	s_branch .LBB1429_94
.LBB1429_97:
	s_or_b64 exec, exec, s[36:37]
	v_cmp_gt_i64_e32 vcc, s[26:27], v[20:21]
	s_orn2_b64 s[18:19], vcc, exec
.LBB1429_98:
	s_or_b64 exec, exec, s[10:11]
.LBB1429_99:
	s_and_b64 s[10:11], s[18:19], exec
.LBB1429_100:
	s_or_b64 exec, exec, s[14:15]
	v_cmp_gt_u32_e32 vcc, s3, v29
	s_and_saveexec_b64 s[14:15], vcc
	s_cbranch_execz .LBB1429_111
; %bb.101:
	s_and_b64 vcc, exec, s[4:5]
	s_mov_b64 s[18:19], 0
	s_cbranch_vccnz .LBB1429_110
; %bb.102:
	s_waitcnt lgkmcnt(0)
	v_mul_lo_u32 v18, v3, s26
	v_mul_lo_u32 v19, v2, s27
	v_mad_u64_u32 v[16:17], s[12:13], v2, s26, 0
	v_add3_u32 v17, v17, v19, v18
	v_mul_lo_u32 v18, v5, s26
	v_mul_lo_u32 v19, v4, s27
	v_mad_u64_u32 v[20:21], s[12:13], v4, s26, 0
	v_add3_u32 v21, v21, v19, v18
	v_lshl_add_u64 v[18:19], v[16:17], 1, s[28:29]
	v_lshl_add_u64 v[16:17], v[20:21], 1, s[28:29]
	global_load_ushort v20, v[18:19], off
	global_load_ushort v21, v[16:17], off
	s_mov_b64 s[18:19], -1
	s_waitcnt vmcnt(0)
	v_cmp_eq_u16_e32 vcc, v20, v21
	s_and_saveexec_b64 s[12:13], vcc
	s_cbranch_execz .LBB1429_109
; %bb.103:
	s_add_u32 s18, s26, -1
	v_lshl_add_u64 v[16:17], v[16:17], 0, 2
	v_lshl_add_u64 v[18:19], v[18:19], 0, 2
	s_addc_u32 s19, s27, -1
	s_mov_b64 s[36:37], 0
	s_mov_b64 s[40:41], 0
                                        ; implicit-def: $sgpr38_sgpr39
	s_branch .LBB1429_106
.LBB1429_104:                           ;   in Loop: Header=BB1429_106 Depth=1
	global_load_ushort v20, v[18:19], off
	global_load_ushort v21, v[16:17], off
	s_add_u32 s40, s40, 1
	s_addc_u32 s41, s41, 0
	s_andn2_b64 s[38:39], s[38:39], exec
	v_lshl_add_u64 v[16:17], v[16:17], 0, 2
	v_lshl_add_u64 v[18:19], v[18:19], 0, 2
	s_waitcnt vmcnt(0)
	v_cmp_ne_u16_e32 vcc, v20, v21
	s_and_b64 s[42:43], vcc, exec
	s_or_b64 s[38:39], s[38:39], s[42:43]
.LBB1429_105:                           ;   in Loop: Header=BB1429_106 Depth=1
	s_and_b64 s[42:43], exec, s[38:39]
	s_or_b64 s[36:37], s[42:43], s[36:37]
	v_mov_b64_e32 v[20:21], s[40:41]
	s_andn2_b64 exec, exec, s[36:37]
	s_cbranch_execz .LBB1429_108
.LBB1429_106:                           ; =>This Inner Loop Header: Depth=1
	s_or_b64 s[38:39], s[38:39], exec
	s_cmp_eq_u64 s[18:19], s[40:41]
	s_cbranch_scc0 .LBB1429_104
; %bb.107:                              ;   in Loop: Header=BB1429_106 Depth=1
                                        ; implicit-def: $vgpr16_vgpr17
                                        ; implicit-def: $vgpr18_vgpr19
	s_mov_b64 s[40:41], s[26:27]
	s_branch .LBB1429_105
.LBB1429_108:
	s_or_b64 exec, exec, s[36:37]
	v_cmp_gt_i64_e32 vcc, s[26:27], v[20:21]
	s_orn2_b64 s[18:19], vcc, exec
.LBB1429_109:
	s_or_b64 exec, exec, s[12:13]
.LBB1429_110:
	s_and_b64 s[12:13], s[18:19], exec
.LBB1429_111:
	s_or_b64 exec, exec, s[14:15]
	v_cmp_gt_u32_e32 vcc, s3, v26
	s_mov_b64 s[18:19], 0
	s_mov_b64 s[14:15], 0
	s_and_saveexec_b64 s[36:37], vcc
	s_cbranch_execz .LBB1429_122
; %bb.112:
	s_and_b64 vcc, exec, s[4:5]
	s_mov_b64 s[38:39], 0
	s_cbranch_vccnz .LBB1429_121
; %bb.113:
	s_waitcnt lgkmcnt(0)
	v_mul_lo_u32 v18, v9, s26
	v_mul_lo_u32 v19, v8, s27
	v_mad_u64_u32 v[16:17], s[14:15], v8, s26, 0
	v_add3_u32 v17, v17, v19, v18
	v_mul_lo_u32 v18, v3, s26
	v_mul_lo_u32 v19, v2, s27
	v_mad_u64_u32 v[20:21], s[14:15], v2, s26, 0
	v_add3_u32 v21, v21, v19, v18
	v_lshl_add_u64 v[18:19], v[16:17], 1, s[28:29]
	v_lshl_add_u64 v[16:17], v[20:21], 1, s[28:29]
	global_load_ushort v20, v[18:19], off
	global_load_ushort v21, v[16:17], off
	s_mov_b64 s[38:39], -1
	s_waitcnt vmcnt(0)
	v_cmp_eq_u16_e32 vcc, v20, v21
	s_and_saveexec_b64 s[14:15], vcc
	s_cbranch_execz .LBB1429_120
; %bb.114:
	s_add_u32 s38, s26, -1
	v_lshl_add_u64 v[16:17], v[16:17], 0, 2
	v_lshl_add_u64 v[18:19], v[18:19], 0, 2
	s_addc_u32 s39, s27, -1
	s_mov_b64 s[40:41], 0
	s_mov_b64 s[44:45], 0
                                        ; implicit-def: $sgpr42_sgpr43
	s_branch .LBB1429_117
.LBB1429_115:                           ;   in Loop: Header=BB1429_117 Depth=1
	global_load_ushort v20, v[18:19], off
	global_load_ushort v21, v[16:17], off
	s_add_u32 s44, s44, 1
	s_addc_u32 s45, s45, 0
	s_andn2_b64 s[42:43], s[42:43], exec
	v_lshl_add_u64 v[16:17], v[16:17], 0, 2
	v_lshl_add_u64 v[18:19], v[18:19], 0, 2
	s_waitcnt vmcnt(0)
	v_cmp_ne_u16_e32 vcc, v20, v21
	s_and_b64 s[46:47], vcc, exec
	s_or_b64 s[42:43], s[42:43], s[46:47]
.LBB1429_116:                           ;   in Loop: Header=BB1429_117 Depth=1
	s_and_b64 s[46:47], exec, s[42:43]
	s_or_b64 s[40:41], s[46:47], s[40:41]
	v_mov_b64_e32 v[20:21], s[44:45]
	s_andn2_b64 exec, exec, s[40:41]
	s_cbranch_execz .LBB1429_119
.LBB1429_117:                           ; =>This Inner Loop Header: Depth=1
	s_or_b64 s[42:43], s[42:43], exec
	s_cmp_eq_u64 s[38:39], s[44:45]
	s_cbranch_scc0 .LBB1429_115
; %bb.118:                              ;   in Loop: Header=BB1429_117 Depth=1
                                        ; implicit-def: $vgpr16_vgpr17
                                        ; implicit-def: $vgpr18_vgpr19
	s_mov_b64 s[44:45], s[26:27]
	s_branch .LBB1429_116
.LBB1429_119:
	s_or_b64 exec, exec, s[40:41]
	v_cmp_gt_i64_e32 vcc, s[26:27], v[20:21]
	s_orn2_b64 s[38:39], vcc, exec
.LBB1429_120:
	s_or_b64 exec, exec, s[14:15]
.LBB1429_121:
	s_and_b64 s[14:15], s[38:39], exec
.LBB1429_122:
	s_or_b64 exec, exec, s[36:37]
	v_cmp_gt_u32_e32 vcc, s3, v28
	s_and_saveexec_b64 s[36:37], vcc
	s_cbranch_execz .LBB1429_133
; %bb.123:
	s_and_b64 vcc, exec, s[4:5]
	s_mov_b64 s[38:39], 0
	s_cbranch_vccnz .LBB1429_132
; %bb.124:
	s_waitcnt lgkmcnt(0)
	v_mul_lo_u32 v18, v7, s26
	v_mul_lo_u32 v19, v6, s27
	v_mad_u64_u32 v[16:17], s[18:19], v6, s26, 0
	v_add3_u32 v17, v17, v19, v18
	v_mul_lo_u32 v18, v9, s26
	v_mul_lo_u32 v19, v8, s27
	v_mad_u64_u32 v[20:21], s[18:19], v8, s26, 0
	v_add3_u32 v21, v21, v19, v18
	v_lshl_add_u64 v[18:19], v[16:17], 1, s[28:29]
	v_lshl_add_u64 v[16:17], v[20:21], 1, s[28:29]
	global_load_ushort v20, v[18:19], off
	global_load_ushort v21, v[16:17], off
	s_mov_b64 s[38:39], -1
	s_waitcnt vmcnt(0)
	v_cmp_eq_u16_e32 vcc, v20, v21
	s_and_saveexec_b64 s[18:19], vcc
	s_cbranch_execz .LBB1429_131
; %bb.125:
	s_add_u32 s38, s26, -1
	v_lshl_add_u64 v[16:17], v[16:17], 0, 2
	v_lshl_add_u64 v[18:19], v[18:19], 0, 2
	s_addc_u32 s39, s27, -1
	s_mov_b64 s[40:41], 0
	s_mov_b64 s[44:45], 0
                                        ; implicit-def: $sgpr42_sgpr43
	s_branch .LBB1429_128
.LBB1429_126:                           ;   in Loop: Header=BB1429_128 Depth=1
	global_load_ushort v20, v[18:19], off
	global_load_ushort v21, v[16:17], off
	s_add_u32 s44, s44, 1
	s_addc_u32 s45, s45, 0
	s_andn2_b64 s[42:43], s[42:43], exec
	v_lshl_add_u64 v[16:17], v[16:17], 0, 2
	v_lshl_add_u64 v[18:19], v[18:19], 0, 2
	s_waitcnt vmcnt(0)
	v_cmp_ne_u16_e32 vcc, v20, v21
	s_and_b64 s[46:47], vcc, exec
	s_or_b64 s[42:43], s[42:43], s[46:47]
.LBB1429_127:                           ;   in Loop: Header=BB1429_128 Depth=1
	s_and_b64 s[46:47], exec, s[42:43]
	s_or_b64 s[40:41], s[46:47], s[40:41]
	v_mov_b64_e32 v[20:21], s[44:45]
	s_andn2_b64 exec, exec, s[40:41]
	s_cbranch_execz .LBB1429_130
.LBB1429_128:                           ; =>This Inner Loop Header: Depth=1
	s_or_b64 s[42:43], s[42:43], exec
	s_cmp_eq_u64 s[38:39], s[44:45]
	s_cbranch_scc0 .LBB1429_126
; %bb.129:                              ;   in Loop: Header=BB1429_128 Depth=1
                                        ; implicit-def: $vgpr16_vgpr17
                                        ; implicit-def: $vgpr18_vgpr19
	s_mov_b64 s[44:45], s[26:27]
	s_branch .LBB1429_127
.LBB1429_130:
	s_or_b64 exec, exec, s[40:41]
	v_cmp_gt_i64_e32 vcc, s[26:27], v[20:21]
	s_orn2_b64 s[38:39], vcc, exec
.LBB1429_131:
	s_or_b64 exec, exec, s[18:19]
.LBB1429_132:
	s_and_b64 s[18:19], s[38:39], exec
.LBB1429_133:
	s_or_b64 exec, exec, s[36:37]
	v_cmp_gt_u32_e32 vcc, s3, v24
	s_mov_b64 s[36:37], 0
	s_mov_b64 s[38:39], 0
	s_and_saveexec_b64 s[40:41], vcc
	s_cbranch_execz .LBB1429_144
; %bb.134:
	s_and_b64 vcc, exec, s[4:5]
	s_mov_b64 s[42:43], 0
	s_cbranch_vccnz .LBB1429_143
; %bb.135:
	s_waitcnt lgkmcnt(0)
	v_mul_lo_u32 v18, v13, s26
	v_mul_lo_u32 v19, v12, s27
	v_mad_u64_u32 v[16:17], s[38:39], v12, s26, 0
	v_add3_u32 v17, v17, v19, v18
	v_mul_lo_u32 v18, v7, s26
	v_mul_lo_u32 v19, v6, s27
	v_mad_u64_u32 v[20:21], s[38:39], v6, s26, 0
	v_add3_u32 v21, v21, v19, v18
	v_lshl_add_u64 v[18:19], v[16:17], 1, s[28:29]
	v_lshl_add_u64 v[16:17], v[20:21], 1, s[28:29]
	global_load_ushort v20, v[18:19], off
	global_load_ushort v21, v[16:17], off
	s_mov_b64 s[42:43], -1
	s_waitcnt vmcnt(0)
	v_cmp_eq_u16_e32 vcc, v20, v21
	s_and_saveexec_b64 s[38:39], vcc
	s_cbranch_execz .LBB1429_142
; %bb.136:
	s_add_u32 s42, s26, -1
	v_lshl_add_u64 v[16:17], v[16:17], 0, 2
	v_lshl_add_u64 v[18:19], v[18:19], 0, 2
	s_addc_u32 s43, s27, -1
	s_mov_b64 s[44:45], 0
	s_mov_b64 s[48:49], 0
                                        ; implicit-def: $sgpr46_sgpr47
	s_branch .LBB1429_139
.LBB1429_137:                           ;   in Loop: Header=BB1429_139 Depth=1
	global_load_ushort v20, v[18:19], off
	global_load_ushort v21, v[16:17], off
	s_add_u32 s48, s48, 1
	s_addc_u32 s49, s49, 0
	s_andn2_b64 s[46:47], s[46:47], exec
	v_lshl_add_u64 v[16:17], v[16:17], 0, 2
	v_lshl_add_u64 v[18:19], v[18:19], 0, 2
	s_waitcnt vmcnt(0)
	v_cmp_ne_u16_e32 vcc, v20, v21
	s_and_b64 s[50:51], vcc, exec
	s_or_b64 s[46:47], s[46:47], s[50:51]
.LBB1429_138:                           ;   in Loop: Header=BB1429_139 Depth=1
	s_and_b64 s[50:51], exec, s[46:47]
	s_or_b64 s[44:45], s[50:51], s[44:45]
	v_mov_b64_e32 v[20:21], s[48:49]
	s_andn2_b64 exec, exec, s[44:45]
	s_cbranch_execz .LBB1429_141
.LBB1429_139:                           ; =>This Inner Loop Header: Depth=1
	s_or_b64 s[46:47], s[46:47], exec
	s_cmp_eq_u64 s[42:43], s[48:49]
	s_cbranch_scc0 .LBB1429_137
; %bb.140:                              ;   in Loop: Header=BB1429_139 Depth=1
                                        ; implicit-def: $vgpr16_vgpr17
                                        ; implicit-def: $vgpr18_vgpr19
	s_mov_b64 s[48:49], s[26:27]
	s_branch .LBB1429_138
.LBB1429_141:
	s_or_b64 exec, exec, s[44:45]
	v_cmp_gt_i64_e32 vcc, s[26:27], v[20:21]
	s_orn2_b64 s[42:43], vcc, exec
.LBB1429_142:
	s_or_b64 exec, exec, s[38:39]
.LBB1429_143:
	s_and_b64 s[38:39], s[42:43], exec
.LBB1429_144:
	s_or_b64 exec, exec, s[40:41]
	v_cmp_gt_u32_e32 vcc, s3, v25
	s_and_saveexec_b64 s[40:41], vcc
	s_cbranch_execz .LBB1429_155
; %bb.145:
	s_and_b64 vcc, exec, s[4:5]
	s_mov_b64 s[42:43], 0
	s_cbranch_vccnz .LBB1429_154
; %bb.146:
	s_waitcnt lgkmcnt(0)
	v_mul_lo_u32 v18, v11, s26
	v_mul_lo_u32 v19, v10, s27
	v_mad_u64_u32 v[16:17], s[36:37], v10, s26, 0
	v_add3_u32 v17, v17, v19, v18
	v_mul_lo_u32 v18, v13, s26
	v_mul_lo_u32 v19, v12, s27
	v_mad_u64_u32 v[20:21], s[36:37], v12, s26, 0
	v_add3_u32 v21, v21, v19, v18
	v_lshl_add_u64 v[18:19], v[16:17], 1, s[28:29]
	v_lshl_add_u64 v[16:17], v[20:21], 1, s[28:29]
	global_load_ushort v20, v[18:19], off
	global_load_ushort v21, v[16:17], off
	s_mov_b64 s[42:43], -1
	s_waitcnt vmcnt(0)
	v_cmp_eq_u16_e32 vcc, v20, v21
	s_and_saveexec_b64 s[36:37], vcc
	s_cbranch_execz .LBB1429_153
; %bb.147:
	s_add_u32 s42, s26, -1
	v_lshl_add_u64 v[16:17], v[16:17], 0, 2
	v_lshl_add_u64 v[18:19], v[18:19], 0, 2
	s_addc_u32 s43, s27, -1
	s_mov_b64 s[44:45], 0
	s_mov_b64 s[48:49], 0
                                        ; implicit-def: $sgpr46_sgpr47
	s_branch .LBB1429_150
.LBB1429_148:                           ;   in Loop: Header=BB1429_150 Depth=1
	global_load_ushort v20, v[18:19], off
	global_load_ushort v21, v[16:17], off
	s_add_u32 s48, s48, 1
	s_addc_u32 s49, s49, 0
	s_andn2_b64 s[46:47], s[46:47], exec
	v_lshl_add_u64 v[16:17], v[16:17], 0, 2
	v_lshl_add_u64 v[18:19], v[18:19], 0, 2
	s_waitcnt vmcnt(0)
	v_cmp_ne_u16_e32 vcc, v20, v21
	s_and_b64 s[50:51], vcc, exec
	s_or_b64 s[46:47], s[46:47], s[50:51]
.LBB1429_149:                           ;   in Loop: Header=BB1429_150 Depth=1
	s_and_b64 s[50:51], exec, s[46:47]
	s_or_b64 s[44:45], s[50:51], s[44:45]
	v_mov_b64_e32 v[20:21], s[48:49]
	s_andn2_b64 exec, exec, s[44:45]
	s_cbranch_execz .LBB1429_152
.LBB1429_150:                           ; =>This Inner Loop Header: Depth=1
	s_or_b64 s[46:47], s[46:47], exec
	s_cmp_eq_u64 s[42:43], s[48:49]
	s_cbranch_scc0 .LBB1429_148
; %bb.151:                              ;   in Loop: Header=BB1429_150 Depth=1
                                        ; implicit-def: $vgpr16_vgpr17
                                        ; implicit-def: $vgpr18_vgpr19
	s_mov_b64 s[48:49], s[26:27]
	s_branch .LBB1429_149
.LBB1429_152:
	s_or_b64 exec, exec, s[44:45]
	v_cmp_gt_i64_e32 vcc, s[26:27], v[20:21]
	s_orn2_b64 s[42:43], vcc, exec
.LBB1429_153:
	s_or_b64 exec, exec, s[36:37]
.LBB1429_154:
	s_and_b64 s[36:37], s[42:43], exec
.LBB1429_155:
	s_or_b64 exec, exec, s[40:41]
	v_cmp_ne_u32_e32 vcc, 0, v0
	s_waitcnt lgkmcnt(0)
	v_mov_b64_e32 v[16:17], s[6:7]
	s_barrier
	s_and_saveexec_b64 s[6:7], vcc
	s_cbranch_execz .LBB1429_157
; %bb.156:
	v_add_u32_e32 v16, -8, v31
	ds_read_b64 v[16:17], v16
.LBB1429_157:
	s_or_b64 exec, exec, s[6:7]
	v_cndmask_b32_e64 v19, 0, 1, s[18:19]
	v_cndmask_b32_e64 v18, 0, 1, s[38:39]
	;; [unrolled: 1-line block ×3, first 2 shown]
	v_lshlrev_b16_e32 v19, 8, v19
	v_cmp_gt_u32_e32 vcc, s3, v1
	v_lshlrev_b16_e32 v22, 8, v20
	v_or_b32_sdwa v23, v18, v19 dst_sel:WORD_1 dst_unused:UNUSED_PAD src0_sel:DWORD src1_sel:DWORD
	s_mov_b64 s[18:19], 0
	s_and_saveexec_b64 s[6:7], vcc
	s_cbranch_execz .LBB1429_168
; %bb.158:
	s_and_b64 vcc, exec, s[4:5]
	s_cbranch_vccnz .LBB1429_167
; %bb.159:
	s_waitcnt lgkmcnt(0)
	v_mul_lo_u32 v18, v17, s26
	v_mul_lo_u32 v19, v16, s27
	v_mad_u64_u32 v[16:17], s[4:5], v16, s26, 0
	v_add3_u32 v17, v17, v19, v18
	v_mul_lo_u32 v18, v11, s26
	v_mul_lo_u32 v19, v10, s27
	v_mad_u64_u32 v[20:21], s[4:5], v10, s26, 0
	v_add3_u32 v21, v21, v19, v18
	v_lshl_add_u64 v[18:19], v[16:17], 1, s[28:29]
	v_lshl_add_u64 v[16:17], v[20:21], 1, s[28:29]
	global_load_ushort v20, v[18:19], off
	global_load_ushort v21, v[16:17], off
	s_mov_b64 s[18:19], -1
	s_waitcnt vmcnt(0)
	v_cmp_eq_u16_e32 vcc, v20, v21
	s_and_saveexec_b64 s[4:5], vcc
	s_cbranch_execz .LBB1429_166
; %bb.160:
	s_add_u32 s18, s26, -1
	v_lshl_add_u64 v[16:17], v[16:17], 0, 2
	v_lshl_add_u64 v[18:19], v[18:19], 0, 2
	s_addc_u32 s19, s27, -1
	s_mov_b64 s[36:37], 0
	s_mov_b64 s[40:41], 0
                                        ; implicit-def: $sgpr38_sgpr39
	s_branch .LBB1429_163
.LBB1429_161:                           ;   in Loop: Header=BB1429_163 Depth=1
	global_load_ushort v20, v[18:19], off
	global_load_ushort v21, v[16:17], off
	s_add_u32 s40, s40, 1
	s_addc_u32 s41, s41, 0
	s_andn2_b64 s[38:39], s[38:39], exec
	v_lshl_add_u64 v[16:17], v[16:17], 0, 2
	v_lshl_add_u64 v[18:19], v[18:19], 0, 2
	s_waitcnt vmcnt(0)
	v_cmp_ne_u16_e32 vcc, v20, v21
	s_and_b64 s[42:43], vcc, exec
	s_or_b64 s[38:39], s[38:39], s[42:43]
.LBB1429_162:                           ;   in Loop: Header=BB1429_163 Depth=1
	s_and_b64 s[42:43], exec, s[38:39]
	s_or_b64 s[36:37], s[42:43], s[36:37]
	v_mov_b64_e32 v[20:21], s[40:41]
	s_andn2_b64 exec, exec, s[36:37]
	s_cbranch_execz .LBB1429_165
.LBB1429_163:                           ; =>This Inner Loop Header: Depth=1
	s_or_b64 s[38:39], s[38:39], exec
	s_cmp_eq_u64 s[18:19], s[40:41]
	s_cbranch_scc0 .LBB1429_161
; %bb.164:                              ;   in Loop: Header=BB1429_163 Depth=1
                                        ; implicit-def: $vgpr16_vgpr17
                                        ; implicit-def: $vgpr18_vgpr19
	s_mov_b64 s[40:41], s[26:27]
	s_branch .LBB1429_162
.LBB1429_165:
	s_or_b64 exec, exec, s[36:37]
	v_cmp_gt_i64_e32 vcc, s[26:27], v[20:21]
	s_orn2_b64 s[18:19], vcc, exec
.LBB1429_166:
	s_or_b64 exec, exec, s[4:5]
.LBB1429_167:
	s_and_b64 s[18:19], s[18:19], exec
.LBB1429_168:
	s_or_b64 exec, exec, s[6:7]
	v_cndmask_b32_e64 v32, 0, 1, s[14:15]
	v_cndmask_b32_e64 v33, 0, 1, s[12:13]
	;; [unrolled: 1-line block ×3, first 2 shown]
	v_or_b32_e32 v20, v22, v23
.LBB1429_169:
	s_mov_b64 s[10:11], -1
	s_cbranch_execnz .LBB1429_28
.LBB1429_170:
	s_movk_i32 s4, 0xffd0
	v_mad_i32_i24 v30, v0, s4, v30
	s_mov_b64 s[12:13], 0
	s_waitcnt lgkmcnt(0)
	v_cmp_gt_i64_e64 s[6:7], s[26:27], 0
	s_and_b64 vcc, exec, s[34:35]
	ds_write_b64 v30, v[14:15]
	s_cbranch_vccz .LBB1429_178
; %bb.171:
	v_mul_lo_u32 v18, v5, s26
	v_mul_lo_u32 v19, v4, s27
	v_mad_u64_u32 v[16:17], s[4:5], v4, s26, 0
	v_add3_u32 v17, v17, v19, v18
	v_cndmask_b32_e64 v18, 0, 1, s[6:7]
	v_cmp_ne_u32_e64 s[4:5], 1, v18
	s_andn2_b64 vcc, exec, s[6:7]
	v_lshl_add_u64 v[16:17], v[16:17], 1, s[28:29]
	s_cbranch_vccnz .LBB1429_181
; %bb.172:
	v_mul_lo_u32 v20, v15, s26
	v_mul_lo_u32 v21, v14, s27
	v_mad_u64_u32 v[18:19], s[12:13], v14, s26, 0
	v_add3_u32 v19, v19, v21, v20
	v_lshl_add_u64 v[18:19], v[18:19], 1, s[28:29]
	global_load_ushort v20, v[16:17], off
	global_load_ushort v21, v[18:19], off
	s_mov_b64 s[12:13], -1
	s_waitcnt vmcnt(0)
	v_cmp_eq_u16_e32 vcc, v20, v21
	s_and_saveexec_b64 s[14:15], vcc
	s_cbranch_execz .LBB1429_180
; %bb.173:
	s_add_u32 s12, s26, -1
	v_lshl_add_u64 v[18:19], v[18:19], 0, 2
	v_lshl_add_u64 v[20:21], v[16:17], 0, 2
	s_addc_u32 s13, s27, -1
	s_mov_b64 s[18:19], 0
	s_mov_b64 s[38:39], 0
                                        ; implicit-def: $sgpr36_sgpr37
	s_branch .LBB1429_176
.LBB1429_174:                           ;   in Loop: Header=BB1429_176 Depth=1
	global_load_ushort v22, v[20:21], off
	global_load_ushort v23, v[18:19], off
	s_add_u32 s38, s38, 1
	s_addc_u32 s39, s39, 0
	s_andn2_b64 s[36:37], s[36:37], exec
	v_lshl_add_u64 v[18:19], v[18:19], 0, 2
	v_lshl_add_u64 v[20:21], v[20:21], 0, 2
	s_waitcnt vmcnt(0)
	v_cmp_ne_u16_e32 vcc, v22, v23
	s_and_b64 s[40:41], vcc, exec
	s_or_b64 s[36:37], s[36:37], s[40:41]
.LBB1429_175:                           ;   in Loop: Header=BB1429_176 Depth=1
	s_and_b64 s[40:41], exec, s[36:37]
	s_or_b64 s[18:19], s[40:41], s[18:19]
	v_mov_b64_e32 v[22:23], s[38:39]
	s_andn2_b64 exec, exec, s[18:19]
	s_cbranch_execz .LBB1429_179
.LBB1429_176:                           ; =>This Inner Loop Header: Depth=1
	s_or_b64 s[36:37], s[36:37], exec
	s_cmp_eq_u64 s[12:13], s[38:39]
	s_cbranch_scc0 .LBB1429_174
; %bb.177:                              ;   in Loop: Header=BB1429_176 Depth=1
                                        ; implicit-def: $vgpr18_vgpr19
                                        ; implicit-def: $vgpr20_vgpr21
	s_mov_b64 s[38:39], s[26:27]
	s_branch .LBB1429_175
.LBB1429_178:
                                        ; implicit-def: $sgpr18_sgpr19
                                        ; implicit-def: $vgpr34
                                        ; implicit-def: $vgpr33
                                        ; implicit-def: $vgpr32
                                        ; implicit-def: $vgpr20
                                        ; implicit-def: $vgpr16_vgpr17
	s_cbranch_execnz .LBB1429_238
	s_branch .LBB1429_318
.LBB1429_179:
	s_or_b64 exec, exec, s[18:19]
	v_cmp_gt_i64_e32 vcc, s[26:27], v[22:23]
	s_orn2_b64 s[12:13], vcc, exec
.LBB1429_180:
	s_or_b64 exec, exec, s[14:15]
.LBB1429_181:
	v_mul_lo_u32 v20, v3, s26
	v_mul_lo_u32 v21, v2, s27
	v_mad_u64_u32 v[18:19], s[14:15], v2, s26, 0
	v_add3_u32 v19, v19, v21, v20
	s_mov_b64 s[14:15], 0
	s_and_b64 vcc, exec, s[4:5]
	v_lshl_add_u64 v[18:19], v[18:19], 1, s[28:29]
	s_mov_b64 s[18:19], 0
	s_cbranch_vccnz .LBB1429_190
; %bb.182:
	global_load_ushort v20, v[18:19], off
	global_load_ushort v21, v[16:17], off
	s_mov_b64 s[18:19], -1
	s_waitcnt vmcnt(0)
	v_cmp_eq_u16_e32 vcc, v20, v21
	s_and_saveexec_b64 s[36:37], vcc
	s_cbranch_execz .LBB1429_189
; %bb.183:
	s_add_u32 s18, s26, -1
	v_lshl_add_u64 v[16:17], v[16:17], 0, 2
	v_lshl_add_u64 v[20:21], v[18:19], 0, 2
	s_addc_u32 s19, s27, -1
	s_mov_b64 s[38:39], 0
	s_mov_b64 s[42:43], 0
                                        ; implicit-def: $sgpr40_sgpr41
	s_branch .LBB1429_186
.LBB1429_184:                           ;   in Loop: Header=BB1429_186 Depth=1
	global_load_ushort v22, v[20:21], off
	global_load_ushort v23, v[16:17], off
	s_add_u32 s42, s42, 1
	s_addc_u32 s43, s43, 0
	s_andn2_b64 s[40:41], s[40:41], exec
	v_lshl_add_u64 v[16:17], v[16:17], 0, 2
	v_lshl_add_u64 v[20:21], v[20:21], 0, 2
	s_waitcnt vmcnt(0)
	v_cmp_ne_u16_e32 vcc, v22, v23
	s_and_b64 s[44:45], vcc, exec
	s_or_b64 s[40:41], s[40:41], s[44:45]
.LBB1429_185:                           ;   in Loop: Header=BB1429_186 Depth=1
	s_and_b64 s[44:45], exec, s[40:41]
	s_or_b64 s[38:39], s[44:45], s[38:39]
	v_mov_b64_e32 v[22:23], s[42:43]
	s_andn2_b64 exec, exec, s[38:39]
	s_cbranch_execz .LBB1429_188
.LBB1429_186:                           ; =>This Inner Loop Header: Depth=1
	s_or_b64 s[40:41], s[40:41], exec
	s_cmp_eq_u64 s[18:19], s[42:43]
	s_cbranch_scc0 .LBB1429_184
; %bb.187:                              ;   in Loop: Header=BB1429_186 Depth=1
                                        ; implicit-def: $vgpr16_vgpr17
                                        ; implicit-def: $vgpr20_vgpr21
	s_mov_b64 s[42:43], s[26:27]
	s_branch .LBB1429_185
.LBB1429_188:
	s_or_b64 exec, exec, s[38:39]
	v_cmp_gt_i64_e32 vcc, s[26:27], v[22:23]
	s_orn2_b64 s[18:19], vcc, exec
.LBB1429_189:
	s_or_b64 exec, exec, s[36:37]
.LBB1429_190:
	v_mul_lo_u32 v20, v9, s26
	v_mul_lo_u32 v21, v8, s27
	v_mad_u64_u32 v[16:17], s[36:37], v8, s26, 0
	v_add3_u32 v17, v17, v21, v20
	s_and_b64 vcc, exec, s[4:5]
	v_lshl_add_u64 v[16:17], v[16:17], 1, s[28:29]
	s_cbranch_vccnz .LBB1429_199
; %bb.191:
	global_load_ushort v20, v[16:17], off
	global_load_ushort v21, v[18:19], off
	s_mov_b64 s[14:15], -1
	s_waitcnt vmcnt(0)
	v_cmp_eq_u16_e32 vcc, v20, v21
	s_and_saveexec_b64 s[36:37], vcc
	s_cbranch_execz .LBB1429_198
; %bb.192:
	s_add_u32 s14, s26, -1
	v_lshl_add_u64 v[18:19], v[18:19], 0, 2
	v_lshl_add_u64 v[20:21], v[16:17], 0, 2
	s_addc_u32 s15, s27, -1
	s_mov_b64 s[38:39], 0
	s_mov_b64 s[42:43], 0
                                        ; implicit-def: $sgpr40_sgpr41
	s_branch .LBB1429_195
.LBB1429_193:                           ;   in Loop: Header=BB1429_195 Depth=1
	global_load_ushort v22, v[20:21], off
	global_load_ushort v23, v[18:19], off
	s_add_u32 s42, s42, 1
	s_addc_u32 s43, s43, 0
	s_andn2_b64 s[40:41], s[40:41], exec
	v_lshl_add_u64 v[18:19], v[18:19], 0, 2
	v_lshl_add_u64 v[20:21], v[20:21], 0, 2
	s_waitcnt vmcnt(0)
	v_cmp_ne_u16_e32 vcc, v22, v23
	s_and_b64 s[44:45], vcc, exec
	s_or_b64 s[40:41], s[40:41], s[44:45]
.LBB1429_194:                           ;   in Loop: Header=BB1429_195 Depth=1
	s_and_b64 s[44:45], exec, s[40:41]
	s_or_b64 s[38:39], s[44:45], s[38:39]
	v_mov_b64_e32 v[22:23], s[42:43]
	s_andn2_b64 exec, exec, s[38:39]
	s_cbranch_execz .LBB1429_197
.LBB1429_195:                           ; =>This Inner Loop Header: Depth=1
	s_or_b64 s[40:41], s[40:41], exec
	s_cmp_eq_u64 s[14:15], s[42:43]
	s_cbranch_scc0 .LBB1429_193
; %bb.196:                              ;   in Loop: Header=BB1429_195 Depth=1
                                        ; implicit-def: $vgpr18_vgpr19
                                        ; implicit-def: $vgpr20_vgpr21
	s_mov_b64 s[42:43], s[26:27]
	s_branch .LBB1429_194
.LBB1429_197:
	s_or_b64 exec, exec, s[38:39]
	v_cmp_gt_i64_e32 vcc, s[26:27], v[22:23]
	s_orn2_b64 s[14:15], vcc, exec
.LBB1429_198:
	s_or_b64 exec, exec, s[36:37]
.LBB1429_199:
	v_mul_lo_u32 v20, v7, s26
	v_mul_lo_u32 v21, v6, s27
	v_mad_u64_u32 v[18:19], s[36:37], v6, s26, 0
	v_add3_u32 v19, v19, v21, v20
	s_mov_b64 s[36:37], 0
	s_and_b64 vcc, exec, s[4:5]
	v_lshl_add_u64 v[18:19], v[18:19], 1, s[28:29]
	s_mov_b64 s[38:39], 0
	s_cbranch_vccnz .LBB1429_208
; %bb.200:
	global_load_ushort v20, v[18:19], off
	global_load_ushort v21, v[16:17], off
	s_mov_b64 s[38:39], -1
	s_waitcnt vmcnt(0)
	v_cmp_eq_u16_e32 vcc, v20, v21
	s_and_saveexec_b64 s[40:41], vcc
	s_cbranch_execz .LBB1429_207
; %bb.201:
	s_add_u32 s38, s26, -1
	v_lshl_add_u64 v[16:17], v[16:17], 0, 2
	v_lshl_add_u64 v[20:21], v[18:19], 0, 2
	s_addc_u32 s39, s27, -1
	s_mov_b64 s[42:43], 0
	s_mov_b64 s[46:47], 0
                                        ; implicit-def: $sgpr44_sgpr45
	s_branch .LBB1429_204
.LBB1429_202:                           ;   in Loop: Header=BB1429_204 Depth=1
	global_load_ushort v22, v[20:21], off
	global_load_ushort v23, v[16:17], off
	s_add_u32 s46, s46, 1
	s_addc_u32 s47, s47, 0
	s_andn2_b64 s[44:45], s[44:45], exec
	v_lshl_add_u64 v[16:17], v[16:17], 0, 2
	v_lshl_add_u64 v[20:21], v[20:21], 0, 2
	s_waitcnt vmcnt(0)
	v_cmp_ne_u16_e32 vcc, v22, v23
	s_and_b64 s[48:49], vcc, exec
	s_or_b64 s[44:45], s[44:45], s[48:49]
.LBB1429_203:                           ;   in Loop: Header=BB1429_204 Depth=1
	s_and_b64 s[48:49], exec, s[44:45]
	s_or_b64 s[42:43], s[48:49], s[42:43]
	v_mov_b64_e32 v[22:23], s[46:47]
	s_andn2_b64 exec, exec, s[42:43]
	s_cbranch_execz .LBB1429_206
.LBB1429_204:                           ; =>This Inner Loop Header: Depth=1
	s_or_b64 s[44:45], s[44:45], exec
	s_cmp_eq_u64 s[38:39], s[46:47]
	s_cbranch_scc0 .LBB1429_202
; %bb.205:                              ;   in Loop: Header=BB1429_204 Depth=1
                                        ; implicit-def: $vgpr16_vgpr17
                                        ; implicit-def: $vgpr20_vgpr21
	s_mov_b64 s[46:47], s[26:27]
	s_branch .LBB1429_203
.LBB1429_206:
	s_or_b64 exec, exec, s[42:43]
	v_cmp_gt_i64_e32 vcc, s[26:27], v[22:23]
	s_orn2_b64 s[38:39], vcc, exec
.LBB1429_207:
	s_or_b64 exec, exec, s[40:41]
.LBB1429_208:
	v_mul_lo_u32 v20, v13, s26
	v_mul_lo_u32 v21, v12, s27
	v_mad_u64_u32 v[16:17], s[40:41], v12, s26, 0
	v_add3_u32 v17, v17, v21, v20
	s_and_b64 vcc, exec, s[4:5]
	v_lshl_add_u64 v[16:17], v[16:17], 1, s[28:29]
	s_cbranch_vccnz .LBB1429_217
; %bb.209:
	global_load_ushort v20, v[16:17], off
	global_load_ushort v21, v[18:19], off
	s_mov_b64 s[36:37], -1
	s_waitcnt vmcnt(0)
	v_cmp_eq_u16_e32 vcc, v20, v21
	s_and_saveexec_b64 s[40:41], vcc
	s_cbranch_execz .LBB1429_216
; %bb.210:
	s_add_u32 s36, s26, -1
	v_lshl_add_u64 v[18:19], v[18:19], 0, 2
	v_lshl_add_u64 v[20:21], v[16:17], 0, 2
	s_addc_u32 s37, s27, -1
	s_mov_b64 s[42:43], 0
	s_mov_b64 s[46:47], 0
                                        ; implicit-def: $sgpr44_sgpr45
	s_branch .LBB1429_213
.LBB1429_211:                           ;   in Loop: Header=BB1429_213 Depth=1
	global_load_ushort v22, v[20:21], off
	global_load_ushort v23, v[18:19], off
	s_add_u32 s46, s46, 1
	s_addc_u32 s47, s47, 0
	s_andn2_b64 s[44:45], s[44:45], exec
	v_lshl_add_u64 v[18:19], v[18:19], 0, 2
	v_lshl_add_u64 v[20:21], v[20:21], 0, 2
	s_waitcnt vmcnt(0)
	v_cmp_ne_u16_e32 vcc, v22, v23
	s_and_b64 s[48:49], vcc, exec
	s_or_b64 s[44:45], s[44:45], s[48:49]
.LBB1429_212:                           ;   in Loop: Header=BB1429_213 Depth=1
	s_and_b64 s[48:49], exec, s[44:45]
	s_or_b64 s[42:43], s[48:49], s[42:43]
	v_mov_b64_e32 v[22:23], s[46:47]
	s_andn2_b64 exec, exec, s[42:43]
	s_cbranch_execz .LBB1429_215
.LBB1429_213:                           ; =>This Inner Loop Header: Depth=1
	s_or_b64 s[44:45], s[44:45], exec
	s_cmp_eq_u64 s[36:37], s[46:47]
	s_cbranch_scc0 .LBB1429_211
; %bb.214:                              ;   in Loop: Header=BB1429_213 Depth=1
                                        ; implicit-def: $vgpr18_vgpr19
                                        ; implicit-def: $vgpr20_vgpr21
	s_mov_b64 s[46:47], s[26:27]
	s_branch .LBB1429_212
.LBB1429_215:
	s_or_b64 exec, exec, s[42:43]
	v_cmp_gt_i64_e32 vcc, s[26:27], v[22:23]
	s_orn2_b64 s[36:37], vcc, exec
.LBB1429_216:
	s_or_b64 exec, exec, s[40:41]
.LBB1429_217:
	v_mul_lo_u32 v20, v11, s26
	v_mul_lo_u32 v21, v10, s27
	v_mad_u64_u32 v[18:19], s[40:41], v10, s26, 0
	v_add3_u32 v19, v19, v21, v20
	s_and_b64 vcc, exec, s[4:5]
	s_mov_b64 s[42:43], 0
	s_cbranch_vccnz .LBB1429_226
; %bb.218:
	v_lshl_add_u64 v[20:21], v[18:19], 1, s[28:29]
	global_load_ushort v22, v[20:21], off
	global_load_ushort v23, v[16:17], off
	s_mov_b64 s[42:43], -1
	s_waitcnt vmcnt(0)
	v_cmp_eq_u16_e32 vcc, v22, v23
	s_and_saveexec_b64 s[40:41], vcc
	s_cbranch_execz .LBB1429_225
; %bb.219:
	s_add_u32 s42, s26, -1
	v_lshl_add_u64 v[16:17], v[16:17], 0, 2
	v_lshl_add_u64 v[20:21], v[20:21], 0, 2
	s_addc_u32 s43, s27, -1
	s_mov_b64 s[44:45], 0
	s_mov_b64 s[48:49], 0
                                        ; implicit-def: $sgpr46_sgpr47
	s_branch .LBB1429_222
.LBB1429_220:                           ;   in Loop: Header=BB1429_222 Depth=1
	global_load_ushort v22, v[20:21], off
	global_load_ushort v23, v[16:17], off
	s_add_u32 s48, s48, 1
	s_addc_u32 s49, s49, 0
	s_andn2_b64 s[46:47], s[46:47], exec
	v_lshl_add_u64 v[16:17], v[16:17], 0, 2
	v_lshl_add_u64 v[20:21], v[20:21], 0, 2
	s_waitcnt vmcnt(0)
	v_cmp_ne_u16_e32 vcc, v22, v23
	s_and_b64 s[50:51], vcc, exec
	s_or_b64 s[46:47], s[46:47], s[50:51]
.LBB1429_221:                           ;   in Loop: Header=BB1429_222 Depth=1
	s_and_b64 s[50:51], exec, s[46:47]
	s_or_b64 s[44:45], s[50:51], s[44:45]
	v_mov_b64_e32 v[22:23], s[48:49]
	s_andn2_b64 exec, exec, s[44:45]
	s_cbranch_execz .LBB1429_224
.LBB1429_222:                           ; =>This Inner Loop Header: Depth=1
	s_or_b64 s[46:47], s[46:47], exec
	s_cmp_eq_u64 s[42:43], s[48:49]
	s_cbranch_scc0 .LBB1429_220
; %bb.223:                              ;   in Loop: Header=BB1429_222 Depth=1
                                        ; implicit-def: $vgpr16_vgpr17
                                        ; implicit-def: $vgpr20_vgpr21
	s_mov_b64 s[48:49], s[26:27]
	s_branch .LBB1429_221
.LBB1429_224:
	s_or_b64 exec, exec, s[44:45]
	v_cmp_gt_i64_e32 vcc, s[26:27], v[22:23]
	s_orn2_b64 s[42:43], vcc, exec
.LBB1429_225:
	s_or_b64 exec, exec, s[40:41]
.LBB1429_226:
	v_cndmask_b32_e64 v17, 0, 1, s[38:39]
	v_cndmask_b32_e64 v16, 0, 1, s[36:37]
	;; [unrolled: 1-line block ×3, first 2 shown]
	v_lshlrev_b16_e32 v17, 8, v17
	v_cndmask_b32_e64 v32, 0, 1, s[14:15]
	v_cndmask_b32_e64 v20, 0, 1, s[42:43]
	v_or_b32_sdwa v16, v16, v17 dst_sel:WORD_1 dst_unused:UNUSED_PAD src0_sel:DWORD src1_sel:DWORD
	v_lshlrev_b16_e32 v17, 8, v33
	v_lshlrev_b16_e32 v20, 8, v20
	v_or_b32_e32 v17, v32, v17
	v_or_b32_e32 v20, 1, v20
	v_and_b32_e32 v17, 0xffff, v17
	v_cndmask_b32_e64 v34, 0, 1, s[12:13]
	v_or_b32_sdwa v16, v20, v16 dst_sel:DWORD dst_unused:UNUSED_PAD src0_sel:WORD_0 src1_sel:DWORD
	v_lshl_or_b32 v17, v34, 16, v17
	v_cmp_ne_u32_e32 vcc, 0, v0
	s_waitcnt lgkmcnt(0)
	s_barrier
	s_waitcnt lgkmcnt(0)
                                        ; implicit-def: $sgpr18_sgpr19
                                        ; implicit-def: $vgpr20
	s_and_saveexec_b64 s[12:13], vcc
	s_xor_b64 s[12:13], exec, s[12:13]
	s_cbranch_execz .LBB1429_237
; %bb.227:
	s_mov_b32 s33, 0x3020104
	s_and_b64 vcc, exec, s[4:5]
	s_mov_b64 s[14:15], 0
	s_cbranch_vccnz .LBB1429_236
; %bb.228:
	v_add_u32_e32 v17, -8, v30
	ds_read_b64 v[20:21], v17
	v_lshl_add_u64 v[18:19], v[18:19], 1, s[28:29]
	s_mov_b64 s[14:15], -1
	s_waitcnt lgkmcnt(0)
	v_mul_lo_u32 v17, v21, s26
	v_mul_lo_u32 v22, v20, s27
	v_mad_u64_u32 v[20:21], s[4:5], v20, s26, 0
	v_add3_u32 v21, v21, v22, v17
	v_lshl_add_u64 v[20:21], v[20:21], 1, s[28:29]
	global_load_ushort v17, v[20:21], off
	global_load_ushort v22, v[18:19], off
	s_waitcnt vmcnt(0)
	v_cmp_eq_u16_e32 vcc, v17, v22
	s_and_saveexec_b64 s[4:5], vcc
	s_cbranch_execz .LBB1429_235
; %bb.229:
	s_add_u32 s14, s26, -1
	v_lshl_add_u64 v[18:19], v[18:19], 0, 2
	v_lshl_add_u64 v[20:21], v[20:21], 0, 2
	s_addc_u32 s15, s27, -1
	s_mov_b64 s[18:19], 0
	s_mov_b64 s[38:39], 0
                                        ; implicit-def: $sgpr36_sgpr37
	s_branch .LBB1429_232
.LBB1429_230:                           ;   in Loop: Header=BB1429_232 Depth=1
	global_load_ushort v17, v[20:21], off
	global_load_ushort v22, v[18:19], off
	s_add_u32 s38, s38, 1
	s_addc_u32 s39, s39, 0
	s_andn2_b64 s[36:37], s[36:37], exec
	v_lshl_add_u64 v[18:19], v[18:19], 0, 2
	v_lshl_add_u64 v[20:21], v[20:21], 0, 2
	s_waitcnt vmcnt(0)
	v_cmp_ne_u16_e32 vcc, v17, v22
	s_and_b64 s[40:41], vcc, exec
	s_or_b64 s[36:37], s[36:37], s[40:41]
.LBB1429_231:                           ;   in Loop: Header=BB1429_232 Depth=1
	s_and_b64 s[40:41], exec, s[36:37]
	s_or_b64 s[18:19], s[40:41], s[18:19]
	v_mov_b64_e32 v[22:23], s[38:39]
	s_andn2_b64 exec, exec, s[18:19]
	s_cbranch_execz .LBB1429_234
.LBB1429_232:                           ; =>This Inner Loop Header: Depth=1
	s_or_b64 s[36:37], s[36:37], exec
	s_cmp_eq_u64 s[14:15], s[38:39]
	s_cbranch_scc0 .LBB1429_230
; %bb.233:                              ;   in Loop: Header=BB1429_232 Depth=1
                                        ; implicit-def: $vgpr18_vgpr19
                                        ; implicit-def: $vgpr20_vgpr21
	s_mov_b64 s[38:39], s[26:27]
	s_branch .LBB1429_231
.LBB1429_234:
	s_or_b64 exec, exec, s[18:19]
	v_cmp_gt_i64_e32 vcc, s[26:27], v[22:23]
	s_orn2_b64 s[14:15], vcc, exec
.LBB1429_235:
	s_or_b64 exec, exec, s[4:5]
.LBB1429_236:
	v_perm_b32 v20, v16, v16, s33
	s_and_b64 s[18:19], s[14:15], exec
	s_or_b64 s[10:11], s[10:11], exec
                                        ; implicit-def: $vgpr16_vgpr17
.LBB1429_237:
	s_or_b64 exec, exec, s[12:13]
	s_branch .LBB1429_318
.LBB1429_238:
	v_cmp_gt_u32_e32 vcc, s3, v27
	s_mov_b64 s[12:13], 0
	s_mov_b64 s[4:5], 0
	s_and_saveexec_b64 s[14:15], vcc
	s_cbranch_execz .LBB1429_249
; %bb.239:
	s_andn2_b64 vcc, exec, s[6:7]
	s_mov_b64 s[18:19], 0
	s_cbranch_vccnz .LBB1429_248
; %bb.240:
	v_mul_lo_u32 v18, v5, s26
	v_mul_lo_u32 v19, v4, s27
	v_mad_u64_u32 v[16:17], s[4:5], v4, s26, 0
	v_add3_u32 v17, v17, v19, v18
	v_mul_lo_u32 v18, v15, s26
	v_mul_lo_u32 v19, v14, s27
	v_mad_u64_u32 v[20:21], s[4:5], v14, s26, 0
	v_add3_u32 v21, v21, v19, v18
	v_lshl_add_u64 v[18:19], v[16:17], 1, s[28:29]
	v_lshl_add_u64 v[16:17], v[20:21], 1, s[28:29]
	global_load_ushort v20, v[18:19], off
	global_load_ushort v21, v[16:17], off
	s_mov_b64 s[18:19], -1
	s_waitcnt vmcnt(0)
	v_cmp_eq_u16_e32 vcc, v20, v21
	s_and_saveexec_b64 s[4:5], vcc
	s_cbranch_execz .LBB1429_247
; %bb.241:
	s_add_u32 s18, s26, -1
	v_lshl_add_u64 v[16:17], v[16:17], 0, 2
	v_lshl_add_u64 v[18:19], v[18:19], 0, 2
	s_addc_u32 s19, s27, -1
	s_mov_b64 s[36:37], 0
	s_mov_b64 s[40:41], 0
                                        ; implicit-def: $sgpr38_sgpr39
	s_branch .LBB1429_244
.LBB1429_242:                           ;   in Loop: Header=BB1429_244 Depth=1
	global_load_ushort v20, v[18:19], off
	global_load_ushort v21, v[16:17], off
	s_add_u32 s40, s40, 1
	s_addc_u32 s41, s41, 0
	s_andn2_b64 s[38:39], s[38:39], exec
	v_lshl_add_u64 v[16:17], v[16:17], 0, 2
	v_lshl_add_u64 v[18:19], v[18:19], 0, 2
	s_waitcnt vmcnt(0)
	v_cmp_ne_u16_e32 vcc, v20, v21
	s_and_b64 s[42:43], vcc, exec
	s_or_b64 s[38:39], s[38:39], s[42:43]
.LBB1429_243:                           ;   in Loop: Header=BB1429_244 Depth=1
	s_and_b64 s[42:43], exec, s[38:39]
	s_or_b64 s[36:37], s[42:43], s[36:37]
	v_mov_b64_e32 v[20:21], s[40:41]
	s_andn2_b64 exec, exec, s[36:37]
	s_cbranch_execz .LBB1429_246
.LBB1429_244:                           ; =>This Inner Loop Header: Depth=1
	s_or_b64 s[38:39], s[38:39], exec
	s_cmp_eq_u64 s[18:19], s[40:41]
	s_cbranch_scc0 .LBB1429_242
; %bb.245:                              ;   in Loop: Header=BB1429_244 Depth=1
                                        ; implicit-def: $vgpr16_vgpr17
                                        ; implicit-def: $vgpr18_vgpr19
	s_mov_b64 s[40:41], s[26:27]
	s_branch .LBB1429_243
.LBB1429_246:
	s_or_b64 exec, exec, s[36:37]
	v_cmp_gt_i64_e32 vcc, s[26:27], v[20:21]
	s_orn2_b64 s[18:19], vcc, exec
.LBB1429_247:
	s_or_b64 exec, exec, s[4:5]
.LBB1429_248:
	s_and_b64 s[4:5], s[18:19], exec
.LBB1429_249:
	s_or_b64 exec, exec, s[14:15]
	v_cmp_gt_u32_e32 vcc, s3, v29
	s_and_saveexec_b64 s[14:15], vcc
	s_cbranch_execz .LBB1429_260
; %bb.250:
	s_andn2_b64 vcc, exec, s[6:7]
	s_mov_b64 s[18:19], 0
	s_cbranch_vccnz .LBB1429_259
; %bb.251:
	v_mul_lo_u32 v18, v3, s26
	v_mul_lo_u32 v19, v2, s27
	v_mad_u64_u32 v[16:17], s[12:13], v2, s26, 0
	v_add3_u32 v17, v17, v19, v18
	v_mul_lo_u32 v18, v5, s26
	v_mul_lo_u32 v19, v4, s27
	v_mad_u64_u32 v[20:21], s[12:13], v4, s26, 0
	v_add3_u32 v21, v21, v19, v18
	v_lshl_add_u64 v[18:19], v[16:17], 1, s[28:29]
	v_lshl_add_u64 v[16:17], v[20:21], 1, s[28:29]
	global_load_ushort v20, v[18:19], off
	global_load_ushort v21, v[16:17], off
	s_mov_b64 s[18:19], -1
	s_waitcnt vmcnt(0)
	v_cmp_eq_u16_e32 vcc, v20, v21
	s_and_saveexec_b64 s[12:13], vcc
	s_cbranch_execz .LBB1429_258
; %bb.252:
	s_add_u32 s18, s26, -1
	v_lshl_add_u64 v[16:17], v[16:17], 0, 2
	v_lshl_add_u64 v[18:19], v[18:19], 0, 2
	s_addc_u32 s19, s27, -1
	s_mov_b64 s[36:37], 0
	s_mov_b64 s[40:41], 0
                                        ; implicit-def: $sgpr38_sgpr39
	s_branch .LBB1429_255
.LBB1429_253:                           ;   in Loop: Header=BB1429_255 Depth=1
	global_load_ushort v20, v[18:19], off
	global_load_ushort v21, v[16:17], off
	s_add_u32 s40, s40, 1
	s_addc_u32 s41, s41, 0
	s_andn2_b64 s[38:39], s[38:39], exec
	v_lshl_add_u64 v[16:17], v[16:17], 0, 2
	v_lshl_add_u64 v[18:19], v[18:19], 0, 2
	s_waitcnt vmcnt(0)
	v_cmp_ne_u16_e32 vcc, v20, v21
	s_and_b64 s[42:43], vcc, exec
	s_or_b64 s[38:39], s[38:39], s[42:43]
.LBB1429_254:                           ;   in Loop: Header=BB1429_255 Depth=1
	s_and_b64 s[42:43], exec, s[38:39]
	s_or_b64 s[36:37], s[42:43], s[36:37]
	v_mov_b64_e32 v[20:21], s[40:41]
	s_andn2_b64 exec, exec, s[36:37]
	s_cbranch_execz .LBB1429_257
.LBB1429_255:                           ; =>This Inner Loop Header: Depth=1
	s_or_b64 s[38:39], s[38:39], exec
	s_cmp_eq_u64 s[18:19], s[40:41]
	s_cbranch_scc0 .LBB1429_253
; %bb.256:                              ;   in Loop: Header=BB1429_255 Depth=1
                                        ; implicit-def: $vgpr16_vgpr17
                                        ; implicit-def: $vgpr18_vgpr19
	s_mov_b64 s[40:41], s[26:27]
	s_branch .LBB1429_254
.LBB1429_257:
	s_or_b64 exec, exec, s[36:37]
	v_cmp_gt_i64_e32 vcc, s[26:27], v[20:21]
	s_orn2_b64 s[18:19], vcc, exec
.LBB1429_258:
	s_or_b64 exec, exec, s[12:13]
.LBB1429_259:
	s_and_b64 s[12:13], s[18:19], exec
.LBB1429_260:
	s_or_b64 exec, exec, s[14:15]
	v_cmp_gt_u32_e32 vcc, s3, v26
	s_mov_b64 s[18:19], 0
	s_mov_b64 s[14:15], 0
	s_and_saveexec_b64 s[36:37], vcc
	s_cbranch_execz .LBB1429_271
; %bb.261:
	s_andn2_b64 vcc, exec, s[6:7]
	s_mov_b64 s[38:39], 0
	s_cbranch_vccnz .LBB1429_270
; %bb.262:
	v_mul_lo_u32 v18, v9, s26
	v_mul_lo_u32 v19, v8, s27
	v_mad_u64_u32 v[16:17], s[14:15], v8, s26, 0
	v_add3_u32 v17, v17, v19, v18
	v_mul_lo_u32 v18, v3, s26
	v_mul_lo_u32 v19, v2, s27
	v_mad_u64_u32 v[20:21], s[14:15], v2, s26, 0
	v_add3_u32 v21, v21, v19, v18
	v_lshl_add_u64 v[18:19], v[16:17], 1, s[28:29]
	v_lshl_add_u64 v[16:17], v[20:21], 1, s[28:29]
	global_load_ushort v20, v[18:19], off
	global_load_ushort v21, v[16:17], off
	s_mov_b64 s[38:39], -1
	s_waitcnt vmcnt(0)
	v_cmp_eq_u16_e32 vcc, v20, v21
	s_and_saveexec_b64 s[14:15], vcc
	s_cbranch_execz .LBB1429_269
; %bb.263:
	s_add_u32 s38, s26, -1
	v_lshl_add_u64 v[16:17], v[16:17], 0, 2
	v_lshl_add_u64 v[18:19], v[18:19], 0, 2
	s_addc_u32 s39, s27, -1
	s_mov_b64 s[40:41], 0
	s_mov_b64 s[44:45], 0
                                        ; implicit-def: $sgpr42_sgpr43
	s_branch .LBB1429_266
.LBB1429_264:                           ;   in Loop: Header=BB1429_266 Depth=1
	global_load_ushort v20, v[18:19], off
	global_load_ushort v21, v[16:17], off
	s_add_u32 s44, s44, 1
	s_addc_u32 s45, s45, 0
	s_andn2_b64 s[42:43], s[42:43], exec
	v_lshl_add_u64 v[16:17], v[16:17], 0, 2
	v_lshl_add_u64 v[18:19], v[18:19], 0, 2
	s_waitcnt vmcnt(0)
	v_cmp_ne_u16_e32 vcc, v20, v21
	s_and_b64 s[46:47], vcc, exec
	s_or_b64 s[42:43], s[42:43], s[46:47]
.LBB1429_265:                           ;   in Loop: Header=BB1429_266 Depth=1
	s_and_b64 s[46:47], exec, s[42:43]
	s_or_b64 s[40:41], s[46:47], s[40:41]
	v_mov_b64_e32 v[20:21], s[44:45]
	s_andn2_b64 exec, exec, s[40:41]
	s_cbranch_execz .LBB1429_268
.LBB1429_266:                           ; =>This Inner Loop Header: Depth=1
	s_or_b64 s[42:43], s[42:43], exec
	s_cmp_eq_u64 s[38:39], s[44:45]
	s_cbranch_scc0 .LBB1429_264
; %bb.267:                              ;   in Loop: Header=BB1429_266 Depth=1
                                        ; implicit-def: $vgpr16_vgpr17
                                        ; implicit-def: $vgpr18_vgpr19
	s_mov_b64 s[44:45], s[26:27]
	s_branch .LBB1429_265
.LBB1429_268:
	s_or_b64 exec, exec, s[40:41]
	v_cmp_gt_i64_e32 vcc, s[26:27], v[20:21]
	s_orn2_b64 s[38:39], vcc, exec
.LBB1429_269:
	s_or_b64 exec, exec, s[14:15]
.LBB1429_270:
	s_and_b64 s[14:15], s[38:39], exec
.LBB1429_271:
	s_or_b64 exec, exec, s[36:37]
	v_cmp_gt_u32_e32 vcc, s3, v28
	s_and_saveexec_b64 s[36:37], vcc
	s_cbranch_execz .LBB1429_282
; %bb.272:
	s_andn2_b64 vcc, exec, s[6:7]
	s_mov_b64 s[38:39], 0
	s_cbranch_vccnz .LBB1429_281
; %bb.273:
	v_mul_lo_u32 v18, v7, s26
	v_mul_lo_u32 v19, v6, s27
	v_mad_u64_u32 v[16:17], s[18:19], v6, s26, 0
	v_add3_u32 v17, v17, v19, v18
	v_mul_lo_u32 v18, v9, s26
	v_mul_lo_u32 v19, v8, s27
	v_mad_u64_u32 v[20:21], s[18:19], v8, s26, 0
	v_add3_u32 v21, v21, v19, v18
	v_lshl_add_u64 v[18:19], v[16:17], 1, s[28:29]
	v_lshl_add_u64 v[16:17], v[20:21], 1, s[28:29]
	global_load_ushort v20, v[18:19], off
	global_load_ushort v21, v[16:17], off
	s_mov_b64 s[38:39], -1
	s_waitcnt vmcnt(0)
	v_cmp_eq_u16_e32 vcc, v20, v21
	s_and_saveexec_b64 s[18:19], vcc
	s_cbranch_execz .LBB1429_280
; %bb.274:
	s_add_u32 s38, s26, -1
	v_lshl_add_u64 v[16:17], v[16:17], 0, 2
	v_lshl_add_u64 v[18:19], v[18:19], 0, 2
	s_addc_u32 s39, s27, -1
	s_mov_b64 s[40:41], 0
	s_mov_b64 s[44:45], 0
                                        ; implicit-def: $sgpr42_sgpr43
	s_branch .LBB1429_277
.LBB1429_275:                           ;   in Loop: Header=BB1429_277 Depth=1
	global_load_ushort v20, v[18:19], off
	global_load_ushort v21, v[16:17], off
	s_add_u32 s44, s44, 1
	s_addc_u32 s45, s45, 0
	s_andn2_b64 s[42:43], s[42:43], exec
	v_lshl_add_u64 v[16:17], v[16:17], 0, 2
	v_lshl_add_u64 v[18:19], v[18:19], 0, 2
	s_waitcnt vmcnt(0)
	v_cmp_ne_u16_e32 vcc, v20, v21
	s_and_b64 s[46:47], vcc, exec
	s_or_b64 s[42:43], s[42:43], s[46:47]
.LBB1429_276:                           ;   in Loop: Header=BB1429_277 Depth=1
	s_and_b64 s[46:47], exec, s[42:43]
	s_or_b64 s[40:41], s[46:47], s[40:41]
	v_mov_b64_e32 v[20:21], s[44:45]
	s_andn2_b64 exec, exec, s[40:41]
	s_cbranch_execz .LBB1429_279
.LBB1429_277:                           ; =>This Inner Loop Header: Depth=1
	s_or_b64 s[42:43], s[42:43], exec
	s_cmp_eq_u64 s[38:39], s[44:45]
	s_cbranch_scc0 .LBB1429_275
; %bb.278:                              ;   in Loop: Header=BB1429_277 Depth=1
                                        ; implicit-def: $vgpr16_vgpr17
                                        ; implicit-def: $vgpr18_vgpr19
	s_mov_b64 s[44:45], s[26:27]
	s_branch .LBB1429_276
.LBB1429_279:
	s_or_b64 exec, exec, s[40:41]
	v_cmp_gt_i64_e32 vcc, s[26:27], v[20:21]
	s_orn2_b64 s[38:39], vcc, exec
.LBB1429_280:
	s_or_b64 exec, exec, s[18:19]
.LBB1429_281:
	s_and_b64 s[18:19], s[38:39], exec
.LBB1429_282:
	s_or_b64 exec, exec, s[36:37]
	v_cmp_gt_u32_e32 vcc, s3, v24
	s_mov_b64 s[36:37], 0
	s_mov_b64 s[38:39], 0
	s_and_saveexec_b64 s[40:41], vcc
	s_cbranch_execz .LBB1429_293
; %bb.283:
	s_andn2_b64 vcc, exec, s[6:7]
	s_mov_b64 s[42:43], 0
	s_cbranch_vccnz .LBB1429_292
; %bb.284:
	v_mul_lo_u32 v18, v13, s26
	v_mul_lo_u32 v19, v12, s27
	v_mad_u64_u32 v[16:17], s[38:39], v12, s26, 0
	v_add3_u32 v17, v17, v19, v18
	v_mul_lo_u32 v18, v7, s26
	v_mul_lo_u32 v19, v6, s27
	v_mad_u64_u32 v[20:21], s[38:39], v6, s26, 0
	v_add3_u32 v21, v21, v19, v18
	v_lshl_add_u64 v[18:19], v[16:17], 1, s[28:29]
	v_lshl_add_u64 v[16:17], v[20:21], 1, s[28:29]
	global_load_ushort v20, v[18:19], off
	global_load_ushort v21, v[16:17], off
	s_mov_b64 s[42:43], -1
	s_waitcnt vmcnt(0)
	v_cmp_eq_u16_e32 vcc, v20, v21
	s_and_saveexec_b64 s[38:39], vcc
	s_cbranch_execz .LBB1429_291
; %bb.285:
	s_add_u32 s42, s26, -1
	v_lshl_add_u64 v[16:17], v[16:17], 0, 2
	v_lshl_add_u64 v[18:19], v[18:19], 0, 2
	s_addc_u32 s43, s27, -1
	s_mov_b64 s[44:45], 0
	s_mov_b64 s[48:49], 0
                                        ; implicit-def: $sgpr46_sgpr47
	s_branch .LBB1429_288
.LBB1429_286:                           ;   in Loop: Header=BB1429_288 Depth=1
	global_load_ushort v20, v[18:19], off
	global_load_ushort v21, v[16:17], off
	s_add_u32 s48, s48, 1
	s_addc_u32 s49, s49, 0
	s_andn2_b64 s[46:47], s[46:47], exec
	v_lshl_add_u64 v[16:17], v[16:17], 0, 2
	v_lshl_add_u64 v[18:19], v[18:19], 0, 2
	s_waitcnt vmcnt(0)
	v_cmp_ne_u16_e32 vcc, v20, v21
	s_and_b64 s[50:51], vcc, exec
	s_or_b64 s[46:47], s[46:47], s[50:51]
.LBB1429_287:                           ;   in Loop: Header=BB1429_288 Depth=1
	s_and_b64 s[50:51], exec, s[46:47]
	s_or_b64 s[44:45], s[50:51], s[44:45]
	v_mov_b64_e32 v[20:21], s[48:49]
	s_andn2_b64 exec, exec, s[44:45]
	s_cbranch_execz .LBB1429_290
.LBB1429_288:                           ; =>This Inner Loop Header: Depth=1
	s_or_b64 s[46:47], s[46:47], exec
	s_cmp_eq_u64 s[42:43], s[48:49]
	s_cbranch_scc0 .LBB1429_286
; %bb.289:                              ;   in Loop: Header=BB1429_288 Depth=1
                                        ; implicit-def: $vgpr16_vgpr17
                                        ; implicit-def: $vgpr18_vgpr19
	s_mov_b64 s[48:49], s[26:27]
	s_branch .LBB1429_287
.LBB1429_290:
	s_or_b64 exec, exec, s[44:45]
	v_cmp_gt_i64_e32 vcc, s[26:27], v[20:21]
	s_orn2_b64 s[42:43], vcc, exec
.LBB1429_291:
	s_or_b64 exec, exec, s[38:39]
.LBB1429_292:
	s_and_b64 s[38:39], s[42:43], exec
.LBB1429_293:
	s_or_b64 exec, exec, s[40:41]
	v_cmp_gt_u32_e32 vcc, s3, v25
	s_and_saveexec_b64 s[40:41], vcc
	s_cbranch_execz .LBB1429_304
; %bb.294:
	s_andn2_b64 vcc, exec, s[6:7]
	s_mov_b64 s[42:43], 0
	s_cbranch_vccnz .LBB1429_303
; %bb.295:
	v_mul_lo_u32 v18, v11, s26
	v_mul_lo_u32 v19, v10, s27
	v_mad_u64_u32 v[16:17], s[36:37], v10, s26, 0
	v_add3_u32 v17, v17, v19, v18
	v_mul_lo_u32 v18, v13, s26
	v_mul_lo_u32 v19, v12, s27
	v_mad_u64_u32 v[20:21], s[36:37], v12, s26, 0
	v_add3_u32 v21, v21, v19, v18
	v_lshl_add_u64 v[18:19], v[16:17], 1, s[28:29]
	v_lshl_add_u64 v[16:17], v[20:21], 1, s[28:29]
	global_load_ushort v20, v[18:19], off
	global_load_ushort v21, v[16:17], off
	s_mov_b64 s[42:43], -1
	s_waitcnt vmcnt(0)
	v_cmp_eq_u16_e32 vcc, v20, v21
	s_and_saveexec_b64 s[36:37], vcc
	s_cbranch_execz .LBB1429_302
; %bb.296:
	s_add_u32 s42, s26, -1
	v_lshl_add_u64 v[16:17], v[16:17], 0, 2
	v_lshl_add_u64 v[18:19], v[18:19], 0, 2
	s_addc_u32 s43, s27, -1
	s_mov_b64 s[44:45], 0
	s_mov_b64 s[48:49], 0
                                        ; implicit-def: $sgpr46_sgpr47
	s_branch .LBB1429_299
.LBB1429_297:                           ;   in Loop: Header=BB1429_299 Depth=1
	global_load_ushort v20, v[18:19], off
	global_load_ushort v21, v[16:17], off
	s_add_u32 s48, s48, 1
	s_addc_u32 s49, s49, 0
	s_andn2_b64 s[46:47], s[46:47], exec
	v_lshl_add_u64 v[16:17], v[16:17], 0, 2
	v_lshl_add_u64 v[18:19], v[18:19], 0, 2
	s_waitcnt vmcnt(0)
	v_cmp_ne_u16_e32 vcc, v20, v21
	s_and_b64 s[50:51], vcc, exec
	s_or_b64 s[46:47], s[46:47], s[50:51]
.LBB1429_298:                           ;   in Loop: Header=BB1429_299 Depth=1
	s_and_b64 s[50:51], exec, s[46:47]
	s_or_b64 s[44:45], s[50:51], s[44:45]
	v_mov_b64_e32 v[20:21], s[48:49]
	s_andn2_b64 exec, exec, s[44:45]
	s_cbranch_execz .LBB1429_301
.LBB1429_299:                           ; =>This Inner Loop Header: Depth=1
	s_or_b64 s[46:47], s[46:47], exec
	s_cmp_eq_u64 s[42:43], s[48:49]
	s_cbranch_scc0 .LBB1429_297
; %bb.300:                              ;   in Loop: Header=BB1429_299 Depth=1
                                        ; implicit-def: $vgpr16_vgpr17
                                        ; implicit-def: $vgpr18_vgpr19
	s_mov_b64 s[48:49], s[26:27]
	s_branch .LBB1429_298
.LBB1429_301:
	s_or_b64 exec, exec, s[44:45]
	v_cmp_gt_i64_e32 vcc, s[26:27], v[20:21]
	s_orn2_b64 s[42:43], vcc, exec
.LBB1429_302:
	s_or_b64 exec, exec, s[36:37]
.LBB1429_303:
	s_and_b64 s[36:37], s[42:43], exec
.LBB1429_304:
	s_or_b64 exec, exec, s[40:41]
	v_cndmask_b32_e64 v17, 0, 1, s[18:19]
	v_cndmask_b32_e64 v16, 0, 1, s[38:39]
	;; [unrolled: 1-line block ×3, first 2 shown]
	v_lshlrev_b16_e32 v17, 8, v17
	v_cndmask_b32_e64 v32, 0, 1, s[14:15]
	v_cndmask_b32_e64 v18, 0, 1, s[36:37]
	v_or_b32_sdwa v16, v16, v17 dst_sel:WORD_1 dst_unused:UNUSED_PAD src0_sel:DWORD src1_sel:DWORD
	v_lshlrev_b16_e32 v17, 8, v33
	v_lshlrev_b16_e32 v18, 8, v18
	v_or_b32_e32 v17, v32, v17
	v_or_b32_e32 v18, 1, v18
	v_and_b32_e32 v17, 0xffff, v17
	v_cndmask_b32_e64 v34, 0, 1, s[4:5]
	v_or_b32_sdwa v16, v18, v16 dst_sel:DWORD dst_unused:UNUSED_PAD src0_sel:WORD_0 src1_sel:DWORD
	v_lshl_or_b32 v17, v34, 16, v17
	v_cmp_ne_u32_e32 vcc, 0, v0
	s_waitcnt lgkmcnt(0)
	s_barrier
	s_waitcnt lgkmcnt(0)
                                        ; implicit-def: $sgpr18_sgpr19
                                        ; implicit-def: $vgpr20
	s_and_saveexec_b64 s[4:5], vcc
	s_cbranch_execz .LBB1429_317
; %bb.305:
	v_cmp_gt_u32_e32 vcc, s3, v1
	s_mov_b32 s33, 0x3020104
	s_mov_b64 s[14:15], 0
	s_and_saveexec_b64 s[12:13], vcc
	s_cbranch_execz .LBB1429_316
; %bb.306:
	s_andn2_b64 vcc, exec, s[6:7]
	s_cbranch_vccnz .LBB1429_315
; %bb.307:
	v_add_u32_e32 v17, -8, v30
	ds_read_b64 v[18:19], v17
	v_mul_lo_u32 v17, v11, s26
	v_mad_u64_u32 v[22:23], s[6:7], v10, s26, 0
	s_mov_b64 s[14:15], -1
	s_waitcnt lgkmcnt(0)
	v_mul_lo_u32 v20, v19, s26
	v_mul_lo_u32 v21, v18, s27
	v_mad_u64_u32 v[18:19], s[6:7], v18, s26, 0
	v_add3_u32 v19, v19, v21, v20
	v_mul_lo_u32 v20, v10, s27
	v_add3_u32 v23, v23, v20, v17
	v_lshl_add_u64 v[20:21], v[18:19], 1, s[28:29]
	v_lshl_add_u64 v[18:19], v[22:23], 1, s[28:29]
	global_load_ushort v17, v[20:21], off
	global_load_ushort v22, v[18:19], off
	s_waitcnt vmcnt(0)
	v_cmp_eq_u16_e32 vcc, v17, v22
	s_and_saveexec_b64 s[6:7], vcc
	s_cbranch_execz .LBB1429_314
; %bb.308:
	s_add_u32 s14, s26, -1
	v_lshl_add_u64 v[18:19], v[18:19], 0, 2
	v_lshl_add_u64 v[20:21], v[20:21], 0, 2
	s_addc_u32 s15, s27, -1
	s_mov_b64 s[18:19], 0
	s_mov_b64 s[36:37], 0
                                        ; implicit-def: $sgpr28_sgpr29
	s_branch .LBB1429_311
.LBB1429_309:                           ;   in Loop: Header=BB1429_311 Depth=1
	global_load_ushort v17, v[20:21], off
	global_load_ushort v22, v[18:19], off
	s_add_u32 s36, s36, 1
	s_addc_u32 s37, s37, 0
	s_andn2_b64 s[28:29], s[28:29], exec
	v_lshl_add_u64 v[18:19], v[18:19], 0, 2
	v_lshl_add_u64 v[20:21], v[20:21], 0, 2
	s_waitcnt vmcnt(0)
	v_cmp_ne_u16_e32 vcc, v17, v22
	s_and_b64 s[38:39], vcc, exec
	s_or_b64 s[28:29], s[28:29], s[38:39]
.LBB1429_310:                           ;   in Loop: Header=BB1429_311 Depth=1
	s_and_b64 s[38:39], exec, s[28:29]
	s_or_b64 s[18:19], s[38:39], s[18:19]
	v_mov_b64_e32 v[22:23], s[36:37]
	s_andn2_b64 exec, exec, s[18:19]
	s_cbranch_execz .LBB1429_313
.LBB1429_311:                           ; =>This Inner Loop Header: Depth=1
	s_or_b64 s[28:29], s[28:29], exec
	s_cmp_eq_u64 s[14:15], s[36:37]
	s_cbranch_scc0 .LBB1429_309
; %bb.312:                              ;   in Loop: Header=BB1429_311 Depth=1
                                        ; implicit-def: $vgpr18_vgpr19
                                        ; implicit-def: $vgpr20_vgpr21
	s_mov_b64 s[36:37], s[26:27]
	s_branch .LBB1429_310
.LBB1429_313:
	s_or_b64 exec, exec, s[18:19]
	v_cmp_gt_i64_e32 vcc, s[26:27], v[22:23]
	s_orn2_b64 s[14:15], vcc, exec
.LBB1429_314:
	s_or_b64 exec, exec, s[6:7]
.LBB1429_315:
	s_and_b64 s[14:15], s[14:15], exec
.LBB1429_316:
	s_or_b64 exec, exec, s[12:13]
	v_perm_b32 v20, v16, v16, s33
	s_and_b64 s[18:19], s[14:15], exec
	s_or_b64 s[10:11], s[10:11], exec
                                        ; implicit-def: $vgpr16_vgpr17
.LBB1429_317:
	s_or_b64 exec, exec, s[4:5]
.LBB1429_318:
	s_and_saveexec_b64 s[4:5], s[10:11]
	s_cbranch_execz .LBB1429_320
; %bb.319:
	s_waitcnt lgkmcnt(0)
	v_lshlrev_b16_e32 v17, 8, v33
	v_and_b32_e32 v18, 0xff, v34
	v_or_b32_sdwa v17, v32, v17 dst_sel:DWORD dst_unused:UNUSED_PAD src0_sel:BYTE_0 src1_sel:DWORD
	v_lshlrev_b32_e32 v18, 16, v18
	s_movk_i32 s6, 0xff
	v_or_b32_sdwa v17, v17, v18 dst_sel:DWORD dst_unused:UNUSED_PAD src0_sel:WORD_0 src1_sel:DWORD
	v_lshrrev_b32_e32 v18, 24, v20
	v_lshlrev_b16_e32 v18, 8, v18
	v_and_b32_sdwa v19, v20, s6 dst_sel:DWORD dst_unused:UNUSED_PAD src0_sel:WORD_1 src1_sel:DWORD
	v_or_b32_sdwa v18, v19, v18 dst_sel:WORD_1 dst_unused:UNUSED_PAD src0_sel:DWORD src1_sel:DWORD
	v_mov_b32_e32 v19, 8
	v_cndmask_b32_e64 v16, 0, 1, s[18:19]
	v_lshrrev_b32_sdwa v19, v19, v20 dst_sel:BYTE_1 dst_unused:UNUSED_PAD src0_sel:DWORD src1_sel:DWORD
	s_nop 0
	v_or_b32_e32 v16, v16, v19
	v_or_b32_sdwa v16, v16, v18 dst_sel:DWORD dst_unused:UNUSED_PAD src0_sel:WORD_0 src1_sel:DWORD
.LBB1429_320:
	s_or_b64 exec, exec, s[4:5]
	s_andn2_b64 vcc, exec, s[8:9]
	s_cbranch_vccnz .LBB1429_322
; %bb.321:
	s_waitcnt lgkmcnt(0)
	v_and_b32_e32 v18, 0xffff0000, v16
	v_cmp_gt_u32_e32 vcc, s3, v1
	s_mov_b32 s4, 0x40c0100
	s_nop 0
	v_cndmask_b32_e32 v1, v18, v16, vcc
	v_and_b32_e32 v1, 0xffff00ff, v1
	v_cmp_gt_u32_e32 vcc, s3, v25
	s_nop 1
	v_cndmask_b32_e32 v1, v1, v16, vcc
	v_lshrrev_b32_e32 v18, 24, v1
	v_perm_b32 v1, v18, v1, s4
	v_cmp_gt_u32_e32 vcc, s3, v24
	v_and_b32_e32 v18, 0xffffff00, v17
	s_nop 0
	v_cndmask_b32_e32 v1, v1, v16, vcc
	v_and_b32_e32 v1, 0xffffff, v1
	v_cmp_gt_u32_e32 vcc, s3, v28
	s_nop 1
	v_cndmask_b32_e32 v1, v1, v16, vcc
	v_cmp_gt_u32_e32 vcc, s3, v26
	s_nop 1
	v_cndmask_b32_e32 v18, v18, v17, vcc
	v_and_b32_e32 v18, 0xffff00ff, v18
	v_cndmask_b32_e32 v1, v1, v16, vcc
	v_cmp_gt_u32_e32 vcc, s3, v29
	s_nop 1
	v_cndmask_b32_e32 v18, v18, v17, vcc
	v_lshrrev_b32_e32 v19, 24, v18
	v_cndmask_b32_e32 v1, v1, v16, vcc
	v_perm_b32 v18, v19, v18, s4
	v_cmp_gt_u32_e32 vcc, s3, v27
	s_mov_b32 s3, 0x3020104
	s_nop 0
	v_cndmask_b32_e32 v1, v1, v16, vcc
	v_cndmask_b32_e32 v16, v18, v17, vcc
	v_mov_b32_e32 v17, 8
	v_lshrrev_b32_sdwa v17, v17, v16 dst_sel:BYTE_1 dst_unused:UNUSED_PAD src0_sel:DWORD src1_sel:DWORD
	s_nop 0
	v_or_b32_sdwa v17, v16, v17 dst_sel:DWORD dst_unused:UNUSED_PAD src0_sel:BYTE_0 src1_sel:DWORD
	v_and_b32_e32 v17, 0xffff, v17
	v_bfe_u32 v16, v16, 16, 8
	v_lshl_or_b32 v17, v16, 16, v17
	v_perm_b32 v16, v1, v1, s3
.LBB1429_322:
	s_waitcnt lgkmcnt(0)
	v_and_b32_e32 v1, 0xff, v16
	v_bfe_u32 v29, v16, 8, 8
	v_bfe_u32 v31, v16, 16, 8
	v_alignbit_b32 v18, v17, v16, 24
	v_and_b32_e32 v33, 0xff, v18
	v_and_b32_e32 v35, 0xff, v17
	v_add3_u32 v19, v29, v1, v31
	v_bfe_u32 v36, v17, 8, 8
	v_bfe_u32 v18, v17, 16, 8
	v_add3_u32 v19, v19, v33, v35
	v_add3_u32 v39, v19, v36, v18
	v_mbcnt_lo_u32_b32 v18, -1, 0
	v_mbcnt_hi_u32_b32 v37, -1, v18
	v_and_b32_e32 v18, 15, v37
	v_cmp_eq_u32_e64 s[14:15], 0, v18
	v_cmp_lt_u32_e64 s[12:13], 1, v18
	v_cmp_lt_u32_e64 s[10:11], 3, v18
	v_cmp_lt_u32_e64 s[8:9], 7, v18
	v_and_b32_e32 v18, 16, v37
	v_cmp_eq_u32_e64 s[6:7], 0, v18
	v_or_b32_e32 v18, 63, v0
	v_cmp_lt_u32_e64 s[18:19], 31, v37
	v_lshrrev_b32_e32 v38, 6, v0
	v_cmp_eq_u32_e64 s[4:5], v18, v0
	s_and_b64 vcc, exec, s[16:17]
	s_barrier
	s_cbranch_vccz .LBB1429_349
; %bb.323:
	v_mov_b32_dpp v18, v39 row_shr:1 row_mask:0xf bank_mask:0xf
	v_cndmask_b32_e64 v18, v18, 0, s[14:15]
	v_add_u32_e32 v18, v18, v39
	s_nop 1
	v_mov_b32_dpp v19, v18 row_shr:2 row_mask:0xf bank_mask:0xf
	v_cndmask_b32_e64 v19, 0, v19, s[12:13]
	v_add_u32_e32 v18, v18, v19
	s_nop 1
	;; [unrolled: 4-line block ×4, first 2 shown]
	v_mov_b32_dpp v19, v18 row_bcast:15 row_mask:0xf bank_mask:0xf
	v_cndmask_b32_e64 v19, v19, 0, s[6:7]
	v_add_u32_e32 v18, v18, v19
	s_nop 1
	v_mov_b32_dpp v19, v18 row_bcast:31 row_mask:0xf bank_mask:0xf
	v_cndmask_b32_e64 v19, 0, v19, s[18:19]
	v_add_u32_e32 v18, v18, v19
	s_and_saveexec_b64 s[16:17], s[4:5]
	s_cbranch_execz .LBB1429_325
; %bb.324:
	v_lshlrev_b32_e32 v19, 2, v38
	ds_write_b32 v19, v18
.LBB1429_325:
	s_or_b64 exec, exec, s[16:17]
	v_cmp_gt_u32_e32 vcc, 8, v0
	s_waitcnt lgkmcnt(0)
	s_barrier
	s_and_saveexec_b64 s[16:17], vcc
	s_cbranch_execz .LBB1429_327
; %bb.326:
	v_lshlrev_b32_e32 v19, 2, v0
	ds_read_b32 v20, v19
	v_and_b32_e32 v21, 7, v37
	v_cmp_ne_u32_e32 vcc, 0, v21
	s_waitcnt lgkmcnt(0)
	v_mov_b32_dpp v22, v20 row_shr:1 row_mask:0xf bank_mask:0xf
	v_cndmask_b32_e32 v22, 0, v22, vcc
	v_add_u32_e32 v20, v22, v20
	v_cmp_lt_u32_e32 vcc, 1, v21
	s_nop 0
	v_mov_b32_dpp v22, v20 row_shr:2 row_mask:0xf bank_mask:0xf
	v_cndmask_b32_e32 v22, 0, v22, vcc
	v_add_u32_e32 v20, v20, v22
	v_cmp_lt_u32_e32 vcc, 3, v21
	s_nop 0
	v_mov_b32_dpp v22, v20 row_shr:4 row_mask:0xf bank_mask:0xf
	v_cndmask_b32_e32 v21, 0, v22, vcc
	v_add_u32_e32 v20, v20, v21
	ds_write_b32 v19, v20
.LBB1429_327:
	s_or_b64 exec, exec, s[16:17]
	v_cmp_gt_u32_e32 vcc, 64, v0
	v_cmp_lt_u32_e64 s[16:17], 63, v0
	s_waitcnt lgkmcnt(0)
	s_barrier
	s_waitcnt lgkmcnt(0)
                                        ; implicit-def: $vgpr28
	s_and_saveexec_b64 s[26:27], s[16:17]
	s_cbranch_execz .LBB1429_329
; %bb.328:
	v_lshl_add_u32 v19, v38, 2, -4
	ds_read_b32 v28, v19
	s_waitcnt lgkmcnt(0)
	v_add_u32_e32 v18, v28, v18
.LBB1429_329:
	s_or_b64 exec, exec, s[26:27]
	v_add_u32_e32 v19, -1, v37
	v_and_b32_e32 v20, 64, v37
	v_cmp_lt_i32_e64 s[16:17], v19, v20
	s_nop 1
	v_cndmask_b32_e64 v19, v19, v37, s[16:17]
	v_lshlrev_b32_e32 v19, 2, v19
	ds_bpermute_b32 v30, v19, v18
	v_cmp_eq_u32_e64 s[16:17], 0, v37
	s_and_saveexec_b64 s[26:27], vcc
	s_cbranch_execz .LBB1429_348
; %bb.330:
	v_mov_b32_e32 v25, 0
	ds_read_b32 v18, v25 offset:28
	s_and_saveexec_b64 s[28:29], s[16:17]
	s_cbranch_execz .LBB1429_332
; %bb.331:
	s_add_i32 s36, s2, 64
	s_mov_b32 s37, 0
	s_lshl_b64 s[36:37], s[36:37], 3
	s_add_u32 s36, s30, s36
	v_mov_b32_e32 v19, 1
	s_addc_u32 s37, s31, s37
	s_waitcnt lgkmcnt(0)
	global_store_dwordx2 v25, v[18:19], s[36:37] sc1
.LBB1429_332:
	s_or_b64 exec, exec, s[28:29]
	v_xad_u32 v20, v37, -1, s2
	v_add_u32_e32 v24, 64, v20
	v_lshl_add_u64 v[26:27], v[24:25], 3, s[30:31]
	global_load_dwordx2 v[22:23], v[26:27], off sc1
	s_waitcnt vmcnt(0)
	v_cmp_eq_u16_sdwa s[36:37], v23, v25 src0_sel:BYTE_0 src1_sel:DWORD
	s_and_saveexec_b64 s[28:29], s[36:37]
	s_cbranch_execz .LBB1429_336
; %bb.333:
	s_mov_b64 s[36:37], 0
	v_mov_b32_e32 v19, 0
.LBB1429_334:                           ; =>This Inner Loop Header: Depth=1
	global_load_dwordx2 v[22:23], v[26:27], off sc1
	s_waitcnt vmcnt(0)
	v_cmp_ne_u16_sdwa s[38:39], v23, v19 src0_sel:BYTE_0 src1_sel:DWORD
	s_or_b64 s[36:37], s[38:39], s[36:37]
	s_andn2_b64 exec, exec, s[36:37]
	s_cbranch_execnz .LBB1429_334
; %bb.335:
	s_or_b64 exec, exec, s[36:37]
.LBB1429_336:
	s_or_b64 exec, exec, s[28:29]
	v_and_b32_e32 v32, 63, v37
	v_mov_b32_e32 v19, 2
	v_cmp_ne_u32_e32 vcc, 63, v32
	v_cmp_eq_u16_sdwa s[28:29], v23, v19 src0_sel:BYTE_0 src1_sel:DWORD
	v_lshlrev_b64 v[24:25], v37, -1
	v_addc_co_u32_e32 v27, vcc, 0, v37, vcc
	v_and_b32_e32 v21, s29, v25
	v_lshlrev_b32_e32 v34, 2, v27
	v_or_b32_e32 v21, 0x80000000, v21
	ds_bpermute_b32 v27, v34, v22
	v_and_b32_e32 v26, s28, v24
	v_ffbl_b32_e32 v21, v21
	v_add_u32_e32 v21, 32, v21
	v_ffbl_b32_e32 v26, v26
	v_min_u32_e32 v21, v26, v21
	v_cmp_lt_u32_e32 vcc, v32, v21
	v_add_u32_e32 v41, 2, v32
	v_add_u32_e32 v43, 4, v32
	s_waitcnt lgkmcnt(0)
	v_cndmask_b32_e32 v26, 0, v27, vcc
	v_cmp_gt_u32_e32 vcc, 62, v32
	v_add_u32_e32 v22, v26, v22
	v_add_u32_e32 v45, 8, v32
	v_cndmask_b32_e64 v26, 0, 1, vcc
	v_lshlrev_b32_e32 v26, 1, v26
	v_add_lshl_u32 v40, v26, v37, 2
	ds_bpermute_b32 v26, v40, v22
	v_cmp_le_u32_e32 vcc, v41, v21
	v_add_u32_e32 v48, 16, v32
	v_add_u32_e32 v50, 32, v32
	s_waitcnt lgkmcnt(0)
	v_cndmask_b32_e32 v26, 0, v26, vcc
	v_cmp_gt_u32_e32 vcc, 60, v32
	v_add_u32_e32 v22, v22, v26
	s_nop 0
	v_cndmask_b32_e64 v26, 0, 1, vcc
	v_lshlrev_b32_e32 v26, 2, v26
	v_add_lshl_u32 v42, v26, v37, 2
	ds_bpermute_b32 v26, v42, v22
	v_cmp_le_u32_e32 vcc, v43, v21
	s_waitcnt lgkmcnt(0)
	s_nop 0
	v_cndmask_b32_e32 v26, 0, v26, vcc
	v_cmp_gt_u32_e32 vcc, 56, v32
	v_add_u32_e32 v22, v22, v26
	s_nop 0
	v_cndmask_b32_e64 v26, 0, 1, vcc
	v_lshlrev_b32_e32 v26, 3, v26
	v_add_lshl_u32 v44, v26, v37, 2
	ds_bpermute_b32 v26, v44, v22
	v_cmp_le_u32_e32 vcc, v45, v21
	s_waitcnt lgkmcnt(0)
	s_nop 0
	;; [unrolled: 11-line block ×4, first 2 shown]
	v_cndmask_b32_e32 v21, 0, v26, vcc
	v_add_u32_e32 v22, v22, v21
	v_mov_b32_e32 v21, 0
	s_branch .LBB1429_338
.LBB1429_337:                           ;   in Loop: Header=BB1429_338 Depth=1
	s_or_b64 exec, exec, s[28:29]
	v_cmp_eq_u16_sdwa s[28:29], v23, v19 src0_sel:BYTE_0 src1_sel:DWORD
	ds_bpermute_b32 v51, v34, v22
	v_subrev_u32_e32 v20, 64, v20
	v_and_b32_e32 v26, s29, v25
	v_or_b32_e32 v26, 0x80000000, v26
	v_and_b32_e32 v27, s28, v24
	v_ffbl_b32_e32 v26, v26
	v_add_u32_e32 v26, 32, v26
	v_ffbl_b32_e32 v27, v27
	v_min_u32_e32 v26, v27, v26
	v_cmp_lt_u32_e32 vcc, v32, v26
	s_waitcnt lgkmcnt(0)
	s_nop 0
	v_cndmask_b32_e32 v27, 0, v51, vcc
	v_add_u32_e32 v22, v27, v22
	ds_bpermute_b32 v27, v40, v22
	v_cmp_le_u32_e32 vcc, v41, v26
	s_waitcnt lgkmcnt(0)
	s_nop 0
	v_cndmask_b32_e32 v27, 0, v27, vcc
	v_add_u32_e32 v22, v22, v27
	ds_bpermute_b32 v27, v42, v22
	v_cmp_le_u32_e32 vcc, v43, v26
	;; [unrolled: 6-line block ×5, first 2 shown]
	s_waitcnt lgkmcnt(0)
	s_nop 0
	v_cndmask_b32_e32 v26, 0, v27, vcc
	v_add3_u32 v22, v26, v46, v22
.LBB1429_338:                           ; =>This Loop Header: Depth=1
                                        ;     Child Loop BB1429_341 Depth 2
	v_cmp_ne_u16_sdwa s[28:29], v23, v19 src0_sel:BYTE_0 src1_sel:DWORD
	v_mov_b32_e32 v46, v22
	s_nop 0
	v_cndmask_b32_e64 v23, 0, 1, s[28:29]
	;;#ASMSTART
	;;#ASMEND
	s_nop 0
	v_cmp_ne_u32_e32 vcc, 0, v23
	s_cmp_lg_u64 vcc, exec
	s_cbranch_scc1 .LBB1429_343
; %bb.339:                              ;   in Loop: Header=BB1429_338 Depth=1
	v_lshl_add_u64 v[26:27], v[20:21], 3, s[30:31]
	global_load_dwordx2 v[22:23], v[26:27], off sc1
	s_waitcnt vmcnt(0)
	v_cmp_eq_u16_sdwa s[36:37], v23, v21 src0_sel:BYTE_0 src1_sel:DWORD
	s_and_saveexec_b64 s[28:29], s[36:37]
	s_cbranch_execz .LBB1429_337
; %bb.340:                              ;   in Loop: Header=BB1429_338 Depth=1
	s_mov_b64 s[36:37], 0
.LBB1429_341:                           ;   Parent Loop BB1429_338 Depth=1
                                        ; =>  This Inner Loop Header: Depth=2
	global_load_dwordx2 v[22:23], v[26:27], off sc1
	s_waitcnt vmcnt(0)
	v_cmp_ne_u16_sdwa s[38:39], v23, v21 src0_sel:BYTE_0 src1_sel:DWORD
	s_or_b64 s[36:37], s[38:39], s[36:37]
	s_andn2_b64 exec, exec, s[36:37]
	s_cbranch_execnz .LBB1429_341
; %bb.342:                              ;   in Loop: Header=BB1429_338 Depth=1
	s_or_b64 exec, exec, s[36:37]
	s_branch .LBB1429_337
.LBB1429_343:                           ;   in Loop: Header=BB1429_338 Depth=1
                                        ; implicit-def: $vgpr22
                                        ; implicit-def: $vgpr23
	s_cbranch_execz .LBB1429_338
; %bb.344:
	s_and_saveexec_b64 s[28:29], s[16:17]
	s_cbranch_execz .LBB1429_346
; %bb.345:
	s_add_i32 s2, s2, 64
	s_mov_b32 s3, 0
	s_lshl_b64 s[2:3], s[2:3], 3
	s_add_u32 s2, s30, s2
	v_add_u32_e32 v20, v46, v18
	v_mov_b32_e32 v21, 2
	s_addc_u32 s3, s31, s3
	v_mov_b32_e32 v19, 0
	global_store_dwordx2 v19, v[20:21], s[2:3] sc1
	s_movk_i32 s2, 0x7000
	v_add_u32_e64 v19, s2, 0
	ds_write2_b32 v19, v18, v46 offset1:2
.LBB1429_346:
	s_or_b64 exec, exec, s[28:29]
	v_cmp_eq_u32_e32 vcc, 0, v0
	s_and_b64 exec, exec, vcc
	s_cbranch_execz .LBB1429_348
; %bb.347:
	v_mov_b32_e32 v18, 0
	ds_write_b32 v18, v46 offset:28
.LBB1429_348:
	s_or_b64 exec, exec, s[26:27]
	v_mov_b32_e32 v18, 0
	s_waitcnt lgkmcnt(0)
	s_barrier
	ds_read_b32 v18, v18 offset:28
	v_cndmask_b32_e64 v19, v30, v28, s[16:17]
	v_cmp_ne_u32_e32 vcc, 0, v0
	s_movk_i32 s2, 0x7000
	s_waitcnt lgkmcnt(0)
	v_cndmask_b32_e32 v19, 0, v19, vcc
	v_add_u32_e32 v34, v18, v19
	v_add_u32_e32 v32, v34, v1
	v_add_u32_e64 v18, s2, 0
	v_add_u32_e32 v30, v32, v29
	s_barrier
	ds_read2_b32 v[18:19], v18 offset1:2
	v_add_u32_e32 v28, v30, v31
	v_add_u32_e32 v26, v28, v33
	;; [unrolled: 1-line block ×4, first 2 shown]
	s_load_dwordx2 s[2:3], s[0:1], 0x28
	v_lshrrev_b64 v[20:21], 24, v[16:17]
	s_branch .LBB1429_359
.LBB1429_349:
                                        ; implicit-def: $vgpr22
                                        ; implicit-def: $vgpr24
                                        ; implicit-def: $vgpr26
                                        ; implicit-def: $vgpr28
                                        ; implicit-def: $vgpr30
                                        ; implicit-def: $vgpr32
                                        ; implicit-def: $vgpr34
                                        ; implicit-def: $vgpr19
	s_load_dwordx2 s[2:3], s[0:1], 0x28
	v_lshrrev_b64 v[20:21], 24, v[16:17]
	s_cbranch_execz .LBB1429_359
; %bb.350:
	s_waitcnt lgkmcnt(0)
	v_mov_b32_dpp v18, v39 row_shr:1 row_mask:0xf bank_mask:0xf
	v_cndmask_b32_e64 v18, v18, 0, s[14:15]
	v_add_u32_e32 v18, v18, v39
	s_nop 1
	v_mov_b32_dpp v19, v18 row_shr:2 row_mask:0xf bank_mask:0xf
	v_cndmask_b32_e64 v19, 0, v19, s[12:13]
	v_add_u32_e32 v18, v18, v19
	s_nop 1
	;; [unrolled: 4-line block ×4, first 2 shown]
	v_mov_b32_dpp v19, v18 row_bcast:15 row_mask:0xf bank_mask:0xf
	v_cndmask_b32_e64 v19, v19, 0, s[6:7]
	v_add_u32_e32 v18, v18, v19
	s_nop 1
	v_mov_b32_dpp v19, v18 row_bcast:31 row_mask:0xf bank_mask:0xf
	v_cndmask_b32_e64 v19, 0, v19, s[18:19]
	v_add_u32_e32 v18, v18, v19
	s_and_saveexec_b64 s[0:1], s[4:5]
	s_cbranch_execz .LBB1429_352
; %bb.351:
	v_lshlrev_b32_e32 v19, 2, v38
	ds_write_b32 v19, v18
.LBB1429_352:
	s_or_b64 exec, exec, s[0:1]
	v_cmp_gt_u32_e32 vcc, 8, v0
	s_waitcnt lgkmcnt(0)
	s_barrier
	s_and_saveexec_b64 s[0:1], vcc
	s_cbranch_execz .LBB1429_354
; %bb.353:
	v_lshlrev_b32_e32 v19, 2, v0
	ds_read_b32 v21, v19
	v_and_b32_e32 v22, 7, v37
	v_cmp_ne_u32_e32 vcc, 0, v22
	s_waitcnt lgkmcnt(0)
	v_mov_b32_dpp v23, v21 row_shr:1 row_mask:0xf bank_mask:0xf
	v_cndmask_b32_e32 v23, 0, v23, vcc
	v_add_u32_e32 v21, v23, v21
	v_cmp_lt_u32_e32 vcc, 1, v22
	s_nop 0
	v_mov_b32_dpp v23, v21 row_shr:2 row_mask:0xf bank_mask:0xf
	v_cndmask_b32_e32 v23, 0, v23, vcc
	v_add_u32_e32 v21, v21, v23
	v_cmp_lt_u32_e32 vcc, 3, v22
	s_nop 0
	v_mov_b32_dpp v23, v21 row_shr:4 row_mask:0xf bank_mask:0xf
	v_cndmask_b32_e32 v22, 0, v23, vcc
	v_add_u32_e32 v21, v21, v22
	ds_write_b32 v19, v21
.LBB1429_354:
	s_or_b64 exec, exec, s[0:1]
	v_cmp_lt_u32_e32 vcc, 63, v0
	v_mov_b32_e32 v19, 0
	v_mov_b32_e32 v21, 0
	s_waitcnt lgkmcnt(0)
	s_barrier
	s_and_saveexec_b64 s[0:1], vcc
	s_cbranch_execz .LBB1429_356
; %bb.355:
	v_lshl_add_u32 v21, v38, 2, -4
	ds_read_b32 v21, v21
.LBB1429_356:
	s_or_b64 exec, exec, s[0:1]
	v_add_u32_e32 v22, -1, v37
	v_and_b32_e32 v23, 64, v37
	v_cmp_lt_i32_e32 vcc, v22, v23
	s_waitcnt lgkmcnt(0)
	v_add_u32_e32 v18, v21, v18
	v_cndmask_b32_e32 v22, v22, v37, vcc
	v_lshlrev_b32_e32 v22, 2, v22
	ds_bpermute_b32 v22, v22, v18
	ds_read_b32 v18, v19 offset:28
	v_cmp_eq_u32_e32 vcc, 0, v0
	s_and_saveexec_b64 s[0:1], vcc
	s_cbranch_execz .LBB1429_358
; %bb.357:
	v_mov_b32_e32 v23, 0
	v_mov_b32_e32 v19, 2
	s_waitcnt lgkmcnt(0)
	global_store_dwordx2 v23, v[18:19], s[30:31] offset:512 sc1
.LBB1429_358:
	s_or_b64 exec, exec, s[0:1]
	v_cmp_eq_u32_e64 s[0:1], 0, v37
	v_mov_b32_e32 v19, 0
	s_waitcnt lgkmcnt(0)
	v_cndmask_b32_e64 v21, v22, v21, s[0:1]
	v_cndmask_b32_e64 v34, v21, 0, vcc
	v_add_u32_e32 v32, v34, v1
	v_add_u32_e32 v30, v32, v29
	;; [unrolled: 1-line block ×6, first 2 shown]
	s_barrier
.LBB1429_359:
	s_movk_i32 s0, 0x201
	s_waitcnt lgkmcnt(0)
	v_cmp_gt_u32_e32 vcc, s0, v18
	v_lshrrev_b32_e32 v21, 8, v16
	v_lshrrev_b32_e32 v1, 8, v17
	s_mov_b64 s[0:1], -1
	s_cbranch_vccnz .LBB1429_363
; %bb.360:
	s_and_b64 vcc, exec, s[0:1]
	s_cbranch_vccnz .LBB1429_385
.LBB1429_361:
	v_cmp_eq_u32_e32 vcc, 0, v0
	s_and_b64 s[0:1], vcc, s[24:25]
	s_and_saveexec_b64 s[2:3], s[0:1]
	s_cbranch_execnz .LBB1429_403
.LBB1429_362:
	s_endpgm
.LBB1429_363:
	v_add_u32_e32 v23, v19, v18
	v_cmp_lt_u32_e32 vcc, v34, v23
	s_or_b64 s[4:5], s[34:35], vcc
	s_and_saveexec_b64 s[0:1], s[4:5]
	s_cbranch_execz .LBB1429_366
; %bb.364:
	v_and_b32_e32 v25, 1, v16
	v_cmp_eq_u32_e32 vcc, 1, v25
	s_and_b64 exec, exec, vcc
	s_cbranch_execz .LBB1429_366
; %bb.365:
	s_lshl_b64 s[4:5], s[22:23], 3
	s_add_u32 s4, s2, s4
	s_addc_u32 s5, s3, s5
	v_mov_b32_e32 v35, 0
	v_lshl_add_u64 v[36:37], v[34:35], 3, s[4:5]
	global_store_dwordx2 v[36:37], v[10:11], off
.LBB1429_366:
	s_or_b64 exec, exec, s[0:1]
	v_cmp_lt_u32_e32 vcc, v32, v23
	s_or_b64 s[4:5], s[34:35], vcc
	s_and_saveexec_b64 s[0:1], s[4:5]
	s_cbranch_execz .LBB1429_369
; %bb.367:
	v_and_b32_e32 v25, 1, v21
	v_cmp_eq_u32_e32 vcc, 1, v25
	s_and_b64 exec, exec, vcc
	s_cbranch_execz .LBB1429_369
; %bb.368:
	s_lshl_b64 s[4:5], s[22:23], 3
	s_add_u32 s4, s2, s4
	s_addc_u32 s5, s3, s5
	v_mov_b32_e32 v33, 0
	v_lshl_add_u64 v[36:37], v[32:33], 3, s[4:5]
	global_store_dwordx2 v[36:37], v[12:13], off
.LBB1429_369:
	s_or_b64 exec, exec, s[0:1]
	v_cmp_lt_u32_e32 vcc, v30, v23
	s_or_b64 s[4:5], s[34:35], vcc
	s_and_saveexec_b64 s[0:1], s[4:5]
	s_cbranch_execz .LBB1429_372
; %bb.370:
	v_mov_b32_e32 v25, 1
	v_and_b32_sdwa v25, v25, v16 dst_sel:DWORD dst_unused:UNUSED_PAD src0_sel:DWORD src1_sel:WORD_1
	v_cmp_eq_u32_e32 vcc, 1, v25
	s_and_b64 exec, exec, vcc
	s_cbranch_execz .LBB1429_372
; %bb.371:
	s_lshl_b64 s[4:5], s[22:23], 3
	s_add_u32 s4, s2, s4
	s_addc_u32 s5, s3, s5
	v_mov_b32_e32 v31, 0
	v_lshl_add_u64 v[36:37], v[30:31], 3, s[4:5]
	global_store_dwordx2 v[36:37], v[6:7], off
.LBB1429_372:
	s_or_b64 exec, exec, s[0:1]
	v_cmp_lt_u32_e32 vcc, v28, v23
	s_or_b64 s[4:5], s[34:35], vcc
	s_and_saveexec_b64 s[0:1], s[4:5]
	s_cbranch_execz .LBB1429_375
; %bb.373:
	v_and_b32_e32 v25, 1, v20
	v_cmp_eq_u32_e32 vcc, 1, v25
	s_and_b64 exec, exec, vcc
	s_cbranch_execz .LBB1429_375
; %bb.374:
	s_lshl_b64 s[4:5], s[22:23], 3
	s_add_u32 s4, s2, s4
	s_addc_u32 s5, s3, s5
	v_mov_b32_e32 v29, 0
	v_lshl_add_u64 v[36:37], v[28:29], 3, s[4:5]
	global_store_dwordx2 v[36:37], v[8:9], off
.LBB1429_375:
	s_or_b64 exec, exec, s[0:1]
	v_cmp_lt_u32_e32 vcc, v26, v23
	s_or_b64 s[4:5], s[34:35], vcc
	s_and_saveexec_b64 s[0:1], s[4:5]
	s_cbranch_execz .LBB1429_378
; %bb.376:
	v_and_b32_e32 v25, 1, v17
	v_cmp_eq_u32_e32 vcc, 1, v25
	s_and_b64 exec, exec, vcc
	s_cbranch_execz .LBB1429_378
; %bb.377:
	s_lshl_b64 s[4:5], s[22:23], 3
	s_add_u32 s4, s2, s4
	s_addc_u32 s5, s3, s5
	v_mov_b32_e32 v27, 0
	v_lshl_add_u64 v[36:37], v[26:27], 3, s[4:5]
	global_store_dwordx2 v[36:37], v[2:3], off
.LBB1429_378:
	;; [unrolled: 18-line block ×3, first 2 shown]
	s_or_b64 exec, exec, s[0:1]
	v_cmp_lt_u32_e32 vcc, v22, v23
	s_or_b64 s[4:5], s[34:35], vcc
	s_and_saveexec_b64 s[0:1], s[4:5]
	s_cbranch_execz .LBB1429_384
; %bb.382:
	v_mov_b32_e32 v23, 1
	v_and_b32_sdwa v23, v23, v17 dst_sel:DWORD dst_unused:UNUSED_PAD src0_sel:DWORD src1_sel:WORD_1
	v_cmp_eq_u32_e32 vcc, 1, v23
	s_and_b64 exec, exec, vcc
	s_cbranch_execz .LBB1429_384
; %bb.383:
	s_lshl_b64 s[4:5], s[22:23], 3
	s_add_u32 s4, s2, s4
	s_addc_u32 s5, s3, s5
	v_mov_b32_e32 v23, 0
	v_lshl_add_u64 v[36:37], v[22:23], 3, s[4:5]
	global_store_dwordx2 v[36:37], v[14:15], off
.LBB1429_384:
	s_or_b64 exec, exec, s[0:1]
	s_branch .LBB1429_361
.LBB1429_385:
	v_and_b32_e32 v23, 1, v16
	v_cmp_eq_u32_e32 vcc, 1, v23
	s_and_saveexec_b64 s[0:1], vcc
	s_cbranch_execz .LBB1429_387
; %bb.386:
	v_sub_u32_e32 v23, v34, v19
	v_lshlrev_b32_e32 v23, 3, v23
	ds_write_b64 v23, v[10:11]
.LBB1429_387:
	s_or_b64 exec, exec, s[0:1]
	v_and_b32_e32 v10, 1, v21
	v_cmp_eq_u32_e32 vcc, 1, v10
	s_and_saveexec_b64 s[0:1], vcc
	s_cbranch_execz .LBB1429_389
; %bb.388:
	v_sub_u32_e32 v10, v32, v19
	v_lshlrev_b32_e32 v10, 3, v10
	ds_write_b64 v10, v[12:13]
.LBB1429_389:
	s_or_b64 exec, exec, s[0:1]
	v_mov_b32_e32 v10, 1
	v_and_b32_sdwa v10, v10, v16 dst_sel:DWORD dst_unused:UNUSED_PAD src0_sel:DWORD src1_sel:WORD_1
	v_cmp_eq_u32_e32 vcc, 1, v10
	s_and_saveexec_b64 s[0:1], vcc
	s_cbranch_execz .LBB1429_391
; %bb.390:
	v_sub_u32_e32 v10, v30, v19
	v_lshlrev_b32_e32 v10, 3, v10
	ds_write_b64 v10, v[6:7]
.LBB1429_391:
	s_or_b64 exec, exec, s[0:1]
	v_and_b32_e32 v6, 1, v20
	v_cmp_eq_u32_e32 vcc, 1, v6
	s_and_saveexec_b64 s[0:1], vcc
	s_cbranch_execz .LBB1429_393
; %bb.392:
	v_sub_u32_e32 v6, v28, v19
	v_lshlrev_b32_e32 v6, 3, v6
	ds_write_b64 v6, v[8:9]
.LBB1429_393:
	s_or_b64 exec, exec, s[0:1]
	v_and_b32_e32 v6, 1, v17
	;; [unrolled: 10-line block ×3, first 2 shown]
	v_cmp_eq_u32_e32 vcc, 1, v1
	s_and_saveexec_b64 s[0:1], vcc
	s_cbranch_execz .LBB1429_397
; %bb.396:
	v_sub_u32_e32 v1, v24, v19
	v_lshlrev_b32_e32 v1, 3, v1
	ds_write_b64 v1, v[4:5]
.LBB1429_397:
	s_or_b64 exec, exec, s[0:1]
	v_mov_b32_e32 v1, 1
	v_and_b32_sdwa v1, v1, v17 dst_sel:DWORD dst_unused:UNUSED_PAD src0_sel:DWORD src1_sel:WORD_1
	v_cmp_eq_u32_e32 vcc, 1, v1
	s_and_saveexec_b64 s[0:1], vcc
	s_cbranch_execz .LBB1429_399
; %bb.398:
	v_sub_u32_e32 v1, v22, v19
	v_lshlrev_b32_e32 v1, 3, v1
	ds_write_b64 v1, v[14:15]
.LBB1429_399:
	s_or_b64 exec, exec, s[0:1]
	v_cmp_lt_u32_e32 vcc, v0, v18
	s_waitcnt lgkmcnt(0)
	s_barrier
	s_and_saveexec_b64 s[0:1], vcc
	s_cbranch_execz .LBB1429_402
; %bb.400:
	v_mov_b32_e32 v5, 0
	v_mov_b32_e32 v4, v19
	s_lshl_b64 s[4:5], s[22:23], 3
	v_lshlrev_b64 v[6:7], 3, v[4:5]
	v_lshl_add_u64 v[6:7], s[4:5], 0, v[6:7]
	v_lshlrev_b32_e32 v2, 3, v0
	v_mov_b32_e32 v3, v5
	v_lshl_add_u64 v[4:5], s[2:3], 0, v[6:7]
	v_lshl_add_u64 v[4:5], v[4:5], 0, v[2:3]
	s_mov_b64 s[2:3], 0
	s_mov_b64 s[4:5], 0x1000
	v_mov_b32_e32 v1, v0
.LBB1429_401:                           ; =>This Inner Loop Header: Depth=1
	ds_read_b64 v[6:7], v2
	v_add_u32_e32 v1, 0x200, v1
	v_cmp_ge_u32_e32 vcc, v1, v18
	v_add_u32_e32 v2, 0x1000, v2
	s_or_b64 s[2:3], vcc, s[2:3]
	s_waitcnt lgkmcnt(0)
	global_store_dwordx2 v[4:5], v[6:7], off
	v_lshl_add_u64 v[4:5], v[4:5], 0, s[4:5]
	s_andn2_b64 exec, exec, s[2:3]
	s_cbranch_execnz .LBB1429_401
.LBB1429_402:
	s_or_b64 exec, exec, s[0:1]
	v_cmp_eq_u32_e32 vcc, 0, v0
	s_and_b64 s[0:1], vcc, s[24:25]
	s_and_saveexec_b64 s[2:3], s[0:1]
	s_cbranch_execz .LBB1429_362
.LBB1429_403:
	v_mov_b32_e32 v1, 0
	v_mov_b32_e32 v0, v18
	v_lshl_add_u64 v[2:3], s[22:23], 0, v[0:1]
	v_mov_b32_e32 v0, v19
	v_lshl_add_u64 v[2:3], v[2:3], 0, v[0:1]
	global_store_dwordx2 v1, v[2:3], s[20:21]
	s_endpgm
	.section	.rodata,"a",@progbits
	.p2align	6, 0x0
	.amdhsa_kernel _ZN7rocprim17ROCPRIM_400000_NS6detail17trampoline_kernelINS0_14default_configENS1_25partition_config_selectorILNS1_17partition_subalgoE8ElNS0_10empty_typeEbEEZZNS1_14partition_implILS5_8ELb0ES3_jPlPS6_PKS6_NS0_5tupleIJS9_S6_EEENSD_IJSA_SA_EEENS0_18inequality_wrapperIZN2at6native12_GLOBAL__N_124unique_dim_cuda_templateItEESt5tupleIJNSH_6TensorESM_SM_EERKSM_lbbbEUlllE0_EEPmJS6_EEE10hipError_tPvRmT3_T4_T5_T6_T7_T9_mT8_P12ihipStream_tbDpT10_ENKUlT_T0_E_clISt17integral_constantIbLb0EES1C_EEDaS17_S18_EUlS17_E_NS1_11comp_targetILNS1_3genE5ELNS1_11target_archE942ELNS1_3gpuE9ELNS1_3repE0EEENS1_30default_config_static_selectorELNS0_4arch9wavefront6targetE1EEEvT1_
		.amdhsa_group_segment_fixed_size 28684
		.amdhsa_private_segment_fixed_size 0
		.amdhsa_kernarg_size 120
		.amdhsa_user_sgpr_count 2
		.amdhsa_user_sgpr_dispatch_ptr 0
		.amdhsa_user_sgpr_queue_ptr 0
		.amdhsa_user_sgpr_kernarg_segment_ptr 1
		.amdhsa_user_sgpr_dispatch_id 0
		.amdhsa_user_sgpr_kernarg_preload_length 0
		.amdhsa_user_sgpr_kernarg_preload_offset 0
		.amdhsa_user_sgpr_private_segment_size 0
		.amdhsa_uses_dynamic_stack 0
		.amdhsa_enable_private_segment 0
		.amdhsa_system_sgpr_workgroup_id_x 1
		.amdhsa_system_sgpr_workgroup_id_y 0
		.amdhsa_system_sgpr_workgroup_id_z 0
		.amdhsa_system_sgpr_workgroup_info 0
		.amdhsa_system_vgpr_workitem_id 0
		.amdhsa_next_free_vgpr 52
		.amdhsa_next_free_sgpr 52
		.amdhsa_accum_offset 52
		.amdhsa_reserve_vcc 1
		.amdhsa_float_round_mode_32 0
		.amdhsa_float_round_mode_16_64 0
		.amdhsa_float_denorm_mode_32 3
		.amdhsa_float_denorm_mode_16_64 3
		.amdhsa_dx10_clamp 1
		.amdhsa_ieee_mode 1
		.amdhsa_fp16_overflow 0
		.amdhsa_tg_split 0
		.amdhsa_exception_fp_ieee_invalid_op 0
		.amdhsa_exception_fp_denorm_src 0
		.amdhsa_exception_fp_ieee_div_zero 0
		.amdhsa_exception_fp_ieee_overflow 0
		.amdhsa_exception_fp_ieee_underflow 0
		.amdhsa_exception_fp_ieee_inexact 0
		.amdhsa_exception_int_div_zero 0
	.end_amdhsa_kernel
	.section	.text._ZN7rocprim17ROCPRIM_400000_NS6detail17trampoline_kernelINS0_14default_configENS1_25partition_config_selectorILNS1_17partition_subalgoE8ElNS0_10empty_typeEbEEZZNS1_14partition_implILS5_8ELb0ES3_jPlPS6_PKS6_NS0_5tupleIJS9_S6_EEENSD_IJSA_SA_EEENS0_18inequality_wrapperIZN2at6native12_GLOBAL__N_124unique_dim_cuda_templateItEESt5tupleIJNSH_6TensorESM_SM_EERKSM_lbbbEUlllE0_EEPmJS6_EEE10hipError_tPvRmT3_T4_T5_T6_T7_T9_mT8_P12ihipStream_tbDpT10_ENKUlT_T0_E_clISt17integral_constantIbLb0EES1C_EEDaS17_S18_EUlS17_E_NS1_11comp_targetILNS1_3genE5ELNS1_11target_archE942ELNS1_3gpuE9ELNS1_3repE0EEENS1_30default_config_static_selectorELNS0_4arch9wavefront6targetE1EEEvT1_,"axG",@progbits,_ZN7rocprim17ROCPRIM_400000_NS6detail17trampoline_kernelINS0_14default_configENS1_25partition_config_selectorILNS1_17partition_subalgoE8ElNS0_10empty_typeEbEEZZNS1_14partition_implILS5_8ELb0ES3_jPlPS6_PKS6_NS0_5tupleIJS9_S6_EEENSD_IJSA_SA_EEENS0_18inequality_wrapperIZN2at6native12_GLOBAL__N_124unique_dim_cuda_templateItEESt5tupleIJNSH_6TensorESM_SM_EERKSM_lbbbEUlllE0_EEPmJS6_EEE10hipError_tPvRmT3_T4_T5_T6_T7_T9_mT8_P12ihipStream_tbDpT10_ENKUlT_T0_E_clISt17integral_constantIbLb0EES1C_EEDaS17_S18_EUlS17_E_NS1_11comp_targetILNS1_3genE5ELNS1_11target_archE942ELNS1_3gpuE9ELNS1_3repE0EEENS1_30default_config_static_selectorELNS0_4arch9wavefront6targetE1EEEvT1_,comdat
.Lfunc_end1429:
	.size	_ZN7rocprim17ROCPRIM_400000_NS6detail17trampoline_kernelINS0_14default_configENS1_25partition_config_selectorILNS1_17partition_subalgoE8ElNS0_10empty_typeEbEEZZNS1_14partition_implILS5_8ELb0ES3_jPlPS6_PKS6_NS0_5tupleIJS9_S6_EEENSD_IJSA_SA_EEENS0_18inequality_wrapperIZN2at6native12_GLOBAL__N_124unique_dim_cuda_templateItEESt5tupleIJNSH_6TensorESM_SM_EERKSM_lbbbEUlllE0_EEPmJS6_EEE10hipError_tPvRmT3_T4_T5_T6_T7_T9_mT8_P12ihipStream_tbDpT10_ENKUlT_T0_E_clISt17integral_constantIbLb0EES1C_EEDaS17_S18_EUlS17_E_NS1_11comp_targetILNS1_3genE5ELNS1_11target_archE942ELNS1_3gpuE9ELNS1_3repE0EEENS1_30default_config_static_selectorELNS0_4arch9wavefront6targetE1EEEvT1_, .Lfunc_end1429-_ZN7rocprim17ROCPRIM_400000_NS6detail17trampoline_kernelINS0_14default_configENS1_25partition_config_selectorILNS1_17partition_subalgoE8ElNS0_10empty_typeEbEEZZNS1_14partition_implILS5_8ELb0ES3_jPlPS6_PKS6_NS0_5tupleIJS9_S6_EEENSD_IJSA_SA_EEENS0_18inequality_wrapperIZN2at6native12_GLOBAL__N_124unique_dim_cuda_templateItEESt5tupleIJNSH_6TensorESM_SM_EERKSM_lbbbEUlllE0_EEPmJS6_EEE10hipError_tPvRmT3_T4_T5_T6_T7_T9_mT8_P12ihipStream_tbDpT10_ENKUlT_T0_E_clISt17integral_constantIbLb0EES1C_EEDaS17_S18_EUlS17_E_NS1_11comp_targetILNS1_3genE5ELNS1_11target_archE942ELNS1_3gpuE9ELNS1_3repE0EEENS1_30default_config_static_selectorELNS0_4arch9wavefront6targetE1EEEvT1_
                                        ; -- End function
	.section	.AMDGPU.csdata,"",@progbits
; Kernel info:
; codeLenInByte = 12836
; NumSgprs: 58
; NumVgprs: 52
; NumAgprs: 0
; TotalNumVgprs: 52
; ScratchSize: 0
; MemoryBound: 0
; FloatMode: 240
; IeeeMode: 1
; LDSByteSize: 28684 bytes/workgroup (compile time only)
; SGPRBlocks: 7
; VGPRBlocks: 6
; NumSGPRsForWavesPerEU: 58
; NumVGPRsForWavesPerEU: 52
; AccumOffset: 52
; Occupancy: 4
; WaveLimiterHint : 1
; COMPUTE_PGM_RSRC2:SCRATCH_EN: 0
; COMPUTE_PGM_RSRC2:USER_SGPR: 2
; COMPUTE_PGM_RSRC2:TRAP_HANDLER: 0
; COMPUTE_PGM_RSRC2:TGID_X_EN: 1
; COMPUTE_PGM_RSRC2:TGID_Y_EN: 0
; COMPUTE_PGM_RSRC2:TGID_Z_EN: 0
; COMPUTE_PGM_RSRC2:TIDIG_COMP_CNT: 0
; COMPUTE_PGM_RSRC3_GFX90A:ACCUM_OFFSET: 12
; COMPUTE_PGM_RSRC3_GFX90A:TG_SPLIT: 0
	.section	.text._ZN7rocprim17ROCPRIM_400000_NS6detail17trampoline_kernelINS0_14default_configENS1_25partition_config_selectorILNS1_17partition_subalgoE8ElNS0_10empty_typeEbEEZZNS1_14partition_implILS5_8ELb0ES3_jPlPS6_PKS6_NS0_5tupleIJS9_S6_EEENSD_IJSA_SA_EEENS0_18inequality_wrapperIZN2at6native12_GLOBAL__N_124unique_dim_cuda_templateItEESt5tupleIJNSH_6TensorESM_SM_EERKSM_lbbbEUlllE0_EEPmJS6_EEE10hipError_tPvRmT3_T4_T5_T6_T7_T9_mT8_P12ihipStream_tbDpT10_ENKUlT_T0_E_clISt17integral_constantIbLb0EES1C_EEDaS17_S18_EUlS17_E_NS1_11comp_targetILNS1_3genE4ELNS1_11target_archE910ELNS1_3gpuE8ELNS1_3repE0EEENS1_30default_config_static_selectorELNS0_4arch9wavefront6targetE1EEEvT1_,"axG",@progbits,_ZN7rocprim17ROCPRIM_400000_NS6detail17trampoline_kernelINS0_14default_configENS1_25partition_config_selectorILNS1_17partition_subalgoE8ElNS0_10empty_typeEbEEZZNS1_14partition_implILS5_8ELb0ES3_jPlPS6_PKS6_NS0_5tupleIJS9_S6_EEENSD_IJSA_SA_EEENS0_18inequality_wrapperIZN2at6native12_GLOBAL__N_124unique_dim_cuda_templateItEESt5tupleIJNSH_6TensorESM_SM_EERKSM_lbbbEUlllE0_EEPmJS6_EEE10hipError_tPvRmT3_T4_T5_T6_T7_T9_mT8_P12ihipStream_tbDpT10_ENKUlT_T0_E_clISt17integral_constantIbLb0EES1C_EEDaS17_S18_EUlS17_E_NS1_11comp_targetILNS1_3genE4ELNS1_11target_archE910ELNS1_3gpuE8ELNS1_3repE0EEENS1_30default_config_static_selectorELNS0_4arch9wavefront6targetE1EEEvT1_,comdat
	.globl	_ZN7rocprim17ROCPRIM_400000_NS6detail17trampoline_kernelINS0_14default_configENS1_25partition_config_selectorILNS1_17partition_subalgoE8ElNS0_10empty_typeEbEEZZNS1_14partition_implILS5_8ELb0ES3_jPlPS6_PKS6_NS0_5tupleIJS9_S6_EEENSD_IJSA_SA_EEENS0_18inequality_wrapperIZN2at6native12_GLOBAL__N_124unique_dim_cuda_templateItEESt5tupleIJNSH_6TensorESM_SM_EERKSM_lbbbEUlllE0_EEPmJS6_EEE10hipError_tPvRmT3_T4_T5_T6_T7_T9_mT8_P12ihipStream_tbDpT10_ENKUlT_T0_E_clISt17integral_constantIbLb0EES1C_EEDaS17_S18_EUlS17_E_NS1_11comp_targetILNS1_3genE4ELNS1_11target_archE910ELNS1_3gpuE8ELNS1_3repE0EEENS1_30default_config_static_selectorELNS0_4arch9wavefront6targetE1EEEvT1_ ; -- Begin function _ZN7rocprim17ROCPRIM_400000_NS6detail17trampoline_kernelINS0_14default_configENS1_25partition_config_selectorILNS1_17partition_subalgoE8ElNS0_10empty_typeEbEEZZNS1_14partition_implILS5_8ELb0ES3_jPlPS6_PKS6_NS0_5tupleIJS9_S6_EEENSD_IJSA_SA_EEENS0_18inequality_wrapperIZN2at6native12_GLOBAL__N_124unique_dim_cuda_templateItEESt5tupleIJNSH_6TensorESM_SM_EERKSM_lbbbEUlllE0_EEPmJS6_EEE10hipError_tPvRmT3_T4_T5_T6_T7_T9_mT8_P12ihipStream_tbDpT10_ENKUlT_T0_E_clISt17integral_constantIbLb0EES1C_EEDaS17_S18_EUlS17_E_NS1_11comp_targetILNS1_3genE4ELNS1_11target_archE910ELNS1_3gpuE8ELNS1_3repE0EEENS1_30default_config_static_selectorELNS0_4arch9wavefront6targetE1EEEvT1_
	.p2align	8
	.type	_ZN7rocprim17ROCPRIM_400000_NS6detail17trampoline_kernelINS0_14default_configENS1_25partition_config_selectorILNS1_17partition_subalgoE8ElNS0_10empty_typeEbEEZZNS1_14partition_implILS5_8ELb0ES3_jPlPS6_PKS6_NS0_5tupleIJS9_S6_EEENSD_IJSA_SA_EEENS0_18inequality_wrapperIZN2at6native12_GLOBAL__N_124unique_dim_cuda_templateItEESt5tupleIJNSH_6TensorESM_SM_EERKSM_lbbbEUlllE0_EEPmJS6_EEE10hipError_tPvRmT3_T4_T5_T6_T7_T9_mT8_P12ihipStream_tbDpT10_ENKUlT_T0_E_clISt17integral_constantIbLb0EES1C_EEDaS17_S18_EUlS17_E_NS1_11comp_targetILNS1_3genE4ELNS1_11target_archE910ELNS1_3gpuE8ELNS1_3repE0EEENS1_30default_config_static_selectorELNS0_4arch9wavefront6targetE1EEEvT1_,@function
_ZN7rocprim17ROCPRIM_400000_NS6detail17trampoline_kernelINS0_14default_configENS1_25partition_config_selectorILNS1_17partition_subalgoE8ElNS0_10empty_typeEbEEZZNS1_14partition_implILS5_8ELb0ES3_jPlPS6_PKS6_NS0_5tupleIJS9_S6_EEENSD_IJSA_SA_EEENS0_18inequality_wrapperIZN2at6native12_GLOBAL__N_124unique_dim_cuda_templateItEESt5tupleIJNSH_6TensorESM_SM_EERKSM_lbbbEUlllE0_EEPmJS6_EEE10hipError_tPvRmT3_T4_T5_T6_T7_T9_mT8_P12ihipStream_tbDpT10_ENKUlT_T0_E_clISt17integral_constantIbLb0EES1C_EEDaS17_S18_EUlS17_E_NS1_11comp_targetILNS1_3genE4ELNS1_11target_archE910ELNS1_3gpuE8ELNS1_3repE0EEENS1_30default_config_static_selectorELNS0_4arch9wavefront6targetE1EEEvT1_: ; @_ZN7rocprim17ROCPRIM_400000_NS6detail17trampoline_kernelINS0_14default_configENS1_25partition_config_selectorILNS1_17partition_subalgoE8ElNS0_10empty_typeEbEEZZNS1_14partition_implILS5_8ELb0ES3_jPlPS6_PKS6_NS0_5tupleIJS9_S6_EEENSD_IJSA_SA_EEENS0_18inequality_wrapperIZN2at6native12_GLOBAL__N_124unique_dim_cuda_templateItEESt5tupleIJNSH_6TensorESM_SM_EERKSM_lbbbEUlllE0_EEPmJS6_EEE10hipError_tPvRmT3_T4_T5_T6_T7_T9_mT8_P12ihipStream_tbDpT10_ENKUlT_T0_E_clISt17integral_constantIbLb0EES1C_EEDaS17_S18_EUlS17_E_NS1_11comp_targetILNS1_3genE4ELNS1_11target_archE910ELNS1_3gpuE8ELNS1_3repE0EEENS1_30default_config_static_selectorELNS0_4arch9wavefront6targetE1EEEvT1_
; %bb.0:
	.section	.rodata,"a",@progbits
	.p2align	6, 0x0
	.amdhsa_kernel _ZN7rocprim17ROCPRIM_400000_NS6detail17trampoline_kernelINS0_14default_configENS1_25partition_config_selectorILNS1_17partition_subalgoE8ElNS0_10empty_typeEbEEZZNS1_14partition_implILS5_8ELb0ES3_jPlPS6_PKS6_NS0_5tupleIJS9_S6_EEENSD_IJSA_SA_EEENS0_18inequality_wrapperIZN2at6native12_GLOBAL__N_124unique_dim_cuda_templateItEESt5tupleIJNSH_6TensorESM_SM_EERKSM_lbbbEUlllE0_EEPmJS6_EEE10hipError_tPvRmT3_T4_T5_T6_T7_T9_mT8_P12ihipStream_tbDpT10_ENKUlT_T0_E_clISt17integral_constantIbLb0EES1C_EEDaS17_S18_EUlS17_E_NS1_11comp_targetILNS1_3genE4ELNS1_11target_archE910ELNS1_3gpuE8ELNS1_3repE0EEENS1_30default_config_static_selectorELNS0_4arch9wavefront6targetE1EEEvT1_
		.amdhsa_group_segment_fixed_size 0
		.amdhsa_private_segment_fixed_size 0
		.amdhsa_kernarg_size 120
		.amdhsa_user_sgpr_count 2
		.amdhsa_user_sgpr_dispatch_ptr 0
		.amdhsa_user_sgpr_queue_ptr 0
		.amdhsa_user_sgpr_kernarg_segment_ptr 1
		.amdhsa_user_sgpr_dispatch_id 0
		.amdhsa_user_sgpr_kernarg_preload_length 0
		.amdhsa_user_sgpr_kernarg_preload_offset 0
		.amdhsa_user_sgpr_private_segment_size 0
		.amdhsa_uses_dynamic_stack 0
		.amdhsa_enable_private_segment 0
		.amdhsa_system_sgpr_workgroup_id_x 1
		.amdhsa_system_sgpr_workgroup_id_y 0
		.amdhsa_system_sgpr_workgroup_id_z 0
		.amdhsa_system_sgpr_workgroup_info 0
		.amdhsa_system_vgpr_workitem_id 0
		.amdhsa_next_free_vgpr 1
		.amdhsa_next_free_sgpr 0
		.amdhsa_accum_offset 4
		.amdhsa_reserve_vcc 0
		.amdhsa_float_round_mode_32 0
		.amdhsa_float_round_mode_16_64 0
		.amdhsa_float_denorm_mode_32 3
		.amdhsa_float_denorm_mode_16_64 3
		.amdhsa_dx10_clamp 1
		.amdhsa_ieee_mode 1
		.amdhsa_fp16_overflow 0
		.amdhsa_tg_split 0
		.amdhsa_exception_fp_ieee_invalid_op 0
		.amdhsa_exception_fp_denorm_src 0
		.amdhsa_exception_fp_ieee_div_zero 0
		.amdhsa_exception_fp_ieee_overflow 0
		.amdhsa_exception_fp_ieee_underflow 0
		.amdhsa_exception_fp_ieee_inexact 0
		.amdhsa_exception_int_div_zero 0
	.end_amdhsa_kernel
	.section	.text._ZN7rocprim17ROCPRIM_400000_NS6detail17trampoline_kernelINS0_14default_configENS1_25partition_config_selectorILNS1_17partition_subalgoE8ElNS0_10empty_typeEbEEZZNS1_14partition_implILS5_8ELb0ES3_jPlPS6_PKS6_NS0_5tupleIJS9_S6_EEENSD_IJSA_SA_EEENS0_18inequality_wrapperIZN2at6native12_GLOBAL__N_124unique_dim_cuda_templateItEESt5tupleIJNSH_6TensorESM_SM_EERKSM_lbbbEUlllE0_EEPmJS6_EEE10hipError_tPvRmT3_T4_T5_T6_T7_T9_mT8_P12ihipStream_tbDpT10_ENKUlT_T0_E_clISt17integral_constantIbLb0EES1C_EEDaS17_S18_EUlS17_E_NS1_11comp_targetILNS1_3genE4ELNS1_11target_archE910ELNS1_3gpuE8ELNS1_3repE0EEENS1_30default_config_static_selectorELNS0_4arch9wavefront6targetE1EEEvT1_,"axG",@progbits,_ZN7rocprim17ROCPRIM_400000_NS6detail17trampoline_kernelINS0_14default_configENS1_25partition_config_selectorILNS1_17partition_subalgoE8ElNS0_10empty_typeEbEEZZNS1_14partition_implILS5_8ELb0ES3_jPlPS6_PKS6_NS0_5tupleIJS9_S6_EEENSD_IJSA_SA_EEENS0_18inequality_wrapperIZN2at6native12_GLOBAL__N_124unique_dim_cuda_templateItEESt5tupleIJNSH_6TensorESM_SM_EERKSM_lbbbEUlllE0_EEPmJS6_EEE10hipError_tPvRmT3_T4_T5_T6_T7_T9_mT8_P12ihipStream_tbDpT10_ENKUlT_T0_E_clISt17integral_constantIbLb0EES1C_EEDaS17_S18_EUlS17_E_NS1_11comp_targetILNS1_3genE4ELNS1_11target_archE910ELNS1_3gpuE8ELNS1_3repE0EEENS1_30default_config_static_selectorELNS0_4arch9wavefront6targetE1EEEvT1_,comdat
.Lfunc_end1430:
	.size	_ZN7rocprim17ROCPRIM_400000_NS6detail17trampoline_kernelINS0_14default_configENS1_25partition_config_selectorILNS1_17partition_subalgoE8ElNS0_10empty_typeEbEEZZNS1_14partition_implILS5_8ELb0ES3_jPlPS6_PKS6_NS0_5tupleIJS9_S6_EEENSD_IJSA_SA_EEENS0_18inequality_wrapperIZN2at6native12_GLOBAL__N_124unique_dim_cuda_templateItEESt5tupleIJNSH_6TensorESM_SM_EERKSM_lbbbEUlllE0_EEPmJS6_EEE10hipError_tPvRmT3_T4_T5_T6_T7_T9_mT8_P12ihipStream_tbDpT10_ENKUlT_T0_E_clISt17integral_constantIbLb0EES1C_EEDaS17_S18_EUlS17_E_NS1_11comp_targetILNS1_3genE4ELNS1_11target_archE910ELNS1_3gpuE8ELNS1_3repE0EEENS1_30default_config_static_selectorELNS0_4arch9wavefront6targetE1EEEvT1_, .Lfunc_end1430-_ZN7rocprim17ROCPRIM_400000_NS6detail17trampoline_kernelINS0_14default_configENS1_25partition_config_selectorILNS1_17partition_subalgoE8ElNS0_10empty_typeEbEEZZNS1_14partition_implILS5_8ELb0ES3_jPlPS6_PKS6_NS0_5tupleIJS9_S6_EEENSD_IJSA_SA_EEENS0_18inequality_wrapperIZN2at6native12_GLOBAL__N_124unique_dim_cuda_templateItEESt5tupleIJNSH_6TensorESM_SM_EERKSM_lbbbEUlllE0_EEPmJS6_EEE10hipError_tPvRmT3_T4_T5_T6_T7_T9_mT8_P12ihipStream_tbDpT10_ENKUlT_T0_E_clISt17integral_constantIbLb0EES1C_EEDaS17_S18_EUlS17_E_NS1_11comp_targetILNS1_3genE4ELNS1_11target_archE910ELNS1_3gpuE8ELNS1_3repE0EEENS1_30default_config_static_selectorELNS0_4arch9wavefront6targetE1EEEvT1_
                                        ; -- End function
	.section	.AMDGPU.csdata,"",@progbits
; Kernel info:
; codeLenInByte = 0
; NumSgprs: 6
; NumVgprs: 0
; NumAgprs: 0
; TotalNumVgprs: 0
; ScratchSize: 0
; MemoryBound: 0
; FloatMode: 240
; IeeeMode: 1
; LDSByteSize: 0 bytes/workgroup (compile time only)
; SGPRBlocks: 0
; VGPRBlocks: 0
; NumSGPRsForWavesPerEU: 6
; NumVGPRsForWavesPerEU: 1
; AccumOffset: 4
; Occupancy: 8
; WaveLimiterHint : 0
; COMPUTE_PGM_RSRC2:SCRATCH_EN: 0
; COMPUTE_PGM_RSRC2:USER_SGPR: 2
; COMPUTE_PGM_RSRC2:TRAP_HANDLER: 0
; COMPUTE_PGM_RSRC2:TGID_X_EN: 1
; COMPUTE_PGM_RSRC2:TGID_Y_EN: 0
; COMPUTE_PGM_RSRC2:TGID_Z_EN: 0
; COMPUTE_PGM_RSRC2:TIDIG_COMP_CNT: 0
; COMPUTE_PGM_RSRC3_GFX90A:ACCUM_OFFSET: 0
; COMPUTE_PGM_RSRC3_GFX90A:TG_SPLIT: 0
	.section	.text._ZN7rocprim17ROCPRIM_400000_NS6detail17trampoline_kernelINS0_14default_configENS1_25partition_config_selectorILNS1_17partition_subalgoE8ElNS0_10empty_typeEbEEZZNS1_14partition_implILS5_8ELb0ES3_jPlPS6_PKS6_NS0_5tupleIJS9_S6_EEENSD_IJSA_SA_EEENS0_18inequality_wrapperIZN2at6native12_GLOBAL__N_124unique_dim_cuda_templateItEESt5tupleIJNSH_6TensorESM_SM_EERKSM_lbbbEUlllE0_EEPmJS6_EEE10hipError_tPvRmT3_T4_T5_T6_T7_T9_mT8_P12ihipStream_tbDpT10_ENKUlT_T0_E_clISt17integral_constantIbLb0EES1C_EEDaS17_S18_EUlS17_E_NS1_11comp_targetILNS1_3genE3ELNS1_11target_archE908ELNS1_3gpuE7ELNS1_3repE0EEENS1_30default_config_static_selectorELNS0_4arch9wavefront6targetE1EEEvT1_,"axG",@progbits,_ZN7rocprim17ROCPRIM_400000_NS6detail17trampoline_kernelINS0_14default_configENS1_25partition_config_selectorILNS1_17partition_subalgoE8ElNS0_10empty_typeEbEEZZNS1_14partition_implILS5_8ELb0ES3_jPlPS6_PKS6_NS0_5tupleIJS9_S6_EEENSD_IJSA_SA_EEENS0_18inequality_wrapperIZN2at6native12_GLOBAL__N_124unique_dim_cuda_templateItEESt5tupleIJNSH_6TensorESM_SM_EERKSM_lbbbEUlllE0_EEPmJS6_EEE10hipError_tPvRmT3_T4_T5_T6_T7_T9_mT8_P12ihipStream_tbDpT10_ENKUlT_T0_E_clISt17integral_constantIbLb0EES1C_EEDaS17_S18_EUlS17_E_NS1_11comp_targetILNS1_3genE3ELNS1_11target_archE908ELNS1_3gpuE7ELNS1_3repE0EEENS1_30default_config_static_selectorELNS0_4arch9wavefront6targetE1EEEvT1_,comdat
	.globl	_ZN7rocprim17ROCPRIM_400000_NS6detail17trampoline_kernelINS0_14default_configENS1_25partition_config_selectorILNS1_17partition_subalgoE8ElNS0_10empty_typeEbEEZZNS1_14partition_implILS5_8ELb0ES3_jPlPS6_PKS6_NS0_5tupleIJS9_S6_EEENSD_IJSA_SA_EEENS0_18inequality_wrapperIZN2at6native12_GLOBAL__N_124unique_dim_cuda_templateItEESt5tupleIJNSH_6TensorESM_SM_EERKSM_lbbbEUlllE0_EEPmJS6_EEE10hipError_tPvRmT3_T4_T5_T6_T7_T9_mT8_P12ihipStream_tbDpT10_ENKUlT_T0_E_clISt17integral_constantIbLb0EES1C_EEDaS17_S18_EUlS17_E_NS1_11comp_targetILNS1_3genE3ELNS1_11target_archE908ELNS1_3gpuE7ELNS1_3repE0EEENS1_30default_config_static_selectorELNS0_4arch9wavefront6targetE1EEEvT1_ ; -- Begin function _ZN7rocprim17ROCPRIM_400000_NS6detail17trampoline_kernelINS0_14default_configENS1_25partition_config_selectorILNS1_17partition_subalgoE8ElNS0_10empty_typeEbEEZZNS1_14partition_implILS5_8ELb0ES3_jPlPS6_PKS6_NS0_5tupleIJS9_S6_EEENSD_IJSA_SA_EEENS0_18inequality_wrapperIZN2at6native12_GLOBAL__N_124unique_dim_cuda_templateItEESt5tupleIJNSH_6TensorESM_SM_EERKSM_lbbbEUlllE0_EEPmJS6_EEE10hipError_tPvRmT3_T4_T5_T6_T7_T9_mT8_P12ihipStream_tbDpT10_ENKUlT_T0_E_clISt17integral_constantIbLb0EES1C_EEDaS17_S18_EUlS17_E_NS1_11comp_targetILNS1_3genE3ELNS1_11target_archE908ELNS1_3gpuE7ELNS1_3repE0EEENS1_30default_config_static_selectorELNS0_4arch9wavefront6targetE1EEEvT1_
	.p2align	8
	.type	_ZN7rocprim17ROCPRIM_400000_NS6detail17trampoline_kernelINS0_14default_configENS1_25partition_config_selectorILNS1_17partition_subalgoE8ElNS0_10empty_typeEbEEZZNS1_14partition_implILS5_8ELb0ES3_jPlPS6_PKS6_NS0_5tupleIJS9_S6_EEENSD_IJSA_SA_EEENS0_18inequality_wrapperIZN2at6native12_GLOBAL__N_124unique_dim_cuda_templateItEESt5tupleIJNSH_6TensorESM_SM_EERKSM_lbbbEUlllE0_EEPmJS6_EEE10hipError_tPvRmT3_T4_T5_T6_T7_T9_mT8_P12ihipStream_tbDpT10_ENKUlT_T0_E_clISt17integral_constantIbLb0EES1C_EEDaS17_S18_EUlS17_E_NS1_11comp_targetILNS1_3genE3ELNS1_11target_archE908ELNS1_3gpuE7ELNS1_3repE0EEENS1_30default_config_static_selectorELNS0_4arch9wavefront6targetE1EEEvT1_,@function
_ZN7rocprim17ROCPRIM_400000_NS6detail17trampoline_kernelINS0_14default_configENS1_25partition_config_selectorILNS1_17partition_subalgoE8ElNS0_10empty_typeEbEEZZNS1_14partition_implILS5_8ELb0ES3_jPlPS6_PKS6_NS0_5tupleIJS9_S6_EEENSD_IJSA_SA_EEENS0_18inequality_wrapperIZN2at6native12_GLOBAL__N_124unique_dim_cuda_templateItEESt5tupleIJNSH_6TensorESM_SM_EERKSM_lbbbEUlllE0_EEPmJS6_EEE10hipError_tPvRmT3_T4_T5_T6_T7_T9_mT8_P12ihipStream_tbDpT10_ENKUlT_T0_E_clISt17integral_constantIbLb0EES1C_EEDaS17_S18_EUlS17_E_NS1_11comp_targetILNS1_3genE3ELNS1_11target_archE908ELNS1_3gpuE7ELNS1_3repE0EEENS1_30default_config_static_selectorELNS0_4arch9wavefront6targetE1EEEvT1_: ; @_ZN7rocprim17ROCPRIM_400000_NS6detail17trampoline_kernelINS0_14default_configENS1_25partition_config_selectorILNS1_17partition_subalgoE8ElNS0_10empty_typeEbEEZZNS1_14partition_implILS5_8ELb0ES3_jPlPS6_PKS6_NS0_5tupleIJS9_S6_EEENSD_IJSA_SA_EEENS0_18inequality_wrapperIZN2at6native12_GLOBAL__N_124unique_dim_cuda_templateItEESt5tupleIJNSH_6TensorESM_SM_EERKSM_lbbbEUlllE0_EEPmJS6_EEE10hipError_tPvRmT3_T4_T5_T6_T7_T9_mT8_P12ihipStream_tbDpT10_ENKUlT_T0_E_clISt17integral_constantIbLb0EES1C_EEDaS17_S18_EUlS17_E_NS1_11comp_targetILNS1_3genE3ELNS1_11target_archE908ELNS1_3gpuE7ELNS1_3repE0EEENS1_30default_config_static_selectorELNS0_4arch9wavefront6targetE1EEEvT1_
; %bb.0:
	.section	.rodata,"a",@progbits
	.p2align	6, 0x0
	.amdhsa_kernel _ZN7rocprim17ROCPRIM_400000_NS6detail17trampoline_kernelINS0_14default_configENS1_25partition_config_selectorILNS1_17partition_subalgoE8ElNS0_10empty_typeEbEEZZNS1_14partition_implILS5_8ELb0ES3_jPlPS6_PKS6_NS0_5tupleIJS9_S6_EEENSD_IJSA_SA_EEENS0_18inequality_wrapperIZN2at6native12_GLOBAL__N_124unique_dim_cuda_templateItEESt5tupleIJNSH_6TensorESM_SM_EERKSM_lbbbEUlllE0_EEPmJS6_EEE10hipError_tPvRmT3_T4_T5_T6_T7_T9_mT8_P12ihipStream_tbDpT10_ENKUlT_T0_E_clISt17integral_constantIbLb0EES1C_EEDaS17_S18_EUlS17_E_NS1_11comp_targetILNS1_3genE3ELNS1_11target_archE908ELNS1_3gpuE7ELNS1_3repE0EEENS1_30default_config_static_selectorELNS0_4arch9wavefront6targetE1EEEvT1_
		.amdhsa_group_segment_fixed_size 0
		.amdhsa_private_segment_fixed_size 0
		.amdhsa_kernarg_size 120
		.amdhsa_user_sgpr_count 2
		.amdhsa_user_sgpr_dispatch_ptr 0
		.amdhsa_user_sgpr_queue_ptr 0
		.amdhsa_user_sgpr_kernarg_segment_ptr 1
		.amdhsa_user_sgpr_dispatch_id 0
		.amdhsa_user_sgpr_kernarg_preload_length 0
		.amdhsa_user_sgpr_kernarg_preload_offset 0
		.amdhsa_user_sgpr_private_segment_size 0
		.amdhsa_uses_dynamic_stack 0
		.amdhsa_enable_private_segment 0
		.amdhsa_system_sgpr_workgroup_id_x 1
		.amdhsa_system_sgpr_workgroup_id_y 0
		.amdhsa_system_sgpr_workgroup_id_z 0
		.amdhsa_system_sgpr_workgroup_info 0
		.amdhsa_system_vgpr_workitem_id 0
		.amdhsa_next_free_vgpr 1
		.amdhsa_next_free_sgpr 0
		.amdhsa_accum_offset 4
		.amdhsa_reserve_vcc 0
		.amdhsa_float_round_mode_32 0
		.amdhsa_float_round_mode_16_64 0
		.amdhsa_float_denorm_mode_32 3
		.amdhsa_float_denorm_mode_16_64 3
		.amdhsa_dx10_clamp 1
		.amdhsa_ieee_mode 1
		.amdhsa_fp16_overflow 0
		.amdhsa_tg_split 0
		.amdhsa_exception_fp_ieee_invalid_op 0
		.amdhsa_exception_fp_denorm_src 0
		.amdhsa_exception_fp_ieee_div_zero 0
		.amdhsa_exception_fp_ieee_overflow 0
		.amdhsa_exception_fp_ieee_underflow 0
		.amdhsa_exception_fp_ieee_inexact 0
		.amdhsa_exception_int_div_zero 0
	.end_amdhsa_kernel
	.section	.text._ZN7rocprim17ROCPRIM_400000_NS6detail17trampoline_kernelINS0_14default_configENS1_25partition_config_selectorILNS1_17partition_subalgoE8ElNS0_10empty_typeEbEEZZNS1_14partition_implILS5_8ELb0ES3_jPlPS6_PKS6_NS0_5tupleIJS9_S6_EEENSD_IJSA_SA_EEENS0_18inequality_wrapperIZN2at6native12_GLOBAL__N_124unique_dim_cuda_templateItEESt5tupleIJNSH_6TensorESM_SM_EERKSM_lbbbEUlllE0_EEPmJS6_EEE10hipError_tPvRmT3_T4_T5_T6_T7_T9_mT8_P12ihipStream_tbDpT10_ENKUlT_T0_E_clISt17integral_constantIbLb0EES1C_EEDaS17_S18_EUlS17_E_NS1_11comp_targetILNS1_3genE3ELNS1_11target_archE908ELNS1_3gpuE7ELNS1_3repE0EEENS1_30default_config_static_selectorELNS0_4arch9wavefront6targetE1EEEvT1_,"axG",@progbits,_ZN7rocprim17ROCPRIM_400000_NS6detail17trampoline_kernelINS0_14default_configENS1_25partition_config_selectorILNS1_17partition_subalgoE8ElNS0_10empty_typeEbEEZZNS1_14partition_implILS5_8ELb0ES3_jPlPS6_PKS6_NS0_5tupleIJS9_S6_EEENSD_IJSA_SA_EEENS0_18inequality_wrapperIZN2at6native12_GLOBAL__N_124unique_dim_cuda_templateItEESt5tupleIJNSH_6TensorESM_SM_EERKSM_lbbbEUlllE0_EEPmJS6_EEE10hipError_tPvRmT3_T4_T5_T6_T7_T9_mT8_P12ihipStream_tbDpT10_ENKUlT_T0_E_clISt17integral_constantIbLb0EES1C_EEDaS17_S18_EUlS17_E_NS1_11comp_targetILNS1_3genE3ELNS1_11target_archE908ELNS1_3gpuE7ELNS1_3repE0EEENS1_30default_config_static_selectorELNS0_4arch9wavefront6targetE1EEEvT1_,comdat
.Lfunc_end1431:
	.size	_ZN7rocprim17ROCPRIM_400000_NS6detail17trampoline_kernelINS0_14default_configENS1_25partition_config_selectorILNS1_17partition_subalgoE8ElNS0_10empty_typeEbEEZZNS1_14partition_implILS5_8ELb0ES3_jPlPS6_PKS6_NS0_5tupleIJS9_S6_EEENSD_IJSA_SA_EEENS0_18inequality_wrapperIZN2at6native12_GLOBAL__N_124unique_dim_cuda_templateItEESt5tupleIJNSH_6TensorESM_SM_EERKSM_lbbbEUlllE0_EEPmJS6_EEE10hipError_tPvRmT3_T4_T5_T6_T7_T9_mT8_P12ihipStream_tbDpT10_ENKUlT_T0_E_clISt17integral_constantIbLb0EES1C_EEDaS17_S18_EUlS17_E_NS1_11comp_targetILNS1_3genE3ELNS1_11target_archE908ELNS1_3gpuE7ELNS1_3repE0EEENS1_30default_config_static_selectorELNS0_4arch9wavefront6targetE1EEEvT1_, .Lfunc_end1431-_ZN7rocprim17ROCPRIM_400000_NS6detail17trampoline_kernelINS0_14default_configENS1_25partition_config_selectorILNS1_17partition_subalgoE8ElNS0_10empty_typeEbEEZZNS1_14partition_implILS5_8ELb0ES3_jPlPS6_PKS6_NS0_5tupleIJS9_S6_EEENSD_IJSA_SA_EEENS0_18inequality_wrapperIZN2at6native12_GLOBAL__N_124unique_dim_cuda_templateItEESt5tupleIJNSH_6TensorESM_SM_EERKSM_lbbbEUlllE0_EEPmJS6_EEE10hipError_tPvRmT3_T4_T5_T6_T7_T9_mT8_P12ihipStream_tbDpT10_ENKUlT_T0_E_clISt17integral_constantIbLb0EES1C_EEDaS17_S18_EUlS17_E_NS1_11comp_targetILNS1_3genE3ELNS1_11target_archE908ELNS1_3gpuE7ELNS1_3repE0EEENS1_30default_config_static_selectorELNS0_4arch9wavefront6targetE1EEEvT1_
                                        ; -- End function
	.section	.AMDGPU.csdata,"",@progbits
; Kernel info:
; codeLenInByte = 0
; NumSgprs: 6
; NumVgprs: 0
; NumAgprs: 0
; TotalNumVgprs: 0
; ScratchSize: 0
; MemoryBound: 0
; FloatMode: 240
; IeeeMode: 1
; LDSByteSize: 0 bytes/workgroup (compile time only)
; SGPRBlocks: 0
; VGPRBlocks: 0
; NumSGPRsForWavesPerEU: 6
; NumVGPRsForWavesPerEU: 1
; AccumOffset: 4
; Occupancy: 8
; WaveLimiterHint : 0
; COMPUTE_PGM_RSRC2:SCRATCH_EN: 0
; COMPUTE_PGM_RSRC2:USER_SGPR: 2
; COMPUTE_PGM_RSRC2:TRAP_HANDLER: 0
; COMPUTE_PGM_RSRC2:TGID_X_EN: 1
; COMPUTE_PGM_RSRC2:TGID_Y_EN: 0
; COMPUTE_PGM_RSRC2:TGID_Z_EN: 0
; COMPUTE_PGM_RSRC2:TIDIG_COMP_CNT: 0
; COMPUTE_PGM_RSRC3_GFX90A:ACCUM_OFFSET: 0
; COMPUTE_PGM_RSRC3_GFX90A:TG_SPLIT: 0
	.section	.text._ZN7rocprim17ROCPRIM_400000_NS6detail17trampoline_kernelINS0_14default_configENS1_25partition_config_selectorILNS1_17partition_subalgoE8ElNS0_10empty_typeEbEEZZNS1_14partition_implILS5_8ELb0ES3_jPlPS6_PKS6_NS0_5tupleIJS9_S6_EEENSD_IJSA_SA_EEENS0_18inequality_wrapperIZN2at6native12_GLOBAL__N_124unique_dim_cuda_templateItEESt5tupleIJNSH_6TensorESM_SM_EERKSM_lbbbEUlllE0_EEPmJS6_EEE10hipError_tPvRmT3_T4_T5_T6_T7_T9_mT8_P12ihipStream_tbDpT10_ENKUlT_T0_E_clISt17integral_constantIbLb0EES1C_EEDaS17_S18_EUlS17_E_NS1_11comp_targetILNS1_3genE2ELNS1_11target_archE906ELNS1_3gpuE6ELNS1_3repE0EEENS1_30default_config_static_selectorELNS0_4arch9wavefront6targetE1EEEvT1_,"axG",@progbits,_ZN7rocprim17ROCPRIM_400000_NS6detail17trampoline_kernelINS0_14default_configENS1_25partition_config_selectorILNS1_17partition_subalgoE8ElNS0_10empty_typeEbEEZZNS1_14partition_implILS5_8ELb0ES3_jPlPS6_PKS6_NS0_5tupleIJS9_S6_EEENSD_IJSA_SA_EEENS0_18inequality_wrapperIZN2at6native12_GLOBAL__N_124unique_dim_cuda_templateItEESt5tupleIJNSH_6TensorESM_SM_EERKSM_lbbbEUlllE0_EEPmJS6_EEE10hipError_tPvRmT3_T4_T5_T6_T7_T9_mT8_P12ihipStream_tbDpT10_ENKUlT_T0_E_clISt17integral_constantIbLb0EES1C_EEDaS17_S18_EUlS17_E_NS1_11comp_targetILNS1_3genE2ELNS1_11target_archE906ELNS1_3gpuE6ELNS1_3repE0EEENS1_30default_config_static_selectorELNS0_4arch9wavefront6targetE1EEEvT1_,comdat
	.globl	_ZN7rocprim17ROCPRIM_400000_NS6detail17trampoline_kernelINS0_14default_configENS1_25partition_config_selectorILNS1_17partition_subalgoE8ElNS0_10empty_typeEbEEZZNS1_14partition_implILS5_8ELb0ES3_jPlPS6_PKS6_NS0_5tupleIJS9_S6_EEENSD_IJSA_SA_EEENS0_18inequality_wrapperIZN2at6native12_GLOBAL__N_124unique_dim_cuda_templateItEESt5tupleIJNSH_6TensorESM_SM_EERKSM_lbbbEUlllE0_EEPmJS6_EEE10hipError_tPvRmT3_T4_T5_T6_T7_T9_mT8_P12ihipStream_tbDpT10_ENKUlT_T0_E_clISt17integral_constantIbLb0EES1C_EEDaS17_S18_EUlS17_E_NS1_11comp_targetILNS1_3genE2ELNS1_11target_archE906ELNS1_3gpuE6ELNS1_3repE0EEENS1_30default_config_static_selectorELNS0_4arch9wavefront6targetE1EEEvT1_ ; -- Begin function _ZN7rocprim17ROCPRIM_400000_NS6detail17trampoline_kernelINS0_14default_configENS1_25partition_config_selectorILNS1_17partition_subalgoE8ElNS0_10empty_typeEbEEZZNS1_14partition_implILS5_8ELb0ES3_jPlPS6_PKS6_NS0_5tupleIJS9_S6_EEENSD_IJSA_SA_EEENS0_18inequality_wrapperIZN2at6native12_GLOBAL__N_124unique_dim_cuda_templateItEESt5tupleIJNSH_6TensorESM_SM_EERKSM_lbbbEUlllE0_EEPmJS6_EEE10hipError_tPvRmT3_T4_T5_T6_T7_T9_mT8_P12ihipStream_tbDpT10_ENKUlT_T0_E_clISt17integral_constantIbLb0EES1C_EEDaS17_S18_EUlS17_E_NS1_11comp_targetILNS1_3genE2ELNS1_11target_archE906ELNS1_3gpuE6ELNS1_3repE0EEENS1_30default_config_static_selectorELNS0_4arch9wavefront6targetE1EEEvT1_
	.p2align	8
	.type	_ZN7rocprim17ROCPRIM_400000_NS6detail17trampoline_kernelINS0_14default_configENS1_25partition_config_selectorILNS1_17partition_subalgoE8ElNS0_10empty_typeEbEEZZNS1_14partition_implILS5_8ELb0ES3_jPlPS6_PKS6_NS0_5tupleIJS9_S6_EEENSD_IJSA_SA_EEENS0_18inequality_wrapperIZN2at6native12_GLOBAL__N_124unique_dim_cuda_templateItEESt5tupleIJNSH_6TensorESM_SM_EERKSM_lbbbEUlllE0_EEPmJS6_EEE10hipError_tPvRmT3_T4_T5_T6_T7_T9_mT8_P12ihipStream_tbDpT10_ENKUlT_T0_E_clISt17integral_constantIbLb0EES1C_EEDaS17_S18_EUlS17_E_NS1_11comp_targetILNS1_3genE2ELNS1_11target_archE906ELNS1_3gpuE6ELNS1_3repE0EEENS1_30default_config_static_selectorELNS0_4arch9wavefront6targetE1EEEvT1_,@function
_ZN7rocprim17ROCPRIM_400000_NS6detail17trampoline_kernelINS0_14default_configENS1_25partition_config_selectorILNS1_17partition_subalgoE8ElNS0_10empty_typeEbEEZZNS1_14partition_implILS5_8ELb0ES3_jPlPS6_PKS6_NS0_5tupleIJS9_S6_EEENSD_IJSA_SA_EEENS0_18inequality_wrapperIZN2at6native12_GLOBAL__N_124unique_dim_cuda_templateItEESt5tupleIJNSH_6TensorESM_SM_EERKSM_lbbbEUlllE0_EEPmJS6_EEE10hipError_tPvRmT3_T4_T5_T6_T7_T9_mT8_P12ihipStream_tbDpT10_ENKUlT_T0_E_clISt17integral_constantIbLb0EES1C_EEDaS17_S18_EUlS17_E_NS1_11comp_targetILNS1_3genE2ELNS1_11target_archE906ELNS1_3gpuE6ELNS1_3repE0EEENS1_30default_config_static_selectorELNS0_4arch9wavefront6targetE1EEEvT1_: ; @_ZN7rocprim17ROCPRIM_400000_NS6detail17trampoline_kernelINS0_14default_configENS1_25partition_config_selectorILNS1_17partition_subalgoE8ElNS0_10empty_typeEbEEZZNS1_14partition_implILS5_8ELb0ES3_jPlPS6_PKS6_NS0_5tupleIJS9_S6_EEENSD_IJSA_SA_EEENS0_18inequality_wrapperIZN2at6native12_GLOBAL__N_124unique_dim_cuda_templateItEESt5tupleIJNSH_6TensorESM_SM_EERKSM_lbbbEUlllE0_EEPmJS6_EEE10hipError_tPvRmT3_T4_T5_T6_T7_T9_mT8_P12ihipStream_tbDpT10_ENKUlT_T0_E_clISt17integral_constantIbLb0EES1C_EEDaS17_S18_EUlS17_E_NS1_11comp_targetILNS1_3genE2ELNS1_11target_archE906ELNS1_3gpuE6ELNS1_3repE0EEENS1_30default_config_static_selectorELNS0_4arch9wavefront6targetE1EEEvT1_
; %bb.0:
	.section	.rodata,"a",@progbits
	.p2align	6, 0x0
	.amdhsa_kernel _ZN7rocprim17ROCPRIM_400000_NS6detail17trampoline_kernelINS0_14default_configENS1_25partition_config_selectorILNS1_17partition_subalgoE8ElNS0_10empty_typeEbEEZZNS1_14partition_implILS5_8ELb0ES3_jPlPS6_PKS6_NS0_5tupleIJS9_S6_EEENSD_IJSA_SA_EEENS0_18inequality_wrapperIZN2at6native12_GLOBAL__N_124unique_dim_cuda_templateItEESt5tupleIJNSH_6TensorESM_SM_EERKSM_lbbbEUlllE0_EEPmJS6_EEE10hipError_tPvRmT3_T4_T5_T6_T7_T9_mT8_P12ihipStream_tbDpT10_ENKUlT_T0_E_clISt17integral_constantIbLb0EES1C_EEDaS17_S18_EUlS17_E_NS1_11comp_targetILNS1_3genE2ELNS1_11target_archE906ELNS1_3gpuE6ELNS1_3repE0EEENS1_30default_config_static_selectorELNS0_4arch9wavefront6targetE1EEEvT1_
		.amdhsa_group_segment_fixed_size 0
		.amdhsa_private_segment_fixed_size 0
		.amdhsa_kernarg_size 120
		.amdhsa_user_sgpr_count 2
		.amdhsa_user_sgpr_dispatch_ptr 0
		.amdhsa_user_sgpr_queue_ptr 0
		.amdhsa_user_sgpr_kernarg_segment_ptr 1
		.amdhsa_user_sgpr_dispatch_id 0
		.amdhsa_user_sgpr_kernarg_preload_length 0
		.amdhsa_user_sgpr_kernarg_preload_offset 0
		.amdhsa_user_sgpr_private_segment_size 0
		.amdhsa_uses_dynamic_stack 0
		.amdhsa_enable_private_segment 0
		.amdhsa_system_sgpr_workgroup_id_x 1
		.amdhsa_system_sgpr_workgroup_id_y 0
		.amdhsa_system_sgpr_workgroup_id_z 0
		.amdhsa_system_sgpr_workgroup_info 0
		.amdhsa_system_vgpr_workitem_id 0
		.amdhsa_next_free_vgpr 1
		.amdhsa_next_free_sgpr 0
		.amdhsa_accum_offset 4
		.amdhsa_reserve_vcc 0
		.amdhsa_float_round_mode_32 0
		.amdhsa_float_round_mode_16_64 0
		.amdhsa_float_denorm_mode_32 3
		.amdhsa_float_denorm_mode_16_64 3
		.amdhsa_dx10_clamp 1
		.amdhsa_ieee_mode 1
		.amdhsa_fp16_overflow 0
		.amdhsa_tg_split 0
		.amdhsa_exception_fp_ieee_invalid_op 0
		.amdhsa_exception_fp_denorm_src 0
		.amdhsa_exception_fp_ieee_div_zero 0
		.amdhsa_exception_fp_ieee_overflow 0
		.amdhsa_exception_fp_ieee_underflow 0
		.amdhsa_exception_fp_ieee_inexact 0
		.amdhsa_exception_int_div_zero 0
	.end_amdhsa_kernel
	.section	.text._ZN7rocprim17ROCPRIM_400000_NS6detail17trampoline_kernelINS0_14default_configENS1_25partition_config_selectorILNS1_17partition_subalgoE8ElNS0_10empty_typeEbEEZZNS1_14partition_implILS5_8ELb0ES3_jPlPS6_PKS6_NS0_5tupleIJS9_S6_EEENSD_IJSA_SA_EEENS0_18inequality_wrapperIZN2at6native12_GLOBAL__N_124unique_dim_cuda_templateItEESt5tupleIJNSH_6TensorESM_SM_EERKSM_lbbbEUlllE0_EEPmJS6_EEE10hipError_tPvRmT3_T4_T5_T6_T7_T9_mT8_P12ihipStream_tbDpT10_ENKUlT_T0_E_clISt17integral_constantIbLb0EES1C_EEDaS17_S18_EUlS17_E_NS1_11comp_targetILNS1_3genE2ELNS1_11target_archE906ELNS1_3gpuE6ELNS1_3repE0EEENS1_30default_config_static_selectorELNS0_4arch9wavefront6targetE1EEEvT1_,"axG",@progbits,_ZN7rocprim17ROCPRIM_400000_NS6detail17trampoline_kernelINS0_14default_configENS1_25partition_config_selectorILNS1_17partition_subalgoE8ElNS0_10empty_typeEbEEZZNS1_14partition_implILS5_8ELb0ES3_jPlPS6_PKS6_NS0_5tupleIJS9_S6_EEENSD_IJSA_SA_EEENS0_18inequality_wrapperIZN2at6native12_GLOBAL__N_124unique_dim_cuda_templateItEESt5tupleIJNSH_6TensorESM_SM_EERKSM_lbbbEUlllE0_EEPmJS6_EEE10hipError_tPvRmT3_T4_T5_T6_T7_T9_mT8_P12ihipStream_tbDpT10_ENKUlT_T0_E_clISt17integral_constantIbLb0EES1C_EEDaS17_S18_EUlS17_E_NS1_11comp_targetILNS1_3genE2ELNS1_11target_archE906ELNS1_3gpuE6ELNS1_3repE0EEENS1_30default_config_static_selectorELNS0_4arch9wavefront6targetE1EEEvT1_,comdat
.Lfunc_end1432:
	.size	_ZN7rocprim17ROCPRIM_400000_NS6detail17trampoline_kernelINS0_14default_configENS1_25partition_config_selectorILNS1_17partition_subalgoE8ElNS0_10empty_typeEbEEZZNS1_14partition_implILS5_8ELb0ES3_jPlPS6_PKS6_NS0_5tupleIJS9_S6_EEENSD_IJSA_SA_EEENS0_18inequality_wrapperIZN2at6native12_GLOBAL__N_124unique_dim_cuda_templateItEESt5tupleIJNSH_6TensorESM_SM_EERKSM_lbbbEUlllE0_EEPmJS6_EEE10hipError_tPvRmT3_T4_T5_T6_T7_T9_mT8_P12ihipStream_tbDpT10_ENKUlT_T0_E_clISt17integral_constantIbLb0EES1C_EEDaS17_S18_EUlS17_E_NS1_11comp_targetILNS1_3genE2ELNS1_11target_archE906ELNS1_3gpuE6ELNS1_3repE0EEENS1_30default_config_static_selectorELNS0_4arch9wavefront6targetE1EEEvT1_, .Lfunc_end1432-_ZN7rocprim17ROCPRIM_400000_NS6detail17trampoline_kernelINS0_14default_configENS1_25partition_config_selectorILNS1_17partition_subalgoE8ElNS0_10empty_typeEbEEZZNS1_14partition_implILS5_8ELb0ES3_jPlPS6_PKS6_NS0_5tupleIJS9_S6_EEENSD_IJSA_SA_EEENS0_18inequality_wrapperIZN2at6native12_GLOBAL__N_124unique_dim_cuda_templateItEESt5tupleIJNSH_6TensorESM_SM_EERKSM_lbbbEUlllE0_EEPmJS6_EEE10hipError_tPvRmT3_T4_T5_T6_T7_T9_mT8_P12ihipStream_tbDpT10_ENKUlT_T0_E_clISt17integral_constantIbLb0EES1C_EEDaS17_S18_EUlS17_E_NS1_11comp_targetILNS1_3genE2ELNS1_11target_archE906ELNS1_3gpuE6ELNS1_3repE0EEENS1_30default_config_static_selectorELNS0_4arch9wavefront6targetE1EEEvT1_
                                        ; -- End function
	.section	.AMDGPU.csdata,"",@progbits
; Kernel info:
; codeLenInByte = 0
; NumSgprs: 6
; NumVgprs: 0
; NumAgprs: 0
; TotalNumVgprs: 0
; ScratchSize: 0
; MemoryBound: 0
; FloatMode: 240
; IeeeMode: 1
; LDSByteSize: 0 bytes/workgroup (compile time only)
; SGPRBlocks: 0
; VGPRBlocks: 0
; NumSGPRsForWavesPerEU: 6
; NumVGPRsForWavesPerEU: 1
; AccumOffset: 4
; Occupancy: 8
; WaveLimiterHint : 0
; COMPUTE_PGM_RSRC2:SCRATCH_EN: 0
; COMPUTE_PGM_RSRC2:USER_SGPR: 2
; COMPUTE_PGM_RSRC2:TRAP_HANDLER: 0
; COMPUTE_PGM_RSRC2:TGID_X_EN: 1
; COMPUTE_PGM_RSRC2:TGID_Y_EN: 0
; COMPUTE_PGM_RSRC2:TGID_Z_EN: 0
; COMPUTE_PGM_RSRC2:TIDIG_COMP_CNT: 0
; COMPUTE_PGM_RSRC3_GFX90A:ACCUM_OFFSET: 0
; COMPUTE_PGM_RSRC3_GFX90A:TG_SPLIT: 0
	.section	.text._ZN7rocprim17ROCPRIM_400000_NS6detail17trampoline_kernelINS0_14default_configENS1_25partition_config_selectorILNS1_17partition_subalgoE8ElNS0_10empty_typeEbEEZZNS1_14partition_implILS5_8ELb0ES3_jPlPS6_PKS6_NS0_5tupleIJS9_S6_EEENSD_IJSA_SA_EEENS0_18inequality_wrapperIZN2at6native12_GLOBAL__N_124unique_dim_cuda_templateItEESt5tupleIJNSH_6TensorESM_SM_EERKSM_lbbbEUlllE0_EEPmJS6_EEE10hipError_tPvRmT3_T4_T5_T6_T7_T9_mT8_P12ihipStream_tbDpT10_ENKUlT_T0_E_clISt17integral_constantIbLb0EES1C_EEDaS17_S18_EUlS17_E_NS1_11comp_targetILNS1_3genE10ELNS1_11target_archE1200ELNS1_3gpuE4ELNS1_3repE0EEENS1_30default_config_static_selectorELNS0_4arch9wavefront6targetE1EEEvT1_,"axG",@progbits,_ZN7rocprim17ROCPRIM_400000_NS6detail17trampoline_kernelINS0_14default_configENS1_25partition_config_selectorILNS1_17partition_subalgoE8ElNS0_10empty_typeEbEEZZNS1_14partition_implILS5_8ELb0ES3_jPlPS6_PKS6_NS0_5tupleIJS9_S6_EEENSD_IJSA_SA_EEENS0_18inequality_wrapperIZN2at6native12_GLOBAL__N_124unique_dim_cuda_templateItEESt5tupleIJNSH_6TensorESM_SM_EERKSM_lbbbEUlllE0_EEPmJS6_EEE10hipError_tPvRmT3_T4_T5_T6_T7_T9_mT8_P12ihipStream_tbDpT10_ENKUlT_T0_E_clISt17integral_constantIbLb0EES1C_EEDaS17_S18_EUlS17_E_NS1_11comp_targetILNS1_3genE10ELNS1_11target_archE1200ELNS1_3gpuE4ELNS1_3repE0EEENS1_30default_config_static_selectorELNS0_4arch9wavefront6targetE1EEEvT1_,comdat
	.globl	_ZN7rocprim17ROCPRIM_400000_NS6detail17trampoline_kernelINS0_14default_configENS1_25partition_config_selectorILNS1_17partition_subalgoE8ElNS0_10empty_typeEbEEZZNS1_14partition_implILS5_8ELb0ES3_jPlPS6_PKS6_NS0_5tupleIJS9_S6_EEENSD_IJSA_SA_EEENS0_18inequality_wrapperIZN2at6native12_GLOBAL__N_124unique_dim_cuda_templateItEESt5tupleIJNSH_6TensorESM_SM_EERKSM_lbbbEUlllE0_EEPmJS6_EEE10hipError_tPvRmT3_T4_T5_T6_T7_T9_mT8_P12ihipStream_tbDpT10_ENKUlT_T0_E_clISt17integral_constantIbLb0EES1C_EEDaS17_S18_EUlS17_E_NS1_11comp_targetILNS1_3genE10ELNS1_11target_archE1200ELNS1_3gpuE4ELNS1_3repE0EEENS1_30default_config_static_selectorELNS0_4arch9wavefront6targetE1EEEvT1_ ; -- Begin function _ZN7rocprim17ROCPRIM_400000_NS6detail17trampoline_kernelINS0_14default_configENS1_25partition_config_selectorILNS1_17partition_subalgoE8ElNS0_10empty_typeEbEEZZNS1_14partition_implILS5_8ELb0ES3_jPlPS6_PKS6_NS0_5tupleIJS9_S6_EEENSD_IJSA_SA_EEENS0_18inequality_wrapperIZN2at6native12_GLOBAL__N_124unique_dim_cuda_templateItEESt5tupleIJNSH_6TensorESM_SM_EERKSM_lbbbEUlllE0_EEPmJS6_EEE10hipError_tPvRmT3_T4_T5_T6_T7_T9_mT8_P12ihipStream_tbDpT10_ENKUlT_T0_E_clISt17integral_constantIbLb0EES1C_EEDaS17_S18_EUlS17_E_NS1_11comp_targetILNS1_3genE10ELNS1_11target_archE1200ELNS1_3gpuE4ELNS1_3repE0EEENS1_30default_config_static_selectorELNS0_4arch9wavefront6targetE1EEEvT1_
	.p2align	8
	.type	_ZN7rocprim17ROCPRIM_400000_NS6detail17trampoline_kernelINS0_14default_configENS1_25partition_config_selectorILNS1_17partition_subalgoE8ElNS0_10empty_typeEbEEZZNS1_14partition_implILS5_8ELb0ES3_jPlPS6_PKS6_NS0_5tupleIJS9_S6_EEENSD_IJSA_SA_EEENS0_18inequality_wrapperIZN2at6native12_GLOBAL__N_124unique_dim_cuda_templateItEESt5tupleIJNSH_6TensorESM_SM_EERKSM_lbbbEUlllE0_EEPmJS6_EEE10hipError_tPvRmT3_T4_T5_T6_T7_T9_mT8_P12ihipStream_tbDpT10_ENKUlT_T0_E_clISt17integral_constantIbLb0EES1C_EEDaS17_S18_EUlS17_E_NS1_11comp_targetILNS1_3genE10ELNS1_11target_archE1200ELNS1_3gpuE4ELNS1_3repE0EEENS1_30default_config_static_selectorELNS0_4arch9wavefront6targetE1EEEvT1_,@function
_ZN7rocprim17ROCPRIM_400000_NS6detail17trampoline_kernelINS0_14default_configENS1_25partition_config_selectorILNS1_17partition_subalgoE8ElNS0_10empty_typeEbEEZZNS1_14partition_implILS5_8ELb0ES3_jPlPS6_PKS6_NS0_5tupleIJS9_S6_EEENSD_IJSA_SA_EEENS0_18inequality_wrapperIZN2at6native12_GLOBAL__N_124unique_dim_cuda_templateItEESt5tupleIJNSH_6TensorESM_SM_EERKSM_lbbbEUlllE0_EEPmJS6_EEE10hipError_tPvRmT3_T4_T5_T6_T7_T9_mT8_P12ihipStream_tbDpT10_ENKUlT_T0_E_clISt17integral_constantIbLb0EES1C_EEDaS17_S18_EUlS17_E_NS1_11comp_targetILNS1_3genE10ELNS1_11target_archE1200ELNS1_3gpuE4ELNS1_3repE0EEENS1_30default_config_static_selectorELNS0_4arch9wavefront6targetE1EEEvT1_: ; @_ZN7rocprim17ROCPRIM_400000_NS6detail17trampoline_kernelINS0_14default_configENS1_25partition_config_selectorILNS1_17partition_subalgoE8ElNS0_10empty_typeEbEEZZNS1_14partition_implILS5_8ELb0ES3_jPlPS6_PKS6_NS0_5tupleIJS9_S6_EEENSD_IJSA_SA_EEENS0_18inequality_wrapperIZN2at6native12_GLOBAL__N_124unique_dim_cuda_templateItEESt5tupleIJNSH_6TensorESM_SM_EERKSM_lbbbEUlllE0_EEPmJS6_EEE10hipError_tPvRmT3_T4_T5_T6_T7_T9_mT8_P12ihipStream_tbDpT10_ENKUlT_T0_E_clISt17integral_constantIbLb0EES1C_EEDaS17_S18_EUlS17_E_NS1_11comp_targetILNS1_3genE10ELNS1_11target_archE1200ELNS1_3gpuE4ELNS1_3repE0EEENS1_30default_config_static_selectorELNS0_4arch9wavefront6targetE1EEEvT1_
; %bb.0:
	.section	.rodata,"a",@progbits
	.p2align	6, 0x0
	.amdhsa_kernel _ZN7rocprim17ROCPRIM_400000_NS6detail17trampoline_kernelINS0_14default_configENS1_25partition_config_selectorILNS1_17partition_subalgoE8ElNS0_10empty_typeEbEEZZNS1_14partition_implILS5_8ELb0ES3_jPlPS6_PKS6_NS0_5tupleIJS9_S6_EEENSD_IJSA_SA_EEENS0_18inequality_wrapperIZN2at6native12_GLOBAL__N_124unique_dim_cuda_templateItEESt5tupleIJNSH_6TensorESM_SM_EERKSM_lbbbEUlllE0_EEPmJS6_EEE10hipError_tPvRmT3_T4_T5_T6_T7_T9_mT8_P12ihipStream_tbDpT10_ENKUlT_T0_E_clISt17integral_constantIbLb0EES1C_EEDaS17_S18_EUlS17_E_NS1_11comp_targetILNS1_3genE10ELNS1_11target_archE1200ELNS1_3gpuE4ELNS1_3repE0EEENS1_30default_config_static_selectorELNS0_4arch9wavefront6targetE1EEEvT1_
		.amdhsa_group_segment_fixed_size 0
		.amdhsa_private_segment_fixed_size 0
		.amdhsa_kernarg_size 120
		.amdhsa_user_sgpr_count 2
		.amdhsa_user_sgpr_dispatch_ptr 0
		.amdhsa_user_sgpr_queue_ptr 0
		.amdhsa_user_sgpr_kernarg_segment_ptr 1
		.amdhsa_user_sgpr_dispatch_id 0
		.amdhsa_user_sgpr_kernarg_preload_length 0
		.amdhsa_user_sgpr_kernarg_preload_offset 0
		.amdhsa_user_sgpr_private_segment_size 0
		.amdhsa_uses_dynamic_stack 0
		.amdhsa_enable_private_segment 0
		.amdhsa_system_sgpr_workgroup_id_x 1
		.amdhsa_system_sgpr_workgroup_id_y 0
		.amdhsa_system_sgpr_workgroup_id_z 0
		.amdhsa_system_sgpr_workgroup_info 0
		.amdhsa_system_vgpr_workitem_id 0
		.amdhsa_next_free_vgpr 1
		.amdhsa_next_free_sgpr 0
		.amdhsa_accum_offset 4
		.amdhsa_reserve_vcc 0
		.amdhsa_float_round_mode_32 0
		.amdhsa_float_round_mode_16_64 0
		.amdhsa_float_denorm_mode_32 3
		.amdhsa_float_denorm_mode_16_64 3
		.amdhsa_dx10_clamp 1
		.amdhsa_ieee_mode 1
		.amdhsa_fp16_overflow 0
		.amdhsa_tg_split 0
		.amdhsa_exception_fp_ieee_invalid_op 0
		.amdhsa_exception_fp_denorm_src 0
		.amdhsa_exception_fp_ieee_div_zero 0
		.amdhsa_exception_fp_ieee_overflow 0
		.amdhsa_exception_fp_ieee_underflow 0
		.amdhsa_exception_fp_ieee_inexact 0
		.amdhsa_exception_int_div_zero 0
	.end_amdhsa_kernel
	.section	.text._ZN7rocprim17ROCPRIM_400000_NS6detail17trampoline_kernelINS0_14default_configENS1_25partition_config_selectorILNS1_17partition_subalgoE8ElNS0_10empty_typeEbEEZZNS1_14partition_implILS5_8ELb0ES3_jPlPS6_PKS6_NS0_5tupleIJS9_S6_EEENSD_IJSA_SA_EEENS0_18inequality_wrapperIZN2at6native12_GLOBAL__N_124unique_dim_cuda_templateItEESt5tupleIJNSH_6TensorESM_SM_EERKSM_lbbbEUlllE0_EEPmJS6_EEE10hipError_tPvRmT3_T4_T5_T6_T7_T9_mT8_P12ihipStream_tbDpT10_ENKUlT_T0_E_clISt17integral_constantIbLb0EES1C_EEDaS17_S18_EUlS17_E_NS1_11comp_targetILNS1_3genE10ELNS1_11target_archE1200ELNS1_3gpuE4ELNS1_3repE0EEENS1_30default_config_static_selectorELNS0_4arch9wavefront6targetE1EEEvT1_,"axG",@progbits,_ZN7rocprim17ROCPRIM_400000_NS6detail17trampoline_kernelINS0_14default_configENS1_25partition_config_selectorILNS1_17partition_subalgoE8ElNS0_10empty_typeEbEEZZNS1_14partition_implILS5_8ELb0ES3_jPlPS6_PKS6_NS0_5tupleIJS9_S6_EEENSD_IJSA_SA_EEENS0_18inequality_wrapperIZN2at6native12_GLOBAL__N_124unique_dim_cuda_templateItEESt5tupleIJNSH_6TensorESM_SM_EERKSM_lbbbEUlllE0_EEPmJS6_EEE10hipError_tPvRmT3_T4_T5_T6_T7_T9_mT8_P12ihipStream_tbDpT10_ENKUlT_T0_E_clISt17integral_constantIbLb0EES1C_EEDaS17_S18_EUlS17_E_NS1_11comp_targetILNS1_3genE10ELNS1_11target_archE1200ELNS1_3gpuE4ELNS1_3repE0EEENS1_30default_config_static_selectorELNS0_4arch9wavefront6targetE1EEEvT1_,comdat
.Lfunc_end1433:
	.size	_ZN7rocprim17ROCPRIM_400000_NS6detail17trampoline_kernelINS0_14default_configENS1_25partition_config_selectorILNS1_17partition_subalgoE8ElNS0_10empty_typeEbEEZZNS1_14partition_implILS5_8ELb0ES3_jPlPS6_PKS6_NS0_5tupleIJS9_S6_EEENSD_IJSA_SA_EEENS0_18inequality_wrapperIZN2at6native12_GLOBAL__N_124unique_dim_cuda_templateItEESt5tupleIJNSH_6TensorESM_SM_EERKSM_lbbbEUlllE0_EEPmJS6_EEE10hipError_tPvRmT3_T4_T5_T6_T7_T9_mT8_P12ihipStream_tbDpT10_ENKUlT_T0_E_clISt17integral_constantIbLb0EES1C_EEDaS17_S18_EUlS17_E_NS1_11comp_targetILNS1_3genE10ELNS1_11target_archE1200ELNS1_3gpuE4ELNS1_3repE0EEENS1_30default_config_static_selectorELNS0_4arch9wavefront6targetE1EEEvT1_, .Lfunc_end1433-_ZN7rocprim17ROCPRIM_400000_NS6detail17trampoline_kernelINS0_14default_configENS1_25partition_config_selectorILNS1_17partition_subalgoE8ElNS0_10empty_typeEbEEZZNS1_14partition_implILS5_8ELb0ES3_jPlPS6_PKS6_NS0_5tupleIJS9_S6_EEENSD_IJSA_SA_EEENS0_18inequality_wrapperIZN2at6native12_GLOBAL__N_124unique_dim_cuda_templateItEESt5tupleIJNSH_6TensorESM_SM_EERKSM_lbbbEUlllE0_EEPmJS6_EEE10hipError_tPvRmT3_T4_T5_T6_T7_T9_mT8_P12ihipStream_tbDpT10_ENKUlT_T0_E_clISt17integral_constantIbLb0EES1C_EEDaS17_S18_EUlS17_E_NS1_11comp_targetILNS1_3genE10ELNS1_11target_archE1200ELNS1_3gpuE4ELNS1_3repE0EEENS1_30default_config_static_selectorELNS0_4arch9wavefront6targetE1EEEvT1_
                                        ; -- End function
	.section	.AMDGPU.csdata,"",@progbits
; Kernel info:
; codeLenInByte = 0
; NumSgprs: 6
; NumVgprs: 0
; NumAgprs: 0
; TotalNumVgprs: 0
; ScratchSize: 0
; MemoryBound: 0
; FloatMode: 240
; IeeeMode: 1
; LDSByteSize: 0 bytes/workgroup (compile time only)
; SGPRBlocks: 0
; VGPRBlocks: 0
; NumSGPRsForWavesPerEU: 6
; NumVGPRsForWavesPerEU: 1
; AccumOffset: 4
; Occupancy: 8
; WaveLimiterHint : 0
; COMPUTE_PGM_RSRC2:SCRATCH_EN: 0
; COMPUTE_PGM_RSRC2:USER_SGPR: 2
; COMPUTE_PGM_RSRC2:TRAP_HANDLER: 0
; COMPUTE_PGM_RSRC2:TGID_X_EN: 1
; COMPUTE_PGM_RSRC2:TGID_Y_EN: 0
; COMPUTE_PGM_RSRC2:TGID_Z_EN: 0
; COMPUTE_PGM_RSRC2:TIDIG_COMP_CNT: 0
; COMPUTE_PGM_RSRC3_GFX90A:ACCUM_OFFSET: 0
; COMPUTE_PGM_RSRC3_GFX90A:TG_SPLIT: 0
	.section	.text._ZN7rocprim17ROCPRIM_400000_NS6detail17trampoline_kernelINS0_14default_configENS1_25partition_config_selectorILNS1_17partition_subalgoE8ElNS0_10empty_typeEbEEZZNS1_14partition_implILS5_8ELb0ES3_jPlPS6_PKS6_NS0_5tupleIJS9_S6_EEENSD_IJSA_SA_EEENS0_18inequality_wrapperIZN2at6native12_GLOBAL__N_124unique_dim_cuda_templateItEESt5tupleIJNSH_6TensorESM_SM_EERKSM_lbbbEUlllE0_EEPmJS6_EEE10hipError_tPvRmT3_T4_T5_T6_T7_T9_mT8_P12ihipStream_tbDpT10_ENKUlT_T0_E_clISt17integral_constantIbLb0EES1C_EEDaS17_S18_EUlS17_E_NS1_11comp_targetILNS1_3genE9ELNS1_11target_archE1100ELNS1_3gpuE3ELNS1_3repE0EEENS1_30default_config_static_selectorELNS0_4arch9wavefront6targetE1EEEvT1_,"axG",@progbits,_ZN7rocprim17ROCPRIM_400000_NS6detail17trampoline_kernelINS0_14default_configENS1_25partition_config_selectorILNS1_17partition_subalgoE8ElNS0_10empty_typeEbEEZZNS1_14partition_implILS5_8ELb0ES3_jPlPS6_PKS6_NS0_5tupleIJS9_S6_EEENSD_IJSA_SA_EEENS0_18inequality_wrapperIZN2at6native12_GLOBAL__N_124unique_dim_cuda_templateItEESt5tupleIJNSH_6TensorESM_SM_EERKSM_lbbbEUlllE0_EEPmJS6_EEE10hipError_tPvRmT3_T4_T5_T6_T7_T9_mT8_P12ihipStream_tbDpT10_ENKUlT_T0_E_clISt17integral_constantIbLb0EES1C_EEDaS17_S18_EUlS17_E_NS1_11comp_targetILNS1_3genE9ELNS1_11target_archE1100ELNS1_3gpuE3ELNS1_3repE0EEENS1_30default_config_static_selectorELNS0_4arch9wavefront6targetE1EEEvT1_,comdat
	.globl	_ZN7rocprim17ROCPRIM_400000_NS6detail17trampoline_kernelINS0_14default_configENS1_25partition_config_selectorILNS1_17partition_subalgoE8ElNS0_10empty_typeEbEEZZNS1_14partition_implILS5_8ELb0ES3_jPlPS6_PKS6_NS0_5tupleIJS9_S6_EEENSD_IJSA_SA_EEENS0_18inequality_wrapperIZN2at6native12_GLOBAL__N_124unique_dim_cuda_templateItEESt5tupleIJNSH_6TensorESM_SM_EERKSM_lbbbEUlllE0_EEPmJS6_EEE10hipError_tPvRmT3_T4_T5_T6_T7_T9_mT8_P12ihipStream_tbDpT10_ENKUlT_T0_E_clISt17integral_constantIbLb0EES1C_EEDaS17_S18_EUlS17_E_NS1_11comp_targetILNS1_3genE9ELNS1_11target_archE1100ELNS1_3gpuE3ELNS1_3repE0EEENS1_30default_config_static_selectorELNS0_4arch9wavefront6targetE1EEEvT1_ ; -- Begin function _ZN7rocprim17ROCPRIM_400000_NS6detail17trampoline_kernelINS0_14default_configENS1_25partition_config_selectorILNS1_17partition_subalgoE8ElNS0_10empty_typeEbEEZZNS1_14partition_implILS5_8ELb0ES3_jPlPS6_PKS6_NS0_5tupleIJS9_S6_EEENSD_IJSA_SA_EEENS0_18inequality_wrapperIZN2at6native12_GLOBAL__N_124unique_dim_cuda_templateItEESt5tupleIJNSH_6TensorESM_SM_EERKSM_lbbbEUlllE0_EEPmJS6_EEE10hipError_tPvRmT3_T4_T5_T6_T7_T9_mT8_P12ihipStream_tbDpT10_ENKUlT_T0_E_clISt17integral_constantIbLb0EES1C_EEDaS17_S18_EUlS17_E_NS1_11comp_targetILNS1_3genE9ELNS1_11target_archE1100ELNS1_3gpuE3ELNS1_3repE0EEENS1_30default_config_static_selectorELNS0_4arch9wavefront6targetE1EEEvT1_
	.p2align	8
	.type	_ZN7rocprim17ROCPRIM_400000_NS6detail17trampoline_kernelINS0_14default_configENS1_25partition_config_selectorILNS1_17partition_subalgoE8ElNS0_10empty_typeEbEEZZNS1_14partition_implILS5_8ELb0ES3_jPlPS6_PKS6_NS0_5tupleIJS9_S6_EEENSD_IJSA_SA_EEENS0_18inequality_wrapperIZN2at6native12_GLOBAL__N_124unique_dim_cuda_templateItEESt5tupleIJNSH_6TensorESM_SM_EERKSM_lbbbEUlllE0_EEPmJS6_EEE10hipError_tPvRmT3_T4_T5_T6_T7_T9_mT8_P12ihipStream_tbDpT10_ENKUlT_T0_E_clISt17integral_constantIbLb0EES1C_EEDaS17_S18_EUlS17_E_NS1_11comp_targetILNS1_3genE9ELNS1_11target_archE1100ELNS1_3gpuE3ELNS1_3repE0EEENS1_30default_config_static_selectorELNS0_4arch9wavefront6targetE1EEEvT1_,@function
_ZN7rocprim17ROCPRIM_400000_NS6detail17trampoline_kernelINS0_14default_configENS1_25partition_config_selectorILNS1_17partition_subalgoE8ElNS0_10empty_typeEbEEZZNS1_14partition_implILS5_8ELb0ES3_jPlPS6_PKS6_NS0_5tupleIJS9_S6_EEENSD_IJSA_SA_EEENS0_18inequality_wrapperIZN2at6native12_GLOBAL__N_124unique_dim_cuda_templateItEESt5tupleIJNSH_6TensorESM_SM_EERKSM_lbbbEUlllE0_EEPmJS6_EEE10hipError_tPvRmT3_T4_T5_T6_T7_T9_mT8_P12ihipStream_tbDpT10_ENKUlT_T0_E_clISt17integral_constantIbLb0EES1C_EEDaS17_S18_EUlS17_E_NS1_11comp_targetILNS1_3genE9ELNS1_11target_archE1100ELNS1_3gpuE3ELNS1_3repE0EEENS1_30default_config_static_selectorELNS0_4arch9wavefront6targetE1EEEvT1_: ; @_ZN7rocprim17ROCPRIM_400000_NS6detail17trampoline_kernelINS0_14default_configENS1_25partition_config_selectorILNS1_17partition_subalgoE8ElNS0_10empty_typeEbEEZZNS1_14partition_implILS5_8ELb0ES3_jPlPS6_PKS6_NS0_5tupleIJS9_S6_EEENSD_IJSA_SA_EEENS0_18inequality_wrapperIZN2at6native12_GLOBAL__N_124unique_dim_cuda_templateItEESt5tupleIJNSH_6TensorESM_SM_EERKSM_lbbbEUlllE0_EEPmJS6_EEE10hipError_tPvRmT3_T4_T5_T6_T7_T9_mT8_P12ihipStream_tbDpT10_ENKUlT_T0_E_clISt17integral_constantIbLb0EES1C_EEDaS17_S18_EUlS17_E_NS1_11comp_targetILNS1_3genE9ELNS1_11target_archE1100ELNS1_3gpuE3ELNS1_3repE0EEENS1_30default_config_static_selectorELNS0_4arch9wavefront6targetE1EEEvT1_
; %bb.0:
	.section	.rodata,"a",@progbits
	.p2align	6, 0x0
	.amdhsa_kernel _ZN7rocprim17ROCPRIM_400000_NS6detail17trampoline_kernelINS0_14default_configENS1_25partition_config_selectorILNS1_17partition_subalgoE8ElNS0_10empty_typeEbEEZZNS1_14partition_implILS5_8ELb0ES3_jPlPS6_PKS6_NS0_5tupleIJS9_S6_EEENSD_IJSA_SA_EEENS0_18inequality_wrapperIZN2at6native12_GLOBAL__N_124unique_dim_cuda_templateItEESt5tupleIJNSH_6TensorESM_SM_EERKSM_lbbbEUlllE0_EEPmJS6_EEE10hipError_tPvRmT3_T4_T5_T6_T7_T9_mT8_P12ihipStream_tbDpT10_ENKUlT_T0_E_clISt17integral_constantIbLb0EES1C_EEDaS17_S18_EUlS17_E_NS1_11comp_targetILNS1_3genE9ELNS1_11target_archE1100ELNS1_3gpuE3ELNS1_3repE0EEENS1_30default_config_static_selectorELNS0_4arch9wavefront6targetE1EEEvT1_
		.amdhsa_group_segment_fixed_size 0
		.amdhsa_private_segment_fixed_size 0
		.amdhsa_kernarg_size 120
		.amdhsa_user_sgpr_count 2
		.amdhsa_user_sgpr_dispatch_ptr 0
		.amdhsa_user_sgpr_queue_ptr 0
		.amdhsa_user_sgpr_kernarg_segment_ptr 1
		.amdhsa_user_sgpr_dispatch_id 0
		.amdhsa_user_sgpr_kernarg_preload_length 0
		.amdhsa_user_sgpr_kernarg_preload_offset 0
		.amdhsa_user_sgpr_private_segment_size 0
		.amdhsa_uses_dynamic_stack 0
		.amdhsa_enable_private_segment 0
		.amdhsa_system_sgpr_workgroup_id_x 1
		.amdhsa_system_sgpr_workgroup_id_y 0
		.amdhsa_system_sgpr_workgroup_id_z 0
		.amdhsa_system_sgpr_workgroup_info 0
		.amdhsa_system_vgpr_workitem_id 0
		.amdhsa_next_free_vgpr 1
		.amdhsa_next_free_sgpr 0
		.amdhsa_accum_offset 4
		.amdhsa_reserve_vcc 0
		.amdhsa_float_round_mode_32 0
		.amdhsa_float_round_mode_16_64 0
		.amdhsa_float_denorm_mode_32 3
		.amdhsa_float_denorm_mode_16_64 3
		.amdhsa_dx10_clamp 1
		.amdhsa_ieee_mode 1
		.amdhsa_fp16_overflow 0
		.amdhsa_tg_split 0
		.amdhsa_exception_fp_ieee_invalid_op 0
		.amdhsa_exception_fp_denorm_src 0
		.amdhsa_exception_fp_ieee_div_zero 0
		.amdhsa_exception_fp_ieee_overflow 0
		.amdhsa_exception_fp_ieee_underflow 0
		.amdhsa_exception_fp_ieee_inexact 0
		.amdhsa_exception_int_div_zero 0
	.end_amdhsa_kernel
	.section	.text._ZN7rocprim17ROCPRIM_400000_NS6detail17trampoline_kernelINS0_14default_configENS1_25partition_config_selectorILNS1_17partition_subalgoE8ElNS0_10empty_typeEbEEZZNS1_14partition_implILS5_8ELb0ES3_jPlPS6_PKS6_NS0_5tupleIJS9_S6_EEENSD_IJSA_SA_EEENS0_18inequality_wrapperIZN2at6native12_GLOBAL__N_124unique_dim_cuda_templateItEESt5tupleIJNSH_6TensorESM_SM_EERKSM_lbbbEUlllE0_EEPmJS6_EEE10hipError_tPvRmT3_T4_T5_T6_T7_T9_mT8_P12ihipStream_tbDpT10_ENKUlT_T0_E_clISt17integral_constantIbLb0EES1C_EEDaS17_S18_EUlS17_E_NS1_11comp_targetILNS1_3genE9ELNS1_11target_archE1100ELNS1_3gpuE3ELNS1_3repE0EEENS1_30default_config_static_selectorELNS0_4arch9wavefront6targetE1EEEvT1_,"axG",@progbits,_ZN7rocprim17ROCPRIM_400000_NS6detail17trampoline_kernelINS0_14default_configENS1_25partition_config_selectorILNS1_17partition_subalgoE8ElNS0_10empty_typeEbEEZZNS1_14partition_implILS5_8ELb0ES3_jPlPS6_PKS6_NS0_5tupleIJS9_S6_EEENSD_IJSA_SA_EEENS0_18inequality_wrapperIZN2at6native12_GLOBAL__N_124unique_dim_cuda_templateItEESt5tupleIJNSH_6TensorESM_SM_EERKSM_lbbbEUlllE0_EEPmJS6_EEE10hipError_tPvRmT3_T4_T5_T6_T7_T9_mT8_P12ihipStream_tbDpT10_ENKUlT_T0_E_clISt17integral_constantIbLb0EES1C_EEDaS17_S18_EUlS17_E_NS1_11comp_targetILNS1_3genE9ELNS1_11target_archE1100ELNS1_3gpuE3ELNS1_3repE0EEENS1_30default_config_static_selectorELNS0_4arch9wavefront6targetE1EEEvT1_,comdat
.Lfunc_end1434:
	.size	_ZN7rocprim17ROCPRIM_400000_NS6detail17trampoline_kernelINS0_14default_configENS1_25partition_config_selectorILNS1_17partition_subalgoE8ElNS0_10empty_typeEbEEZZNS1_14partition_implILS5_8ELb0ES3_jPlPS6_PKS6_NS0_5tupleIJS9_S6_EEENSD_IJSA_SA_EEENS0_18inequality_wrapperIZN2at6native12_GLOBAL__N_124unique_dim_cuda_templateItEESt5tupleIJNSH_6TensorESM_SM_EERKSM_lbbbEUlllE0_EEPmJS6_EEE10hipError_tPvRmT3_T4_T5_T6_T7_T9_mT8_P12ihipStream_tbDpT10_ENKUlT_T0_E_clISt17integral_constantIbLb0EES1C_EEDaS17_S18_EUlS17_E_NS1_11comp_targetILNS1_3genE9ELNS1_11target_archE1100ELNS1_3gpuE3ELNS1_3repE0EEENS1_30default_config_static_selectorELNS0_4arch9wavefront6targetE1EEEvT1_, .Lfunc_end1434-_ZN7rocprim17ROCPRIM_400000_NS6detail17trampoline_kernelINS0_14default_configENS1_25partition_config_selectorILNS1_17partition_subalgoE8ElNS0_10empty_typeEbEEZZNS1_14partition_implILS5_8ELb0ES3_jPlPS6_PKS6_NS0_5tupleIJS9_S6_EEENSD_IJSA_SA_EEENS0_18inequality_wrapperIZN2at6native12_GLOBAL__N_124unique_dim_cuda_templateItEESt5tupleIJNSH_6TensorESM_SM_EERKSM_lbbbEUlllE0_EEPmJS6_EEE10hipError_tPvRmT3_T4_T5_T6_T7_T9_mT8_P12ihipStream_tbDpT10_ENKUlT_T0_E_clISt17integral_constantIbLb0EES1C_EEDaS17_S18_EUlS17_E_NS1_11comp_targetILNS1_3genE9ELNS1_11target_archE1100ELNS1_3gpuE3ELNS1_3repE0EEENS1_30default_config_static_selectorELNS0_4arch9wavefront6targetE1EEEvT1_
                                        ; -- End function
	.section	.AMDGPU.csdata,"",@progbits
; Kernel info:
; codeLenInByte = 0
; NumSgprs: 6
; NumVgprs: 0
; NumAgprs: 0
; TotalNumVgprs: 0
; ScratchSize: 0
; MemoryBound: 0
; FloatMode: 240
; IeeeMode: 1
; LDSByteSize: 0 bytes/workgroup (compile time only)
; SGPRBlocks: 0
; VGPRBlocks: 0
; NumSGPRsForWavesPerEU: 6
; NumVGPRsForWavesPerEU: 1
; AccumOffset: 4
; Occupancy: 8
; WaveLimiterHint : 0
; COMPUTE_PGM_RSRC2:SCRATCH_EN: 0
; COMPUTE_PGM_RSRC2:USER_SGPR: 2
; COMPUTE_PGM_RSRC2:TRAP_HANDLER: 0
; COMPUTE_PGM_RSRC2:TGID_X_EN: 1
; COMPUTE_PGM_RSRC2:TGID_Y_EN: 0
; COMPUTE_PGM_RSRC2:TGID_Z_EN: 0
; COMPUTE_PGM_RSRC2:TIDIG_COMP_CNT: 0
; COMPUTE_PGM_RSRC3_GFX90A:ACCUM_OFFSET: 0
; COMPUTE_PGM_RSRC3_GFX90A:TG_SPLIT: 0
	.section	.text._ZN7rocprim17ROCPRIM_400000_NS6detail17trampoline_kernelINS0_14default_configENS1_25partition_config_selectorILNS1_17partition_subalgoE8ElNS0_10empty_typeEbEEZZNS1_14partition_implILS5_8ELb0ES3_jPlPS6_PKS6_NS0_5tupleIJS9_S6_EEENSD_IJSA_SA_EEENS0_18inequality_wrapperIZN2at6native12_GLOBAL__N_124unique_dim_cuda_templateItEESt5tupleIJNSH_6TensorESM_SM_EERKSM_lbbbEUlllE0_EEPmJS6_EEE10hipError_tPvRmT3_T4_T5_T6_T7_T9_mT8_P12ihipStream_tbDpT10_ENKUlT_T0_E_clISt17integral_constantIbLb0EES1C_EEDaS17_S18_EUlS17_E_NS1_11comp_targetILNS1_3genE8ELNS1_11target_archE1030ELNS1_3gpuE2ELNS1_3repE0EEENS1_30default_config_static_selectorELNS0_4arch9wavefront6targetE1EEEvT1_,"axG",@progbits,_ZN7rocprim17ROCPRIM_400000_NS6detail17trampoline_kernelINS0_14default_configENS1_25partition_config_selectorILNS1_17partition_subalgoE8ElNS0_10empty_typeEbEEZZNS1_14partition_implILS5_8ELb0ES3_jPlPS6_PKS6_NS0_5tupleIJS9_S6_EEENSD_IJSA_SA_EEENS0_18inequality_wrapperIZN2at6native12_GLOBAL__N_124unique_dim_cuda_templateItEESt5tupleIJNSH_6TensorESM_SM_EERKSM_lbbbEUlllE0_EEPmJS6_EEE10hipError_tPvRmT3_T4_T5_T6_T7_T9_mT8_P12ihipStream_tbDpT10_ENKUlT_T0_E_clISt17integral_constantIbLb0EES1C_EEDaS17_S18_EUlS17_E_NS1_11comp_targetILNS1_3genE8ELNS1_11target_archE1030ELNS1_3gpuE2ELNS1_3repE0EEENS1_30default_config_static_selectorELNS0_4arch9wavefront6targetE1EEEvT1_,comdat
	.globl	_ZN7rocprim17ROCPRIM_400000_NS6detail17trampoline_kernelINS0_14default_configENS1_25partition_config_selectorILNS1_17partition_subalgoE8ElNS0_10empty_typeEbEEZZNS1_14partition_implILS5_8ELb0ES3_jPlPS6_PKS6_NS0_5tupleIJS9_S6_EEENSD_IJSA_SA_EEENS0_18inequality_wrapperIZN2at6native12_GLOBAL__N_124unique_dim_cuda_templateItEESt5tupleIJNSH_6TensorESM_SM_EERKSM_lbbbEUlllE0_EEPmJS6_EEE10hipError_tPvRmT3_T4_T5_T6_T7_T9_mT8_P12ihipStream_tbDpT10_ENKUlT_T0_E_clISt17integral_constantIbLb0EES1C_EEDaS17_S18_EUlS17_E_NS1_11comp_targetILNS1_3genE8ELNS1_11target_archE1030ELNS1_3gpuE2ELNS1_3repE0EEENS1_30default_config_static_selectorELNS0_4arch9wavefront6targetE1EEEvT1_ ; -- Begin function _ZN7rocprim17ROCPRIM_400000_NS6detail17trampoline_kernelINS0_14default_configENS1_25partition_config_selectorILNS1_17partition_subalgoE8ElNS0_10empty_typeEbEEZZNS1_14partition_implILS5_8ELb0ES3_jPlPS6_PKS6_NS0_5tupleIJS9_S6_EEENSD_IJSA_SA_EEENS0_18inequality_wrapperIZN2at6native12_GLOBAL__N_124unique_dim_cuda_templateItEESt5tupleIJNSH_6TensorESM_SM_EERKSM_lbbbEUlllE0_EEPmJS6_EEE10hipError_tPvRmT3_T4_T5_T6_T7_T9_mT8_P12ihipStream_tbDpT10_ENKUlT_T0_E_clISt17integral_constantIbLb0EES1C_EEDaS17_S18_EUlS17_E_NS1_11comp_targetILNS1_3genE8ELNS1_11target_archE1030ELNS1_3gpuE2ELNS1_3repE0EEENS1_30default_config_static_selectorELNS0_4arch9wavefront6targetE1EEEvT1_
	.p2align	8
	.type	_ZN7rocprim17ROCPRIM_400000_NS6detail17trampoline_kernelINS0_14default_configENS1_25partition_config_selectorILNS1_17partition_subalgoE8ElNS0_10empty_typeEbEEZZNS1_14partition_implILS5_8ELb0ES3_jPlPS6_PKS6_NS0_5tupleIJS9_S6_EEENSD_IJSA_SA_EEENS0_18inequality_wrapperIZN2at6native12_GLOBAL__N_124unique_dim_cuda_templateItEESt5tupleIJNSH_6TensorESM_SM_EERKSM_lbbbEUlllE0_EEPmJS6_EEE10hipError_tPvRmT3_T4_T5_T6_T7_T9_mT8_P12ihipStream_tbDpT10_ENKUlT_T0_E_clISt17integral_constantIbLb0EES1C_EEDaS17_S18_EUlS17_E_NS1_11comp_targetILNS1_3genE8ELNS1_11target_archE1030ELNS1_3gpuE2ELNS1_3repE0EEENS1_30default_config_static_selectorELNS0_4arch9wavefront6targetE1EEEvT1_,@function
_ZN7rocprim17ROCPRIM_400000_NS6detail17trampoline_kernelINS0_14default_configENS1_25partition_config_selectorILNS1_17partition_subalgoE8ElNS0_10empty_typeEbEEZZNS1_14partition_implILS5_8ELb0ES3_jPlPS6_PKS6_NS0_5tupleIJS9_S6_EEENSD_IJSA_SA_EEENS0_18inequality_wrapperIZN2at6native12_GLOBAL__N_124unique_dim_cuda_templateItEESt5tupleIJNSH_6TensorESM_SM_EERKSM_lbbbEUlllE0_EEPmJS6_EEE10hipError_tPvRmT3_T4_T5_T6_T7_T9_mT8_P12ihipStream_tbDpT10_ENKUlT_T0_E_clISt17integral_constantIbLb0EES1C_EEDaS17_S18_EUlS17_E_NS1_11comp_targetILNS1_3genE8ELNS1_11target_archE1030ELNS1_3gpuE2ELNS1_3repE0EEENS1_30default_config_static_selectorELNS0_4arch9wavefront6targetE1EEEvT1_: ; @_ZN7rocprim17ROCPRIM_400000_NS6detail17trampoline_kernelINS0_14default_configENS1_25partition_config_selectorILNS1_17partition_subalgoE8ElNS0_10empty_typeEbEEZZNS1_14partition_implILS5_8ELb0ES3_jPlPS6_PKS6_NS0_5tupleIJS9_S6_EEENSD_IJSA_SA_EEENS0_18inequality_wrapperIZN2at6native12_GLOBAL__N_124unique_dim_cuda_templateItEESt5tupleIJNSH_6TensorESM_SM_EERKSM_lbbbEUlllE0_EEPmJS6_EEE10hipError_tPvRmT3_T4_T5_T6_T7_T9_mT8_P12ihipStream_tbDpT10_ENKUlT_T0_E_clISt17integral_constantIbLb0EES1C_EEDaS17_S18_EUlS17_E_NS1_11comp_targetILNS1_3genE8ELNS1_11target_archE1030ELNS1_3gpuE2ELNS1_3repE0EEENS1_30default_config_static_selectorELNS0_4arch9wavefront6targetE1EEEvT1_
; %bb.0:
	.section	.rodata,"a",@progbits
	.p2align	6, 0x0
	.amdhsa_kernel _ZN7rocprim17ROCPRIM_400000_NS6detail17trampoline_kernelINS0_14default_configENS1_25partition_config_selectorILNS1_17partition_subalgoE8ElNS0_10empty_typeEbEEZZNS1_14partition_implILS5_8ELb0ES3_jPlPS6_PKS6_NS0_5tupleIJS9_S6_EEENSD_IJSA_SA_EEENS0_18inequality_wrapperIZN2at6native12_GLOBAL__N_124unique_dim_cuda_templateItEESt5tupleIJNSH_6TensorESM_SM_EERKSM_lbbbEUlllE0_EEPmJS6_EEE10hipError_tPvRmT3_T4_T5_T6_T7_T9_mT8_P12ihipStream_tbDpT10_ENKUlT_T0_E_clISt17integral_constantIbLb0EES1C_EEDaS17_S18_EUlS17_E_NS1_11comp_targetILNS1_3genE8ELNS1_11target_archE1030ELNS1_3gpuE2ELNS1_3repE0EEENS1_30default_config_static_selectorELNS0_4arch9wavefront6targetE1EEEvT1_
		.amdhsa_group_segment_fixed_size 0
		.amdhsa_private_segment_fixed_size 0
		.amdhsa_kernarg_size 120
		.amdhsa_user_sgpr_count 2
		.amdhsa_user_sgpr_dispatch_ptr 0
		.amdhsa_user_sgpr_queue_ptr 0
		.amdhsa_user_sgpr_kernarg_segment_ptr 1
		.amdhsa_user_sgpr_dispatch_id 0
		.amdhsa_user_sgpr_kernarg_preload_length 0
		.amdhsa_user_sgpr_kernarg_preload_offset 0
		.amdhsa_user_sgpr_private_segment_size 0
		.amdhsa_uses_dynamic_stack 0
		.amdhsa_enable_private_segment 0
		.amdhsa_system_sgpr_workgroup_id_x 1
		.amdhsa_system_sgpr_workgroup_id_y 0
		.amdhsa_system_sgpr_workgroup_id_z 0
		.amdhsa_system_sgpr_workgroup_info 0
		.amdhsa_system_vgpr_workitem_id 0
		.amdhsa_next_free_vgpr 1
		.amdhsa_next_free_sgpr 0
		.amdhsa_accum_offset 4
		.amdhsa_reserve_vcc 0
		.amdhsa_float_round_mode_32 0
		.amdhsa_float_round_mode_16_64 0
		.amdhsa_float_denorm_mode_32 3
		.amdhsa_float_denorm_mode_16_64 3
		.amdhsa_dx10_clamp 1
		.amdhsa_ieee_mode 1
		.amdhsa_fp16_overflow 0
		.amdhsa_tg_split 0
		.amdhsa_exception_fp_ieee_invalid_op 0
		.amdhsa_exception_fp_denorm_src 0
		.amdhsa_exception_fp_ieee_div_zero 0
		.amdhsa_exception_fp_ieee_overflow 0
		.amdhsa_exception_fp_ieee_underflow 0
		.amdhsa_exception_fp_ieee_inexact 0
		.amdhsa_exception_int_div_zero 0
	.end_amdhsa_kernel
	.section	.text._ZN7rocprim17ROCPRIM_400000_NS6detail17trampoline_kernelINS0_14default_configENS1_25partition_config_selectorILNS1_17partition_subalgoE8ElNS0_10empty_typeEbEEZZNS1_14partition_implILS5_8ELb0ES3_jPlPS6_PKS6_NS0_5tupleIJS9_S6_EEENSD_IJSA_SA_EEENS0_18inequality_wrapperIZN2at6native12_GLOBAL__N_124unique_dim_cuda_templateItEESt5tupleIJNSH_6TensorESM_SM_EERKSM_lbbbEUlllE0_EEPmJS6_EEE10hipError_tPvRmT3_T4_T5_T6_T7_T9_mT8_P12ihipStream_tbDpT10_ENKUlT_T0_E_clISt17integral_constantIbLb0EES1C_EEDaS17_S18_EUlS17_E_NS1_11comp_targetILNS1_3genE8ELNS1_11target_archE1030ELNS1_3gpuE2ELNS1_3repE0EEENS1_30default_config_static_selectorELNS0_4arch9wavefront6targetE1EEEvT1_,"axG",@progbits,_ZN7rocprim17ROCPRIM_400000_NS6detail17trampoline_kernelINS0_14default_configENS1_25partition_config_selectorILNS1_17partition_subalgoE8ElNS0_10empty_typeEbEEZZNS1_14partition_implILS5_8ELb0ES3_jPlPS6_PKS6_NS0_5tupleIJS9_S6_EEENSD_IJSA_SA_EEENS0_18inequality_wrapperIZN2at6native12_GLOBAL__N_124unique_dim_cuda_templateItEESt5tupleIJNSH_6TensorESM_SM_EERKSM_lbbbEUlllE0_EEPmJS6_EEE10hipError_tPvRmT3_T4_T5_T6_T7_T9_mT8_P12ihipStream_tbDpT10_ENKUlT_T0_E_clISt17integral_constantIbLb0EES1C_EEDaS17_S18_EUlS17_E_NS1_11comp_targetILNS1_3genE8ELNS1_11target_archE1030ELNS1_3gpuE2ELNS1_3repE0EEENS1_30default_config_static_selectorELNS0_4arch9wavefront6targetE1EEEvT1_,comdat
.Lfunc_end1435:
	.size	_ZN7rocprim17ROCPRIM_400000_NS6detail17trampoline_kernelINS0_14default_configENS1_25partition_config_selectorILNS1_17partition_subalgoE8ElNS0_10empty_typeEbEEZZNS1_14partition_implILS5_8ELb0ES3_jPlPS6_PKS6_NS0_5tupleIJS9_S6_EEENSD_IJSA_SA_EEENS0_18inequality_wrapperIZN2at6native12_GLOBAL__N_124unique_dim_cuda_templateItEESt5tupleIJNSH_6TensorESM_SM_EERKSM_lbbbEUlllE0_EEPmJS6_EEE10hipError_tPvRmT3_T4_T5_T6_T7_T9_mT8_P12ihipStream_tbDpT10_ENKUlT_T0_E_clISt17integral_constantIbLb0EES1C_EEDaS17_S18_EUlS17_E_NS1_11comp_targetILNS1_3genE8ELNS1_11target_archE1030ELNS1_3gpuE2ELNS1_3repE0EEENS1_30default_config_static_selectorELNS0_4arch9wavefront6targetE1EEEvT1_, .Lfunc_end1435-_ZN7rocprim17ROCPRIM_400000_NS6detail17trampoline_kernelINS0_14default_configENS1_25partition_config_selectorILNS1_17partition_subalgoE8ElNS0_10empty_typeEbEEZZNS1_14partition_implILS5_8ELb0ES3_jPlPS6_PKS6_NS0_5tupleIJS9_S6_EEENSD_IJSA_SA_EEENS0_18inequality_wrapperIZN2at6native12_GLOBAL__N_124unique_dim_cuda_templateItEESt5tupleIJNSH_6TensorESM_SM_EERKSM_lbbbEUlllE0_EEPmJS6_EEE10hipError_tPvRmT3_T4_T5_T6_T7_T9_mT8_P12ihipStream_tbDpT10_ENKUlT_T0_E_clISt17integral_constantIbLb0EES1C_EEDaS17_S18_EUlS17_E_NS1_11comp_targetILNS1_3genE8ELNS1_11target_archE1030ELNS1_3gpuE2ELNS1_3repE0EEENS1_30default_config_static_selectorELNS0_4arch9wavefront6targetE1EEEvT1_
                                        ; -- End function
	.section	.AMDGPU.csdata,"",@progbits
; Kernel info:
; codeLenInByte = 0
; NumSgprs: 6
; NumVgprs: 0
; NumAgprs: 0
; TotalNumVgprs: 0
; ScratchSize: 0
; MemoryBound: 0
; FloatMode: 240
; IeeeMode: 1
; LDSByteSize: 0 bytes/workgroup (compile time only)
; SGPRBlocks: 0
; VGPRBlocks: 0
; NumSGPRsForWavesPerEU: 6
; NumVGPRsForWavesPerEU: 1
; AccumOffset: 4
; Occupancy: 8
; WaveLimiterHint : 0
; COMPUTE_PGM_RSRC2:SCRATCH_EN: 0
; COMPUTE_PGM_RSRC2:USER_SGPR: 2
; COMPUTE_PGM_RSRC2:TRAP_HANDLER: 0
; COMPUTE_PGM_RSRC2:TGID_X_EN: 1
; COMPUTE_PGM_RSRC2:TGID_Y_EN: 0
; COMPUTE_PGM_RSRC2:TGID_Z_EN: 0
; COMPUTE_PGM_RSRC2:TIDIG_COMP_CNT: 0
; COMPUTE_PGM_RSRC3_GFX90A:ACCUM_OFFSET: 0
; COMPUTE_PGM_RSRC3_GFX90A:TG_SPLIT: 0
	.section	.text._ZN7rocprim17ROCPRIM_400000_NS6detail17trampoline_kernelINS0_14default_configENS1_25partition_config_selectorILNS1_17partition_subalgoE8ElNS0_10empty_typeEbEEZZNS1_14partition_implILS5_8ELb0ES3_jPlPS6_PKS6_NS0_5tupleIJS9_S6_EEENSD_IJSA_SA_EEENS0_18inequality_wrapperIZN2at6native12_GLOBAL__N_124unique_dim_cuda_templateItEESt5tupleIJNSH_6TensorESM_SM_EERKSM_lbbbEUlllE0_EEPmJS6_EEE10hipError_tPvRmT3_T4_T5_T6_T7_T9_mT8_P12ihipStream_tbDpT10_ENKUlT_T0_E_clISt17integral_constantIbLb1EES1C_EEDaS17_S18_EUlS17_E_NS1_11comp_targetILNS1_3genE0ELNS1_11target_archE4294967295ELNS1_3gpuE0ELNS1_3repE0EEENS1_30default_config_static_selectorELNS0_4arch9wavefront6targetE1EEEvT1_,"axG",@progbits,_ZN7rocprim17ROCPRIM_400000_NS6detail17trampoline_kernelINS0_14default_configENS1_25partition_config_selectorILNS1_17partition_subalgoE8ElNS0_10empty_typeEbEEZZNS1_14partition_implILS5_8ELb0ES3_jPlPS6_PKS6_NS0_5tupleIJS9_S6_EEENSD_IJSA_SA_EEENS0_18inequality_wrapperIZN2at6native12_GLOBAL__N_124unique_dim_cuda_templateItEESt5tupleIJNSH_6TensorESM_SM_EERKSM_lbbbEUlllE0_EEPmJS6_EEE10hipError_tPvRmT3_T4_T5_T6_T7_T9_mT8_P12ihipStream_tbDpT10_ENKUlT_T0_E_clISt17integral_constantIbLb1EES1C_EEDaS17_S18_EUlS17_E_NS1_11comp_targetILNS1_3genE0ELNS1_11target_archE4294967295ELNS1_3gpuE0ELNS1_3repE0EEENS1_30default_config_static_selectorELNS0_4arch9wavefront6targetE1EEEvT1_,comdat
	.globl	_ZN7rocprim17ROCPRIM_400000_NS6detail17trampoline_kernelINS0_14default_configENS1_25partition_config_selectorILNS1_17partition_subalgoE8ElNS0_10empty_typeEbEEZZNS1_14partition_implILS5_8ELb0ES3_jPlPS6_PKS6_NS0_5tupleIJS9_S6_EEENSD_IJSA_SA_EEENS0_18inequality_wrapperIZN2at6native12_GLOBAL__N_124unique_dim_cuda_templateItEESt5tupleIJNSH_6TensorESM_SM_EERKSM_lbbbEUlllE0_EEPmJS6_EEE10hipError_tPvRmT3_T4_T5_T6_T7_T9_mT8_P12ihipStream_tbDpT10_ENKUlT_T0_E_clISt17integral_constantIbLb1EES1C_EEDaS17_S18_EUlS17_E_NS1_11comp_targetILNS1_3genE0ELNS1_11target_archE4294967295ELNS1_3gpuE0ELNS1_3repE0EEENS1_30default_config_static_selectorELNS0_4arch9wavefront6targetE1EEEvT1_ ; -- Begin function _ZN7rocprim17ROCPRIM_400000_NS6detail17trampoline_kernelINS0_14default_configENS1_25partition_config_selectorILNS1_17partition_subalgoE8ElNS0_10empty_typeEbEEZZNS1_14partition_implILS5_8ELb0ES3_jPlPS6_PKS6_NS0_5tupleIJS9_S6_EEENSD_IJSA_SA_EEENS0_18inequality_wrapperIZN2at6native12_GLOBAL__N_124unique_dim_cuda_templateItEESt5tupleIJNSH_6TensorESM_SM_EERKSM_lbbbEUlllE0_EEPmJS6_EEE10hipError_tPvRmT3_T4_T5_T6_T7_T9_mT8_P12ihipStream_tbDpT10_ENKUlT_T0_E_clISt17integral_constantIbLb1EES1C_EEDaS17_S18_EUlS17_E_NS1_11comp_targetILNS1_3genE0ELNS1_11target_archE4294967295ELNS1_3gpuE0ELNS1_3repE0EEENS1_30default_config_static_selectorELNS0_4arch9wavefront6targetE1EEEvT1_
	.p2align	8
	.type	_ZN7rocprim17ROCPRIM_400000_NS6detail17trampoline_kernelINS0_14default_configENS1_25partition_config_selectorILNS1_17partition_subalgoE8ElNS0_10empty_typeEbEEZZNS1_14partition_implILS5_8ELb0ES3_jPlPS6_PKS6_NS0_5tupleIJS9_S6_EEENSD_IJSA_SA_EEENS0_18inequality_wrapperIZN2at6native12_GLOBAL__N_124unique_dim_cuda_templateItEESt5tupleIJNSH_6TensorESM_SM_EERKSM_lbbbEUlllE0_EEPmJS6_EEE10hipError_tPvRmT3_T4_T5_T6_T7_T9_mT8_P12ihipStream_tbDpT10_ENKUlT_T0_E_clISt17integral_constantIbLb1EES1C_EEDaS17_S18_EUlS17_E_NS1_11comp_targetILNS1_3genE0ELNS1_11target_archE4294967295ELNS1_3gpuE0ELNS1_3repE0EEENS1_30default_config_static_selectorELNS0_4arch9wavefront6targetE1EEEvT1_,@function
_ZN7rocprim17ROCPRIM_400000_NS6detail17trampoline_kernelINS0_14default_configENS1_25partition_config_selectorILNS1_17partition_subalgoE8ElNS0_10empty_typeEbEEZZNS1_14partition_implILS5_8ELb0ES3_jPlPS6_PKS6_NS0_5tupleIJS9_S6_EEENSD_IJSA_SA_EEENS0_18inequality_wrapperIZN2at6native12_GLOBAL__N_124unique_dim_cuda_templateItEESt5tupleIJNSH_6TensorESM_SM_EERKSM_lbbbEUlllE0_EEPmJS6_EEE10hipError_tPvRmT3_T4_T5_T6_T7_T9_mT8_P12ihipStream_tbDpT10_ENKUlT_T0_E_clISt17integral_constantIbLb1EES1C_EEDaS17_S18_EUlS17_E_NS1_11comp_targetILNS1_3genE0ELNS1_11target_archE4294967295ELNS1_3gpuE0ELNS1_3repE0EEENS1_30default_config_static_selectorELNS0_4arch9wavefront6targetE1EEEvT1_: ; @_ZN7rocprim17ROCPRIM_400000_NS6detail17trampoline_kernelINS0_14default_configENS1_25partition_config_selectorILNS1_17partition_subalgoE8ElNS0_10empty_typeEbEEZZNS1_14partition_implILS5_8ELb0ES3_jPlPS6_PKS6_NS0_5tupleIJS9_S6_EEENSD_IJSA_SA_EEENS0_18inequality_wrapperIZN2at6native12_GLOBAL__N_124unique_dim_cuda_templateItEESt5tupleIJNSH_6TensorESM_SM_EERKSM_lbbbEUlllE0_EEPmJS6_EEE10hipError_tPvRmT3_T4_T5_T6_T7_T9_mT8_P12ihipStream_tbDpT10_ENKUlT_T0_E_clISt17integral_constantIbLb1EES1C_EEDaS17_S18_EUlS17_E_NS1_11comp_targetILNS1_3genE0ELNS1_11target_archE4294967295ELNS1_3gpuE0ELNS1_3repE0EEENS1_30default_config_static_selectorELNS0_4arch9wavefront6targetE1EEEvT1_
; %bb.0:
	.section	.rodata,"a",@progbits
	.p2align	6, 0x0
	.amdhsa_kernel _ZN7rocprim17ROCPRIM_400000_NS6detail17trampoline_kernelINS0_14default_configENS1_25partition_config_selectorILNS1_17partition_subalgoE8ElNS0_10empty_typeEbEEZZNS1_14partition_implILS5_8ELb0ES3_jPlPS6_PKS6_NS0_5tupleIJS9_S6_EEENSD_IJSA_SA_EEENS0_18inequality_wrapperIZN2at6native12_GLOBAL__N_124unique_dim_cuda_templateItEESt5tupleIJNSH_6TensorESM_SM_EERKSM_lbbbEUlllE0_EEPmJS6_EEE10hipError_tPvRmT3_T4_T5_T6_T7_T9_mT8_P12ihipStream_tbDpT10_ENKUlT_T0_E_clISt17integral_constantIbLb1EES1C_EEDaS17_S18_EUlS17_E_NS1_11comp_targetILNS1_3genE0ELNS1_11target_archE4294967295ELNS1_3gpuE0ELNS1_3repE0EEENS1_30default_config_static_selectorELNS0_4arch9wavefront6targetE1EEEvT1_
		.amdhsa_group_segment_fixed_size 0
		.amdhsa_private_segment_fixed_size 0
		.amdhsa_kernarg_size 136
		.amdhsa_user_sgpr_count 2
		.amdhsa_user_sgpr_dispatch_ptr 0
		.amdhsa_user_sgpr_queue_ptr 0
		.amdhsa_user_sgpr_kernarg_segment_ptr 1
		.amdhsa_user_sgpr_dispatch_id 0
		.amdhsa_user_sgpr_kernarg_preload_length 0
		.amdhsa_user_sgpr_kernarg_preload_offset 0
		.amdhsa_user_sgpr_private_segment_size 0
		.amdhsa_uses_dynamic_stack 0
		.amdhsa_enable_private_segment 0
		.amdhsa_system_sgpr_workgroup_id_x 1
		.amdhsa_system_sgpr_workgroup_id_y 0
		.amdhsa_system_sgpr_workgroup_id_z 0
		.amdhsa_system_sgpr_workgroup_info 0
		.amdhsa_system_vgpr_workitem_id 0
		.amdhsa_next_free_vgpr 1
		.amdhsa_next_free_sgpr 0
		.amdhsa_accum_offset 4
		.amdhsa_reserve_vcc 0
		.amdhsa_float_round_mode_32 0
		.amdhsa_float_round_mode_16_64 0
		.amdhsa_float_denorm_mode_32 3
		.amdhsa_float_denorm_mode_16_64 3
		.amdhsa_dx10_clamp 1
		.amdhsa_ieee_mode 1
		.amdhsa_fp16_overflow 0
		.amdhsa_tg_split 0
		.amdhsa_exception_fp_ieee_invalid_op 0
		.amdhsa_exception_fp_denorm_src 0
		.amdhsa_exception_fp_ieee_div_zero 0
		.amdhsa_exception_fp_ieee_overflow 0
		.amdhsa_exception_fp_ieee_underflow 0
		.amdhsa_exception_fp_ieee_inexact 0
		.amdhsa_exception_int_div_zero 0
	.end_amdhsa_kernel
	.section	.text._ZN7rocprim17ROCPRIM_400000_NS6detail17trampoline_kernelINS0_14default_configENS1_25partition_config_selectorILNS1_17partition_subalgoE8ElNS0_10empty_typeEbEEZZNS1_14partition_implILS5_8ELb0ES3_jPlPS6_PKS6_NS0_5tupleIJS9_S6_EEENSD_IJSA_SA_EEENS0_18inequality_wrapperIZN2at6native12_GLOBAL__N_124unique_dim_cuda_templateItEESt5tupleIJNSH_6TensorESM_SM_EERKSM_lbbbEUlllE0_EEPmJS6_EEE10hipError_tPvRmT3_T4_T5_T6_T7_T9_mT8_P12ihipStream_tbDpT10_ENKUlT_T0_E_clISt17integral_constantIbLb1EES1C_EEDaS17_S18_EUlS17_E_NS1_11comp_targetILNS1_3genE0ELNS1_11target_archE4294967295ELNS1_3gpuE0ELNS1_3repE0EEENS1_30default_config_static_selectorELNS0_4arch9wavefront6targetE1EEEvT1_,"axG",@progbits,_ZN7rocprim17ROCPRIM_400000_NS6detail17trampoline_kernelINS0_14default_configENS1_25partition_config_selectorILNS1_17partition_subalgoE8ElNS0_10empty_typeEbEEZZNS1_14partition_implILS5_8ELb0ES3_jPlPS6_PKS6_NS0_5tupleIJS9_S6_EEENSD_IJSA_SA_EEENS0_18inequality_wrapperIZN2at6native12_GLOBAL__N_124unique_dim_cuda_templateItEESt5tupleIJNSH_6TensorESM_SM_EERKSM_lbbbEUlllE0_EEPmJS6_EEE10hipError_tPvRmT3_T4_T5_T6_T7_T9_mT8_P12ihipStream_tbDpT10_ENKUlT_T0_E_clISt17integral_constantIbLb1EES1C_EEDaS17_S18_EUlS17_E_NS1_11comp_targetILNS1_3genE0ELNS1_11target_archE4294967295ELNS1_3gpuE0ELNS1_3repE0EEENS1_30default_config_static_selectorELNS0_4arch9wavefront6targetE1EEEvT1_,comdat
.Lfunc_end1436:
	.size	_ZN7rocprim17ROCPRIM_400000_NS6detail17trampoline_kernelINS0_14default_configENS1_25partition_config_selectorILNS1_17partition_subalgoE8ElNS0_10empty_typeEbEEZZNS1_14partition_implILS5_8ELb0ES3_jPlPS6_PKS6_NS0_5tupleIJS9_S6_EEENSD_IJSA_SA_EEENS0_18inequality_wrapperIZN2at6native12_GLOBAL__N_124unique_dim_cuda_templateItEESt5tupleIJNSH_6TensorESM_SM_EERKSM_lbbbEUlllE0_EEPmJS6_EEE10hipError_tPvRmT3_T4_T5_T6_T7_T9_mT8_P12ihipStream_tbDpT10_ENKUlT_T0_E_clISt17integral_constantIbLb1EES1C_EEDaS17_S18_EUlS17_E_NS1_11comp_targetILNS1_3genE0ELNS1_11target_archE4294967295ELNS1_3gpuE0ELNS1_3repE0EEENS1_30default_config_static_selectorELNS0_4arch9wavefront6targetE1EEEvT1_, .Lfunc_end1436-_ZN7rocprim17ROCPRIM_400000_NS6detail17trampoline_kernelINS0_14default_configENS1_25partition_config_selectorILNS1_17partition_subalgoE8ElNS0_10empty_typeEbEEZZNS1_14partition_implILS5_8ELb0ES3_jPlPS6_PKS6_NS0_5tupleIJS9_S6_EEENSD_IJSA_SA_EEENS0_18inequality_wrapperIZN2at6native12_GLOBAL__N_124unique_dim_cuda_templateItEESt5tupleIJNSH_6TensorESM_SM_EERKSM_lbbbEUlllE0_EEPmJS6_EEE10hipError_tPvRmT3_T4_T5_T6_T7_T9_mT8_P12ihipStream_tbDpT10_ENKUlT_T0_E_clISt17integral_constantIbLb1EES1C_EEDaS17_S18_EUlS17_E_NS1_11comp_targetILNS1_3genE0ELNS1_11target_archE4294967295ELNS1_3gpuE0ELNS1_3repE0EEENS1_30default_config_static_selectorELNS0_4arch9wavefront6targetE1EEEvT1_
                                        ; -- End function
	.section	.AMDGPU.csdata,"",@progbits
; Kernel info:
; codeLenInByte = 0
; NumSgprs: 6
; NumVgprs: 0
; NumAgprs: 0
; TotalNumVgprs: 0
; ScratchSize: 0
; MemoryBound: 0
; FloatMode: 240
; IeeeMode: 1
; LDSByteSize: 0 bytes/workgroup (compile time only)
; SGPRBlocks: 0
; VGPRBlocks: 0
; NumSGPRsForWavesPerEU: 6
; NumVGPRsForWavesPerEU: 1
; AccumOffset: 4
; Occupancy: 8
; WaveLimiterHint : 0
; COMPUTE_PGM_RSRC2:SCRATCH_EN: 0
; COMPUTE_PGM_RSRC2:USER_SGPR: 2
; COMPUTE_PGM_RSRC2:TRAP_HANDLER: 0
; COMPUTE_PGM_RSRC2:TGID_X_EN: 1
; COMPUTE_PGM_RSRC2:TGID_Y_EN: 0
; COMPUTE_PGM_RSRC2:TGID_Z_EN: 0
; COMPUTE_PGM_RSRC2:TIDIG_COMP_CNT: 0
; COMPUTE_PGM_RSRC3_GFX90A:ACCUM_OFFSET: 0
; COMPUTE_PGM_RSRC3_GFX90A:TG_SPLIT: 0
	.section	.text._ZN7rocprim17ROCPRIM_400000_NS6detail17trampoline_kernelINS0_14default_configENS1_25partition_config_selectorILNS1_17partition_subalgoE8ElNS0_10empty_typeEbEEZZNS1_14partition_implILS5_8ELb0ES3_jPlPS6_PKS6_NS0_5tupleIJS9_S6_EEENSD_IJSA_SA_EEENS0_18inequality_wrapperIZN2at6native12_GLOBAL__N_124unique_dim_cuda_templateItEESt5tupleIJNSH_6TensorESM_SM_EERKSM_lbbbEUlllE0_EEPmJS6_EEE10hipError_tPvRmT3_T4_T5_T6_T7_T9_mT8_P12ihipStream_tbDpT10_ENKUlT_T0_E_clISt17integral_constantIbLb1EES1C_EEDaS17_S18_EUlS17_E_NS1_11comp_targetILNS1_3genE5ELNS1_11target_archE942ELNS1_3gpuE9ELNS1_3repE0EEENS1_30default_config_static_selectorELNS0_4arch9wavefront6targetE1EEEvT1_,"axG",@progbits,_ZN7rocprim17ROCPRIM_400000_NS6detail17trampoline_kernelINS0_14default_configENS1_25partition_config_selectorILNS1_17partition_subalgoE8ElNS0_10empty_typeEbEEZZNS1_14partition_implILS5_8ELb0ES3_jPlPS6_PKS6_NS0_5tupleIJS9_S6_EEENSD_IJSA_SA_EEENS0_18inequality_wrapperIZN2at6native12_GLOBAL__N_124unique_dim_cuda_templateItEESt5tupleIJNSH_6TensorESM_SM_EERKSM_lbbbEUlllE0_EEPmJS6_EEE10hipError_tPvRmT3_T4_T5_T6_T7_T9_mT8_P12ihipStream_tbDpT10_ENKUlT_T0_E_clISt17integral_constantIbLb1EES1C_EEDaS17_S18_EUlS17_E_NS1_11comp_targetILNS1_3genE5ELNS1_11target_archE942ELNS1_3gpuE9ELNS1_3repE0EEENS1_30default_config_static_selectorELNS0_4arch9wavefront6targetE1EEEvT1_,comdat
	.globl	_ZN7rocprim17ROCPRIM_400000_NS6detail17trampoline_kernelINS0_14default_configENS1_25partition_config_selectorILNS1_17partition_subalgoE8ElNS0_10empty_typeEbEEZZNS1_14partition_implILS5_8ELb0ES3_jPlPS6_PKS6_NS0_5tupleIJS9_S6_EEENSD_IJSA_SA_EEENS0_18inequality_wrapperIZN2at6native12_GLOBAL__N_124unique_dim_cuda_templateItEESt5tupleIJNSH_6TensorESM_SM_EERKSM_lbbbEUlllE0_EEPmJS6_EEE10hipError_tPvRmT3_T4_T5_T6_T7_T9_mT8_P12ihipStream_tbDpT10_ENKUlT_T0_E_clISt17integral_constantIbLb1EES1C_EEDaS17_S18_EUlS17_E_NS1_11comp_targetILNS1_3genE5ELNS1_11target_archE942ELNS1_3gpuE9ELNS1_3repE0EEENS1_30default_config_static_selectorELNS0_4arch9wavefront6targetE1EEEvT1_ ; -- Begin function _ZN7rocprim17ROCPRIM_400000_NS6detail17trampoline_kernelINS0_14default_configENS1_25partition_config_selectorILNS1_17partition_subalgoE8ElNS0_10empty_typeEbEEZZNS1_14partition_implILS5_8ELb0ES3_jPlPS6_PKS6_NS0_5tupleIJS9_S6_EEENSD_IJSA_SA_EEENS0_18inequality_wrapperIZN2at6native12_GLOBAL__N_124unique_dim_cuda_templateItEESt5tupleIJNSH_6TensorESM_SM_EERKSM_lbbbEUlllE0_EEPmJS6_EEE10hipError_tPvRmT3_T4_T5_T6_T7_T9_mT8_P12ihipStream_tbDpT10_ENKUlT_T0_E_clISt17integral_constantIbLb1EES1C_EEDaS17_S18_EUlS17_E_NS1_11comp_targetILNS1_3genE5ELNS1_11target_archE942ELNS1_3gpuE9ELNS1_3repE0EEENS1_30default_config_static_selectorELNS0_4arch9wavefront6targetE1EEEvT1_
	.p2align	8
	.type	_ZN7rocprim17ROCPRIM_400000_NS6detail17trampoline_kernelINS0_14default_configENS1_25partition_config_selectorILNS1_17partition_subalgoE8ElNS0_10empty_typeEbEEZZNS1_14partition_implILS5_8ELb0ES3_jPlPS6_PKS6_NS0_5tupleIJS9_S6_EEENSD_IJSA_SA_EEENS0_18inequality_wrapperIZN2at6native12_GLOBAL__N_124unique_dim_cuda_templateItEESt5tupleIJNSH_6TensorESM_SM_EERKSM_lbbbEUlllE0_EEPmJS6_EEE10hipError_tPvRmT3_T4_T5_T6_T7_T9_mT8_P12ihipStream_tbDpT10_ENKUlT_T0_E_clISt17integral_constantIbLb1EES1C_EEDaS17_S18_EUlS17_E_NS1_11comp_targetILNS1_3genE5ELNS1_11target_archE942ELNS1_3gpuE9ELNS1_3repE0EEENS1_30default_config_static_selectorELNS0_4arch9wavefront6targetE1EEEvT1_,@function
_ZN7rocprim17ROCPRIM_400000_NS6detail17trampoline_kernelINS0_14default_configENS1_25partition_config_selectorILNS1_17partition_subalgoE8ElNS0_10empty_typeEbEEZZNS1_14partition_implILS5_8ELb0ES3_jPlPS6_PKS6_NS0_5tupleIJS9_S6_EEENSD_IJSA_SA_EEENS0_18inequality_wrapperIZN2at6native12_GLOBAL__N_124unique_dim_cuda_templateItEESt5tupleIJNSH_6TensorESM_SM_EERKSM_lbbbEUlllE0_EEPmJS6_EEE10hipError_tPvRmT3_T4_T5_T6_T7_T9_mT8_P12ihipStream_tbDpT10_ENKUlT_T0_E_clISt17integral_constantIbLb1EES1C_EEDaS17_S18_EUlS17_E_NS1_11comp_targetILNS1_3genE5ELNS1_11target_archE942ELNS1_3gpuE9ELNS1_3repE0EEENS1_30default_config_static_selectorELNS0_4arch9wavefront6targetE1EEEvT1_: ; @_ZN7rocprim17ROCPRIM_400000_NS6detail17trampoline_kernelINS0_14default_configENS1_25partition_config_selectorILNS1_17partition_subalgoE8ElNS0_10empty_typeEbEEZZNS1_14partition_implILS5_8ELb0ES3_jPlPS6_PKS6_NS0_5tupleIJS9_S6_EEENSD_IJSA_SA_EEENS0_18inequality_wrapperIZN2at6native12_GLOBAL__N_124unique_dim_cuda_templateItEESt5tupleIJNSH_6TensorESM_SM_EERKSM_lbbbEUlllE0_EEPmJS6_EEE10hipError_tPvRmT3_T4_T5_T6_T7_T9_mT8_P12ihipStream_tbDpT10_ENKUlT_T0_E_clISt17integral_constantIbLb1EES1C_EEDaS17_S18_EUlS17_E_NS1_11comp_targetILNS1_3genE5ELNS1_11target_archE942ELNS1_3gpuE9ELNS1_3repE0EEENS1_30default_config_static_selectorELNS0_4arch9wavefront6targetE1EEEvT1_
; %bb.0:
	s_load_dwordx2 s[34:35], s[0:1], 0x28
	s_load_dwordx8 s[20:27], s[0:1], 0x40
	s_load_dwordx4 s[28:31], s[0:1], 0x60
	v_cmp_ne_u32_e64 s[2:3], 0, v0
	v_cmp_eq_u32_e64 s[18:19], 0, v0
	s_and_saveexec_b64 s[4:5], s[18:19]
	s_cbranch_execz .LBB1437_4
; %bb.1:
	s_mov_b64 s[8:9], exec
	v_mbcnt_lo_u32_b32 v1, s8, 0
	v_mbcnt_hi_u32_b32 v1, s9, v1
	v_cmp_eq_u32_e32 vcc, 0, v1
                                        ; implicit-def: $vgpr2
	s_and_saveexec_b64 s[6:7], vcc
	s_cbranch_execz .LBB1437_3
; %bb.2:
	s_load_dwordx2 s[10:11], s[0:1], 0x78
	s_bcnt1_i32_b64 s8, s[8:9]
	v_mov_b32_e32 v2, 0
	v_mov_b32_e32 v3, s8
	s_waitcnt lgkmcnt(0)
	global_atomic_add v2, v2, v3, s[10:11] sc0
.LBB1437_3:
	s_or_b64 exec, exec, s[6:7]
	s_waitcnt vmcnt(0)
	v_readfirstlane_b32 s6, v2
	v_mov_b32_e32 v2, 0
	s_nop 0
	v_add_u32_e32 v1, s6, v1
	ds_write_b32 v2, v1
.LBB1437_4:
	s_or_b64 exec, exec, s[4:5]
	v_mov_b32_e32 v3, 0
	s_load_dwordx4 s[4:7], s[0:1], 0x8
	s_load_dword s10, s[0:1], 0x70
	s_waitcnt lgkmcnt(0)
	s_barrier
	ds_read_b32 v1, v3
	s_waitcnt lgkmcnt(0)
	s_barrier
	global_load_dwordx2 v[4:5], v3, s[22:23]
	s_lshl_b64 s[0:1], s[6:7], 3
	s_mul_i32 s12, s10, 0xe00
	s_add_u32 s0, s4, s0
	s_addc_u32 s1, s5, s1
	s_add_i32 s4, s12, s6
	s_add_i32 s10, s10, -1
	s_sub_i32 s52, s24, s4
	s_add_u32 s4, s6, s12
	s_movk_i32 s11, 0xe00
	s_addc_u32 s5, s7, 0
	v_readfirstlane_b32 s33, v1
	v_mov_b32_e32 v6, s24
	v_mov_b32_e32 v7, s25
	v_mul_lo_u32 v2, v1, s11
	s_cmp_eq_u32 s33, s10
	v_cmp_ge_u64_e32 vcc, s[4:5], v[6:7]
	v_lshlrev_b64 v[6:7], 3, v[2:3]
	s_cselect_b64 s[24:25], -1, 0
	v_lshl_add_u64 v[18:19], s[0:1], 0, v[6:7]
	s_and_b64 s[0:1], vcc, s[24:25]
	s_xor_b64 s[36:37], s[0:1], -1
	s_mov_b64 s[8:9], -1
	s_and_b64 vcc, exec, s[36:37]
	s_waitcnt vmcnt(0)
	v_readfirstlane_b32 s22, v4
	v_readfirstlane_b32 s23, v5
	s_cbranch_vccz .LBB1437_6
; %bb.5:
	v_lshlrev_b32_e32 v2, 3, v0
	v_lshl_add_u64 v[4:5], v[18:19], 0, v[2:3]
	v_add_co_u32_e32 v8, vcc, 0x1000, v4
	v_readfirstlane_b32 s4, v18
	s_nop 0
	v_addc_co_u32_e32 v9, vcc, 0, v5, vcc
	v_add_co_u32_e32 v10, vcc, 0x2000, v4
	v_readfirstlane_b32 s5, v19
	s_nop 0
	v_addc_co_u32_e32 v11, vcc, 0, v5, vcc
	v_add_co_u32_e32 v12, vcc, 0x3000, v4
	s_mov_b64 s[8:9], 0
	s_nop 0
	v_addc_co_u32_e32 v13, vcc, 0, v5, vcc
	v_add_co_u32_e32 v14, vcc, 0x4000, v4
	global_load_dwordx2 v[6:7], v2, s[4:5]
	s_nop 0
	v_addc_co_u32_e32 v15, vcc, 0, v5, vcc
	global_load_dwordx2 v[16:17], v[8:9], off
	global_load_dwordx2 v[20:21], v[10:11], off
	;; [unrolled: 1-line block ×4, first 2 shown]
	v_add_co_u32_e32 v8, vcc, 0x5000, v4
	s_nop 1
	v_addc_co_u32_e32 v9, vcc, 0, v5, vcc
	v_add_co_u32_e32 v4, vcc, 0x6000, v4
	global_load_dwordx2 v[8:9], v[8:9], off
	s_nop 0
	v_addc_co_u32_e32 v5, vcc, 0, v5, vcc
	global_load_dwordx2 v[4:5], v[4:5], off
	s_waitcnt vmcnt(5)
	ds_write2st64_b64 v2, v[6:7], v[16:17] offset1:8
	s_waitcnt vmcnt(3)
	ds_write2st64_b64 v2, v[20:21], v[22:23] offset0:16 offset1:24
	s_waitcnt vmcnt(1)
	ds_write2st64_b64 v2, v[24:25], v[8:9] offset0:32 offset1:40
	s_waitcnt vmcnt(0)
	ds_write_b64 v2, v[4:5] offset:24576
	s_waitcnt lgkmcnt(0)
	s_barrier
.LBB1437_6:
	s_andn2_b64 vcc, exec, s[8:9]
	s_addk_i32 s52, 0xe00
	s_cbranch_vccnz .LBB1437_22
; %bb.7:
	v_cmp_gt_u32_e32 vcc, s52, v0
                                        ; implicit-def: $vgpr2_vgpr3_vgpr4_vgpr5_vgpr6_vgpr7_vgpr8_vgpr9_vgpr10_vgpr11_vgpr12_vgpr13_vgpr14_vgpr15_vgpr16_vgpr17
	s_and_saveexec_b64 s[4:5], vcc
	s_cbranch_execz .LBB1437_9
; %bb.8:
	v_lshlrev_b32_e32 v1, 3, v0
	v_readfirstlane_b32 s8, v18
	v_readfirstlane_b32 s9, v19
	s_nop 4
	global_load_dwordx2 v[2:3], v1, s[8:9]
.LBB1437_9:
	s_or_b64 exec, exec, s[4:5]
	v_or_b32_e32 v1, 0x200, v0
	v_cmp_gt_u32_e32 vcc, s52, v1
	s_and_saveexec_b64 s[4:5], vcc
	s_cbranch_execz .LBB1437_11
; %bb.10:
	v_lshlrev_b32_e32 v1, 3, v1
	v_readfirstlane_b32 s8, v18
	v_readfirstlane_b32 s9, v19
	s_nop 4
	global_load_dwordx2 v[4:5], v1, s[8:9]
.LBB1437_11:
	s_or_b64 exec, exec, s[4:5]
	v_or_b32_e32 v1, 0x400, v0
	v_cmp_gt_u32_e32 vcc, s52, v1
	;; [unrolled: 12-line block ×6, first 2 shown]
	s_and_saveexec_b64 s[4:5], vcc
	s_cbranch_execz .LBB1437_21
; %bb.20:
	v_lshlrev_b32_e32 v1, 3, v1
	v_readfirstlane_b32 s8, v18
	v_readfirstlane_b32 s9, v19
	s_nop 4
	global_load_dwordx2 v[14:15], v1, s[8:9]
.LBB1437_21:
	s_or_b64 exec, exec, s[4:5]
	v_lshlrev_b32_e32 v1, 3, v0
	s_waitcnt vmcnt(0)
	ds_write2st64_b64 v1, v[2:3], v[4:5] offset1:8
	ds_write2st64_b64 v1, v[6:7], v[8:9] offset0:16 offset1:24
	ds_write2st64_b64 v1, v[10:11], v[12:13] offset0:32 offset1:40
	ds_write_b64 v1, v[14:15] offset:24576
	s_waitcnt lgkmcnt(0)
	s_barrier
.LBB1437_22:
	v_mul_u32_u24_e32 v1, 7, v0
	v_lshlrev_b32_e32 v32, 3, v1
	ds_read2_b64 v[10:13], v32 offset1:1
	ds_read2_b64 v[6:9], v32 offset0:2 offset1:3
	ds_read2_b64 v[2:5], v32 offset0:4 offset1:5
	ds_read_b64 v[14:15], v32 offset:48
	s_cmp_lg_u32 s33, 0
	s_cselect_b64 s[16:17], -1, 0
	s_cmp_lg_u64 s[6:7], 0
	s_cselect_b64 s[4:5], -1, 0
	s_or_b64 s[4:5], s[4:5], s[16:17]
	v_mad_u32_u24 v27, v0, 7, 1
	v_mad_u32_u24 v26, v0, 7, 2
	;; [unrolled: 1-line block ×6, first 2 shown]
	s_mov_b64 s[8:9], 0
	s_and_b64 vcc, exec, s[4:5]
	v_cmp_gt_i64_e64 s[4:5], s[26:27], 0
	s_waitcnt lgkmcnt(0)
	s_barrier
	s_cbranch_vccz .LBB1437_31
; %bb.23:
	global_load_dwordx2 v[16:17], v[18:19], off offset:-8
	v_cndmask_b32_e64 v18, 0, 1, s[4:5]
	v_lshlrev_b32_e32 v33, 3, v0
	s_mov_b64 s[6:7], 0
	s_and_b64 vcc, exec, s[36:37]
	v_cmp_ne_u32_e64 s[4:5], 1, v18
	ds_write_b64 v33, v[14:15]
	s_cbranch_vccz .LBB1437_33
; %bb.24:
	v_mul_lo_u32 v20, v5, s26
	v_mul_lo_u32 v21, v4, s27
	v_mad_u64_u32 v[18:19], s[8:9], v4, s26, 0
	v_add3_u32 v19, v19, v21, v20
	s_and_b64 vcc, exec, s[4:5]
	v_lshl_add_u64 v[18:19], v[18:19], 1, s[28:29]
	s_cbranch_vccnz .LBB1437_36
; %bb.25:
	v_mul_lo_u32 v22, v15, s26
	v_mul_lo_u32 v23, v14, s27
	v_mad_u64_u32 v[20:21], s[6:7], v14, s26, 0
	v_add3_u32 v21, v21, v23, v22
	v_lshl_add_u64 v[20:21], v[20:21], 1, s[28:29]
	global_load_ushort v22, v[18:19], off
	global_load_ushort v23, v[20:21], off
	s_mov_b64 s[6:7], -1
	s_waitcnt vmcnt(0)
	v_cmp_eq_u16_e32 vcc, v22, v23
	s_and_saveexec_b64 s[8:9], vcc
	s_cbranch_execz .LBB1437_35
; %bb.26:
	s_add_u32 s6, s26, -1
	v_lshl_add_u64 v[20:21], v[20:21], 0, 2
	v_lshl_add_u64 v[22:23], v[18:19], 0, 2
	s_addc_u32 s7, s27, -1
	s_mov_b64 s[10:11], 0
	s_mov_b64 s[14:15], 0
                                        ; implicit-def: $sgpr12_sgpr13
	s_branch .LBB1437_29
.LBB1437_27:                            ;   in Loop: Header=BB1437_29 Depth=1
	global_load_ushort v24, v[22:23], off
	global_load_ushort v25, v[20:21], off
	s_add_u32 s14, s14, 1
	s_addc_u32 s15, s15, 0
	s_andn2_b64 s[12:13], s[12:13], exec
	v_lshl_add_u64 v[20:21], v[20:21], 0, 2
	v_lshl_add_u64 v[22:23], v[22:23], 0, 2
	s_waitcnt vmcnt(0)
	v_cmp_ne_u16_e32 vcc, v24, v25
	s_and_b64 s[38:39], vcc, exec
	s_or_b64 s[12:13], s[12:13], s[38:39]
.LBB1437_28:                            ;   in Loop: Header=BB1437_29 Depth=1
	s_and_b64 s[38:39], exec, s[12:13]
	s_or_b64 s[10:11], s[38:39], s[10:11]
	v_mov_b64_e32 v[24:25], s[14:15]
	s_andn2_b64 exec, exec, s[10:11]
	s_cbranch_execz .LBB1437_34
.LBB1437_29:                            ; =>This Inner Loop Header: Depth=1
	s_or_b64 s[12:13], s[12:13], exec
	s_cmp_eq_u64 s[6:7], s[14:15]
	s_cbranch_scc0 .LBB1437_27
; %bb.30:                               ;   in Loop: Header=BB1437_29 Depth=1
                                        ; implicit-def: $vgpr20_vgpr21
                                        ; implicit-def: $vgpr22_vgpr23
	s_mov_b64 s[14:15], s[26:27]
	s_branch .LBB1437_28
.LBB1437_31:
                                        ; implicit-def: $sgpr12_sgpr13
                                        ; implicit-def: $vgpr35
                                        ; implicit-def: $vgpr34
                                        ; implicit-def: $vgpr25
                                        ; implicit-def: $vgpr20
	s_branch .LBB1437_174
.LBB1437_32:
                                        ; implicit-def: $vgpr16_vgpr17
	s_branch .LBB1437_322
.LBB1437_33:
                                        ; implicit-def: $sgpr12_sgpr13
                                        ; implicit-def: $vgpr35
                                        ; implicit-def: $vgpr34
                                        ; implicit-def: $vgpr25
                                        ; implicit-def: $vgpr20
	s_cbranch_execnz .LBB1437_93
	s_branch .LBB1437_173
.LBB1437_34:
	s_or_b64 exec, exec, s[10:11]
	v_cmp_gt_i64_e32 vcc, s[26:27], v[24:25]
	s_orn2_b64 s[6:7], vcc, exec
.LBB1437_35:
	s_or_b64 exec, exec, s[8:9]
.LBB1437_36:
	v_mul_lo_u32 v22, v3, s26
	v_mul_lo_u32 v23, v2, s27
	v_mad_u64_u32 v[20:21], s[8:9], v2, s26, 0
	v_add3_u32 v21, v21, v23, v22
	s_mov_b64 s[8:9], 0
	s_and_b64 vcc, exec, s[4:5]
	v_lshl_add_u64 v[20:21], v[20:21], 1, s[28:29]
	s_mov_b64 s[10:11], 0
	s_cbranch_vccnz .LBB1437_45
; %bb.37:
	global_load_ushort v22, v[20:21], off
	global_load_ushort v23, v[18:19], off
	s_mov_b64 s[10:11], -1
	s_waitcnt vmcnt(0)
	v_cmp_eq_u16_e32 vcc, v22, v23
	s_and_saveexec_b64 s[12:13], vcc
	s_cbranch_execz .LBB1437_44
; %bb.38:
	s_add_u32 s10, s26, -1
	v_lshl_add_u64 v[18:19], v[18:19], 0, 2
	v_lshl_add_u64 v[22:23], v[20:21], 0, 2
	s_addc_u32 s11, s27, -1
	s_mov_b64 s[14:15], 0
	s_mov_b64 s[40:41], 0
                                        ; implicit-def: $sgpr38_sgpr39
	s_branch .LBB1437_41
.LBB1437_39:                            ;   in Loop: Header=BB1437_41 Depth=1
	global_load_ushort v24, v[22:23], off
	global_load_ushort v25, v[18:19], off
	s_add_u32 s40, s40, 1
	s_addc_u32 s41, s41, 0
	s_andn2_b64 s[38:39], s[38:39], exec
	v_lshl_add_u64 v[18:19], v[18:19], 0, 2
	v_lshl_add_u64 v[22:23], v[22:23], 0, 2
	s_waitcnt vmcnt(0)
	v_cmp_ne_u16_e32 vcc, v24, v25
	s_and_b64 s[42:43], vcc, exec
	s_or_b64 s[38:39], s[38:39], s[42:43]
.LBB1437_40:                            ;   in Loop: Header=BB1437_41 Depth=1
	s_and_b64 s[42:43], exec, s[38:39]
	s_or_b64 s[14:15], s[42:43], s[14:15]
	v_mov_b64_e32 v[24:25], s[40:41]
	s_andn2_b64 exec, exec, s[14:15]
	s_cbranch_execz .LBB1437_43
.LBB1437_41:                            ; =>This Inner Loop Header: Depth=1
	s_or_b64 s[38:39], s[38:39], exec
	s_cmp_eq_u64 s[10:11], s[40:41]
	s_cbranch_scc0 .LBB1437_39
; %bb.42:                               ;   in Loop: Header=BB1437_41 Depth=1
                                        ; implicit-def: $vgpr18_vgpr19
                                        ; implicit-def: $vgpr22_vgpr23
	s_mov_b64 s[40:41], s[26:27]
	s_branch .LBB1437_40
.LBB1437_43:
	s_or_b64 exec, exec, s[14:15]
	v_cmp_gt_i64_e32 vcc, s[26:27], v[24:25]
	s_orn2_b64 s[10:11], vcc, exec
.LBB1437_44:
	s_or_b64 exec, exec, s[12:13]
.LBB1437_45:
	v_mul_lo_u32 v22, v9, s26
	v_mul_lo_u32 v23, v8, s27
	v_mad_u64_u32 v[18:19], s[12:13], v8, s26, 0
	v_add3_u32 v19, v19, v23, v22
	s_and_b64 vcc, exec, s[4:5]
	v_lshl_add_u64 v[18:19], v[18:19], 1, s[28:29]
	s_cbranch_vccnz .LBB1437_54
; %bb.46:
	global_load_ushort v22, v[18:19], off
	global_load_ushort v23, v[20:21], off
	s_mov_b64 s[8:9], -1
	s_waitcnt vmcnt(0)
	v_cmp_eq_u16_e32 vcc, v22, v23
	s_and_saveexec_b64 s[12:13], vcc
	s_cbranch_execz .LBB1437_53
; %bb.47:
	s_add_u32 s8, s26, -1
	v_lshl_add_u64 v[20:21], v[20:21], 0, 2
	v_lshl_add_u64 v[22:23], v[18:19], 0, 2
	s_addc_u32 s9, s27, -1
	s_mov_b64 s[14:15], 0
	s_mov_b64 s[40:41], 0
                                        ; implicit-def: $sgpr38_sgpr39
	s_branch .LBB1437_50
.LBB1437_48:                            ;   in Loop: Header=BB1437_50 Depth=1
	global_load_ushort v24, v[22:23], off
	global_load_ushort v25, v[20:21], off
	s_add_u32 s40, s40, 1
	s_addc_u32 s41, s41, 0
	s_andn2_b64 s[38:39], s[38:39], exec
	v_lshl_add_u64 v[20:21], v[20:21], 0, 2
	v_lshl_add_u64 v[22:23], v[22:23], 0, 2
	s_waitcnt vmcnt(0)
	v_cmp_ne_u16_e32 vcc, v24, v25
	s_and_b64 s[42:43], vcc, exec
	s_or_b64 s[38:39], s[38:39], s[42:43]
.LBB1437_49:                            ;   in Loop: Header=BB1437_50 Depth=1
	s_and_b64 s[42:43], exec, s[38:39]
	s_or_b64 s[14:15], s[42:43], s[14:15]
	v_mov_b64_e32 v[24:25], s[40:41]
	s_andn2_b64 exec, exec, s[14:15]
	s_cbranch_execz .LBB1437_52
.LBB1437_50:                            ; =>This Inner Loop Header: Depth=1
	s_or_b64 s[38:39], s[38:39], exec
	s_cmp_eq_u64 s[8:9], s[40:41]
	s_cbranch_scc0 .LBB1437_48
; %bb.51:                               ;   in Loop: Header=BB1437_50 Depth=1
                                        ; implicit-def: $vgpr20_vgpr21
                                        ; implicit-def: $vgpr22_vgpr23
	s_mov_b64 s[40:41], s[26:27]
	s_branch .LBB1437_49
.LBB1437_52:
	s_or_b64 exec, exec, s[14:15]
	v_cmp_gt_i64_e32 vcc, s[26:27], v[24:25]
	s_orn2_b64 s[8:9], vcc, exec
.LBB1437_53:
	s_or_b64 exec, exec, s[12:13]
.LBB1437_54:
	v_mul_lo_u32 v22, v7, s26
	v_mul_lo_u32 v23, v6, s27
	v_mad_u64_u32 v[20:21], s[12:13], v6, s26, 0
	v_add3_u32 v21, v21, v23, v22
	s_mov_b64 s[12:13], 0
	s_and_b64 vcc, exec, s[4:5]
	v_lshl_add_u64 v[22:23], v[20:21], 1, s[28:29]
	s_mov_b64 s[14:15], 0
	s_cbranch_vccnz .LBB1437_63
; %bb.55:
	global_load_ushort v20, v[22:23], off
	global_load_ushort v21, v[18:19], off
	s_mov_b64 s[14:15], -1
	s_waitcnt vmcnt(0)
	v_cmp_eq_u16_e32 vcc, v20, v21
	s_and_saveexec_b64 s[38:39], vcc
	s_cbranch_execz .LBB1437_62
; %bb.56:
	s_add_u32 s14, s26, -1
	v_lshl_add_u64 v[18:19], v[18:19], 0, 2
	v_lshl_add_u64 v[20:21], v[22:23], 0, 2
	s_addc_u32 s15, s27, -1
	s_mov_b64 s[40:41], 0
	s_mov_b64 s[44:45], 0
                                        ; implicit-def: $sgpr42_sgpr43
	s_branch .LBB1437_59
.LBB1437_57:                            ;   in Loop: Header=BB1437_59 Depth=1
	global_load_ushort v24, v[20:21], off
	global_load_ushort v25, v[18:19], off
	s_add_u32 s44, s44, 1
	s_addc_u32 s45, s45, 0
	s_andn2_b64 s[42:43], s[42:43], exec
	v_lshl_add_u64 v[18:19], v[18:19], 0, 2
	v_lshl_add_u64 v[20:21], v[20:21], 0, 2
	s_waitcnt vmcnt(0)
	v_cmp_ne_u16_e32 vcc, v24, v25
	s_and_b64 s[46:47], vcc, exec
	s_or_b64 s[42:43], s[42:43], s[46:47]
.LBB1437_58:                            ;   in Loop: Header=BB1437_59 Depth=1
	s_and_b64 s[46:47], exec, s[42:43]
	s_or_b64 s[40:41], s[46:47], s[40:41]
	v_mov_b64_e32 v[24:25], s[44:45]
	s_andn2_b64 exec, exec, s[40:41]
	s_cbranch_execz .LBB1437_61
.LBB1437_59:                            ; =>This Inner Loop Header: Depth=1
	s_or_b64 s[42:43], s[42:43], exec
	s_cmp_eq_u64 s[14:15], s[44:45]
	s_cbranch_scc0 .LBB1437_57
; %bb.60:                               ;   in Loop: Header=BB1437_59 Depth=1
                                        ; implicit-def: $vgpr18_vgpr19
                                        ; implicit-def: $vgpr20_vgpr21
	s_mov_b64 s[44:45], s[26:27]
	s_branch .LBB1437_58
.LBB1437_61:
	s_or_b64 exec, exec, s[40:41]
	v_cmp_gt_i64_e32 vcc, s[26:27], v[24:25]
	s_orn2_b64 s[14:15], vcc, exec
.LBB1437_62:
	s_or_b64 exec, exec, s[38:39]
.LBB1437_63:
	v_mul_lo_u32 v20, v13, s26
	v_mul_lo_u32 v21, v12, s27
	v_mad_u64_u32 v[18:19], s[38:39], v12, s26, 0
	v_add3_u32 v19, v19, v21, v20
	s_and_b64 vcc, exec, s[4:5]
	v_lshl_add_u64 v[20:21], v[18:19], 1, s[28:29]
	s_cbranch_vccnz .LBB1437_72
; %bb.64:
	global_load_ushort v18, v[20:21], off
	global_load_ushort v19, v[22:23], off
	s_mov_b64 s[12:13], -1
	s_waitcnt vmcnt(0)
	v_cmp_eq_u16_e32 vcc, v18, v19
	s_and_saveexec_b64 s[38:39], vcc
	s_cbranch_execz .LBB1437_71
; %bb.65:
	s_add_u32 s12, s26, -1
	v_lshl_add_u64 v[18:19], v[22:23], 0, 2
	v_lshl_add_u64 v[22:23], v[20:21], 0, 2
	s_addc_u32 s13, s27, -1
	s_mov_b64 s[40:41], 0
	s_mov_b64 s[44:45], 0
                                        ; implicit-def: $sgpr42_sgpr43
	s_branch .LBB1437_68
.LBB1437_66:                            ;   in Loop: Header=BB1437_68 Depth=1
	global_load_ushort v24, v[22:23], off
	global_load_ushort v25, v[18:19], off
	s_add_u32 s44, s44, 1
	s_addc_u32 s45, s45, 0
	s_andn2_b64 s[42:43], s[42:43], exec
	v_lshl_add_u64 v[18:19], v[18:19], 0, 2
	v_lshl_add_u64 v[22:23], v[22:23], 0, 2
	s_waitcnt vmcnt(0)
	v_cmp_ne_u16_e32 vcc, v24, v25
	s_and_b64 s[46:47], vcc, exec
	s_or_b64 s[42:43], s[42:43], s[46:47]
.LBB1437_67:                            ;   in Loop: Header=BB1437_68 Depth=1
	s_and_b64 s[46:47], exec, s[42:43]
	s_or_b64 s[40:41], s[46:47], s[40:41]
	v_mov_b64_e32 v[24:25], s[44:45]
	s_andn2_b64 exec, exec, s[40:41]
	s_cbranch_execz .LBB1437_70
.LBB1437_68:                            ; =>This Inner Loop Header: Depth=1
	s_or_b64 s[42:43], s[42:43], exec
	s_cmp_eq_u64 s[12:13], s[44:45]
	s_cbranch_scc0 .LBB1437_66
; %bb.69:                               ;   in Loop: Header=BB1437_68 Depth=1
                                        ; implicit-def: $vgpr18_vgpr19
                                        ; implicit-def: $vgpr22_vgpr23
	s_mov_b64 s[44:45], s[26:27]
	s_branch .LBB1437_67
.LBB1437_70:
	s_or_b64 exec, exec, s[40:41]
	v_cmp_gt_i64_e32 vcc, s[26:27], v[24:25]
	s_orn2_b64 s[12:13], vcc, exec
.LBB1437_71:
	s_or_b64 exec, exec, s[38:39]
.LBB1437_72:
	v_mul_lo_u32 v22, v11, s26
	v_mul_lo_u32 v23, v10, s27
	v_mad_u64_u32 v[18:19], s[38:39], v10, s26, 0
	v_add3_u32 v19, v19, v23, v22
	s_mov_b64 s[40:41], 0
	s_and_b64 vcc, exec, s[4:5]
	v_lshl_add_u64 v[18:19], v[18:19], 1, s[28:29]
	s_cbranch_vccnz .LBB1437_81
; %bb.73:
	global_load_ushort v22, v[18:19], off
	global_load_ushort v23, v[20:21], off
	s_mov_b64 s[40:41], -1
	s_waitcnt vmcnt(0)
	v_cmp_eq_u16_e32 vcc, v22, v23
	s_and_saveexec_b64 s[38:39], vcc
	s_cbranch_execz .LBB1437_80
; %bb.74:
	s_add_u32 s40, s26, -1
	v_lshl_add_u64 v[20:21], v[20:21], 0, 2
	v_lshl_add_u64 v[22:23], v[18:19], 0, 2
	s_addc_u32 s41, s27, -1
	s_mov_b64 s[42:43], 0
	s_mov_b64 s[46:47], 0
                                        ; implicit-def: $sgpr44_sgpr45
	s_branch .LBB1437_77
.LBB1437_75:                            ;   in Loop: Header=BB1437_77 Depth=1
	global_load_ushort v24, v[22:23], off
	global_load_ushort v25, v[20:21], off
	s_add_u32 s46, s46, 1
	s_addc_u32 s47, s47, 0
	s_andn2_b64 s[44:45], s[44:45], exec
	v_lshl_add_u64 v[20:21], v[20:21], 0, 2
	v_lshl_add_u64 v[22:23], v[22:23], 0, 2
	s_waitcnt vmcnt(0)
	v_cmp_ne_u16_e32 vcc, v24, v25
	s_and_b64 s[48:49], vcc, exec
	s_or_b64 s[44:45], s[44:45], s[48:49]
.LBB1437_76:                            ;   in Loop: Header=BB1437_77 Depth=1
	s_and_b64 s[48:49], exec, s[44:45]
	s_or_b64 s[42:43], s[48:49], s[42:43]
	v_mov_b64_e32 v[24:25], s[46:47]
	s_andn2_b64 exec, exec, s[42:43]
	s_cbranch_execz .LBB1437_79
.LBB1437_77:                            ; =>This Inner Loop Header: Depth=1
	s_or_b64 s[44:45], s[44:45], exec
	s_cmp_eq_u64 s[40:41], s[46:47]
	s_cbranch_scc0 .LBB1437_75
; %bb.78:                               ;   in Loop: Header=BB1437_77 Depth=1
                                        ; implicit-def: $vgpr20_vgpr21
                                        ; implicit-def: $vgpr22_vgpr23
	s_mov_b64 s[46:47], s[26:27]
	s_branch .LBB1437_76
.LBB1437_79:
	s_or_b64 exec, exec, s[42:43]
	v_cmp_gt_i64_e32 vcc, s[26:27], v[24:25]
	s_orn2_b64 s[40:41], vcc, exec
.LBB1437_80:
	s_or_b64 exec, exec, s[38:39]
.LBB1437_81:
	s_waitcnt vmcnt(0)
	v_mov_b64_e32 v[20:21], v[16:17]
	s_waitcnt lgkmcnt(0)
	s_barrier
	s_and_saveexec_b64 s[38:39], s[2:3]
	s_cbranch_execz .LBB1437_83
; %bb.82:
	v_add_u32_e32 v20, -8, v33
	ds_read_b64 v[20:21], v20
.LBB1437_83:
	s_or_b64 exec, exec, s[38:39]
	v_cndmask_b32_e64 v23, 0, 1, s[14:15]
	v_cndmask_b32_e64 v22, 0, 1, s[12:13]
	;; [unrolled: 1-line block ×3, first 2 shown]
	v_lshlrev_b16_e32 v23, 8, v23
	v_lshlrev_b16_e32 v24, 8, v24
	v_or_b32_sdwa v36, v22, v23 dst_sel:WORD_1 dst_unused:UNUSED_PAD src0_sel:DWORD src1_sel:DWORD
	s_mov_b64 s[14:15], 0
	s_and_b64 vcc, exec, s[4:5]
	s_mov_b64 s[12:13], 0
	s_cbranch_vccnz .LBB1437_92
; %bb.84:
	s_waitcnt lgkmcnt(0)
	v_mul_lo_u32 v22, v21, s26
	v_mul_lo_u32 v23, v20, s27
	v_mad_u64_u32 v[20:21], s[12:13], v20, s26, 0
	v_add3_u32 v21, v21, v23, v22
	v_lshl_add_u64 v[20:21], v[20:21], 1, s[28:29]
	global_load_ushort v22, v[20:21], off
	global_load_ushort v23, v[18:19], off
	s_mov_b64 s[12:13], -1
	s_waitcnt vmcnt(0)
	v_cmp_eq_u16_e32 vcc, v22, v23
	s_and_saveexec_b64 s[38:39], vcc
	s_cbranch_execz .LBB1437_91
; %bb.85:
	s_add_u32 s12, s26, -1
	v_lshl_add_u64 v[18:19], v[18:19], 0, 2
	v_lshl_add_u64 v[20:21], v[20:21], 0, 2
	s_addc_u32 s13, s27, -1
	s_mov_b64 s[40:41], 0
	s_mov_b64 s[44:45], 0
                                        ; implicit-def: $sgpr42_sgpr43
	s_branch .LBB1437_88
.LBB1437_86:                            ;   in Loop: Header=BB1437_88 Depth=1
	global_load_ushort v22, v[20:21], off
	global_load_ushort v23, v[18:19], off
	s_add_u32 s44, s44, 1
	s_addc_u32 s45, s45, 0
	s_andn2_b64 s[42:43], s[42:43], exec
	v_lshl_add_u64 v[18:19], v[18:19], 0, 2
	v_lshl_add_u64 v[20:21], v[20:21], 0, 2
	s_waitcnt vmcnt(0)
	v_cmp_ne_u16_e32 vcc, v22, v23
	s_and_b64 s[46:47], vcc, exec
	s_or_b64 s[42:43], s[42:43], s[46:47]
.LBB1437_87:                            ;   in Loop: Header=BB1437_88 Depth=1
	s_and_b64 s[46:47], exec, s[42:43]
	s_or_b64 s[40:41], s[46:47], s[40:41]
	v_mov_b64_e32 v[22:23], s[44:45]
	s_andn2_b64 exec, exec, s[40:41]
	s_cbranch_execz .LBB1437_90
.LBB1437_88:                            ; =>This Inner Loop Header: Depth=1
	s_or_b64 s[42:43], s[42:43], exec
	s_cmp_eq_u64 s[12:13], s[44:45]
	s_cbranch_scc0 .LBB1437_86
; %bb.89:                               ;   in Loop: Header=BB1437_88 Depth=1
                                        ; implicit-def: $vgpr18_vgpr19
                                        ; implicit-def: $vgpr20_vgpr21
	s_mov_b64 s[44:45], s[26:27]
	s_branch .LBB1437_87
.LBB1437_90:
	s_or_b64 exec, exec, s[40:41]
	v_cmp_gt_i64_e32 vcc, s[26:27], v[22:23]
	s_orn2_b64 s[12:13], vcc, exec
.LBB1437_91:
	s_or_b64 exec, exec, s[38:39]
.LBB1437_92:
	v_cndmask_b32_e64 v25, 0, 1, s[8:9]
	v_cndmask_b32_e64 v34, 0, 1, s[10:11]
	;; [unrolled: 1-line block ×3, first 2 shown]
	s_waitcnt lgkmcnt(0)
	v_or_b32_e32 v20, v24, v36
	s_and_b64 vcc, exec, s[14:15]
	s_cbranch_vccz .LBB1437_173
.LBB1437_93:
	v_cmp_gt_u32_e32 vcc, s52, v29
	s_mov_b64 s[8:9], 0
	s_mov_b64 s[6:7], 0
	s_and_saveexec_b64 s[10:11], vcc
	s_cbranch_execz .LBB1437_104
; %bb.94:
	s_and_b64 vcc, exec, s[4:5]
	s_mov_b64 s[12:13], 0
	s_cbranch_vccnz .LBB1437_103
; %bb.95:
	v_mul_lo_u32 v20, v5, s26
	v_mul_lo_u32 v21, v4, s27
	v_mad_u64_u32 v[18:19], s[6:7], v4, s26, 0
	v_add3_u32 v19, v19, v21, v20
	v_mul_lo_u32 v20, v15, s26
	v_mul_lo_u32 v21, v14, s27
	v_mad_u64_u32 v[22:23], s[6:7], v14, s26, 0
	v_add3_u32 v23, v23, v21, v20
	v_lshl_add_u64 v[20:21], v[18:19], 1, s[28:29]
	v_lshl_add_u64 v[18:19], v[22:23], 1, s[28:29]
	global_load_ushort v22, v[20:21], off
	global_load_ushort v23, v[18:19], off
	s_mov_b64 s[12:13], -1
	s_waitcnt vmcnt(0)
	v_cmp_eq_u16_e32 vcc, v22, v23
	s_and_saveexec_b64 s[6:7], vcc
	s_cbranch_execz .LBB1437_102
; %bb.96:
	s_add_u32 s12, s26, -1
	v_lshl_add_u64 v[18:19], v[18:19], 0, 2
	v_lshl_add_u64 v[20:21], v[20:21], 0, 2
	s_addc_u32 s13, s27, -1
	s_mov_b64 s[14:15], 0
	s_mov_b64 s[40:41], 0
                                        ; implicit-def: $sgpr38_sgpr39
	s_branch .LBB1437_99
.LBB1437_97:                            ;   in Loop: Header=BB1437_99 Depth=1
	global_load_ushort v22, v[20:21], off
	global_load_ushort v23, v[18:19], off
	s_add_u32 s40, s40, 1
	s_addc_u32 s41, s41, 0
	s_andn2_b64 s[38:39], s[38:39], exec
	v_lshl_add_u64 v[18:19], v[18:19], 0, 2
	v_lshl_add_u64 v[20:21], v[20:21], 0, 2
	s_waitcnt vmcnt(0)
	v_cmp_ne_u16_e32 vcc, v22, v23
	s_and_b64 s[42:43], vcc, exec
	s_or_b64 s[38:39], s[38:39], s[42:43]
.LBB1437_98:                            ;   in Loop: Header=BB1437_99 Depth=1
	s_and_b64 s[42:43], exec, s[38:39]
	s_or_b64 s[14:15], s[42:43], s[14:15]
	v_mov_b64_e32 v[22:23], s[40:41]
	s_andn2_b64 exec, exec, s[14:15]
	s_cbranch_execz .LBB1437_101
.LBB1437_99:                            ; =>This Inner Loop Header: Depth=1
	s_or_b64 s[38:39], s[38:39], exec
	s_cmp_eq_u64 s[12:13], s[40:41]
	s_cbranch_scc0 .LBB1437_97
; %bb.100:                              ;   in Loop: Header=BB1437_99 Depth=1
                                        ; implicit-def: $vgpr18_vgpr19
                                        ; implicit-def: $vgpr20_vgpr21
	s_mov_b64 s[40:41], s[26:27]
	s_branch .LBB1437_98
.LBB1437_101:
	s_or_b64 exec, exec, s[14:15]
	v_cmp_gt_i64_e32 vcc, s[26:27], v[22:23]
	s_orn2_b64 s[12:13], vcc, exec
.LBB1437_102:
	s_or_b64 exec, exec, s[6:7]
.LBB1437_103:
	s_and_b64 s[6:7], s[12:13], exec
.LBB1437_104:
	s_or_b64 exec, exec, s[10:11]
	v_cmp_gt_u32_e32 vcc, s52, v31
	s_and_saveexec_b64 s[10:11], vcc
	s_cbranch_execz .LBB1437_115
; %bb.105:
	s_and_b64 vcc, exec, s[4:5]
	s_mov_b64 s[12:13], 0
	s_cbranch_vccnz .LBB1437_114
; %bb.106:
	v_mul_lo_u32 v20, v3, s26
	v_mul_lo_u32 v21, v2, s27
	v_mad_u64_u32 v[18:19], s[8:9], v2, s26, 0
	v_add3_u32 v19, v19, v21, v20
	v_mul_lo_u32 v20, v5, s26
	v_mul_lo_u32 v21, v4, s27
	v_mad_u64_u32 v[22:23], s[8:9], v4, s26, 0
	v_add3_u32 v23, v23, v21, v20
	v_lshl_add_u64 v[20:21], v[18:19], 1, s[28:29]
	v_lshl_add_u64 v[18:19], v[22:23], 1, s[28:29]
	global_load_ushort v22, v[20:21], off
	global_load_ushort v23, v[18:19], off
	s_mov_b64 s[12:13], -1
	s_waitcnt vmcnt(0)
	v_cmp_eq_u16_e32 vcc, v22, v23
	s_and_saveexec_b64 s[8:9], vcc
	s_cbranch_execz .LBB1437_113
; %bb.107:
	s_add_u32 s12, s26, -1
	v_lshl_add_u64 v[18:19], v[18:19], 0, 2
	v_lshl_add_u64 v[20:21], v[20:21], 0, 2
	s_addc_u32 s13, s27, -1
	s_mov_b64 s[14:15], 0
	s_mov_b64 s[40:41], 0
                                        ; implicit-def: $sgpr38_sgpr39
	s_branch .LBB1437_110
.LBB1437_108:                           ;   in Loop: Header=BB1437_110 Depth=1
	global_load_ushort v22, v[20:21], off
	global_load_ushort v23, v[18:19], off
	s_add_u32 s40, s40, 1
	s_addc_u32 s41, s41, 0
	s_andn2_b64 s[38:39], s[38:39], exec
	v_lshl_add_u64 v[18:19], v[18:19], 0, 2
	v_lshl_add_u64 v[20:21], v[20:21], 0, 2
	s_waitcnt vmcnt(0)
	v_cmp_ne_u16_e32 vcc, v22, v23
	s_and_b64 s[42:43], vcc, exec
	s_or_b64 s[38:39], s[38:39], s[42:43]
.LBB1437_109:                           ;   in Loop: Header=BB1437_110 Depth=1
	s_and_b64 s[42:43], exec, s[38:39]
	s_or_b64 s[14:15], s[42:43], s[14:15]
	v_mov_b64_e32 v[22:23], s[40:41]
	s_andn2_b64 exec, exec, s[14:15]
	s_cbranch_execz .LBB1437_112
.LBB1437_110:                           ; =>This Inner Loop Header: Depth=1
	s_or_b64 s[38:39], s[38:39], exec
	s_cmp_eq_u64 s[12:13], s[40:41]
	s_cbranch_scc0 .LBB1437_108
; %bb.111:                              ;   in Loop: Header=BB1437_110 Depth=1
                                        ; implicit-def: $vgpr18_vgpr19
                                        ; implicit-def: $vgpr20_vgpr21
	s_mov_b64 s[40:41], s[26:27]
	s_branch .LBB1437_109
.LBB1437_112:
	s_or_b64 exec, exec, s[14:15]
	v_cmp_gt_i64_e32 vcc, s[26:27], v[22:23]
	s_orn2_b64 s[12:13], vcc, exec
.LBB1437_113:
	s_or_b64 exec, exec, s[8:9]
.LBB1437_114:
	s_and_b64 s[8:9], s[12:13], exec
.LBB1437_115:
	s_or_b64 exec, exec, s[10:11]
	v_cmp_gt_u32_e32 vcc, s52, v28
	s_mov_b64 s[12:13], 0
	s_mov_b64 s[10:11], 0
	s_and_saveexec_b64 s[14:15], vcc
	s_cbranch_execz .LBB1437_126
; %bb.116:
	s_and_b64 vcc, exec, s[4:5]
	s_mov_b64 s[38:39], 0
	s_cbranch_vccnz .LBB1437_125
; %bb.117:
	v_mul_lo_u32 v20, v9, s26
	v_mul_lo_u32 v21, v8, s27
	v_mad_u64_u32 v[18:19], s[10:11], v8, s26, 0
	v_add3_u32 v19, v19, v21, v20
	v_mul_lo_u32 v20, v3, s26
	v_mul_lo_u32 v21, v2, s27
	v_mad_u64_u32 v[22:23], s[10:11], v2, s26, 0
	v_add3_u32 v23, v23, v21, v20
	v_lshl_add_u64 v[20:21], v[18:19], 1, s[28:29]
	v_lshl_add_u64 v[18:19], v[22:23], 1, s[28:29]
	global_load_ushort v22, v[20:21], off
	global_load_ushort v23, v[18:19], off
	s_mov_b64 s[38:39], -1
	s_waitcnt vmcnt(0)
	v_cmp_eq_u16_e32 vcc, v22, v23
	s_and_saveexec_b64 s[10:11], vcc
	s_cbranch_execz .LBB1437_124
; %bb.118:
	s_add_u32 s38, s26, -1
	v_lshl_add_u64 v[18:19], v[18:19], 0, 2
	v_lshl_add_u64 v[20:21], v[20:21], 0, 2
	s_addc_u32 s39, s27, -1
	s_mov_b64 s[40:41], 0
	s_mov_b64 s[44:45], 0
                                        ; implicit-def: $sgpr42_sgpr43
	s_branch .LBB1437_121
.LBB1437_119:                           ;   in Loop: Header=BB1437_121 Depth=1
	global_load_ushort v22, v[20:21], off
	global_load_ushort v23, v[18:19], off
	s_add_u32 s44, s44, 1
	s_addc_u32 s45, s45, 0
	s_andn2_b64 s[42:43], s[42:43], exec
	v_lshl_add_u64 v[18:19], v[18:19], 0, 2
	v_lshl_add_u64 v[20:21], v[20:21], 0, 2
	s_waitcnt vmcnt(0)
	v_cmp_ne_u16_e32 vcc, v22, v23
	s_and_b64 s[46:47], vcc, exec
	s_or_b64 s[42:43], s[42:43], s[46:47]
.LBB1437_120:                           ;   in Loop: Header=BB1437_121 Depth=1
	s_and_b64 s[46:47], exec, s[42:43]
	s_or_b64 s[40:41], s[46:47], s[40:41]
	v_mov_b64_e32 v[22:23], s[44:45]
	s_andn2_b64 exec, exec, s[40:41]
	s_cbranch_execz .LBB1437_123
.LBB1437_121:                           ; =>This Inner Loop Header: Depth=1
	s_or_b64 s[42:43], s[42:43], exec
	s_cmp_eq_u64 s[38:39], s[44:45]
	s_cbranch_scc0 .LBB1437_119
; %bb.122:                              ;   in Loop: Header=BB1437_121 Depth=1
                                        ; implicit-def: $vgpr18_vgpr19
                                        ; implicit-def: $vgpr20_vgpr21
	s_mov_b64 s[44:45], s[26:27]
	s_branch .LBB1437_120
.LBB1437_123:
	s_or_b64 exec, exec, s[40:41]
	v_cmp_gt_i64_e32 vcc, s[26:27], v[22:23]
	s_orn2_b64 s[38:39], vcc, exec
.LBB1437_124:
	s_or_b64 exec, exec, s[10:11]
.LBB1437_125:
	s_and_b64 s[10:11], s[38:39], exec
.LBB1437_126:
	s_or_b64 exec, exec, s[14:15]
	v_cmp_gt_u32_e32 vcc, s52, v30
	s_and_saveexec_b64 s[14:15], vcc
	s_cbranch_execz .LBB1437_137
; %bb.127:
	s_and_b64 vcc, exec, s[4:5]
	s_mov_b64 s[38:39], 0
	s_cbranch_vccnz .LBB1437_136
; %bb.128:
	v_mul_lo_u32 v20, v7, s26
	v_mul_lo_u32 v21, v6, s27
	v_mad_u64_u32 v[18:19], s[12:13], v6, s26, 0
	v_add3_u32 v19, v19, v21, v20
	v_mul_lo_u32 v20, v9, s26
	v_mul_lo_u32 v21, v8, s27
	v_mad_u64_u32 v[22:23], s[12:13], v8, s26, 0
	v_add3_u32 v23, v23, v21, v20
	v_lshl_add_u64 v[20:21], v[18:19], 1, s[28:29]
	v_lshl_add_u64 v[18:19], v[22:23], 1, s[28:29]
	global_load_ushort v22, v[20:21], off
	global_load_ushort v23, v[18:19], off
	s_mov_b64 s[38:39], -1
	s_waitcnt vmcnt(0)
	v_cmp_eq_u16_e32 vcc, v22, v23
	s_and_saveexec_b64 s[12:13], vcc
	s_cbranch_execz .LBB1437_135
; %bb.129:
	s_add_u32 s38, s26, -1
	v_lshl_add_u64 v[18:19], v[18:19], 0, 2
	v_lshl_add_u64 v[20:21], v[20:21], 0, 2
	s_addc_u32 s39, s27, -1
	s_mov_b64 s[40:41], 0
	s_mov_b64 s[44:45], 0
                                        ; implicit-def: $sgpr42_sgpr43
	s_branch .LBB1437_132
.LBB1437_130:                           ;   in Loop: Header=BB1437_132 Depth=1
	global_load_ushort v22, v[20:21], off
	global_load_ushort v23, v[18:19], off
	s_add_u32 s44, s44, 1
	s_addc_u32 s45, s45, 0
	s_andn2_b64 s[42:43], s[42:43], exec
	v_lshl_add_u64 v[18:19], v[18:19], 0, 2
	v_lshl_add_u64 v[20:21], v[20:21], 0, 2
	s_waitcnt vmcnt(0)
	v_cmp_ne_u16_e32 vcc, v22, v23
	s_and_b64 s[46:47], vcc, exec
	s_or_b64 s[42:43], s[42:43], s[46:47]
.LBB1437_131:                           ;   in Loop: Header=BB1437_132 Depth=1
	s_and_b64 s[46:47], exec, s[42:43]
	s_or_b64 s[40:41], s[46:47], s[40:41]
	v_mov_b64_e32 v[22:23], s[44:45]
	s_andn2_b64 exec, exec, s[40:41]
	s_cbranch_execz .LBB1437_134
.LBB1437_132:                           ; =>This Inner Loop Header: Depth=1
	s_or_b64 s[42:43], s[42:43], exec
	s_cmp_eq_u64 s[38:39], s[44:45]
	s_cbranch_scc0 .LBB1437_130
; %bb.133:                              ;   in Loop: Header=BB1437_132 Depth=1
                                        ; implicit-def: $vgpr18_vgpr19
                                        ; implicit-def: $vgpr20_vgpr21
	s_mov_b64 s[44:45], s[26:27]
	s_branch .LBB1437_131
.LBB1437_134:
	s_or_b64 exec, exec, s[40:41]
	v_cmp_gt_i64_e32 vcc, s[26:27], v[22:23]
	s_orn2_b64 s[38:39], vcc, exec
.LBB1437_135:
	s_or_b64 exec, exec, s[12:13]
.LBB1437_136:
	s_and_b64 s[12:13], s[38:39], exec
.LBB1437_137:
	s_or_b64 exec, exec, s[14:15]
	v_cmp_gt_u32_e32 vcc, s52, v26
	s_mov_b64 s[14:15], 0
	s_mov_b64 s[38:39], 0
	s_and_saveexec_b64 s[40:41], vcc
	s_cbranch_execz .LBB1437_148
; %bb.138:
	s_and_b64 vcc, exec, s[4:5]
	s_mov_b64 s[42:43], 0
	s_cbranch_vccnz .LBB1437_147
; %bb.139:
	v_mul_lo_u32 v20, v13, s26
	v_mul_lo_u32 v21, v12, s27
	v_mad_u64_u32 v[18:19], s[38:39], v12, s26, 0
	v_add3_u32 v19, v19, v21, v20
	v_mul_lo_u32 v20, v7, s26
	v_mul_lo_u32 v21, v6, s27
	v_mad_u64_u32 v[22:23], s[38:39], v6, s26, 0
	v_add3_u32 v23, v23, v21, v20
	v_lshl_add_u64 v[20:21], v[18:19], 1, s[28:29]
	v_lshl_add_u64 v[18:19], v[22:23], 1, s[28:29]
	global_load_ushort v22, v[20:21], off
	global_load_ushort v23, v[18:19], off
	s_mov_b64 s[42:43], -1
	s_waitcnt vmcnt(0)
	v_cmp_eq_u16_e32 vcc, v22, v23
	s_and_saveexec_b64 s[38:39], vcc
	s_cbranch_execz .LBB1437_146
; %bb.140:
	s_add_u32 s42, s26, -1
	v_lshl_add_u64 v[18:19], v[18:19], 0, 2
	v_lshl_add_u64 v[20:21], v[20:21], 0, 2
	s_addc_u32 s43, s27, -1
	s_mov_b64 s[44:45], 0
	s_mov_b64 s[48:49], 0
                                        ; implicit-def: $sgpr46_sgpr47
	s_branch .LBB1437_143
.LBB1437_141:                           ;   in Loop: Header=BB1437_143 Depth=1
	global_load_ushort v22, v[20:21], off
	global_load_ushort v23, v[18:19], off
	s_add_u32 s48, s48, 1
	s_addc_u32 s49, s49, 0
	s_andn2_b64 s[46:47], s[46:47], exec
	v_lshl_add_u64 v[18:19], v[18:19], 0, 2
	v_lshl_add_u64 v[20:21], v[20:21], 0, 2
	s_waitcnt vmcnt(0)
	v_cmp_ne_u16_e32 vcc, v22, v23
	s_and_b64 s[50:51], vcc, exec
	s_or_b64 s[46:47], s[46:47], s[50:51]
.LBB1437_142:                           ;   in Loop: Header=BB1437_143 Depth=1
	s_and_b64 s[50:51], exec, s[46:47]
	s_or_b64 s[44:45], s[50:51], s[44:45]
	v_mov_b64_e32 v[22:23], s[48:49]
	s_andn2_b64 exec, exec, s[44:45]
	s_cbranch_execz .LBB1437_145
.LBB1437_143:                           ; =>This Inner Loop Header: Depth=1
	s_or_b64 s[46:47], s[46:47], exec
	s_cmp_eq_u64 s[42:43], s[48:49]
	s_cbranch_scc0 .LBB1437_141
; %bb.144:                              ;   in Loop: Header=BB1437_143 Depth=1
                                        ; implicit-def: $vgpr18_vgpr19
                                        ; implicit-def: $vgpr20_vgpr21
	s_mov_b64 s[48:49], s[26:27]
	s_branch .LBB1437_142
.LBB1437_145:
	s_or_b64 exec, exec, s[44:45]
	v_cmp_gt_i64_e32 vcc, s[26:27], v[22:23]
	s_orn2_b64 s[42:43], vcc, exec
.LBB1437_146:
	s_or_b64 exec, exec, s[38:39]
.LBB1437_147:
	s_and_b64 s[38:39], s[42:43], exec
.LBB1437_148:
	s_or_b64 exec, exec, s[40:41]
	v_cmp_gt_u32_e32 vcc, s52, v27
	s_and_saveexec_b64 s[40:41], vcc
	s_cbranch_execz .LBB1437_159
; %bb.149:
	s_and_b64 vcc, exec, s[4:5]
	s_mov_b64 s[42:43], 0
	s_cbranch_vccnz .LBB1437_158
; %bb.150:
	v_mul_lo_u32 v20, v11, s26
	v_mul_lo_u32 v21, v10, s27
	v_mad_u64_u32 v[18:19], s[14:15], v10, s26, 0
	v_add3_u32 v19, v19, v21, v20
	v_mul_lo_u32 v20, v13, s26
	v_mul_lo_u32 v21, v12, s27
	v_mad_u64_u32 v[22:23], s[14:15], v12, s26, 0
	v_add3_u32 v23, v23, v21, v20
	v_lshl_add_u64 v[20:21], v[18:19], 1, s[28:29]
	v_lshl_add_u64 v[18:19], v[22:23], 1, s[28:29]
	global_load_ushort v22, v[20:21], off
	global_load_ushort v23, v[18:19], off
	s_mov_b64 s[42:43], -1
	s_waitcnt vmcnt(0)
	v_cmp_eq_u16_e32 vcc, v22, v23
	s_and_saveexec_b64 s[14:15], vcc
	s_cbranch_execz .LBB1437_157
; %bb.151:
	s_add_u32 s42, s26, -1
	v_lshl_add_u64 v[18:19], v[18:19], 0, 2
	v_lshl_add_u64 v[20:21], v[20:21], 0, 2
	s_addc_u32 s43, s27, -1
	s_mov_b64 s[44:45], 0
	s_mov_b64 s[48:49], 0
                                        ; implicit-def: $sgpr46_sgpr47
	s_branch .LBB1437_154
.LBB1437_152:                           ;   in Loop: Header=BB1437_154 Depth=1
	global_load_ushort v22, v[20:21], off
	global_load_ushort v23, v[18:19], off
	s_add_u32 s48, s48, 1
	s_addc_u32 s49, s49, 0
	s_andn2_b64 s[46:47], s[46:47], exec
	v_lshl_add_u64 v[18:19], v[18:19], 0, 2
	v_lshl_add_u64 v[20:21], v[20:21], 0, 2
	s_waitcnt vmcnt(0)
	v_cmp_ne_u16_e32 vcc, v22, v23
	s_and_b64 s[50:51], vcc, exec
	s_or_b64 s[46:47], s[46:47], s[50:51]
.LBB1437_153:                           ;   in Loop: Header=BB1437_154 Depth=1
	s_and_b64 s[50:51], exec, s[46:47]
	s_or_b64 s[44:45], s[50:51], s[44:45]
	v_mov_b64_e32 v[22:23], s[48:49]
	s_andn2_b64 exec, exec, s[44:45]
	s_cbranch_execz .LBB1437_156
.LBB1437_154:                           ; =>This Inner Loop Header: Depth=1
	s_or_b64 s[46:47], s[46:47], exec
	s_cmp_eq_u64 s[42:43], s[48:49]
	s_cbranch_scc0 .LBB1437_152
; %bb.155:                              ;   in Loop: Header=BB1437_154 Depth=1
                                        ; implicit-def: $vgpr18_vgpr19
                                        ; implicit-def: $vgpr20_vgpr21
	s_mov_b64 s[48:49], s[26:27]
	s_branch .LBB1437_153
.LBB1437_156:
	s_or_b64 exec, exec, s[44:45]
	v_cmp_gt_i64_e32 vcc, s[26:27], v[22:23]
	s_orn2_b64 s[42:43], vcc, exec
.LBB1437_157:
	s_or_b64 exec, exec, s[14:15]
.LBB1437_158:
	s_and_b64 s[14:15], s[42:43], exec
.LBB1437_159:
	s_or_b64 exec, exec, s[40:41]
	s_waitcnt lgkmcnt(0)
	s_barrier
	s_and_saveexec_b64 s[40:41], s[2:3]
	s_cbranch_execz .LBB1437_161
; %bb.160:
	s_waitcnt vmcnt(0)
	v_add_u32_e32 v16, -8, v33
	ds_read_b64 v[16:17], v16
.LBB1437_161:
	s_or_b64 exec, exec, s[40:41]
	v_cndmask_b32_e64 v19, 0, 1, s[12:13]
	v_cndmask_b32_e64 v18, 0, 1, s[38:39]
	;; [unrolled: 1-line block ×3, first 2 shown]
	v_lshlrev_b16_e32 v19, 8, v19
	v_cmp_gt_u32_e32 vcc, s52, v1
	v_lshlrev_b16_e32 v22, 8, v20
	v_or_b32_sdwa v23, v18, v19 dst_sel:WORD_1 dst_unused:UNUSED_PAD src0_sel:DWORD src1_sel:DWORD
	s_mov_b64 s[12:13], 0
	s_and_saveexec_b64 s[14:15], vcc
	s_cbranch_execz .LBB1437_172
; %bb.162:
	s_and_b64 vcc, exec, s[4:5]
	s_cbranch_vccnz .LBB1437_171
; %bb.163:
	s_waitcnt vmcnt(0) lgkmcnt(0)
	v_mul_lo_u32 v18, v17, s26
	v_mul_lo_u32 v19, v16, s27
	v_mad_u64_u32 v[16:17], s[4:5], v16, s26, 0
	v_add3_u32 v17, v17, v19, v18
	v_mul_lo_u32 v18, v11, s26
	v_mul_lo_u32 v19, v10, s27
	v_mad_u64_u32 v[20:21], s[4:5], v10, s26, 0
	v_add3_u32 v21, v21, v19, v18
	v_lshl_add_u64 v[18:19], v[16:17], 1, s[28:29]
	v_lshl_add_u64 v[16:17], v[20:21], 1, s[28:29]
	global_load_ushort v20, v[18:19], off
	global_load_ushort v21, v[16:17], off
	s_mov_b64 s[12:13], -1
	s_waitcnt vmcnt(0)
	v_cmp_eq_u16_e32 vcc, v20, v21
	s_and_saveexec_b64 s[4:5], vcc
	s_cbranch_execz .LBB1437_170
; %bb.164:
	s_add_u32 s12, s26, -1
	v_lshl_add_u64 v[16:17], v[16:17], 0, 2
	v_lshl_add_u64 v[18:19], v[18:19], 0, 2
	s_addc_u32 s13, s27, -1
	s_mov_b64 s[38:39], 0
	s_mov_b64 s[42:43], 0
                                        ; implicit-def: $sgpr40_sgpr41
	s_branch .LBB1437_167
.LBB1437_165:                           ;   in Loop: Header=BB1437_167 Depth=1
	global_load_ushort v20, v[18:19], off
	global_load_ushort v21, v[16:17], off
	s_add_u32 s42, s42, 1
	s_addc_u32 s43, s43, 0
	s_andn2_b64 s[40:41], s[40:41], exec
	v_lshl_add_u64 v[16:17], v[16:17], 0, 2
	v_lshl_add_u64 v[18:19], v[18:19], 0, 2
	s_waitcnt vmcnt(0)
	v_cmp_ne_u16_e32 vcc, v20, v21
	s_and_b64 s[44:45], vcc, exec
	s_or_b64 s[40:41], s[40:41], s[44:45]
.LBB1437_166:                           ;   in Loop: Header=BB1437_167 Depth=1
	s_and_b64 s[44:45], exec, s[40:41]
	s_or_b64 s[38:39], s[44:45], s[38:39]
	v_mov_b64_e32 v[20:21], s[42:43]
	s_andn2_b64 exec, exec, s[38:39]
	s_cbranch_execz .LBB1437_169
.LBB1437_167:                           ; =>This Inner Loop Header: Depth=1
	s_or_b64 s[40:41], s[40:41], exec
	s_cmp_eq_u64 s[12:13], s[42:43]
	s_cbranch_scc0 .LBB1437_165
; %bb.168:                              ;   in Loop: Header=BB1437_167 Depth=1
                                        ; implicit-def: $vgpr16_vgpr17
                                        ; implicit-def: $vgpr18_vgpr19
	s_mov_b64 s[42:43], s[26:27]
	s_branch .LBB1437_166
.LBB1437_169:
	s_or_b64 exec, exec, s[38:39]
	v_cmp_gt_i64_e32 vcc, s[26:27], v[20:21]
	s_orn2_b64 s[12:13], vcc, exec
.LBB1437_170:
	s_or_b64 exec, exec, s[4:5]
.LBB1437_171:
	s_and_b64 s[12:13], s[12:13], exec
.LBB1437_172:
	s_or_b64 exec, exec, s[14:15]
	v_cndmask_b32_e64 v25, 0, 1, s[10:11]
	v_cndmask_b32_e64 v34, 0, 1, s[8:9]
	;; [unrolled: 1-line block ×3, first 2 shown]
	v_or_b32_e32 v20, v22, v23
.LBB1437_173:
	s_mov_b64 s[8:9], -1
	s_cbranch_execnz .LBB1437_32
.LBB1437_174:
	s_movk_i32 s4, 0xffd0
	v_mad_i32_i24 v24, v0, s4, v32
	s_mov_b64 s[10:11], 0
	v_cmp_gt_i64_e64 s[6:7], s[26:27], 0
	s_and_b64 vcc, exec, s[36:37]
	ds_write_b64 v24, v[14:15]
	s_cbranch_vccz .LBB1437_182
; %bb.175:
	v_mul_lo_u32 v18, v5, s26
	v_mul_lo_u32 v19, v4, s27
	s_waitcnt vmcnt(0) lgkmcnt(1)
	v_mad_u64_u32 v[16:17], s[4:5], v4, s26, 0
	v_add3_u32 v17, v17, v19, v18
	v_cndmask_b32_e64 v18, 0, 1, s[6:7]
	v_cmp_ne_u32_e64 s[4:5], 1, v18
	s_andn2_b64 vcc, exec, s[6:7]
	v_lshl_add_u64 v[16:17], v[16:17], 1, s[28:29]
	s_cbranch_vccnz .LBB1437_185
; %bb.176:
	v_mul_lo_u32 v20, v15, s26
	v_mul_lo_u32 v21, v14, s27
	v_mad_u64_u32 v[18:19], s[10:11], v14, s26, 0
	v_add3_u32 v19, v19, v21, v20
	v_lshl_add_u64 v[18:19], v[18:19], 1, s[28:29]
	global_load_ushort v20, v[16:17], off
	global_load_ushort v21, v[18:19], off
	s_mov_b64 s[10:11], -1
	s_waitcnt vmcnt(0)
	v_cmp_eq_u16_e32 vcc, v20, v21
	s_and_saveexec_b64 s[12:13], vcc
	s_cbranch_execz .LBB1437_184
; %bb.177:
	s_add_u32 s10, s26, -1
	v_lshl_add_u64 v[18:19], v[18:19], 0, 2
	v_lshl_add_u64 v[20:21], v[16:17], 0, 2
	s_addc_u32 s11, s27, -1
	s_mov_b64 s[14:15], 0
	s_mov_b64 s[40:41], 0
                                        ; implicit-def: $sgpr38_sgpr39
	s_branch .LBB1437_180
.LBB1437_178:                           ;   in Loop: Header=BB1437_180 Depth=1
	global_load_ushort v22, v[20:21], off
	global_load_ushort v23, v[18:19], off
	s_add_u32 s40, s40, 1
	s_addc_u32 s41, s41, 0
	s_andn2_b64 s[38:39], s[38:39], exec
	v_lshl_add_u64 v[18:19], v[18:19], 0, 2
	v_lshl_add_u64 v[20:21], v[20:21], 0, 2
	s_waitcnt vmcnt(0)
	v_cmp_ne_u16_e32 vcc, v22, v23
	s_and_b64 s[42:43], vcc, exec
	s_or_b64 s[38:39], s[38:39], s[42:43]
.LBB1437_179:                           ;   in Loop: Header=BB1437_180 Depth=1
	s_and_b64 s[42:43], exec, s[38:39]
	s_or_b64 s[14:15], s[42:43], s[14:15]
	v_mov_b64_e32 v[22:23], s[40:41]
	s_andn2_b64 exec, exec, s[14:15]
	s_cbranch_execz .LBB1437_183
.LBB1437_180:                           ; =>This Inner Loop Header: Depth=1
	s_or_b64 s[38:39], s[38:39], exec
	s_cmp_eq_u64 s[10:11], s[40:41]
	s_cbranch_scc0 .LBB1437_178
; %bb.181:                              ;   in Loop: Header=BB1437_180 Depth=1
                                        ; implicit-def: $vgpr18_vgpr19
                                        ; implicit-def: $vgpr20_vgpr21
	s_mov_b64 s[40:41], s[26:27]
	s_branch .LBB1437_179
.LBB1437_182:
                                        ; implicit-def: $sgpr12_sgpr13
                                        ; implicit-def: $vgpr35
                                        ; implicit-def: $vgpr34
                                        ; implicit-def: $vgpr25
                                        ; implicit-def: $vgpr20
                                        ; implicit-def: $vgpr16_vgpr17
	s_cbranch_execnz .LBB1437_242
	s_branch .LBB1437_322
.LBB1437_183:
	s_or_b64 exec, exec, s[14:15]
	v_cmp_gt_i64_e32 vcc, s[26:27], v[22:23]
	s_orn2_b64 s[10:11], vcc, exec
.LBB1437_184:
	s_or_b64 exec, exec, s[12:13]
.LBB1437_185:
	v_mul_lo_u32 v20, v3, s26
	v_mul_lo_u32 v21, v2, s27
	v_mad_u64_u32 v[18:19], s[12:13], v2, s26, 0
	v_add3_u32 v19, v19, v21, v20
	s_mov_b64 s[12:13], 0
	s_and_b64 vcc, exec, s[4:5]
	v_lshl_add_u64 v[18:19], v[18:19], 1, s[28:29]
	s_mov_b64 s[14:15], 0
	s_cbranch_vccnz .LBB1437_194
; %bb.186:
	global_load_ushort v20, v[18:19], off
	global_load_ushort v21, v[16:17], off
	s_mov_b64 s[14:15], -1
	s_waitcnt vmcnt(0)
	v_cmp_eq_u16_e32 vcc, v20, v21
	s_and_saveexec_b64 s[38:39], vcc
	s_cbranch_execz .LBB1437_193
; %bb.187:
	s_add_u32 s14, s26, -1
	v_lshl_add_u64 v[16:17], v[16:17], 0, 2
	v_lshl_add_u64 v[20:21], v[18:19], 0, 2
	s_addc_u32 s15, s27, -1
	s_mov_b64 s[40:41], 0
	s_mov_b64 s[44:45], 0
                                        ; implicit-def: $sgpr42_sgpr43
	s_branch .LBB1437_190
.LBB1437_188:                           ;   in Loop: Header=BB1437_190 Depth=1
	global_load_ushort v22, v[20:21], off
	global_load_ushort v23, v[16:17], off
	s_add_u32 s44, s44, 1
	s_addc_u32 s45, s45, 0
	s_andn2_b64 s[42:43], s[42:43], exec
	v_lshl_add_u64 v[16:17], v[16:17], 0, 2
	v_lshl_add_u64 v[20:21], v[20:21], 0, 2
	s_waitcnt vmcnt(0)
	v_cmp_ne_u16_e32 vcc, v22, v23
	s_and_b64 s[46:47], vcc, exec
	s_or_b64 s[42:43], s[42:43], s[46:47]
.LBB1437_189:                           ;   in Loop: Header=BB1437_190 Depth=1
	s_and_b64 s[46:47], exec, s[42:43]
	s_or_b64 s[40:41], s[46:47], s[40:41]
	v_mov_b64_e32 v[22:23], s[44:45]
	s_andn2_b64 exec, exec, s[40:41]
	s_cbranch_execz .LBB1437_192
.LBB1437_190:                           ; =>This Inner Loop Header: Depth=1
	s_or_b64 s[42:43], s[42:43], exec
	s_cmp_eq_u64 s[14:15], s[44:45]
	s_cbranch_scc0 .LBB1437_188
; %bb.191:                              ;   in Loop: Header=BB1437_190 Depth=1
                                        ; implicit-def: $vgpr16_vgpr17
                                        ; implicit-def: $vgpr20_vgpr21
	s_mov_b64 s[44:45], s[26:27]
	s_branch .LBB1437_189
.LBB1437_192:
	s_or_b64 exec, exec, s[40:41]
	v_cmp_gt_i64_e32 vcc, s[26:27], v[22:23]
	s_orn2_b64 s[14:15], vcc, exec
.LBB1437_193:
	s_or_b64 exec, exec, s[38:39]
.LBB1437_194:
	v_mul_lo_u32 v20, v9, s26
	v_mul_lo_u32 v21, v8, s27
	v_mad_u64_u32 v[16:17], s[38:39], v8, s26, 0
	v_add3_u32 v17, v17, v21, v20
	s_and_b64 vcc, exec, s[4:5]
	v_lshl_add_u64 v[16:17], v[16:17], 1, s[28:29]
	s_cbranch_vccnz .LBB1437_203
; %bb.195:
	global_load_ushort v20, v[16:17], off
	global_load_ushort v21, v[18:19], off
	s_mov_b64 s[12:13], -1
	s_waitcnt vmcnt(0)
	v_cmp_eq_u16_e32 vcc, v20, v21
	s_and_saveexec_b64 s[38:39], vcc
	s_cbranch_execz .LBB1437_202
; %bb.196:
	s_add_u32 s12, s26, -1
	v_lshl_add_u64 v[18:19], v[18:19], 0, 2
	v_lshl_add_u64 v[20:21], v[16:17], 0, 2
	s_addc_u32 s13, s27, -1
	s_mov_b64 s[40:41], 0
	s_mov_b64 s[44:45], 0
                                        ; implicit-def: $sgpr42_sgpr43
	s_branch .LBB1437_199
.LBB1437_197:                           ;   in Loop: Header=BB1437_199 Depth=1
	global_load_ushort v22, v[20:21], off
	global_load_ushort v23, v[18:19], off
	s_add_u32 s44, s44, 1
	s_addc_u32 s45, s45, 0
	s_andn2_b64 s[42:43], s[42:43], exec
	v_lshl_add_u64 v[18:19], v[18:19], 0, 2
	v_lshl_add_u64 v[20:21], v[20:21], 0, 2
	s_waitcnt vmcnt(0)
	v_cmp_ne_u16_e32 vcc, v22, v23
	s_and_b64 s[46:47], vcc, exec
	s_or_b64 s[42:43], s[42:43], s[46:47]
.LBB1437_198:                           ;   in Loop: Header=BB1437_199 Depth=1
	s_and_b64 s[46:47], exec, s[42:43]
	s_or_b64 s[40:41], s[46:47], s[40:41]
	v_mov_b64_e32 v[22:23], s[44:45]
	s_andn2_b64 exec, exec, s[40:41]
	s_cbranch_execz .LBB1437_201
.LBB1437_199:                           ; =>This Inner Loop Header: Depth=1
	s_or_b64 s[42:43], s[42:43], exec
	s_cmp_eq_u64 s[12:13], s[44:45]
	s_cbranch_scc0 .LBB1437_197
; %bb.200:                              ;   in Loop: Header=BB1437_199 Depth=1
                                        ; implicit-def: $vgpr18_vgpr19
                                        ; implicit-def: $vgpr20_vgpr21
	s_mov_b64 s[44:45], s[26:27]
	s_branch .LBB1437_198
.LBB1437_201:
	s_or_b64 exec, exec, s[40:41]
	v_cmp_gt_i64_e32 vcc, s[26:27], v[22:23]
	s_orn2_b64 s[12:13], vcc, exec
.LBB1437_202:
	s_or_b64 exec, exec, s[38:39]
.LBB1437_203:
	v_mul_lo_u32 v20, v7, s26
	v_mul_lo_u32 v21, v6, s27
	v_mad_u64_u32 v[18:19], s[38:39], v6, s26, 0
	v_add3_u32 v19, v19, v21, v20
	s_mov_b64 s[38:39], 0
	s_and_b64 vcc, exec, s[4:5]
	v_lshl_add_u64 v[18:19], v[18:19], 1, s[28:29]
	s_mov_b64 s[40:41], 0
	s_cbranch_vccnz .LBB1437_212
; %bb.204:
	global_load_ushort v20, v[18:19], off
	global_load_ushort v21, v[16:17], off
	s_mov_b64 s[40:41], -1
	s_waitcnt vmcnt(0)
	v_cmp_eq_u16_e32 vcc, v20, v21
	s_and_saveexec_b64 s[42:43], vcc
	s_cbranch_execz .LBB1437_211
; %bb.205:
	s_add_u32 s40, s26, -1
	v_lshl_add_u64 v[16:17], v[16:17], 0, 2
	v_lshl_add_u64 v[20:21], v[18:19], 0, 2
	s_addc_u32 s41, s27, -1
	s_mov_b64 s[44:45], 0
	s_mov_b64 s[48:49], 0
                                        ; implicit-def: $sgpr46_sgpr47
	s_branch .LBB1437_208
.LBB1437_206:                           ;   in Loop: Header=BB1437_208 Depth=1
	global_load_ushort v22, v[20:21], off
	global_load_ushort v23, v[16:17], off
	s_add_u32 s48, s48, 1
	s_addc_u32 s49, s49, 0
	s_andn2_b64 s[46:47], s[46:47], exec
	v_lshl_add_u64 v[16:17], v[16:17], 0, 2
	v_lshl_add_u64 v[20:21], v[20:21], 0, 2
	s_waitcnt vmcnt(0)
	v_cmp_ne_u16_e32 vcc, v22, v23
	s_and_b64 s[50:51], vcc, exec
	s_or_b64 s[46:47], s[46:47], s[50:51]
.LBB1437_207:                           ;   in Loop: Header=BB1437_208 Depth=1
	s_and_b64 s[50:51], exec, s[46:47]
	s_or_b64 s[44:45], s[50:51], s[44:45]
	v_mov_b64_e32 v[22:23], s[48:49]
	s_andn2_b64 exec, exec, s[44:45]
	s_cbranch_execz .LBB1437_210
.LBB1437_208:                           ; =>This Inner Loop Header: Depth=1
	s_or_b64 s[46:47], s[46:47], exec
	s_cmp_eq_u64 s[40:41], s[48:49]
	s_cbranch_scc0 .LBB1437_206
; %bb.209:                              ;   in Loop: Header=BB1437_208 Depth=1
                                        ; implicit-def: $vgpr16_vgpr17
                                        ; implicit-def: $vgpr20_vgpr21
	s_mov_b64 s[48:49], s[26:27]
	s_branch .LBB1437_207
.LBB1437_210:
	s_or_b64 exec, exec, s[44:45]
	v_cmp_gt_i64_e32 vcc, s[26:27], v[22:23]
	s_orn2_b64 s[40:41], vcc, exec
.LBB1437_211:
	s_or_b64 exec, exec, s[42:43]
.LBB1437_212:
	v_mul_lo_u32 v20, v13, s26
	v_mul_lo_u32 v21, v12, s27
	v_mad_u64_u32 v[16:17], s[42:43], v12, s26, 0
	v_add3_u32 v17, v17, v21, v20
	s_and_b64 vcc, exec, s[4:5]
	v_lshl_add_u64 v[16:17], v[16:17], 1, s[28:29]
	s_cbranch_vccnz .LBB1437_221
; %bb.213:
	global_load_ushort v20, v[16:17], off
	global_load_ushort v21, v[18:19], off
	s_mov_b64 s[38:39], -1
	s_waitcnt vmcnt(0)
	v_cmp_eq_u16_e32 vcc, v20, v21
	s_and_saveexec_b64 s[42:43], vcc
	s_cbranch_execz .LBB1437_220
; %bb.214:
	s_add_u32 s38, s26, -1
	v_lshl_add_u64 v[18:19], v[18:19], 0, 2
	v_lshl_add_u64 v[20:21], v[16:17], 0, 2
	s_addc_u32 s39, s27, -1
	s_mov_b64 s[44:45], 0
	s_mov_b64 s[48:49], 0
                                        ; implicit-def: $sgpr46_sgpr47
	s_branch .LBB1437_217
.LBB1437_215:                           ;   in Loop: Header=BB1437_217 Depth=1
	global_load_ushort v22, v[20:21], off
	global_load_ushort v23, v[18:19], off
	s_add_u32 s48, s48, 1
	s_addc_u32 s49, s49, 0
	s_andn2_b64 s[46:47], s[46:47], exec
	v_lshl_add_u64 v[18:19], v[18:19], 0, 2
	v_lshl_add_u64 v[20:21], v[20:21], 0, 2
	s_waitcnt vmcnt(0)
	v_cmp_ne_u16_e32 vcc, v22, v23
	s_and_b64 s[50:51], vcc, exec
	s_or_b64 s[46:47], s[46:47], s[50:51]
.LBB1437_216:                           ;   in Loop: Header=BB1437_217 Depth=1
	s_and_b64 s[50:51], exec, s[46:47]
	s_or_b64 s[44:45], s[50:51], s[44:45]
	v_mov_b64_e32 v[22:23], s[48:49]
	s_andn2_b64 exec, exec, s[44:45]
	s_cbranch_execz .LBB1437_219
.LBB1437_217:                           ; =>This Inner Loop Header: Depth=1
	s_or_b64 s[46:47], s[46:47], exec
	s_cmp_eq_u64 s[38:39], s[48:49]
	s_cbranch_scc0 .LBB1437_215
; %bb.218:                              ;   in Loop: Header=BB1437_217 Depth=1
                                        ; implicit-def: $vgpr18_vgpr19
                                        ; implicit-def: $vgpr20_vgpr21
	s_mov_b64 s[48:49], s[26:27]
	s_branch .LBB1437_216
.LBB1437_219:
	s_or_b64 exec, exec, s[44:45]
	v_cmp_gt_i64_e32 vcc, s[26:27], v[22:23]
	s_orn2_b64 s[38:39], vcc, exec
.LBB1437_220:
	s_or_b64 exec, exec, s[42:43]
.LBB1437_221:
	v_mul_lo_u32 v20, v11, s26
	v_mul_lo_u32 v21, v10, s27
	v_mad_u64_u32 v[18:19], s[42:43], v10, s26, 0
	v_add3_u32 v19, v19, v21, v20
	s_and_b64 vcc, exec, s[4:5]
	s_mov_b64 s[44:45], 0
	s_cbranch_vccnz .LBB1437_230
; %bb.222:
	v_lshl_add_u64 v[20:21], v[18:19], 1, s[28:29]
	global_load_ushort v22, v[20:21], off
	global_load_ushort v23, v[16:17], off
	s_mov_b64 s[44:45], -1
	s_waitcnt vmcnt(0)
	v_cmp_eq_u16_e32 vcc, v22, v23
	s_and_saveexec_b64 s[42:43], vcc
	s_cbranch_execz .LBB1437_229
; %bb.223:
	s_add_u32 s44, s26, -1
	v_lshl_add_u64 v[16:17], v[16:17], 0, 2
	v_lshl_add_u64 v[20:21], v[20:21], 0, 2
	s_addc_u32 s45, s27, -1
	s_mov_b64 s[46:47], 0
	s_mov_b64 s[50:51], 0
                                        ; implicit-def: $sgpr48_sgpr49
	s_branch .LBB1437_226
.LBB1437_224:                           ;   in Loop: Header=BB1437_226 Depth=1
	global_load_ushort v22, v[20:21], off
	global_load_ushort v23, v[16:17], off
	s_add_u32 s50, s50, 1
	s_addc_u32 s51, s51, 0
	s_andn2_b64 s[48:49], s[48:49], exec
	v_lshl_add_u64 v[16:17], v[16:17], 0, 2
	v_lshl_add_u64 v[20:21], v[20:21], 0, 2
	s_waitcnt vmcnt(0)
	v_cmp_ne_u16_e32 vcc, v22, v23
	s_and_b64 s[54:55], vcc, exec
	s_or_b64 s[48:49], s[48:49], s[54:55]
.LBB1437_225:                           ;   in Loop: Header=BB1437_226 Depth=1
	s_and_b64 s[54:55], exec, s[48:49]
	s_or_b64 s[46:47], s[54:55], s[46:47]
	v_mov_b64_e32 v[22:23], s[50:51]
	s_andn2_b64 exec, exec, s[46:47]
	s_cbranch_execz .LBB1437_228
.LBB1437_226:                           ; =>This Inner Loop Header: Depth=1
	s_or_b64 s[48:49], s[48:49], exec
	s_cmp_eq_u64 s[44:45], s[50:51]
	s_cbranch_scc0 .LBB1437_224
; %bb.227:                              ;   in Loop: Header=BB1437_226 Depth=1
                                        ; implicit-def: $vgpr16_vgpr17
                                        ; implicit-def: $vgpr20_vgpr21
	s_mov_b64 s[50:51], s[26:27]
	s_branch .LBB1437_225
.LBB1437_228:
	s_or_b64 exec, exec, s[46:47]
	v_cmp_gt_i64_e32 vcc, s[26:27], v[22:23]
	s_orn2_b64 s[44:45], vcc, exec
.LBB1437_229:
	s_or_b64 exec, exec, s[42:43]
.LBB1437_230:
	v_cndmask_b32_e64 v17, 0, 1, s[40:41]
	v_cndmask_b32_e64 v16, 0, 1, s[38:39]
	;; [unrolled: 1-line block ×3, first 2 shown]
	v_lshlrev_b16_e32 v17, 8, v17
	v_cndmask_b32_e64 v25, 0, 1, s[12:13]
	v_cndmask_b32_e64 v20, 0, 1, s[44:45]
	v_or_b32_sdwa v16, v16, v17 dst_sel:WORD_1 dst_unused:UNUSED_PAD src0_sel:DWORD src1_sel:DWORD
	v_lshlrev_b16_e32 v17, 8, v34
	v_lshlrev_b16_e32 v20, 8, v20
	v_or_b32_e32 v17, v25, v17
	v_or_b32_e32 v20, 1, v20
	v_and_b32_e32 v17, 0xffff, v17
	v_cndmask_b32_e64 v35, 0, 1, s[10:11]
	v_or_b32_sdwa v16, v20, v16 dst_sel:DWORD dst_unused:UNUSED_PAD src0_sel:WORD_0 src1_sel:DWORD
	v_lshl_or_b32 v17, v35, 16, v17
	s_waitcnt lgkmcnt(0)
	s_barrier
	s_waitcnt lgkmcnt(0)
                                        ; implicit-def: $sgpr12_sgpr13
                                        ; implicit-def: $vgpr20
	s_and_saveexec_b64 s[10:11], s[2:3]
	s_xor_b64 s[10:11], exec, s[10:11]
	s_cbranch_execz .LBB1437_241
; %bb.231:
	s_mov_b32 s42, 0x3020104
	s_and_b64 vcc, exec, s[4:5]
	s_mov_b64 s[12:13], 0
	s_cbranch_vccnz .LBB1437_240
; %bb.232:
	v_add_u32_e32 v17, -8, v24
	ds_read_b64 v[20:21], v17
	v_lshl_add_u64 v[18:19], v[18:19], 1, s[28:29]
	s_mov_b64 s[12:13], -1
	s_waitcnt lgkmcnt(0)
	v_mul_lo_u32 v17, v21, s26
	v_mul_lo_u32 v22, v20, s27
	v_mad_u64_u32 v[20:21], s[4:5], v20, s26, 0
	v_add3_u32 v21, v21, v22, v17
	v_lshl_add_u64 v[20:21], v[20:21], 1, s[28:29]
	global_load_ushort v17, v[20:21], off
	global_load_ushort v22, v[18:19], off
	s_waitcnt vmcnt(0)
	v_cmp_eq_u16_e32 vcc, v17, v22
	s_and_saveexec_b64 s[4:5], vcc
	s_cbranch_execz .LBB1437_239
; %bb.233:
	s_add_u32 s12, s26, -1
	v_lshl_add_u64 v[18:19], v[18:19], 0, 2
	v_lshl_add_u64 v[20:21], v[20:21], 0, 2
	s_addc_u32 s13, s27, -1
	s_mov_b64 s[14:15], 0
	s_mov_b64 s[40:41], 0
                                        ; implicit-def: $sgpr38_sgpr39
	s_branch .LBB1437_236
.LBB1437_234:                           ;   in Loop: Header=BB1437_236 Depth=1
	global_load_ushort v17, v[20:21], off
	global_load_ushort v22, v[18:19], off
	s_add_u32 s40, s40, 1
	s_addc_u32 s41, s41, 0
	s_andn2_b64 s[38:39], s[38:39], exec
	v_lshl_add_u64 v[18:19], v[18:19], 0, 2
	v_lshl_add_u64 v[20:21], v[20:21], 0, 2
	s_waitcnt vmcnt(0)
	v_cmp_ne_u16_e32 vcc, v17, v22
	s_and_b64 s[44:45], vcc, exec
	s_or_b64 s[38:39], s[38:39], s[44:45]
.LBB1437_235:                           ;   in Loop: Header=BB1437_236 Depth=1
	s_and_b64 s[44:45], exec, s[38:39]
	s_or_b64 s[14:15], s[44:45], s[14:15]
	v_mov_b64_e32 v[22:23], s[40:41]
	s_andn2_b64 exec, exec, s[14:15]
	s_cbranch_execz .LBB1437_238
.LBB1437_236:                           ; =>This Inner Loop Header: Depth=1
	s_or_b64 s[38:39], s[38:39], exec
	s_cmp_eq_u64 s[12:13], s[40:41]
	s_cbranch_scc0 .LBB1437_234
; %bb.237:                              ;   in Loop: Header=BB1437_236 Depth=1
                                        ; implicit-def: $vgpr18_vgpr19
                                        ; implicit-def: $vgpr20_vgpr21
	s_mov_b64 s[40:41], s[26:27]
	s_branch .LBB1437_235
.LBB1437_238:
	s_or_b64 exec, exec, s[14:15]
	v_cmp_gt_i64_e32 vcc, s[26:27], v[22:23]
	s_orn2_b64 s[12:13], vcc, exec
.LBB1437_239:
	s_or_b64 exec, exec, s[4:5]
.LBB1437_240:
	v_perm_b32 v20, v16, v16, s42
	s_and_b64 s[12:13], s[12:13], exec
	s_or_b64 s[8:9], s[8:9], exec
                                        ; implicit-def: $vgpr16_vgpr17
.LBB1437_241:
	s_or_b64 exec, exec, s[10:11]
	s_branch .LBB1437_322
.LBB1437_242:
	v_cmp_gt_u32_e32 vcc, s52, v29
	s_mov_b64 s[10:11], 0
	s_mov_b64 s[4:5], 0
	s_and_saveexec_b64 s[12:13], vcc
	s_cbranch_execz .LBB1437_253
; %bb.243:
	s_andn2_b64 vcc, exec, s[6:7]
	s_mov_b64 s[14:15], 0
	s_cbranch_vccnz .LBB1437_252
; %bb.244:
	v_mul_lo_u32 v18, v5, s26
	v_mul_lo_u32 v19, v4, s27
	s_waitcnt vmcnt(0) lgkmcnt(1)
	v_mad_u64_u32 v[16:17], s[4:5], v4, s26, 0
	v_add3_u32 v17, v17, v19, v18
	v_mul_lo_u32 v18, v15, s26
	v_mul_lo_u32 v19, v14, s27
	v_mad_u64_u32 v[20:21], s[4:5], v14, s26, 0
	v_add3_u32 v21, v21, v19, v18
	v_lshl_add_u64 v[18:19], v[16:17], 1, s[28:29]
	v_lshl_add_u64 v[16:17], v[20:21], 1, s[28:29]
	global_load_ushort v20, v[18:19], off
	global_load_ushort v21, v[16:17], off
	s_mov_b64 s[14:15], -1
	s_waitcnt vmcnt(0)
	v_cmp_eq_u16_e32 vcc, v20, v21
	s_and_saveexec_b64 s[4:5], vcc
	s_cbranch_execz .LBB1437_251
; %bb.245:
	s_add_u32 s14, s26, -1
	v_lshl_add_u64 v[16:17], v[16:17], 0, 2
	v_lshl_add_u64 v[18:19], v[18:19], 0, 2
	s_addc_u32 s15, s27, -1
	s_mov_b64 s[38:39], 0
	s_mov_b64 s[42:43], 0
                                        ; implicit-def: $sgpr40_sgpr41
	s_branch .LBB1437_248
.LBB1437_246:                           ;   in Loop: Header=BB1437_248 Depth=1
	global_load_ushort v20, v[18:19], off
	global_load_ushort v21, v[16:17], off
	s_add_u32 s42, s42, 1
	s_addc_u32 s43, s43, 0
	s_andn2_b64 s[40:41], s[40:41], exec
	v_lshl_add_u64 v[16:17], v[16:17], 0, 2
	v_lshl_add_u64 v[18:19], v[18:19], 0, 2
	s_waitcnt vmcnt(0)
	v_cmp_ne_u16_e32 vcc, v20, v21
	s_and_b64 s[44:45], vcc, exec
	s_or_b64 s[40:41], s[40:41], s[44:45]
.LBB1437_247:                           ;   in Loop: Header=BB1437_248 Depth=1
	s_and_b64 s[44:45], exec, s[40:41]
	s_or_b64 s[38:39], s[44:45], s[38:39]
	v_mov_b64_e32 v[20:21], s[42:43]
	s_andn2_b64 exec, exec, s[38:39]
	s_cbranch_execz .LBB1437_250
.LBB1437_248:                           ; =>This Inner Loop Header: Depth=1
	s_or_b64 s[40:41], s[40:41], exec
	s_cmp_eq_u64 s[14:15], s[42:43]
	s_cbranch_scc0 .LBB1437_246
; %bb.249:                              ;   in Loop: Header=BB1437_248 Depth=1
                                        ; implicit-def: $vgpr16_vgpr17
                                        ; implicit-def: $vgpr18_vgpr19
	s_mov_b64 s[42:43], s[26:27]
	s_branch .LBB1437_247
.LBB1437_250:
	s_or_b64 exec, exec, s[38:39]
	v_cmp_gt_i64_e32 vcc, s[26:27], v[20:21]
	s_orn2_b64 s[14:15], vcc, exec
.LBB1437_251:
	s_or_b64 exec, exec, s[4:5]
.LBB1437_252:
	s_and_b64 s[4:5], s[14:15], exec
.LBB1437_253:
	s_or_b64 exec, exec, s[12:13]
	v_cmp_gt_u32_e32 vcc, s52, v31
	s_and_saveexec_b64 s[12:13], vcc
	s_cbranch_execz .LBB1437_264
; %bb.254:
	s_andn2_b64 vcc, exec, s[6:7]
	s_mov_b64 s[14:15], 0
	s_cbranch_vccnz .LBB1437_263
; %bb.255:
	v_mul_lo_u32 v18, v3, s26
	v_mul_lo_u32 v19, v2, s27
	s_waitcnt vmcnt(0) lgkmcnt(1)
	v_mad_u64_u32 v[16:17], s[10:11], v2, s26, 0
	v_add3_u32 v17, v17, v19, v18
	v_mul_lo_u32 v18, v5, s26
	v_mul_lo_u32 v19, v4, s27
	v_mad_u64_u32 v[20:21], s[10:11], v4, s26, 0
	v_add3_u32 v21, v21, v19, v18
	v_lshl_add_u64 v[18:19], v[16:17], 1, s[28:29]
	v_lshl_add_u64 v[16:17], v[20:21], 1, s[28:29]
	global_load_ushort v20, v[18:19], off
	global_load_ushort v21, v[16:17], off
	s_mov_b64 s[14:15], -1
	s_waitcnt vmcnt(0)
	v_cmp_eq_u16_e32 vcc, v20, v21
	s_and_saveexec_b64 s[10:11], vcc
	s_cbranch_execz .LBB1437_262
; %bb.256:
	s_add_u32 s14, s26, -1
	v_lshl_add_u64 v[16:17], v[16:17], 0, 2
	v_lshl_add_u64 v[18:19], v[18:19], 0, 2
	s_addc_u32 s15, s27, -1
	s_mov_b64 s[38:39], 0
	s_mov_b64 s[42:43], 0
                                        ; implicit-def: $sgpr40_sgpr41
	s_branch .LBB1437_259
.LBB1437_257:                           ;   in Loop: Header=BB1437_259 Depth=1
	global_load_ushort v20, v[18:19], off
	global_load_ushort v21, v[16:17], off
	s_add_u32 s42, s42, 1
	s_addc_u32 s43, s43, 0
	s_andn2_b64 s[40:41], s[40:41], exec
	v_lshl_add_u64 v[16:17], v[16:17], 0, 2
	v_lshl_add_u64 v[18:19], v[18:19], 0, 2
	s_waitcnt vmcnt(0)
	v_cmp_ne_u16_e32 vcc, v20, v21
	s_and_b64 s[44:45], vcc, exec
	s_or_b64 s[40:41], s[40:41], s[44:45]
.LBB1437_258:                           ;   in Loop: Header=BB1437_259 Depth=1
	s_and_b64 s[44:45], exec, s[40:41]
	s_or_b64 s[38:39], s[44:45], s[38:39]
	v_mov_b64_e32 v[20:21], s[42:43]
	s_andn2_b64 exec, exec, s[38:39]
	s_cbranch_execz .LBB1437_261
.LBB1437_259:                           ; =>This Inner Loop Header: Depth=1
	s_or_b64 s[40:41], s[40:41], exec
	s_cmp_eq_u64 s[14:15], s[42:43]
	s_cbranch_scc0 .LBB1437_257
; %bb.260:                              ;   in Loop: Header=BB1437_259 Depth=1
                                        ; implicit-def: $vgpr16_vgpr17
                                        ; implicit-def: $vgpr18_vgpr19
	s_mov_b64 s[42:43], s[26:27]
	s_branch .LBB1437_258
.LBB1437_261:
	s_or_b64 exec, exec, s[38:39]
	v_cmp_gt_i64_e32 vcc, s[26:27], v[20:21]
	s_orn2_b64 s[14:15], vcc, exec
.LBB1437_262:
	s_or_b64 exec, exec, s[10:11]
.LBB1437_263:
	s_and_b64 s[10:11], s[14:15], exec
.LBB1437_264:
	s_or_b64 exec, exec, s[12:13]
	v_cmp_gt_u32_e32 vcc, s52, v28
	s_mov_b64 s[14:15], 0
	s_mov_b64 s[12:13], 0
	s_and_saveexec_b64 s[38:39], vcc
	s_cbranch_execz .LBB1437_275
; %bb.265:
	s_andn2_b64 vcc, exec, s[6:7]
	s_mov_b64 s[40:41], 0
	s_cbranch_vccnz .LBB1437_274
; %bb.266:
	v_mul_lo_u32 v18, v9, s26
	v_mul_lo_u32 v19, v8, s27
	s_waitcnt vmcnt(0) lgkmcnt(1)
	v_mad_u64_u32 v[16:17], s[12:13], v8, s26, 0
	v_add3_u32 v17, v17, v19, v18
	v_mul_lo_u32 v18, v3, s26
	v_mul_lo_u32 v19, v2, s27
	v_mad_u64_u32 v[20:21], s[12:13], v2, s26, 0
	v_add3_u32 v21, v21, v19, v18
	v_lshl_add_u64 v[18:19], v[16:17], 1, s[28:29]
	v_lshl_add_u64 v[16:17], v[20:21], 1, s[28:29]
	global_load_ushort v20, v[18:19], off
	global_load_ushort v21, v[16:17], off
	s_mov_b64 s[40:41], -1
	s_waitcnt vmcnt(0)
	v_cmp_eq_u16_e32 vcc, v20, v21
	s_and_saveexec_b64 s[12:13], vcc
	s_cbranch_execz .LBB1437_273
; %bb.267:
	s_add_u32 s40, s26, -1
	v_lshl_add_u64 v[16:17], v[16:17], 0, 2
	v_lshl_add_u64 v[18:19], v[18:19], 0, 2
	s_addc_u32 s41, s27, -1
	s_mov_b64 s[42:43], 0
	s_mov_b64 s[46:47], 0
                                        ; implicit-def: $sgpr44_sgpr45
	s_branch .LBB1437_270
.LBB1437_268:                           ;   in Loop: Header=BB1437_270 Depth=1
	global_load_ushort v20, v[18:19], off
	global_load_ushort v21, v[16:17], off
	s_add_u32 s46, s46, 1
	s_addc_u32 s47, s47, 0
	s_andn2_b64 s[44:45], s[44:45], exec
	v_lshl_add_u64 v[16:17], v[16:17], 0, 2
	v_lshl_add_u64 v[18:19], v[18:19], 0, 2
	s_waitcnt vmcnt(0)
	v_cmp_ne_u16_e32 vcc, v20, v21
	s_and_b64 s[48:49], vcc, exec
	s_or_b64 s[44:45], s[44:45], s[48:49]
.LBB1437_269:                           ;   in Loop: Header=BB1437_270 Depth=1
	s_and_b64 s[48:49], exec, s[44:45]
	s_or_b64 s[42:43], s[48:49], s[42:43]
	v_mov_b64_e32 v[20:21], s[46:47]
	s_andn2_b64 exec, exec, s[42:43]
	s_cbranch_execz .LBB1437_272
.LBB1437_270:                           ; =>This Inner Loop Header: Depth=1
	s_or_b64 s[44:45], s[44:45], exec
	s_cmp_eq_u64 s[40:41], s[46:47]
	s_cbranch_scc0 .LBB1437_268
; %bb.271:                              ;   in Loop: Header=BB1437_270 Depth=1
                                        ; implicit-def: $vgpr16_vgpr17
                                        ; implicit-def: $vgpr18_vgpr19
	s_mov_b64 s[46:47], s[26:27]
	s_branch .LBB1437_269
.LBB1437_272:
	s_or_b64 exec, exec, s[42:43]
	v_cmp_gt_i64_e32 vcc, s[26:27], v[20:21]
	s_orn2_b64 s[40:41], vcc, exec
.LBB1437_273:
	s_or_b64 exec, exec, s[12:13]
.LBB1437_274:
	s_and_b64 s[12:13], s[40:41], exec
.LBB1437_275:
	s_or_b64 exec, exec, s[38:39]
	v_cmp_gt_u32_e32 vcc, s52, v30
	s_and_saveexec_b64 s[38:39], vcc
	s_cbranch_execz .LBB1437_286
; %bb.276:
	s_andn2_b64 vcc, exec, s[6:7]
	s_mov_b64 s[40:41], 0
	s_cbranch_vccnz .LBB1437_285
; %bb.277:
	v_mul_lo_u32 v18, v7, s26
	v_mul_lo_u32 v19, v6, s27
	s_waitcnt vmcnt(0) lgkmcnt(1)
	v_mad_u64_u32 v[16:17], s[14:15], v6, s26, 0
	v_add3_u32 v17, v17, v19, v18
	v_mul_lo_u32 v18, v9, s26
	v_mul_lo_u32 v19, v8, s27
	v_mad_u64_u32 v[20:21], s[14:15], v8, s26, 0
	v_add3_u32 v21, v21, v19, v18
	v_lshl_add_u64 v[18:19], v[16:17], 1, s[28:29]
	v_lshl_add_u64 v[16:17], v[20:21], 1, s[28:29]
	global_load_ushort v20, v[18:19], off
	global_load_ushort v21, v[16:17], off
	s_mov_b64 s[40:41], -1
	s_waitcnt vmcnt(0)
	v_cmp_eq_u16_e32 vcc, v20, v21
	s_and_saveexec_b64 s[14:15], vcc
	s_cbranch_execz .LBB1437_284
; %bb.278:
	s_add_u32 s40, s26, -1
	v_lshl_add_u64 v[16:17], v[16:17], 0, 2
	v_lshl_add_u64 v[18:19], v[18:19], 0, 2
	s_addc_u32 s41, s27, -1
	s_mov_b64 s[42:43], 0
	s_mov_b64 s[46:47], 0
                                        ; implicit-def: $sgpr44_sgpr45
	s_branch .LBB1437_281
.LBB1437_279:                           ;   in Loop: Header=BB1437_281 Depth=1
	global_load_ushort v20, v[18:19], off
	global_load_ushort v21, v[16:17], off
	s_add_u32 s46, s46, 1
	s_addc_u32 s47, s47, 0
	s_andn2_b64 s[44:45], s[44:45], exec
	v_lshl_add_u64 v[16:17], v[16:17], 0, 2
	v_lshl_add_u64 v[18:19], v[18:19], 0, 2
	s_waitcnt vmcnt(0)
	v_cmp_ne_u16_e32 vcc, v20, v21
	s_and_b64 s[48:49], vcc, exec
	s_or_b64 s[44:45], s[44:45], s[48:49]
.LBB1437_280:                           ;   in Loop: Header=BB1437_281 Depth=1
	s_and_b64 s[48:49], exec, s[44:45]
	s_or_b64 s[42:43], s[48:49], s[42:43]
	v_mov_b64_e32 v[20:21], s[46:47]
	s_andn2_b64 exec, exec, s[42:43]
	s_cbranch_execz .LBB1437_283
.LBB1437_281:                           ; =>This Inner Loop Header: Depth=1
	s_or_b64 s[44:45], s[44:45], exec
	s_cmp_eq_u64 s[40:41], s[46:47]
	s_cbranch_scc0 .LBB1437_279
; %bb.282:                              ;   in Loop: Header=BB1437_281 Depth=1
                                        ; implicit-def: $vgpr16_vgpr17
                                        ; implicit-def: $vgpr18_vgpr19
	s_mov_b64 s[46:47], s[26:27]
	s_branch .LBB1437_280
.LBB1437_283:
	s_or_b64 exec, exec, s[42:43]
	v_cmp_gt_i64_e32 vcc, s[26:27], v[20:21]
	s_orn2_b64 s[40:41], vcc, exec
.LBB1437_284:
	s_or_b64 exec, exec, s[14:15]
.LBB1437_285:
	s_and_b64 s[14:15], s[40:41], exec
.LBB1437_286:
	s_or_b64 exec, exec, s[38:39]
	v_cmp_gt_u32_e32 vcc, s52, v26
	s_mov_b64 s[38:39], 0
	s_mov_b64 s[40:41], 0
	s_and_saveexec_b64 s[42:43], vcc
	s_cbranch_execz .LBB1437_297
; %bb.287:
	s_andn2_b64 vcc, exec, s[6:7]
	s_mov_b64 s[44:45], 0
	s_cbranch_vccnz .LBB1437_296
; %bb.288:
	v_mul_lo_u32 v18, v13, s26
	v_mul_lo_u32 v19, v12, s27
	s_waitcnt vmcnt(0) lgkmcnt(1)
	v_mad_u64_u32 v[16:17], s[40:41], v12, s26, 0
	v_add3_u32 v17, v17, v19, v18
	v_mul_lo_u32 v18, v7, s26
	v_mul_lo_u32 v19, v6, s27
	v_mad_u64_u32 v[20:21], s[40:41], v6, s26, 0
	v_add3_u32 v21, v21, v19, v18
	v_lshl_add_u64 v[18:19], v[16:17], 1, s[28:29]
	v_lshl_add_u64 v[16:17], v[20:21], 1, s[28:29]
	global_load_ushort v20, v[18:19], off
	global_load_ushort v21, v[16:17], off
	s_mov_b64 s[44:45], -1
	s_waitcnt vmcnt(0)
	v_cmp_eq_u16_e32 vcc, v20, v21
	s_and_saveexec_b64 s[40:41], vcc
	s_cbranch_execz .LBB1437_295
; %bb.289:
	s_add_u32 s44, s26, -1
	v_lshl_add_u64 v[16:17], v[16:17], 0, 2
	v_lshl_add_u64 v[18:19], v[18:19], 0, 2
	s_addc_u32 s45, s27, -1
	s_mov_b64 s[46:47], 0
	s_mov_b64 s[50:51], 0
                                        ; implicit-def: $sgpr48_sgpr49
	s_branch .LBB1437_292
.LBB1437_290:                           ;   in Loop: Header=BB1437_292 Depth=1
	global_load_ushort v20, v[18:19], off
	global_load_ushort v21, v[16:17], off
	s_add_u32 s50, s50, 1
	s_addc_u32 s51, s51, 0
	s_andn2_b64 s[48:49], s[48:49], exec
	v_lshl_add_u64 v[16:17], v[16:17], 0, 2
	v_lshl_add_u64 v[18:19], v[18:19], 0, 2
	s_waitcnt vmcnt(0)
	v_cmp_ne_u16_e32 vcc, v20, v21
	s_and_b64 s[54:55], vcc, exec
	s_or_b64 s[48:49], s[48:49], s[54:55]
.LBB1437_291:                           ;   in Loop: Header=BB1437_292 Depth=1
	s_and_b64 s[54:55], exec, s[48:49]
	s_or_b64 s[46:47], s[54:55], s[46:47]
	v_mov_b64_e32 v[20:21], s[50:51]
	s_andn2_b64 exec, exec, s[46:47]
	s_cbranch_execz .LBB1437_294
.LBB1437_292:                           ; =>This Inner Loop Header: Depth=1
	s_or_b64 s[48:49], s[48:49], exec
	s_cmp_eq_u64 s[44:45], s[50:51]
	s_cbranch_scc0 .LBB1437_290
; %bb.293:                              ;   in Loop: Header=BB1437_292 Depth=1
                                        ; implicit-def: $vgpr16_vgpr17
                                        ; implicit-def: $vgpr18_vgpr19
	s_mov_b64 s[50:51], s[26:27]
	s_branch .LBB1437_291
.LBB1437_294:
	s_or_b64 exec, exec, s[46:47]
	v_cmp_gt_i64_e32 vcc, s[26:27], v[20:21]
	s_orn2_b64 s[44:45], vcc, exec
.LBB1437_295:
	s_or_b64 exec, exec, s[40:41]
.LBB1437_296:
	s_and_b64 s[40:41], s[44:45], exec
.LBB1437_297:
	s_or_b64 exec, exec, s[42:43]
	v_cmp_gt_u32_e32 vcc, s52, v27
	s_and_saveexec_b64 s[42:43], vcc
	s_cbranch_execz .LBB1437_308
; %bb.298:
	s_andn2_b64 vcc, exec, s[6:7]
	s_mov_b64 s[44:45], 0
	s_cbranch_vccnz .LBB1437_307
; %bb.299:
	v_mul_lo_u32 v18, v11, s26
	v_mul_lo_u32 v19, v10, s27
	s_waitcnt vmcnt(0) lgkmcnt(1)
	v_mad_u64_u32 v[16:17], s[38:39], v10, s26, 0
	v_add3_u32 v17, v17, v19, v18
	v_mul_lo_u32 v18, v13, s26
	v_mul_lo_u32 v19, v12, s27
	v_mad_u64_u32 v[20:21], s[38:39], v12, s26, 0
	v_add3_u32 v21, v21, v19, v18
	v_lshl_add_u64 v[18:19], v[16:17], 1, s[28:29]
	v_lshl_add_u64 v[16:17], v[20:21], 1, s[28:29]
	global_load_ushort v20, v[18:19], off
	global_load_ushort v21, v[16:17], off
	s_mov_b64 s[44:45], -1
	s_waitcnt vmcnt(0)
	v_cmp_eq_u16_e32 vcc, v20, v21
	s_and_saveexec_b64 s[38:39], vcc
	s_cbranch_execz .LBB1437_306
; %bb.300:
	s_add_u32 s44, s26, -1
	v_lshl_add_u64 v[16:17], v[16:17], 0, 2
	v_lshl_add_u64 v[18:19], v[18:19], 0, 2
	s_addc_u32 s45, s27, -1
	s_mov_b64 s[46:47], 0
	s_mov_b64 s[50:51], 0
                                        ; implicit-def: $sgpr48_sgpr49
	s_branch .LBB1437_303
.LBB1437_301:                           ;   in Loop: Header=BB1437_303 Depth=1
	global_load_ushort v20, v[18:19], off
	global_load_ushort v21, v[16:17], off
	s_add_u32 s50, s50, 1
	s_addc_u32 s51, s51, 0
	s_andn2_b64 s[48:49], s[48:49], exec
	v_lshl_add_u64 v[16:17], v[16:17], 0, 2
	v_lshl_add_u64 v[18:19], v[18:19], 0, 2
	s_waitcnt vmcnt(0)
	v_cmp_ne_u16_e32 vcc, v20, v21
	s_and_b64 s[54:55], vcc, exec
	s_or_b64 s[48:49], s[48:49], s[54:55]
.LBB1437_302:                           ;   in Loop: Header=BB1437_303 Depth=1
	s_and_b64 s[54:55], exec, s[48:49]
	s_or_b64 s[46:47], s[54:55], s[46:47]
	v_mov_b64_e32 v[20:21], s[50:51]
	s_andn2_b64 exec, exec, s[46:47]
	s_cbranch_execz .LBB1437_305
.LBB1437_303:                           ; =>This Inner Loop Header: Depth=1
	s_or_b64 s[48:49], s[48:49], exec
	s_cmp_eq_u64 s[44:45], s[50:51]
	s_cbranch_scc0 .LBB1437_301
; %bb.304:                              ;   in Loop: Header=BB1437_303 Depth=1
                                        ; implicit-def: $vgpr16_vgpr17
                                        ; implicit-def: $vgpr18_vgpr19
	s_mov_b64 s[50:51], s[26:27]
	s_branch .LBB1437_302
.LBB1437_305:
	s_or_b64 exec, exec, s[46:47]
	v_cmp_gt_i64_e32 vcc, s[26:27], v[20:21]
	s_orn2_b64 s[44:45], vcc, exec
.LBB1437_306:
	s_or_b64 exec, exec, s[38:39]
.LBB1437_307:
	s_and_b64 s[38:39], s[44:45], exec
.LBB1437_308:
	s_or_b64 exec, exec, s[42:43]
	s_waitcnt vmcnt(0) lgkmcnt(1)
	v_cndmask_b32_e64 v17, 0, 1, s[14:15]
	v_cndmask_b32_e64 v16, 0, 1, s[40:41]
	;; [unrolled: 1-line block ×3, first 2 shown]
	v_lshlrev_b16_e32 v17, 8, v17
	v_cndmask_b32_e64 v25, 0, 1, s[12:13]
	v_cndmask_b32_e64 v18, 0, 1, s[38:39]
	v_or_b32_sdwa v16, v16, v17 dst_sel:WORD_1 dst_unused:UNUSED_PAD src0_sel:DWORD src1_sel:DWORD
	v_lshlrev_b16_e32 v17, 8, v34
	v_lshlrev_b16_e32 v18, 8, v18
	v_or_b32_e32 v17, v25, v17
	v_or_b32_e32 v18, 1, v18
	v_and_b32_e32 v17, 0xffff, v17
	v_cndmask_b32_e64 v35, 0, 1, s[4:5]
	v_or_b32_sdwa v16, v18, v16 dst_sel:DWORD dst_unused:UNUSED_PAD src0_sel:WORD_0 src1_sel:DWORD
	v_lshl_or_b32 v17, v35, 16, v17
	s_waitcnt lgkmcnt(0)
	s_barrier
	s_waitcnt lgkmcnt(0)
                                        ; implicit-def: $sgpr12_sgpr13
                                        ; implicit-def: $vgpr20
	s_and_saveexec_b64 s[4:5], s[2:3]
	s_cbranch_execz .LBB1437_321
; %bb.309:
	v_cmp_gt_u32_e32 vcc, s52, v1
	s_mov_b32 s38, 0x3020104
	s_mov_b64 s[10:11], 0
	s_and_saveexec_b64 s[2:3], vcc
	s_cbranch_execz .LBB1437_320
; %bb.310:
	s_andn2_b64 vcc, exec, s[6:7]
	s_cbranch_vccnz .LBB1437_319
; %bb.311:
	v_add_u32_e32 v17, -8, v24
	ds_read_b64 v[18:19], v17
	v_mul_lo_u32 v17, v11, s26
	v_mad_u64_u32 v[22:23], s[6:7], v10, s26, 0
	s_mov_b64 s[10:11], -1
	s_waitcnt lgkmcnt(0)
	v_mul_lo_u32 v20, v19, s26
	v_mul_lo_u32 v21, v18, s27
	v_mad_u64_u32 v[18:19], s[6:7], v18, s26, 0
	v_add3_u32 v19, v19, v21, v20
	v_mul_lo_u32 v20, v10, s27
	v_add3_u32 v23, v23, v20, v17
	v_lshl_add_u64 v[20:21], v[18:19], 1, s[28:29]
	v_lshl_add_u64 v[18:19], v[22:23], 1, s[28:29]
	global_load_ushort v17, v[20:21], off
	global_load_ushort v22, v[18:19], off
	s_waitcnt vmcnt(0)
	v_cmp_eq_u16_e32 vcc, v17, v22
	s_and_saveexec_b64 s[6:7], vcc
	s_cbranch_execz .LBB1437_318
; %bb.312:
	s_add_u32 s10, s26, -1
	v_lshl_add_u64 v[18:19], v[18:19], 0, 2
	v_lshl_add_u64 v[20:21], v[20:21], 0, 2
	s_addc_u32 s11, s27, -1
	s_mov_b64 s[12:13], 0
	s_mov_b64 s[28:29], 0
                                        ; implicit-def: $sgpr14_sgpr15
	s_branch .LBB1437_315
.LBB1437_313:                           ;   in Loop: Header=BB1437_315 Depth=1
	global_load_ushort v17, v[20:21], off
	global_load_ushort v22, v[18:19], off
	s_add_u32 s28, s28, 1
	s_addc_u32 s29, s29, 0
	s_andn2_b64 s[14:15], s[14:15], exec
	v_lshl_add_u64 v[18:19], v[18:19], 0, 2
	v_lshl_add_u64 v[20:21], v[20:21], 0, 2
	s_waitcnt vmcnt(0)
	v_cmp_ne_u16_e32 vcc, v17, v22
	s_and_b64 s[40:41], vcc, exec
	s_or_b64 s[14:15], s[14:15], s[40:41]
.LBB1437_314:                           ;   in Loop: Header=BB1437_315 Depth=1
	s_and_b64 s[40:41], exec, s[14:15]
	s_or_b64 s[12:13], s[40:41], s[12:13]
	v_mov_b64_e32 v[22:23], s[28:29]
	s_andn2_b64 exec, exec, s[12:13]
	s_cbranch_execz .LBB1437_317
.LBB1437_315:                           ; =>This Inner Loop Header: Depth=1
	s_or_b64 s[14:15], s[14:15], exec
	s_cmp_eq_u64 s[10:11], s[28:29]
	s_cbranch_scc0 .LBB1437_313
; %bb.316:                              ;   in Loop: Header=BB1437_315 Depth=1
                                        ; implicit-def: $vgpr18_vgpr19
                                        ; implicit-def: $vgpr20_vgpr21
	s_mov_b64 s[28:29], s[26:27]
	s_branch .LBB1437_314
.LBB1437_317:
	s_or_b64 exec, exec, s[12:13]
	v_cmp_gt_i64_e32 vcc, s[26:27], v[22:23]
	s_orn2_b64 s[10:11], vcc, exec
.LBB1437_318:
	s_or_b64 exec, exec, s[6:7]
.LBB1437_319:
	s_and_b64 s[10:11], s[10:11], exec
.LBB1437_320:
	s_or_b64 exec, exec, s[2:3]
	v_perm_b32 v20, v16, v16, s38
	s_and_b64 s[12:13], s[10:11], exec
	s_or_b64 s[8:9], s[8:9], exec
                                        ; implicit-def: $vgpr16_vgpr17
.LBB1437_321:
	s_or_b64 exec, exec, s[4:5]
.LBB1437_322:
	s_and_saveexec_b64 s[2:3], s[8:9]
	s_cbranch_execz .LBB1437_324
; %bb.323:
	s_waitcnt vmcnt(0) lgkmcnt(0)
	v_lshlrev_b16_e32 v17, 8, v34
	v_and_b32_e32 v18, 0xff, v35
	v_or_b32_sdwa v17, v25, v17 dst_sel:DWORD dst_unused:UNUSED_PAD src0_sel:BYTE_0 src1_sel:DWORD
	v_lshlrev_b32_e32 v18, 16, v18
	s_movk_i32 s4, 0xff
	v_or_b32_sdwa v17, v17, v18 dst_sel:DWORD dst_unused:UNUSED_PAD src0_sel:WORD_0 src1_sel:DWORD
	v_lshrrev_b32_e32 v18, 24, v20
	v_lshlrev_b16_e32 v18, 8, v18
	v_and_b32_sdwa v19, v20, s4 dst_sel:DWORD dst_unused:UNUSED_PAD src0_sel:WORD_1 src1_sel:DWORD
	v_or_b32_sdwa v18, v19, v18 dst_sel:WORD_1 dst_unused:UNUSED_PAD src0_sel:DWORD src1_sel:DWORD
	v_mov_b32_e32 v19, 8
	v_cndmask_b32_e64 v16, 0, 1, s[12:13]
	v_lshrrev_b32_sdwa v19, v19, v20 dst_sel:BYTE_1 dst_unused:UNUSED_PAD src0_sel:DWORD src1_sel:DWORD
	s_nop 0
	v_or_b32_e32 v16, v16, v19
	v_or_b32_sdwa v16, v16, v18 dst_sel:DWORD dst_unused:UNUSED_PAD src0_sel:WORD_0 src1_sel:DWORD
.LBB1437_324:
	s_or_b64 exec, exec, s[2:3]
	s_andn2_b64 vcc, exec, s[0:1]
	s_cbranch_vccnz .LBB1437_326
; %bb.325:
	s_waitcnt vmcnt(0) lgkmcnt(0)
	v_and_b32_e32 v18, 0xffff0000, v16
	v_cmp_gt_u32_e32 vcc, s52, v1
	s_mov_b32 s0, 0x40c0100
	s_nop 0
	v_cndmask_b32_e32 v1, v18, v16, vcc
	v_and_b32_e32 v1, 0xffff00ff, v1
	v_cmp_gt_u32_e32 vcc, s52, v27
	s_nop 1
	v_cndmask_b32_e32 v1, v1, v16, vcc
	v_lshrrev_b32_e32 v18, 24, v1
	v_perm_b32 v1, v18, v1, s0
	v_cmp_gt_u32_e32 vcc, s52, v26
	v_and_b32_e32 v18, 0xffffff00, v17
	s_nop 0
	v_cndmask_b32_e32 v1, v1, v16, vcc
	v_and_b32_e32 v1, 0xffffff, v1
	v_cmp_gt_u32_e32 vcc, s52, v30
	s_nop 1
	v_cndmask_b32_e32 v1, v1, v16, vcc
	v_cmp_gt_u32_e32 vcc, s52, v28
	s_nop 1
	v_cndmask_b32_e32 v18, v18, v17, vcc
	v_and_b32_e32 v18, 0xffff00ff, v18
	v_cndmask_b32_e32 v1, v1, v16, vcc
	v_cmp_gt_u32_e32 vcc, s52, v31
	s_nop 1
	v_cndmask_b32_e32 v18, v18, v17, vcc
	v_lshrrev_b32_e32 v19, 24, v18
	v_cndmask_b32_e32 v1, v1, v16, vcc
	v_perm_b32 v18, v19, v18, s0
	v_cmp_gt_u32_e32 vcc, s52, v29
	s_mov_b32 s0, 0x3020104
	s_nop 0
	v_cndmask_b32_e32 v1, v1, v16, vcc
	v_cndmask_b32_e32 v16, v18, v17, vcc
	v_mov_b32_e32 v17, 8
	v_lshrrev_b32_sdwa v17, v17, v16 dst_sel:BYTE_1 dst_unused:UNUSED_PAD src0_sel:DWORD src1_sel:DWORD
	s_nop 0
	v_or_b32_sdwa v17, v16, v17 dst_sel:DWORD dst_unused:UNUSED_PAD src0_sel:BYTE_0 src1_sel:DWORD
	v_and_b32_e32 v17, 0xffff, v17
	v_bfe_u32 v16, v16, 16, 8
	v_lshl_or_b32 v17, v16, 16, v17
	v_perm_b32 v16, v1, v1, s0
.LBB1437_326:
	s_waitcnt vmcnt(0) lgkmcnt(0)
	v_and_b32_e32 v1, 0xff, v16
	v_bfe_u32 v29, v16, 8, 8
	v_bfe_u32 v31, v16, 16, 8
	v_alignbit_b32 v18, v17, v16, 24
	v_and_b32_e32 v33, 0xff, v18
	v_and_b32_e32 v35, 0xff, v17
	v_add3_u32 v19, v29, v1, v31
	v_bfe_u32 v36, v17, 8, 8
	v_bfe_u32 v18, v17, 16, 8
	v_add3_u32 v19, v19, v33, v35
	v_add3_u32 v39, v19, v36, v18
	v_mbcnt_lo_u32_b32 v18, -1, 0
	v_mbcnt_hi_u32_b32 v37, -1, v18
	v_and_b32_e32 v18, 15, v37
	v_cmp_eq_u32_e64 s[14:15], 0, v18
	v_cmp_lt_u32_e64 s[12:13], 1, v18
	v_cmp_lt_u32_e64 s[10:11], 3, v18
	;; [unrolled: 1-line block ×3, first 2 shown]
	v_and_b32_e32 v18, 16, v37
	v_cmp_eq_u32_e64 s[6:7], 0, v18
	v_or_b32_e32 v18, 63, v0
	v_cmp_lt_u32_e64 s[2:3], 31, v37
	v_lshrrev_b32_e32 v38, 6, v0
	v_cmp_eq_u32_e64 s[4:5], v18, v0
	s_and_b64 vcc, exec, s[16:17]
	s_barrier
	s_cbranch_vccz .LBB1437_357
; %bb.327:
	v_mov_b32_dpp v18, v39 row_shr:1 row_mask:0xf bank_mask:0xf
	v_cndmask_b32_e64 v18, v18, 0, s[14:15]
	v_add_u32_e32 v18, v18, v39
	s_nop 1
	v_mov_b32_dpp v19, v18 row_shr:2 row_mask:0xf bank_mask:0xf
	v_cndmask_b32_e64 v19, 0, v19, s[12:13]
	v_add_u32_e32 v18, v18, v19
	s_nop 1
	;; [unrolled: 4-line block ×4, first 2 shown]
	v_mov_b32_dpp v19, v18 row_bcast:15 row_mask:0xf bank_mask:0xf
	v_cndmask_b32_e64 v19, v19, 0, s[6:7]
	v_add_u32_e32 v18, v18, v19
	s_nop 1
	v_mov_b32_dpp v19, v18 row_bcast:31 row_mask:0xf bank_mask:0xf
	v_cndmask_b32_e64 v19, 0, v19, s[2:3]
	v_add_u32_e32 v18, v18, v19
	s_and_saveexec_b64 s[0:1], s[4:5]
	s_cbranch_execz .LBB1437_329
; %bb.328:
	v_lshlrev_b32_e32 v19, 2, v38
	ds_write_b32 v19, v18
.LBB1437_329:
	s_or_b64 exec, exec, s[0:1]
	v_cmp_gt_u32_e32 vcc, 8, v0
	s_waitcnt lgkmcnt(0)
	s_barrier
	s_and_saveexec_b64 s[0:1], vcc
	s_cbranch_execz .LBB1437_331
; %bb.330:
	v_lshlrev_b32_e32 v19, 2, v0
	ds_read_b32 v20, v19
	v_and_b32_e32 v21, 7, v37
	v_cmp_ne_u32_e32 vcc, 0, v21
	s_waitcnt lgkmcnt(0)
	v_mov_b32_dpp v22, v20 row_shr:1 row_mask:0xf bank_mask:0xf
	v_cndmask_b32_e32 v22, 0, v22, vcc
	v_add_u32_e32 v20, v22, v20
	v_cmp_lt_u32_e32 vcc, 1, v21
	s_nop 0
	v_mov_b32_dpp v22, v20 row_shr:2 row_mask:0xf bank_mask:0xf
	v_cndmask_b32_e32 v22, 0, v22, vcc
	v_add_u32_e32 v20, v20, v22
	v_cmp_lt_u32_e32 vcc, 3, v21
	s_nop 0
	v_mov_b32_dpp v22, v20 row_shr:4 row_mask:0xf bank_mask:0xf
	v_cndmask_b32_e32 v21, 0, v22, vcc
	v_add_u32_e32 v20, v20, v21
	ds_write_b32 v19, v20
.LBB1437_331:
	s_or_b64 exec, exec, s[0:1]
	v_cmp_gt_u32_e32 vcc, 64, v0
	v_cmp_lt_u32_e64 s[0:1], 63, v0
	s_waitcnt lgkmcnt(0)
	s_barrier
	s_waitcnt lgkmcnt(0)
                                        ; implicit-def: $vgpr28
	s_and_saveexec_b64 s[16:17], s[0:1]
	s_cbranch_execz .LBB1437_333
; %bb.332:
	v_lshl_add_u32 v19, v38, 2, -4
	ds_read_b32 v28, v19
	s_waitcnt lgkmcnt(0)
	v_add_u32_e32 v18, v28, v18
.LBB1437_333:
	s_or_b64 exec, exec, s[16:17]
	v_add_u32_e32 v19, -1, v37
	v_and_b32_e32 v20, 64, v37
	v_cmp_lt_i32_e64 s[0:1], v19, v20
	v_cmp_eq_u32_e64 s[16:17], 0, v37
	s_nop 0
	v_cndmask_b32_e64 v19, v19, v37, s[0:1]
	v_lshlrev_b32_e32 v19, 2, v19
	ds_bpermute_b32 v30, v19, v18
	s_and_saveexec_b64 s[0:1], vcc
	s_cbranch_execz .LBB1437_356
; %bb.334:
	v_mov_b32_e32 v27, 0
	ds_read_b32 v18, v27 offset:28
	s_and_saveexec_b64 s[26:27], s[16:17]
	s_cbranch_execz .LBB1437_336
; %bb.335:
	s_add_i32 s28, s33, 64
	s_mov_b32 s29, 0
	s_lshl_b64 s[28:29], s[28:29], 3
	s_add_u32 s28, s30, s28
	v_mov_b32_e32 v19, 1
	s_addc_u32 s29, s31, s29
	s_waitcnt lgkmcnt(0)
	global_store_dwordx2 v27, v[18:19], s[28:29] sc1
.LBB1437_336:
	s_or_b64 exec, exec, s[26:27]
	v_xad_u32 v20, v37, -1, s33
	v_add_u32_e32 v26, 64, v20
	v_lshl_add_u64 v[22:23], v[26:27], 3, s[30:31]
	global_load_dwordx2 v[24:25], v[22:23], off sc1
	s_waitcnt vmcnt(0)
	v_cmp_eq_u16_sdwa s[28:29], v25, v27 src0_sel:BYTE_0 src1_sel:DWORD
	s_and_saveexec_b64 s[26:27], s[28:29]
	s_cbranch_execz .LBB1437_342
; %bb.337:
	s_mov_b32 s38, 1
	s_mov_b64 s[28:29], 0
	v_mov_b32_e32 v19, 0
.LBB1437_338:                           ; =>This Loop Header: Depth=1
                                        ;     Child Loop BB1437_339 Depth 2
	s_max_u32 s39, s38, 1
.LBB1437_339:                           ;   Parent Loop BB1437_338 Depth=1
                                        ; =>  This Inner Loop Header: Depth=2
	s_add_i32 s39, s39, -1
	s_cmp_eq_u32 s39, 0
	s_sleep 1
	s_cbranch_scc0 .LBB1437_339
; %bb.340:                              ;   in Loop: Header=BB1437_338 Depth=1
	global_load_dwordx2 v[24:25], v[22:23], off sc1
	s_cmp_lt_u32 s38, 32
	s_cselect_b64 s[40:41], -1, 0
	s_cmp_lg_u64 s[40:41], 0
	s_addc_u32 s38, s38, 0
	s_waitcnt vmcnt(0)
	v_cmp_ne_u16_sdwa s[40:41], v25, v19 src0_sel:BYTE_0 src1_sel:DWORD
	s_or_b64 s[28:29], s[40:41], s[28:29]
	s_andn2_b64 exec, exec, s[28:29]
	s_cbranch_execnz .LBB1437_338
; %bb.341:
	s_or_b64 exec, exec, s[28:29]
.LBB1437_342:
	s_or_b64 exec, exec, s[26:27]
	v_and_b32_e32 v32, 63, v37
	v_mov_b32_e32 v19, 2
	v_cmp_ne_u32_e32 vcc, 63, v32
	v_cmp_eq_u16_sdwa s[26:27], v25, v19 src0_sel:BYTE_0 src1_sel:DWORD
	v_lshlrev_b64 v[22:23], v37, -1
	v_addc_co_u32_e32 v27, vcc, 0, v37, vcc
	v_and_b32_e32 v21, s27, v23
	v_lshlrev_b32_e32 v34, 2, v27
	v_or_b32_e32 v21, 0x80000000, v21
	ds_bpermute_b32 v27, v34, v24
	v_and_b32_e32 v26, s26, v22
	v_ffbl_b32_e32 v21, v21
	v_add_u32_e32 v21, 32, v21
	v_ffbl_b32_e32 v26, v26
	v_min_u32_e32 v21, v26, v21
	v_cmp_lt_u32_e32 vcc, v32, v21
	v_add_u32_e32 v41, 2, v32
	v_add_u32_e32 v43, 4, v32
	s_waitcnt lgkmcnt(0)
	v_cndmask_b32_e32 v26, 0, v27, vcc
	v_cmp_gt_u32_e32 vcc, 62, v32
	v_add_u32_e32 v24, v26, v24
	v_add_u32_e32 v45, 8, v32
	v_cndmask_b32_e64 v26, 0, 1, vcc
	v_lshlrev_b32_e32 v26, 1, v26
	v_add_lshl_u32 v40, v26, v37, 2
	ds_bpermute_b32 v26, v40, v24
	v_cmp_le_u32_e32 vcc, v41, v21
	v_add_u32_e32 v48, 16, v32
	v_add_u32_e32 v50, 32, v32
	s_waitcnt lgkmcnt(0)
	v_cndmask_b32_e32 v26, 0, v26, vcc
	v_cmp_gt_u32_e32 vcc, 60, v32
	v_add_u32_e32 v24, v24, v26
	s_nop 0
	v_cndmask_b32_e64 v26, 0, 1, vcc
	v_lshlrev_b32_e32 v26, 2, v26
	v_add_lshl_u32 v42, v26, v37, 2
	ds_bpermute_b32 v26, v42, v24
	v_cmp_le_u32_e32 vcc, v43, v21
	s_waitcnt lgkmcnt(0)
	s_nop 0
	v_cndmask_b32_e32 v26, 0, v26, vcc
	v_cmp_gt_u32_e32 vcc, 56, v32
	v_add_u32_e32 v24, v24, v26
	s_nop 0
	v_cndmask_b32_e64 v26, 0, 1, vcc
	v_lshlrev_b32_e32 v26, 3, v26
	v_add_lshl_u32 v44, v26, v37, 2
	ds_bpermute_b32 v26, v44, v24
	v_cmp_le_u32_e32 vcc, v45, v21
	s_waitcnt lgkmcnt(0)
	s_nop 0
	;; [unrolled: 11-line block ×4, first 2 shown]
	v_cndmask_b32_e32 v21, 0, v26, vcc
	v_add_u32_e32 v24, v24, v21
	v_mov_b32_e32 v21, 0
	s_branch .LBB1437_344
.LBB1437_343:                           ;   in Loop: Header=BB1437_344 Depth=1
	s_or_b64 exec, exec, s[26:27]
	v_cmp_eq_u16_sdwa s[26:27], v25, v19 src0_sel:BYTE_0 src1_sel:DWORD
	ds_bpermute_b32 v51, v34, v24
	v_subrev_u32_e32 v20, 64, v20
	v_and_b32_e32 v26, s27, v23
	v_or_b32_e32 v26, 0x80000000, v26
	v_and_b32_e32 v27, s26, v22
	v_ffbl_b32_e32 v26, v26
	v_add_u32_e32 v26, 32, v26
	v_ffbl_b32_e32 v27, v27
	v_min_u32_e32 v26, v27, v26
	v_cmp_lt_u32_e32 vcc, v32, v26
	s_waitcnt lgkmcnt(0)
	s_nop 0
	v_cndmask_b32_e32 v27, 0, v51, vcc
	v_add_u32_e32 v24, v27, v24
	ds_bpermute_b32 v27, v40, v24
	v_cmp_le_u32_e32 vcc, v41, v26
	s_waitcnt lgkmcnt(0)
	s_nop 0
	v_cndmask_b32_e32 v27, 0, v27, vcc
	v_add_u32_e32 v24, v24, v27
	ds_bpermute_b32 v27, v42, v24
	v_cmp_le_u32_e32 vcc, v43, v26
	;; [unrolled: 6-line block ×5, first 2 shown]
	s_waitcnt lgkmcnt(0)
	s_nop 0
	v_cndmask_b32_e32 v26, 0, v27, vcc
	v_add3_u32 v24, v26, v46, v24
.LBB1437_344:                           ; =>This Loop Header: Depth=1
                                        ;     Child Loop BB1437_347 Depth 2
                                        ;       Child Loop BB1437_348 Depth 3
	v_cmp_ne_u16_sdwa s[26:27], v25, v19 src0_sel:BYTE_0 src1_sel:DWORD
	v_mov_b32_e32 v46, v24
	s_nop 0
	v_cndmask_b32_e64 v25, 0, 1, s[26:27]
	;;#ASMSTART
	;;#ASMEND
	s_nop 0
	v_cmp_ne_u32_e32 vcc, 0, v25
	s_cmp_lg_u64 vcc, exec
	s_cbranch_scc1 .LBB1437_351
; %bb.345:                              ;   in Loop: Header=BB1437_344 Depth=1
	v_lshl_add_u64 v[26:27], v[20:21], 3, s[30:31]
	global_load_dwordx2 v[24:25], v[26:27], off sc1
	s_waitcnt vmcnt(0)
	v_cmp_eq_u16_sdwa s[28:29], v25, v21 src0_sel:BYTE_0 src1_sel:DWORD
	s_and_saveexec_b64 s[26:27], s[28:29]
	s_cbranch_execz .LBB1437_343
; %bb.346:                              ;   in Loop: Header=BB1437_344 Depth=1
	s_mov_b32 s38, 1
	s_mov_b64 s[28:29], 0
.LBB1437_347:                           ;   Parent Loop BB1437_344 Depth=1
                                        ; =>  This Loop Header: Depth=2
                                        ;       Child Loop BB1437_348 Depth 3
	s_max_u32 s39, s38, 1
.LBB1437_348:                           ;   Parent Loop BB1437_344 Depth=1
                                        ;     Parent Loop BB1437_347 Depth=2
                                        ; =>    This Inner Loop Header: Depth=3
	s_add_i32 s39, s39, -1
	s_cmp_eq_u32 s39, 0
	s_sleep 1
	s_cbranch_scc0 .LBB1437_348
; %bb.349:                              ;   in Loop: Header=BB1437_347 Depth=2
	global_load_dwordx2 v[24:25], v[26:27], off sc1
	s_cmp_lt_u32 s38, 32
	s_cselect_b64 s[40:41], -1, 0
	s_cmp_lg_u64 s[40:41], 0
	s_addc_u32 s38, s38, 0
	s_waitcnt vmcnt(0)
	v_cmp_ne_u16_sdwa s[40:41], v25, v21 src0_sel:BYTE_0 src1_sel:DWORD
	s_or_b64 s[28:29], s[40:41], s[28:29]
	s_andn2_b64 exec, exec, s[28:29]
	s_cbranch_execnz .LBB1437_347
; %bb.350:                              ;   in Loop: Header=BB1437_344 Depth=1
	s_or_b64 exec, exec, s[28:29]
	s_branch .LBB1437_343
.LBB1437_351:                           ;   in Loop: Header=BB1437_344 Depth=1
                                        ; implicit-def: $vgpr24
                                        ; implicit-def: $vgpr25
	s_cbranch_execz .LBB1437_344
; %bb.352:
	s_and_saveexec_b64 s[26:27], s[16:17]
	s_cbranch_execz .LBB1437_354
; %bb.353:
	s_add_i32 s28, s33, 64
	s_mov_b32 s29, 0
	s_lshl_b64 s[28:29], s[28:29], 3
	s_add_u32 s28, s30, s28
	v_add_u32_e32 v20, v46, v18
	v_mov_b32_e32 v21, 2
	s_addc_u32 s29, s31, s29
	v_mov_b32_e32 v19, 0
	global_store_dwordx2 v19, v[20:21], s[28:29] sc1
	s_movk_i32 s28, 0x7000
	v_add_u32_e64 v19, s28, 0
	ds_write2_b32 v19, v18, v46 offset1:2
.LBB1437_354:
	s_or_b64 exec, exec, s[26:27]
	s_and_b64 exec, exec, s[18:19]
	s_cbranch_execz .LBB1437_356
; %bb.355:
	v_mov_b32_e32 v18, 0
	ds_write_b32 v18, v46 offset:28
.LBB1437_356:
	s_or_b64 exec, exec, s[0:1]
	v_mov_b32_e32 v18, 0
	s_waitcnt lgkmcnt(0)
	s_barrier
	ds_read_b32 v18, v18 offset:28
	v_cndmask_b32_e64 v19, v30, v28, s[16:17]
	v_cndmask_b32_e64 v19, v19, 0, s[18:19]
	s_movk_i32 s0, 0x7000
	s_waitcnt lgkmcnt(0)
	v_add_u32_e32 v34, v18, v19
	v_add_u32_e32 v32, v34, v1
	v_add_u32_e64 v18, s0, 0
	v_add_u32_e32 v30, v32, v29
	s_barrier
	ds_read2_b32 v[18:19], v18 offset1:2
	v_add_u32_e32 v28, v30, v31
	v_add_u32_e32 v26, v28, v33
	v_add_u32_e32 v24, v26, v35
	v_add_u32_e32 v22, v24, v36
	v_lshrrev_b64 v[20:21], 24, v[16:17]
	s_branch .LBB1437_367
.LBB1437_357:
                                        ; implicit-def: $vgpr22
                                        ; implicit-def: $vgpr24
                                        ; implicit-def: $vgpr26
                                        ; implicit-def: $vgpr28
                                        ; implicit-def: $vgpr30
                                        ; implicit-def: $vgpr32
                                        ; implicit-def: $vgpr34
                                        ; implicit-def: $vgpr19
	v_lshrrev_b64 v[20:21], 24, v[16:17]
	s_cbranch_execz .LBB1437_367
; %bb.358:
	s_waitcnt lgkmcnt(0)
	v_mov_b32_dpp v18, v39 row_shr:1 row_mask:0xf bank_mask:0xf
	v_cndmask_b32_e64 v18, v18, 0, s[14:15]
	v_add_u32_e32 v18, v18, v39
	s_nop 1
	v_mov_b32_dpp v19, v18 row_shr:2 row_mask:0xf bank_mask:0xf
	v_cndmask_b32_e64 v19, 0, v19, s[12:13]
	v_add_u32_e32 v18, v18, v19
	s_nop 1
	;; [unrolled: 4-line block ×4, first 2 shown]
	v_mov_b32_dpp v19, v18 row_bcast:15 row_mask:0xf bank_mask:0xf
	v_cndmask_b32_e64 v19, v19, 0, s[6:7]
	v_add_u32_e32 v18, v18, v19
	s_nop 1
	v_mov_b32_dpp v19, v18 row_bcast:31 row_mask:0xf bank_mask:0xf
	v_cndmask_b32_e64 v19, 0, v19, s[2:3]
	v_add_u32_e32 v18, v18, v19
	s_and_saveexec_b64 s[0:1], s[4:5]
	s_cbranch_execz .LBB1437_360
; %bb.359:
	v_lshlrev_b32_e32 v19, 2, v38
	ds_write_b32 v19, v18
.LBB1437_360:
	s_or_b64 exec, exec, s[0:1]
	v_cmp_gt_u32_e32 vcc, 8, v0
	s_waitcnt lgkmcnt(0)
	s_barrier
	s_and_saveexec_b64 s[0:1], vcc
	s_cbranch_execz .LBB1437_362
; %bb.361:
	v_lshlrev_b32_e32 v19, 2, v0
	ds_read_b32 v21, v19
	v_and_b32_e32 v22, 7, v37
	v_cmp_ne_u32_e32 vcc, 0, v22
	s_waitcnt lgkmcnt(0)
	v_mov_b32_dpp v23, v21 row_shr:1 row_mask:0xf bank_mask:0xf
	v_cndmask_b32_e32 v23, 0, v23, vcc
	v_add_u32_e32 v21, v23, v21
	v_cmp_lt_u32_e32 vcc, 1, v22
	s_nop 0
	v_mov_b32_dpp v23, v21 row_shr:2 row_mask:0xf bank_mask:0xf
	v_cndmask_b32_e32 v23, 0, v23, vcc
	v_add_u32_e32 v21, v21, v23
	v_cmp_lt_u32_e32 vcc, 3, v22
	s_nop 0
	v_mov_b32_dpp v23, v21 row_shr:4 row_mask:0xf bank_mask:0xf
	v_cndmask_b32_e32 v22, 0, v23, vcc
	v_add_u32_e32 v21, v21, v22
	ds_write_b32 v19, v21
.LBB1437_362:
	s_or_b64 exec, exec, s[0:1]
	v_cmp_lt_u32_e32 vcc, 63, v0
	v_mov_b32_e32 v19, 0
	v_mov_b32_e32 v21, 0
	s_waitcnt lgkmcnt(0)
	s_barrier
	s_and_saveexec_b64 s[0:1], vcc
	s_cbranch_execz .LBB1437_364
; %bb.363:
	v_lshl_add_u32 v21, v38, 2, -4
	ds_read_b32 v21, v21
.LBB1437_364:
	s_or_b64 exec, exec, s[0:1]
	v_add_u32_e32 v22, -1, v37
	v_and_b32_e32 v23, 64, v37
	v_cmp_lt_i32_e32 vcc, v22, v23
	s_waitcnt lgkmcnt(0)
	v_add_u32_e32 v18, v21, v18
	v_cndmask_b32_e32 v22, v22, v37, vcc
	v_lshlrev_b32_e32 v22, 2, v22
	ds_bpermute_b32 v22, v22, v18
	ds_read_b32 v18, v19 offset:28
	s_and_saveexec_b64 s[0:1], s[18:19]
	s_cbranch_execz .LBB1437_366
; %bb.365:
	v_mov_b32_e32 v23, 0
	v_mov_b32_e32 v19, 2
	s_waitcnt lgkmcnt(0)
	global_store_dwordx2 v23, v[18:19], s[30:31] offset:512 sc1
.LBB1437_366:
	s_or_b64 exec, exec, s[0:1]
	v_cmp_eq_u32_e32 vcc, 0, v37
	v_mov_b32_e32 v19, 0
	s_waitcnt lgkmcnt(0)
	v_cndmask_b32_e32 v21, v22, v21, vcc
	v_cndmask_b32_e64 v34, v21, 0, s[18:19]
	v_add_u32_e32 v32, v34, v1
	v_add_u32_e32 v30, v32, v29
	;; [unrolled: 1-line block ×6, first 2 shown]
	s_barrier
.LBB1437_367:
	s_movk_i32 s0, 0x201
	s_waitcnt lgkmcnt(0)
	v_cmp_gt_u32_e32 vcc, s0, v18
	v_lshrrev_b32_e32 v21, 8, v16
	v_lshrrev_b32_e32 v1, 8, v17
	s_mov_b64 s[0:1], -1
	s_cbranch_vccnz .LBB1437_371
; %bb.368:
	s_and_b64 vcc, exec, s[0:1]
	s_cbranch_vccnz .LBB1437_393
.LBB1437_369:
	s_and_b64 s[0:1], s[18:19], s[24:25]
	s_and_saveexec_b64 s[2:3], s[0:1]
	s_cbranch_execnz .LBB1437_411
.LBB1437_370:
	s_endpgm
.LBB1437_371:
	v_add_u32_e32 v23, v19, v18
	v_cmp_lt_u32_e32 vcc, v34, v23
	s_or_b64 s[2:3], s[36:37], vcc
	s_and_saveexec_b64 s[0:1], s[2:3]
	s_cbranch_execz .LBB1437_374
; %bb.372:
	v_and_b32_e32 v25, 1, v16
	v_cmp_eq_u32_e32 vcc, 1, v25
	s_and_b64 exec, exec, vcc
	s_cbranch_execz .LBB1437_374
; %bb.373:
	s_lshl_b64 s[2:3], s[22:23], 3
	s_add_u32 s2, s34, s2
	s_addc_u32 s3, s35, s3
	v_mov_b32_e32 v35, 0
	v_lshl_add_u64 v[36:37], v[34:35], 3, s[2:3]
	global_store_dwordx2 v[36:37], v[10:11], off
.LBB1437_374:
	s_or_b64 exec, exec, s[0:1]
	v_cmp_lt_u32_e32 vcc, v32, v23
	s_or_b64 s[2:3], s[36:37], vcc
	s_and_saveexec_b64 s[0:1], s[2:3]
	s_cbranch_execz .LBB1437_377
; %bb.375:
	v_and_b32_e32 v25, 1, v21
	v_cmp_eq_u32_e32 vcc, 1, v25
	s_and_b64 exec, exec, vcc
	s_cbranch_execz .LBB1437_377
; %bb.376:
	s_lshl_b64 s[2:3], s[22:23], 3
	s_add_u32 s2, s34, s2
	s_addc_u32 s3, s35, s3
	v_mov_b32_e32 v33, 0
	v_lshl_add_u64 v[36:37], v[32:33], 3, s[2:3]
	global_store_dwordx2 v[36:37], v[12:13], off
.LBB1437_377:
	s_or_b64 exec, exec, s[0:1]
	v_cmp_lt_u32_e32 vcc, v30, v23
	s_or_b64 s[2:3], s[36:37], vcc
	s_and_saveexec_b64 s[0:1], s[2:3]
	s_cbranch_execz .LBB1437_380
; %bb.378:
	v_mov_b32_e32 v25, 1
	v_and_b32_sdwa v25, v25, v16 dst_sel:DWORD dst_unused:UNUSED_PAD src0_sel:DWORD src1_sel:WORD_1
	v_cmp_eq_u32_e32 vcc, 1, v25
	s_and_b64 exec, exec, vcc
	s_cbranch_execz .LBB1437_380
; %bb.379:
	s_lshl_b64 s[2:3], s[22:23], 3
	s_add_u32 s2, s34, s2
	s_addc_u32 s3, s35, s3
	v_mov_b32_e32 v31, 0
	v_lshl_add_u64 v[36:37], v[30:31], 3, s[2:3]
	global_store_dwordx2 v[36:37], v[6:7], off
.LBB1437_380:
	s_or_b64 exec, exec, s[0:1]
	v_cmp_lt_u32_e32 vcc, v28, v23
	s_or_b64 s[2:3], s[36:37], vcc
	s_and_saveexec_b64 s[0:1], s[2:3]
	s_cbranch_execz .LBB1437_383
; %bb.381:
	v_and_b32_e32 v25, 1, v20
	v_cmp_eq_u32_e32 vcc, 1, v25
	s_and_b64 exec, exec, vcc
	s_cbranch_execz .LBB1437_383
; %bb.382:
	s_lshl_b64 s[2:3], s[22:23], 3
	s_add_u32 s2, s34, s2
	s_addc_u32 s3, s35, s3
	v_mov_b32_e32 v29, 0
	v_lshl_add_u64 v[36:37], v[28:29], 3, s[2:3]
	global_store_dwordx2 v[36:37], v[8:9], off
.LBB1437_383:
	s_or_b64 exec, exec, s[0:1]
	v_cmp_lt_u32_e32 vcc, v26, v23
	s_or_b64 s[2:3], s[36:37], vcc
	s_and_saveexec_b64 s[0:1], s[2:3]
	s_cbranch_execz .LBB1437_386
; %bb.384:
	v_and_b32_e32 v25, 1, v17
	v_cmp_eq_u32_e32 vcc, 1, v25
	s_and_b64 exec, exec, vcc
	s_cbranch_execz .LBB1437_386
; %bb.385:
	s_lshl_b64 s[2:3], s[22:23], 3
	s_add_u32 s2, s34, s2
	s_addc_u32 s3, s35, s3
	v_mov_b32_e32 v27, 0
	v_lshl_add_u64 v[36:37], v[26:27], 3, s[2:3]
	global_store_dwordx2 v[36:37], v[2:3], off
.LBB1437_386:
	;; [unrolled: 18-line block ×3, first 2 shown]
	s_or_b64 exec, exec, s[0:1]
	v_cmp_lt_u32_e32 vcc, v22, v23
	s_or_b64 s[2:3], s[36:37], vcc
	s_and_saveexec_b64 s[0:1], s[2:3]
	s_cbranch_execz .LBB1437_392
; %bb.390:
	v_mov_b32_e32 v23, 1
	v_and_b32_sdwa v23, v23, v17 dst_sel:DWORD dst_unused:UNUSED_PAD src0_sel:DWORD src1_sel:WORD_1
	v_cmp_eq_u32_e32 vcc, 1, v23
	s_and_b64 exec, exec, vcc
	s_cbranch_execz .LBB1437_392
; %bb.391:
	s_lshl_b64 s[2:3], s[22:23], 3
	s_add_u32 s2, s34, s2
	s_addc_u32 s3, s35, s3
	v_mov_b32_e32 v23, 0
	v_lshl_add_u64 v[36:37], v[22:23], 3, s[2:3]
	global_store_dwordx2 v[36:37], v[14:15], off
.LBB1437_392:
	s_or_b64 exec, exec, s[0:1]
	s_branch .LBB1437_369
.LBB1437_393:
	v_and_b32_e32 v23, 1, v16
	v_cmp_eq_u32_e32 vcc, 1, v23
	s_and_saveexec_b64 s[0:1], vcc
	s_cbranch_execz .LBB1437_395
; %bb.394:
	v_sub_u32_e32 v23, v34, v19
	v_lshlrev_b32_e32 v23, 3, v23
	ds_write_b64 v23, v[10:11]
.LBB1437_395:
	s_or_b64 exec, exec, s[0:1]
	v_and_b32_e32 v10, 1, v21
	v_cmp_eq_u32_e32 vcc, 1, v10
	s_and_saveexec_b64 s[0:1], vcc
	s_cbranch_execz .LBB1437_397
; %bb.396:
	v_sub_u32_e32 v10, v32, v19
	v_lshlrev_b32_e32 v10, 3, v10
	ds_write_b64 v10, v[12:13]
.LBB1437_397:
	s_or_b64 exec, exec, s[0:1]
	v_mov_b32_e32 v10, 1
	v_and_b32_sdwa v10, v10, v16 dst_sel:DWORD dst_unused:UNUSED_PAD src0_sel:DWORD src1_sel:WORD_1
	v_cmp_eq_u32_e32 vcc, 1, v10
	s_and_saveexec_b64 s[0:1], vcc
	s_cbranch_execz .LBB1437_399
; %bb.398:
	v_sub_u32_e32 v10, v30, v19
	v_lshlrev_b32_e32 v10, 3, v10
	ds_write_b64 v10, v[6:7]
.LBB1437_399:
	s_or_b64 exec, exec, s[0:1]
	v_and_b32_e32 v6, 1, v20
	v_cmp_eq_u32_e32 vcc, 1, v6
	s_and_saveexec_b64 s[0:1], vcc
	s_cbranch_execz .LBB1437_401
; %bb.400:
	v_sub_u32_e32 v6, v28, v19
	v_lshlrev_b32_e32 v6, 3, v6
	ds_write_b64 v6, v[8:9]
.LBB1437_401:
	s_or_b64 exec, exec, s[0:1]
	v_and_b32_e32 v6, 1, v17
	;; [unrolled: 10-line block ×3, first 2 shown]
	v_cmp_eq_u32_e32 vcc, 1, v1
	s_and_saveexec_b64 s[0:1], vcc
	s_cbranch_execz .LBB1437_405
; %bb.404:
	v_sub_u32_e32 v1, v24, v19
	v_lshlrev_b32_e32 v1, 3, v1
	ds_write_b64 v1, v[4:5]
.LBB1437_405:
	s_or_b64 exec, exec, s[0:1]
	v_mov_b32_e32 v1, 1
	v_and_b32_sdwa v1, v1, v17 dst_sel:DWORD dst_unused:UNUSED_PAD src0_sel:DWORD src1_sel:WORD_1
	v_cmp_eq_u32_e32 vcc, 1, v1
	s_and_saveexec_b64 s[0:1], vcc
	s_cbranch_execz .LBB1437_407
; %bb.406:
	v_sub_u32_e32 v1, v22, v19
	v_lshlrev_b32_e32 v1, 3, v1
	ds_write_b64 v1, v[14:15]
.LBB1437_407:
	s_or_b64 exec, exec, s[0:1]
	v_cmp_lt_u32_e32 vcc, v0, v18
	s_waitcnt lgkmcnt(0)
	s_barrier
	s_and_saveexec_b64 s[0:1], vcc
	s_cbranch_execz .LBB1437_410
; %bb.408:
	v_mov_b32_e32 v5, 0
	v_mov_b32_e32 v4, v19
	s_lshl_b64 s[2:3], s[22:23], 3
	v_lshlrev_b64 v[6:7], 3, v[4:5]
	v_lshl_add_u64 v[6:7], s[2:3], 0, v[6:7]
	v_lshlrev_b32_e32 v2, 3, v0
	v_mov_b32_e32 v3, v5
	v_lshl_add_u64 v[4:5], s[34:35], 0, v[6:7]
	v_lshl_add_u64 v[4:5], v[4:5], 0, v[2:3]
	s_mov_b64 s[2:3], 0
	s_mov_b64 s[4:5], 0x1000
.LBB1437_409:                           ; =>This Inner Loop Header: Depth=1
	ds_read_b64 v[6:7], v2
	v_add_u32_e32 v0, 0x200, v0
	v_cmp_ge_u32_e32 vcc, v0, v18
	v_add_u32_e32 v2, 0x1000, v2
	s_or_b64 s[2:3], vcc, s[2:3]
	s_waitcnt lgkmcnt(0)
	global_store_dwordx2 v[4:5], v[6:7], off
	v_lshl_add_u64 v[4:5], v[4:5], 0, s[4:5]
	s_andn2_b64 exec, exec, s[2:3]
	s_cbranch_execnz .LBB1437_409
.LBB1437_410:
	s_or_b64 exec, exec, s[0:1]
	s_and_b64 s[0:1], s[18:19], s[24:25]
	s_and_saveexec_b64 s[2:3], s[0:1]
	s_cbranch_execz .LBB1437_370
.LBB1437_411:
	v_mov_b32_e32 v1, 0
	v_mov_b32_e32 v0, v18
	v_lshl_add_u64 v[2:3], s[22:23], 0, v[0:1]
	v_mov_b32_e32 v0, v19
	v_lshl_add_u64 v[2:3], v[2:3], 0, v[0:1]
	global_store_dwordx2 v1, v[2:3], s[20:21]
	s_endpgm
	.section	.rodata,"a",@progbits
	.p2align	6, 0x0
	.amdhsa_kernel _ZN7rocprim17ROCPRIM_400000_NS6detail17trampoline_kernelINS0_14default_configENS1_25partition_config_selectorILNS1_17partition_subalgoE8ElNS0_10empty_typeEbEEZZNS1_14partition_implILS5_8ELb0ES3_jPlPS6_PKS6_NS0_5tupleIJS9_S6_EEENSD_IJSA_SA_EEENS0_18inequality_wrapperIZN2at6native12_GLOBAL__N_124unique_dim_cuda_templateItEESt5tupleIJNSH_6TensorESM_SM_EERKSM_lbbbEUlllE0_EEPmJS6_EEE10hipError_tPvRmT3_T4_T5_T6_T7_T9_mT8_P12ihipStream_tbDpT10_ENKUlT_T0_E_clISt17integral_constantIbLb1EES1C_EEDaS17_S18_EUlS17_E_NS1_11comp_targetILNS1_3genE5ELNS1_11target_archE942ELNS1_3gpuE9ELNS1_3repE0EEENS1_30default_config_static_selectorELNS0_4arch9wavefront6targetE1EEEvT1_
		.amdhsa_group_segment_fixed_size 28684
		.amdhsa_private_segment_fixed_size 0
		.amdhsa_kernarg_size 136
		.amdhsa_user_sgpr_count 2
		.amdhsa_user_sgpr_dispatch_ptr 0
		.amdhsa_user_sgpr_queue_ptr 0
		.amdhsa_user_sgpr_kernarg_segment_ptr 1
		.amdhsa_user_sgpr_dispatch_id 0
		.amdhsa_user_sgpr_kernarg_preload_length 0
		.amdhsa_user_sgpr_kernarg_preload_offset 0
		.amdhsa_user_sgpr_private_segment_size 0
		.amdhsa_uses_dynamic_stack 0
		.amdhsa_enable_private_segment 0
		.amdhsa_system_sgpr_workgroup_id_x 1
		.amdhsa_system_sgpr_workgroup_id_y 0
		.amdhsa_system_sgpr_workgroup_id_z 0
		.amdhsa_system_sgpr_workgroup_info 0
		.amdhsa_system_vgpr_workitem_id 0
		.amdhsa_next_free_vgpr 52
		.amdhsa_next_free_sgpr 56
		.amdhsa_accum_offset 52
		.amdhsa_reserve_vcc 1
		.amdhsa_float_round_mode_32 0
		.amdhsa_float_round_mode_16_64 0
		.amdhsa_float_denorm_mode_32 3
		.amdhsa_float_denorm_mode_16_64 3
		.amdhsa_dx10_clamp 1
		.amdhsa_ieee_mode 1
		.amdhsa_fp16_overflow 0
		.amdhsa_tg_split 0
		.amdhsa_exception_fp_ieee_invalid_op 0
		.amdhsa_exception_fp_denorm_src 0
		.amdhsa_exception_fp_ieee_div_zero 0
		.amdhsa_exception_fp_ieee_overflow 0
		.amdhsa_exception_fp_ieee_underflow 0
		.amdhsa_exception_fp_ieee_inexact 0
		.amdhsa_exception_int_div_zero 0
	.end_amdhsa_kernel
	.section	.text._ZN7rocprim17ROCPRIM_400000_NS6detail17trampoline_kernelINS0_14default_configENS1_25partition_config_selectorILNS1_17partition_subalgoE8ElNS0_10empty_typeEbEEZZNS1_14partition_implILS5_8ELb0ES3_jPlPS6_PKS6_NS0_5tupleIJS9_S6_EEENSD_IJSA_SA_EEENS0_18inequality_wrapperIZN2at6native12_GLOBAL__N_124unique_dim_cuda_templateItEESt5tupleIJNSH_6TensorESM_SM_EERKSM_lbbbEUlllE0_EEPmJS6_EEE10hipError_tPvRmT3_T4_T5_T6_T7_T9_mT8_P12ihipStream_tbDpT10_ENKUlT_T0_E_clISt17integral_constantIbLb1EES1C_EEDaS17_S18_EUlS17_E_NS1_11comp_targetILNS1_3genE5ELNS1_11target_archE942ELNS1_3gpuE9ELNS1_3repE0EEENS1_30default_config_static_selectorELNS0_4arch9wavefront6targetE1EEEvT1_,"axG",@progbits,_ZN7rocprim17ROCPRIM_400000_NS6detail17trampoline_kernelINS0_14default_configENS1_25partition_config_selectorILNS1_17partition_subalgoE8ElNS0_10empty_typeEbEEZZNS1_14partition_implILS5_8ELb0ES3_jPlPS6_PKS6_NS0_5tupleIJS9_S6_EEENSD_IJSA_SA_EEENS0_18inequality_wrapperIZN2at6native12_GLOBAL__N_124unique_dim_cuda_templateItEESt5tupleIJNSH_6TensorESM_SM_EERKSM_lbbbEUlllE0_EEPmJS6_EEE10hipError_tPvRmT3_T4_T5_T6_T7_T9_mT8_P12ihipStream_tbDpT10_ENKUlT_T0_E_clISt17integral_constantIbLb1EES1C_EEDaS17_S18_EUlS17_E_NS1_11comp_targetILNS1_3genE5ELNS1_11target_archE942ELNS1_3gpuE9ELNS1_3repE0EEENS1_30default_config_static_selectorELNS0_4arch9wavefront6targetE1EEEvT1_,comdat
.Lfunc_end1437:
	.size	_ZN7rocprim17ROCPRIM_400000_NS6detail17trampoline_kernelINS0_14default_configENS1_25partition_config_selectorILNS1_17partition_subalgoE8ElNS0_10empty_typeEbEEZZNS1_14partition_implILS5_8ELb0ES3_jPlPS6_PKS6_NS0_5tupleIJS9_S6_EEENSD_IJSA_SA_EEENS0_18inequality_wrapperIZN2at6native12_GLOBAL__N_124unique_dim_cuda_templateItEESt5tupleIJNSH_6TensorESM_SM_EERKSM_lbbbEUlllE0_EEPmJS6_EEE10hipError_tPvRmT3_T4_T5_T6_T7_T9_mT8_P12ihipStream_tbDpT10_ENKUlT_T0_E_clISt17integral_constantIbLb1EES1C_EEDaS17_S18_EUlS17_E_NS1_11comp_targetILNS1_3genE5ELNS1_11target_archE942ELNS1_3gpuE9ELNS1_3repE0EEENS1_30default_config_static_selectorELNS0_4arch9wavefront6targetE1EEEvT1_, .Lfunc_end1437-_ZN7rocprim17ROCPRIM_400000_NS6detail17trampoline_kernelINS0_14default_configENS1_25partition_config_selectorILNS1_17partition_subalgoE8ElNS0_10empty_typeEbEEZZNS1_14partition_implILS5_8ELb0ES3_jPlPS6_PKS6_NS0_5tupleIJS9_S6_EEENSD_IJSA_SA_EEENS0_18inequality_wrapperIZN2at6native12_GLOBAL__N_124unique_dim_cuda_templateItEESt5tupleIJNSH_6TensorESM_SM_EERKSM_lbbbEUlllE0_EEPmJS6_EEE10hipError_tPvRmT3_T4_T5_T6_T7_T9_mT8_P12ihipStream_tbDpT10_ENKUlT_T0_E_clISt17integral_constantIbLb1EES1C_EEDaS17_S18_EUlS17_E_NS1_11comp_targetILNS1_3genE5ELNS1_11target_archE942ELNS1_3gpuE9ELNS1_3repE0EEENS1_30default_config_static_selectorELNS0_4arch9wavefront6targetE1EEEvT1_
                                        ; -- End function
	.section	.AMDGPU.csdata,"",@progbits
; Kernel info:
; codeLenInByte = 13124
; NumSgprs: 62
; NumVgprs: 52
; NumAgprs: 0
; TotalNumVgprs: 52
; ScratchSize: 0
; MemoryBound: 0
; FloatMode: 240
; IeeeMode: 1
; LDSByteSize: 28684 bytes/workgroup (compile time only)
; SGPRBlocks: 7
; VGPRBlocks: 6
; NumSGPRsForWavesPerEU: 62
; NumVGPRsForWavesPerEU: 52
; AccumOffset: 52
; Occupancy: 4
; WaveLimiterHint : 1
; COMPUTE_PGM_RSRC2:SCRATCH_EN: 0
; COMPUTE_PGM_RSRC2:USER_SGPR: 2
; COMPUTE_PGM_RSRC2:TRAP_HANDLER: 0
; COMPUTE_PGM_RSRC2:TGID_X_EN: 1
; COMPUTE_PGM_RSRC2:TGID_Y_EN: 0
; COMPUTE_PGM_RSRC2:TGID_Z_EN: 0
; COMPUTE_PGM_RSRC2:TIDIG_COMP_CNT: 0
; COMPUTE_PGM_RSRC3_GFX90A:ACCUM_OFFSET: 12
; COMPUTE_PGM_RSRC3_GFX90A:TG_SPLIT: 0
	.section	.text._ZN7rocprim17ROCPRIM_400000_NS6detail17trampoline_kernelINS0_14default_configENS1_25partition_config_selectorILNS1_17partition_subalgoE8ElNS0_10empty_typeEbEEZZNS1_14partition_implILS5_8ELb0ES3_jPlPS6_PKS6_NS0_5tupleIJS9_S6_EEENSD_IJSA_SA_EEENS0_18inequality_wrapperIZN2at6native12_GLOBAL__N_124unique_dim_cuda_templateItEESt5tupleIJNSH_6TensorESM_SM_EERKSM_lbbbEUlllE0_EEPmJS6_EEE10hipError_tPvRmT3_T4_T5_T6_T7_T9_mT8_P12ihipStream_tbDpT10_ENKUlT_T0_E_clISt17integral_constantIbLb1EES1C_EEDaS17_S18_EUlS17_E_NS1_11comp_targetILNS1_3genE4ELNS1_11target_archE910ELNS1_3gpuE8ELNS1_3repE0EEENS1_30default_config_static_selectorELNS0_4arch9wavefront6targetE1EEEvT1_,"axG",@progbits,_ZN7rocprim17ROCPRIM_400000_NS6detail17trampoline_kernelINS0_14default_configENS1_25partition_config_selectorILNS1_17partition_subalgoE8ElNS0_10empty_typeEbEEZZNS1_14partition_implILS5_8ELb0ES3_jPlPS6_PKS6_NS0_5tupleIJS9_S6_EEENSD_IJSA_SA_EEENS0_18inequality_wrapperIZN2at6native12_GLOBAL__N_124unique_dim_cuda_templateItEESt5tupleIJNSH_6TensorESM_SM_EERKSM_lbbbEUlllE0_EEPmJS6_EEE10hipError_tPvRmT3_T4_T5_T6_T7_T9_mT8_P12ihipStream_tbDpT10_ENKUlT_T0_E_clISt17integral_constantIbLb1EES1C_EEDaS17_S18_EUlS17_E_NS1_11comp_targetILNS1_3genE4ELNS1_11target_archE910ELNS1_3gpuE8ELNS1_3repE0EEENS1_30default_config_static_selectorELNS0_4arch9wavefront6targetE1EEEvT1_,comdat
	.globl	_ZN7rocprim17ROCPRIM_400000_NS6detail17trampoline_kernelINS0_14default_configENS1_25partition_config_selectorILNS1_17partition_subalgoE8ElNS0_10empty_typeEbEEZZNS1_14partition_implILS5_8ELb0ES3_jPlPS6_PKS6_NS0_5tupleIJS9_S6_EEENSD_IJSA_SA_EEENS0_18inequality_wrapperIZN2at6native12_GLOBAL__N_124unique_dim_cuda_templateItEESt5tupleIJNSH_6TensorESM_SM_EERKSM_lbbbEUlllE0_EEPmJS6_EEE10hipError_tPvRmT3_T4_T5_T6_T7_T9_mT8_P12ihipStream_tbDpT10_ENKUlT_T0_E_clISt17integral_constantIbLb1EES1C_EEDaS17_S18_EUlS17_E_NS1_11comp_targetILNS1_3genE4ELNS1_11target_archE910ELNS1_3gpuE8ELNS1_3repE0EEENS1_30default_config_static_selectorELNS0_4arch9wavefront6targetE1EEEvT1_ ; -- Begin function _ZN7rocprim17ROCPRIM_400000_NS6detail17trampoline_kernelINS0_14default_configENS1_25partition_config_selectorILNS1_17partition_subalgoE8ElNS0_10empty_typeEbEEZZNS1_14partition_implILS5_8ELb0ES3_jPlPS6_PKS6_NS0_5tupleIJS9_S6_EEENSD_IJSA_SA_EEENS0_18inequality_wrapperIZN2at6native12_GLOBAL__N_124unique_dim_cuda_templateItEESt5tupleIJNSH_6TensorESM_SM_EERKSM_lbbbEUlllE0_EEPmJS6_EEE10hipError_tPvRmT3_T4_T5_T6_T7_T9_mT8_P12ihipStream_tbDpT10_ENKUlT_T0_E_clISt17integral_constantIbLb1EES1C_EEDaS17_S18_EUlS17_E_NS1_11comp_targetILNS1_3genE4ELNS1_11target_archE910ELNS1_3gpuE8ELNS1_3repE0EEENS1_30default_config_static_selectorELNS0_4arch9wavefront6targetE1EEEvT1_
	.p2align	8
	.type	_ZN7rocprim17ROCPRIM_400000_NS6detail17trampoline_kernelINS0_14default_configENS1_25partition_config_selectorILNS1_17partition_subalgoE8ElNS0_10empty_typeEbEEZZNS1_14partition_implILS5_8ELb0ES3_jPlPS6_PKS6_NS0_5tupleIJS9_S6_EEENSD_IJSA_SA_EEENS0_18inequality_wrapperIZN2at6native12_GLOBAL__N_124unique_dim_cuda_templateItEESt5tupleIJNSH_6TensorESM_SM_EERKSM_lbbbEUlllE0_EEPmJS6_EEE10hipError_tPvRmT3_T4_T5_T6_T7_T9_mT8_P12ihipStream_tbDpT10_ENKUlT_T0_E_clISt17integral_constantIbLb1EES1C_EEDaS17_S18_EUlS17_E_NS1_11comp_targetILNS1_3genE4ELNS1_11target_archE910ELNS1_3gpuE8ELNS1_3repE0EEENS1_30default_config_static_selectorELNS0_4arch9wavefront6targetE1EEEvT1_,@function
_ZN7rocprim17ROCPRIM_400000_NS6detail17trampoline_kernelINS0_14default_configENS1_25partition_config_selectorILNS1_17partition_subalgoE8ElNS0_10empty_typeEbEEZZNS1_14partition_implILS5_8ELb0ES3_jPlPS6_PKS6_NS0_5tupleIJS9_S6_EEENSD_IJSA_SA_EEENS0_18inequality_wrapperIZN2at6native12_GLOBAL__N_124unique_dim_cuda_templateItEESt5tupleIJNSH_6TensorESM_SM_EERKSM_lbbbEUlllE0_EEPmJS6_EEE10hipError_tPvRmT3_T4_T5_T6_T7_T9_mT8_P12ihipStream_tbDpT10_ENKUlT_T0_E_clISt17integral_constantIbLb1EES1C_EEDaS17_S18_EUlS17_E_NS1_11comp_targetILNS1_3genE4ELNS1_11target_archE910ELNS1_3gpuE8ELNS1_3repE0EEENS1_30default_config_static_selectorELNS0_4arch9wavefront6targetE1EEEvT1_: ; @_ZN7rocprim17ROCPRIM_400000_NS6detail17trampoline_kernelINS0_14default_configENS1_25partition_config_selectorILNS1_17partition_subalgoE8ElNS0_10empty_typeEbEEZZNS1_14partition_implILS5_8ELb0ES3_jPlPS6_PKS6_NS0_5tupleIJS9_S6_EEENSD_IJSA_SA_EEENS0_18inequality_wrapperIZN2at6native12_GLOBAL__N_124unique_dim_cuda_templateItEESt5tupleIJNSH_6TensorESM_SM_EERKSM_lbbbEUlllE0_EEPmJS6_EEE10hipError_tPvRmT3_T4_T5_T6_T7_T9_mT8_P12ihipStream_tbDpT10_ENKUlT_T0_E_clISt17integral_constantIbLb1EES1C_EEDaS17_S18_EUlS17_E_NS1_11comp_targetILNS1_3genE4ELNS1_11target_archE910ELNS1_3gpuE8ELNS1_3repE0EEENS1_30default_config_static_selectorELNS0_4arch9wavefront6targetE1EEEvT1_
; %bb.0:
	.section	.rodata,"a",@progbits
	.p2align	6, 0x0
	.amdhsa_kernel _ZN7rocprim17ROCPRIM_400000_NS6detail17trampoline_kernelINS0_14default_configENS1_25partition_config_selectorILNS1_17partition_subalgoE8ElNS0_10empty_typeEbEEZZNS1_14partition_implILS5_8ELb0ES3_jPlPS6_PKS6_NS0_5tupleIJS9_S6_EEENSD_IJSA_SA_EEENS0_18inequality_wrapperIZN2at6native12_GLOBAL__N_124unique_dim_cuda_templateItEESt5tupleIJNSH_6TensorESM_SM_EERKSM_lbbbEUlllE0_EEPmJS6_EEE10hipError_tPvRmT3_T4_T5_T6_T7_T9_mT8_P12ihipStream_tbDpT10_ENKUlT_T0_E_clISt17integral_constantIbLb1EES1C_EEDaS17_S18_EUlS17_E_NS1_11comp_targetILNS1_3genE4ELNS1_11target_archE910ELNS1_3gpuE8ELNS1_3repE0EEENS1_30default_config_static_selectorELNS0_4arch9wavefront6targetE1EEEvT1_
		.amdhsa_group_segment_fixed_size 0
		.amdhsa_private_segment_fixed_size 0
		.amdhsa_kernarg_size 136
		.amdhsa_user_sgpr_count 2
		.amdhsa_user_sgpr_dispatch_ptr 0
		.amdhsa_user_sgpr_queue_ptr 0
		.amdhsa_user_sgpr_kernarg_segment_ptr 1
		.amdhsa_user_sgpr_dispatch_id 0
		.amdhsa_user_sgpr_kernarg_preload_length 0
		.amdhsa_user_sgpr_kernarg_preload_offset 0
		.amdhsa_user_sgpr_private_segment_size 0
		.amdhsa_uses_dynamic_stack 0
		.amdhsa_enable_private_segment 0
		.amdhsa_system_sgpr_workgroup_id_x 1
		.amdhsa_system_sgpr_workgroup_id_y 0
		.amdhsa_system_sgpr_workgroup_id_z 0
		.amdhsa_system_sgpr_workgroup_info 0
		.amdhsa_system_vgpr_workitem_id 0
		.amdhsa_next_free_vgpr 1
		.amdhsa_next_free_sgpr 0
		.amdhsa_accum_offset 4
		.amdhsa_reserve_vcc 0
		.amdhsa_float_round_mode_32 0
		.amdhsa_float_round_mode_16_64 0
		.amdhsa_float_denorm_mode_32 3
		.amdhsa_float_denorm_mode_16_64 3
		.amdhsa_dx10_clamp 1
		.amdhsa_ieee_mode 1
		.amdhsa_fp16_overflow 0
		.amdhsa_tg_split 0
		.amdhsa_exception_fp_ieee_invalid_op 0
		.amdhsa_exception_fp_denorm_src 0
		.amdhsa_exception_fp_ieee_div_zero 0
		.amdhsa_exception_fp_ieee_overflow 0
		.amdhsa_exception_fp_ieee_underflow 0
		.amdhsa_exception_fp_ieee_inexact 0
		.amdhsa_exception_int_div_zero 0
	.end_amdhsa_kernel
	.section	.text._ZN7rocprim17ROCPRIM_400000_NS6detail17trampoline_kernelINS0_14default_configENS1_25partition_config_selectorILNS1_17partition_subalgoE8ElNS0_10empty_typeEbEEZZNS1_14partition_implILS5_8ELb0ES3_jPlPS6_PKS6_NS0_5tupleIJS9_S6_EEENSD_IJSA_SA_EEENS0_18inequality_wrapperIZN2at6native12_GLOBAL__N_124unique_dim_cuda_templateItEESt5tupleIJNSH_6TensorESM_SM_EERKSM_lbbbEUlllE0_EEPmJS6_EEE10hipError_tPvRmT3_T4_T5_T6_T7_T9_mT8_P12ihipStream_tbDpT10_ENKUlT_T0_E_clISt17integral_constantIbLb1EES1C_EEDaS17_S18_EUlS17_E_NS1_11comp_targetILNS1_3genE4ELNS1_11target_archE910ELNS1_3gpuE8ELNS1_3repE0EEENS1_30default_config_static_selectorELNS0_4arch9wavefront6targetE1EEEvT1_,"axG",@progbits,_ZN7rocprim17ROCPRIM_400000_NS6detail17trampoline_kernelINS0_14default_configENS1_25partition_config_selectorILNS1_17partition_subalgoE8ElNS0_10empty_typeEbEEZZNS1_14partition_implILS5_8ELb0ES3_jPlPS6_PKS6_NS0_5tupleIJS9_S6_EEENSD_IJSA_SA_EEENS0_18inequality_wrapperIZN2at6native12_GLOBAL__N_124unique_dim_cuda_templateItEESt5tupleIJNSH_6TensorESM_SM_EERKSM_lbbbEUlllE0_EEPmJS6_EEE10hipError_tPvRmT3_T4_T5_T6_T7_T9_mT8_P12ihipStream_tbDpT10_ENKUlT_T0_E_clISt17integral_constantIbLb1EES1C_EEDaS17_S18_EUlS17_E_NS1_11comp_targetILNS1_3genE4ELNS1_11target_archE910ELNS1_3gpuE8ELNS1_3repE0EEENS1_30default_config_static_selectorELNS0_4arch9wavefront6targetE1EEEvT1_,comdat
.Lfunc_end1438:
	.size	_ZN7rocprim17ROCPRIM_400000_NS6detail17trampoline_kernelINS0_14default_configENS1_25partition_config_selectorILNS1_17partition_subalgoE8ElNS0_10empty_typeEbEEZZNS1_14partition_implILS5_8ELb0ES3_jPlPS6_PKS6_NS0_5tupleIJS9_S6_EEENSD_IJSA_SA_EEENS0_18inequality_wrapperIZN2at6native12_GLOBAL__N_124unique_dim_cuda_templateItEESt5tupleIJNSH_6TensorESM_SM_EERKSM_lbbbEUlllE0_EEPmJS6_EEE10hipError_tPvRmT3_T4_T5_T6_T7_T9_mT8_P12ihipStream_tbDpT10_ENKUlT_T0_E_clISt17integral_constantIbLb1EES1C_EEDaS17_S18_EUlS17_E_NS1_11comp_targetILNS1_3genE4ELNS1_11target_archE910ELNS1_3gpuE8ELNS1_3repE0EEENS1_30default_config_static_selectorELNS0_4arch9wavefront6targetE1EEEvT1_, .Lfunc_end1438-_ZN7rocprim17ROCPRIM_400000_NS6detail17trampoline_kernelINS0_14default_configENS1_25partition_config_selectorILNS1_17partition_subalgoE8ElNS0_10empty_typeEbEEZZNS1_14partition_implILS5_8ELb0ES3_jPlPS6_PKS6_NS0_5tupleIJS9_S6_EEENSD_IJSA_SA_EEENS0_18inequality_wrapperIZN2at6native12_GLOBAL__N_124unique_dim_cuda_templateItEESt5tupleIJNSH_6TensorESM_SM_EERKSM_lbbbEUlllE0_EEPmJS6_EEE10hipError_tPvRmT3_T4_T5_T6_T7_T9_mT8_P12ihipStream_tbDpT10_ENKUlT_T0_E_clISt17integral_constantIbLb1EES1C_EEDaS17_S18_EUlS17_E_NS1_11comp_targetILNS1_3genE4ELNS1_11target_archE910ELNS1_3gpuE8ELNS1_3repE0EEENS1_30default_config_static_selectorELNS0_4arch9wavefront6targetE1EEEvT1_
                                        ; -- End function
	.section	.AMDGPU.csdata,"",@progbits
; Kernel info:
; codeLenInByte = 0
; NumSgprs: 6
; NumVgprs: 0
; NumAgprs: 0
; TotalNumVgprs: 0
; ScratchSize: 0
; MemoryBound: 0
; FloatMode: 240
; IeeeMode: 1
; LDSByteSize: 0 bytes/workgroup (compile time only)
; SGPRBlocks: 0
; VGPRBlocks: 0
; NumSGPRsForWavesPerEU: 6
; NumVGPRsForWavesPerEU: 1
; AccumOffset: 4
; Occupancy: 8
; WaveLimiterHint : 0
; COMPUTE_PGM_RSRC2:SCRATCH_EN: 0
; COMPUTE_PGM_RSRC2:USER_SGPR: 2
; COMPUTE_PGM_RSRC2:TRAP_HANDLER: 0
; COMPUTE_PGM_RSRC2:TGID_X_EN: 1
; COMPUTE_PGM_RSRC2:TGID_Y_EN: 0
; COMPUTE_PGM_RSRC2:TGID_Z_EN: 0
; COMPUTE_PGM_RSRC2:TIDIG_COMP_CNT: 0
; COMPUTE_PGM_RSRC3_GFX90A:ACCUM_OFFSET: 0
; COMPUTE_PGM_RSRC3_GFX90A:TG_SPLIT: 0
	.section	.text._ZN7rocprim17ROCPRIM_400000_NS6detail17trampoline_kernelINS0_14default_configENS1_25partition_config_selectorILNS1_17partition_subalgoE8ElNS0_10empty_typeEbEEZZNS1_14partition_implILS5_8ELb0ES3_jPlPS6_PKS6_NS0_5tupleIJS9_S6_EEENSD_IJSA_SA_EEENS0_18inequality_wrapperIZN2at6native12_GLOBAL__N_124unique_dim_cuda_templateItEESt5tupleIJNSH_6TensorESM_SM_EERKSM_lbbbEUlllE0_EEPmJS6_EEE10hipError_tPvRmT3_T4_T5_T6_T7_T9_mT8_P12ihipStream_tbDpT10_ENKUlT_T0_E_clISt17integral_constantIbLb1EES1C_EEDaS17_S18_EUlS17_E_NS1_11comp_targetILNS1_3genE3ELNS1_11target_archE908ELNS1_3gpuE7ELNS1_3repE0EEENS1_30default_config_static_selectorELNS0_4arch9wavefront6targetE1EEEvT1_,"axG",@progbits,_ZN7rocprim17ROCPRIM_400000_NS6detail17trampoline_kernelINS0_14default_configENS1_25partition_config_selectorILNS1_17partition_subalgoE8ElNS0_10empty_typeEbEEZZNS1_14partition_implILS5_8ELb0ES3_jPlPS6_PKS6_NS0_5tupleIJS9_S6_EEENSD_IJSA_SA_EEENS0_18inequality_wrapperIZN2at6native12_GLOBAL__N_124unique_dim_cuda_templateItEESt5tupleIJNSH_6TensorESM_SM_EERKSM_lbbbEUlllE0_EEPmJS6_EEE10hipError_tPvRmT3_T4_T5_T6_T7_T9_mT8_P12ihipStream_tbDpT10_ENKUlT_T0_E_clISt17integral_constantIbLb1EES1C_EEDaS17_S18_EUlS17_E_NS1_11comp_targetILNS1_3genE3ELNS1_11target_archE908ELNS1_3gpuE7ELNS1_3repE0EEENS1_30default_config_static_selectorELNS0_4arch9wavefront6targetE1EEEvT1_,comdat
	.globl	_ZN7rocprim17ROCPRIM_400000_NS6detail17trampoline_kernelINS0_14default_configENS1_25partition_config_selectorILNS1_17partition_subalgoE8ElNS0_10empty_typeEbEEZZNS1_14partition_implILS5_8ELb0ES3_jPlPS6_PKS6_NS0_5tupleIJS9_S6_EEENSD_IJSA_SA_EEENS0_18inequality_wrapperIZN2at6native12_GLOBAL__N_124unique_dim_cuda_templateItEESt5tupleIJNSH_6TensorESM_SM_EERKSM_lbbbEUlllE0_EEPmJS6_EEE10hipError_tPvRmT3_T4_T5_T6_T7_T9_mT8_P12ihipStream_tbDpT10_ENKUlT_T0_E_clISt17integral_constantIbLb1EES1C_EEDaS17_S18_EUlS17_E_NS1_11comp_targetILNS1_3genE3ELNS1_11target_archE908ELNS1_3gpuE7ELNS1_3repE0EEENS1_30default_config_static_selectorELNS0_4arch9wavefront6targetE1EEEvT1_ ; -- Begin function _ZN7rocprim17ROCPRIM_400000_NS6detail17trampoline_kernelINS0_14default_configENS1_25partition_config_selectorILNS1_17partition_subalgoE8ElNS0_10empty_typeEbEEZZNS1_14partition_implILS5_8ELb0ES3_jPlPS6_PKS6_NS0_5tupleIJS9_S6_EEENSD_IJSA_SA_EEENS0_18inequality_wrapperIZN2at6native12_GLOBAL__N_124unique_dim_cuda_templateItEESt5tupleIJNSH_6TensorESM_SM_EERKSM_lbbbEUlllE0_EEPmJS6_EEE10hipError_tPvRmT3_T4_T5_T6_T7_T9_mT8_P12ihipStream_tbDpT10_ENKUlT_T0_E_clISt17integral_constantIbLb1EES1C_EEDaS17_S18_EUlS17_E_NS1_11comp_targetILNS1_3genE3ELNS1_11target_archE908ELNS1_3gpuE7ELNS1_3repE0EEENS1_30default_config_static_selectorELNS0_4arch9wavefront6targetE1EEEvT1_
	.p2align	8
	.type	_ZN7rocprim17ROCPRIM_400000_NS6detail17trampoline_kernelINS0_14default_configENS1_25partition_config_selectorILNS1_17partition_subalgoE8ElNS0_10empty_typeEbEEZZNS1_14partition_implILS5_8ELb0ES3_jPlPS6_PKS6_NS0_5tupleIJS9_S6_EEENSD_IJSA_SA_EEENS0_18inequality_wrapperIZN2at6native12_GLOBAL__N_124unique_dim_cuda_templateItEESt5tupleIJNSH_6TensorESM_SM_EERKSM_lbbbEUlllE0_EEPmJS6_EEE10hipError_tPvRmT3_T4_T5_T6_T7_T9_mT8_P12ihipStream_tbDpT10_ENKUlT_T0_E_clISt17integral_constantIbLb1EES1C_EEDaS17_S18_EUlS17_E_NS1_11comp_targetILNS1_3genE3ELNS1_11target_archE908ELNS1_3gpuE7ELNS1_3repE0EEENS1_30default_config_static_selectorELNS0_4arch9wavefront6targetE1EEEvT1_,@function
_ZN7rocprim17ROCPRIM_400000_NS6detail17trampoline_kernelINS0_14default_configENS1_25partition_config_selectorILNS1_17partition_subalgoE8ElNS0_10empty_typeEbEEZZNS1_14partition_implILS5_8ELb0ES3_jPlPS6_PKS6_NS0_5tupleIJS9_S6_EEENSD_IJSA_SA_EEENS0_18inequality_wrapperIZN2at6native12_GLOBAL__N_124unique_dim_cuda_templateItEESt5tupleIJNSH_6TensorESM_SM_EERKSM_lbbbEUlllE0_EEPmJS6_EEE10hipError_tPvRmT3_T4_T5_T6_T7_T9_mT8_P12ihipStream_tbDpT10_ENKUlT_T0_E_clISt17integral_constantIbLb1EES1C_EEDaS17_S18_EUlS17_E_NS1_11comp_targetILNS1_3genE3ELNS1_11target_archE908ELNS1_3gpuE7ELNS1_3repE0EEENS1_30default_config_static_selectorELNS0_4arch9wavefront6targetE1EEEvT1_: ; @_ZN7rocprim17ROCPRIM_400000_NS6detail17trampoline_kernelINS0_14default_configENS1_25partition_config_selectorILNS1_17partition_subalgoE8ElNS0_10empty_typeEbEEZZNS1_14partition_implILS5_8ELb0ES3_jPlPS6_PKS6_NS0_5tupleIJS9_S6_EEENSD_IJSA_SA_EEENS0_18inequality_wrapperIZN2at6native12_GLOBAL__N_124unique_dim_cuda_templateItEESt5tupleIJNSH_6TensorESM_SM_EERKSM_lbbbEUlllE0_EEPmJS6_EEE10hipError_tPvRmT3_T4_T5_T6_T7_T9_mT8_P12ihipStream_tbDpT10_ENKUlT_T0_E_clISt17integral_constantIbLb1EES1C_EEDaS17_S18_EUlS17_E_NS1_11comp_targetILNS1_3genE3ELNS1_11target_archE908ELNS1_3gpuE7ELNS1_3repE0EEENS1_30default_config_static_selectorELNS0_4arch9wavefront6targetE1EEEvT1_
; %bb.0:
	.section	.rodata,"a",@progbits
	.p2align	6, 0x0
	.amdhsa_kernel _ZN7rocprim17ROCPRIM_400000_NS6detail17trampoline_kernelINS0_14default_configENS1_25partition_config_selectorILNS1_17partition_subalgoE8ElNS0_10empty_typeEbEEZZNS1_14partition_implILS5_8ELb0ES3_jPlPS6_PKS6_NS0_5tupleIJS9_S6_EEENSD_IJSA_SA_EEENS0_18inequality_wrapperIZN2at6native12_GLOBAL__N_124unique_dim_cuda_templateItEESt5tupleIJNSH_6TensorESM_SM_EERKSM_lbbbEUlllE0_EEPmJS6_EEE10hipError_tPvRmT3_T4_T5_T6_T7_T9_mT8_P12ihipStream_tbDpT10_ENKUlT_T0_E_clISt17integral_constantIbLb1EES1C_EEDaS17_S18_EUlS17_E_NS1_11comp_targetILNS1_3genE3ELNS1_11target_archE908ELNS1_3gpuE7ELNS1_3repE0EEENS1_30default_config_static_selectorELNS0_4arch9wavefront6targetE1EEEvT1_
		.amdhsa_group_segment_fixed_size 0
		.amdhsa_private_segment_fixed_size 0
		.amdhsa_kernarg_size 136
		.amdhsa_user_sgpr_count 2
		.amdhsa_user_sgpr_dispatch_ptr 0
		.amdhsa_user_sgpr_queue_ptr 0
		.amdhsa_user_sgpr_kernarg_segment_ptr 1
		.amdhsa_user_sgpr_dispatch_id 0
		.amdhsa_user_sgpr_kernarg_preload_length 0
		.amdhsa_user_sgpr_kernarg_preload_offset 0
		.amdhsa_user_sgpr_private_segment_size 0
		.amdhsa_uses_dynamic_stack 0
		.amdhsa_enable_private_segment 0
		.amdhsa_system_sgpr_workgroup_id_x 1
		.amdhsa_system_sgpr_workgroup_id_y 0
		.amdhsa_system_sgpr_workgroup_id_z 0
		.amdhsa_system_sgpr_workgroup_info 0
		.amdhsa_system_vgpr_workitem_id 0
		.amdhsa_next_free_vgpr 1
		.amdhsa_next_free_sgpr 0
		.amdhsa_accum_offset 4
		.amdhsa_reserve_vcc 0
		.amdhsa_float_round_mode_32 0
		.amdhsa_float_round_mode_16_64 0
		.amdhsa_float_denorm_mode_32 3
		.amdhsa_float_denorm_mode_16_64 3
		.amdhsa_dx10_clamp 1
		.amdhsa_ieee_mode 1
		.amdhsa_fp16_overflow 0
		.amdhsa_tg_split 0
		.amdhsa_exception_fp_ieee_invalid_op 0
		.amdhsa_exception_fp_denorm_src 0
		.amdhsa_exception_fp_ieee_div_zero 0
		.amdhsa_exception_fp_ieee_overflow 0
		.amdhsa_exception_fp_ieee_underflow 0
		.amdhsa_exception_fp_ieee_inexact 0
		.amdhsa_exception_int_div_zero 0
	.end_amdhsa_kernel
	.section	.text._ZN7rocprim17ROCPRIM_400000_NS6detail17trampoline_kernelINS0_14default_configENS1_25partition_config_selectorILNS1_17partition_subalgoE8ElNS0_10empty_typeEbEEZZNS1_14partition_implILS5_8ELb0ES3_jPlPS6_PKS6_NS0_5tupleIJS9_S6_EEENSD_IJSA_SA_EEENS0_18inequality_wrapperIZN2at6native12_GLOBAL__N_124unique_dim_cuda_templateItEESt5tupleIJNSH_6TensorESM_SM_EERKSM_lbbbEUlllE0_EEPmJS6_EEE10hipError_tPvRmT3_T4_T5_T6_T7_T9_mT8_P12ihipStream_tbDpT10_ENKUlT_T0_E_clISt17integral_constantIbLb1EES1C_EEDaS17_S18_EUlS17_E_NS1_11comp_targetILNS1_3genE3ELNS1_11target_archE908ELNS1_3gpuE7ELNS1_3repE0EEENS1_30default_config_static_selectorELNS0_4arch9wavefront6targetE1EEEvT1_,"axG",@progbits,_ZN7rocprim17ROCPRIM_400000_NS6detail17trampoline_kernelINS0_14default_configENS1_25partition_config_selectorILNS1_17partition_subalgoE8ElNS0_10empty_typeEbEEZZNS1_14partition_implILS5_8ELb0ES3_jPlPS6_PKS6_NS0_5tupleIJS9_S6_EEENSD_IJSA_SA_EEENS0_18inequality_wrapperIZN2at6native12_GLOBAL__N_124unique_dim_cuda_templateItEESt5tupleIJNSH_6TensorESM_SM_EERKSM_lbbbEUlllE0_EEPmJS6_EEE10hipError_tPvRmT3_T4_T5_T6_T7_T9_mT8_P12ihipStream_tbDpT10_ENKUlT_T0_E_clISt17integral_constantIbLb1EES1C_EEDaS17_S18_EUlS17_E_NS1_11comp_targetILNS1_3genE3ELNS1_11target_archE908ELNS1_3gpuE7ELNS1_3repE0EEENS1_30default_config_static_selectorELNS0_4arch9wavefront6targetE1EEEvT1_,comdat
.Lfunc_end1439:
	.size	_ZN7rocprim17ROCPRIM_400000_NS6detail17trampoline_kernelINS0_14default_configENS1_25partition_config_selectorILNS1_17partition_subalgoE8ElNS0_10empty_typeEbEEZZNS1_14partition_implILS5_8ELb0ES3_jPlPS6_PKS6_NS0_5tupleIJS9_S6_EEENSD_IJSA_SA_EEENS0_18inequality_wrapperIZN2at6native12_GLOBAL__N_124unique_dim_cuda_templateItEESt5tupleIJNSH_6TensorESM_SM_EERKSM_lbbbEUlllE0_EEPmJS6_EEE10hipError_tPvRmT3_T4_T5_T6_T7_T9_mT8_P12ihipStream_tbDpT10_ENKUlT_T0_E_clISt17integral_constantIbLb1EES1C_EEDaS17_S18_EUlS17_E_NS1_11comp_targetILNS1_3genE3ELNS1_11target_archE908ELNS1_3gpuE7ELNS1_3repE0EEENS1_30default_config_static_selectorELNS0_4arch9wavefront6targetE1EEEvT1_, .Lfunc_end1439-_ZN7rocprim17ROCPRIM_400000_NS6detail17trampoline_kernelINS0_14default_configENS1_25partition_config_selectorILNS1_17partition_subalgoE8ElNS0_10empty_typeEbEEZZNS1_14partition_implILS5_8ELb0ES3_jPlPS6_PKS6_NS0_5tupleIJS9_S6_EEENSD_IJSA_SA_EEENS0_18inequality_wrapperIZN2at6native12_GLOBAL__N_124unique_dim_cuda_templateItEESt5tupleIJNSH_6TensorESM_SM_EERKSM_lbbbEUlllE0_EEPmJS6_EEE10hipError_tPvRmT3_T4_T5_T6_T7_T9_mT8_P12ihipStream_tbDpT10_ENKUlT_T0_E_clISt17integral_constantIbLb1EES1C_EEDaS17_S18_EUlS17_E_NS1_11comp_targetILNS1_3genE3ELNS1_11target_archE908ELNS1_3gpuE7ELNS1_3repE0EEENS1_30default_config_static_selectorELNS0_4arch9wavefront6targetE1EEEvT1_
                                        ; -- End function
	.section	.AMDGPU.csdata,"",@progbits
; Kernel info:
; codeLenInByte = 0
; NumSgprs: 6
; NumVgprs: 0
; NumAgprs: 0
; TotalNumVgprs: 0
; ScratchSize: 0
; MemoryBound: 0
; FloatMode: 240
; IeeeMode: 1
; LDSByteSize: 0 bytes/workgroup (compile time only)
; SGPRBlocks: 0
; VGPRBlocks: 0
; NumSGPRsForWavesPerEU: 6
; NumVGPRsForWavesPerEU: 1
; AccumOffset: 4
; Occupancy: 8
; WaveLimiterHint : 0
; COMPUTE_PGM_RSRC2:SCRATCH_EN: 0
; COMPUTE_PGM_RSRC2:USER_SGPR: 2
; COMPUTE_PGM_RSRC2:TRAP_HANDLER: 0
; COMPUTE_PGM_RSRC2:TGID_X_EN: 1
; COMPUTE_PGM_RSRC2:TGID_Y_EN: 0
; COMPUTE_PGM_RSRC2:TGID_Z_EN: 0
; COMPUTE_PGM_RSRC2:TIDIG_COMP_CNT: 0
; COMPUTE_PGM_RSRC3_GFX90A:ACCUM_OFFSET: 0
; COMPUTE_PGM_RSRC3_GFX90A:TG_SPLIT: 0
	.section	.text._ZN7rocprim17ROCPRIM_400000_NS6detail17trampoline_kernelINS0_14default_configENS1_25partition_config_selectorILNS1_17partition_subalgoE8ElNS0_10empty_typeEbEEZZNS1_14partition_implILS5_8ELb0ES3_jPlPS6_PKS6_NS0_5tupleIJS9_S6_EEENSD_IJSA_SA_EEENS0_18inequality_wrapperIZN2at6native12_GLOBAL__N_124unique_dim_cuda_templateItEESt5tupleIJNSH_6TensorESM_SM_EERKSM_lbbbEUlllE0_EEPmJS6_EEE10hipError_tPvRmT3_T4_T5_T6_T7_T9_mT8_P12ihipStream_tbDpT10_ENKUlT_T0_E_clISt17integral_constantIbLb1EES1C_EEDaS17_S18_EUlS17_E_NS1_11comp_targetILNS1_3genE2ELNS1_11target_archE906ELNS1_3gpuE6ELNS1_3repE0EEENS1_30default_config_static_selectorELNS0_4arch9wavefront6targetE1EEEvT1_,"axG",@progbits,_ZN7rocprim17ROCPRIM_400000_NS6detail17trampoline_kernelINS0_14default_configENS1_25partition_config_selectorILNS1_17partition_subalgoE8ElNS0_10empty_typeEbEEZZNS1_14partition_implILS5_8ELb0ES3_jPlPS6_PKS6_NS0_5tupleIJS9_S6_EEENSD_IJSA_SA_EEENS0_18inequality_wrapperIZN2at6native12_GLOBAL__N_124unique_dim_cuda_templateItEESt5tupleIJNSH_6TensorESM_SM_EERKSM_lbbbEUlllE0_EEPmJS6_EEE10hipError_tPvRmT3_T4_T5_T6_T7_T9_mT8_P12ihipStream_tbDpT10_ENKUlT_T0_E_clISt17integral_constantIbLb1EES1C_EEDaS17_S18_EUlS17_E_NS1_11comp_targetILNS1_3genE2ELNS1_11target_archE906ELNS1_3gpuE6ELNS1_3repE0EEENS1_30default_config_static_selectorELNS0_4arch9wavefront6targetE1EEEvT1_,comdat
	.globl	_ZN7rocprim17ROCPRIM_400000_NS6detail17trampoline_kernelINS0_14default_configENS1_25partition_config_selectorILNS1_17partition_subalgoE8ElNS0_10empty_typeEbEEZZNS1_14partition_implILS5_8ELb0ES3_jPlPS6_PKS6_NS0_5tupleIJS9_S6_EEENSD_IJSA_SA_EEENS0_18inequality_wrapperIZN2at6native12_GLOBAL__N_124unique_dim_cuda_templateItEESt5tupleIJNSH_6TensorESM_SM_EERKSM_lbbbEUlllE0_EEPmJS6_EEE10hipError_tPvRmT3_T4_T5_T6_T7_T9_mT8_P12ihipStream_tbDpT10_ENKUlT_T0_E_clISt17integral_constantIbLb1EES1C_EEDaS17_S18_EUlS17_E_NS1_11comp_targetILNS1_3genE2ELNS1_11target_archE906ELNS1_3gpuE6ELNS1_3repE0EEENS1_30default_config_static_selectorELNS0_4arch9wavefront6targetE1EEEvT1_ ; -- Begin function _ZN7rocprim17ROCPRIM_400000_NS6detail17trampoline_kernelINS0_14default_configENS1_25partition_config_selectorILNS1_17partition_subalgoE8ElNS0_10empty_typeEbEEZZNS1_14partition_implILS5_8ELb0ES3_jPlPS6_PKS6_NS0_5tupleIJS9_S6_EEENSD_IJSA_SA_EEENS0_18inequality_wrapperIZN2at6native12_GLOBAL__N_124unique_dim_cuda_templateItEESt5tupleIJNSH_6TensorESM_SM_EERKSM_lbbbEUlllE0_EEPmJS6_EEE10hipError_tPvRmT3_T4_T5_T6_T7_T9_mT8_P12ihipStream_tbDpT10_ENKUlT_T0_E_clISt17integral_constantIbLb1EES1C_EEDaS17_S18_EUlS17_E_NS1_11comp_targetILNS1_3genE2ELNS1_11target_archE906ELNS1_3gpuE6ELNS1_3repE0EEENS1_30default_config_static_selectorELNS0_4arch9wavefront6targetE1EEEvT1_
	.p2align	8
	.type	_ZN7rocprim17ROCPRIM_400000_NS6detail17trampoline_kernelINS0_14default_configENS1_25partition_config_selectorILNS1_17partition_subalgoE8ElNS0_10empty_typeEbEEZZNS1_14partition_implILS5_8ELb0ES3_jPlPS6_PKS6_NS0_5tupleIJS9_S6_EEENSD_IJSA_SA_EEENS0_18inequality_wrapperIZN2at6native12_GLOBAL__N_124unique_dim_cuda_templateItEESt5tupleIJNSH_6TensorESM_SM_EERKSM_lbbbEUlllE0_EEPmJS6_EEE10hipError_tPvRmT3_T4_T5_T6_T7_T9_mT8_P12ihipStream_tbDpT10_ENKUlT_T0_E_clISt17integral_constantIbLb1EES1C_EEDaS17_S18_EUlS17_E_NS1_11comp_targetILNS1_3genE2ELNS1_11target_archE906ELNS1_3gpuE6ELNS1_3repE0EEENS1_30default_config_static_selectorELNS0_4arch9wavefront6targetE1EEEvT1_,@function
_ZN7rocprim17ROCPRIM_400000_NS6detail17trampoline_kernelINS0_14default_configENS1_25partition_config_selectorILNS1_17partition_subalgoE8ElNS0_10empty_typeEbEEZZNS1_14partition_implILS5_8ELb0ES3_jPlPS6_PKS6_NS0_5tupleIJS9_S6_EEENSD_IJSA_SA_EEENS0_18inequality_wrapperIZN2at6native12_GLOBAL__N_124unique_dim_cuda_templateItEESt5tupleIJNSH_6TensorESM_SM_EERKSM_lbbbEUlllE0_EEPmJS6_EEE10hipError_tPvRmT3_T4_T5_T6_T7_T9_mT8_P12ihipStream_tbDpT10_ENKUlT_T0_E_clISt17integral_constantIbLb1EES1C_EEDaS17_S18_EUlS17_E_NS1_11comp_targetILNS1_3genE2ELNS1_11target_archE906ELNS1_3gpuE6ELNS1_3repE0EEENS1_30default_config_static_selectorELNS0_4arch9wavefront6targetE1EEEvT1_: ; @_ZN7rocprim17ROCPRIM_400000_NS6detail17trampoline_kernelINS0_14default_configENS1_25partition_config_selectorILNS1_17partition_subalgoE8ElNS0_10empty_typeEbEEZZNS1_14partition_implILS5_8ELb0ES3_jPlPS6_PKS6_NS0_5tupleIJS9_S6_EEENSD_IJSA_SA_EEENS0_18inequality_wrapperIZN2at6native12_GLOBAL__N_124unique_dim_cuda_templateItEESt5tupleIJNSH_6TensorESM_SM_EERKSM_lbbbEUlllE0_EEPmJS6_EEE10hipError_tPvRmT3_T4_T5_T6_T7_T9_mT8_P12ihipStream_tbDpT10_ENKUlT_T0_E_clISt17integral_constantIbLb1EES1C_EEDaS17_S18_EUlS17_E_NS1_11comp_targetILNS1_3genE2ELNS1_11target_archE906ELNS1_3gpuE6ELNS1_3repE0EEENS1_30default_config_static_selectorELNS0_4arch9wavefront6targetE1EEEvT1_
; %bb.0:
	.section	.rodata,"a",@progbits
	.p2align	6, 0x0
	.amdhsa_kernel _ZN7rocprim17ROCPRIM_400000_NS6detail17trampoline_kernelINS0_14default_configENS1_25partition_config_selectorILNS1_17partition_subalgoE8ElNS0_10empty_typeEbEEZZNS1_14partition_implILS5_8ELb0ES3_jPlPS6_PKS6_NS0_5tupleIJS9_S6_EEENSD_IJSA_SA_EEENS0_18inequality_wrapperIZN2at6native12_GLOBAL__N_124unique_dim_cuda_templateItEESt5tupleIJNSH_6TensorESM_SM_EERKSM_lbbbEUlllE0_EEPmJS6_EEE10hipError_tPvRmT3_T4_T5_T6_T7_T9_mT8_P12ihipStream_tbDpT10_ENKUlT_T0_E_clISt17integral_constantIbLb1EES1C_EEDaS17_S18_EUlS17_E_NS1_11comp_targetILNS1_3genE2ELNS1_11target_archE906ELNS1_3gpuE6ELNS1_3repE0EEENS1_30default_config_static_selectorELNS0_4arch9wavefront6targetE1EEEvT1_
		.amdhsa_group_segment_fixed_size 0
		.amdhsa_private_segment_fixed_size 0
		.amdhsa_kernarg_size 136
		.amdhsa_user_sgpr_count 2
		.amdhsa_user_sgpr_dispatch_ptr 0
		.amdhsa_user_sgpr_queue_ptr 0
		.amdhsa_user_sgpr_kernarg_segment_ptr 1
		.amdhsa_user_sgpr_dispatch_id 0
		.amdhsa_user_sgpr_kernarg_preload_length 0
		.amdhsa_user_sgpr_kernarg_preload_offset 0
		.amdhsa_user_sgpr_private_segment_size 0
		.amdhsa_uses_dynamic_stack 0
		.amdhsa_enable_private_segment 0
		.amdhsa_system_sgpr_workgroup_id_x 1
		.amdhsa_system_sgpr_workgroup_id_y 0
		.amdhsa_system_sgpr_workgroup_id_z 0
		.amdhsa_system_sgpr_workgroup_info 0
		.amdhsa_system_vgpr_workitem_id 0
		.amdhsa_next_free_vgpr 1
		.amdhsa_next_free_sgpr 0
		.amdhsa_accum_offset 4
		.amdhsa_reserve_vcc 0
		.amdhsa_float_round_mode_32 0
		.amdhsa_float_round_mode_16_64 0
		.amdhsa_float_denorm_mode_32 3
		.amdhsa_float_denorm_mode_16_64 3
		.amdhsa_dx10_clamp 1
		.amdhsa_ieee_mode 1
		.amdhsa_fp16_overflow 0
		.amdhsa_tg_split 0
		.amdhsa_exception_fp_ieee_invalid_op 0
		.amdhsa_exception_fp_denorm_src 0
		.amdhsa_exception_fp_ieee_div_zero 0
		.amdhsa_exception_fp_ieee_overflow 0
		.amdhsa_exception_fp_ieee_underflow 0
		.amdhsa_exception_fp_ieee_inexact 0
		.amdhsa_exception_int_div_zero 0
	.end_amdhsa_kernel
	.section	.text._ZN7rocprim17ROCPRIM_400000_NS6detail17trampoline_kernelINS0_14default_configENS1_25partition_config_selectorILNS1_17partition_subalgoE8ElNS0_10empty_typeEbEEZZNS1_14partition_implILS5_8ELb0ES3_jPlPS6_PKS6_NS0_5tupleIJS9_S6_EEENSD_IJSA_SA_EEENS0_18inequality_wrapperIZN2at6native12_GLOBAL__N_124unique_dim_cuda_templateItEESt5tupleIJNSH_6TensorESM_SM_EERKSM_lbbbEUlllE0_EEPmJS6_EEE10hipError_tPvRmT3_T4_T5_T6_T7_T9_mT8_P12ihipStream_tbDpT10_ENKUlT_T0_E_clISt17integral_constantIbLb1EES1C_EEDaS17_S18_EUlS17_E_NS1_11comp_targetILNS1_3genE2ELNS1_11target_archE906ELNS1_3gpuE6ELNS1_3repE0EEENS1_30default_config_static_selectorELNS0_4arch9wavefront6targetE1EEEvT1_,"axG",@progbits,_ZN7rocprim17ROCPRIM_400000_NS6detail17trampoline_kernelINS0_14default_configENS1_25partition_config_selectorILNS1_17partition_subalgoE8ElNS0_10empty_typeEbEEZZNS1_14partition_implILS5_8ELb0ES3_jPlPS6_PKS6_NS0_5tupleIJS9_S6_EEENSD_IJSA_SA_EEENS0_18inequality_wrapperIZN2at6native12_GLOBAL__N_124unique_dim_cuda_templateItEESt5tupleIJNSH_6TensorESM_SM_EERKSM_lbbbEUlllE0_EEPmJS6_EEE10hipError_tPvRmT3_T4_T5_T6_T7_T9_mT8_P12ihipStream_tbDpT10_ENKUlT_T0_E_clISt17integral_constantIbLb1EES1C_EEDaS17_S18_EUlS17_E_NS1_11comp_targetILNS1_3genE2ELNS1_11target_archE906ELNS1_3gpuE6ELNS1_3repE0EEENS1_30default_config_static_selectorELNS0_4arch9wavefront6targetE1EEEvT1_,comdat
.Lfunc_end1440:
	.size	_ZN7rocprim17ROCPRIM_400000_NS6detail17trampoline_kernelINS0_14default_configENS1_25partition_config_selectorILNS1_17partition_subalgoE8ElNS0_10empty_typeEbEEZZNS1_14partition_implILS5_8ELb0ES3_jPlPS6_PKS6_NS0_5tupleIJS9_S6_EEENSD_IJSA_SA_EEENS0_18inequality_wrapperIZN2at6native12_GLOBAL__N_124unique_dim_cuda_templateItEESt5tupleIJNSH_6TensorESM_SM_EERKSM_lbbbEUlllE0_EEPmJS6_EEE10hipError_tPvRmT3_T4_T5_T6_T7_T9_mT8_P12ihipStream_tbDpT10_ENKUlT_T0_E_clISt17integral_constantIbLb1EES1C_EEDaS17_S18_EUlS17_E_NS1_11comp_targetILNS1_3genE2ELNS1_11target_archE906ELNS1_3gpuE6ELNS1_3repE0EEENS1_30default_config_static_selectorELNS0_4arch9wavefront6targetE1EEEvT1_, .Lfunc_end1440-_ZN7rocprim17ROCPRIM_400000_NS6detail17trampoline_kernelINS0_14default_configENS1_25partition_config_selectorILNS1_17partition_subalgoE8ElNS0_10empty_typeEbEEZZNS1_14partition_implILS5_8ELb0ES3_jPlPS6_PKS6_NS0_5tupleIJS9_S6_EEENSD_IJSA_SA_EEENS0_18inequality_wrapperIZN2at6native12_GLOBAL__N_124unique_dim_cuda_templateItEESt5tupleIJNSH_6TensorESM_SM_EERKSM_lbbbEUlllE0_EEPmJS6_EEE10hipError_tPvRmT3_T4_T5_T6_T7_T9_mT8_P12ihipStream_tbDpT10_ENKUlT_T0_E_clISt17integral_constantIbLb1EES1C_EEDaS17_S18_EUlS17_E_NS1_11comp_targetILNS1_3genE2ELNS1_11target_archE906ELNS1_3gpuE6ELNS1_3repE0EEENS1_30default_config_static_selectorELNS0_4arch9wavefront6targetE1EEEvT1_
                                        ; -- End function
	.section	.AMDGPU.csdata,"",@progbits
; Kernel info:
; codeLenInByte = 0
; NumSgprs: 6
; NumVgprs: 0
; NumAgprs: 0
; TotalNumVgprs: 0
; ScratchSize: 0
; MemoryBound: 0
; FloatMode: 240
; IeeeMode: 1
; LDSByteSize: 0 bytes/workgroup (compile time only)
; SGPRBlocks: 0
; VGPRBlocks: 0
; NumSGPRsForWavesPerEU: 6
; NumVGPRsForWavesPerEU: 1
; AccumOffset: 4
; Occupancy: 8
; WaveLimiterHint : 0
; COMPUTE_PGM_RSRC2:SCRATCH_EN: 0
; COMPUTE_PGM_RSRC2:USER_SGPR: 2
; COMPUTE_PGM_RSRC2:TRAP_HANDLER: 0
; COMPUTE_PGM_RSRC2:TGID_X_EN: 1
; COMPUTE_PGM_RSRC2:TGID_Y_EN: 0
; COMPUTE_PGM_RSRC2:TGID_Z_EN: 0
; COMPUTE_PGM_RSRC2:TIDIG_COMP_CNT: 0
; COMPUTE_PGM_RSRC3_GFX90A:ACCUM_OFFSET: 0
; COMPUTE_PGM_RSRC3_GFX90A:TG_SPLIT: 0
	.section	.text._ZN7rocprim17ROCPRIM_400000_NS6detail17trampoline_kernelINS0_14default_configENS1_25partition_config_selectorILNS1_17partition_subalgoE8ElNS0_10empty_typeEbEEZZNS1_14partition_implILS5_8ELb0ES3_jPlPS6_PKS6_NS0_5tupleIJS9_S6_EEENSD_IJSA_SA_EEENS0_18inequality_wrapperIZN2at6native12_GLOBAL__N_124unique_dim_cuda_templateItEESt5tupleIJNSH_6TensorESM_SM_EERKSM_lbbbEUlllE0_EEPmJS6_EEE10hipError_tPvRmT3_T4_T5_T6_T7_T9_mT8_P12ihipStream_tbDpT10_ENKUlT_T0_E_clISt17integral_constantIbLb1EES1C_EEDaS17_S18_EUlS17_E_NS1_11comp_targetILNS1_3genE10ELNS1_11target_archE1200ELNS1_3gpuE4ELNS1_3repE0EEENS1_30default_config_static_selectorELNS0_4arch9wavefront6targetE1EEEvT1_,"axG",@progbits,_ZN7rocprim17ROCPRIM_400000_NS6detail17trampoline_kernelINS0_14default_configENS1_25partition_config_selectorILNS1_17partition_subalgoE8ElNS0_10empty_typeEbEEZZNS1_14partition_implILS5_8ELb0ES3_jPlPS6_PKS6_NS0_5tupleIJS9_S6_EEENSD_IJSA_SA_EEENS0_18inequality_wrapperIZN2at6native12_GLOBAL__N_124unique_dim_cuda_templateItEESt5tupleIJNSH_6TensorESM_SM_EERKSM_lbbbEUlllE0_EEPmJS6_EEE10hipError_tPvRmT3_T4_T5_T6_T7_T9_mT8_P12ihipStream_tbDpT10_ENKUlT_T0_E_clISt17integral_constantIbLb1EES1C_EEDaS17_S18_EUlS17_E_NS1_11comp_targetILNS1_3genE10ELNS1_11target_archE1200ELNS1_3gpuE4ELNS1_3repE0EEENS1_30default_config_static_selectorELNS0_4arch9wavefront6targetE1EEEvT1_,comdat
	.globl	_ZN7rocprim17ROCPRIM_400000_NS6detail17trampoline_kernelINS0_14default_configENS1_25partition_config_selectorILNS1_17partition_subalgoE8ElNS0_10empty_typeEbEEZZNS1_14partition_implILS5_8ELb0ES3_jPlPS6_PKS6_NS0_5tupleIJS9_S6_EEENSD_IJSA_SA_EEENS0_18inequality_wrapperIZN2at6native12_GLOBAL__N_124unique_dim_cuda_templateItEESt5tupleIJNSH_6TensorESM_SM_EERKSM_lbbbEUlllE0_EEPmJS6_EEE10hipError_tPvRmT3_T4_T5_T6_T7_T9_mT8_P12ihipStream_tbDpT10_ENKUlT_T0_E_clISt17integral_constantIbLb1EES1C_EEDaS17_S18_EUlS17_E_NS1_11comp_targetILNS1_3genE10ELNS1_11target_archE1200ELNS1_3gpuE4ELNS1_3repE0EEENS1_30default_config_static_selectorELNS0_4arch9wavefront6targetE1EEEvT1_ ; -- Begin function _ZN7rocprim17ROCPRIM_400000_NS6detail17trampoline_kernelINS0_14default_configENS1_25partition_config_selectorILNS1_17partition_subalgoE8ElNS0_10empty_typeEbEEZZNS1_14partition_implILS5_8ELb0ES3_jPlPS6_PKS6_NS0_5tupleIJS9_S6_EEENSD_IJSA_SA_EEENS0_18inequality_wrapperIZN2at6native12_GLOBAL__N_124unique_dim_cuda_templateItEESt5tupleIJNSH_6TensorESM_SM_EERKSM_lbbbEUlllE0_EEPmJS6_EEE10hipError_tPvRmT3_T4_T5_T6_T7_T9_mT8_P12ihipStream_tbDpT10_ENKUlT_T0_E_clISt17integral_constantIbLb1EES1C_EEDaS17_S18_EUlS17_E_NS1_11comp_targetILNS1_3genE10ELNS1_11target_archE1200ELNS1_3gpuE4ELNS1_3repE0EEENS1_30default_config_static_selectorELNS0_4arch9wavefront6targetE1EEEvT1_
	.p2align	8
	.type	_ZN7rocprim17ROCPRIM_400000_NS6detail17trampoline_kernelINS0_14default_configENS1_25partition_config_selectorILNS1_17partition_subalgoE8ElNS0_10empty_typeEbEEZZNS1_14partition_implILS5_8ELb0ES3_jPlPS6_PKS6_NS0_5tupleIJS9_S6_EEENSD_IJSA_SA_EEENS0_18inequality_wrapperIZN2at6native12_GLOBAL__N_124unique_dim_cuda_templateItEESt5tupleIJNSH_6TensorESM_SM_EERKSM_lbbbEUlllE0_EEPmJS6_EEE10hipError_tPvRmT3_T4_T5_T6_T7_T9_mT8_P12ihipStream_tbDpT10_ENKUlT_T0_E_clISt17integral_constantIbLb1EES1C_EEDaS17_S18_EUlS17_E_NS1_11comp_targetILNS1_3genE10ELNS1_11target_archE1200ELNS1_3gpuE4ELNS1_3repE0EEENS1_30default_config_static_selectorELNS0_4arch9wavefront6targetE1EEEvT1_,@function
_ZN7rocprim17ROCPRIM_400000_NS6detail17trampoline_kernelINS0_14default_configENS1_25partition_config_selectorILNS1_17partition_subalgoE8ElNS0_10empty_typeEbEEZZNS1_14partition_implILS5_8ELb0ES3_jPlPS6_PKS6_NS0_5tupleIJS9_S6_EEENSD_IJSA_SA_EEENS0_18inequality_wrapperIZN2at6native12_GLOBAL__N_124unique_dim_cuda_templateItEESt5tupleIJNSH_6TensorESM_SM_EERKSM_lbbbEUlllE0_EEPmJS6_EEE10hipError_tPvRmT3_T4_T5_T6_T7_T9_mT8_P12ihipStream_tbDpT10_ENKUlT_T0_E_clISt17integral_constantIbLb1EES1C_EEDaS17_S18_EUlS17_E_NS1_11comp_targetILNS1_3genE10ELNS1_11target_archE1200ELNS1_3gpuE4ELNS1_3repE0EEENS1_30default_config_static_selectorELNS0_4arch9wavefront6targetE1EEEvT1_: ; @_ZN7rocprim17ROCPRIM_400000_NS6detail17trampoline_kernelINS0_14default_configENS1_25partition_config_selectorILNS1_17partition_subalgoE8ElNS0_10empty_typeEbEEZZNS1_14partition_implILS5_8ELb0ES3_jPlPS6_PKS6_NS0_5tupleIJS9_S6_EEENSD_IJSA_SA_EEENS0_18inequality_wrapperIZN2at6native12_GLOBAL__N_124unique_dim_cuda_templateItEESt5tupleIJNSH_6TensorESM_SM_EERKSM_lbbbEUlllE0_EEPmJS6_EEE10hipError_tPvRmT3_T4_T5_T6_T7_T9_mT8_P12ihipStream_tbDpT10_ENKUlT_T0_E_clISt17integral_constantIbLb1EES1C_EEDaS17_S18_EUlS17_E_NS1_11comp_targetILNS1_3genE10ELNS1_11target_archE1200ELNS1_3gpuE4ELNS1_3repE0EEENS1_30default_config_static_selectorELNS0_4arch9wavefront6targetE1EEEvT1_
; %bb.0:
	.section	.rodata,"a",@progbits
	.p2align	6, 0x0
	.amdhsa_kernel _ZN7rocprim17ROCPRIM_400000_NS6detail17trampoline_kernelINS0_14default_configENS1_25partition_config_selectorILNS1_17partition_subalgoE8ElNS0_10empty_typeEbEEZZNS1_14partition_implILS5_8ELb0ES3_jPlPS6_PKS6_NS0_5tupleIJS9_S6_EEENSD_IJSA_SA_EEENS0_18inequality_wrapperIZN2at6native12_GLOBAL__N_124unique_dim_cuda_templateItEESt5tupleIJNSH_6TensorESM_SM_EERKSM_lbbbEUlllE0_EEPmJS6_EEE10hipError_tPvRmT3_T4_T5_T6_T7_T9_mT8_P12ihipStream_tbDpT10_ENKUlT_T0_E_clISt17integral_constantIbLb1EES1C_EEDaS17_S18_EUlS17_E_NS1_11comp_targetILNS1_3genE10ELNS1_11target_archE1200ELNS1_3gpuE4ELNS1_3repE0EEENS1_30default_config_static_selectorELNS0_4arch9wavefront6targetE1EEEvT1_
		.amdhsa_group_segment_fixed_size 0
		.amdhsa_private_segment_fixed_size 0
		.amdhsa_kernarg_size 136
		.amdhsa_user_sgpr_count 2
		.amdhsa_user_sgpr_dispatch_ptr 0
		.amdhsa_user_sgpr_queue_ptr 0
		.amdhsa_user_sgpr_kernarg_segment_ptr 1
		.amdhsa_user_sgpr_dispatch_id 0
		.amdhsa_user_sgpr_kernarg_preload_length 0
		.amdhsa_user_sgpr_kernarg_preload_offset 0
		.amdhsa_user_sgpr_private_segment_size 0
		.amdhsa_uses_dynamic_stack 0
		.amdhsa_enable_private_segment 0
		.amdhsa_system_sgpr_workgroup_id_x 1
		.amdhsa_system_sgpr_workgroup_id_y 0
		.amdhsa_system_sgpr_workgroup_id_z 0
		.amdhsa_system_sgpr_workgroup_info 0
		.amdhsa_system_vgpr_workitem_id 0
		.amdhsa_next_free_vgpr 1
		.amdhsa_next_free_sgpr 0
		.amdhsa_accum_offset 4
		.amdhsa_reserve_vcc 0
		.amdhsa_float_round_mode_32 0
		.amdhsa_float_round_mode_16_64 0
		.amdhsa_float_denorm_mode_32 3
		.amdhsa_float_denorm_mode_16_64 3
		.amdhsa_dx10_clamp 1
		.amdhsa_ieee_mode 1
		.amdhsa_fp16_overflow 0
		.amdhsa_tg_split 0
		.amdhsa_exception_fp_ieee_invalid_op 0
		.amdhsa_exception_fp_denorm_src 0
		.amdhsa_exception_fp_ieee_div_zero 0
		.amdhsa_exception_fp_ieee_overflow 0
		.amdhsa_exception_fp_ieee_underflow 0
		.amdhsa_exception_fp_ieee_inexact 0
		.amdhsa_exception_int_div_zero 0
	.end_amdhsa_kernel
	.section	.text._ZN7rocprim17ROCPRIM_400000_NS6detail17trampoline_kernelINS0_14default_configENS1_25partition_config_selectorILNS1_17partition_subalgoE8ElNS0_10empty_typeEbEEZZNS1_14partition_implILS5_8ELb0ES3_jPlPS6_PKS6_NS0_5tupleIJS9_S6_EEENSD_IJSA_SA_EEENS0_18inequality_wrapperIZN2at6native12_GLOBAL__N_124unique_dim_cuda_templateItEESt5tupleIJNSH_6TensorESM_SM_EERKSM_lbbbEUlllE0_EEPmJS6_EEE10hipError_tPvRmT3_T4_T5_T6_T7_T9_mT8_P12ihipStream_tbDpT10_ENKUlT_T0_E_clISt17integral_constantIbLb1EES1C_EEDaS17_S18_EUlS17_E_NS1_11comp_targetILNS1_3genE10ELNS1_11target_archE1200ELNS1_3gpuE4ELNS1_3repE0EEENS1_30default_config_static_selectorELNS0_4arch9wavefront6targetE1EEEvT1_,"axG",@progbits,_ZN7rocprim17ROCPRIM_400000_NS6detail17trampoline_kernelINS0_14default_configENS1_25partition_config_selectorILNS1_17partition_subalgoE8ElNS0_10empty_typeEbEEZZNS1_14partition_implILS5_8ELb0ES3_jPlPS6_PKS6_NS0_5tupleIJS9_S6_EEENSD_IJSA_SA_EEENS0_18inequality_wrapperIZN2at6native12_GLOBAL__N_124unique_dim_cuda_templateItEESt5tupleIJNSH_6TensorESM_SM_EERKSM_lbbbEUlllE0_EEPmJS6_EEE10hipError_tPvRmT3_T4_T5_T6_T7_T9_mT8_P12ihipStream_tbDpT10_ENKUlT_T0_E_clISt17integral_constantIbLb1EES1C_EEDaS17_S18_EUlS17_E_NS1_11comp_targetILNS1_3genE10ELNS1_11target_archE1200ELNS1_3gpuE4ELNS1_3repE0EEENS1_30default_config_static_selectorELNS0_4arch9wavefront6targetE1EEEvT1_,comdat
.Lfunc_end1441:
	.size	_ZN7rocprim17ROCPRIM_400000_NS6detail17trampoline_kernelINS0_14default_configENS1_25partition_config_selectorILNS1_17partition_subalgoE8ElNS0_10empty_typeEbEEZZNS1_14partition_implILS5_8ELb0ES3_jPlPS6_PKS6_NS0_5tupleIJS9_S6_EEENSD_IJSA_SA_EEENS0_18inequality_wrapperIZN2at6native12_GLOBAL__N_124unique_dim_cuda_templateItEESt5tupleIJNSH_6TensorESM_SM_EERKSM_lbbbEUlllE0_EEPmJS6_EEE10hipError_tPvRmT3_T4_T5_T6_T7_T9_mT8_P12ihipStream_tbDpT10_ENKUlT_T0_E_clISt17integral_constantIbLb1EES1C_EEDaS17_S18_EUlS17_E_NS1_11comp_targetILNS1_3genE10ELNS1_11target_archE1200ELNS1_3gpuE4ELNS1_3repE0EEENS1_30default_config_static_selectorELNS0_4arch9wavefront6targetE1EEEvT1_, .Lfunc_end1441-_ZN7rocprim17ROCPRIM_400000_NS6detail17trampoline_kernelINS0_14default_configENS1_25partition_config_selectorILNS1_17partition_subalgoE8ElNS0_10empty_typeEbEEZZNS1_14partition_implILS5_8ELb0ES3_jPlPS6_PKS6_NS0_5tupleIJS9_S6_EEENSD_IJSA_SA_EEENS0_18inequality_wrapperIZN2at6native12_GLOBAL__N_124unique_dim_cuda_templateItEESt5tupleIJNSH_6TensorESM_SM_EERKSM_lbbbEUlllE0_EEPmJS6_EEE10hipError_tPvRmT3_T4_T5_T6_T7_T9_mT8_P12ihipStream_tbDpT10_ENKUlT_T0_E_clISt17integral_constantIbLb1EES1C_EEDaS17_S18_EUlS17_E_NS1_11comp_targetILNS1_3genE10ELNS1_11target_archE1200ELNS1_3gpuE4ELNS1_3repE0EEENS1_30default_config_static_selectorELNS0_4arch9wavefront6targetE1EEEvT1_
                                        ; -- End function
	.section	.AMDGPU.csdata,"",@progbits
; Kernel info:
; codeLenInByte = 0
; NumSgprs: 6
; NumVgprs: 0
; NumAgprs: 0
; TotalNumVgprs: 0
; ScratchSize: 0
; MemoryBound: 0
; FloatMode: 240
; IeeeMode: 1
; LDSByteSize: 0 bytes/workgroup (compile time only)
; SGPRBlocks: 0
; VGPRBlocks: 0
; NumSGPRsForWavesPerEU: 6
; NumVGPRsForWavesPerEU: 1
; AccumOffset: 4
; Occupancy: 8
; WaveLimiterHint : 0
; COMPUTE_PGM_RSRC2:SCRATCH_EN: 0
; COMPUTE_PGM_RSRC2:USER_SGPR: 2
; COMPUTE_PGM_RSRC2:TRAP_HANDLER: 0
; COMPUTE_PGM_RSRC2:TGID_X_EN: 1
; COMPUTE_PGM_RSRC2:TGID_Y_EN: 0
; COMPUTE_PGM_RSRC2:TGID_Z_EN: 0
; COMPUTE_PGM_RSRC2:TIDIG_COMP_CNT: 0
; COMPUTE_PGM_RSRC3_GFX90A:ACCUM_OFFSET: 0
; COMPUTE_PGM_RSRC3_GFX90A:TG_SPLIT: 0
	.section	.text._ZN7rocprim17ROCPRIM_400000_NS6detail17trampoline_kernelINS0_14default_configENS1_25partition_config_selectorILNS1_17partition_subalgoE8ElNS0_10empty_typeEbEEZZNS1_14partition_implILS5_8ELb0ES3_jPlPS6_PKS6_NS0_5tupleIJS9_S6_EEENSD_IJSA_SA_EEENS0_18inequality_wrapperIZN2at6native12_GLOBAL__N_124unique_dim_cuda_templateItEESt5tupleIJNSH_6TensorESM_SM_EERKSM_lbbbEUlllE0_EEPmJS6_EEE10hipError_tPvRmT3_T4_T5_T6_T7_T9_mT8_P12ihipStream_tbDpT10_ENKUlT_T0_E_clISt17integral_constantIbLb1EES1C_EEDaS17_S18_EUlS17_E_NS1_11comp_targetILNS1_3genE9ELNS1_11target_archE1100ELNS1_3gpuE3ELNS1_3repE0EEENS1_30default_config_static_selectorELNS0_4arch9wavefront6targetE1EEEvT1_,"axG",@progbits,_ZN7rocprim17ROCPRIM_400000_NS6detail17trampoline_kernelINS0_14default_configENS1_25partition_config_selectorILNS1_17partition_subalgoE8ElNS0_10empty_typeEbEEZZNS1_14partition_implILS5_8ELb0ES3_jPlPS6_PKS6_NS0_5tupleIJS9_S6_EEENSD_IJSA_SA_EEENS0_18inequality_wrapperIZN2at6native12_GLOBAL__N_124unique_dim_cuda_templateItEESt5tupleIJNSH_6TensorESM_SM_EERKSM_lbbbEUlllE0_EEPmJS6_EEE10hipError_tPvRmT3_T4_T5_T6_T7_T9_mT8_P12ihipStream_tbDpT10_ENKUlT_T0_E_clISt17integral_constantIbLb1EES1C_EEDaS17_S18_EUlS17_E_NS1_11comp_targetILNS1_3genE9ELNS1_11target_archE1100ELNS1_3gpuE3ELNS1_3repE0EEENS1_30default_config_static_selectorELNS0_4arch9wavefront6targetE1EEEvT1_,comdat
	.globl	_ZN7rocprim17ROCPRIM_400000_NS6detail17trampoline_kernelINS0_14default_configENS1_25partition_config_selectorILNS1_17partition_subalgoE8ElNS0_10empty_typeEbEEZZNS1_14partition_implILS5_8ELb0ES3_jPlPS6_PKS6_NS0_5tupleIJS9_S6_EEENSD_IJSA_SA_EEENS0_18inequality_wrapperIZN2at6native12_GLOBAL__N_124unique_dim_cuda_templateItEESt5tupleIJNSH_6TensorESM_SM_EERKSM_lbbbEUlllE0_EEPmJS6_EEE10hipError_tPvRmT3_T4_T5_T6_T7_T9_mT8_P12ihipStream_tbDpT10_ENKUlT_T0_E_clISt17integral_constantIbLb1EES1C_EEDaS17_S18_EUlS17_E_NS1_11comp_targetILNS1_3genE9ELNS1_11target_archE1100ELNS1_3gpuE3ELNS1_3repE0EEENS1_30default_config_static_selectorELNS0_4arch9wavefront6targetE1EEEvT1_ ; -- Begin function _ZN7rocprim17ROCPRIM_400000_NS6detail17trampoline_kernelINS0_14default_configENS1_25partition_config_selectorILNS1_17partition_subalgoE8ElNS0_10empty_typeEbEEZZNS1_14partition_implILS5_8ELb0ES3_jPlPS6_PKS6_NS0_5tupleIJS9_S6_EEENSD_IJSA_SA_EEENS0_18inequality_wrapperIZN2at6native12_GLOBAL__N_124unique_dim_cuda_templateItEESt5tupleIJNSH_6TensorESM_SM_EERKSM_lbbbEUlllE0_EEPmJS6_EEE10hipError_tPvRmT3_T4_T5_T6_T7_T9_mT8_P12ihipStream_tbDpT10_ENKUlT_T0_E_clISt17integral_constantIbLb1EES1C_EEDaS17_S18_EUlS17_E_NS1_11comp_targetILNS1_3genE9ELNS1_11target_archE1100ELNS1_3gpuE3ELNS1_3repE0EEENS1_30default_config_static_selectorELNS0_4arch9wavefront6targetE1EEEvT1_
	.p2align	8
	.type	_ZN7rocprim17ROCPRIM_400000_NS6detail17trampoline_kernelINS0_14default_configENS1_25partition_config_selectorILNS1_17partition_subalgoE8ElNS0_10empty_typeEbEEZZNS1_14partition_implILS5_8ELb0ES3_jPlPS6_PKS6_NS0_5tupleIJS9_S6_EEENSD_IJSA_SA_EEENS0_18inequality_wrapperIZN2at6native12_GLOBAL__N_124unique_dim_cuda_templateItEESt5tupleIJNSH_6TensorESM_SM_EERKSM_lbbbEUlllE0_EEPmJS6_EEE10hipError_tPvRmT3_T4_T5_T6_T7_T9_mT8_P12ihipStream_tbDpT10_ENKUlT_T0_E_clISt17integral_constantIbLb1EES1C_EEDaS17_S18_EUlS17_E_NS1_11comp_targetILNS1_3genE9ELNS1_11target_archE1100ELNS1_3gpuE3ELNS1_3repE0EEENS1_30default_config_static_selectorELNS0_4arch9wavefront6targetE1EEEvT1_,@function
_ZN7rocprim17ROCPRIM_400000_NS6detail17trampoline_kernelINS0_14default_configENS1_25partition_config_selectorILNS1_17partition_subalgoE8ElNS0_10empty_typeEbEEZZNS1_14partition_implILS5_8ELb0ES3_jPlPS6_PKS6_NS0_5tupleIJS9_S6_EEENSD_IJSA_SA_EEENS0_18inequality_wrapperIZN2at6native12_GLOBAL__N_124unique_dim_cuda_templateItEESt5tupleIJNSH_6TensorESM_SM_EERKSM_lbbbEUlllE0_EEPmJS6_EEE10hipError_tPvRmT3_T4_T5_T6_T7_T9_mT8_P12ihipStream_tbDpT10_ENKUlT_T0_E_clISt17integral_constantIbLb1EES1C_EEDaS17_S18_EUlS17_E_NS1_11comp_targetILNS1_3genE9ELNS1_11target_archE1100ELNS1_3gpuE3ELNS1_3repE0EEENS1_30default_config_static_selectorELNS0_4arch9wavefront6targetE1EEEvT1_: ; @_ZN7rocprim17ROCPRIM_400000_NS6detail17trampoline_kernelINS0_14default_configENS1_25partition_config_selectorILNS1_17partition_subalgoE8ElNS0_10empty_typeEbEEZZNS1_14partition_implILS5_8ELb0ES3_jPlPS6_PKS6_NS0_5tupleIJS9_S6_EEENSD_IJSA_SA_EEENS0_18inequality_wrapperIZN2at6native12_GLOBAL__N_124unique_dim_cuda_templateItEESt5tupleIJNSH_6TensorESM_SM_EERKSM_lbbbEUlllE0_EEPmJS6_EEE10hipError_tPvRmT3_T4_T5_T6_T7_T9_mT8_P12ihipStream_tbDpT10_ENKUlT_T0_E_clISt17integral_constantIbLb1EES1C_EEDaS17_S18_EUlS17_E_NS1_11comp_targetILNS1_3genE9ELNS1_11target_archE1100ELNS1_3gpuE3ELNS1_3repE0EEENS1_30default_config_static_selectorELNS0_4arch9wavefront6targetE1EEEvT1_
; %bb.0:
	.section	.rodata,"a",@progbits
	.p2align	6, 0x0
	.amdhsa_kernel _ZN7rocprim17ROCPRIM_400000_NS6detail17trampoline_kernelINS0_14default_configENS1_25partition_config_selectorILNS1_17partition_subalgoE8ElNS0_10empty_typeEbEEZZNS1_14partition_implILS5_8ELb0ES3_jPlPS6_PKS6_NS0_5tupleIJS9_S6_EEENSD_IJSA_SA_EEENS0_18inequality_wrapperIZN2at6native12_GLOBAL__N_124unique_dim_cuda_templateItEESt5tupleIJNSH_6TensorESM_SM_EERKSM_lbbbEUlllE0_EEPmJS6_EEE10hipError_tPvRmT3_T4_T5_T6_T7_T9_mT8_P12ihipStream_tbDpT10_ENKUlT_T0_E_clISt17integral_constantIbLb1EES1C_EEDaS17_S18_EUlS17_E_NS1_11comp_targetILNS1_3genE9ELNS1_11target_archE1100ELNS1_3gpuE3ELNS1_3repE0EEENS1_30default_config_static_selectorELNS0_4arch9wavefront6targetE1EEEvT1_
		.amdhsa_group_segment_fixed_size 0
		.amdhsa_private_segment_fixed_size 0
		.amdhsa_kernarg_size 136
		.amdhsa_user_sgpr_count 2
		.amdhsa_user_sgpr_dispatch_ptr 0
		.amdhsa_user_sgpr_queue_ptr 0
		.amdhsa_user_sgpr_kernarg_segment_ptr 1
		.amdhsa_user_sgpr_dispatch_id 0
		.amdhsa_user_sgpr_kernarg_preload_length 0
		.amdhsa_user_sgpr_kernarg_preload_offset 0
		.amdhsa_user_sgpr_private_segment_size 0
		.amdhsa_uses_dynamic_stack 0
		.amdhsa_enable_private_segment 0
		.amdhsa_system_sgpr_workgroup_id_x 1
		.amdhsa_system_sgpr_workgroup_id_y 0
		.amdhsa_system_sgpr_workgroup_id_z 0
		.amdhsa_system_sgpr_workgroup_info 0
		.amdhsa_system_vgpr_workitem_id 0
		.amdhsa_next_free_vgpr 1
		.amdhsa_next_free_sgpr 0
		.amdhsa_accum_offset 4
		.amdhsa_reserve_vcc 0
		.amdhsa_float_round_mode_32 0
		.amdhsa_float_round_mode_16_64 0
		.amdhsa_float_denorm_mode_32 3
		.amdhsa_float_denorm_mode_16_64 3
		.amdhsa_dx10_clamp 1
		.amdhsa_ieee_mode 1
		.amdhsa_fp16_overflow 0
		.amdhsa_tg_split 0
		.amdhsa_exception_fp_ieee_invalid_op 0
		.amdhsa_exception_fp_denorm_src 0
		.amdhsa_exception_fp_ieee_div_zero 0
		.amdhsa_exception_fp_ieee_overflow 0
		.amdhsa_exception_fp_ieee_underflow 0
		.amdhsa_exception_fp_ieee_inexact 0
		.amdhsa_exception_int_div_zero 0
	.end_amdhsa_kernel
	.section	.text._ZN7rocprim17ROCPRIM_400000_NS6detail17trampoline_kernelINS0_14default_configENS1_25partition_config_selectorILNS1_17partition_subalgoE8ElNS0_10empty_typeEbEEZZNS1_14partition_implILS5_8ELb0ES3_jPlPS6_PKS6_NS0_5tupleIJS9_S6_EEENSD_IJSA_SA_EEENS0_18inequality_wrapperIZN2at6native12_GLOBAL__N_124unique_dim_cuda_templateItEESt5tupleIJNSH_6TensorESM_SM_EERKSM_lbbbEUlllE0_EEPmJS6_EEE10hipError_tPvRmT3_T4_T5_T6_T7_T9_mT8_P12ihipStream_tbDpT10_ENKUlT_T0_E_clISt17integral_constantIbLb1EES1C_EEDaS17_S18_EUlS17_E_NS1_11comp_targetILNS1_3genE9ELNS1_11target_archE1100ELNS1_3gpuE3ELNS1_3repE0EEENS1_30default_config_static_selectorELNS0_4arch9wavefront6targetE1EEEvT1_,"axG",@progbits,_ZN7rocprim17ROCPRIM_400000_NS6detail17trampoline_kernelINS0_14default_configENS1_25partition_config_selectorILNS1_17partition_subalgoE8ElNS0_10empty_typeEbEEZZNS1_14partition_implILS5_8ELb0ES3_jPlPS6_PKS6_NS0_5tupleIJS9_S6_EEENSD_IJSA_SA_EEENS0_18inequality_wrapperIZN2at6native12_GLOBAL__N_124unique_dim_cuda_templateItEESt5tupleIJNSH_6TensorESM_SM_EERKSM_lbbbEUlllE0_EEPmJS6_EEE10hipError_tPvRmT3_T4_T5_T6_T7_T9_mT8_P12ihipStream_tbDpT10_ENKUlT_T0_E_clISt17integral_constantIbLb1EES1C_EEDaS17_S18_EUlS17_E_NS1_11comp_targetILNS1_3genE9ELNS1_11target_archE1100ELNS1_3gpuE3ELNS1_3repE0EEENS1_30default_config_static_selectorELNS0_4arch9wavefront6targetE1EEEvT1_,comdat
.Lfunc_end1442:
	.size	_ZN7rocprim17ROCPRIM_400000_NS6detail17trampoline_kernelINS0_14default_configENS1_25partition_config_selectorILNS1_17partition_subalgoE8ElNS0_10empty_typeEbEEZZNS1_14partition_implILS5_8ELb0ES3_jPlPS6_PKS6_NS0_5tupleIJS9_S6_EEENSD_IJSA_SA_EEENS0_18inequality_wrapperIZN2at6native12_GLOBAL__N_124unique_dim_cuda_templateItEESt5tupleIJNSH_6TensorESM_SM_EERKSM_lbbbEUlllE0_EEPmJS6_EEE10hipError_tPvRmT3_T4_T5_T6_T7_T9_mT8_P12ihipStream_tbDpT10_ENKUlT_T0_E_clISt17integral_constantIbLb1EES1C_EEDaS17_S18_EUlS17_E_NS1_11comp_targetILNS1_3genE9ELNS1_11target_archE1100ELNS1_3gpuE3ELNS1_3repE0EEENS1_30default_config_static_selectorELNS0_4arch9wavefront6targetE1EEEvT1_, .Lfunc_end1442-_ZN7rocprim17ROCPRIM_400000_NS6detail17trampoline_kernelINS0_14default_configENS1_25partition_config_selectorILNS1_17partition_subalgoE8ElNS0_10empty_typeEbEEZZNS1_14partition_implILS5_8ELb0ES3_jPlPS6_PKS6_NS0_5tupleIJS9_S6_EEENSD_IJSA_SA_EEENS0_18inequality_wrapperIZN2at6native12_GLOBAL__N_124unique_dim_cuda_templateItEESt5tupleIJNSH_6TensorESM_SM_EERKSM_lbbbEUlllE0_EEPmJS6_EEE10hipError_tPvRmT3_T4_T5_T6_T7_T9_mT8_P12ihipStream_tbDpT10_ENKUlT_T0_E_clISt17integral_constantIbLb1EES1C_EEDaS17_S18_EUlS17_E_NS1_11comp_targetILNS1_3genE9ELNS1_11target_archE1100ELNS1_3gpuE3ELNS1_3repE0EEENS1_30default_config_static_selectorELNS0_4arch9wavefront6targetE1EEEvT1_
                                        ; -- End function
	.section	.AMDGPU.csdata,"",@progbits
; Kernel info:
; codeLenInByte = 0
; NumSgprs: 6
; NumVgprs: 0
; NumAgprs: 0
; TotalNumVgprs: 0
; ScratchSize: 0
; MemoryBound: 0
; FloatMode: 240
; IeeeMode: 1
; LDSByteSize: 0 bytes/workgroup (compile time only)
; SGPRBlocks: 0
; VGPRBlocks: 0
; NumSGPRsForWavesPerEU: 6
; NumVGPRsForWavesPerEU: 1
; AccumOffset: 4
; Occupancy: 8
; WaveLimiterHint : 0
; COMPUTE_PGM_RSRC2:SCRATCH_EN: 0
; COMPUTE_PGM_RSRC2:USER_SGPR: 2
; COMPUTE_PGM_RSRC2:TRAP_HANDLER: 0
; COMPUTE_PGM_RSRC2:TGID_X_EN: 1
; COMPUTE_PGM_RSRC2:TGID_Y_EN: 0
; COMPUTE_PGM_RSRC2:TGID_Z_EN: 0
; COMPUTE_PGM_RSRC2:TIDIG_COMP_CNT: 0
; COMPUTE_PGM_RSRC3_GFX90A:ACCUM_OFFSET: 0
; COMPUTE_PGM_RSRC3_GFX90A:TG_SPLIT: 0
	.section	.text._ZN7rocprim17ROCPRIM_400000_NS6detail17trampoline_kernelINS0_14default_configENS1_25partition_config_selectorILNS1_17partition_subalgoE8ElNS0_10empty_typeEbEEZZNS1_14partition_implILS5_8ELb0ES3_jPlPS6_PKS6_NS0_5tupleIJS9_S6_EEENSD_IJSA_SA_EEENS0_18inequality_wrapperIZN2at6native12_GLOBAL__N_124unique_dim_cuda_templateItEESt5tupleIJNSH_6TensorESM_SM_EERKSM_lbbbEUlllE0_EEPmJS6_EEE10hipError_tPvRmT3_T4_T5_T6_T7_T9_mT8_P12ihipStream_tbDpT10_ENKUlT_T0_E_clISt17integral_constantIbLb1EES1C_EEDaS17_S18_EUlS17_E_NS1_11comp_targetILNS1_3genE8ELNS1_11target_archE1030ELNS1_3gpuE2ELNS1_3repE0EEENS1_30default_config_static_selectorELNS0_4arch9wavefront6targetE1EEEvT1_,"axG",@progbits,_ZN7rocprim17ROCPRIM_400000_NS6detail17trampoline_kernelINS0_14default_configENS1_25partition_config_selectorILNS1_17partition_subalgoE8ElNS0_10empty_typeEbEEZZNS1_14partition_implILS5_8ELb0ES3_jPlPS6_PKS6_NS0_5tupleIJS9_S6_EEENSD_IJSA_SA_EEENS0_18inequality_wrapperIZN2at6native12_GLOBAL__N_124unique_dim_cuda_templateItEESt5tupleIJNSH_6TensorESM_SM_EERKSM_lbbbEUlllE0_EEPmJS6_EEE10hipError_tPvRmT3_T4_T5_T6_T7_T9_mT8_P12ihipStream_tbDpT10_ENKUlT_T0_E_clISt17integral_constantIbLb1EES1C_EEDaS17_S18_EUlS17_E_NS1_11comp_targetILNS1_3genE8ELNS1_11target_archE1030ELNS1_3gpuE2ELNS1_3repE0EEENS1_30default_config_static_selectorELNS0_4arch9wavefront6targetE1EEEvT1_,comdat
	.globl	_ZN7rocprim17ROCPRIM_400000_NS6detail17trampoline_kernelINS0_14default_configENS1_25partition_config_selectorILNS1_17partition_subalgoE8ElNS0_10empty_typeEbEEZZNS1_14partition_implILS5_8ELb0ES3_jPlPS6_PKS6_NS0_5tupleIJS9_S6_EEENSD_IJSA_SA_EEENS0_18inequality_wrapperIZN2at6native12_GLOBAL__N_124unique_dim_cuda_templateItEESt5tupleIJNSH_6TensorESM_SM_EERKSM_lbbbEUlllE0_EEPmJS6_EEE10hipError_tPvRmT3_T4_T5_T6_T7_T9_mT8_P12ihipStream_tbDpT10_ENKUlT_T0_E_clISt17integral_constantIbLb1EES1C_EEDaS17_S18_EUlS17_E_NS1_11comp_targetILNS1_3genE8ELNS1_11target_archE1030ELNS1_3gpuE2ELNS1_3repE0EEENS1_30default_config_static_selectorELNS0_4arch9wavefront6targetE1EEEvT1_ ; -- Begin function _ZN7rocprim17ROCPRIM_400000_NS6detail17trampoline_kernelINS0_14default_configENS1_25partition_config_selectorILNS1_17partition_subalgoE8ElNS0_10empty_typeEbEEZZNS1_14partition_implILS5_8ELb0ES3_jPlPS6_PKS6_NS0_5tupleIJS9_S6_EEENSD_IJSA_SA_EEENS0_18inequality_wrapperIZN2at6native12_GLOBAL__N_124unique_dim_cuda_templateItEESt5tupleIJNSH_6TensorESM_SM_EERKSM_lbbbEUlllE0_EEPmJS6_EEE10hipError_tPvRmT3_T4_T5_T6_T7_T9_mT8_P12ihipStream_tbDpT10_ENKUlT_T0_E_clISt17integral_constantIbLb1EES1C_EEDaS17_S18_EUlS17_E_NS1_11comp_targetILNS1_3genE8ELNS1_11target_archE1030ELNS1_3gpuE2ELNS1_3repE0EEENS1_30default_config_static_selectorELNS0_4arch9wavefront6targetE1EEEvT1_
	.p2align	8
	.type	_ZN7rocprim17ROCPRIM_400000_NS6detail17trampoline_kernelINS0_14default_configENS1_25partition_config_selectorILNS1_17partition_subalgoE8ElNS0_10empty_typeEbEEZZNS1_14partition_implILS5_8ELb0ES3_jPlPS6_PKS6_NS0_5tupleIJS9_S6_EEENSD_IJSA_SA_EEENS0_18inequality_wrapperIZN2at6native12_GLOBAL__N_124unique_dim_cuda_templateItEESt5tupleIJNSH_6TensorESM_SM_EERKSM_lbbbEUlllE0_EEPmJS6_EEE10hipError_tPvRmT3_T4_T5_T6_T7_T9_mT8_P12ihipStream_tbDpT10_ENKUlT_T0_E_clISt17integral_constantIbLb1EES1C_EEDaS17_S18_EUlS17_E_NS1_11comp_targetILNS1_3genE8ELNS1_11target_archE1030ELNS1_3gpuE2ELNS1_3repE0EEENS1_30default_config_static_selectorELNS0_4arch9wavefront6targetE1EEEvT1_,@function
_ZN7rocprim17ROCPRIM_400000_NS6detail17trampoline_kernelINS0_14default_configENS1_25partition_config_selectorILNS1_17partition_subalgoE8ElNS0_10empty_typeEbEEZZNS1_14partition_implILS5_8ELb0ES3_jPlPS6_PKS6_NS0_5tupleIJS9_S6_EEENSD_IJSA_SA_EEENS0_18inequality_wrapperIZN2at6native12_GLOBAL__N_124unique_dim_cuda_templateItEESt5tupleIJNSH_6TensorESM_SM_EERKSM_lbbbEUlllE0_EEPmJS6_EEE10hipError_tPvRmT3_T4_T5_T6_T7_T9_mT8_P12ihipStream_tbDpT10_ENKUlT_T0_E_clISt17integral_constantIbLb1EES1C_EEDaS17_S18_EUlS17_E_NS1_11comp_targetILNS1_3genE8ELNS1_11target_archE1030ELNS1_3gpuE2ELNS1_3repE0EEENS1_30default_config_static_selectorELNS0_4arch9wavefront6targetE1EEEvT1_: ; @_ZN7rocprim17ROCPRIM_400000_NS6detail17trampoline_kernelINS0_14default_configENS1_25partition_config_selectorILNS1_17partition_subalgoE8ElNS0_10empty_typeEbEEZZNS1_14partition_implILS5_8ELb0ES3_jPlPS6_PKS6_NS0_5tupleIJS9_S6_EEENSD_IJSA_SA_EEENS0_18inequality_wrapperIZN2at6native12_GLOBAL__N_124unique_dim_cuda_templateItEESt5tupleIJNSH_6TensorESM_SM_EERKSM_lbbbEUlllE0_EEPmJS6_EEE10hipError_tPvRmT3_T4_T5_T6_T7_T9_mT8_P12ihipStream_tbDpT10_ENKUlT_T0_E_clISt17integral_constantIbLb1EES1C_EEDaS17_S18_EUlS17_E_NS1_11comp_targetILNS1_3genE8ELNS1_11target_archE1030ELNS1_3gpuE2ELNS1_3repE0EEENS1_30default_config_static_selectorELNS0_4arch9wavefront6targetE1EEEvT1_
; %bb.0:
	.section	.rodata,"a",@progbits
	.p2align	6, 0x0
	.amdhsa_kernel _ZN7rocprim17ROCPRIM_400000_NS6detail17trampoline_kernelINS0_14default_configENS1_25partition_config_selectorILNS1_17partition_subalgoE8ElNS0_10empty_typeEbEEZZNS1_14partition_implILS5_8ELb0ES3_jPlPS6_PKS6_NS0_5tupleIJS9_S6_EEENSD_IJSA_SA_EEENS0_18inequality_wrapperIZN2at6native12_GLOBAL__N_124unique_dim_cuda_templateItEESt5tupleIJNSH_6TensorESM_SM_EERKSM_lbbbEUlllE0_EEPmJS6_EEE10hipError_tPvRmT3_T4_T5_T6_T7_T9_mT8_P12ihipStream_tbDpT10_ENKUlT_T0_E_clISt17integral_constantIbLb1EES1C_EEDaS17_S18_EUlS17_E_NS1_11comp_targetILNS1_3genE8ELNS1_11target_archE1030ELNS1_3gpuE2ELNS1_3repE0EEENS1_30default_config_static_selectorELNS0_4arch9wavefront6targetE1EEEvT1_
		.amdhsa_group_segment_fixed_size 0
		.amdhsa_private_segment_fixed_size 0
		.amdhsa_kernarg_size 136
		.amdhsa_user_sgpr_count 2
		.amdhsa_user_sgpr_dispatch_ptr 0
		.amdhsa_user_sgpr_queue_ptr 0
		.amdhsa_user_sgpr_kernarg_segment_ptr 1
		.amdhsa_user_sgpr_dispatch_id 0
		.amdhsa_user_sgpr_kernarg_preload_length 0
		.amdhsa_user_sgpr_kernarg_preload_offset 0
		.amdhsa_user_sgpr_private_segment_size 0
		.amdhsa_uses_dynamic_stack 0
		.amdhsa_enable_private_segment 0
		.amdhsa_system_sgpr_workgroup_id_x 1
		.amdhsa_system_sgpr_workgroup_id_y 0
		.amdhsa_system_sgpr_workgroup_id_z 0
		.amdhsa_system_sgpr_workgroup_info 0
		.amdhsa_system_vgpr_workitem_id 0
		.amdhsa_next_free_vgpr 1
		.amdhsa_next_free_sgpr 0
		.amdhsa_accum_offset 4
		.amdhsa_reserve_vcc 0
		.amdhsa_float_round_mode_32 0
		.amdhsa_float_round_mode_16_64 0
		.amdhsa_float_denorm_mode_32 3
		.amdhsa_float_denorm_mode_16_64 3
		.amdhsa_dx10_clamp 1
		.amdhsa_ieee_mode 1
		.amdhsa_fp16_overflow 0
		.amdhsa_tg_split 0
		.amdhsa_exception_fp_ieee_invalid_op 0
		.amdhsa_exception_fp_denorm_src 0
		.amdhsa_exception_fp_ieee_div_zero 0
		.amdhsa_exception_fp_ieee_overflow 0
		.amdhsa_exception_fp_ieee_underflow 0
		.amdhsa_exception_fp_ieee_inexact 0
		.amdhsa_exception_int_div_zero 0
	.end_amdhsa_kernel
	.section	.text._ZN7rocprim17ROCPRIM_400000_NS6detail17trampoline_kernelINS0_14default_configENS1_25partition_config_selectorILNS1_17partition_subalgoE8ElNS0_10empty_typeEbEEZZNS1_14partition_implILS5_8ELb0ES3_jPlPS6_PKS6_NS0_5tupleIJS9_S6_EEENSD_IJSA_SA_EEENS0_18inequality_wrapperIZN2at6native12_GLOBAL__N_124unique_dim_cuda_templateItEESt5tupleIJNSH_6TensorESM_SM_EERKSM_lbbbEUlllE0_EEPmJS6_EEE10hipError_tPvRmT3_T4_T5_T6_T7_T9_mT8_P12ihipStream_tbDpT10_ENKUlT_T0_E_clISt17integral_constantIbLb1EES1C_EEDaS17_S18_EUlS17_E_NS1_11comp_targetILNS1_3genE8ELNS1_11target_archE1030ELNS1_3gpuE2ELNS1_3repE0EEENS1_30default_config_static_selectorELNS0_4arch9wavefront6targetE1EEEvT1_,"axG",@progbits,_ZN7rocprim17ROCPRIM_400000_NS6detail17trampoline_kernelINS0_14default_configENS1_25partition_config_selectorILNS1_17partition_subalgoE8ElNS0_10empty_typeEbEEZZNS1_14partition_implILS5_8ELb0ES3_jPlPS6_PKS6_NS0_5tupleIJS9_S6_EEENSD_IJSA_SA_EEENS0_18inequality_wrapperIZN2at6native12_GLOBAL__N_124unique_dim_cuda_templateItEESt5tupleIJNSH_6TensorESM_SM_EERKSM_lbbbEUlllE0_EEPmJS6_EEE10hipError_tPvRmT3_T4_T5_T6_T7_T9_mT8_P12ihipStream_tbDpT10_ENKUlT_T0_E_clISt17integral_constantIbLb1EES1C_EEDaS17_S18_EUlS17_E_NS1_11comp_targetILNS1_3genE8ELNS1_11target_archE1030ELNS1_3gpuE2ELNS1_3repE0EEENS1_30default_config_static_selectorELNS0_4arch9wavefront6targetE1EEEvT1_,comdat
.Lfunc_end1443:
	.size	_ZN7rocprim17ROCPRIM_400000_NS6detail17trampoline_kernelINS0_14default_configENS1_25partition_config_selectorILNS1_17partition_subalgoE8ElNS0_10empty_typeEbEEZZNS1_14partition_implILS5_8ELb0ES3_jPlPS6_PKS6_NS0_5tupleIJS9_S6_EEENSD_IJSA_SA_EEENS0_18inequality_wrapperIZN2at6native12_GLOBAL__N_124unique_dim_cuda_templateItEESt5tupleIJNSH_6TensorESM_SM_EERKSM_lbbbEUlllE0_EEPmJS6_EEE10hipError_tPvRmT3_T4_T5_T6_T7_T9_mT8_P12ihipStream_tbDpT10_ENKUlT_T0_E_clISt17integral_constantIbLb1EES1C_EEDaS17_S18_EUlS17_E_NS1_11comp_targetILNS1_3genE8ELNS1_11target_archE1030ELNS1_3gpuE2ELNS1_3repE0EEENS1_30default_config_static_selectorELNS0_4arch9wavefront6targetE1EEEvT1_, .Lfunc_end1443-_ZN7rocprim17ROCPRIM_400000_NS6detail17trampoline_kernelINS0_14default_configENS1_25partition_config_selectorILNS1_17partition_subalgoE8ElNS0_10empty_typeEbEEZZNS1_14partition_implILS5_8ELb0ES3_jPlPS6_PKS6_NS0_5tupleIJS9_S6_EEENSD_IJSA_SA_EEENS0_18inequality_wrapperIZN2at6native12_GLOBAL__N_124unique_dim_cuda_templateItEESt5tupleIJNSH_6TensorESM_SM_EERKSM_lbbbEUlllE0_EEPmJS6_EEE10hipError_tPvRmT3_T4_T5_T6_T7_T9_mT8_P12ihipStream_tbDpT10_ENKUlT_T0_E_clISt17integral_constantIbLb1EES1C_EEDaS17_S18_EUlS17_E_NS1_11comp_targetILNS1_3genE8ELNS1_11target_archE1030ELNS1_3gpuE2ELNS1_3repE0EEENS1_30default_config_static_selectorELNS0_4arch9wavefront6targetE1EEEvT1_
                                        ; -- End function
	.section	.AMDGPU.csdata,"",@progbits
; Kernel info:
; codeLenInByte = 0
; NumSgprs: 6
; NumVgprs: 0
; NumAgprs: 0
; TotalNumVgprs: 0
; ScratchSize: 0
; MemoryBound: 0
; FloatMode: 240
; IeeeMode: 1
; LDSByteSize: 0 bytes/workgroup (compile time only)
; SGPRBlocks: 0
; VGPRBlocks: 0
; NumSGPRsForWavesPerEU: 6
; NumVGPRsForWavesPerEU: 1
; AccumOffset: 4
; Occupancy: 8
; WaveLimiterHint : 0
; COMPUTE_PGM_RSRC2:SCRATCH_EN: 0
; COMPUTE_PGM_RSRC2:USER_SGPR: 2
; COMPUTE_PGM_RSRC2:TRAP_HANDLER: 0
; COMPUTE_PGM_RSRC2:TGID_X_EN: 1
; COMPUTE_PGM_RSRC2:TGID_Y_EN: 0
; COMPUTE_PGM_RSRC2:TGID_Z_EN: 0
; COMPUTE_PGM_RSRC2:TIDIG_COMP_CNT: 0
; COMPUTE_PGM_RSRC3_GFX90A:ACCUM_OFFSET: 0
; COMPUTE_PGM_RSRC3_GFX90A:TG_SPLIT: 0
	.section	.text._ZN7rocprim17ROCPRIM_400000_NS6detail17trampoline_kernelINS0_14default_configENS1_25partition_config_selectorILNS1_17partition_subalgoE8ElNS0_10empty_typeEbEEZZNS1_14partition_implILS5_8ELb0ES3_jPlPS6_PKS6_NS0_5tupleIJS9_S6_EEENSD_IJSA_SA_EEENS0_18inequality_wrapperIZN2at6native12_GLOBAL__N_124unique_dim_cuda_templateItEESt5tupleIJNSH_6TensorESM_SM_EERKSM_lbbbEUlllE0_EEPmJS6_EEE10hipError_tPvRmT3_T4_T5_T6_T7_T9_mT8_P12ihipStream_tbDpT10_ENKUlT_T0_E_clISt17integral_constantIbLb1EES1B_IbLb0EEEEDaS17_S18_EUlS17_E_NS1_11comp_targetILNS1_3genE0ELNS1_11target_archE4294967295ELNS1_3gpuE0ELNS1_3repE0EEENS1_30default_config_static_selectorELNS0_4arch9wavefront6targetE1EEEvT1_,"axG",@progbits,_ZN7rocprim17ROCPRIM_400000_NS6detail17trampoline_kernelINS0_14default_configENS1_25partition_config_selectorILNS1_17partition_subalgoE8ElNS0_10empty_typeEbEEZZNS1_14partition_implILS5_8ELb0ES3_jPlPS6_PKS6_NS0_5tupleIJS9_S6_EEENSD_IJSA_SA_EEENS0_18inequality_wrapperIZN2at6native12_GLOBAL__N_124unique_dim_cuda_templateItEESt5tupleIJNSH_6TensorESM_SM_EERKSM_lbbbEUlllE0_EEPmJS6_EEE10hipError_tPvRmT3_T4_T5_T6_T7_T9_mT8_P12ihipStream_tbDpT10_ENKUlT_T0_E_clISt17integral_constantIbLb1EES1B_IbLb0EEEEDaS17_S18_EUlS17_E_NS1_11comp_targetILNS1_3genE0ELNS1_11target_archE4294967295ELNS1_3gpuE0ELNS1_3repE0EEENS1_30default_config_static_selectorELNS0_4arch9wavefront6targetE1EEEvT1_,comdat
	.globl	_ZN7rocprim17ROCPRIM_400000_NS6detail17trampoline_kernelINS0_14default_configENS1_25partition_config_selectorILNS1_17partition_subalgoE8ElNS0_10empty_typeEbEEZZNS1_14partition_implILS5_8ELb0ES3_jPlPS6_PKS6_NS0_5tupleIJS9_S6_EEENSD_IJSA_SA_EEENS0_18inequality_wrapperIZN2at6native12_GLOBAL__N_124unique_dim_cuda_templateItEESt5tupleIJNSH_6TensorESM_SM_EERKSM_lbbbEUlllE0_EEPmJS6_EEE10hipError_tPvRmT3_T4_T5_T6_T7_T9_mT8_P12ihipStream_tbDpT10_ENKUlT_T0_E_clISt17integral_constantIbLb1EES1B_IbLb0EEEEDaS17_S18_EUlS17_E_NS1_11comp_targetILNS1_3genE0ELNS1_11target_archE4294967295ELNS1_3gpuE0ELNS1_3repE0EEENS1_30default_config_static_selectorELNS0_4arch9wavefront6targetE1EEEvT1_ ; -- Begin function _ZN7rocprim17ROCPRIM_400000_NS6detail17trampoline_kernelINS0_14default_configENS1_25partition_config_selectorILNS1_17partition_subalgoE8ElNS0_10empty_typeEbEEZZNS1_14partition_implILS5_8ELb0ES3_jPlPS6_PKS6_NS0_5tupleIJS9_S6_EEENSD_IJSA_SA_EEENS0_18inequality_wrapperIZN2at6native12_GLOBAL__N_124unique_dim_cuda_templateItEESt5tupleIJNSH_6TensorESM_SM_EERKSM_lbbbEUlllE0_EEPmJS6_EEE10hipError_tPvRmT3_T4_T5_T6_T7_T9_mT8_P12ihipStream_tbDpT10_ENKUlT_T0_E_clISt17integral_constantIbLb1EES1B_IbLb0EEEEDaS17_S18_EUlS17_E_NS1_11comp_targetILNS1_3genE0ELNS1_11target_archE4294967295ELNS1_3gpuE0ELNS1_3repE0EEENS1_30default_config_static_selectorELNS0_4arch9wavefront6targetE1EEEvT1_
	.p2align	8
	.type	_ZN7rocprim17ROCPRIM_400000_NS6detail17trampoline_kernelINS0_14default_configENS1_25partition_config_selectorILNS1_17partition_subalgoE8ElNS0_10empty_typeEbEEZZNS1_14partition_implILS5_8ELb0ES3_jPlPS6_PKS6_NS0_5tupleIJS9_S6_EEENSD_IJSA_SA_EEENS0_18inequality_wrapperIZN2at6native12_GLOBAL__N_124unique_dim_cuda_templateItEESt5tupleIJNSH_6TensorESM_SM_EERKSM_lbbbEUlllE0_EEPmJS6_EEE10hipError_tPvRmT3_T4_T5_T6_T7_T9_mT8_P12ihipStream_tbDpT10_ENKUlT_T0_E_clISt17integral_constantIbLb1EES1B_IbLb0EEEEDaS17_S18_EUlS17_E_NS1_11comp_targetILNS1_3genE0ELNS1_11target_archE4294967295ELNS1_3gpuE0ELNS1_3repE0EEENS1_30default_config_static_selectorELNS0_4arch9wavefront6targetE1EEEvT1_,@function
_ZN7rocprim17ROCPRIM_400000_NS6detail17trampoline_kernelINS0_14default_configENS1_25partition_config_selectorILNS1_17partition_subalgoE8ElNS0_10empty_typeEbEEZZNS1_14partition_implILS5_8ELb0ES3_jPlPS6_PKS6_NS0_5tupleIJS9_S6_EEENSD_IJSA_SA_EEENS0_18inequality_wrapperIZN2at6native12_GLOBAL__N_124unique_dim_cuda_templateItEESt5tupleIJNSH_6TensorESM_SM_EERKSM_lbbbEUlllE0_EEPmJS6_EEE10hipError_tPvRmT3_T4_T5_T6_T7_T9_mT8_P12ihipStream_tbDpT10_ENKUlT_T0_E_clISt17integral_constantIbLb1EES1B_IbLb0EEEEDaS17_S18_EUlS17_E_NS1_11comp_targetILNS1_3genE0ELNS1_11target_archE4294967295ELNS1_3gpuE0ELNS1_3repE0EEENS1_30default_config_static_selectorELNS0_4arch9wavefront6targetE1EEEvT1_: ; @_ZN7rocprim17ROCPRIM_400000_NS6detail17trampoline_kernelINS0_14default_configENS1_25partition_config_selectorILNS1_17partition_subalgoE8ElNS0_10empty_typeEbEEZZNS1_14partition_implILS5_8ELb0ES3_jPlPS6_PKS6_NS0_5tupleIJS9_S6_EEENSD_IJSA_SA_EEENS0_18inequality_wrapperIZN2at6native12_GLOBAL__N_124unique_dim_cuda_templateItEESt5tupleIJNSH_6TensorESM_SM_EERKSM_lbbbEUlllE0_EEPmJS6_EEE10hipError_tPvRmT3_T4_T5_T6_T7_T9_mT8_P12ihipStream_tbDpT10_ENKUlT_T0_E_clISt17integral_constantIbLb1EES1B_IbLb0EEEEDaS17_S18_EUlS17_E_NS1_11comp_targetILNS1_3genE0ELNS1_11target_archE4294967295ELNS1_3gpuE0ELNS1_3repE0EEENS1_30default_config_static_selectorELNS0_4arch9wavefront6targetE1EEEvT1_
; %bb.0:
	.section	.rodata,"a",@progbits
	.p2align	6, 0x0
	.amdhsa_kernel _ZN7rocprim17ROCPRIM_400000_NS6detail17trampoline_kernelINS0_14default_configENS1_25partition_config_selectorILNS1_17partition_subalgoE8ElNS0_10empty_typeEbEEZZNS1_14partition_implILS5_8ELb0ES3_jPlPS6_PKS6_NS0_5tupleIJS9_S6_EEENSD_IJSA_SA_EEENS0_18inequality_wrapperIZN2at6native12_GLOBAL__N_124unique_dim_cuda_templateItEESt5tupleIJNSH_6TensorESM_SM_EERKSM_lbbbEUlllE0_EEPmJS6_EEE10hipError_tPvRmT3_T4_T5_T6_T7_T9_mT8_P12ihipStream_tbDpT10_ENKUlT_T0_E_clISt17integral_constantIbLb1EES1B_IbLb0EEEEDaS17_S18_EUlS17_E_NS1_11comp_targetILNS1_3genE0ELNS1_11target_archE4294967295ELNS1_3gpuE0ELNS1_3repE0EEENS1_30default_config_static_selectorELNS0_4arch9wavefront6targetE1EEEvT1_
		.amdhsa_group_segment_fixed_size 0
		.amdhsa_private_segment_fixed_size 0
		.amdhsa_kernarg_size 120
		.amdhsa_user_sgpr_count 2
		.amdhsa_user_sgpr_dispatch_ptr 0
		.amdhsa_user_sgpr_queue_ptr 0
		.amdhsa_user_sgpr_kernarg_segment_ptr 1
		.amdhsa_user_sgpr_dispatch_id 0
		.amdhsa_user_sgpr_kernarg_preload_length 0
		.amdhsa_user_sgpr_kernarg_preload_offset 0
		.amdhsa_user_sgpr_private_segment_size 0
		.amdhsa_uses_dynamic_stack 0
		.amdhsa_enable_private_segment 0
		.amdhsa_system_sgpr_workgroup_id_x 1
		.amdhsa_system_sgpr_workgroup_id_y 0
		.amdhsa_system_sgpr_workgroup_id_z 0
		.amdhsa_system_sgpr_workgroup_info 0
		.amdhsa_system_vgpr_workitem_id 0
		.amdhsa_next_free_vgpr 1
		.amdhsa_next_free_sgpr 0
		.amdhsa_accum_offset 4
		.amdhsa_reserve_vcc 0
		.amdhsa_float_round_mode_32 0
		.amdhsa_float_round_mode_16_64 0
		.amdhsa_float_denorm_mode_32 3
		.amdhsa_float_denorm_mode_16_64 3
		.amdhsa_dx10_clamp 1
		.amdhsa_ieee_mode 1
		.amdhsa_fp16_overflow 0
		.amdhsa_tg_split 0
		.amdhsa_exception_fp_ieee_invalid_op 0
		.amdhsa_exception_fp_denorm_src 0
		.amdhsa_exception_fp_ieee_div_zero 0
		.amdhsa_exception_fp_ieee_overflow 0
		.amdhsa_exception_fp_ieee_underflow 0
		.amdhsa_exception_fp_ieee_inexact 0
		.amdhsa_exception_int_div_zero 0
	.end_amdhsa_kernel
	.section	.text._ZN7rocprim17ROCPRIM_400000_NS6detail17trampoline_kernelINS0_14default_configENS1_25partition_config_selectorILNS1_17partition_subalgoE8ElNS0_10empty_typeEbEEZZNS1_14partition_implILS5_8ELb0ES3_jPlPS6_PKS6_NS0_5tupleIJS9_S6_EEENSD_IJSA_SA_EEENS0_18inequality_wrapperIZN2at6native12_GLOBAL__N_124unique_dim_cuda_templateItEESt5tupleIJNSH_6TensorESM_SM_EERKSM_lbbbEUlllE0_EEPmJS6_EEE10hipError_tPvRmT3_T4_T5_T6_T7_T9_mT8_P12ihipStream_tbDpT10_ENKUlT_T0_E_clISt17integral_constantIbLb1EES1B_IbLb0EEEEDaS17_S18_EUlS17_E_NS1_11comp_targetILNS1_3genE0ELNS1_11target_archE4294967295ELNS1_3gpuE0ELNS1_3repE0EEENS1_30default_config_static_selectorELNS0_4arch9wavefront6targetE1EEEvT1_,"axG",@progbits,_ZN7rocprim17ROCPRIM_400000_NS6detail17trampoline_kernelINS0_14default_configENS1_25partition_config_selectorILNS1_17partition_subalgoE8ElNS0_10empty_typeEbEEZZNS1_14partition_implILS5_8ELb0ES3_jPlPS6_PKS6_NS0_5tupleIJS9_S6_EEENSD_IJSA_SA_EEENS0_18inequality_wrapperIZN2at6native12_GLOBAL__N_124unique_dim_cuda_templateItEESt5tupleIJNSH_6TensorESM_SM_EERKSM_lbbbEUlllE0_EEPmJS6_EEE10hipError_tPvRmT3_T4_T5_T6_T7_T9_mT8_P12ihipStream_tbDpT10_ENKUlT_T0_E_clISt17integral_constantIbLb1EES1B_IbLb0EEEEDaS17_S18_EUlS17_E_NS1_11comp_targetILNS1_3genE0ELNS1_11target_archE4294967295ELNS1_3gpuE0ELNS1_3repE0EEENS1_30default_config_static_selectorELNS0_4arch9wavefront6targetE1EEEvT1_,comdat
.Lfunc_end1444:
	.size	_ZN7rocprim17ROCPRIM_400000_NS6detail17trampoline_kernelINS0_14default_configENS1_25partition_config_selectorILNS1_17partition_subalgoE8ElNS0_10empty_typeEbEEZZNS1_14partition_implILS5_8ELb0ES3_jPlPS6_PKS6_NS0_5tupleIJS9_S6_EEENSD_IJSA_SA_EEENS0_18inequality_wrapperIZN2at6native12_GLOBAL__N_124unique_dim_cuda_templateItEESt5tupleIJNSH_6TensorESM_SM_EERKSM_lbbbEUlllE0_EEPmJS6_EEE10hipError_tPvRmT3_T4_T5_T6_T7_T9_mT8_P12ihipStream_tbDpT10_ENKUlT_T0_E_clISt17integral_constantIbLb1EES1B_IbLb0EEEEDaS17_S18_EUlS17_E_NS1_11comp_targetILNS1_3genE0ELNS1_11target_archE4294967295ELNS1_3gpuE0ELNS1_3repE0EEENS1_30default_config_static_selectorELNS0_4arch9wavefront6targetE1EEEvT1_, .Lfunc_end1444-_ZN7rocprim17ROCPRIM_400000_NS6detail17trampoline_kernelINS0_14default_configENS1_25partition_config_selectorILNS1_17partition_subalgoE8ElNS0_10empty_typeEbEEZZNS1_14partition_implILS5_8ELb0ES3_jPlPS6_PKS6_NS0_5tupleIJS9_S6_EEENSD_IJSA_SA_EEENS0_18inequality_wrapperIZN2at6native12_GLOBAL__N_124unique_dim_cuda_templateItEESt5tupleIJNSH_6TensorESM_SM_EERKSM_lbbbEUlllE0_EEPmJS6_EEE10hipError_tPvRmT3_T4_T5_T6_T7_T9_mT8_P12ihipStream_tbDpT10_ENKUlT_T0_E_clISt17integral_constantIbLb1EES1B_IbLb0EEEEDaS17_S18_EUlS17_E_NS1_11comp_targetILNS1_3genE0ELNS1_11target_archE4294967295ELNS1_3gpuE0ELNS1_3repE0EEENS1_30default_config_static_selectorELNS0_4arch9wavefront6targetE1EEEvT1_
                                        ; -- End function
	.section	.AMDGPU.csdata,"",@progbits
; Kernel info:
; codeLenInByte = 0
; NumSgprs: 6
; NumVgprs: 0
; NumAgprs: 0
; TotalNumVgprs: 0
; ScratchSize: 0
; MemoryBound: 0
; FloatMode: 240
; IeeeMode: 1
; LDSByteSize: 0 bytes/workgroup (compile time only)
; SGPRBlocks: 0
; VGPRBlocks: 0
; NumSGPRsForWavesPerEU: 6
; NumVGPRsForWavesPerEU: 1
; AccumOffset: 4
; Occupancy: 8
; WaveLimiterHint : 0
; COMPUTE_PGM_RSRC2:SCRATCH_EN: 0
; COMPUTE_PGM_RSRC2:USER_SGPR: 2
; COMPUTE_PGM_RSRC2:TRAP_HANDLER: 0
; COMPUTE_PGM_RSRC2:TGID_X_EN: 1
; COMPUTE_PGM_RSRC2:TGID_Y_EN: 0
; COMPUTE_PGM_RSRC2:TGID_Z_EN: 0
; COMPUTE_PGM_RSRC2:TIDIG_COMP_CNT: 0
; COMPUTE_PGM_RSRC3_GFX90A:ACCUM_OFFSET: 0
; COMPUTE_PGM_RSRC3_GFX90A:TG_SPLIT: 0
	.section	.text._ZN7rocprim17ROCPRIM_400000_NS6detail17trampoline_kernelINS0_14default_configENS1_25partition_config_selectorILNS1_17partition_subalgoE8ElNS0_10empty_typeEbEEZZNS1_14partition_implILS5_8ELb0ES3_jPlPS6_PKS6_NS0_5tupleIJS9_S6_EEENSD_IJSA_SA_EEENS0_18inequality_wrapperIZN2at6native12_GLOBAL__N_124unique_dim_cuda_templateItEESt5tupleIJNSH_6TensorESM_SM_EERKSM_lbbbEUlllE0_EEPmJS6_EEE10hipError_tPvRmT3_T4_T5_T6_T7_T9_mT8_P12ihipStream_tbDpT10_ENKUlT_T0_E_clISt17integral_constantIbLb1EES1B_IbLb0EEEEDaS17_S18_EUlS17_E_NS1_11comp_targetILNS1_3genE5ELNS1_11target_archE942ELNS1_3gpuE9ELNS1_3repE0EEENS1_30default_config_static_selectorELNS0_4arch9wavefront6targetE1EEEvT1_,"axG",@progbits,_ZN7rocprim17ROCPRIM_400000_NS6detail17trampoline_kernelINS0_14default_configENS1_25partition_config_selectorILNS1_17partition_subalgoE8ElNS0_10empty_typeEbEEZZNS1_14partition_implILS5_8ELb0ES3_jPlPS6_PKS6_NS0_5tupleIJS9_S6_EEENSD_IJSA_SA_EEENS0_18inequality_wrapperIZN2at6native12_GLOBAL__N_124unique_dim_cuda_templateItEESt5tupleIJNSH_6TensorESM_SM_EERKSM_lbbbEUlllE0_EEPmJS6_EEE10hipError_tPvRmT3_T4_T5_T6_T7_T9_mT8_P12ihipStream_tbDpT10_ENKUlT_T0_E_clISt17integral_constantIbLb1EES1B_IbLb0EEEEDaS17_S18_EUlS17_E_NS1_11comp_targetILNS1_3genE5ELNS1_11target_archE942ELNS1_3gpuE9ELNS1_3repE0EEENS1_30default_config_static_selectorELNS0_4arch9wavefront6targetE1EEEvT1_,comdat
	.globl	_ZN7rocprim17ROCPRIM_400000_NS6detail17trampoline_kernelINS0_14default_configENS1_25partition_config_selectorILNS1_17partition_subalgoE8ElNS0_10empty_typeEbEEZZNS1_14partition_implILS5_8ELb0ES3_jPlPS6_PKS6_NS0_5tupleIJS9_S6_EEENSD_IJSA_SA_EEENS0_18inequality_wrapperIZN2at6native12_GLOBAL__N_124unique_dim_cuda_templateItEESt5tupleIJNSH_6TensorESM_SM_EERKSM_lbbbEUlllE0_EEPmJS6_EEE10hipError_tPvRmT3_T4_T5_T6_T7_T9_mT8_P12ihipStream_tbDpT10_ENKUlT_T0_E_clISt17integral_constantIbLb1EES1B_IbLb0EEEEDaS17_S18_EUlS17_E_NS1_11comp_targetILNS1_3genE5ELNS1_11target_archE942ELNS1_3gpuE9ELNS1_3repE0EEENS1_30default_config_static_selectorELNS0_4arch9wavefront6targetE1EEEvT1_ ; -- Begin function _ZN7rocprim17ROCPRIM_400000_NS6detail17trampoline_kernelINS0_14default_configENS1_25partition_config_selectorILNS1_17partition_subalgoE8ElNS0_10empty_typeEbEEZZNS1_14partition_implILS5_8ELb0ES3_jPlPS6_PKS6_NS0_5tupleIJS9_S6_EEENSD_IJSA_SA_EEENS0_18inequality_wrapperIZN2at6native12_GLOBAL__N_124unique_dim_cuda_templateItEESt5tupleIJNSH_6TensorESM_SM_EERKSM_lbbbEUlllE0_EEPmJS6_EEE10hipError_tPvRmT3_T4_T5_T6_T7_T9_mT8_P12ihipStream_tbDpT10_ENKUlT_T0_E_clISt17integral_constantIbLb1EES1B_IbLb0EEEEDaS17_S18_EUlS17_E_NS1_11comp_targetILNS1_3genE5ELNS1_11target_archE942ELNS1_3gpuE9ELNS1_3repE0EEENS1_30default_config_static_selectorELNS0_4arch9wavefront6targetE1EEEvT1_
	.p2align	8
	.type	_ZN7rocprim17ROCPRIM_400000_NS6detail17trampoline_kernelINS0_14default_configENS1_25partition_config_selectorILNS1_17partition_subalgoE8ElNS0_10empty_typeEbEEZZNS1_14partition_implILS5_8ELb0ES3_jPlPS6_PKS6_NS0_5tupleIJS9_S6_EEENSD_IJSA_SA_EEENS0_18inequality_wrapperIZN2at6native12_GLOBAL__N_124unique_dim_cuda_templateItEESt5tupleIJNSH_6TensorESM_SM_EERKSM_lbbbEUlllE0_EEPmJS6_EEE10hipError_tPvRmT3_T4_T5_T6_T7_T9_mT8_P12ihipStream_tbDpT10_ENKUlT_T0_E_clISt17integral_constantIbLb1EES1B_IbLb0EEEEDaS17_S18_EUlS17_E_NS1_11comp_targetILNS1_3genE5ELNS1_11target_archE942ELNS1_3gpuE9ELNS1_3repE0EEENS1_30default_config_static_selectorELNS0_4arch9wavefront6targetE1EEEvT1_,@function
_ZN7rocprim17ROCPRIM_400000_NS6detail17trampoline_kernelINS0_14default_configENS1_25partition_config_selectorILNS1_17partition_subalgoE8ElNS0_10empty_typeEbEEZZNS1_14partition_implILS5_8ELb0ES3_jPlPS6_PKS6_NS0_5tupleIJS9_S6_EEENSD_IJSA_SA_EEENS0_18inequality_wrapperIZN2at6native12_GLOBAL__N_124unique_dim_cuda_templateItEESt5tupleIJNSH_6TensorESM_SM_EERKSM_lbbbEUlllE0_EEPmJS6_EEE10hipError_tPvRmT3_T4_T5_T6_T7_T9_mT8_P12ihipStream_tbDpT10_ENKUlT_T0_E_clISt17integral_constantIbLb1EES1B_IbLb0EEEEDaS17_S18_EUlS17_E_NS1_11comp_targetILNS1_3genE5ELNS1_11target_archE942ELNS1_3gpuE9ELNS1_3repE0EEENS1_30default_config_static_selectorELNS0_4arch9wavefront6targetE1EEEvT1_: ; @_ZN7rocprim17ROCPRIM_400000_NS6detail17trampoline_kernelINS0_14default_configENS1_25partition_config_selectorILNS1_17partition_subalgoE8ElNS0_10empty_typeEbEEZZNS1_14partition_implILS5_8ELb0ES3_jPlPS6_PKS6_NS0_5tupleIJS9_S6_EEENSD_IJSA_SA_EEENS0_18inequality_wrapperIZN2at6native12_GLOBAL__N_124unique_dim_cuda_templateItEESt5tupleIJNSH_6TensorESM_SM_EERKSM_lbbbEUlllE0_EEPmJS6_EEE10hipError_tPvRmT3_T4_T5_T6_T7_T9_mT8_P12ihipStream_tbDpT10_ENKUlT_T0_E_clISt17integral_constantIbLb1EES1B_IbLb0EEEEDaS17_S18_EUlS17_E_NS1_11comp_targetILNS1_3genE5ELNS1_11target_archE942ELNS1_3gpuE9ELNS1_3repE0EEENS1_30default_config_static_selectorELNS0_4arch9wavefront6targetE1EEEvT1_
; %bb.0:
	s_load_dwordx8 s[20:27], s[0:1], 0x40
	s_load_dwordx4 s[4:7], s[0:1], 0x8
	s_load_dwordx4 s[28:31], s[0:1], 0x60
	s_load_dword s3, s[0:1], 0x70
	s_waitcnt lgkmcnt(0)
	v_mov_b32_e32 v2, s24
	s_lshl_b64 s[8:9], s[6:7], 3
	s_add_u32 s12, s4, s8
	s_mul_i32 s8, s3, 0xe00
	s_addc_u32 s13, s5, s9
	s_add_i32 s10, s3, -1
	s_add_i32 s3, s8, s6
	s_sub_i32 s3, s24, s3
	s_add_u32 s8, s6, s8
	s_addc_u32 s9, s7, 0
	v_mov_b32_e32 v3, s25
	s_cmp_eq_u32 s2, s10
	s_load_dwordx2 s[22:23], s[22:23], 0x0
	v_cmp_ge_u64_e32 vcc, s[8:9], v[2:3]
	s_cselect_b64 s[24:25], -1, 0
	s_mul_i32 s4, s2, 0xe00
	s_mov_b32 s5, 0
	s_and_b64 s[8:9], s[24:25], vcc
	s_xor_b64 s[34:35], s[8:9], -1
	s_lshl_b64 s[4:5], s[4:5], 3
	s_add_u32 s4, s12, s4
	s_mov_b64 s[10:11], -1
	s_addc_u32 s5, s13, s5
	s_and_b64 vcc, exec, s[34:35]
	s_cbranch_vccz .LBB1445_2
; %bb.1:
	v_lshlrev_b32_e32 v2, 3, v0
	v_mov_b32_e32 v3, 0
	v_lshl_add_u64 v[4:5], s[4:5], 0, v[2:3]
	v_add_co_u32_e32 v8, vcc, 0x1000, v4
	global_load_dwordx2 v[6:7], v2, s[4:5]
	s_nop 0
	v_addc_co_u32_e32 v9, vcc, 0, v5, vcc
	v_add_co_u32_e32 v10, vcc, 0x2000, v4
	s_mov_b64 s[10:11], 0
	s_nop 0
	v_addc_co_u32_e32 v11, vcc, 0, v5, vcc
	v_add_co_u32_e32 v12, vcc, 0x3000, v4
	s_nop 1
	v_addc_co_u32_e32 v13, vcc, 0, v5, vcc
	v_add_co_u32_e32 v14, vcc, 0x4000, v4
	s_nop 1
	v_addc_co_u32_e32 v15, vcc, 0, v5, vcc
	global_load_dwordx2 v[16:17], v[8:9], off
	global_load_dwordx2 v[18:19], v[10:11], off
	;; [unrolled: 1-line block ×4, first 2 shown]
	v_add_co_u32_e32 v8, vcc, 0x5000, v4
	s_nop 1
	v_addc_co_u32_e32 v9, vcc, 0, v5, vcc
	v_add_co_u32_e32 v4, vcc, 0x6000, v4
	global_load_dwordx2 v[8:9], v[8:9], off
	s_nop 0
	v_addc_co_u32_e32 v5, vcc, 0, v5, vcc
	global_load_dwordx2 v[4:5], v[4:5], off
	s_waitcnt vmcnt(5)
	ds_write2st64_b64 v2, v[6:7], v[16:17] offset1:8
	s_waitcnt vmcnt(3)
	ds_write2st64_b64 v2, v[18:19], v[20:21] offset0:16 offset1:24
	s_waitcnt vmcnt(1)
	ds_write2st64_b64 v2, v[22:23], v[8:9] offset0:32 offset1:40
	s_waitcnt vmcnt(0)
	ds_write_b64 v2, v[4:5] offset:24576
	s_waitcnt lgkmcnt(0)
	s_barrier
.LBB1445_2:
	s_andn2_b64 vcc, exec, s[10:11]
	s_addk_i32 s3, 0xe00
	s_cbranch_vccnz .LBB1445_18
; %bb.3:
	v_cmp_gt_u32_e32 vcc, s3, v0
                                        ; implicit-def: $vgpr2_vgpr3_vgpr4_vgpr5_vgpr6_vgpr7_vgpr8_vgpr9_vgpr10_vgpr11_vgpr12_vgpr13_vgpr14_vgpr15_vgpr16_vgpr17
	s_and_saveexec_b64 s[10:11], vcc
	s_cbranch_execz .LBB1445_5
; %bb.4:
	v_lshlrev_b32_e32 v1, 3, v0
	global_load_dwordx2 v[2:3], v1, s[4:5]
.LBB1445_5:
	s_or_b64 exec, exec, s[10:11]
	v_or_b32_e32 v1, 0x200, v0
	v_cmp_gt_u32_e32 vcc, s3, v1
	s_and_saveexec_b64 s[10:11], vcc
	s_cbranch_execz .LBB1445_7
; %bb.6:
	v_lshlrev_b32_e32 v1, 3, v1
	global_load_dwordx2 v[4:5], v1, s[4:5]
.LBB1445_7:
	s_or_b64 exec, exec, s[10:11]
	v_or_b32_e32 v1, 0x400, v0
	v_cmp_gt_u32_e32 vcc, s3, v1
	;; [unrolled: 9-line block ×6, first 2 shown]
	s_and_saveexec_b64 s[10:11], vcc
	s_cbranch_execz .LBB1445_17
; %bb.16:
	v_lshlrev_b32_e32 v1, 3, v1
	global_load_dwordx2 v[14:15], v1, s[4:5]
.LBB1445_17:
	s_or_b64 exec, exec, s[10:11]
	v_lshlrev_b32_e32 v1, 3, v0
	s_waitcnt vmcnt(0)
	ds_write2st64_b64 v1, v[2:3], v[4:5] offset1:8
	ds_write2st64_b64 v1, v[6:7], v[8:9] offset0:16 offset1:24
	ds_write2st64_b64 v1, v[10:11], v[12:13] offset0:32 offset1:40
	ds_write_b64 v1, v[14:15] offset:24576
	s_waitcnt lgkmcnt(0)
	s_barrier
.LBB1445_18:
	v_mul_u32_u24_e32 v1, 7, v0
	v_lshlrev_b32_e32 v30, 3, v1
	s_waitcnt lgkmcnt(0)
	ds_read2_b64 v[10:13], v30 offset1:1
	ds_read2_b64 v[6:9], v30 offset0:2 offset1:3
	ds_read2_b64 v[2:5], v30 offset0:4 offset1:5
	ds_read_b64 v[14:15], v30 offset:48
	s_cmp_lg_u32 s2, 0
	s_cselect_b64 s[16:17], -1, 0
	s_cmp_lg_u64 s[6:7], 0
	s_cselect_b64 s[6:7], -1, 0
	s_or_b64 s[6:7], s[16:17], s[6:7]
	v_mad_u32_u24 v25, v0, 7, 1
	v_mad_u32_u24 v24, v0, 7, 2
	;; [unrolled: 1-line block ×6, first 2 shown]
	s_mov_b64 s[10:11], 0
	s_and_b64 vcc, exec, s[6:7]
	v_cmp_gt_i64_e64 s[12:13], s[26:27], 0
	s_waitcnt lgkmcnt(0)
	s_barrier
	s_cbranch_vccz .LBB1445_27
; %bb.19:
	s_add_u32 s4, s4, -8
	s_addc_u32 s5, s5, -1
	s_load_dwordx2 s[6:7], s[4:5], 0x0
	v_cndmask_b32_e64 v16, 0, 1, s[12:13]
	v_lshlrev_b32_e32 v31, 3, v0
	s_and_b64 vcc, exec, s[34:35]
	v_cmp_ne_u32_e64 s[4:5], 1, v16
	ds_write_b64 v31, v[14:15]
	s_cbranch_vccz .LBB1445_29
; %bb.20:
	v_mul_lo_u32 v18, v5, s26
	v_mul_lo_u32 v19, v4, s27
	v_mad_u64_u32 v[16:17], s[12:13], v4, s26, 0
	v_add3_u32 v17, v17, v19, v18
	s_and_b64 vcc, exec, s[4:5]
	v_lshl_add_u64 v[16:17], v[16:17], 1, s[28:29]
	s_cbranch_vccnz .LBB1445_32
; %bb.21:
	v_mul_lo_u32 v20, v15, s26
	v_mul_lo_u32 v21, v14, s27
	v_mad_u64_u32 v[18:19], s[10:11], v14, s26, 0
	v_add3_u32 v19, v19, v21, v20
	v_lshl_add_u64 v[18:19], v[18:19], 1, s[28:29]
	global_load_ushort v20, v[16:17], off
	global_load_ushort v21, v[18:19], off
	s_mov_b64 s[10:11], -1
	s_waitcnt vmcnt(0)
	v_cmp_eq_u16_e32 vcc, v20, v21
	s_and_saveexec_b64 s[12:13], vcc
	s_cbranch_execz .LBB1445_31
; %bb.22:
	s_add_u32 s10, s26, -1
	v_lshl_add_u64 v[18:19], v[18:19], 0, 2
	v_lshl_add_u64 v[20:21], v[16:17], 0, 2
	s_addc_u32 s11, s27, -1
	s_mov_b64 s[14:15], 0
	s_mov_b64 s[36:37], 0
                                        ; implicit-def: $sgpr18_sgpr19
	s_branch .LBB1445_25
.LBB1445_23:                            ;   in Loop: Header=BB1445_25 Depth=1
	global_load_ushort v22, v[20:21], off
	global_load_ushort v23, v[18:19], off
	s_add_u32 s36, s36, 1
	s_addc_u32 s37, s37, 0
	s_andn2_b64 s[18:19], s[18:19], exec
	v_lshl_add_u64 v[18:19], v[18:19], 0, 2
	v_lshl_add_u64 v[20:21], v[20:21], 0, 2
	s_waitcnt vmcnt(0)
	v_cmp_ne_u16_e32 vcc, v22, v23
	s_and_b64 s[38:39], vcc, exec
	s_or_b64 s[18:19], s[18:19], s[38:39]
.LBB1445_24:                            ;   in Loop: Header=BB1445_25 Depth=1
	s_and_b64 s[38:39], exec, s[18:19]
	s_or_b64 s[14:15], s[38:39], s[14:15]
	v_mov_b64_e32 v[22:23], s[36:37]
	s_andn2_b64 exec, exec, s[14:15]
	s_cbranch_execz .LBB1445_30
.LBB1445_25:                            ; =>This Inner Loop Header: Depth=1
	s_or_b64 s[18:19], s[18:19], exec
	s_cmp_eq_u64 s[10:11], s[36:37]
	s_cbranch_scc0 .LBB1445_23
; %bb.26:                               ;   in Loop: Header=BB1445_25 Depth=1
                                        ; implicit-def: $vgpr18_vgpr19
                                        ; implicit-def: $vgpr20_vgpr21
	s_mov_b64 s[36:37], s[26:27]
	s_branch .LBB1445_24
.LBB1445_27:
                                        ; implicit-def: $sgpr18_sgpr19
                                        ; implicit-def: $vgpr34
                                        ; implicit-def: $vgpr33
                                        ; implicit-def: $vgpr32
                                        ; implicit-def: $vgpr20
	s_branch .LBB1445_170
.LBB1445_28:
                                        ; implicit-def: $vgpr16_vgpr17
	s_branch .LBB1445_318
.LBB1445_29:
                                        ; implicit-def: $sgpr18_sgpr19
                                        ; implicit-def: $vgpr34
                                        ; implicit-def: $vgpr33
                                        ; implicit-def: $vgpr32
                                        ; implicit-def: $vgpr20
	s_cbranch_execnz .LBB1445_89
	s_branch .LBB1445_169
.LBB1445_30:
	s_or_b64 exec, exec, s[14:15]
	v_cmp_gt_i64_e32 vcc, s[26:27], v[22:23]
	s_orn2_b64 s[10:11], vcc, exec
.LBB1445_31:
	s_or_b64 exec, exec, s[12:13]
.LBB1445_32:
	v_mul_lo_u32 v20, v3, s26
	v_mul_lo_u32 v21, v2, s27
	v_mad_u64_u32 v[18:19], s[12:13], v2, s26, 0
	v_add3_u32 v19, v19, v21, v20
	s_mov_b64 s[12:13], 0
	s_and_b64 vcc, exec, s[4:5]
	v_lshl_add_u64 v[18:19], v[18:19], 1, s[28:29]
	s_mov_b64 s[14:15], 0
	s_cbranch_vccnz .LBB1445_41
; %bb.33:
	global_load_ushort v20, v[18:19], off
	global_load_ushort v21, v[16:17], off
	s_mov_b64 s[14:15], -1
	s_waitcnt vmcnt(0)
	v_cmp_eq_u16_e32 vcc, v20, v21
	s_and_saveexec_b64 s[18:19], vcc
	s_cbranch_execz .LBB1445_40
; %bb.34:
	s_add_u32 s14, s26, -1
	v_lshl_add_u64 v[16:17], v[16:17], 0, 2
	v_lshl_add_u64 v[20:21], v[18:19], 0, 2
	s_addc_u32 s15, s27, -1
	s_mov_b64 s[36:37], 0
	s_mov_b64 s[40:41], 0
                                        ; implicit-def: $sgpr38_sgpr39
	s_branch .LBB1445_37
.LBB1445_35:                            ;   in Loop: Header=BB1445_37 Depth=1
	global_load_ushort v22, v[20:21], off
	global_load_ushort v23, v[16:17], off
	s_add_u32 s40, s40, 1
	s_addc_u32 s41, s41, 0
	s_andn2_b64 s[38:39], s[38:39], exec
	v_lshl_add_u64 v[16:17], v[16:17], 0, 2
	v_lshl_add_u64 v[20:21], v[20:21], 0, 2
	s_waitcnt vmcnt(0)
	v_cmp_ne_u16_e32 vcc, v22, v23
	s_and_b64 s[42:43], vcc, exec
	s_or_b64 s[38:39], s[38:39], s[42:43]
.LBB1445_36:                            ;   in Loop: Header=BB1445_37 Depth=1
	s_and_b64 s[42:43], exec, s[38:39]
	s_or_b64 s[36:37], s[42:43], s[36:37]
	v_mov_b64_e32 v[22:23], s[40:41]
	s_andn2_b64 exec, exec, s[36:37]
	s_cbranch_execz .LBB1445_39
.LBB1445_37:                            ; =>This Inner Loop Header: Depth=1
	s_or_b64 s[38:39], s[38:39], exec
	s_cmp_eq_u64 s[14:15], s[40:41]
	s_cbranch_scc0 .LBB1445_35
; %bb.38:                               ;   in Loop: Header=BB1445_37 Depth=1
                                        ; implicit-def: $vgpr16_vgpr17
                                        ; implicit-def: $vgpr20_vgpr21
	s_mov_b64 s[40:41], s[26:27]
	s_branch .LBB1445_36
.LBB1445_39:
	s_or_b64 exec, exec, s[36:37]
	v_cmp_gt_i64_e32 vcc, s[26:27], v[22:23]
	s_orn2_b64 s[14:15], vcc, exec
.LBB1445_40:
	s_or_b64 exec, exec, s[18:19]
.LBB1445_41:
	v_mul_lo_u32 v20, v9, s26
	v_mul_lo_u32 v21, v8, s27
	v_mad_u64_u32 v[16:17], s[18:19], v8, s26, 0
	v_add3_u32 v17, v17, v21, v20
	s_and_b64 vcc, exec, s[4:5]
	v_lshl_add_u64 v[16:17], v[16:17], 1, s[28:29]
	s_cbranch_vccnz .LBB1445_50
; %bb.42:
	global_load_ushort v20, v[16:17], off
	global_load_ushort v21, v[18:19], off
	s_mov_b64 s[12:13], -1
	s_waitcnt vmcnt(0)
	v_cmp_eq_u16_e32 vcc, v20, v21
	s_and_saveexec_b64 s[18:19], vcc
	s_cbranch_execz .LBB1445_49
; %bb.43:
	s_add_u32 s12, s26, -1
	v_lshl_add_u64 v[18:19], v[18:19], 0, 2
	v_lshl_add_u64 v[20:21], v[16:17], 0, 2
	s_addc_u32 s13, s27, -1
	s_mov_b64 s[36:37], 0
	s_mov_b64 s[40:41], 0
                                        ; implicit-def: $sgpr38_sgpr39
	s_branch .LBB1445_46
.LBB1445_44:                            ;   in Loop: Header=BB1445_46 Depth=1
	global_load_ushort v22, v[20:21], off
	global_load_ushort v23, v[18:19], off
	s_add_u32 s40, s40, 1
	s_addc_u32 s41, s41, 0
	s_andn2_b64 s[38:39], s[38:39], exec
	v_lshl_add_u64 v[18:19], v[18:19], 0, 2
	v_lshl_add_u64 v[20:21], v[20:21], 0, 2
	s_waitcnt vmcnt(0)
	v_cmp_ne_u16_e32 vcc, v22, v23
	s_and_b64 s[42:43], vcc, exec
	s_or_b64 s[38:39], s[38:39], s[42:43]
.LBB1445_45:                            ;   in Loop: Header=BB1445_46 Depth=1
	s_and_b64 s[42:43], exec, s[38:39]
	s_or_b64 s[36:37], s[42:43], s[36:37]
	v_mov_b64_e32 v[22:23], s[40:41]
	s_andn2_b64 exec, exec, s[36:37]
	s_cbranch_execz .LBB1445_48
.LBB1445_46:                            ; =>This Inner Loop Header: Depth=1
	s_or_b64 s[38:39], s[38:39], exec
	s_cmp_eq_u64 s[12:13], s[40:41]
	s_cbranch_scc0 .LBB1445_44
; %bb.47:                               ;   in Loop: Header=BB1445_46 Depth=1
                                        ; implicit-def: $vgpr18_vgpr19
                                        ; implicit-def: $vgpr20_vgpr21
	s_mov_b64 s[40:41], s[26:27]
	s_branch .LBB1445_45
.LBB1445_48:
	s_or_b64 exec, exec, s[36:37]
	v_cmp_gt_i64_e32 vcc, s[26:27], v[22:23]
	s_orn2_b64 s[12:13], vcc, exec
.LBB1445_49:
	s_or_b64 exec, exec, s[18:19]
.LBB1445_50:
	v_mul_lo_u32 v20, v7, s26
	v_mul_lo_u32 v21, v6, s27
	v_mad_u64_u32 v[18:19], s[18:19], v6, s26, 0
	v_add3_u32 v19, v19, v21, v20
	s_mov_b64 s[18:19], 0
	s_and_b64 vcc, exec, s[4:5]
	v_lshl_add_u64 v[20:21], v[18:19], 1, s[28:29]
	s_mov_b64 s[36:37], 0
	s_cbranch_vccnz .LBB1445_59
; %bb.51:
	global_load_ushort v18, v[20:21], off
	global_load_ushort v19, v[16:17], off
	s_mov_b64 s[36:37], -1
	s_waitcnt vmcnt(0)
	v_cmp_eq_u16_e32 vcc, v18, v19
	s_and_saveexec_b64 s[38:39], vcc
	s_cbranch_execz .LBB1445_58
; %bb.52:
	s_add_u32 s36, s26, -1
	v_lshl_add_u64 v[16:17], v[16:17], 0, 2
	v_lshl_add_u64 v[18:19], v[20:21], 0, 2
	s_addc_u32 s37, s27, -1
	s_mov_b64 s[40:41], 0
	s_mov_b64 s[44:45], 0
                                        ; implicit-def: $sgpr42_sgpr43
	s_branch .LBB1445_55
.LBB1445_53:                            ;   in Loop: Header=BB1445_55 Depth=1
	global_load_ushort v22, v[18:19], off
	global_load_ushort v23, v[16:17], off
	s_add_u32 s44, s44, 1
	s_addc_u32 s45, s45, 0
	s_andn2_b64 s[42:43], s[42:43], exec
	v_lshl_add_u64 v[16:17], v[16:17], 0, 2
	v_lshl_add_u64 v[18:19], v[18:19], 0, 2
	s_waitcnt vmcnt(0)
	v_cmp_ne_u16_e32 vcc, v22, v23
	s_and_b64 s[46:47], vcc, exec
	s_or_b64 s[42:43], s[42:43], s[46:47]
.LBB1445_54:                            ;   in Loop: Header=BB1445_55 Depth=1
	s_and_b64 s[46:47], exec, s[42:43]
	s_or_b64 s[40:41], s[46:47], s[40:41]
	v_mov_b64_e32 v[22:23], s[44:45]
	s_andn2_b64 exec, exec, s[40:41]
	s_cbranch_execz .LBB1445_57
.LBB1445_55:                            ; =>This Inner Loop Header: Depth=1
	s_or_b64 s[42:43], s[42:43], exec
	s_cmp_eq_u64 s[36:37], s[44:45]
	s_cbranch_scc0 .LBB1445_53
; %bb.56:                               ;   in Loop: Header=BB1445_55 Depth=1
                                        ; implicit-def: $vgpr16_vgpr17
                                        ; implicit-def: $vgpr18_vgpr19
	s_mov_b64 s[44:45], s[26:27]
	s_branch .LBB1445_54
.LBB1445_57:
	s_or_b64 exec, exec, s[40:41]
	v_cmp_gt_i64_e32 vcc, s[26:27], v[22:23]
	s_orn2_b64 s[36:37], vcc, exec
.LBB1445_58:
	s_or_b64 exec, exec, s[38:39]
.LBB1445_59:
	v_mul_lo_u32 v18, v13, s26
	v_mul_lo_u32 v19, v12, s27
	v_mad_u64_u32 v[16:17], s[38:39], v12, s26, 0
	v_add3_u32 v17, v17, v19, v18
	s_and_b64 vcc, exec, s[4:5]
	v_lshl_add_u64 v[18:19], v[16:17], 1, s[28:29]
	s_cbranch_vccnz .LBB1445_68
; %bb.60:
	global_load_ushort v16, v[18:19], off
	global_load_ushort v17, v[20:21], off
	s_mov_b64 s[18:19], -1
	s_waitcnt vmcnt(0)
	v_cmp_eq_u16_e32 vcc, v16, v17
	s_and_saveexec_b64 s[38:39], vcc
	s_cbranch_execz .LBB1445_67
; %bb.61:
	s_add_u32 s18, s26, -1
	v_lshl_add_u64 v[16:17], v[20:21], 0, 2
	v_lshl_add_u64 v[20:21], v[18:19], 0, 2
	s_addc_u32 s19, s27, -1
	s_mov_b64 s[40:41], 0
	s_mov_b64 s[44:45], 0
                                        ; implicit-def: $sgpr42_sgpr43
	s_branch .LBB1445_64
.LBB1445_62:                            ;   in Loop: Header=BB1445_64 Depth=1
	global_load_ushort v22, v[20:21], off
	global_load_ushort v23, v[16:17], off
	s_add_u32 s44, s44, 1
	s_addc_u32 s45, s45, 0
	s_andn2_b64 s[42:43], s[42:43], exec
	v_lshl_add_u64 v[16:17], v[16:17], 0, 2
	v_lshl_add_u64 v[20:21], v[20:21], 0, 2
	s_waitcnt vmcnt(0)
	v_cmp_ne_u16_e32 vcc, v22, v23
	s_and_b64 s[46:47], vcc, exec
	s_or_b64 s[42:43], s[42:43], s[46:47]
.LBB1445_63:                            ;   in Loop: Header=BB1445_64 Depth=1
	s_and_b64 s[46:47], exec, s[42:43]
	s_or_b64 s[40:41], s[46:47], s[40:41]
	v_mov_b64_e32 v[22:23], s[44:45]
	s_andn2_b64 exec, exec, s[40:41]
	s_cbranch_execz .LBB1445_66
.LBB1445_64:                            ; =>This Inner Loop Header: Depth=1
	s_or_b64 s[42:43], s[42:43], exec
	s_cmp_eq_u64 s[18:19], s[44:45]
	s_cbranch_scc0 .LBB1445_62
; %bb.65:                               ;   in Loop: Header=BB1445_64 Depth=1
                                        ; implicit-def: $vgpr16_vgpr17
                                        ; implicit-def: $vgpr20_vgpr21
	s_mov_b64 s[44:45], s[26:27]
	s_branch .LBB1445_63
.LBB1445_66:
	s_or_b64 exec, exec, s[40:41]
	v_cmp_gt_i64_e32 vcc, s[26:27], v[22:23]
	s_orn2_b64 s[18:19], vcc, exec
.LBB1445_67:
	s_or_b64 exec, exec, s[38:39]
.LBB1445_68:
	v_mul_lo_u32 v20, v11, s26
	v_mul_lo_u32 v21, v10, s27
	v_mad_u64_u32 v[16:17], s[38:39], v10, s26, 0
	v_add3_u32 v17, v17, v21, v20
	s_mov_b64 s[40:41], 0
	s_and_b64 vcc, exec, s[4:5]
	v_lshl_add_u64 v[16:17], v[16:17], 1, s[28:29]
	s_cbranch_vccnz .LBB1445_77
; %bb.69:
	global_load_ushort v20, v[16:17], off
	global_load_ushort v21, v[18:19], off
	s_mov_b64 s[40:41], -1
	s_waitcnt vmcnt(0)
	v_cmp_eq_u16_e32 vcc, v20, v21
	s_and_saveexec_b64 s[38:39], vcc
	s_cbranch_execz .LBB1445_76
; %bb.70:
	s_add_u32 s40, s26, -1
	v_lshl_add_u64 v[18:19], v[18:19], 0, 2
	v_lshl_add_u64 v[20:21], v[16:17], 0, 2
	s_addc_u32 s41, s27, -1
	s_mov_b64 s[42:43], 0
	s_mov_b64 s[46:47], 0
                                        ; implicit-def: $sgpr44_sgpr45
	s_branch .LBB1445_73
.LBB1445_71:                            ;   in Loop: Header=BB1445_73 Depth=1
	global_load_ushort v22, v[20:21], off
	global_load_ushort v23, v[18:19], off
	s_add_u32 s46, s46, 1
	s_addc_u32 s47, s47, 0
	s_andn2_b64 s[44:45], s[44:45], exec
	v_lshl_add_u64 v[18:19], v[18:19], 0, 2
	v_lshl_add_u64 v[20:21], v[20:21], 0, 2
	s_waitcnt vmcnt(0)
	v_cmp_ne_u16_e32 vcc, v22, v23
	s_and_b64 s[48:49], vcc, exec
	s_or_b64 s[44:45], s[44:45], s[48:49]
.LBB1445_72:                            ;   in Loop: Header=BB1445_73 Depth=1
	s_and_b64 s[48:49], exec, s[44:45]
	s_or_b64 s[42:43], s[48:49], s[42:43]
	v_mov_b64_e32 v[22:23], s[46:47]
	s_andn2_b64 exec, exec, s[42:43]
	s_cbranch_execz .LBB1445_75
.LBB1445_73:                            ; =>This Inner Loop Header: Depth=1
	s_or_b64 s[44:45], s[44:45], exec
	s_cmp_eq_u64 s[40:41], s[46:47]
	s_cbranch_scc0 .LBB1445_71
; %bb.74:                               ;   in Loop: Header=BB1445_73 Depth=1
                                        ; implicit-def: $vgpr18_vgpr19
                                        ; implicit-def: $vgpr20_vgpr21
	s_mov_b64 s[46:47], s[26:27]
	s_branch .LBB1445_72
.LBB1445_75:
	s_or_b64 exec, exec, s[42:43]
	v_cmp_gt_i64_e32 vcc, s[26:27], v[22:23]
	s_orn2_b64 s[40:41], vcc, exec
.LBB1445_76:
	s_or_b64 exec, exec, s[38:39]
.LBB1445_77:
	v_cmp_ne_u32_e32 vcc, 0, v0
	s_waitcnt lgkmcnt(0)
	v_mov_b64_e32 v[18:19], s[6:7]
	s_barrier
	s_and_saveexec_b64 s[38:39], vcc
	s_cbranch_execz .LBB1445_79
; %bb.78:
	v_add_u32_e32 v18, -8, v31
	ds_read_b64 v[18:19], v18
.LBB1445_79:
	s_or_b64 exec, exec, s[38:39]
	v_cndmask_b32_e64 v21, 0, 1, s[36:37]
	v_cndmask_b32_e64 v20, 0, 1, s[18:19]
	;; [unrolled: 1-line block ×3, first 2 shown]
	v_lshlrev_b16_e32 v21, 8, v21
	v_lshlrev_b16_e32 v22, 8, v22
	v_or_b32_sdwa v23, v20, v21 dst_sel:WORD_1 dst_unused:UNUSED_PAD src0_sel:DWORD src1_sel:DWORD
	s_mov_b64 s[36:37], 0
	s_and_b64 vcc, exec, s[4:5]
	s_mov_b64 s[18:19], 0
	s_cbranch_vccnz .LBB1445_88
; %bb.80:
	s_waitcnt lgkmcnt(0)
	v_mul_lo_u32 v20, v19, s26
	v_mul_lo_u32 v21, v18, s27
	v_mad_u64_u32 v[18:19], s[18:19], v18, s26, 0
	v_add3_u32 v19, v19, v21, v20
	v_lshl_add_u64 v[18:19], v[18:19], 1, s[28:29]
	global_load_ushort v20, v[18:19], off
	global_load_ushort v21, v[16:17], off
	s_mov_b64 s[18:19], -1
	s_waitcnt vmcnt(0)
	v_cmp_eq_u16_e32 vcc, v20, v21
	s_and_saveexec_b64 s[38:39], vcc
	s_cbranch_execz .LBB1445_87
; %bb.81:
	s_add_u32 s18, s26, -1
	v_lshl_add_u64 v[16:17], v[16:17], 0, 2
	v_lshl_add_u64 v[18:19], v[18:19], 0, 2
	s_addc_u32 s19, s27, -1
	s_mov_b64 s[40:41], 0
	s_mov_b64 s[44:45], 0
                                        ; implicit-def: $sgpr42_sgpr43
	s_branch .LBB1445_84
.LBB1445_82:                            ;   in Loop: Header=BB1445_84 Depth=1
	global_load_ushort v20, v[18:19], off
	global_load_ushort v21, v[16:17], off
	s_add_u32 s44, s44, 1
	s_addc_u32 s45, s45, 0
	s_andn2_b64 s[42:43], s[42:43], exec
	v_lshl_add_u64 v[16:17], v[16:17], 0, 2
	v_lshl_add_u64 v[18:19], v[18:19], 0, 2
	s_waitcnt vmcnt(0)
	v_cmp_ne_u16_e32 vcc, v20, v21
	s_and_b64 s[46:47], vcc, exec
	s_or_b64 s[42:43], s[42:43], s[46:47]
.LBB1445_83:                            ;   in Loop: Header=BB1445_84 Depth=1
	s_and_b64 s[46:47], exec, s[42:43]
	s_or_b64 s[40:41], s[46:47], s[40:41]
	v_mov_b64_e32 v[20:21], s[44:45]
	s_andn2_b64 exec, exec, s[40:41]
	s_cbranch_execz .LBB1445_86
.LBB1445_84:                            ; =>This Inner Loop Header: Depth=1
	s_or_b64 s[42:43], s[42:43], exec
	s_cmp_eq_u64 s[18:19], s[44:45]
	s_cbranch_scc0 .LBB1445_82
; %bb.85:                               ;   in Loop: Header=BB1445_84 Depth=1
                                        ; implicit-def: $vgpr16_vgpr17
                                        ; implicit-def: $vgpr18_vgpr19
	s_mov_b64 s[44:45], s[26:27]
	s_branch .LBB1445_83
.LBB1445_86:
	s_or_b64 exec, exec, s[40:41]
	v_cmp_gt_i64_e32 vcc, s[26:27], v[20:21]
	s_orn2_b64 s[18:19], vcc, exec
.LBB1445_87:
	s_or_b64 exec, exec, s[38:39]
.LBB1445_88:
	v_cndmask_b32_e64 v32, 0, 1, s[12:13]
	v_cndmask_b32_e64 v33, 0, 1, s[14:15]
	;; [unrolled: 1-line block ×3, first 2 shown]
	v_or_b32_e32 v20, v22, v23
	s_and_b64 vcc, exec, s[36:37]
	s_cbranch_vccz .LBB1445_169
.LBB1445_89:
	v_cmp_gt_u32_e32 vcc, s3, v27
	s_mov_b64 s[12:13], 0
	s_mov_b64 s[10:11], 0
	s_and_saveexec_b64 s[14:15], vcc
	s_cbranch_execz .LBB1445_100
; %bb.90:
	s_and_b64 vcc, exec, s[4:5]
	s_mov_b64 s[18:19], 0
	s_cbranch_vccnz .LBB1445_99
; %bb.91:
	s_waitcnt lgkmcnt(0)
	v_mul_lo_u32 v18, v5, s26
	v_mul_lo_u32 v19, v4, s27
	v_mad_u64_u32 v[16:17], s[10:11], v4, s26, 0
	v_add3_u32 v17, v17, v19, v18
	v_mul_lo_u32 v18, v15, s26
	v_mul_lo_u32 v19, v14, s27
	v_mad_u64_u32 v[20:21], s[10:11], v14, s26, 0
	v_add3_u32 v21, v21, v19, v18
	v_lshl_add_u64 v[18:19], v[16:17], 1, s[28:29]
	v_lshl_add_u64 v[16:17], v[20:21], 1, s[28:29]
	global_load_ushort v20, v[18:19], off
	global_load_ushort v21, v[16:17], off
	s_mov_b64 s[18:19], -1
	s_waitcnt vmcnt(0)
	v_cmp_eq_u16_e32 vcc, v20, v21
	s_and_saveexec_b64 s[10:11], vcc
	s_cbranch_execz .LBB1445_98
; %bb.92:
	s_add_u32 s18, s26, -1
	v_lshl_add_u64 v[16:17], v[16:17], 0, 2
	v_lshl_add_u64 v[18:19], v[18:19], 0, 2
	s_addc_u32 s19, s27, -1
	s_mov_b64 s[36:37], 0
	s_mov_b64 s[40:41], 0
                                        ; implicit-def: $sgpr38_sgpr39
	s_branch .LBB1445_95
.LBB1445_93:                            ;   in Loop: Header=BB1445_95 Depth=1
	global_load_ushort v20, v[18:19], off
	global_load_ushort v21, v[16:17], off
	s_add_u32 s40, s40, 1
	s_addc_u32 s41, s41, 0
	s_andn2_b64 s[38:39], s[38:39], exec
	v_lshl_add_u64 v[16:17], v[16:17], 0, 2
	v_lshl_add_u64 v[18:19], v[18:19], 0, 2
	s_waitcnt vmcnt(0)
	v_cmp_ne_u16_e32 vcc, v20, v21
	s_and_b64 s[42:43], vcc, exec
	s_or_b64 s[38:39], s[38:39], s[42:43]
.LBB1445_94:                            ;   in Loop: Header=BB1445_95 Depth=1
	s_and_b64 s[42:43], exec, s[38:39]
	s_or_b64 s[36:37], s[42:43], s[36:37]
	v_mov_b64_e32 v[20:21], s[40:41]
	s_andn2_b64 exec, exec, s[36:37]
	s_cbranch_execz .LBB1445_97
.LBB1445_95:                            ; =>This Inner Loop Header: Depth=1
	s_or_b64 s[38:39], s[38:39], exec
	s_cmp_eq_u64 s[18:19], s[40:41]
	s_cbranch_scc0 .LBB1445_93
; %bb.96:                               ;   in Loop: Header=BB1445_95 Depth=1
                                        ; implicit-def: $vgpr16_vgpr17
                                        ; implicit-def: $vgpr18_vgpr19
	s_mov_b64 s[40:41], s[26:27]
	s_branch .LBB1445_94
.LBB1445_97:
	s_or_b64 exec, exec, s[36:37]
	v_cmp_gt_i64_e32 vcc, s[26:27], v[20:21]
	s_orn2_b64 s[18:19], vcc, exec
.LBB1445_98:
	s_or_b64 exec, exec, s[10:11]
.LBB1445_99:
	s_and_b64 s[10:11], s[18:19], exec
.LBB1445_100:
	s_or_b64 exec, exec, s[14:15]
	v_cmp_gt_u32_e32 vcc, s3, v29
	s_and_saveexec_b64 s[14:15], vcc
	s_cbranch_execz .LBB1445_111
; %bb.101:
	s_and_b64 vcc, exec, s[4:5]
	s_mov_b64 s[18:19], 0
	s_cbranch_vccnz .LBB1445_110
; %bb.102:
	s_waitcnt lgkmcnt(0)
	v_mul_lo_u32 v18, v3, s26
	v_mul_lo_u32 v19, v2, s27
	v_mad_u64_u32 v[16:17], s[12:13], v2, s26, 0
	v_add3_u32 v17, v17, v19, v18
	v_mul_lo_u32 v18, v5, s26
	v_mul_lo_u32 v19, v4, s27
	v_mad_u64_u32 v[20:21], s[12:13], v4, s26, 0
	v_add3_u32 v21, v21, v19, v18
	v_lshl_add_u64 v[18:19], v[16:17], 1, s[28:29]
	v_lshl_add_u64 v[16:17], v[20:21], 1, s[28:29]
	global_load_ushort v20, v[18:19], off
	global_load_ushort v21, v[16:17], off
	s_mov_b64 s[18:19], -1
	s_waitcnt vmcnt(0)
	v_cmp_eq_u16_e32 vcc, v20, v21
	s_and_saveexec_b64 s[12:13], vcc
	s_cbranch_execz .LBB1445_109
; %bb.103:
	s_add_u32 s18, s26, -1
	v_lshl_add_u64 v[16:17], v[16:17], 0, 2
	v_lshl_add_u64 v[18:19], v[18:19], 0, 2
	s_addc_u32 s19, s27, -1
	s_mov_b64 s[36:37], 0
	s_mov_b64 s[40:41], 0
                                        ; implicit-def: $sgpr38_sgpr39
	s_branch .LBB1445_106
.LBB1445_104:                           ;   in Loop: Header=BB1445_106 Depth=1
	global_load_ushort v20, v[18:19], off
	global_load_ushort v21, v[16:17], off
	s_add_u32 s40, s40, 1
	s_addc_u32 s41, s41, 0
	s_andn2_b64 s[38:39], s[38:39], exec
	v_lshl_add_u64 v[16:17], v[16:17], 0, 2
	v_lshl_add_u64 v[18:19], v[18:19], 0, 2
	s_waitcnt vmcnt(0)
	v_cmp_ne_u16_e32 vcc, v20, v21
	s_and_b64 s[42:43], vcc, exec
	s_or_b64 s[38:39], s[38:39], s[42:43]
.LBB1445_105:                           ;   in Loop: Header=BB1445_106 Depth=1
	s_and_b64 s[42:43], exec, s[38:39]
	s_or_b64 s[36:37], s[42:43], s[36:37]
	v_mov_b64_e32 v[20:21], s[40:41]
	s_andn2_b64 exec, exec, s[36:37]
	s_cbranch_execz .LBB1445_108
.LBB1445_106:                           ; =>This Inner Loop Header: Depth=1
	s_or_b64 s[38:39], s[38:39], exec
	s_cmp_eq_u64 s[18:19], s[40:41]
	s_cbranch_scc0 .LBB1445_104
; %bb.107:                              ;   in Loop: Header=BB1445_106 Depth=1
                                        ; implicit-def: $vgpr16_vgpr17
                                        ; implicit-def: $vgpr18_vgpr19
	s_mov_b64 s[40:41], s[26:27]
	s_branch .LBB1445_105
.LBB1445_108:
	s_or_b64 exec, exec, s[36:37]
	v_cmp_gt_i64_e32 vcc, s[26:27], v[20:21]
	s_orn2_b64 s[18:19], vcc, exec
.LBB1445_109:
	s_or_b64 exec, exec, s[12:13]
.LBB1445_110:
	s_and_b64 s[12:13], s[18:19], exec
.LBB1445_111:
	s_or_b64 exec, exec, s[14:15]
	v_cmp_gt_u32_e32 vcc, s3, v26
	s_mov_b64 s[18:19], 0
	s_mov_b64 s[14:15], 0
	s_and_saveexec_b64 s[36:37], vcc
	s_cbranch_execz .LBB1445_122
; %bb.112:
	s_and_b64 vcc, exec, s[4:5]
	s_mov_b64 s[38:39], 0
	s_cbranch_vccnz .LBB1445_121
; %bb.113:
	s_waitcnt lgkmcnt(0)
	v_mul_lo_u32 v18, v9, s26
	v_mul_lo_u32 v19, v8, s27
	v_mad_u64_u32 v[16:17], s[14:15], v8, s26, 0
	v_add3_u32 v17, v17, v19, v18
	v_mul_lo_u32 v18, v3, s26
	v_mul_lo_u32 v19, v2, s27
	v_mad_u64_u32 v[20:21], s[14:15], v2, s26, 0
	v_add3_u32 v21, v21, v19, v18
	v_lshl_add_u64 v[18:19], v[16:17], 1, s[28:29]
	v_lshl_add_u64 v[16:17], v[20:21], 1, s[28:29]
	global_load_ushort v20, v[18:19], off
	global_load_ushort v21, v[16:17], off
	s_mov_b64 s[38:39], -1
	s_waitcnt vmcnt(0)
	v_cmp_eq_u16_e32 vcc, v20, v21
	s_and_saveexec_b64 s[14:15], vcc
	s_cbranch_execz .LBB1445_120
; %bb.114:
	s_add_u32 s38, s26, -1
	v_lshl_add_u64 v[16:17], v[16:17], 0, 2
	v_lshl_add_u64 v[18:19], v[18:19], 0, 2
	s_addc_u32 s39, s27, -1
	s_mov_b64 s[40:41], 0
	s_mov_b64 s[44:45], 0
                                        ; implicit-def: $sgpr42_sgpr43
	s_branch .LBB1445_117
.LBB1445_115:                           ;   in Loop: Header=BB1445_117 Depth=1
	global_load_ushort v20, v[18:19], off
	global_load_ushort v21, v[16:17], off
	s_add_u32 s44, s44, 1
	s_addc_u32 s45, s45, 0
	s_andn2_b64 s[42:43], s[42:43], exec
	v_lshl_add_u64 v[16:17], v[16:17], 0, 2
	v_lshl_add_u64 v[18:19], v[18:19], 0, 2
	s_waitcnt vmcnt(0)
	v_cmp_ne_u16_e32 vcc, v20, v21
	s_and_b64 s[46:47], vcc, exec
	s_or_b64 s[42:43], s[42:43], s[46:47]
.LBB1445_116:                           ;   in Loop: Header=BB1445_117 Depth=1
	s_and_b64 s[46:47], exec, s[42:43]
	s_or_b64 s[40:41], s[46:47], s[40:41]
	v_mov_b64_e32 v[20:21], s[44:45]
	s_andn2_b64 exec, exec, s[40:41]
	s_cbranch_execz .LBB1445_119
.LBB1445_117:                           ; =>This Inner Loop Header: Depth=1
	s_or_b64 s[42:43], s[42:43], exec
	s_cmp_eq_u64 s[38:39], s[44:45]
	s_cbranch_scc0 .LBB1445_115
; %bb.118:                              ;   in Loop: Header=BB1445_117 Depth=1
                                        ; implicit-def: $vgpr16_vgpr17
                                        ; implicit-def: $vgpr18_vgpr19
	s_mov_b64 s[44:45], s[26:27]
	s_branch .LBB1445_116
.LBB1445_119:
	s_or_b64 exec, exec, s[40:41]
	v_cmp_gt_i64_e32 vcc, s[26:27], v[20:21]
	s_orn2_b64 s[38:39], vcc, exec
.LBB1445_120:
	s_or_b64 exec, exec, s[14:15]
.LBB1445_121:
	s_and_b64 s[14:15], s[38:39], exec
.LBB1445_122:
	s_or_b64 exec, exec, s[36:37]
	v_cmp_gt_u32_e32 vcc, s3, v28
	s_and_saveexec_b64 s[36:37], vcc
	s_cbranch_execz .LBB1445_133
; %bb.123:
	s_and_b64 vcc, exec, s[4:5]
	s_mov_b64 s[38:39], 0
	s_cbranch_vccnz .LBB1445_132
; %bb.124:
	s_waitcnt lgkmcnt(0)
	v_mul_lo_u32 v18, v7, s26
	v_mul_lo_u32 v19, v6, s27
	v_mad_u64_u32 v[16:17], s[18:19], v6, s26, 0
	v_add3_u32 v17, v17, v19, v18
	v_mul_lo_u32 v18, v9, s26
	v_mul_lo_u32 v19, v8, s27
	v_mad_u64_u32 v[20:21], s[18:19], v8, s26, 0
	v_add3_u32 v21, v21, v19, v18
	v_lshl_add_u64 v[18:19], v[16:17], 1, s[28:29]
	v_lshl_add_u64 v[16:17], v[20:21], 1, s[28:29]
	global_load_ushort v20, v[18:19], off
	global_load_ushort v21, v[16:17], off
	s_mov_b64 s[38:39], -1
	s_waitcnt vmcnt(0)
	v_cmp_eq_u16_e32 vcc, v20, v21
	s_and_saveexec_b64 s[18:19], vcc
	s_cbranch_execz .LBB1445_131
; %bb.125:
	s_add_u32 s38, s26, -1
	v_lshl_add_u64 v[16:17], v[16:17], 0, 2
	v_lshl_add_u64 v[18:19], v[18:19], 0, 2
	s_addc_u32 s39, s27, -1
	s_mov_b64 s[40:41], 0
	s_mov_b64 s[44:45], 0
                                        ; implicit-def: $sgpr42_sgpr43
	s_branch .LBB1445_128
.LBB1445_126:                           ;   in Loop: Header=BB1445_128 Depth=1
	global_load_ushort v20, v[18:19], off
	global_load_ushort v21, v[16:17], off
	s_add_u32 s44, s44, 1
	s_addc_u32 s45, s45, 0
	s_andn2_b64 s[42:43], s[42:43], exec
	v_lshl_add_u64 v[16:17], v[16:17], 0, 2
	v_lshl_add_u64 v[18:19], v[18:19], 0, 2
	s_waitcnt vmcnt(0)
	v_cmp_ne_u16_e32 vcc, v20, v21
	s_and_b64 s[46:47], vcc, exec
	s_or_b64 s[42:43], s[42:43], s[46:47]
.LBB1445_127:                           ;   in Loop: Header=BB1445_128 Depth=1
	s_and_b64 s[46:47], exec, s[42:43]
	s_or_b64 s[40:41], s[46:47], s[40:41]
	v_mov_b64_e32 v[20:21], s[44:45]
	s_andn2_b64 exec, exec, s[40:41]
	s_cbranch_execz .LBB1445_130
.LBB1445_128:                           ; =>This Inner Loop Header: Depth=1
	s_or_b64 s[42:43], s[42:43], exec
	s_cmp_eq_u64 s[38:39], s[44:45]
	s_cbranch_scc0 .LBB1445_126
; %bb.129:                              ;   in Loop: Header=BB1445_128 Depth=1
                                        ; implicit-def: $vgpr16_vgpr17
                                        ; implicit-def: $vgpr18_vgpr19
	s_mov_b64 s[44:45], s[26:27]
	s_branch .LBB1445_127
.LBB1445_130:
	s_or_b64 exec, exec, s[40:41]
	v_cmp_gt_i64_e32 vcc, s[26:27], v[20:21]
	s_orn2_b64 s[38:39], vcc, exec
.LBB1445_131:
	s_or_b64 exec, exec, s[18:19]
.LBB1445_132:
	s_and_b64 s[18:19], s[38:39], exec
.LBB1445_133:
	s_or_b64 exec, exec, s[36:37]
	v_cmp_gt_u32_e32 vcc, s3, v24
	s_mov_b64 s[36:37], 0
	s_mov_b64 s[38:39], 0
	s_and_saveexec_b64 s[40:41], vcc
	s_cbranch_execz .LBB1445_144
; %bb.134:
	s_and_b64 vcc, exec, s[4:5]
	s_mov_b64 s[42:43], 0
	s_cbranch_vccnz .LBB1445_143
; %bb.135:
	s_waitcnt lgkmcnt(0)
	v_mul_lo_u32 v18, v13, s26
	v_mul_lo_u32 v19, v12, s27
	v_mad_u64_u32 v[16:17], s[38:39], v12, s26, 0
	v_add3_u32 v17, v17, v19, v18
	v_mul_lo_u32 v18, v7, s26
	v_mul_lo_u32 v19, v6, s27
	v_mad_u64_u32 v[20:21], s[38:39], v6, s26, 0
	v_add3_u32 v21, v21, v19, v18
	v_lshl_add_u64 v[18:19], v[16:17], 1, s[28:29]
	v_lshl_add_u64 v[16:17], v[20:21], 1, s[28:29]
	global_load_ushort v20, v[18:19], off
	global_load_ushort v21, v[16:17], off
	s_mov_b64 s[42:43], -1
	s_waitcnt vmcnt(0)
	v_cmp_eq_u16_e32 vcc, v20, v21
	s_and_saveexec_b64 s[38:39], vcc
	s_cbranch_execz .LBB1445_142
; %bb.136:
	s_add_u32 s42, s26, -1
	v_lshl_add_u64 v[16:17], v[16:17], 0, 2
	v_lshl_add_u64 v[18:19], v[18:19], 0, 2
	s_addc_u32 s43, s27, -1
	s_mov_b64 s[44:45], 0
	s_mov_b64 s[48:49], 0
                                        ; implicit-def: $sgpr46_sgpr47
	s_branch .LBB1445_139
.LBB1445_137:                           ;   in Loop: Header=BB1445_139 Depth=1
	global_load_ushort v20, v[18:19], off
	global_load_ushort v21, v[16:17], off
	s_add_u32 s48, s48, 1
	s_addc_u32 s49, s49, 0
	s_andn2_b64 s[46:47], s[46:47], exec
	v_lshl_add_u64 v[16:17], v[16:17], 0, 2
	v_lshl_add_u64 v[18:19], v[18:19], 0, 2
	s_waitcnt vmcnt(0)
	v_cmp_ne_u16_e32 vcc, v20, v21
	s_and_b64 s[50:51], vcc, exec
	s_or_b64 s[46:47], s[46:47], s[50:51]
.LBB1445_138:                           ;   in Loop: Header=BB1445_139 Depth=1
	s_and_b64 s[50:51], exec, s[46:47]
	s_or_b64 s[44:45], s[50:51], s[44:45]
	v_mov_b64_e32 v[20:21], s[48:49]
	s_andn2_b64 exec, exec, s[44:45]
	s_cbranch_execz .LBB1445_141
.LBB1445_139:                           ; =>This Inner Loop Header: Depth=1
	s_or_b64 s[46:47], s[46:47], exec
	s_cmp_eq_u64 s[42:43], s[48:49]
	s_cbranch_scc0 .LBB1445_137
; %bb.140:                              ;   in Loop: Header=BB1445_139 Depth=1
                                        ; implicit-def: $vgpr16_vgpr17
                                        ; implicit-def: $vgpr18_vgpr19
	s_mov_b64 s[48:49], s[26:27]
	s_branch .LBB1445_138
.LBB1445_141:
	s_or_b64 exec, exec, s[44:45]
	v_cmp_gt_i64_e32 vcc, s[26:27], v[20:21]
	s_orn2_b64 s[42:43], vcc, exec
.LBB1445_142:
	s_or_b64 exec, exec, s[38:39]
.LBB1445_143:
	s_and_b64 s[38:39], s[42:43], exec
.LBB1445_144:
	s_or_b64 exec, exec, s[40:41]
	v_cmp_gt_u32_e32 vcc, s3, v25
	s_and_saveexec_b64 s[40:41], vcc
	s_cbranch_execz .LBB1445_155
; %bb.145:
	s_and_b64 vcc, exec, s[4:5]
	s_mov_b64 s[42:43], 0
	s_cbranch_vccnz .LBB1445_154
; %bb.146:
	s_waitcnt lgkmcnt(0)
	v_mul_lo_u32 v18, v11, s26
	v_mul_lo_u32 v19, v10, s27
	v_mad_u64_u32 v[16:17], s[36:37], v10, s26, 0
	v_add3_u32 v17, v17, v19, v18
	v_mul_lo_u32 v18, v13, s26
	v_mul_lo_u32 v19, v12, s27
	v_mad_u64_u32 v[20:21], s[36:37], v12, s26, 0
	v_add3_u32 v21, v21, v19, v18
	v_lshl_add_u64 v[18:19], v[16:17], 1, s[28:29]
	v_lshl_add_u64 v[16:17], v[20:21], 1, s[28:29]
	global_load_ushort v20, v[18:19], off
	global_load_ushort v21, v[16:17], off
	s_mov_b64 s[42:43], -1
	s_waitcnt vmcnt(0)
	v_cmp_eq_u16_e32 vcc, v20, v21
	s_and_saveexec_b64 s[36:37], vcc
	s_cbranch_execz .LBB1445_153
; %bb.147:
	s_add_u32 s42, s26, -1
	v_lshl_add_u64 v[16:17], v[16:17], 0, 2
	v_lshl_add_u64 v[18:19], v[18:19], 0, 2
	s_addc_u32 s43, s27, -1
	s_mov_b64 s[44:45], 0
	s_mov_b64 s[48:49], 0
                                        ; implicit-def: $sgpr46_sgpr47
	s_branch .LBB1445_150
.LBB1445_148:                           ;   in Loop: Header=BB1445_150 Depth=1
	global_load_ushort v20, v[18:19], off
	global_load_ushort v21, v[16:17], off
	s_add_u32 s48, s48, 1
	s_addc_u32 s49, s49, 0
	s_andn2_b64 s[46:47], s[46:47], exec
	v_lshl_add_u64 v[16:17], v[16:17], 0, 2
	v_lshl_add_u64 v[18:19], v[18:19], 0, 2
	s_waitcnt vmcnt(0)
	v_cmp_ne_u16_e32 vcc, v20, v21
	s_and_b64 s[50:51], vcc, exec
	s_or_b64 s[46:47], s[46:47], s[50:51]
.LBB1445_149:                           ;   in Loop: Header=BB1445_150 Depth=1
	s_and_b64 s[50:51], exec, s[46:47]
	s_or_b64 s[44:45], s[50:51], s[44:45]
	v_mov_b64_e32 v[20:21], s[48:49]
	s_andn2_b64 exec, exec, s[44:45]
	s_cbranch_execz .LBB1445_152
.LBB1445_150:                           ; =>This Inner Loop Header: Depth=1
	s_or_b64 s[46:47], s[46:47], exec
	s_cmp_eq_u64 s[42:43], s[48:49]
	s_cbranch_scc0 .LBB1445_148
; %bb.151:                              ;   in Loop: Header=BB1445_150 Depth=1
                                        ; implicit-def: $vgpr16_vgpr17
                                        ; implicit-def: $vgpr18_vgpr19
	s_mov_b64 s[48:49], s[26:27]
	s_branch .LBB1445_149
.LBB1445_152:
	s_or_b64 exec, exec, s[44:45]
	v_cmp_gt_i64_e32 vcc, s[26:27], v[20:21]
	s_orn2_b64 s[42:43], vcc, exec
.LBB1445_153:
	s_or_b64 exec, exec, s[36:37]
.LBB1445_154:
	s_and_b64 s[36:37], s[42:43], exec
.LBB1445_155:
	s_or_b64 exec, exec, s[40:41]
	v_cmp_ne_u32_e32 vcc, 0, v0
	s_waitcnt lgkmcnt(0)
	v_mov_b64_e32 v[16:17], s[6:7]
	s_barrier
	s_and_saveexec_b64 s[6:7], vcc
	s_cbranch_execz .LBB1445_157
; %bb.156:
	v_add_u32_e32 v16, -8, v31
	ds_read_b64 v[16:17], v16
.LBB1445_157:
	s_or_b64 exec, exec, s[6:7]
	v_cndmask_b32_e64 v19, 0, 1, s[18:19]
	v_cndmask_b32_e64 v18, 0, 1, s[38:39]
	;; [unrolled: 1-line block ×3, first 2 shown]
	v_lshlrev_b16_e32 v19, 8, v19
	v_cmp_gt_u32_e32 vcc, s3, v1
	v_lshlrev_b16_e32 v22, 8, v20
	v_or_b32_sdwa v23, v18, v19 dst_sel:WORD_1 dst_unused:UNUSED_PAD src0_sel:DWORD src1_sel:DWORD
	s_mov_b64 s[18:19], 0
	s_and_saveexec_b64 s[6:7], vcc
	s_cbranch_execz .LBB1445_168
; %bb.158:
	s_and_b64 vcc, exec, s[4:5]
	s_cbranch_vccnz .LBB1445_167
; %bb.159:
	s_waitcnt lgkmcnt(0)
	v_mul_lo_u32 v18, v17, s26
	v_mul_lo_u32 v19, v16, s27
	v_mad_u64_u32 v[16:17], s[4:5], v16, s26, 0
	v_add3_u32 v17, v17, v19, v18
	v_mul_lo_u32 v18, v11, s26
	v_mul_lo_u32 v19, v10, s27
	v_mad_u64_u32 v[20:21], s[4:5], v10, s26, 0
	v_add3_u32 v21, v21, v19, v18
	v_lshl_add_u64 v[18:19], v[16:17], 1, s[28:29]
	v_lshl_add_u64 v[16:17], v[20:21], 1, s[28:29]
	global_load_ushort v20, v[18:19], off
	global_load_ushort v21, v[16:17], off
	s_mov_b64 s[18:19], -1
	s_waitcnt vmcnt(0)
	v_cmp_eq_u16_e32 vcc, v20, v21
	s_and_saveexec_b64 s[4:5], vcc
	s_cbranch_execz .LBB1445_166
; %bb.160:
	s_add_u32 s18, s26, -1
	v_lshl_add_u64 v[16:17], v[16:17], 0, 2
	v_lshl_add_u64 v[18:19], v[18:19], 0, 2
	s_addc_u32 s19, s27, -1
	s_mov_b64 s[36:37], 0
	s_mov_b64 s[40:41], 0
                                        ; implicit-def: $sgpr38_sgpr39
	s_branch .LBB1445_163
.LBB1445_161:                           ;   in Loop: Header=BB1445_163 Depth=1
	global_load_ushort v20, v[18:19], off
	global_load_ushort v21, v[16:17], off
	s_add_u32 s40, s40, 1
	s_addc_u32 s41, s41, 0
	s_andn2_b64 s[38:39], s[38:39], exec
	v_lshl_add_u64 v[16:17], v[16:17], 0, 2
	v_lshl_add_u64 v[18:19], v[18:19], 0, 2
	s_waitcnt vmcnt(0)
	v_cmp_ne_u16_e32 vcc, v20, v21
	s_and_b64 s[42:43], vcc, exec
	s_or_b64 s[38:39], s[38:39], s[42:43]
.LBB1445_162:                           ;   in Loop: Header=BB1445_163 Depth=1
	s_and_b64 s[42:43], exec, s[38:39]
	s_or_b64 s[36:37], s[42:43], s[36:37]
	v_mov_b64_e32 v[20:21], s[40:41]
	s_andn2_b64 exec, exec, s[36:37]
	s_cbranch_execz .LBB1445_165
.LBB1445_163:                           ; =>This Inner Loop Header: Depth=1
	s_or_b64 s[38:39], s[38:39], exec
	s_cmp_eq_u64 s[18:19], s[40:41]
	s_cbranch_scc0 .LBB1445_161
; %bb.164:                              ;   in Loop: Header=BB1445_163 Depth=1
                                        ; implicit-def: $vgpr16_vgpr17
                                        ; implicit-def: $vgpr18_vgpr19
	s_mov_b64 s[40:41], s[26:27]
	s_branch .LBB1445_162
.LBB1445_165:
	s_or_b64 exec, exec, s[36:37]
	v_cmp_gt_i64_e32 vcc, s[26:27], v[20:21]
	s_orn2_b64 s[18:19], vcc, exec
.LBB1445_166:
	s_or_b64 exec, exec, s[4:5]
.LBB1445_167:
	s_and_b64 s[18:19], s[18:19], exec
.LBB1445_168:
	s_or_b64 exec, exec, s[6:7]
	v_cndmask_b32_e64 v32, 0, 1, s[14:15]
	v_cndmask_b32_e64 v33, 0, 1, s[12:13]
	;; [unrolled: 1-line block ×3, first 2 shown]
	v_or_b32_e32 v20, v22, v23
.LBB1445_169:
	s_mov_b64 s[10:11], -1
	s_cbranch_execnz .LBB1445_28
.LBB1445_170:
	s_movk_i32 s4, 0xffd0
	v_mad_i32_i24 v30, v0, s4, v30
	s_mov_b64 s[12:13], 0
	s_waitcnt lgkmcnt(0)
	v_cmp_gt_i64_e64 s[6:7], s[26:27], 0
	s_and_b64 vcc, exec, s[34:35]
	ds_write_b64 v30, v[14:15]
	s_cbranch_vccz .LBB1445_178
; %bb.171:
	v_mul_lo_u32 v18, v5, s26
	v_mul_lo_u32 v19, v4, s27
	v_mad_u64_u32 v[16:17], s[4:5], v4, s26, 0
	v_add3_u32 v17, v17, v19, v18
	v_cndmask_b32_e64 v18, 0, 1, s[6:7]
	v_cmp_ne_u32_e64 s[4:5], 1, v18
	s_andn2_b64 vcc, exec, s[6:7]
	v_lshl_add_u64 v[16:17], v[16:17], 1, s[28:29]
	s_cbranch_vccnz .LBB1445_181
; %bb.172:
	v_mul_lo_u32 v20, v15, s26
	v_mul_lo_u32 v21, v14, s27
	v_mad_u64_u32 v[18:19], s[12:13], v14, s26, 0
	v_add3_u32 v19, v19, v21, v20
	v_lshl_add_u64 v[18:19], v[18:19], 1, s[28:29]
	global_load_ushort v20, v[16:17], off
	global_load_ushort v21, v[18:19], off
	s_mov_b64 s[12:13], -1
	s_waitcnt vmcnt(0)
	v_cmp_eq_u16_e32 vcc, v20, v21
	s_and_saveexec_b64 s[14:15], vcc
	s_cbranch_execz .LBB1445_180
; %bb.173:
	s_add_u32 s12, s26, -1
	v_lshl_add_u64 v[18:19], v[18:19], 0, 2
	v_lshl_add_u64 v[20:21], v[16:17], 0, 2
	s_addc_u32 s13, s27, -1
	s_mov_b64 s[18:19], 0
	s_mov_b64 s[38:39], 0
                                        ; implicit-def: $sgpr36_sgpr37
	s_branch .LBB1445_176
.LBB1445_174:                           ;   in Loop: Header=BB1445_176 Depth=1
	global_load_ushort v22, v[20:21], off
	global_load_ushort v23, v[18:19], off
	s_add_u32 s38, s38, 1
	s_addc_u32 s39, s39, 0
	s_andn2_b64 s[36:37], s[36:37], exec
	v_lshl_add_u64 v[18:19], v[18:19], 0, 2
	v_lshl_add_u64 v[20:21], v[20:21], 0, 2
	s_waitcnt vmcnt(0)
	v_cmp_ne_u16_e32 vcc, v22, v23
	s_and_b64 s[40:41], vcc, exec
	s_or_b64 s[36:37], s[36:37], s[40:41]
.LBB1445_175:                           ;   in Loop: Header=BB1445_176 Depth=1
	s_and_b64 s[40:41], exec, s[36:37]
	s_or_b64 s[18:19], s[40:41], s[18:19]
	v_mov_b64_e32 v[22:23], s[38:39]
	s_andn2_b64 exec, exec, s[18:19]
	s_cbranch_execz .LBB1445_179
.LBB1445_176:                           ; =>This Inner Loop Header: Depth=1
	s_or_b64 s[36:37], s[36:37], exec
	s_cmp_eq_u64 s[12:13], s[38:39]
	s_cbranch_scc0 .LBB1445_174
; %bb.177:                              ;   in Loop: Header=BB1445_176 Depth=1
                                        ; implicit-def: $vgpr18_vgpr19
                                        ; implicit-def: $vgpr20_vgpr21
	s_mov_b64 s[38:39], s[26:27]
	s_branch .LBB1445_175
.LBB1445_178:
                                        ; implicit-def: $sgpr18_sgpr19
                                        ; implicit-def: $vgpr34
                                        ; implicit-def: $vgpr33
                                        ; implicit-def: $vgpr32
                                        ; implicit-def: $vgpr20
                                        ; implicit-def: $vgpr16_vgpr17
	s_cbranch_execnz .LBB1445_238
	s_branch .LBB1445_318
.LBB1445_179:
	s_or_b64 exec, exec, s[18:19]
	v_cmp_gt_i64_e32 vcc, s[26:27], v[22:23]
	s_orn2_b64 s[12:13], vcc, exec
.LBB1445_180:
	s_or_b64 exec, exec, s[14:15]
.LBB1445_181:
	v_mul_lo_u32 v20, v3, s26
	v_mul_lo_u32 v21, v2, s27
	v_mad_u64_u32 v[18:19], s[14:15], v2, s26, 0
	v_add3_u32 v19, v19, v21, v20
	s_mov_b64 s[14:15], 0
	s_and_b64 vcc, exec, s[4:5]
	v_lshl_add_u64 v[18:19], v[18:19], 1, s[28:29]
	s_mov_b64 s[18:19], 0
	s_cbranch_vccnz .LBB1445_190
; %bb.182:
	global_load_ushort v20, v[18:19], off
	global_load_ushort v21, v[16:17], off
	s_mov_b64 s[18:19], -1
	s_waitcnt vmcnt(0)
	v_cmp_eq_u16_e32 vcc, v20, v21
	s_and_saveexec_b64 s[36:37], vcc
	s_cbranch_execz .LBB1445_189
; %bb.183:
	s_add_u32 s18, s26, -1
	v_lshl_add_u64 v[16:17], v[16:17], 0, 2
	v_lshl_add_u64 v[20:21], v[18:19], 0, 2
	s_addc_u32 s19, s27, -1
	s_mov_b64 s[38:39], 0
	s_mov_b64 s[42:43], 0
                                        ; implicit-def: $sgpr40_sgpr41
	s_branch .LBB1445_186
.LBB1445_184:                           ;   in Loop: Header=BB1445_186 Depth=1
	global_load_ushort v22, v[20:21], off
	global_load_ushort v23, v[16:17], off
	s_add_u32 s42, s42, 1
	s_addc_u32 s43, s43, 0
	s_andn2_b64 s[40:41], s[40:41], exec
	v_lshl_add_u64 v[16:17], v[16:17], 0, 2
	v_lshl_add_u64 v[20:21], v[20:21], 0, 2
	s_waitcnt vmcnt(0)
	v_cmp_ne_u16_e32 vcc, v22, v23
	s_and_b64 s[44:45], vcc, exec
	s_or_b64 s[40:41], s[40:41], s[44:45]
.LBB1445_185:                           ;   in Loop: Header=BB1445_186 Depth=1
	s_and_b64 s[44:45], exec, s[40:41]
	s_or_b64 s[38:39], s[44:45], s[38:39]
	v_mov_b64_e32 v[22:23], s[42:43]
	s_andn2_b64 exec, exec, s[38:39]
	s_cbranch_execz .LBB1445_188
.LBB1445_186:                           ; =>This Inner Loop Header: Depth=1
	s_or_b64 s[40:41], s[40:41], exec
	s_cmp_eq_u64 s[18:19], s[42:43]
	s_cbranch_scc0 .LBB1445_184
; %bb.187:                              ;   in Loop: Header=BB1445_186 Depth=1
                                        ; implicit-def: $vgpr16_vgpr17
                                        ; implicit-def: $vgpr20_vgpr21
	s_mov_b64 s[42:43], s[26:27]
	s_branch .LBB1445_185
.LBB1445_188:
	s_or_b64 exec, exec, s[38:39]
	v_cmp_gt_i64_e32 vcc, s[26:27], v[22:23]
	s_orn2_b64 s[18:19], vcc, exec
.LBB1445_189:
	s_or_b64 exec, exec, s[36:37]
.LBB1445_190:
	v_mul_lo_u32 v20, v9, s26
	v_mul_lo_u32 v21, v8, s27
	v_mad_u64_u32 v[16:17], s[36:37], v8, s26, 0
	v_add3_u32 v17, v17, v21, v20
	s_and_b64 vcc, exec, s[4:5]
	v_lshl_add_u64 v[16:17], v[16:17], 1, s[28:29]
	s_cbranch_vccnz .LBB1445_199
; %bb.191:
	global_load_ushort v20, v[16:17], off
	global_load_ushort v21, v[18:19], off
	s_mov_b64 s[14:15], -1
	s_waitcnt vmcnt(0)
	v_cmp_eq_u16_e32 vcc, v20, v21
	s_and_saveexec_b64 s[36:37], vcc
	s_cbranch_execz .LBB1445_198
; %bb.192:
	s_add_u32 s14, s26, -1
	v_lshl_add_u64 v[18:19], v[18:19], 0, 2
	v_lshl_add_u64 v[20:21], v[16:17], 0, 2
	s_addc_u32 s15, s27, -1
	s_mov_b64 s[38:39], 0
	s_mov_b64 s[42:43], 0
                                        ; implicit-def: $sgpr40_sgpr41
	s_branch .LBB1445_195
.LBB1445_193:                           ;   in Loop: Header=BB1445_195 Depth=1
	global_load_ushort v22, v[20:21], off
	global_load_ushort v23, v[18:19], off
	s_add_u32 s42, s42, 1
	s_addc_u32 s43, s43, 0
	s_andn2_b64 s[40:41], s[40:41], exec
	v_lshl_add_u64 v[18:19], v[18:19], 0, 2
	v_lshl_add_u64 v[20:21], v[20:21], 0, 2
	s_waitcnt vmcnt(0)
	v_cmp_ne_u16_e32 vcc, v22, v23
	s_and_b64 s[44:45], vcc, exec
	s_or_b64 s[40:41], s[40:41], s[44:45]
.LBB1445_194:                           ;   in Loop: Header=BB1445_195 Depth=1
	s_and_b64 s[44:45], exec, s[40:41]
	s_or_b64 s[38:39], s[44:45], s[38:39]
	v_mov_b64_e32 v[22:23], s[42:43]
	s_andn2_b64 exec, exec, s[38:39]
	s_cbranch_execz .LBB1445_197
.LBB1445_195:                           ; =>This Inner Loop Header: Depth=1
	s_or_b64 s[40:41], s[40:41], exec
	s_cmp_eq_u64 s[14:15], s[42:43]
	s_cbranch_scc0 .LBB1445_193
; %bb.196:                              ;   in Loop: Header=BB1445_195 Depth=1
                                        ; implicit-def: $vgpr18_vgpr19
                                        ; implicit-def: $vgpr20_vgpr21
	s_mov_b64 s[42:43], s[26:27]
	s_branch .LBB1445_194
.LBB1445_197:
	s_or_b64 exec, exec, s[38:39]
	v_cmp_gt_i64_e32 vcc, s[26:27], v[22:23]
	s_orn2_b64 s[14:15], vcc, exec
.LBB1445_198:
	s_or_b64 exec, exec, s[36:37]
.LBB1445_199:
	v_mul_lo_u32 v20, v7, s26
	v_mul_lo_u32 v21, v6, s27
	v_mad_u64_u32 v[18:19], s[36:37], v6, s26, 0
	v_add3_u32 v19, v19, v21, v20
	s_mov_b64 s[36:37], 0
	s_and_b64 vcc, exec, s[4:5]
	v_lshl_add_u64 v[18:19], v[18:19], 1, s[28:29]
	s_mov_b64 s[38:39], 0
	s_cbranch_vccnz .LBB1445_208
; %bb.200:
	global_load_ushort v20, v[18:19], off
	global_load_ushort v21, v[16:17], off
	s_mov_b64 s[38:39], -1
	s_waitcnt vmcnt(0)
	v_cmp_eq_u16_e32 vcc, v20, v21
	s_and_saveexec_b64 s[40:41], vcc
	s_cbranch_execz .LBB1445_207
; %bb.201:
	s_add_u32 s38, s26, -1
	v_lshl_add_u64 v[16:17], v[16:17], 0, 2
	v_lshl_add_u64 v[20:21], v[18:19], 0, 2
	s_addc_u32 s39, s27, -1
	s_mov_b64 s[42:43], 0
	s_mov_b64 s[46:47], 0
                                        ; implicit-def: $sgpr44_sgpr45
	s_branch .LBB1445_204
.LBB1445_202:                           ;   in Loop: Header=BB1445_204 Depth=1
	global_load_ushort v22, v[20:21], off
	global_load_ushort v23, v[16:17], off
	s_add_u32 s46, s46, 1
	s_addc_u32 s47, s47, 0
	s_andn2_b64 s[44:45], s[44:45], exec
	v_lshl_add_u64 v[16:17], v[16:17], 0, 2
	v_lshl_add_u64 v[20:21], v[20:21], 0, 2
	s_waitcnt vmcnt(0)
	v_cmp_ne_u16_e32 vcc, v22, v23
	s_and_b64 s[48:49], vcc, exec
	s_or_b64 s[44:45], s[44:45], s[48:49]
.LBB1445_203:                           ;   in Loop: Header=BB1445_204 Depth=1
	s_and_b64 s[48:49], exec, s[44:45]
	s_or_b64 s[42:43], s[48:49], s[42:43]
	v_mov_b64_e32 v[22:23], s[46:47]
	s_andn2_b64 exec, exec, s[42:43]
	s_cbranch_execz .LBB1445_206
.LBB1445_204:                           ; =>This Inner Loop Header: Depth=1
	s_or_b64 s[44:45], s[44:45], exec
	s_cmp_eq_u64 s[38:39], s[46:47]
	s_cbranch_scc0 .LBB1445_202
; %bb.205:                              ;   in Loop: Header=BB1445_204 Depth=1
                                        ; implicit-def: $vgpr16_vgpr17
                                        ; implicit-def: $vgpr20_vgpr21
	s_mov_b64 s[46:47], s[26:27]
	s_branch .LBB1445_203
.LBB1445_206:
	s_or_b64 exec, exec, s[42:43]
	v_cmp_gt_i64_e32 vcc, s[26:27], v[22:23]
	s_orn2_b64 s[38:39], vcc, exec
.LBB1445_207:
	s_or_b64 exec, exec, s[40:41]
.LBB1445_208:
	v_mul_lo_u32 v20, v13, s26
	v_mul_lo_u32 v21, v12, s27
	v_mad_u64_u32 v[16:17], s[40:41], v12, s26, 0
	v_add3_u32 v17, v17, v21, v20
	s_and_b64 vcc, exec, s[4:5]
	v_lshl_add_u64 v[16:17], v[16:17], 1, s[28:29]
	s_cbranch_vccnz .LBB1445_217
; %bb.209:
	global_load_ushort v20, v[16:17], off
	global_load_ushort v21, v[18:19], off
	s_mov_b64 s[36:37], -1
	s_waitcnt vmcnt(0)
	v_cmp_eq_u16_e32 vcc, v20, v21
	s_and_saveexec_b64 s[40:41], vcc
	s_cbranch_execz .LBB1445_216
; %bb.210:
	s_add_u32 s36, s26, -1
	v_lshl_add_u64 v[18:19], v[18:19], 0, 2
	v_lshl_add_u64 v[20:21], v[16:17], 0, 2
	s_addc_u32 s37, s27, -1
	s_mov_b64 s[42:43], 0
	s_mov_b64 s[46:47], 0
                                        ; implicit-def: $sgpr44_sgpr45
	s_branch .LBB1445_213
.LBB1445_211:                           ;   in Loop: Header=BB1445_213 Depth=1
	global_load_ushort v22, v[20:21], off
	global_load_ushort v23, v[18:19], off
	s_add_u32 s46, s46, 1
	s_addc_u32 s47, s47, 0
	s_andn2_b64 s[44:45], s[44:45], exec
	v_lshl_add_u64 v[18:19], v[18:19], 0, 2
	v_lshl_add_u64 v[20:21], v[20:21], 0, 2
	s_waitcnt vmcnt(0)
	v_cmp_ne_u16_e32 vcc, v22, v23
	s_and_b64 s[48:49], vcc, exec
	s_or_b64 s[44:45], s[44:45], s[48:49]
.LBB1445_212:                           ;   in Loop: Header=BB1445_213 Depth=1
	s_and_b64 s[48:49], exec, s[44:45]
	s_or_b64 s[42:43], s[48:49], s[42:43]
	v_mov_b64_e32 v[22:23], s[46:47]
	s_andn2_b64 exec, exec, s[42:43]
	s_cbranch_execz .LBB1445_215
.LBB1445_213:                           ; =>This Inner Loop Header: Depth=1
	s_or_b64 s[44:45], s[44:45], exec
	s_cmp_eq_u64 s[36:37], s[46:47]
	s_cbranch_scc0 .LBB1445_211
; %bb.214:                              ;   in Loop: Header=BB1445_213 Depth=1
                                        ; implicit-def: $vgpr18_vgpr19
                                        ; implicit-def: $vgpr20_vgpr21
	s_mov_b64 s[46:47], s[26:27]
	s_branch .LBB1445_212
.LBB1445_215:
	s_or_b64 exec, exec, s[42:43]
	v_cmp_gt_i64_e32 vcc, s[26:27], v[22:23]
	s_orn2_b64 s[36:37], vcc, exec
.LBB1445_216:
	s_or_b64 exec, exec, s[40:41]
.LBB1445_217:
	v_mul_lo_u32 v20, v11, s26
	v_mul_lo_u32 v21, v10, s27
	v_mad_u64_u32 v[18:19], s[40:41], v10, s26, 0
	v_add3_u32 v19, v19, v21, v20
	s_and_b64 vcc, exec, s[4:5]
	s_mov_b64 s[42:43], 0
	s_cbranch_vccnz .LBB1445_226
; %bb.218:
	v_lshl_add_u64 v[20:21], v[18:19], 1, s[28:29]
	global_load_ushort v22, v[20:21], off
	global_load_ushort v23, v[16:17], off
	s_mov_b64 s[42:43], -1
	s_waitcnt vmcnt(0)
	v_cmp_eq_u16_e32 vcc, v22, v23
	s_and_saveexec_b64 s[40:41], vcc
	s_cbranch_execz .LBB1445_225
; %bb.219:
	s_add_u32 s42, s26, -1
	v_lshl_add_u64 v[16:17], v[16:17], 0, 2
	v_lshl_add_u64 v[20:21], v[20:21], 0, 2
	s_addc_u32 s43, s27, -1
	s_mov_b64 s[44:45], 0
	s_mov_b64 s[48:49], 0
                                        ; implicit-def: $sgpr46_sgpr47
	s_branch .LBB1445_222
.LBB1445_220:                           ;   in Loop: Header=BB1445_222 Depth=1
	global_load_ushort v22, v[20:21], off
	global_load_ushort v23, v[16:17], off
	s_add_u32 s48, s48, 1
	s_addc_u32 s49, s49, 0
	s_andn2_b64 s[46:47], s[46:47], exec
	v_lshl_add_u64 v[16:17], v[16:17], 0, 2
	v_lshl_add_u64 v[20:21], v[20:21], 0, 2
	s_waitcnt vmcnt(0)
	v_cmp_ne_u16_e32 vcc, v22, v23
	s_and_b64 s[50:51], vcc, exec
	s_or_b64 s[46:47], s[46:47], s[50:51]
.LBB1445_221:                           ;   in Loop: Header=BB1445_222 Depth=1
	s_and_b64 s[50:51], exec, s[46:47]
	s_or_b64 s[44:45], s[50:51], s[44:45]
	v_mov_b64_e32 v[22:23], s[48:49]
	s_andn2_b64 exec, exec, s[44:45]
	s_cbranch_execz .LBB1445_224
.LBB1445_222:                           ; =>This Inner Loop Header: Depth=1
	s_or_b64 s[46:47], s[46:47], exec
	s_cmp_eq_u64 s[42:43], s[48:49]
	s_cbranch_scc0 .LBB1445_220
; %bb.223:                              ;   in Loop: Header=BB1445_222 Depth=1
                                        ; implicit-def: $vgpr16_vgpr17
                                        ; implicit-def: $vgpr20_vgpr21
	s_mov_b64 s[48:49], s[26:27]
	s_branch .LBB1445_221
.LBB1445_224:
	s_or_b64 exec, exec, s[44:45]
	v_cmp_gt_i64_e32 vcc, s[26:27], v[22:23]
	s_orn2_b64 s[42:43], vcc, exec
.LBB1445_225:
	s_or_b64 exec, exec, s[40:41]
.LBB1445_226:
	v_cndmask_b32_e64 v17, 0, 1, s[38:39]
	v_cndmask_b32_e64 v16, 0, 1, s[36:37]
	;; [unrolled: 1-line block ×3, first 2 shown]
	v_lshlrev_b16_e32 v17, 8, v17
	v_cndmask_b32_e64 v32, 0, 1, s[14:15]
	v_cndmask_b32_e64 v20, 0, 1, s[42:43]
	v_or_b32_sdwa v16, v16, v17 dst_sel:WORD_1 dst_unused:UNUSED_PAD src0_sel:DWORD src1_sel:DWORD
	v_lshlrev_b16_e32 v17, 8, v33
	v_lshlrev_b16_e32 v20, 8, v20
	v_or_b32_e32 v17, v32, v17
	v_or_b32_e32 v20, 1, v20
	v_and_b32_e32 v17, 0xffff, v17
	v_cndmask_b32_e64 v34, 0, 1, s[12:13]
	v_or_b32_sdwa v16, v20, v16 dst_sel:DWORD dst_unused:UNUSED_PAD src0_sel:WORD_0 src1_sel:DWORD
	v_lshl_or_b32 v17, v34, 16, v17
	v_cmp_ne_u32_e32 vcc, 0, v0
	s_waitcnt lgkmcnt(0)
	s_barrier
	s_waitcnt lgkmcnt(0)
                                        ; implicit-def: $sgpr18_sgpr19
                                        ; implicit-def: $vgpr20
	s_and_saveexec_b64 s[12:13], vcc
	s_xor_b64 s[12:13], exec, s[12:13]
	s_cbranch_execz .LBB1445_237
; %bb.227:
	s_mov_b32 s33, 0x3020104
	s_and_b64 vcc, exec, s[4:5]
	s_mov_b64 s[14:15], 0
	s_cbranch_vccnz .LBB1445_236
; %bb.228:
	v_add_u32_e32 v17, -8, v30
	ds_read_b64 v[20:21], v17
	v_lshl_add_u64 v[18:19], v[18:19], 1, s[28:29]
	s_mov_b64 s[14:15], -1
	s_waitcnt lgkmcnt(0)
	v_mul_lo_u32 v17, v21, s26
	v_mul_lo_u32 v22, v20, s27
	v_mad_u64_u32 v[20:21], s[4:5], v20, s26, 0
	v_add3_u32 v21, v21, v22, v17
	v_lshl_add_u64 v[20:21], v[20:21], 1, s[28:29]
	global_load_ushort v17, v[20:21], off
	global_load_ushort v22, v[18:19], off
	s_waitcnt vmcnt(0)
	v_cmp_eq_u16_e32 vcc, v17, v22
	s_and_saveexec_b64 s[4:5], vcc
	s_cbranch_execz .LBB1445_235
; %bb.229:
	s_add_u32 s14, s26, -1
	v_lshl_add_u64 v[18:19], v[18:19], 0, 2
	v_lshl_add_u64 v[20:21], v[20:21], 0, 2
	s_addc_u32 s15, s27, -1
	s_mov_b64 s[18:19], 0
	s_mov_b64 s[38:39], 0
                                        ; implicit-def: $sgpr36_sgpr37
	s_branch .LBB1445_232
.LBB1445_230:                           ;   in Loop: Header=BB1445_232 Depth=1
	global_load_ushort v17, v[20:21], off
	global_load_ushort v22, v[18:19], off
	s_add_u32 s38, s38, 1
	s_addc_u32 s39, s39, 0
	s_andn2_b64 s[36:37], s[36:37], exec
	v_lshl_add_u64 v[18:19], v[18:19], 0, 2
	v_lshl_add_u64 v[20:21], v[20:21], 0, 2
	s_waitcnt vmcnt(0)
	v_cmp_ne_u16_e32 vcc, v17, v22
	s_and_b64 s[40:41], vcc, exec
	s_or_b64 s[36:37], s[36:37], s[40:41]
.LBB1445_231:                           ;   in Loop: Header=BB1445_232 Depth=1
	s_and_b64 s[40:41], exec, s[36:37]
	s_or_b64 s[18:19], s[40:41], s[18:19]
	v_mov_b64_e32 v[22:23], s[38:39]
	s_andn2_b64 exec, exec, s[18:19]
	s_cbranch_execz .LBB1445_234
.LBB1445_232:                           ; =>This Inner Loop Header: Depth=1
	s_or_b64 s[36:37], s[36:37], exec
	s_cmp_eq_u64 s[14:15], s[38:39]
	s_cbranch_scc0 .LBB1445_230
; %bb.233:                              ;   in Loop: Header=BB1445_232 Depth=1
                                        ; implicit-def: $vgpr18_vgpr19
                                        ; implicit-def: $vgpr20_vgpr21
	s_mov_b64 s[38:39], s[26:27]
	s_branch .LBB1445_231
.LBB1445_234:
	s_or_b64 exec, exec, s[18:19]
	v_cmp_gt_i64_e32 vcc, s[26:27], v[22:23]
	s_orn2_b64 s[14:15], vcc, exec
.LBB1445_235:
	s_or_b64 exec, exec, s[4:5]
.LBB1445_236:
	v_perm_b32 v20, v16, v16, s33
	s_and_b64 s[18:19], s[14:15], exec
	s_or_b64 s[10:11], s[10:11], exec
                                        ; implicit-def: $vgpr16_vgpr17
.LBB1445_237:
	s_or_b64 exec, exec, s[12:13]
	s_branch .LBB1445_318
.LBB1445_238:
	v_cmp_gt_u32_e32 vcc, s3, v27
	s_mov_b64 s[12:13], 0
	s_mov_b64 s[4:5], 0
	s_and_saveexec_b64 s[14:15], vcc
	s_cbranch_execz .LBB1445_249
; %bb.239:
	s_andn2_b64 vcc, exec, s[6:7]
	s_mov_b64 s[18:19], 0
	s_cbranch_vccnz .LBB1445_248
; %bb.240:
	v_mul_lo_u32 v18, v5, s26
	v_mul_lo_u32 v19, v4, s27
	v_mad_u64_u32 v[16:17], s[4:5], v4, s26, 0
	v_add3_u32 v17, v17, v19, v18
	v_mul_lo_u32 v18, v15, s26
	v_mul_lo_u32 v19, v14, s27
	v_mad_u64_u32 v[20:21], s[4:5], v14, s26, 0
	v_add3_u32 v21, v21, v19, v18
	v_lshl_add_u64 v[18:19], v[16:17], 1, s[28:29]
	v_lshl_add_u64 v[16:17], v[20:21], 1, s[28:29]
	global_load_ushort v20, v[18:19], off
	global_load_ushort v21, v[16:17], off
	s_mov_b64 s[18:19], -1
	s_waitcnt vmcnt(0)
	v_cmp_eq_u16_e32 vcc, v20, v21
	s_and_saveexec_b64 s[4:5], vcc
	s_cbranch_execz .LBB1445_247
; %bb.241:
	s_add_u32 s18, s26, -1
	v_lshl_add_u64 v[16:17], v[16:17], 0, 2
	v_lshl_add_u64 v[18:19], v[18:19], 0, 2
	s_addc_u32 s19, s27, -1
	s_mov_b64 s[36:37], 0
	s_mov_b64 s[40:41], 0
                                        ; implicit-def: $sgpr38_sgpr39
	s_branch .LBB1445_244
.LBB1445_242:                           ;   in Loop: Header=BB1445_244 Depth=1
	global_load_ushort v20, v[18:19], off
	global_load_ushort v21, v[16:17], off
	s_add_u32 s40, s40, 1
	s_addc_u32 s41, s41, 0
	s_andn2_b64 s[38:39], s[38:39], exec
	v_lshl_add_u64 v[16:17], v[16:17], 0, 2
	v_lshl_add_u64 v[18:19], v[18:19], 0, 2
	s_waitcnt vmcnt(0)
	v_cmp_ne_u16_e32 vcc, v20, v21
	s_and_b64 s[42:43], vcc, exec
	s_or_b64 s[38:39], s[38:39], s[42:43]
.LBB1445_243:                           ;   in Loop: Header=BB1445_244 Depth=1
	s_and_b64 s[42:43], exec, s[38:39]
	s_or_b64 s[36:37], s[42:43], s[36:37]
	v_mov_b64_e32 v[20:21], s[40:41]
	s_andn2_b64 exec, exec, s[36:37]
	s_cbranch_execz .LBB1445_246
.LBB1445_244:                           ; =>This Inner Loop Header: Depth=1
	s_or_b64 s[38:39], s[38:39], exec
	s_cmp_eq_u64 s[18:19], s[40:41]
	s_cbranch_scc0 .LBB1445_242
; %bb.245:                              ;   in Loop: Header=BB1445_244 Depth=1
                                        ; implicit-def: $vgpr16_vgpr17
                                        ; implicit-def: $vgpr18_vgpr19
	s_mov_b64 s[40:41], s[26:27]
	s_branch .LBB1445_243
.LBB1445_246:
	s_or_b64 exec, exec, s[36:37]
	v_cmp_gt_i64_e32 vcc, s[26:27], v[20:21]
	s_orn2_b64 s[18:19], vcc, exec
.LBB1445_247:
	s_or_b64 exec, exec, s[4:5]
.LBB1445_248:
	s_and_b64 s[4:5], s[18:19], exec
.LBB1445_249:
	s_or_b64 exec, exec, s[14:15]
	v_cmp_gt_u32_e32 vcc, s3, v29
	s_and_saveexec_b64 s[14:15], vcc
	s_cbranch_execz .LBB1445_260
; %bb.250:
	s_andn2_b64 vcc, exec, s[6:7]
	s_mov_b64 s[18:19], 0
	s_cbranch_vccnz .LBB1445_259
; %bb.251:
	v_mul_lo_u32 v18, v3, s26
	v_mul_lo_u32 v19, v2, s27
	v_mad_u64_u32 v[16:17], s[12:13], v2, s26, 0
	v_add3_u32 v17, v17, v19, v18
	v_mul_lo_u32 v18, v5, s26
	v_mul_lo_u32 v19, v4, s27
	v_mad_u64_u32 v[20:21], s[12:13], v4, s26, 0
	v_add3_u32 v21, v21, v19, v18
	v_lshl_add_u64 v[18:19], v[16:17], 1, s[28:29]
	v_lshl_add_u64 v[16:17], v[20:21], 1, s[28:29]
	global_load_ushort v20, v[18:19], off
	global_load_ushort v21, v[16:17], off
	s_mov_b64 s[18:19], -1
	s_waitcnt vmcnt(0)
	v_cmp_eq_u16_e32 vcc, v20, v21
	s_and_saveexec_b64 s[12:13], vcc
	s_cbranch_execz .LBB1445_258
; %bb.252:
	s_add_u32 s18, s26, -1
	v_lshl_add_u64 v[16:17], v[16:17], 0, 2
	v_lshl_add_u64 v[18:19], v[18:19], 0, 2
	s_addc_u32 s19, s27, -1
	s_mov_b64 s[36:37], 0
	s_mov_b64 s[40:41], 0
                                        ; implicit-def: $sgpr38_sgpr39
	s_branch .LBB1445_255
.LBB1445_253:                           ;   in Loop: Header=BB1445_255 Depth=1
	global_load_ushort v20, v[18:19], off
	global_load_ushort v21, v[16:17], off
	s_add_u32 s40, s40, 1
	s_addc_u32 s41, s41, 0
	s_andn2_b64 s[38:39], s[38:39], exec
	v_lshl_add_u64 v[16:17], v[16:17], 0, 2
	v_lshl_add_u64 v[18:19], v[18:19], 0, 2
	s_waitcnt vmcnt(0)
	v_cmp_ne_u16_e32 vcc, v20, v21
	s_and_b64 s[42:43], vcc, exec
	s_or_b64 s[38:39], s[38:39], s[42:43]
.LBB1445_254:                           ;   in Loop: Header=BB1445_255 Depth=1
	s_and_b64 s[42:43], exec, s[38:39]
	s_or_b64 s[36:37], s[42:43], s[36:37]
	v_mov_b64_e32 v[20:21], s[40:41]
	s_andn2_b64 exec, exec, s[36:37]
	s_cbranch_execz .LBB1445_257
.LBB1445_255:                           ; =>This Inner Loop Header: Depth=1
	s_or_b64 s[38:39], s[38:39], exec
	s_cmp_eq_u64 s[18:19], s[40:41]
	s_cbranch_scc0 .LBB1445_253
; %bb.256:                              ;   in Loop: Header=BB1445_255 Depth=1
                                        ; implicit-def: $vgpr16_vgpr17
                                        ; implicit-def: $vgpr18_vgpr19
	s_mov_b64 s[40:41], s[26:27]
	s_branch .LBB1445_254
.LBB1445_257:
	s_or_b64 exec, exec, s[36:37]
	v_cmp_gt_i64_e32 vcc, s[26:27], v[20:21]
	s_orn2_b64 s[18:19], vcc, exec
.LBB1445_258:
	s_or_b64 exec, exec, s[12:13]
.LBB1445_259:
	s_and_b64 s[12:13], s[18:19], exec
.LBB1445_260:
	s_or_b64 exec, exec, s[14:15]
	v_cmp_gt_u32_e32 vcc, s3, v26
	s_mov_b64 s[18:19], 0
	s_mov_b64 s[14:15], 0
	s_and_saveexec_b64 s[36:37], vcc
	s_cbranch_execz .LBB1445_271
; %bb.261:
	s_andn2_b64 vcc, exec, s[6:7]
	s_mov_b64 s[38:39], 0
	s_cbranch_vccnz .LBB1445_270
; %bb.262:
	v_mul_lo_u32 v18, v9, s26
	v_mul_lo_u32 v19, v8, s27
	v_mad_u64_u32 v[16:17], s[14:15], v8, s26, 0
	v_add3_u32 v17, v17, v19, v18
	v_mul_lo_u32 v18, v3, s26
	v_mul_lo_u32 v19, v2, s27
	v_mad_u64_u32 v[20:21], s[14:15], v2, s26, 0
	v_add3_u32 v21, v21, v19, v18
	v_lshl_add_u64 v[18:19], v[16:17], 1, s[28:29]
	v_lshl_add_u64 v[16:17], v[20:21], 1, s[28:29]
	global_load_ushort v20, v[18:19], off
	global_load_ushort v21, v[16:17], off
	s_mov_b64 s[38:39], -1
	s_waitcnt vmcnt(0)
	v_cmp_eq_u16_e32 vcc, v20, v21
	s_and_saveexec_b64 s[14:15], vcc
	s_cbranch_execz .LBB1445_269
; %bb.263:
	s_add_u32 s38, s26, -1
	v_lshl_add_u64 v[16:17], v[16:17], 0, 2
	v_lshl_add_u64 v[18:19], v[18:19], 0, 2
	s_addc_u32 s39, s27, -1
	s_mov_b64 s[40:41], 0
	s_mov_b64 s[44:45], 0
                                        ; implicit-def: $sgpr42_sgpr43
	s_branch .LBB1445_266
.LBB1445_264:                           ;   in Loop: Header=BB1445_266 Depth=1
	global_load_ushort v20, v[18:19], off
	global_load_ushort v21, v[16:17], off
	s_add_u32 s44, s44, 1
	s_addc_u32 s45, s45, 0
	s_andn2_b64 s[42:43], s[42:43], exec
	v_lshl_add_u64 v[16:17], v[16:17], 0, 2
	v_lshl_add_u64 v[18:19], v[18:19], 0, 2
	s_waitcnt vmcnt(0)
	v_cmp_ne_u16_e32 vcc, v20, v21
	s_and_b64 s[46:47], vcc, exec
	s_or_b64 s[42:43], s[42:43], s[46:47]
.LBB1445_265:                           ;   in Loop: Header=BB1445_266 Depth=1
	s_and_b64 s[46:47], exec, s[42:43]
	s_or_b64 s[40:41], s[46:47], s[40:41]
	v_mov_b64_e32 v[20:21], s[44:45]
	s_andn2_b64 exec, exec, s[40:41]
	s_cbranch_execz .LBB1445_268
.LBB1445_266:                           ; =>This Inner Loop Header: Depth=1
	s_or_b64 s[42:43], s[42:43], exec
	s_cmp_eq_u64 s[38:39], s[44:45]
	s_cbranch_scc0 .LBB1445_264
; %bb.267:                              ;   in Loop: Header=BB1445_266 Depth=1
                                        ; implicit-def: $vgpr16_vgpr17
                                        ; implicit-def: $vgpr18_vgpr19
	s_mov_b64 s[44:45], s[26:27]
	s_branch .LBB1445_265
.LBB1445_268:
	s_or_b64 exec, exec, s[40:41]
	v_cmp_gt_i64_e32 vcc, s[26:27], v[20:21]
	s_orn2_b64 s[38:39], vcc, exec
.LBB1445_269:
	s_or_b64 exec, exec, s[14:15]
.LBB1445_270:
	s_and_b64 s[14:15], s[38:39], exec
.LBB1445_271:
	s_or_b64 exec, exec, s[36:37]
	v_cmp_gt_u32_e32 vcc, s3, v28
	s_and_saveexec_b64 s[36:37], vcc
	s_cbranch_execz .LBB1445_282
; %bb.272:
	s_andn2_b64 vcc, exec, s[6:7]
	s_mov_b64 s[38:39], 0
	s_cbranch_vccnz .LBB1445_281
; %bb.273:
	v_mul_lo_u32 v18, v7, s26
	v_mul_lo_u32 v19, v6, s27
	v_mad_u64_u32 v[16:17], s[18:19], v6, s26, 0
	v_add3_u32 v17, v17, v19, v18
	v_mul_lo_u32 v18, v9, s26
	v_mul_lo_u32 v19, v8, s27
	v_mad_u64_u32 v[20:21], s[18:19], v8, s26, 0
	v_add3_u32 v21, v21, v19, v18
	v_lshl_add_u64 v[18:19], v[16:17], 1, s[28:29]
	v_lshl_add_u64 v[16:17], v[20:21], 1, s[28:29]
	global_load_ushort v20, v[18:19], off
	global_load_ushort v21, v[16:17], off
	s_mov_b64 s[38:39], -1
	s_waitcnt vmcnt(0)
	v_cmp_eq_u16_e32 vcc, v20, v21
	s_and_saveexec_b64 s[18:19], vcc
	s_cbranch_execz .LBB1445_280
; %bb.274:
	s_add_u32 s38, s26, -1
	v_lshl_add_u64 v[16:17], v[16:17], 0, 2
	v_lshl_add_u64 v[18:19], v[18:19], 0, 2
	s_addc_u32 s39, s27, -1
	s_mov_b64 s[40:41], 0
	s_mov_b64 s[44:45], 0
                                        ; implicit-def: $sgpr42_sgpr43
	s_branch .LBB1445_277
.LBB1445_275:                           ;   in Loop: Header=BB1445_277 Depth=1
	global_load_ushort v20, v[18:19], off
	global_load_ushort v21, v[16:17], off
	s_add_u32 s44, s44, 1
	s_addc_u32 s45, s45, 0
	s_andn2_b64 s[42:43], s[42:43], exec
	v_lshl_add_u64 v[16:17], v[16:17], 0, 2
	v_lshl_add_u64 v[18:19], v[18:19], 0, 2
	s_waitcnt vmcnt(0)
	v_cmp_ne_u16_e32 vcc, v20, v21
	s_and_b64 s[46:47], vcc, exec
	s_or_b64 s[42:43], s[42:43], s[46:47]
.LBB1445_276:                           ;   in Loop: Header=BB1445_277 Depth=1
	s_and_b64 s[46:47], exec, s[42:43]
	s_or_b64 s[40:41], s[46:47], s[40:41]
	v_mov_b64_e32 v[20:21], s[44:45]
	s_andn2_b64 exec, exec, s[40:41]
	s_cbranch_execz .LBB1445_279
.LBB1445_277:                           ; =>This Inner Loop Header: Depth=1
	s_or_b64 s[42:43], s[42:43], exec
	s_cmp_eq_u64 s[38:39], s[44:45]
	s_cbranch_scc0 .LBB1445_275
; %bb.278:                              ;   in Loop: Header=BB1445_277 Depth=1
                                        ; implicit-def: $vgpr16_vgpr17
                                        ; implicit-def: $vgpr18_vgpr19
	s_mov_b64 s[44:45], s[26:27]
	s_branch .LBB1445_276
.LBB1445_279:
	s_or_b64 exec, exec, s[40:41]
	v_cmp_gt_i64_e32 vcc, s[26:27], v[20:21]
	s_orn2_b64 s[38:39], vcc, exec
.LBB1445_280:
	s_or_b64 exec, exec, s[18:19]
.LBB1445_281:
	s_and_b64 s[18:19], s[38:39], exec
.LBB1445_282:
	s_or_b64 exec, exec, s[36:37]
	v_cmp_gt_u32_e32 vcc, s3, v24
	s_mov_b64 s[36:37], 0
	s_mov_b64 s[38:39], 0
	s_and_saveexec_b64 s[40:41], vcc
	s_cbranch_execz .LBB1445_293
; %bb.283:
	s_andn2_b64 vcc, exec, s[6:7]
	s_mov_b64 s[42:43], 0
	s_cbranch_vccnz .LBB1445_292
; %bb.284:
	v_mul_lo_u32 v18, v13, s26
	v_mul_lo_u32 v19, v12, s27
	v_mad_u64_u32 v[16:17], s[38:39], v12, s26, 0
	v_add3_u32 v17, v17, v19, v18
	v_mul_lo_u32 v18, v7, s26
	v_mul_lo_u32 v19, v6, s27
	v_mad_u64_u32 v[20:21], s[38:39], v6, s26, 0
	v_add3_u32 v21, v21, v19, v18
	v_lshl_add_u64 v[18:19], v[16:17], 1, s[28:29]
	v_lshl_add_u64 v[16:17], v[20:21], 1, s[28:29]
	global_load_ushort v20, v[18:19], off
	global_load_ushort v21, v[16:17], off
	s_mov_b64 s[42:43], -1
	s_waitcnt vmcnt(0)
	v_cmp_eq_u16_e32 vcc, v20, v21
	s_and_saveexec_b64 s[38:39], vcc
	s_cbranch_execz .LBB1445_291
; %bb.285:
	s_add_u32 s42, s26, -1
	v_lshl_add_u64 v[16:17], v[16:17], 0, 2
	v_lshl_add_u64 v[18:19], v[18:19], 0, 2
	s_addc_u32 s43, s27, -1
	s_mov_b64 s[44:45], 0
	s_mov_b64 s[48:49], 0
                                        ; implicit-def: $sgpr46_sgpr47
	s_branch .LBB1445_288
.LBB1445_286:                           ;   in Loop: Header=BB1445_288 Depth=1
	global_load_ushort v20, v[18:19], off
	global_load_ushort v21, v[16:17], off
	s_add_u32 s48, s48, 1
	s_addc_u32 s49, s49, 0
	s_andn2_b64 s[46:47], s[46:47], exec
	v_lshl_add_u64 v[16:17], v[16:17], 0, 2
	v_lshl_add_u64 v[18:19], v[18:19], 0, 2
	s_waitcnt vmcnt(0)
	v_cmp_ne_u16_e32 vcc, v20, v21
	s_and_b64 s[50:51], vcc, exec
	s_or_b64 s[46:47], s[46:47], s[50:51]
.LBB1445_287:                           ;   in Loop: Header=BB1445_288 Depth=1
	s_and_b64 s[50:51], exec, s[46:47]
	s_or_b64 s[44:45], s[50:51], s[44:45]
	v_mov_b64_e32 v[20:21], s[48:49]
	s_andn2_b64 exec, exec, s[44:45]
	s_cbranch_execz .LBB1445_290
.LBB1445_288:                           ; =>This Inner Loop Header: Depth=1
	s_or_b64 s[46:47], s[46:47], exec
	s_cmp_eq_u64 s[42:43], s[48:49]
	s_cbranch_scc0 .LBB1445_286
; %bb.289:                              ;   in Loop: Header=BB1445_288 Depth=1
                                        ; implicit-def: $vgpr16_vgpr17
                                        ; implicit-def: $vgpr18_vgpr19
	s_mov_b64 s[48:49], s[26:27]
	s_branch .LBB1445_287
.LBB1445_290:
	s_or_b64 exec, exec, s[44:45]
	v_cmp_gt_i64_e32 vcc, s[26:27], v[20:21]
	s_orn2_b64 s[42:43], vcc, exec
.LBB1445_291:
	s_or_b64 exec, exec, s[38:39]
.LBB1445_292:
	s_and_b64 s[38:39], s[42:43], exec
.LBB1445_293:
	s_or_b64 exec, exec, s[40:41]
	v_cmp_gt_u32_e32 vcc, s3, v25
	s_and_saveexec_b64 s[40:41], vcc
	s_cbranch_execz .LBB1445_304
; %bb.294:
	s_andn2_b64 vcc, exec, s[6:7]
	s_mov_b64 s[42:43], 0
	s_cbranch_vccnz .LBB1445_303
; %bb.295:
	v_mul_lo_u32 v18, v11, s26
	v_mul_lo_u32 v19, v10, s27
	v_mad_u64_u32 v[16:17], s[36:37], v10, s26, 0
	v_add3_u32 v17, v17, v19, v18
	v_mul_lo_u32 v18, v13, s26
	v_mul_lo_u32 v19, v12, s27
	v_mad_u64_u32 v[20:21], s[36:37], v12, s26, 0
	v_add3_u32 v21, v21, v19, v18
	v_lshl_add_u64 v[18:19], v[16:17], 1, s[28:29]
	v_lshl_add_u64 v[16:17], v[20:21], 1, s[28:29]
	global_load_ushort v20, v[18:19], off
	global_load_ushort v21, v[16:17], off
	s_mov_b64 s[42:43], -1
	s_waitcnt vmcnt(0)
	v_cmp_eq_u16_e32 vcc, v20, v21
	s_and_saveexec_b64 s[36:37], vcc
	s_cbranch_execz .LBB1445_302
; %bb.296:
	s_add_u32 s42, s26, -1
	v_lshl_add_u64 v[16:17], v[16:17], 0, 2
	v_lshl_add_u64 v[18:19], v[18:19], 0, 2
	s_addc_u32 s43, s27, -1
	s_mov_b64 s[44:45], 0
	s_mov_b64 s[48:49], 0
                                        ; implicit-def: $sgpr46_sgpr47
	s_branch .LBB1445_299
.LBB1445_297:                           ;   in Loop: Header=BB1445_299 Depth=1
	global_load_ushort v20, v[18:19], off
	global_load_ushort v21, v[16:17], off
	s_add_u32 s48, s48, 1
	s_addc_u32 s49, s49, 0
	s_andn2_b64 s[46:47], s[46:47], exec
	v_lshl_add_u64 v[16:17], v[16:17], 0, 2
	v_lshl_add_u64 v[18:19], v[18:19], 0, 2
	s_waitcnt vmcnt(0)
	v_cmp_ne_u16_e32 vcc, v20, v21
	s_and_b64 s[50:51], vcc, exec
	s_or_b64 s[46:47], s[46:47], s[50:51]
.LBB1445_298:                           ;   in Loop: Header=BB1445_299 Depth=1
	s_and_b64 s[50:51], exec, s[46:47]
	s_or_b64 s[44:45], s[50:51], s[44:45]
	v_mov_b64_e32 v[20:21], s[48:49]
	s_andn2_b64 exec, exec, s[44:45]
	s_cbranch_execz .LBB1445_301
.LBB1445_299:                           ; =>This Inner Loop Header: Depth=1
	s_or_b64 s[46:47], s[46:47], exec
	s_cmp_eq_u64 s[42:43], s[48:49]
	s_cbranch_scc0 .LBB1445_297
; %bb.300:                              ;   in Loop: Header=BB1445_299 Depth=1
                                        ; implicit-def: $vgpr16_vgpr17
                                        ; implicit-def: $vgpr18_vgpr19
	s_mov_b64 s[48:49], s[26:27]
	s_branch .LBB1445_298
.LBB1445_301:
	s_or_b64 exec, exec, s[44:45]
	v_cmp_gt_i64_e32 vcc, s[26:27], v[20:21]
	s_orn2_b64 s[42:43], vcc, exec
.LBB1445_302:
	s_or_b64 exec, exec, s[36:37]
.LBB1445_303:
	s_and_b64 s[36:37], s[42:43], exec
.LBB1445_304:
	s_or_b64 exec, exec, s[40:41]
	v_cndmask_b32_e64 v17, 0, 1, s[18:19]
	v_cndmask_b32_e64 v16, 0, 1, s[38:39]
	;; [unrolled: 1-line block ×3, first 2 shown]
	v_lshlrev_b16_e32 v17, 8, v17
	v_cndmask_b32_e64 v32, 0, 1, s[14:15]
	v_cndmask_b32_e64 v18, 0, 1, s[36:37]
	v_or_b32_sdwa v16, v16, v17 dst_sel:WORD_1 dst_unused:UNUSED_PAD src0_sel:DWORD src1_sel:DWORD
	v_lshlrev_b16_e32 v17, 8, v33
	v_lshlrev_b16_e32 v18, 8, v18
	v_or_b32_e32 v17, v32, v17
	v_or_b32_e32 v18, 1, v18
	v_and_b32_e32 v17, 0xffff, v17
	v_cndmask_b32_e64 v34, 0, 1, s[4:5]
	v_or_b32_sdwa v16, v18, v16 dst_sel:DWORD dst_unused:UNUSED_PAD src0_sel:WORD_0 src1_sel:DWORD
	v_lshl_or_b32 v17, v34, 16, v17
	v_cmp_ne_u32_e32 vcc, 0, v0
	s_waitcnt lgkmcnt(0)
	s_barrier
	s_waitcnt lgkmcnt(0)
                                        ; implicit-def: $sgpr18_sgpr19
                                        ; implicit-def: $vgpr20
	s_and_saveexec_b64 s[4:5], vcc
	s_cbranch_execz .LBB1445_317
; %bb.305:
	v_cmp_gt_u32_e32 vcc, s3, v1
	s_mov_b32 s33, 0x3020104
	s_mov_b64 s[14:15], 0
	s_and_saveexec_b64 s[12:13], vcc
	s_cbranch_execz .LBB1445_316
; %bb.306:
	s_andn2_b64 vcc, exec, s[6:7]
	s_cbranch_vccnz .LBB1445_315
; %bb.307:
	v_add_u32_e32 v17, -8, v30
	ds_read_b64 v[18:19], v17
	v_mul_lo_u32 v17, v11, s26
	v_mad_u64_u32 v[22:23], s[6:7], v10, s26, 0
	s_mov_b64 s[14:15], -1
	s_waitcnt lgkmcnt(0)
	v_mul_lo_u32 v20, v19, s26
	v_mul_lo_u32 v21, v18, s27
	v_mad_u64_u32 v[18:19], s[6:7], v18, s26, 0
	v_add3_u32 v19, v19, v21, v20
	v_mul_lo_u32 v20, v10, s27
	v_add3_u32 v23, v23, v20, v17
	v_lshl_add_u64 v[20:21], v[18:19], 1, s[28:29]
	v_lshl_add_u64 v[18:19], v[22:23], 1, s[28:29]
	global_load_ushort v17, v[20:21], off
	global_load_ushort v22, v[18:19], off
	s_waitcnt vmcnt(0)
	v_cmp_eq_u16_e32 vcc, v17, v22
	s_and_saveexec_b64 s[6:7], vcc
	s_cbranch_execz .LBB1445_314
; %bb.308:
	s_add_u32 s14, s26, -1
	v_lshl_add_u64 v[18:19], v[18:19], 0, 2
	v_lshl_add_u64 v[20:21], v[20:21], 0, 2
	s_addc_u32 s15, s27, -1
	s_mov_b64 s[18:19], 0
	s_mov_b64 s[36:37], 0
                                        ; implicit-def: $sgpr28_sgpr29
	s_branch .LBB1445_311
.LBB1445_309:                           ;   in Loop: Header=BB1445_311 Depth=1
	global_load_ushort v17, v[20:21], off
	global_load_ushort v22, v[18:19], off
	s_add_u32 s36, s36, 1
	s_addc_u32 s37, s37, 0
	s_andn2_b64 s[28:29], s[28:29], exec
	v_lshl_add_u64 v[18:19], v[18:19], 0, 2
	v_lshl_add_u64 v[20:21], v[20:21], 0, 2
	s_waitcnt vmcnt(0)
	v_cmp_ne_u16_e32 vcc, v17, v22
	s_and_b64 s[38:39], vcc, exec
	s_or_b64 s[28:29], s[28:29], s[38:39]
.LBB1445_310:                           ;   in Loop: Header=BB1445_311 Depth=1
	s_and_b64 s[38:39], exec, s[28:29]
	s_or_b64 s[18:19], s[38:39], s[18:19]
	v_mov_b64_e32 v[22:23], s[36:37]
	s_andn2_b64 exec, exec, s[18:19]
	s_cbranch_execz .LBB1445_313
.LBB1445_311:                           ; =>This Inner Loop Header: Depth=1
	s_or_b64 s[28:29], s[28:29], exec
	s_cmp_eq_u64 s[14:15], s[36:37]
	s_cbranch_scc0 .LBB1445_309
; %bb.312:                              ;   in Loop: Header=BB1445_311 Depth=1
                                        ; implicit-def: $vgpr18_vgpr19
                                        ; implicit-def: $vgpr20_vgpr21
	s_mov_b64 s[36:37], s[26:27]
	s_branch .LBB1445_310
.LBB1445_313:
	s_or_b64 exec, exec, s[18:19]
	v_cmp_gt_i64_e32 vcc, s[26:27], v[22:23]
	s_orn2_b64 s[14:15], vcc, exec
.LBB1445_314:
	s_or_b64 exec, exec, s[6:7]
.LBB1445_315:
	s_and_b64 s[14:15], s[14:15], exec
.LBB1445_316:
	s_or_b64 exec, exec, s[12:13]
	v_perm_b32 v20, v16, v16, s33
	s_and_b64 s[18:19], s[14:15], exec
	s_or_b64 s[10:11], s[10:11], exec
                                        ; implicit-def: $vgpr16_vgpr17
.LBB1445_317:
	s_or_b64 exec, exec, s[4:5]
.LBB1445_318:
	s_and_saveexec_b64 s[4:5], s[10:11]
	s_cbranch_execz .LBB1445_320
; %bb.319:
	s_waitcnt lgkmcnt(0)
	v_lshlrev_b16_e32 v17, 8, v33
	v_and_b32_e32 v18, 0xff, v34
	v_or_b32_sdwa v17, v32, v17 dst_sel:DWORD dst_unused:UNUSED_PAD src0_sel:BYTE_0 src1_sel:DWORD
	v_lshlrev_b32_e32 v18, 16, v18
	s_movk_i32 s6, 0xff
	v_or_b32_sdwa v17, v17, v18 dst_sel:DWORD dst_unused:UNUSED_PAD src0_sel:WORD_0 src1_sel:DWORD
	v_lshrrev_b32_e32 v18, 24, v20
	v_lshlrev_b16_e32 v18, 8, v18
	v_and_b32_sdwa v19, v20, s6 dst_sel:DWORD dst_unused:UNUSED_PAD src0_sel:WORD_1 src1_sel:DWORD
	v_or_b32_sdwa v18, v19, v18 dst_sel:WORD_1 dst_unused:UNUSED_PAD src0_sel:DWORD src1_sel:DWORD
	v_mov_b32_e32 v19, 8
	v_cndmask_b32_e64 v16, 0, 1, s[18:19]
	v_lshrrev_b32_sdwa v19, v19, v20 dst_sel:BYTE_1 dst_unused:UNUSED_PAD src0_sel:DWORD src1_sel:DWORD
	s_nop 0
	v_or_b32_e32 v16, v16, v19
	v_or_b32_sdwa v16, v16, v18 dst_sel:DWORD dst_unused:UNUSED_PAD src0_sel:WORD_0 src1_sel:DWORD
.LBB1445_320:
	s_or_b64 exec, exec, s[4:5]
	s_andn2_b64 vcc, exec, s[8:9]
	s_cbranch_vccnz .LBB1445_322
; %bb.321:
	s_waitcnt lgkmcnt(0)
	v_and_b32_e32 v18, 0xffff0000, v16
	v_cmp_gt_u32_e32 vcc, s3, v1
	s_mov_b32 s4, 0x40c0100
	s_nop 0
	v_cndmask_b32_e32 v1, v18, v16, vcc
	v_and_b32_e32 v1, 0xffff00ff, v1
	v_cmp_gt_u32_e32 vcc, s3, v25
	s_nop 1
	v_cndmask_b32_e32 v1, v1, v16, vcc
	v_lshrrev_b32_e32 v18, 24, v1
	v_perm_b32 v1, v18, v1, s4
	v_cmp_gt_u32_e32 vcc, s3, v24
	v_and_b32_e32 v18, 0xffffff00, v17
	s_nop 0
	v_cndmask_b32_e32 v1, v1, v16, vcc
	v_and_b32_e32 v1, 0xffffff, v1
	v_cmp_gt_u32_e32 vcc, s3, v28
	s_nop 1
	v_cndmask_b32_e32 v1, v1, v16, vcc
	v_cmp_gt_u32_e32 vcc, s3, v26
	s_nop 1
	v_cndmask_b32_e32 v18, v18, v17, vcc
	v_and_b32_e32 v18, 0xffff00ff, v18
	v_cndmask_b32_e32 v1, v1, v16, vcc
	v_cmp_gt_u32_e32 vcc, s3, v29
	s_nop 1
	v_cndmask_b32_e32 v18, v18, v17, vcc
	v_lshrrev_b32_e32 v19, 24, v18
	v_cndmask_b32_e32 v1, v1, v16, vcc
	v_perm_b32 v18, v19, v18, s4
	v_cmp_gt_u32_e32 vcc, s3, v27
	s_mov_b32 s3, 0x3020104
	s_nop 0
	v_cndmask_b32_e32 v1, v1, v16, vcc
	v_cndmask_b32_e32 v16, v18, v17, vcc
	v_mov_b32_e32 v17, 8
	v_lshrrev_b32_sdwa v17, v17, v16 dst_sel:BYTE_1 dst_unused:UNUSED_PAD src0_sel:DWORD src1_sel:DWORD
	s_nop 0
	v_or_b32_sdwa v17, v16, v17 dst_sel:DWORD dst_unused:UNUSED_PAD src0_sel:BYTE_0 src1_sel:DWORD
	v_and_b32_e32 v17, 0xffff, v17
	v_bfe_u32 v16, v16, 16, 8
	v_lshl_or_b32 v17, v16, 16, v17
	v_perm_b32 v16, v1, v1, s3
.LBB1445_322:
	s_waitcnt lgkmcnt(0)
	v_and_b32_e32 v1, 0xff, v16
	v_bfe_u32 v29, v16, 8, 8
	v_bfe_u32 v31, v16, 16, 8
	v_alignbit_b32 v18, v17, v16, 24
	v_and_b32_e32 v33, 0xff, v18
	v_and_b32_e32 v35, 0xff, v17
	v_add3_u32 v19, v29, v1, v31
	v_bfe_u32 v36, v17, 8, 8
	v_bfe_u32 v18, v17, 16, 8
	v_add3_u32 v19, v19, v33, v35
	v_add3_u32 v39, v19, v36, v18
	v_mbcnt_lo_u32_b32 v18, -1, 0
	v_mbcnt_hi_u32_b32 v37, -1, v18
	v_and_b32_e32 v18, 15, v37
	v_cmp_eq_u32_e64 s[14:15], 0, v18
	v_cmp_lt_u32_e64 s[12:13], 1, v18
	v_cmp_lt_u32_e64 s[10:11], 3, v18
	;; [unrolled: 1-line block ×3, first 2 shown]
	v_and_b32_e32 v18, 16, v37
	v_cmp_eq_u32_e64 s[6:7], 0, v18
	v_or_b32_e32 v18, 63, v0
	v_cmp_lt_u32_e64 s[18:19], 31, v37
	v_lshrrev_b32_e32 v38, 6, v0
	v_cmp_eq_u32_e64 s[4:5], v18, v0
	s_and_b64 vcc, exec, s[16:17]
	s_barrier
	s_cbranch_vccz .LBB1445_353
; %bb.323:
	v_mov_b32_dpp v18, v39 row_shr:1 row_mask:0xf bank_mask:0xf
	v_cndmask_b32_e64 v18, v18, 0, s[14:15]
	v_add_u32_e32 v18, v18, v39
	s_nop 1
	v_mov_b32_dpp v19, v18 row_shr:2 row_mask:0xf bank_mask:0xf
	v_cndmask_b32_e64 v19, 0, v19, s[12:13]
	v_add_u32_e32 v18, v18, v19
	s_nop 1
	;; [unrolled: 4-line block ×4, first 2 shown]
	v_mov_b32_dpp v19, v18 row_bcast:15 row_mask:0xf bank_mask:0xf
	v_cndmask_b32_e64 v19, v19, 0, s[6:7]
	v_add_u32_e32 v18, v18, v19
	s_nop 1
	v_mov_b32_dpp v19, v18 row_bcast:31 row_mask:0xf bank_mask:0xf
	v_cndmask_b32_e64 v19, 0, v19, s[18:19]
	v_add_u32_e32 v18, v18, v19
	s_and_saveexec_b64 s[16:17], s[4:5]
	s_cbranch_execz .LBB1445_325
; %bb.324:
	v_lshlrev_b32_e32 v19, 2, v38
	ds_write_b32 v19, v18
.LBB1445_325:
	s_or_b64 exec, exec, s[16:17]
	v_cmp_gt_u32_e32 vcc, 8, v0
	s_waitcnt lgkmcnt(0)
	s_barrier
	s_and_saveexec_b64 s[16:17], vcc
	s_cbranch_execz .LBB1445_327
; %bb.326:
	v_lshlrev_b32_e32 v19, 2, v0
	ds_read_b32 v20, v19
	v_and_b32_e32 v21, 7, v37
	v_cmp_ne_u32_e32 vcc, 0, v21
	s_waitcnt lgkmcnt(0)
	v_mov_b32_dpp v22, v20 row_shr:1 row_mask:0xf bank_mask:0xf
	v_cndmask_b32_e32 v22, 0, v22, vcc
	v_add_u32_e32 v20, v22, v20
	v_cmp_lt_u32_e32 vcc, 1, v21
	s_nop 0
	v_mov_b32_dpp v22, v20 row_shr:2 row_mask:0xf bank_mask:0xf
	v_cndmask_b32_e32 v22, 0, v22, vcc
	v_add_u32_e32 v20, v20, v22
	v_cmp_lt_u32_e32 vcc, 3, v21
	s_nop 0
	v_mov_b32_dpp v22, v20 row_shr:4 row_mask:0xf bank_mask:0xf
	v_cndmask_b32_e32 v21, 0, v22, vcc
	v_add_u32_e32 v20, v20, v21
	ds_write_b32 v19, v20
.LBB1445_327:
	s_or_b64 exec, exec, s[16:17]
	v_cmp_gt_u32_e32 vcc, 64, v0
	v_cmp_lt_u32_e64 s[16:17], 63, v0
	s_waitcnt lgkmcnt(0)
	s_barrier
	s_waitcnt lgkmcnt(0)
                                        ; implicit-def: $vgpr28
	s_and_saveexec_b64 s[26:27], s[16:17]
	s_cbranch_execz .LBB1445_329
; %bb.328:
	v_lshl_add_u32 v19, v38, 2, -4
	ds_read_b32 v28, v19
	s_waitcnt lgkmcnt(0)
	v_add_u32_e32 v18, v28, v18
.LBB1445_329:
	s_or_b64 exec, exec, s[26:27]
	v_add_u32_e32 v19, -1, v37
	v_and_b32_e32 v20, 64, v37
	v_cmp_lt_i32_e64 s[16:17], v19, v20
	s_nop 1
	v_cndmask_b32_e64 v19, v19, v37, s[16:17]
	v_lshlrev_b32_e32 v19, 2, v19
	ds_bpermute_b32 v30, v19, v18
	v_cmp_eq_u32_e64 s[16:17], 0, v37
	s_and_saveexec_b64 s[26:27], vcc
	s_cbranch_execz .LBB1445_352
; %bb.330:
	v_mov_b32_e32 v27, 0
	ds_read_b32 v18, v27 offset:28
	s_and_saveexec_b64 s[28:29], s[16:17]
	s_cbranch_execz .LBB1445_332
; %bb.331:
	s_add_i32 s36, s2, 64
	s_mov_b32 s37, 0
	s_lshl_b64 s[36:37], s[36:37], 3
	s_add_u32 s36, s30, s36
	v_mov_b32_e32 v19, 1
	s_addc_u32 s37, s31, s37
	s_waitcnt lgkmcnt(0)
	global_store_dwordx2 v27, v[18:19], s[36:37] sc1
.LBB1445_332:
	s_or_b64 exec, exec, s[28:29]
	v_xad_u32 v20, v37, -1, s2
	v_add_u32_e32 v26, 64, v20
	v_lshl_add_u64 v[22:23], v[26:27], 3, s[30:31]
	global_load_dwordx2 v[24:25], v[22:23], off sc1
	s_waitcnt vmcnt(0)
	v_cmp_eq_u16_sdwa s[36:37], v25, v27 src0_sel:BYTE_0 src1_sel:DWORD
	s_and_saveexec_b64 s[28:29], s[36:37]
	s_cbranch_execz .LBB1445_338
; %bb.333:
	s_mov_b32 s3, 1
	s_mov_b64 s[36:37], 0
	v_mov_b32_e32 v19, 0
.LBB1445_334:                           ; =>This Loop Header: Depth=1
                                        ;     Child Loop BB1445_335 Depth 2
	s_max_u32 s33, s3, 1
.LBB1445_335:                           ;   Parent Loop BB1445_334 Depth=1
                                        ; =>  This Inner Loop Header: Depth=2
	s_add_i32 s33, s33, -1
	s_cmp_eq_u32 s33, 0
	s_sleep 1
	s_cbranch_scc0 .LBB1445_335
; %bb.336:                              ;   in Loop: Header=BB1445_334 Depth=1
	global_load_dwordx2 v[24:25], v[22:23], off sc1
	s_cmp_lt_u32 s3, 32
	s_cselect_b64 s[38:39], -1, 0
	s_cmp_lg_u64 s[38:39], 0
	s_addc_u32 s3, s3, 0
	s_waitcnt vmcnt(0)
	v_cmp_ne_u16_sdwa s[38:39], v25, v19 src0_sel:BYTE_0 src1_sel:DWORD
	s_or_b64 s[36:37], s[38:39], s[36:37]
	s_andn2_b64 exec, exec, s[36:37]
	s_cbranch_execnz .LBB1445_334
; %bb.337:
	s_or_b64 exec, exec, s[36:37]
.LBB1445_338:
	s_or_b64 exec, exec, s[28:29]
	v_and_b32_e32 v32, 63, v37
	v_mov_b32_e32 v19, 2
	v_cmp_ne_u32_e32 vcc, 63, v32
	v_cmp_eq_u16_sdwa s[28:29], v25, v19 src0_sel:BYTE_0 src1_sel:DWORD
	v_lshlrev_b64 v[22:23], v37, -1
	v_addc_co_u32_e32 v27, vcc, 0, v37, vcc
	v_and_b32_e32 v21, s29, v23
	v_lshlrev_b32_e32 v34, 2, v27
	v_or_b32_e32 v21, 0x80000000, v21
	ds_bpermute_b32 v27, v34, v24
	v_and_b32_e32 v26, s28, v22
	v_ffbl_b32_e32 v21, v21
	v_add_u32_e32 v21, 32, v21
	v_ffbl_b32_e32 v26, v26
	v_min_u32_e32 v21, v26, v21
	v_cmp_lt_u32_e32 vcc, v32, v21
	v_add_u32_e32 v41, 2, v32
	v_add_u32_e32 v43, 4, v32
	s_waitcnt lgkmcnt(0)
	v_cndmask_b32_e32 v26, 0, v27, vcc
	v_cmp_gt_u32_e32 vcc, 62, v32
	v_add_u32_e32 v24, v26, v24
	v_add_u32_e32 v45, 8, v32
	v_cndmask_b32_e64 v26, 0, 1, vcc
	v_lshlrev_b32_e32 v26, 1, v26
	v_add_lshl_u32 v40, v26, v37, 2
	ds_bpermute_b32 v26, v40, v24
	v_cmp_le_u32_e32 vcc, v41, v21
	v_add_u32_e32 v48, 16, v32
	v_add_u32_e32 v50, 32, v32
	s_waitcnt lgkmcnt(0)
	v_cndmask_b32_e32 v26, 0, v26, vcc
	v_cmp_gt_u32_e32 vcc, 60, v32
	v_add_u32_e32 v24, v24, v26
	s_nop 0
	v_cndmask_b32_e64 v26, 0, 1, vcc
	v_lshlrev_b32_e32 v26, 2, v26
	v_add_lshl_u32 v42, v26, v37, 2
	ds_bpermute_b32 v26, v42, v24
	v_cmp_le_u32_e32 vcc, v43, v21
	s_waitcnt lgkmcnt(0)
	s_nop 0
	v_cndmask_b32_e32 v26, 0, v26, vcc
	v_cmp_gt_u32_e32 vcc, 56, v32
	v_add_u32_e32 v24, v24, v26
	s_nop 0
	v_cndmask_b32_e64 v26, 0, 1, vcc
	v_lshlrev_b32_e32 v26, 3, v26
	v_add_lshl_u32 v44, v26, v37, 2
	ds_bpermute_b32 v26, v44, v24
	v_cmp_le_u32_e32 vcc, v45, v21
	s_waitcnt lgkmcnt(0)
	s_nop 0
	;; [unrolled: 11-line block ×4, first 2 shown]
	v_cndmask_b32_e32 v21, 0, v26, vcc
	v_add_u32_e32 v24, v24, v21
	v_mov_b32_e32 v21, 0
	s_branch .LBB1445_340
.LBB1445_339:                           ;   in Loop: Header=BB1445_340 Depth=1
	s_or_b64 exec, exec, s[28:29]
	v_cmp_eq_u16_sdwa s[28:29], v25, v19 src0_sel:BYTE_0 src1_sel:DWORD
	ds_bpermute_b32 v51, v34, v24
	v_subrev_u32_e32 v20, 64, v20
	v_and_b32_e32 v26, s29, v23
	v_or_b32_e32 v26, 0x80000000, v26
	v_and_b32_e32 v27, s28, v22
	v_ffbl_b32_e32 v26, v26
	v_add_u32_e32 v26, 32, v26
	v_ffbl_b32_e32 v27, v27
	v_min_u32_e32 v26, v27, v26
	v_cmp_lt_u32_e32 vcc, v32, v26
	s_waitcnt lgkmcnt(0)
	s_nop 0
	v_cndmask_b32_e32 v27, 0, v51, vcc
	v_add_u32_e32 v24, v27, v24
	ds_bpermute_b32 v27, v40, v24
	v_cmp_le_u32_e32 vcc, v41, v26
	s_waitcnt lgkmcnt(0)
	s_nop 0
	v_cndmask_b32_e32 v27, 0, v27, vcc
	v_add_u32_e32 v24, v24, v27
	ds_bpermute_b32 v27, v42, v24
	v_cmp_le_u32_e32 vcc, v43, v26
	;; [unrolled: 6-line block ×5, first 2 shown]
	s_waitcnt lgkmcnt(0)
	s_nop 0
	v_cndmask_b32_e32 v26, 0, v27, vcc
	v_add3_u32 v24, v26, v46, v24
.LBB1445_340:                           ; =>This Loop Header: Depth=1
                                        ;     Child Loop BB1445_343 Depth 2
                                        ;       Child Loop BB1445_344 Depth 3
	v_cmp_ne_u16_sdwa s[28:29], v25, v19 src0_sel:BYTE_0 src1_sel:DWORD
	v_mov_b32_e32 v46, v24
	s_nop 0
	v_cndmask_b32_e64 v25, 0, 1, s[28:29]
	;;#ASMSTART
	;;#ASMEND
	s_nop 0
	v_cmp_ne_u32_e32 vcc, 0, v25
	s_cmp_lg_u64 vcc, exec
	s_cbranch_scc1 .LBB1445_347
; %bb.341:                              ;   in Loop: Header=BB1445_340 Depth=1
	v_lshl_add_u64 v[26:27], v[20:21], 3, s[30:31]
	global_load_dwordx2 v[24:25], v[26:27], off sc1
	s_waitcnt vmcnt(0)
	v_cmp_eq_u16_sdwa s[36:37], v25, v21 src0_sel:BYTE_0 src1_sel:DWORD
	s_and_saveexec_b64 s[28:29], s[36:37]
	s_cbranch_execz .LBB1445_339
; %bb.342:                              ;   in Loop: Header=BB1445_340 Depth=1
	s_mov_b32 s3, 1
	s_mov_b64 s[36:37], 0
.LBB1445_343:                           ;   Parent Loop BB1445_340 Depth=1
                                        ; =>  This Loop Header: Depth=2
                                        ;       Child Loop BB1445_344 Depth 3
	s_max_u32 s33, s3, 1
.LBB1445_344:                           ;   Parent Loop BB1445_340 Depth=1
                                        ;     Parent Loop BB1445_343 Depth=2
                                        ; =>    This Inner Loop Header: Depth=3
	s_add_i32 s33, s33, -1
	s_cmp_eq_u32 s33, 0
	s_sleep 1
	s_cbranch_scc0 .LBB1445_344
; %bb.345:                              ;   in Loop: Header=BB1445_343 Depth=2
	global_load_dwordx2 v[24:25], v[26:27], off sc1
	s_cmp_lt_u32 s3, 32
	s_cselect_b64 s[38:39], -1, 0
	s_cmp_lg_u64 s[38:39], 0
	s_addc_u32 s3, s3, 0
	s_waitcnt vmcnt(0)
	v_cmp_ne_u16_sdwa s[38:39], v25, v21 src0_sel:BYTE_0 src1_sel:DWORD
	s_or_b64 s[36:37], s[38:39], s[36:37]
	s_andn2_b64 exec, exec, s[36:37]
	s_cbranch_execnz .LBB1445_343
; %bb.346:                              ;   in Loop: Header=BB1445_340 Depth=1
	s_or_b64 exec, exec, s[36:37]
	s_branch .LBB1445_339
.LBB1445_347:                           ;   in Loop: Header=BB1445_340 Depth=1
                                        ; implicit-def: $vgpr24
                                        ; implicit-def: $vgpr25
	s_cbranch_execz .LBB1445_340
; %bb.348:
	s_and_saveexec_b64 s[28:29], s[16:17]
	s_cbranch_execz .LBB1445_350
; %bb.349:
	s_add_i32 s2, s2, 64
	s_mov_b32 s3, 0
	s_lshl_b64 s[2:3], s[2:3], 3
	s_add_u32 s2, s30, s2
	v_add_u32_e32 v20, v46, v18
	v_mov_b32_e32 v21, 2
	s_addc_u32 s3, s31, s3
	v_mov_b32_e32 v19, 0
	global_store_dwordx2 v19, v[20:21], s[2:3] sc1
	s_movk_i32 s2, 0x7000
	v_add_u32_e64 v19, s2, 0
	ds_write2_b32 v19, v18, v46 offset1:2
.LBB1445_350:
	s_or_b64 exec, exec, s[28:29]
	v_cmp_eq_u32_e32 vcc, 0, v0
	s_and_b64 exec, exec, vcc
	s_cbranch_execz .LBB1445_352
; %bb.351:
	v_mov_b32_e32 v18, 0
	ds_write_b32 v18, v46 offset:28
.LBB1445_352:
	s_or_b64 exec, exec, s[26:27]
	v_mov_b32_e32 v18, 0
	s_waitcnt lgkmcnt(0)
	s_barrier
	ds_read_b32 v18, v18 offset:28
	v_cndmask_b32_e64 v19, v30, v28, s[16:17]
	v_cmp_ne_u32_e32 vcc, 0, v0
	s_movk_i32 s2, 0x7000
	s_waitcnt lgkmcnt(0)
	v_cndmask_b32_e32 v19, 0, v19, vcc
	v_add_u32_e32 v34, v18, v19
	v_add_u32_e32 v32, v34, v1
	v_add_u32_e64 v18, s2, 0
	v_add_u32_e32 v30, v32, v29
	s_barrier
	ds_read2_b32 v[18:19], v18 offset1:2
	v_add_u32_e32 v28, v30, v31
	v_add_u32_e32 v26, v28, v33
	;; [unrolled: 1-line block ×4, first 2 shown]
	s_load_dwordx2 s[2:3], s[0:1], 0x28
	v_lshrrev_b64 v[20:21], 24, v[16:17]
	s_branch .LBB1445_363
.LBB1445_353:
                                        ; implicit-def: $vgpr22
                                        ; implicit-def: $vgpr24
                                        ; implicit-def: $vgpr26
                                        ; implicit-def: $vgpr28
                                        ; implicit-def: $vgpr30
                                        ; implicit-def: $vgpr32
                                        ; implicit-def: $vgpr34
                                        ; implicit-def: $vgpr19
	s_load_dwordx2 s[2:3], s[0:1], 0x28
	v_lshrrev_b64 v[20:21], 24, v[16:17]
	s_cbranch_execz .LBB1445_363
; %bb.354:
	s_waitcnt lgkmcnt(0)
	v_mov_b32_dpp v18, v39 row_shr:1 row_mask:0xf bank_mask:0xf
	v_cndmask_b32_e64 v18, v18, 0, s[14:15]
	v_add_u32_e32 v18, v18, v39
	s_nop 1
	v_mov_b32_dpp v19, v18 row_shr:2 row_mask:0xf bank_mask:0xf
	v_cndmask_b32_e64 v19, 0, v19, s[12:13]
	v_add_u32_e32 v18, v18, v19
	s_nop 1
	;; [unrolled: 4-line block ×4, first 2 shown]
	v_mov_b32_dpp v19, v18 row_bcast:15 row_mask:0xf bank_mask:0xf
	v_cndmask_b32_e64 v19, v19, 0, s[6:7]
	v_add_u32_e32 v18, v18, v19
	s_nop 1
	v_mov_b32_dpp v19, v18 row_bcast:31 row_mask:0xf bank_mask:0xf
	v_cndmask_b32_e64 v19, 0, v19, s[18:19]
	v_add_u32_e32 v18, v18, v19
	s_and_saveexec_b64 s[0:1], s[4:5]
	s_cbranch_execz .LBB1445_356
; %bb.355:
	v_lshlrev_b32_e32 v19, 2, v38
	ds_write_b32 v19, v18
.LBB1445_356:
	s_or_b64 exec, exec, s[0:1]
	v_cmp_gt_u32_e32 vcc, 8, v0
	s_waitcnt lgkmcnt(0)
	s_barrier
	s_and_saveexec_b64 s[0:1], vcc
	s_cbranch_execz .LBB1445_358
; %bb.357:
	v_lshlrev_b32_e32 v19, 2, v0
	ds_read_b32 v21, v19
	v_and_b32_e32 v22, 7, v37
	v_cmp_ne_u32_e32 vcc, 0, v22
	s_waitcnt lgkmcnt(0)
	v_mov_b32_dpp v23, v21 row_shr:1 row_mask:0xf bank_mask:0xf
	v_cndmask_b32_e32 v23, 0, v23, vcc
	v_add_u32_e32 v21, v23, v21
	v_cmp_lt_u32_e32 vcc, 1, v22
	s_nop 0
	v_mov_b32_dpp v23, v21 row_shr:2 row_mask:0xf bank_mask:0xf
	v_cndmask_b32_e32 v23, 0, v23, vcc
	v_add_u32_e32 v21, v21, v23
	v_cmp_lt_u32_e32 vcc, 3, v22
	s_nop 0
	v_mov_b32_dpp v23, v21 row_shr:4 row_mask:0xf bank_mask:0xf
	v_cndmask_b32_e32 v22, 0, v23, vcc
	v_add_u32_e32 v21, v21, v22
	ds_write_b32 v19, v21
.LBB1445_358:
	s_or_b64 exec, exec, s[0:1]
	v_cmp_lt_u32_e32 vcc, 63, v0
	v_mov_b32_e32 v19, 0
	v_mov_b32_e32 v21, 0
	s_waitcnt lgkmcnt(0)
	s_barrier
	s_and_saveexec_b64 s[0:1], vcc
	s_cbranch_execz .LBB1445_360
; %bb.359:
	v_lshl_add_u32 v21, v38, 2, -4
	ds_read_b32 v21, v21
.LBB1445_360:
	s_or_b64 exec, exec, s[0:1]
	v_add_u32_e32 v22, -1, v37
	v_and_b32_e32 v23, 64, v37
	v_cmp_lt_i32_e32 vcc, v22, v23
	s_waitcnt lgkmcnt(0)
	v_add_u32_e32 v18, v21, v18
	v_cndmask_b32_e32 v22, v22, v37, vcc
	v_lshlrev_b32_e32 v22, 2, v22
	ds_bpermute_b32 v22, v22, v18
	ds_read_b32 v18, v19 offset:28
	v_cmp_eq_u32_e32 vcc, 0, v0
	s_and_saveexec_b64 s[0:1], vcc
	s_cbranch_execz .LBB1445_362
; %bb.361:
	v_mov_b32_e32 v23, 0
	v_mov_b32_e32 v19, 2
	s_waitcnt lgkmcnt(0)
	global_store_dwordx2 v23, v[18:19], s[30:31] offset:512 sc1
.LBB1445_362:
	s_or_b64 exec, exec, s[0:1]
	v_cmp_eq_u32_e64 s[0:1], 0, v37
	v_mov_b32_e32 v19, 0
	s_waitcnt lgkmcnt(0)
	v_cndmask_b32_e64 v21, v22, v21, s[0:1]
	v_cndmask_b32_e64 v34, v21, 0, vcc
	v_add_u32_e32 v32, v34, v1
	v_add_u32_e32 v30, v32, v29
	;; [unrolled: 1-line block ×6, first 2 shown]
	s_barrier
.LBB1445_363:
	s_movk_i32 s0, 0x201
	s_waitcnt lgkmcnt(0)
	v_cmp_gt_u32_e32 vcc, s0, v18
	v_lshrrev_b32_e32 v21, 8, v16
	v_lshrrev_b32_e32 v1, 8, v17
	s_mov_b64 s[0:1], -1
	s_cbranch_vccnz .LBB1445_367
; %bb.364:
	s_and_b64 vcc, exec, s[0:1]
	s_cbranch_vccnz .LBB1445_389
.LBB1445_365:
	v_cmp_eq_u32_e32 vcc, 0, v0
	s_and_b64 s[0:1], vcc, s[24:25]
	s_and_saveexec_b64 s[2:3], s[0:1]
	s_cbranch_execnz .LBB1445_407
.LBB1445_366:
	s_endpgm
.LBB1445_367:
	v_add_u32_e32 v23, v19, v18
	v_cmp_lt_u32_e32 vcc, v34, v23
	s_or_b64 s[4:5], s[34:35], vcc
	s_and_saveexec_b64 s[0:1], s[4:5]
	s_cbranch_execz .LBB1445_370
; %bb.368:
	v_and_b32_e32 v25, 1, v16
	v_cmp_eq_u32_e32 vcc, 1, v25
	s_and_b64 exec, exec, vcc
	s_cbranch_execz .LBB1445_370
; %bb.369:
	s_lshl_b64 s[4:5], s[22:23], 3
	s_add_u32 s4, s2, s4
	s_addc_u32 s5, s3, s5
	v_mov_b32_e32 v35, 0
	v_lshl_add_u64 v[36:37], v[34:35], 3, s[4:5]
	global_store_dwordx2 v[36:37], v[10:11], off
.LBB1445_370:
	s_or_b64 exec, exec, s[0:1]
	v_cmp_lt_u32_e32 vcc, v32, v23
	s_or_b64 s[4:5], s[34:35], vcc
	s_and_saveexec_b64 s[0:1], s[4:5]
	s_cbranch_execz .LBB1445_373
; %bb.371:
	v_and_b32_e32 v25, 1, v21
	v_cmp_eq_u32_e32 vcc, 1, v25
	s_and_b64 exec, exec, vcc
	s_cbranch_execz .LBB1445_373
; %bb.372:
	s_lshl_b64 s[4:5], s[22:23], 3
	s_add_u32 s4, s2, s4
	s_addc_u32 s5, s3, s5
	v_mov_b32_e32 v33, 0
	v_lshl_add_u64 v[36:37], v[32:33], 3, s[4:5]
	global_store_dwordx2 v[36:37], v[12:13], off
.LBB1445_373:
	s_or_b64 exec, exec, s[0:1]
	v_cmp_lt_u32_e32 vcc, v30, v23
	s_or_b64 s[4:5], s[34:35], vcc
	s_and_saveexec_b64 s[0:1], s[4:5]
	s_cbranch_execz .LBB1445_376
; %bb.374:
	v_mov_b32_e32 v25, 1
	v_and_b32_sdwa v25, v25, v16 dst_sel:DWORD dst_unused:UNUSED_PAD src0_sel:DWORD src1_sel:WORD_1
	v_cmp_eq_u32_e32 vcc, 1, v25
	s_and_b64 exec, exec, vcc
	s_cbranch_execz .LBB1445_376
; %bb.375:
	s_lshl_b64 s[4:5], s[22:23], 3
	s_add_u32 s4, s2, s4
	s_addc_u32 s5, s3, s5
	v_mov_b32_e32 v31, 0
	v_lshl_add_u64 v[36:37], v[30:31], 3, s[4:5]
	global_store_dwordx2 v[36:37], v[6:7], off
.LBB1445_376:
	s_or_b64 exec, exec, s[0:1]
	v_cmp_lt_u32_e32 vcc, v28, v23
	s_or_b64 s[4:5], s[34:35], vcc
	s_and_saveexec_b64 s[0:1], s[4:5]
	s_cbranch_execz .LBB1445_379
; %bb.377:
	v_and_b32_e32 v25, 1, v20
	v_cmp_eq_u32_e32 vcc, 1, v25
	s_and_b64 exec, exec, vcc
	s_cbranch_execz .LBB1445_379
; %bb.378:
	s_lshl_b64 s[4:5], s[22:23], 3
	s_add_u32 s4, s2, s4
	s_addc_u32 s5, s3, s5
	v_mov_b32_e32 v29, 0
	v_lshl_add_u64 v[36:37], v[28:29], 3, s[4:5]
	global_store_dwordx2 v[36:37], v[8:9], off
.LBB1445_379:
	s_or_b64 exec, exec, s[0:1]
	v_cmp_lt_u32_e32 vcc, v26, v23
	s_or_b64 s[4:5], s[34:35], vcc
	s_and_saveexec_b64 s[0:1], s[4:5]
	s_cbranch_execz .LBB1445_382
; %bb.380:
	v_and_b32_e32 v25, 1, v17
	v_cmp_eq_u32_e32 vcc, 1, v25
	s_and_b64 exec, exec, vcc
	s_cbranch_execz .LBB1445_382
; %bb.381:
	s_lshl_b64 s[4:5], s[22:23], 3
	s_add_u32 s4, s2, s4
	s_addc_u32 s5, s3, s5
	v_mov_b32_e32 v27, 0
	v_lshl_add_u64 v[36:37], v[26:27], 3, s[4:5]
	global_store_dwordx2 v[36:37], v[2:3], off
.LBB1445_382:
	;; [unrolled: 18-line block ×3, first 2 shown]
	s_or_b64 exec, exec, s[0:1]
	v_cmp_lt_u32_e32 vcc, v22, v23
	s_or_b64 s[4:5], s[34:35], vcc
	s_and_saveexec_b64 s[0:1], s[4:5]
	s_cbranch_execz .LBB1445_388
; %bb.386:
	v_mov_b32_e32 v23, 1
	v_and_b32_sdwa v23, v23, v17 dst_sel:DWORD dst_unused:UNUSED_PAD src0_sel:DWORD src1_sel:WORD_1
	v_cmp_eq_u32_e32 vcc, 1, v23
	s_and_b64 exec, exec, vcc
	s_cbranch_execz .LBB1445_388
; %bb.387:
	s_lshl_b64 s[4:5], s[22:23], 3
	s_add_u32 s4, s2, s4
	s_addc_u32 s5, s3, s5
	v_mov_b32_e32 v23, 0
	v_lshl_add_u64 v[36:37], v[22:23], 3, s[4:5]
	global_store_dwordx2 v[36:37], v[14:15], off
.LBB1445_388:
	s_or_b64 exec, exec, s[0:1]
	s_branch .LBB1445_365
.LBB1445_389:
	v_and_b32_e32 v23, 1, v16
	v_cmp_eq_u32_e32 vcc, 1, v23
	s_and_saveexec_b64 s[0:1], vcc
	s_cbranch_execz .LBB1445_391
; %bb.390:
	v_sub_u32_e32 v23, v34, v19
	v_lshlrev_b32_e32 v23, 3, v23
	ds_write_b64 v23, v[10:11]
.LBB1445_391:
	s_or_b64 exec, exec, s[0:1]
	v_and_b32_e32 v10, 1, v21
	v_cmp_eq_u32_e32 vcc, 1, v10
	s_and_saveexec_b64 s[0:1], vcc
	s_cbranch_execz .LBB1445_393
; %bb.392:
	v_sub_u32_e32 v10, v32, v19
	v_lshlrev_b32_e32 v10, 3, v10
	ds_write_b64 v10, v[12:13]
.LBB1445_393:
	s_or_b64 exec, exec, s[0:1]
	v_mov_b32_e32 v10, 1
	v_and_b32_sdwa v10, v10, v16 dst_sel:DWORD dst_unused:UNUSED_PAD src0_sel:DWORD src1_sel:WORD_1
	v_cmp_eq_u32_e32 vcc, 1, v10
	s_and_saveexec_b64 s[0:1], vcc
	s_cbranch_execz .LBB1445_395
; %bb.394:
	v_sub_u32_e32 v10, v30, v19
	v_lshlrev_b32_e32 v10, 3, v10
	ds_write_b64 v10, v[6:7]
.LBB1445_395:
	s_or_b64 exec, exec, s[0:1]
	v_and_b32_e32 v6, 1, v20
	v_cmp_eq_u32_e32 vcc, 1, v6
	s_and_saveexec_b64 s[0:1], vcc
	s_cbranch_execz .LBB1445_397
; %bb.396:
	v_sub_u32_e32 v6, v28, v19
	v_lshlrev_b32_e32 v6, 3, v6
	ds_write_b64 v6, v[8:9]
.LBB1445_397:
	s_or_b64 exec, exec, s[0:1]
	v_and_b32_e32 v6, 1, v17
	;; [unrolled: 10-line block ×3, first 2 shown]
	v_cmp_eq_u32_e32 vcc, 1, v1
	s_and_saveexec_b64 s[0:1], vcc
	s_cbranch_execz .LBB1445_401
; %bb.400:
	v_sub_u32_e32 v1, v24, v19
	v_lshlrev_b32_e32 v1, 3, v1
	ds_write_b64 v1, v[4:5]
.LBB1445_401:
	s_or_b64 exec, exec, s[0:1]
	v_mov_b32_e32 v1, 1
	v_and_b32_sdwa v1, v1, v17 dst_sel:DWORD dst_unused:UNUSED_PAD src0_sel:DWORD src1_sel:WORD_1
	v_cmp_eq_u32_e32 vcc, 1, v1
	s_and_saveexec_b64 s[0:1], vcc
	s_cbranch_execz .LBB1445_403
; %bb.402:
	v_sub_u32_e32 v1, v22, v19
	v_lshlrev_b32_e32 v1, 3, v1
	ds_write_b64 v1, v[14:15]
.LBB1445_403:
	s_or_b64 exec, exec, s[0:1]
	v_cmp_lt_u32_e32 vcc, v0, v18
	s_waitcnt lgkmcnt(0)
	s_barrier
	s_and_saveexec_b64 s[0:1], vcc
	s_cbranch_execz .LBB1445_406
; %bb.404:
	v_mov_b32_e32 v5, 0
	v_mov_b32_e32 v4, v19
	s_lshl_b64 s[4:5], s[22:23], 3
	v_lshlrev_b64 v[6:7], 3, v[4:5]
	v_lshl_add_u64 v[6:7], s[4:5], 0, v[6:7]
	v_lshlrev_b32_e32 v2, 3, v0
	v_mov_b32_e32 v3, v5
	v_lshl_add_u64 v[4:5], s[2:3], 0, v[6:7]
	v_lshl_add_u64 v[4:5], v[4:5], 0, v[2:3]
	s_mov_b64 s[2:3], 0
	s_mov_b64 s[4:5], 0x1000
	v_mov_b32_e32 v1, v0
.LBB1445_405:                           ; =>This Inner Loop Header: Depth=1
	ds_read_b64 v[6:7], v2
	v_add_u32_e32 v1, 0x200, v1
	v_cmp_ge_u32_e32 vcc, v1, v18
	v_add_u32_e32 v2, 0x1000, v2
	s_or_b64 s[2:3], vcc, s[2:3]
	s_waitcnt lgkmcnt(0)
	global_store_dwordx2 v[4:5], v[6:7], off
	v_lshl_add_u64 v[4:5], v[4:5], 0, s[4:5]
	s_andn2_b64 exec, exec, s[2:3]
	s_cbranch_execnz .LBB1445_405
.LBB1445_406:
	s_or_b64 exec, exec, s[0:1]
	v_cmp_eq_u32_e32 vcc, 0, v0
	s_and_b64 s[0:1], vcc, s[24:25]
	s_and_saveexec_b64 s[2:3], s[0:1]
	s_cbranch_execz .LBB1445_366
.LBB1445_407:
	v_mov_b32_e32 v1, 0
	v_mov_b32_e32 v0, v18
	v_lshl_add_u64 v[2:3], s[22:23], 0, v[0:1]
	v_mov_b32_e32 v0, v19
	v_lshl_add_u64 v[2:3], v[2:3], 0, v[0:1]
	global_store_dwordx2 v1, v[2:3], s[20:21]
	s_endpgm
	.section	.rodata,"a",@progbits
	.p2align	6, 0x0
	.amdhsa_kernel _ZN7rocprim17ROCPRIM_400000_NS6detail17trampoline_kernelINS0_14default_configENS1_25partition_config_selectorILNS1_17partition_subalgoE8ElNS0_10empty_typeEbEEZZNS1_14partition_implILS5_8ELb0ES3_jPlPS6_PKS6_NS0_5tupleIJS9_S6_EEENSD_IJSA_SA_EEENS0_18inequality_wrapperIZN2at6native12_GLOBAL__N_124unique_dim_cuda_templateItEESt5tupleIJNSH_6TensorESM_SM_EERKSM_lbbbEUlllE0_EEPmJS6_EEE10hipError_tPvRmT3_T4_T5_T6_T7_T9_mT8_P12ihipStream_tbDpT10_ENKUlT_T0_E_clISt17integral_constantIbLb1EES1B_IbLb0EEEEDaS17_S18_EUlS17_E_NS1_11comp_targetILNS1_3genE5ELNS1_11target_archE942ELNS1_3gpuE9ELNS1_3repE0EEENS1_30default_config_static_selectorELNS0_4arch9wavefront6targetE1EEEvT1_
		.amdhsa_group_segment_fixed_size 28684
		.amdhsa_private_segment_fixed_size 0
		.amdhsa_kernarg_size 120
		.amdhsa_user_sgpr_count 2
		.amdhsa_user_sgpr_dispatch_ptr 0
		.amdhsa_user_sgpr_queue_ptr 0
		.amdhsa_user_sgpr_kernarg_segment_ptr 1
		.amdhsa_user_sgpr_dispatch_id 0
		.amdhsa_user_sgpr_kernarg_preload_length 0
		.amdhsa_user_sgpr_kernarg_preload_offset 0
		.amdhsa_user_sgpr_private_segment_size 0
		.amdhsa_uses_dynamic_stack 0
		.amdhsa_enable_private_segment 0
		.amdhsa_system_sgpr_workgroup_id_x 1
		.amdhsa_system_sgpr_workgroup_id_y 0
		.amdhsa_system_sgpr_workgroup_id_z 0
		.amdhsa_system_sgpr_workgroup_info 0
		.amdhsa_system_vgpr_workitem_id 0
		.amdhsa_next_free_vgpr 52
		.amdhsa_next_free_sgpr 52
		.amdhsa_accum_offset 52
		.amdhsa_reserve_vcc 1
		.amdhsa_float_round_mode_32 0
		.amdhsa_float_round_mode_16_64 0
		.amdhsa_float_denorm_mode_32 3
		.amdhsa_float_denorm_mode_16_64 3
		.amdhsa_dx10_clamp 1
		.amdhsa_ieee_mode 1
		.amdhsa_fp16_overflow 0
		.amdhsa_tg_split 0
		.amdhsa_exception_fp_ieee_invalid_op 0
		.amdhsa_exception_fp_denorm_src 0
		.amdhsa_exception_fp_ieee_div_zero 0
		.amdhsa_exception_fp_ieee_overflow 0
		.amdhsa_exception_fp_ieee_underflow 0
		.amdhsa_exception_fp_ieee_inexact 0
		.amdhsa_exception_int_div_zero 0
	.end_amdhsa_kernel
	.section	.text._ZN7rocprim17ROCPRIM_400000_NS6detail17trampoline_kernelINS0_14default_configENS1_25partition_config_selectorILNS1_17partition_subalgoE8ElNS0_10empty_typeEbEEZZNS1_14partition_implILS5_8ELb0ES3_jPlPS6_PKS6_NS0_5tupleIJS9_S6_EEENSD_IJSA_SA_EEENS0_18inequality_wrapperIZN2at6native12_GLOBAL__N_124unique_dim_cuda_templateItEESt5tupleIJNSH_6TensorESM_SM_EERKSM_lbbbEUlllE0_EEPmJS6_EEE10hipError_tPvRmT3_T4_T5_T6_T7_T9_mT8_P12ihipStream_tbDpT10_ENKUlT_T0_E_clISt17integral_constantIbLb1EES1B_IbLb0EEEEDaS17_S18_EUlS17_E_NS1_11comp_targetILNS1_3genE5ELNS1_11target_archE942ELNS1_3gpuE9ELNS1_3repE0EEENS1_30default_config_static_selectorELNS0_4arch9wavefront6targetE1EEEvT1_,"axG",@progbits,_ZN7rocprim17ROCPRIM_400000_NS6detail17trampoline_kernelINS0_14default_configENS1_25partition_config_selectorILNS1_17partition_subalgoE8ElNS0_10empty_typeEbEEZZNS1_14partition_implILS5_8ELb0ES3_jPlPS6_PKS6_NS0_5tupleIJS9_S6_EEENSD_IJSA_SA_EEENS0_18inequality_wrapperIZN2at6native12_GLOBAL__N_124unique_dim_cuda_templateItEESt5tupleIJNSH_6TensorESM_SM_EERKSM_lbbbEUlllE0_EEPmJS6_EEE10hipError_tPvRmT3_T4_T5_T6_T7_T9_mT8_P12ihipStream_tbDpT10_ENKUlT_T0_E_clISt17integral_constantIbLb1EES1B_IbLb0EEEEDaS17_S18_EUlS17_E_NS1_11comp_targetILNS1_3genE5ELNS1_11target_archE942ELNS1_3gpuE9ELNS1_3repE0EEENS1_30default_config_static_selectorELNS0_4arch9wavefront6targetE1EEEvT1_,comdat
.Lfunc_end1445:
	.size	_ZN7rocprim17ROCPRIM_400000_NS6detail17trampoline_kernelINS0_14default_configENS1_25partition_config_selectorILNS1_17partition_subalgoE8ElNS0_10empty_typeEbEEZZNS1_14partition_implILS5_8ELb0ES3_jPlPS6_PKS6_NS0_5tupleIJS9_S6_EEENSD_IJSA_SA_EEENS0_18inequality_wrapperIZN2at6native12_GLOBAL__N_124unique_dim_cuda_templateItEESt5tupleIJNSH_6TensorESM_SM_EERKSM_lbbbEUlllE0_EEPmJS6_EEE10hipError_tPvRmT3_T4_T5_T6_T7_T9_mT8_P12ihipStream_tbDpT10_ENKUlT_T0_E_clISt17integral_constantIbLb1EES1B_IbLb0EEEEDaS17_S18_EUlS17_E_NS1_11comp_targetILNS1_3genE5ELNS1_11target_archE942ELNS1_3gpuE9ELNS1_3repE0EEENS1_30default_config_static_selectorELNS0_4arch9wavefront6targetE1EEEvT1_, .Lfunc_end1445-_ZN7rocprim17ROCPRIM_400000_NS6detail17trampoline_kernelINS0_14default_configENS1_25partition_config_selectorILNS1_17partition_subalgoE8ElNS0_10empty_typeEbEEZZNS1_14partition_implILS5_8ELb0ES3_jPlPS6_PKS6_NS0_5tupleIJS9_S6_EEENSD_IJSA_SA_EEENS0_18inequality_wrapperIZN2at6native12_GLOBAL__N_124unique_dim_cuda_templateItEESt5tupleIJNSH_6TensorESM_SM_EERKSM_lbbbEUlllE0_EEPmJS6_EEE10hipError_tPvRmT3_T4_T5_T6_T7_T9_mT8_P12ihipStream_tbDpT10_ENKUlT_T0_E_clISt17integral_constantIbLb1EES1B_IbLb0EEEEDaS17_S18_EUlS17_E_NS1_11comp_targetILNS1_3genE5ELNS1_11target_archE942ELNS1_3gpuE9ELNS1_3repE0EEENS1_30default_config_static_selectorELNS0_4arch9wavefront6targetE1EEEvT1_
                                        ; -- End function
	.section	.AMDGPU.csdata,"",@progbits
; Kernel info:
; codeLenInByte = 12916
; NumSgprs: 58
; NumVgprs: 52
; NumAgprs: 0
; TotalNumVgprs: 52
; ScratchSize: 0
; MemoryBound: 0
; FloatMode: 240
; IeeeMode: 1
; LDSByteSize: 28684 bytes/workgroup (compile time only)
; SGPRBlocks: 7
; VGPRBlocks: 6
; NumSGPRsForWavesPerEU: 58
; NumVGPRsForWavesPerEU: 52
; AccumOffset: 52
; Occupancy: 4
; WaveLimiterHint : 1
; COMPUTE_PGM_RSRC2:SCRATCH_EN: 0
; COMPUTE_PGM_RSRC2:USER_SGPR: 2
; COMPUTE_PGM_RSRC2:TRAP_HANDLER: 0
; COMPUTE_PGM_RSRC2:TGID_X_EN: 1
; COMPUTE_PGM_RSRC2:TGID_Y_EN: 0
; COMPUTE_PGM_RSRC2:TGID_Z_EN: 0
; COMPUTE_PGM_RSRC2:TIDIG_COMP_CNT: 0
; COMPUTE_PGM_RSRC3_GFX90A:ACCUM_OFFSET: 12
; COMPUTE_PGM_RSRC3_GFX90A:TG_SPLIT: 0
	.section	.text._ZN7rocprim17ROCPRIM_400000_NS6detail17trampoline_kernelINS0_14default_configENS1_25partition_config_selectorILNS1_17partition_subalgoE8ElNS0_10empty_typeEbEEZZNS1_14partition_implILS5_8ELb0ES3_jPlPS6_PKS6_NS0_5tupleIJS9_S6_EEENSD_IJSA_SA_EEENS0_18inequality_wrapperIZN2at6native12_GLOBAL__N_124unique_dim_cuda_templateItEESt5tupleIJNSH_6TensorESM_SM_EERKSM_lbbbEUlllE0_EEPmJS6_EEE10hipError_tPvRmT3_T4_T5_T6_T7_T9_mT8_P12ihipStream_tbDpT10_ENKUlT_T0_E_clISt17integral_constantIbLb1EES1B_IbLb0EEEEDaS17_S18_EUlS17_E_NS1_11comp_targetILNS1_3genE4ELNS1_11target_archE910ELNS1_3gpuE8ELNS1_3repE0EEENS1_30default_config_static_selectorELNS0_4arch9wavefront6targetE1EEEvT1_,"axG",@progbits,_ZN7rocprim17ROCPRIM_400000_NS6detail17trampoline_kernelINS0_14default_configENS1_25partition_config_selectorILNS1_17partition_subalgoE8ElNS0_10empty_typeEbEEZZNS1_14partition_implILS5_8ELb0ES3_jPlPS6_PKS6_NS0_5tupleIJS9_S6_EEENSD_IJSA_SA_EEENS0_18inequality_wrapperIZN2at6native12_GLOBAL__N_124unique_dim_cuda_templateItEESt5tupleIJNSH_6TensorESM_SM_EERKSM_lbbbEUlllE0_EEPmJS6_EEE10hipError_tPvRmT3_T4_T5_T6_T7_T9_mT8_P12ihipStream_tbDpT10_ENKUlT_T0_E_clISt17integral_constantIbLb1EES1B_IbLb0EEEEDaS17_S18_EUlS17_E_NS1_11comp_targetILNS1_3genE4ELNS1_11target_archE910ELNS1_3gpuE8ELNS1_3repE0EEENS1_30default_config_static_selectorELNS0_4arch9wavefront6targetE1EEEvT1_,comdat
	.globl	_ZN7rocprim17ROCPRIM_400000_NS6detail17trampoline_kernelINS0_14default_configENS1_25partition_config_selectorILNS1_17partition_subalgoE8ElNS0_10empty_typeEbEEZZNS1_14partition_implILS5_8ELb0ES3_jPlPS6_PKS6_NS0_5tupleIJS9_S6_EEENSD_IJSA_SA_EEENS0_18inequality_wrapperIZN2at6native12_GLOBAL__N_124unique_dim_cuda_templateItEESt5tupleIJNSH_6TensorESM_SM_EERKSM_lbbbEUlllE0_EEPmJS6_EEE10hipError_tPvRmT3_T4_T5_T6_T7_T9_mT8_P12ihipStream_tbDpT10_ENKUlT_T0_E_clISt17integral_constantIbLb1EES1B_IbLb0EEEEDaS17_S18_EUlS17_E_NS1_11comp_targetILNS1_3genE4ELNS1_11target_archE910ELNS1_3gpuE8ELNS1_3repE0EEENS1_30default_config_static_selectorELNS0_4arch9wavefront6targetE1EEEvT1_ ; -- Begin function _ZN7rocprim17ROCPRIM_400000_NS6detail17trampoline_kernelINS0_14default_configENS1_25partition_config_selectorILNS1_17partition_subalgoE8ElNS0_10empty_typeEbEEZZNS1_14partition_implILS5_8ELb0ES3_jPlPS6_PKS6_NS0_5tupleIJS9_S6_EEENSD_IJSA_SA_EEENS0_18inequality_wrapperIZN2at6native12_GLOBAL__N_124unique_dim_cuda_templateItEESt5tupleIJNSH_6TensorESM_SM_EERKSM_lbbbEUlllE0_EEPmJS6_EEE10hipError_tPvRmT3_T4_T5_T6_T7_T9_mT8_P12ihipStream_tbDpT10_ENKUlT_T0_E_clISt17integral_constantIbLb1EES1B_IbLb0EEEEDaS17_S18_EUlS17_E_NS1_11comp_targetILNS1_3genE4ELNS1_11target_archE910ELNS1_3gpuE8ELNS1_3repE0EEENS1_30default_config_static_selectorELNS0_4arch9wavefront6targetE1EEEvT1_
	.p2align	8
	.type	_ZN7rocprim17ROCPRIM_400000_NS6detail17trampoline_kernelINS0_14default_configENS1_25partition_config_selectorILNS1_17partition_subalgoE8ElNS0_10empty_typeEbEEZZNS1_14partition_implILS5_8ELb0ES3_jPlPS6_PKS6_NS0_5tupleIJS9_S6_EEENSD_IJSA_SA_EEENS0_18inequality_wrapperIZN2at6native12_GLOBAL__N_124unique_dim_cuda_templateItEESt5tupleIJNSH_6TensorESM_SM_EERKSM_lbbbEUlllE0_EEPmJS6_EEE10hipError_tPvRmT3_T4_T5_T6_T7_T9_mT8_P12ihipStream_tbDpT10_ENKUlT_T0_E_clISt17integral_constantIbLb1EES1B_IbLb0EEEEDaS17_S18_EUlS17_E_NS1_11comp_targetILNS1_3genE4ELNS1_11target_archE910ELNS1_3gpuE8ELNS1_3repE0EEENS1_30default_config_static_selectorELNS0_4arch9wavefront6targetE1EEEvT1_,@function
_ZN7rocprim17ROCPRIM_400000_NS6detail17trampoline_kernelINS0_14default_configENS1_25partition_config_selectorILNS1_17partition_subalgoE8ElNS0_10empty_typeEbEEZZNS1_14partition_implILS5_8ELb0ES3_jPlPS6_PKS6_NS0_5tupleIJS9_S6_EEENSD_IJSA_SA_EEENS0_18inequality_wrapperIZN2at6native12_GLOBAL__N_124unique_dim_cuda_templateItEESt5tupleIJNSH_6TensorESM_SM_EERKSM_lbbbEUlllE0_EEPmJS6_EEE10hipError_tPvRmT3_T4_T5_T6_T7_T9_mT8_P12ihipStream_tbDpT10_ENKUlT_T0_E_clISt17integral_constantIbLb1EES1B_IbLb0EEEEDaS17_S18_EUlS17_E_NS1_11comp_targetILNS1_3genE4ELNS1_11target_archE910ELNS1_3gpuE8ELNS1_3repE0EEENS1_30default_config_static_selectorELNS0_4arch9wavefront6targetE1EEEvT1_: ; @_ZN7rocprim17ROCPRIM_400000_NS6detail17trampoline_kernelINS0_14default_configENS1_25partition_config_selectorILNS1_17partition_subalgoE8ElNS0_10empty_typeEbEEZZNS1_14partition_implILS5_8ELb0ES3_jPlPS6_PKS6_NS0_5tupleIJS9_S6_EEENSD_IJSA_SA_EEENS0_18inequality_wrapperIZN2at6native12_GLOBAL__N_124unique_dim_cuda_templateItEESt5tupleIJNSH_6TensorESM_SM_EERKSM_lbbbEUlllE0_EEPmJS6_EEE10hipError_tPvRmT3_T4_T5_T6_T7_T9_mT8_P12ihipStream_tbDpT10_ENKUlT_T0_E_clISt17integral_constantIbLb1EES1B_IbLb0EEEEDaS17_S18_EUlS17_E_NS1_11comp_targetILNS1_3genE4ELNS1_11target_archE910ELNS1_3gpuE8ELNS1_3repE0EEENS1_30default_config_static_selectorELNS0_4arch9wavefront6targetE1EEEvT1_
; %bb.0:
	.section	.rodata,"a",@progbits
	.p2align	6, 0x0
	.amdhsa_kernel _ZN7rocprim17ROCPRIM_400000_NS6detail17trampoline_kernelINS0_14default_configENS1_25partition_config_selectorILNS1_17partition_subalgoE8ElNS0_10empty_typeEbEEZZNS1_14partition_implILS5_8ELb0ES3_jPlPS6_PKS6_NS0_5tupleIJS9_S6_EEENSD_IJSA_SA_EEENS0_18inequality_wrapperIZN2at6native12_GLOBAL__N_124unique_dim_cuda_templateItEESt5tupleIJNSH_6TensorESM_SM_EERKSM_lbbbEUlllE0_EEPmJS6_EEE10hipError_tPvRmT3_T4_T5_T6_T7_T9_mT8_P12ihipStream_tbDpT10_ENKUlT_T0_E_clISt17integral_constantIbLb1EES1B_IbLb0EEEEDaS17_S18_EUlS17_E_NS1_11comp_targetILNS1_3genE4ELNS1_11target_archE910ELNS1_3gpuE8ELNS1_3repE0EEENS1_30default_config_static_selectorELNS0_4arch9wavefront6targetE1EEEvT1_
		.amdhsa_group_segment_fixed_size 0
		.amdhsa_private_segment_fixed_size 0
		.amdhsa_kernarg_size 120
		.amdhsa_user_sgpr_count 2
		.amdhsa_user_sgpr_dispatch_ptr 0
		.amdhsa_user_sgpr_queue_ptr 0
		.amdhsa_user_sgpr_kernarg_segment_ptr 1
		.amdhsa_user_sgpr_dispatch_id 0
		.amdhsa_user_sgpr_kernarg_preload_length 0
		.amdhsa_user_sgpr_kernarg_preload_offset 0
		.amdhsa_user_sgpr_private_segment_size 0
		.amdhsa_uses_dynamic_stack 0
		.amdhsa_enable_private_segment 0
		.amdhsa_system_sgpr_workgroup_id_x 1
		.amdhsa_system_sgpr_workgroup_id_y 0
		.amdhsa_system_sgpr_workgroup_id_z 0
		.amdhsa_system_sgpr_workgroup_info 0
		.amdhsa_system_vgpr_workitem_id 0
		.amdhsa_next_free_vgpr 1
		.amdhsa_next_free_sgpr 0
		.amdhsa_accum_offset 4
		.amdhsa_reserve_vcc 0
		.amdhsa_float_round_mode_32 0
		.amdhsa_float_round_mode_16_64 0
		.amdhsa_float_denorm_mode_32 3
		.amdhsa_float_denorm_mode_16_64 3
		.amdhsa_dx10_clamp 1
		.amdhsa_ieee_mode 1
		.amdhsa_fp16_overflow 0
		.amdhsa_tg_split 0
		.amdhsa_exception_fp_ieee_invalid_op 0
		.amdhsa_exception_fp_denorm_src 0
		.amdhsa_exception_fp_ieee_div_zero 0
		.amdhsa_exception_fp_ieee_overflow 0
		.amdhsa_exception_fp_ieee_underflow 0
		.amdhsa_exception_fp_ieee_inexact 0
		.amdhsa_exception_int_div_zero 0
	.end_amdhsa_kernel
	.section	.text._ZN7rocprim17ROCPRIM_400000_NS6detail17trampoline_kernelINS0_14default_configENS1_25partition_config_selectorILNS1_17partition_subalgoE8ElNS0_10empty_typeEbEEZZNS1_14partition_implILS5_8ELb0ES3_jPlPS6_PKS6_NS0_5tupleIJS9_S6_EEENSD_IJSA_SA_EEENS0_18inequality_wrapperIZN2at6native12_GLOBAL__N_124unique_dim_cuda_templateItEESt5tupleIJNSH_6TensorESM_SM_EERKSM_lbbbEUlllE0_EEPmJS6_EEE10hipError_tPvRmT3_T4_T5_T6_T7_T9_mT8_P12ihipStream_tbDpT10_ENKUlT_T0_E_clISt17integral_constantIbLb1EES1B_IbLb0EEEEDaS17_S18_EUlS17_E_NS1_11comp_targetILNS1_3genE4ELNS1_11target_archE910ELNS1_3gpuE8ELNS1_3repE0EEENS1_30default_config_static_selectorELNS0_4arch9wavefront6targetE1EEEvT1_,"axG",@progbits,_ZN7rocprim17ROCPRIM_400000_NS6detail17trampoline_kernelINS0_14default_configENS1_25partition_config_selectorILNS1_17partition_subalgoE8ElNS0_10empty_typeEbEEZZNS1_14partition_implILS5_8ELb0ES3_jPlPS6_PKS6_NS0_5tupleIJS9_S6_EEENSD_IJSA_SA_EEENS0_18inequality_wrapperIZN2at6native12_GLOBAL__N_124unique_dim_cuda_templateItEESt5tupleIJNSH_6TensorESM_SM_EERKSM_lbbbEUlllE0_EEPmJS6_EEE10hipError_tPvRmT3_T4_T5_T6_T7_T9_mT8_P12ihipStream_tbDpT10_ENKUlT_T0_E_clISt17integral_constantIbLb1EES1B_IbLb0EEEEDaS17_S18_EUlS17_E_NS1_11comp_targetILNS1_3genE4ELNS1_11target_archE910ELNS1_3gpuE8ELNS1_3repE0EEENS1_30default_config_static_selectorELNS0_4arch9wavefront6targetE1EEEvT1_,comdat
.Lfunc_end1446:
	.size	_ZN7rocprim17ROCPRIM_400000_NS6detail17trampoline_kernelINS0_14default_configENS1_25partition_config_selectorILNS1_17partition_subalgoE8ElNS0_10empty_typeEbEEZZNS1_14partition_implILS5_8ELb0ES3_jPlPS6_PKS6_NS0_5tupleIJS9_S6_EEENSD_IJSA_SA_EEENS0_18inequality_wrapperIZN2at6native12_GLOBAL__N_124unique_dim_cuda_templateItEESt5tupleIJNSH_6TensorESM_SM_EERKSM_lbbbEUlllE0_EEPmJS6_EEE10hipError_tPvRmT3_T4_T5_T6_T7_T9_mT8_P12ihipStream_tbDpT10_ENKUlT_T0_E_clISt17integral_constantIbLb1EES1B_IbLb0EEEEDaS17_S18_EUlS17_E_NS1_11comp_targetILNS1_3genE4ELNS1_11target_archE910ELNS1_3gpuE8ELNS1_3repE0EEENS1_30default_config_static_selectorELNS0_4arch9wavefront6targetE1EEEvT1_, .Lfunc_end1446-_ZN7rocprim17ROCPRIM_400000_NS6detail17trampoline_kernelINS0_14default_configENS1_25partition_config_selectorILNS1_17partition_subalgoE8ElNS0_10empty_typeEbEEZZNS1_14partition_implILS5_8ELb0ES3_jPlPS6_PKS6_NS0_5tupleIJS9_S6_EEENSD_IJSA_SA_EEENS0_18inequality_wrapperIZN2at6native12_GLOBAL__N_124unique_dim_cuda_templateItEESt5tupleIJNSH_6TensorESM_SM_EERKSM_lbbbEUlllE0_EEPmJS6_EEE10hipError_tPvRmT3_T4_T5_T6_T7_T9_mT8_P12ihipStream_tbDpT10_ENKUlT_T0_E_clISt17integral_constantIbLb1EES1B_IbLb0EEEEDaS17_S18_EUlS17_E_NS1_11comp_targetILNS1_3genE4ELNS1_11target_archE910ELNS1_3gpuE8ELNS1_3repE0EEENS1_30default_config_static_selectorELNS0_4arch9wavefront6targetE1EEEvT1_
                                        ; -- End function
	.section	.AMDGPU.csdata,"",@progbits
; Kernel info:
; codeLenInByte = 0
; NumSgprs: 6
; NumVgprs: 0
; NumAgprs: 0
; TotalNumVgprs: 0
; ScratchSize: 0
; MemoryBound: 0
; FloatMode: 240
; IeeeMode: 1
; LDSByteSize: 0 bytes/workgroup (compile time only)
; SGPRBlocks: 0
; VGPRBlocks: 0
; NumSGPRsForWavesPerEU: 6
; NumVGPRsForWavesPerEU: 1
; AccumOffset: 4
; Occupancy: 8
; WaveLimiterHint : 0
; COMPUTE_PGM_RSRC2:SCRATCH_EN: 0
; COMPUTE_PGM_RSRC2:USER_SGPR: 2
; COMPUTE_PGM_RSRC2:TRAP_HANDLER: 0
; COMPUTE_PGM_RSRC2:TGID_X_EN: 1
; COMPUTE_PGM_RSRC2:TGID_Y_EN: 0
; COMPUTE_PGM_RSRC2:TGID_Z_EN: 0
; COMPUTE_PGM_RSRC2:TIDIG_COMP_CNT: 0
; COMPUTE_PGM_RSRC3_GFX90A:ACCUM_OFFSET: 0
; COMPUTE_PGM_RSRC3_GFX90A:TG_SPLIT: 0
	.section	.text._ZN7rocprim17ROCPRIM_400000_NS6detail17trampoline_kernelINS0_14default_configENS1_25partition_config_selectorILNS1_17partition_subalgoE8ElNS0_10empty_typeEbEEZZNS1_14partition_implILS5_8ELb0ES3_jPlPS6_PKS6_NS0_5tupleIJS9_S6_EEENSD_IJSA_SA_EEENS0_18inequality_wrapperIZN2at6native12_GLOBAL__N_124unique_dim_cuda_templateItEESt5tupleIJNSH_6TensorESM_SM_EERKSM_lbbbEUlllE0_EEPmJS6_EEE10hipError_tPvRmT3_T4_T5_T6_T7_T9_mT8_P12ihipStream_tbDpT10_ENKUlT_T0_E_clISt17integral_constantIbLb1EES1B_IbLb0EEEEDaS17_S18_EUlS17_E_NS1_11comp_targetILNS1_3genE3ELNS1_11target_archE908ELNS1_3gpuE7ELNS1_3repE0EEENS1_30default_config_static_selectorELNS0_4arch9wavefront6targetE1EEEvT1_,"axG",@progbits,_ZN7rocprim17ROCPRIM_400000_NS6detail17trampoline_kernelINS0_14default_configENS1_25partition_config_selectorILNS1_17partition_subalgoE8ElNS0_10empty_typeEbEEZZNS1_14partition_implILS5_8ELb0ES3_jPlPS6_PKS6_NS0_5tupleIJS9_S6_EEENSD_IJSA_SA_EEENS0_18inequality_wrapperIZN2at6native12_GLOBAL__N_124unique_dim_cuda_templateItEESt5tupleIJNSH_6TensorESM_SM_EERKSM_lbbbEUlllE0_EEPmJS6_EEE10hipError_tPvRmT3_T4_T5_T6_T7_T9_mT8_P12ihipStream_tbDpT10_ENKUlT_T0_E_clISt17integral_constantIbLb1EES1B_IbLb0EEEEDaS17_S18_EUlS17_E_NS1_11comp_targetILNS1_3genE3ELNS1_11target_archE908ELNS1_3gpuE7ELNS1_3repE0EEENS1_30default_config_static_selectorELNS0_4arch9wavefront6targetE1EEEvT1_,comdat
	.globl	_ZN7rocprim17ROCPRIM_400000_NS6detail17trampoline_kernelINS0_14default_configENS1_25partition_config_selectorILNS1_17partition_subalgoE8ElNS0_10empty_typeEbEEZZNS1_14partition_implILS5_8ELb0ES3_jPlPS6_PKS6_NS0_5tupleIJS9_S6_EEENSD_IJSA_SA_EEENS0_18inequality_wrapperIZN2at6native12_GLOBAL__N_124unique_dim_cuda_templateItEESt5tupleIJNSH_6TensorESM_SM_EERKSM_lbbbEUlllE0_EEPmJS6_EEE10hipError_tPvRmT3_T4_T5_T6_T7_T9_mT8_P12ihipStream_tbDpT10_ENKUlT_T0_E_clISt17integral_constantIbLb1EES1B_IbLb0EEEEDaS17_S18_EUlS17_E_NS1_11comp_targetILNS1_3genE3ELNS1_11target_archE908ELNS1_3gpuE7ELNS1_3repE0EEENS1_30default_config_static_selectorELNS0_4arch9wavefront6targetE1EEEvT1_ ; -- Begin function _ZN7rocprim17ROCPRIM_400000_NS6detail17trampoline_kernelINS0_14default_configENS1_25partition_config_selectorILNS1_17partition_subalgoE8ElNS0_10empty_typeEbEEZZNS1_14partition_implILS5_8ELb0ES3_jPlPS6_PKS6_NS0_5tupleIJS9_S6_EEENSD_IJSA_SA_EEENS0_18inequality_wrapperIZN2at6native12_GLOBAL__N_124unique_dim_cuda_templateItEESt5tupleIJNSH_6TensorESM_SM_EERKSM_lbbbEUlllE0_EEPmJS6_EEE10hipError_tPvRmT3_T4_T5_T6_T7_T9_mT8_P12ihipStream_tbDpT10_ENKUlT_T0_E_clISt17integral_constantIbLb1EES1B_IbLb0EEEEDaS17_S18_EUlS17_E_NS1_11comp_targetILNS1_3genE3ELNS1_11target_archE908ELNS1_3gpuE7ELNS1_3repE0EEENS1_30default_config_static_selectorELNS0_4arch9wavefront6targetE1EEEvT1_
	.p2align	8
	.type	_ZN7rocprim17ROCPRIM_400000_NS6detail17trampoline_kernelINS0_14default_configENS1_25partition_config_selectorILNS1_17partition_subalgoE8ElNS0_10empty_typeEbEEZZNS1_14partition_implILS5_8ELb0ES3_jPlPS6_PKS6_NS0_5tupleIJS9_S6_EEENSD_IJSA_SA_EEENS0_18inequality_wrapperIZN2at6native12_GLOBAL__N_124unique_dim_cuda_templateItEESt5tupleIJNSH_6TensorESM_SM_EERKSM_lbbbEUlllE0_EEPmJS6_EEE10hipError_tPvRmT3_T4_T5_T6_T7_T9_mT8_P12ihipStream_tbDpT10_ENKUlT_T0_E_clISt17integral_constantIbLb1EES1B_IbLb0EEEEDaS17_S18_EUlS17_E_NS1_11comp_targetILNS1_3genE3ELNS1_11target_archE908ELNS1_3gpuE7ELNS1_3repE0EEENS1_30default_config_static_selectorELNS0_4arch9wavefront6targetE1EEEvT1_,@function
_ZN7rocprim17ROCPRIM_400000_NS6detail17trampoline_kernelINS0_14default_configENS1_25partition_config_selectorILNS1_17partition_subalgoE8ElNS0_10empty_typeEbEEZZNS1_14partition_implILS5_8ELb0ES3_jPlPS6_PKS6_NS0_5tupleIJS9_S6_EEENSD_IJSA_SA_EEENS0_18inequality_wrapperIZN2at6native12_GLOBAL__N_124unique_dim_cuda_templateItEESt5tupleIJNSH_6TensorESM_SM_EERKSM_lbbbEUlllE0_EEPmJS6_EEE10hipError_tPvRmT3_T4_T5_T6_T7_T9_mT8_P12ihipStream_tbDpT10_ENKUlT_T0_E_clISt17integral_constantIbLb1EES1B_IbLb0EEEEDaS17_S18_EUlS17_E_NS1_11comp_targetILNS1_3genE3ELNS1_11target_archE908ELNS1_3gpuE7ELNS1_3repE0EEENS1_30default_config_static_selectorELNS0_4arch9wavefront6targetE1EEEvT1_: ; @_ZN7rocprim17ROCPRIM_400000_NS6detail17trampoline_kernelINS0_14default_configENS1_25partition_config_selectorILNS1_17partition_subalgoE8ElNS0_10empty_typeEbEEZZNS1_14partition_implILS5_8ELb0ES3_jPlPS6_PKS6_NS0_5tupleIJS9_S6_EEENSD_IJSA_SA_EEENS0_18inequality_wrapperIZN2at6native12_GLOBAL__N_124unique_dim_cuda_templateItEESt5tupleIJNSH_6TensorESM_SM_EERKSM_lbbbEUlllE0_EEPmJS6_EEE10hipError_tPvRmT3_T4_T5_T6_T7_T9_mT8_P12ihipStream_tbDpT10_ENKUlT_T0_E_clISt17integral_constantIbLb1EES1B_IbLb0EEEEDaS17_S18_EUlS17_E_NS1_11comp_targetILNS1_3genE3ELNS1_11target_archE908ELNS1_3gpuE7ELNS1_3repE0EEENS1_30default_config_static_selectorELNS0_4arch9wavefront6targetE1EEEvT1_
; %bb.0:
	.section	.rodata,"a",@progbits
	.p2align	6, 0x0
	.amdhsa_kernel _ZN7rocprim17ROCPRIM_400000_NS6detail17trampoline_kernelINS0_14default_configENS1_25partition_config_selectorILNS1_17partition_subalgoE8ElNS0_10empty_typeEbEEZZNS1_14partition_implILS5_8ELb0ES3_jPlPS6_PKS6_NS0_5tupleIJS9_S6_EEENSD_IJSA_SA_EEENS0_18inequality_wrapperIZN2at6native12_GLOBAL__N_124unique_dim_cuda_templateItEESt5tupleIJNSH_6TensorESM_SM_EERKSM_lbbbEUlllE0_EEPmJS6_EEE10hipError_tPvRmT3_T4_T5_T6_T7_T9_mT8_P12ihipStream_tbDpT10_ENKUlT_T0_E_clISt17integral_constantIbLb1EES1B_IbLb0EEEEDaS17_S18_EUlS17_E_NS1_11comp_targetILNS1_3genE3ELNS1_11target_archE908ELNS1_3gpuE7ELNS1_3repE0EEENS1_30default_config_static_selectorELNS0_4arch9wavefront6targetE1EEEvT1_
		.amdhsa_group_segment_fixed_size 0
		.amdhsa_private_segment_fixed_size 0
		.amdhsa_kernarg_size 120
		.amdhsa_user_sgpr_count 2
		.amdhsa_user_sgpr_dispatch_ptr 0
		.amdhsa_user_sgpr_queue_ptr 0
		.amdhsa_user_sgpr_kernarg_segment_ptr 1
		.amdhsa_user_sgpr_dispatch_id 0
		.amdhsa_user_sgpr_kernarg_preload_length 0
		.amdhsa_user_sgpr_kernarg_preload_offset 0
		.amdhsa_user_sgpr_private_segment_size 0
		.amdhsa_uses_dynamic_stack 0
		.amdhsa_enable_private_segment 0
		.amdhsa_system_sgpr_workgroup_id_x 1
		.amdhsa_system_sgpr_workgroup_id_y 0
		.amdhsa_system_sgpr_workgroup_id_z 0
		.amdhsa_system_sgpr_workgroup_info 0
		.amdhsa_system_vgpr_workitem_id 0
		.amdhsa_next_free_vgpr 1
		.amdhsa_next_free_sgpr 0
		.amdhsa_accum_offset 4
		.amdhsa_reserve_vcc 0
		.amdhsa_float_round_mode_32 0
		.amdhsa_float_round_mode_16_64 0
		.amdhsa_float_denorm_mode_32 3
		.amdhsa_float_denorm_mode_16_64 3
		.amdhsa_dx10_clamp 1
		.amdhsa_ieee_mode 1
		.amdhsa_fp16_overflow 0
		.amdhsa_tg_split 0
		.amdhsa_exception_fp_ieee_invalid_op 0
		.amdhsa_exception_fp_denorm_src 0
		.amdhsa_exception_fp_ieee_div_zero 0
		.amdhsa_exception_fp_ieee_overflow 0
		.amdhsa_exception_fp_ieee_underflow 0
		.amdhsa_exception_fp_ieee_inexact 0
		.amdhsa_exception_int_div_zero 0
	.end_amdhsa_kernel
	.section	.text._ZN7rocprim17ROCPRIM_400000_NS6detail17trampoline_kernelINS0_14default_configENS1_25partition_config_selectorILNS1_17partition_subalgoE8ElNS0_10empty_typeEbEEZZNS1_14partition_implILS5_8ELb0ES3_jPlPS6_PKS6_NS0_5tupleIJS9_S6_EEENSD_IJSA_SA_EEENS0_18inequality_wrapperIZN2at6native12_GLOBAL__N_124unique_dim_cuda_templateItEESt5tupleIJNSH_6TensorESM_SM_EERKSM_lbbbEUlllE0_EEPmJS6_EEE10hipError_tPvRmT3_T4_T5_T6_T7_T9_mT8_P12ihipStream_tbDpT10_ENKUlT_T0_E_clISt17integral_constantIbLb1EES1B_IbLb0EEEEDaS17_S18_EUlS17_E_NS1_11comp_targetILNS1_3genE3ELNS1_11target_archE908ELNS1_3gpuE7ELNS1_3repE0EEENS1_30default_config_static_selectorELNS0_4arch9wavefront6targetE1EEEvT1_,"axG",@progbits,_ZN7rocprim17ROCPRIM_400000_NS6detail17trampoline_kernelINS0_14default_configENS1_25partition_config_selectorILNS1_17partition_subalgoE8ElNS0_10empty_typeEbEEZZNS1_14partition_implILS5_8ELb0ES3_jPlPS6_PKS6_NS0_5tupleIJS9_S6_EEENSD_IJSA_SA_EEENS0_18inequality_wrapperIZN2at6native12_GLOBAL__N_124unique_dim_cuda_templateItEESt5tupleIJNSH_6TensorESM_SM_EERKSM_lbbbEUlllE0_EEPmJS6_EEE10hipError_tPvRmT3_T4_T5_T6_T7_T9_mT8_P12ihipStream_tbDpT10_ENKUlT_T0_E_clISt17integral_constantIbLb1EES1B_IbLb0EEEEDaS17_S18_EUlS17_E_NS1_11comp_targetILNS1_3genE3ELNS1_11target_archE908ELNS1_3gpuE7ELNS1_3repE0EEENS1_30default_config_static_selectorELNS0_4arch9wavefront6targetE1EEEvT1_,comdat
.Lfunc_end1447:
	.size	_ZN7rocprim17ROCPRIM_400000_NS6detail17trampoline_kernelINS0_14default_configENS1_25partition_config_selectorILNS1_17partition_subalgoE8ElNS0_10empty_typeEbEEZZNS1_14partition_implILS5_8ELb0ES3_jPlPS6_PKS6_NS0_5tupleIJS9_S6_EEENSD_IJSA_SA_EEENS0_18inequality_wrapperIZN2at6native12_GLOBAL__N_124unique_dim_cuda_templateItEESt5tupleIJNSH_6TensorESM_SM_EERKSM_lbbbEUlllE0_EEPmJS6_EEE10hipError_tPvRmT3_T4_T5_T6_T7_T9_mT8_P12ihipStream_tbDpT10_ENKUlT_T0_E_clISt17integral_constantIbLb1EES1B_IbLb0EEEEDaS17_S18_EUlS17_E_NS1_11comp_targetILNS1_3genE3ELNS1_11target_archE908ELNS1_3gpuE7ELNS1_3repE0EEENS1_30default_config_static_selectorELNS0_4arch9wavefront6targetE1EEEvT1_, .Lfunc_end1447-_ZN7rocprim17ROCPRIM_400000_NS6detail17trampoline_kernelINS0_14default_configENS1_25partition_config_selectorILNS1_17partition_subalgoE8ElNS0_10empty_typeEbEEZZNS1_14partition_implILS5_8ELb0ES3_jPlPS6_PKS6_NS0_5tupleIJS9_S6_EEENSD_IJSA_SA_EEENS0_18inequality_wrapperIZN2at6native12_GLOBAL__N_124unique_dim_cuda_templateItEESt5tupleIJNSH_6TensorESM_SM_EERKSM_lbbbEUlllE0_EEPmJS6_EEE10hipError_tPvRmT3_T4_T5_T6_T7_T9_mT8_P12ihipStream_tbDpT10_ENKUlT_T0_E_clISt17integral_constantIbLb1EES1B_IbLb0EEEEDaS17_S18_EUlS17_E_NS1_11comp_targetILNS1_3genE3ELNS1_11target_archE908ELNS1_3gpuE7ELNS1_3repE0EEENS1_30default_config_static_selectorELNS0_4arch9wavefront6targetE1EEEvT1_
                                        ; -- End function
	.section	.AMDGPU.csdata,"",@progbits
; Kernel info:
; codeLenInByte = 0
; NumSgprs: 6
; NumVgprs: 0
; NumAgprs: 0
; TotalNumVgprs: 0
; ScratchSize: 0
; MemoryBound: 0
; FloatMode: 240
; IeeeMode: 1
; LDSByteSize: 0 bytes/workgroup (compile time only)
; SGPRBlocks: 0
; VGPRBlocks: 0
; NumSGPRsForWavesPerEU: 6
; NumVGPRsForWavesPerEU: 1
; AccumOffset: 4
; Occupancy: 8
; WaveLimiterHint : 0
; COMPUTE_PGM_RSRC2:SCRATCH_EN: 0
; COMPUTE_PGM_RSRC2:USER_SGPR: 2
; COMPUTE_PGM_RSRC2:TRAP_HANDLER: 0
; COMPUTE_PGM_RSRC2:TGID_X_EN: 1
; COMPUTE_PGM_RSRC2:TGID_Y_EN: 0
; COMPUTE_PGM_RSRC2:TGID_Z_EN: 0
; COMPUTE_PGM_RSRC2:TIDIG_COMP_CNT: 0
; COMPUTE_PGM_RSRC3_GFX90A:ACCUM_OFFSET: 0
; COMPUTE_PGM_RSRC3_GFX90A:TG_SPLIT: 0
	.section	.text._ZN7rocprim17ROCPRIM_400000_NS6detail17trampoline_kernelINS0_14default_configENS1_25partition_config_selectorILNS1_17partition_subalgoE8ElNS0_10empty_typeEbEEZZNS1_14partition_implILS5_8ELb0ES3_jPlPS6_PKS6_NS0_5tupleIJS9_S6_EEENSD_IJSA_SA_EEENS0_18inequality_wrapperIZN2at6native12_GLOBAL__N_124unique_dim_cuda_templateItEESt5tupleIJNSH_6TensorESM_SM_EERKSM_lbbbEUlllE0_EEPmJS6_EEE10hipError_tPvRmT3_T4_T5_T6_T7_T9_mT8_P12ihipStream_tbDpT10_ENKUlT_T0_E_clISt17integral_constantIbLb1EES1B_IbLb0EEEEDaS17_S18_EUlS17_E_NS1_11comp_targetILNS1_3genE2ELNS1_11target_archE906ELNS1_3gpuE6ELNS1_3repE0EEENS1_30default_config_static_selectorELNS0_4arch9wavefront6targetE1EEEvT1_,"axG",@progbits,_ZN7rocprim17ROCPRIM_400000_NS6detail17trampoline_kernelINS0_14default_configENS1_25partition_config_selectorILNS1_17partition_subalgoE8ElNS0_10empty_typeEbEEZZNS1_14partition_implILS5_8ELb0ES3_jPlPS6_PKS6_NS0_5tupleIJS9_S6_EEENSD_IJSA_SA_EEENS0_18inequality_wrapperIZN2at6native12_GLOBAL__N_124unique_dim_cuda_templateItEESt5tupleIJNSH_6TensorESM_SM_EERKSM_lbbbEUlllE0_EEPmJS6_EEE10hipError_tPvRmT3_T4_T5_T6_T7_T9_mT8_P12ihipStream_tbDpT10_ENKUlT_T0_E_clISt17integral_constantIbLb1EES1B_IbLb0EEEEDaS17_S18_EUlS17_E_NS1_11comp_targetILNS1_3genE2ELNS1_11target_archE906ELNS1_3gpuE6ELNS1_3repE0EEENS1_30default_config_static_selectorELNS0_4arch9wavefront6targetE1EEEvT1_,comdat
	.globl	_ZN7rocprim17ROCPRIM_400000_NS6detail17trampoline_kernelINS0_14default_configENS1_25partition_config_selectorILNS1_17partition_subalgoE8ElNS0_10empty_typeEbEEZZNS1_14partition_implILS5_8ELb0ES3_jPlPS6_PKS6_NS0_5tupleIJS9_S6_EEENSD_IJSA_SA_EEENS0_18inequality_wrapperIZN2at6native12_GLOBAL__N_124unique_dim_cuda_templateItEESt5tupleIJNSH_6TensorESM_SM_EERKSM_lbbbEUlllE0_EEPmJS6_EEE10hipError_tPvRmT3_T4_T5_T6_T7_T9_mT8_P12ihipStream_tbDpT10_ENKUlT_T0_E_clISt17integral_constantIbLb1EES1B_IbLb0EEEEDaS17_S18_EUlS17_E_NS1_11comp_targetILNS1_3genE2ELNS1_11target_archE906ELNS1_3gpuE6ELNS1_3repE0EEENS1_30default_config_static_selectorELNS0_4arch9wavefront6targetE1EEEvT1_ ; -- Begin function _ZN7rocprim17ROCPRIM_400000_NS6detail17trampoline_kernelINS0_14default_configENS1_25partition_config_selectorILNS1_17partition_subalgoE8ElNS0_10empty_typeEbEEZZNS1_14partition_implILS5_8ELb0ES3_jPlPS6_PKS6_NS0_5tupleIJS9_S6_EEENSD_IJSA_SA_EEENS0_18inequality_wrapperIZN2at6native12_GLOBAL__N_124unique_dim_cuda_templateItEESt5tupleIJNSH_6TensorESM_SM_EERKSM_lbbbEUlllE0_EEPmJS6_EEE10hipError_tPvRmT3_T4_T5_T6_T7_T9_mT8_P12ihipStream_tbDpT10_ENKUlT_T0_E_clISt17integral_constantIbLb1EES1B_IbLb0EEEEDaS17_S18_EUlS17_E_NS1_11comp_targetILNS1_3genE2ELNS1_11target_archE906ELNS1_3gpuE6ELNS1_3repE0EEENS1_30default_config_static_selectorELNS0_4arch9wavefront6targetE1EEEvT1_
	.p2align	8
	.type	_ZN7rocprim17ROCPRIM_400000_NS6detail17trampoline_kernelINS0_14default_configENS1_25partition_config_selectorILNS1_17partition_subalgoE8ElNS0_10empty_typeEbEEZZNS1_14partition_implILS5_8ELb0ES3_jPlPS6_PKS6_NS0_5tupleIJS9_S6_EEENSD_IJSA_SA_EEENS0_18inequality_wrapperIZN2at6native12_GLOBAL__N_124unique_dim_cuda_templateItEESt5tupleIJNSH_6TensorESM_SM_EERKSM_lbbbEUlllE0_EEPmJS6_EEE10hipError_tPvRmT3_T4_T5_T6_T7_T9_mT8_P12ihipStream_tbDpT10_ENKUlT_T0_E_clISt17integral_constantIbLb1EES1B_IbLb0EEEEDaS17_S18_EUlS17_E_NS1_11comp_targetILNS1_3genE2ELNS1_11target_archE906ELNS1_3gpuE6ELNS1_3repE0EEENS1_30default_config_static_selectorELNS0_4arch9wavefront6targetE1EEEvT1_,@function
_ZN7rocprim17ROCPRIM_400000_NS6detail17trampoline_kernelINS0_14default_configENS1_25partition_config_selectorILNS1_17partition_subalgoE8ElNS0_10empty_typeEbEEZZNS1_14partition_implILS5_8ELb0ES3_jPlPS6_PKS6_NS0_5tupleIJS9_S6_EEENSD_IJSA_SA_EEENS0_18inequality_wrapperIZN2at6native12_GLOBAL__N_124unique_dim_cuda_templateItEESt5tupleIJNSH_6TensorESM_SM_EERKSM_lbbbEUlllE0_EEPmJS6_EEE10hipError_tPvRmT3_T4_T5_T6_T7_T9_mT8_P12ihipStream_tbDpT10_ENKUlT_T0_E_clISt17integral_constantIbLb1EES1B_IbLb0EEEEDaS17_S18_EUlS17_E_NS1_11comp_targetILNS1_3genE2ELNS1_11target_archE906ELNS1_3gpuE6ELNS1_3repE0EEENS1_30default_config_static_selectorELNS0_4arch9wavefront6targetE1EEEvT1_: ; @_ZN7rocprim17ROCPRIM_400000_NS6detail17trampoline_kernelINS0_14default_configENS1_25partition_config_selectorILNS1_17partition_subalgoE8ElNS0_10empty_typeEbEEZZNS1_14partition_implILS5_8ELb0ES3_jPlPS6_PKS6_NS0_5tupleIJS9_S6_EEENSD_IJSA_SA_EEENS0_18inequality_wrapperIZN2at6native12_GLOBAL__N_124unique_dim_cuda_templateItEESt5tupleIJNSH_6TensorESM_SM_EERKSM_lbbbEUlllE0_EEPmJS6_EEE10hipError_tPvRmT3_T4_T5_T6_T7_T9_mT8_P12ihipStream_tbDpT10_ENKUlT_T0_E_clISt17integral_constantIbLb1EES1B_IbLb0EEEEDaS17_S18_EUlS17_E_NS1_11comp_targetILNS1_3genE2ELNS1_11target_archE906ELNS1_3gpuE6ELNS1_3repE0EEENS1_30default_config_static_selectorELNS0_4arch9wavefront6targetE1EEEvT1_
; %bb.0:
	.section	.rodata,"a",@progbits
	.p2align	6, 0x0
	.amdhsa_kernel _ZN7rocprim17ROCPRIM_400000_NS6detail17trampoline_kernelINS0_14default_configENS1_25partition_config_selectorILNS1_17partition_subalgoE8ElNS0_10empty_typeEbEEZZNS1_14partition_implILS5_8ELb0ES3_jPlPS6_PKS6_NS0_5tupleIJS9_S6_EEENSD_IJSA_SA_EEENS0_18inequality_wrapperIZN2at6native12_GLOBAL__N_124unique_dim_cuda_templateItEESt5tupleIJNSH_6TensorESM_SM_EERKSM_lbbbEUlllE0_EEPmJS6_EEE10hipError_tPvRmT3_T4_T5_T6_T7_T9_mT8_P12ihipStream_tbDpT10_ENKUlT_T0_E_clISt17integral_constantIbLb1EES1B_IbLb0EEEEDaS17_S18_EUlS17_E_NS1_11comp_targetILNS1_3genE2ELNS1_11target_archE906ELNS1_3gpuE6ELNS1_3repE0EEENS1_30default_config_static_selectorELNS0_4arch9wavefront6targetE1EEEvT1_
		.amdhsa_group_segment_fixed_size 0
		.amdhsa_private_segment_fixed_size 0
		.amdhsa_kernarg_size 120
		.amdhsa_user_sgpr_count 2
		.amdhsa_user_sgpr_dispatch_ptr 0
		.amdhsa_user_sgpr_queue_ptr 0
		.amdhsa_user_sgpr_kernarg_segment_ptr 1
		.amdhsa_user_sgpr_dispatch_id 0
		.amdhsa_user_sgpr_kernarg_preload_length 0
		.amdhsa_user_sgpr_kernarg_preload_offset 0
		.amdhsa_user_sgpr_private_segment_size 0
		.amdhsa_uses_dynamic_stack 0
		.amdhsa_enable_private_segment 0
		.amdhsa_system_sgpr_workgroup_id_x 1
		.amdhsa_system_sgpr_workgroup_id_y 0
		.amdhsa_system_sgpr_workgroup_id_z 0
		.amdhsa_system_sgpr_workgroup_info 0
		.amdhsa_system_vgpr_workitem_id 0
		.amdhsa_next_free_vgpr 1
		.amdhsa_next_free_sgpr 0
		.amdhsa_accum_offset 4
		.amdhsa_reserve_vcc 0
		.amdhsa_float_round_mode_32 0
		.amdhsa_float_round_mode_16_64 0
		.amdhsa_float_denorm_mode_32 3
		.amdhsa_float_denorm_mode_16_64 3
		.amdhsa_dx10_clamp 1
		.amdhsa_ieee_mode 1
		.amdhsa_fp16_overflow 0
		.amdhsa_tg_split 0
		.amdhsa_exception_fp_ieee_invalid_op 0
		.amdhsa_exception_fp_denorm_src 0
		.amdhsa_exception_fp_ieee_div_zero 0
		.amdhsa_exception_fp_ieee_overflow 0
		.amdhsa_exception_fp_ieee_underflow 0
		.amdhsa_exception_fp_ieee_inexact 0
		.amdhsa_exception_int_div_zero 0
	.end_amdhsa_kernel
	.section	.text._ZN7rocprim17ROCPRIM_400000_NS6detail17trampoline_kernelINS0_14default_configENS1_25partition_config_selectorILNS1_17partition_subalgoE8ElNS0_10empty_typeEbEEZZNS1_14partition_implILS5_8ELb0ES3_jPlPS6_PKS6_NS0_5tupleIJS9_S6_EEENSD_IJSA_SA_EEENS0_18inequality_wrapperIZN2at6native12_GLOBAL__N_124unique_dim_cuda_templateItEESt5tupleIJNSH_6TensorESM_SM_EERKSM_lbbbEUlllE0_EEPmJS6_EEE10hipError_tPvRmT3_T4_T5_T6_T7_T9_mT8_P12ihipStream_tbDpT10_ENKUlT_T0_E_clISt17integral_constantIbLb1EES1B_IbLb0EEEEDaS17_S18_EUlS17_E_NS1_11comp_targetILNS1_3genE2ELNS1_11target_archE906ELNS1_3gpuE6ELNS1_3repE0EEENS1_30default_config_static_selectorELNS0_4arch9wavefront6targetE1EEEvT1_,"axG",@progbits,_ZN7rocprim17ROCPRIM_400000_NS6detail17trampoline_kernelINS0_14default_configENS1_25partition_config_selectorILNS1_17partition_subalgoE8ElNS0_10empty_typeEbEEZZNS1_14partition_implILS5_8ELb0ES3_jPlPS6_PKS6_NS0_5tupleIJS9_S6_EEENSD_IJSA_SA_EEENS0_18inequality_wrapperIZN2at6native12_GLOBAL__N_124unique_dim_cuda_templateItEESt5tupleIJNSH_6TensorESM_SM_EERKSM_lbbbEUlllE0_EEPmJS6_EEE10hipError_tPvRmT3_T4_T5_T6_T7_T9_mT8_P12ihipStream_tbDpT10_ENKUlT_T0_E_clISt17integral_constantIbLb1EES1B_IbLb0EEEEDaS17_S18_EUlS17_E_NS1_11comp_targetILNS1_3genE2ELNS1_11target_archE906ELNS1_3gpuE6ELNS1_3repE0EEENS1_30default_config_static_selectorELNS0_4arch9wavefront6targetE1EEEvT1_,comdat
.Lfunc_end1448:
	.size	_ZN7rocprim17ROCPRIM_400000_NS6detail17trampoline_kernelINS0_14default_configENS1_25partition_config_selectorILNS1_17partition_subalgoE8ElNS0_10empty_typeEbEEZZNS1_14partition_implILS5_8ELb0ES3_jPlPS6_PKS6_NS0_5tupleIJS9_S6_EEENSD_IJSA_SA_EEENS0_18inequality_wrapperIZN2at6native12_GLOBAL__N_124unique_dim_cuda_templateItEESt5tupleIJNSH_6TensorESM_SM_EERKSM_lbbbEUlllE0_EEPmJS6_EEE10hipError_tPvRmT3_T4_T5_T6_T7_T9_mT8_P12ihipStream_tbDpT10_ENKUlT_T0_E_clISt17integral_constantIbLb1EES1B_IbLb0EEEEDaS17_S18_EUlS17_E_NS1_11comp_targetILNS1_3genE2ELNS1_11target_archE906ELNS1_3gpuE6ELNS1_3repE0EEENS1_30default_config_static_selectorELNS0_4arch9wavefront6targetE1EEEvT1_, .Lfunc_end1448-_ZN7rocprim17ROCPRIM_400000_NS6detail17trampoline_kernelINS0_14default_configENS1_25partition_config_selectorILNS1_17partition_subalgoE8ElNS0_10empty_typeEbEEZZNS1_14partition_implILS5_8ELb0ES3_jPlPS6_PKS6_NS0_5tupleIJS9_S6_EEENSD_IJSA_SA_EEENS0_18inequality_wrapperIZN2at6native12_GLOBAL__N_124unique_dim_cuda_templateItEESt5tupleIJNSH_6TensorESM_SM_EERKSM_lbbbEUlllE0_EEPmJS6_EEE10hipError_tPvRmT3_T4_T5_T6_T7_T9_mT8_P12ihipStream_tbDpT10_ENKUlT_T0_E_clISt17integral_constantIbLb1EES1B_IbLb0EEEEDaS17_S18_EUlS17_E_NS1_11comp_targetILNS1_3genE2ELNS1_11target_archE906ELNS1_3gpuE6ELNS1_3repE0EEENS1_30default_config_static_selectorELNS0_4arch9wavefront6targetE1EEEvT1_
                                        ; -- End function
	.section	.AMDGPU.csdata,"",@progbits
; Kernel info:
; codeLenInByte = 0
; NumSgprs: 6
; NumVgprs: 0
; NumAgprs: 0
; TotalNumVgprs: 0
; ScratchSize: 0
; MemoryBound: 0
; FloatMode: 240
; IeeeMode: 1
; LDSByteSize: 0 bytes/workgroup (compile time only)
; SGPRBlocks: 0
; VGPRBlocks: 0
; NumSGPRsForWavesPerEU: 6
; NumVGPRsForWavesPerEU: 1
; AccumOffset: 4
; Occupancy: 8
; WaveLimiterHint : 0
; COMPUTE_PGM_RSRC2:SCRATCH_EN: 0
; COMPUTE_PGM_RSRC2:USER_SGPR: 2
; COMPUTE_PGM_RSRC2:TRAP_HANDLER: 0
; COMPUTE_PGM_RSRC2:TGID_X_EN: 1
; COMPUTE_PGM_RSRC2:TGID_Y_EN: 0
; COMPUTE_PGM_RSRC2:TGID_Z_EN: 0
; COMPUTE_PGM_RSRC2:TIDIG_COMP_CNT: 0
; COMPUTE_PGM_RSRC3_GFX90A:ACCUM_OFFSET: 0
; COMPUTE_PGM_RSRC3_GFX90A:TG_SPLIT: 0
	.section	.text._ZN7rocprim17ROCPRIM_400000_NS6detail17trampoline_kernelINS0_14default_configENS1_25partition_config_selectorILNS1_17partition_subalgoE8ElNS0_10empty_typeEbEEZZNS1_14partition_implILS5_8ELb0ES3_jPlPS6_PKS6_NS0_5tupleIJS9_S6_EEENSD_IJSA_SA_EEENS0_18inequality_wrapperIZN2at6native12_GLOBAL__N_124unique_dim_cuda_templateItEESt5tupleIJNSH_6TensorESM_SM_EERKSM_lbbbEUlllE0_EEPmJS6_EEE10hipError_tPvRmT3_T4_T5_T6_T7_T9_mT8_P12ihipStream_tbDpT10_ENKUlT_T0_E_clISt17integral_constantIbLb1EES1B_IbLb0EEEEDaS17_S18_EUlS17_E_NS1_11comp_targetILNS1_3genE10ELNS1_11target_archE1200ELNS1_3gpuE4ELNS1_3repE0EEENS1_30default_config_static_selectorELNS0_4arch9wavefront6targetE1EEEvT1_,"axG",@progbits,_ZN7rocprim17ROCPRIM_400000_NS6detail17trampoline_kernelINS0_14default_configENS1_25partition_config_selectorILNS1_17partition_subalgoE8ElNS0_10empty_typeEbEEZZNS1_14partition_implILS5_8ELb0ES3_jPlPS6_PKS6_NS0_5tupleIJS9_S6_EEENSD_IJSA_SA_EEENS0_18inequality_wrapperIZN2at6native12_GLOBAL__N_124unique_dim_cuda_templateItEESt5tupleIJNSH_6TensorESM_SM_EERKSM_lbbbEUlllE0_EEPmJS6_EEE10hipError_tPvRmT3_T4_T5_T6_T7_T9_mT8_P12ihipStream_tbDpT10_ENKUlT_T0_E_clISt17integral_constantIbLb1EES1B_IbLb0EEEEDaS17_S18_EUlS17_E_NS1_11comp_targetILNS1_3genE10ELNS1_11target_archE1200ELNS1_3gpuE4ELNS1_3repE0EEENS1_30default_config_static_selectorELNS0_4arch9wavefront6targetE1EEEvT1_,comdat
	.globl	_ZN7rocprim17ROCPRIM_400000_NS6detail17trampoline_kernelINS0_14default_configENS1_25partition_config_selectorILNS1_17partition_subalgoE8ElNS0_10empty_typeEbEEZZNS1_14partition_implILS5_8ELb0ES3_jPlPS6_PKS6_NS0_5tupleIJS9_S6_EEENSD_IJSA_SA_EEENS0_18inequality_wrapperIZN2at6native12_GLOBAL__N_124unique_dim_cuda_templateItEESt5tupleIJNSH_6TensorESM_SM_EERKSM_lbbbEUlllE0_EEPmJS6_EEE10hipError_tPvRmT3_T4_T5_T6_T7_T9_mT8_P12ihipStream_tbDpT10_ENKUlT_T0_E_clISt17integral_constantIbLb1EES1B_IbLb0EEEEDaS17_S18_EUlS17_E_NS1_11comp_targetILNS1_3genE10ELNS1_11target_archE1200ELNS1_3gpuE4ELNS1_3repE0EEENS1_30default_config_static_selectorELNS0_4arch9wavefront6targetE1EEEvT1_ ; -- Begin function _ZN7rocprim17ROCPRIM_400000_NS6detail17trampoline_kernelINS0_14default_configENS1_25partition_config_selectorILNS1_17partition_subalgoE8ElNS0_10empty_typeEbEEZZNS1_14partition_implILS5_8ELb0ES3_jPlPS6_PKS6_NS0_5tupleIJS9_S6_EEENSD_IJSA_SA_EEENS0_18inequality_wrapperIZN2at6native12_GLOBAL__N_124unique_dim_cuda_templateItEESt5tupleIJNSH_6TensorESM_SM_EERKSM_lbbbEUlllE0_EEPmJS6_EEE10hipError_tPvRmT3_T4_T5_T6_T7_T9_mT8_P12ihipStream_tbDpT10_ENKUlT_T0_E_clISt17integral_constantIbLb1EES1B_IbLb0EEEEDaS17_S18_EUlS17_E_NS1_11comp_targetILNS1_3genE10ELNS1_11target_archE1200ELNS1_3gpuE4ELNS1_3repE0EEENS1_30default_config_static_selectorELNS0_4arch9wavefront6targetE1EEEvT1_
	.p2align	8
	.type	_ZN7rocprim17ROCPRIM_400000_NS6detail17trampoline_kernelINS0_14default_configENS1_25partition_config_selectorILNS1_17partition_subalgoE8ElNS0_10empty_typeEbEEZZNS1_14partition_implILS5_8ELb0ES3_jPlPS6_PKS6_NS0_5tupleIJS9_S6_EEENSD_IJSA_SA_EEENS0_18inequality_wrapperIZN2at6native12_GLOBAL__N_124unique_dim_cuda_templateItEESt5tupleIJNSH_6TensorESM_SM_EERKSM_lbbbEUlllE0_EEPmJS6_EEE10hipError_tPvRmT3_T4_T5_T6_T7_T9_mT8_P12ihipStream_tbDpT10_ENKUlT_T0_E_clISt17integral_constantIbLb1EES1B_IbLb0EEEEDaS17_S18_EUlS17_E_NS1_11comp_targetILNS1_3genE10ELNS1_11target_archE1200ELNS1_3gpuE4ELNS1_3repE0EEENS1_30default_config_static_selectorELNS0_4arch9wavefront6targetE1EEEvT1_,@function
_ZN7rocprim17ROCPRIM_400000_NS6detail17trampoline_kernelINS0_14default_configENS1_25partition_config_selectorILNS1_17partition_subalgoE8ElNS0_10empty_typeEbEEZZNS1_14partition_implILS5_8ELb0ES3_jPlPS6_PKS6_NS0_5tupleIJS9_S6_EEENSD_IJSA_SA_EEENS0_18inequality_wrapperIZN2at6native12_GLOBAL__N_124unique_dim_cuda_templateItEESt5tupleIJNSH_6TensorESM_SM_EERKSM_lbbbEUlllE0_EEPmJS6_EEE10hipError_tPvRmT3_T4_T5_T6_T7_T9_mT8_P12ihipStream_tbDpT10_ENKUlT_T0_E_clISt17integral_constantIbLb1EES1B_IbLb0EEEEDaS17_S18_EUlS17_E_NS1_11comp_targetILNS1_3genE10ELNS1_11target_archE1200ELNS1_3gpuE4ELNS1_3repE0EEENS1_30default_config_static_selectorELNS0_4arch9wavefront6targetE1EEEvT1_: ; @_ZN7rocprim17ROCPRIM_400000_NS6detail17trampoline_kernelINS0_14default_configENS1_25partition_config_selectorILNS1_17partition_subalgoE8ElNS0_10empty_typeEbEEZZNS1_14partition_implILS5_8ELb0ES3_jPlPS6_PKS6_NS0_5tupleIJS9_S6_EEENSD_IJSA_SA_EEENS0_18inequality_wrapperIZN2at6native12_GLOBAL__N_124unique_dim_cuda_templateItEESt5tupleIJNSH_6TensorESM_SM_EERKSM_lbbbEUlllE0_EEPmJS6_EEE10hipError_tPvRmT3_T4_T5_T6_T7_T9_mT8_P12ihipStream_tbDpT10_ENKUlT_T0_E_clISt17integral_constantIbLb1EES1B_IbLb0EEEEDaS17_S18_EUlS17_E_NS1_11comp_targetILNS1_3genE10ELNS1_11target_archE1200ELNS1_3gpuE4ELNS1_3repE0EEENS1_30default_config_static_selectorELNS0_4arch9wavefront6targetE1EEEvT1_
; %bb.0:
	.section	.rodata,"a",@progbits
	.p2align	6, 0x0
	.amdhsa_kernel _ZN7rocprim17ROCPRIM_400000_NS6detail17trampoline_kernelINS0_14default_configENS1_25partition_config_selectorILNS1_17partition_subalgoE8ElNS0_10empty_typeEbEEZZNS1_14partition_implILS5_8ELb0ES3_jPlPS6_PKS6_NS0_5tupleIJS9_S6_EEENSD_IJSA_SA_EEENS0_18inequality_wrapperIZN2at6native12_GLOBAL__N_124unique_dim_cuda_templateItEESt5tupleIJNSH_6TensorESM_SM_EERKSM_lbbbEUlllE0_EEPmJS6_EEE10hipError_tPvRmT3_T4_T5_T6_T7_T9_mT8_P12ihipStream_tbDpT10_ENKUlT_T0_E_clISt17integral_constantIbLb1EES1B_IbLb0EEEEDaS17_S18_EUlS17_E_NS1_11comp_targetILNS1_3genE10ELNS1_11target_archE1200ELNS1_3gpuE4ELNS1_3repE0EEENS1_30default_config_static_selectorELNS0_4arch9wavefront6targetE1EEEvT1_
		.amdhsa_group_segment_fixed_size 0
		.amdhsa_private_segment_fixed_size 0
		.amdhsa_kernarg_size 120
		.amdhsa_user_sgpr_count 2
		.amdhsa_user_sgpr_dispatch_ptr 0
		.amdhsa_user_sgpr_queue_ptr 0
		.amdhsa_user_sgpr_kernarg_segment_ptr 1
		.amdhsa_user_sgpr_dispatch_id 0
		.amdhsa_user_sgpr_kernarg_preload_length 0
		.amdhsa_user_sgpr_kernarg_preload_offset 0
		.amdhsa_user_sgpr_private_segment_size 0
		.amdhsa_uses_dynamic_stack 0
		.amdhsa_enable_private_segment 0
		.amdhsa_system_sgpr_workgroup_id_x 1
		.amdhsa_system_sgpr_workgroup_id_y 0
		.amdhsa_system_sgpr_workgroup_id_z 0
		.amdhsa_system_sgpr_workgroup_info 0
		.amdhsa_system_vgpr_workitem_id 0
		.amdhsa_next_free_vgpr 1
		.amdhsa_next_free_sgpr 0
		.amdhsa_accum_offset 4
		.amdhsa_reserve_vcc 0
		.amdhsa_float_round_mode_32 0
		.amdhsa_float_round_mode_16_64 0
		.amdhsa_float_denorm_mode_32 3
		.amdhsa_float_denorm_mode_16_64 3
		.amdhsa_dx10_clamp 1
		.amdhsa_ieee_mode 1
		.amdhsa_fp16_overflow 0
		.amdhsa_tg_split 0
		.amdhsa_exception_fp_ieee_invalid_op 0
		.amdhsa_exception_fp_denorm_src 0
		.amdhsa_exception_fp_ieee_div_zero 0
		.amdhsa_exception_fp_ieee_overflow 0
		.amdhsa_exception_fp_ieee_underflow 0
		.amdhsa_exception_fp_ieee_inexact 0
		.amdhsa_exception_int_div_zero 0
	.end_amdhsa_kernel
	.section	.text._ZN7rocprim17ROCPRIM_400000_NS6detail17trampoline_kernelINS0_14default_configENS1_25partition_config_selectorILNS1_17partition_subalgoE8ElNS0_10empty_typeEbEEZZNS1_14partition_implILS5_8ELb0ES3_jPlPS6_PKS6_NS0_5tupleIJS9_S6_EEENSD_IJSA_SA_EEENS0_18inequality_wrapperIZN2at6native12_GLOBAL__N_124unique_dim_cuda_templateItEESt5tupleIJNSH_6TensorESM_SM_EERKSM_lbbbEUlllE0_EEPmJS6_EEE10hipError_tPvRmT3_T4_T5_T6_T7_T9_mT8_P12ihipStream_tbDpT10_ENKUlT_T0_E_clISt17integral_constantIbLb1EES1B_IbLb0EEEEDaS17_S18_EUlS17_E_NS1_11comp_targetILNS1_3genE10ELNS1_11target_archE1200ELNS1_3gpuE4ELNS1_3repE0EEENS1_30default_config_static_selectorELNS0_4arch9wavefront6targetE1EEEvT1_,"axG",@progbits,_ZN7rocprim17ROCPRIM_400000_NS6detail17trampoline_kernelINS0_14default_configENS1_25partition_config_selectorILNS1_17partition_subalgoE8ElNS0_10empty_typeEbEEZZNS1_14partition_implILS5_8ELb0ES3_jPlPS6_PKS6_NS0_5tupleIJS9_S6_EEENSD_IJSA_SA_EEENS0_18inequality_wrapperIZN2at6native12_GLOBAL__N_124unique_dim_cuda_templateItEESt5tupleIJNSH_6TensorESM_SM_EERKSM_lbbbEUlllE0_EEPmJS6_EEE10hipError_tPvRmT3_T4_T5_T6_T7_T9_mT8_P12ihipStream_tbDpT10_ENKUlT_T0_E_clISt17integral_constantIbLb1EES1B_IbLb0EEEEDaS17_S18_EUlS17_E_NS1_11comp_targetILNS1_3genE10ELNS1_11target_archE1200ELNS1_3gpuE4ELNS1_3repE0EEENS1_30default_config_static_selectorELNS0_4arch9wavefront6targetE1EEEvT1_,comdat
.Lfunc_end1449:
	.size	_ZN7rocprim17ROCPRIM_400000_NS6detail17trampoline_kernelINS0_14default_configENS1_25partition_config_selectorILNS1_17partition_subalgoE8ElNS0_10empty_typeEbEEZZNS1_14partition_implILS5_8ELb0ES3_jPlPS6_PKS6_NS0_5tupleIJS9_S6_EEENSD_IJSA_SA_EEENS0_18inequality_wrapperIZN2at6native12_GLOBAL__N_124unique_dim_cuda_templateItEESt5tupleIJNSH_6TensorESM_SM_EERKSM_lbbbEUlllE0_EEPmJS6_EEE10hipError_tPvRmT3_T4_T5_T6_T7_T9_mT8_P12ihipStream_tbDpT10_ENKUlT_T0_E_clISt17integral_constantIbLb1EES1B_IbLb0EEEEDaS17_S18_EUlS17_E_NS1_11comp_targetILNS1_3genE10ELNS1_11target_archE1200ELNS1_3gpuE4ELNS1_3repE0EEENS1_30default_config_static_selectorELNS0_4arch9wavefront6targetE1EEEvT1_, .Lfunc_end1449-_ZN7rocprim17ROCPRIM_400000_NS6detail17trampoline_kernelINS0_14default_configENS1_25partition_config_selectorILNS1_17partition_subalgoE8ElNS0_10empty_typeEbEEZZNS1_14partition_implILS5_8ELb0ES3_jPlPS6_PKS6_NS0_5tupleIJS9_S6_EEENSD_IJSA_SA_EEENS0_18inequality_wrapperIZN2at6native12_GLOBAL__N_124unique_dim_cuda_templateItEESt5tupleIJNSH_6TensorESM_SM_EERKSM_lbbbEUlllE0_EEPmJS6_EEE10hipError_tPvRmT3_T4_T5_T6_T7_T9_mT8_P12ihipStream_tbDpT10_ENKUlT_T0_E_clISt17integral_constantIbLb1EES1B_IbLb0EEEEDaS17_S18_EUlS17_E_NS1_11comp_targetILNS1_3genE10ELNS1_11target_archE1200ELNS1_3gpuE4ELNS1_3repE0EEENS1_30default_config_static_selectorELNS0_4arch9wavefront6targetE1EEEvT1_
                                        ; -- End function
	.section	.AMDGPU.csdata,"",@progbits
; Kernel info:
; codeLenInByte = 0
; NumSgprs: 6
; NumVgprs: 0
; NumAgprs: 0
; TotalNumVgprs: 0
; ScratchSize: 0
; MemoryBound: 0
; FloatMode: 240
; IeeeMode: 1
; LDSByteSize: 0 bytes/workgroup (compile time only)
; SGPRBlocks: 0
; VGPRBlocks: 0
; NumSGPRsForWavesPerEU: 6
; NumVGPRsForWavesPerEU: 1
; AccumOffset: 4
; Occupancy: 8
; WaveLimiterHint : 0
; COMPUTE_PGM_RSRC2:SCRATCH_EN: 0
; COMPUTE_PGM_RSRC2:USER_SGPR: 2
; COMPUTE_PGM_RSRC2:TRAP_HANDLER: 0
; COMPUTE_PGM_RSRC2:TGID_X_EN: 1
; COMPUTE_PGM_RSRC2:TGID_Y_EN: 0
; COMPUTE_PGM_RSRC2:TGID_Z_EN: 0
; COMPUTE_PGM_RSRC2:TIDIG_COMP_CNT: 0
; COMPUTE_PGM_RSRC3_GFX90A:ACCUM_OFFSET: 0
; COMPUTE_PGM_RSRC3_GFX90A:TG_SPLIT: 0
	.section	.text._ZN7rocprim17ROCPRIM_400000_NS6detail17trampoline_kernelINS0_14default_configENS1_25partition_config_selectorILNS1_17partition_subalgoE8ElNS0_10empty_typeEbEEZZNS1_14partition_implILS5_8ELb0ES3_jPlPS6_PKS6_NS0_5tupleIJS9_S6_EEENSD_IJSA_SA_EEENS0_18inequality_wrapperIZN2at6native12_GLOBAL__N_124unique_dim_cuda_templateItEESt5tupleIJNSH_6TensorESM_SM_EERKSM_lbbbEUlllE0_EEPmJS6_EEE10hipError_tPvRmT3_T4_T5_T6_T7_T9_mT8_P12ihipStream_tbDpT10_ENKUlT_T0_E_clISt17integral_constantIbLb1EES1B_IbLb0EEEEDaS17_S18_EUlS17_E_NS1_11comp_targetILNS1_3genE9ELNS1_11target_archE1100ELNS1_3gpuE3ELNS1_3repE0EEENS1_30default_config_static_selectorELNS0_4arch9wavefront6targetE1EEEvT1_,"axG",@progbits,_ZN7rocprim17ROCPRIM_400000_NS6detail17trampoline_kernelINS0_14default_configENS1_25partition_config_selectorILNS1_17partition_subalgoE8ElNS0_10empty_typeEbEEZZNS1_14partition_implILS5_8ELb0ES3_jPlPS6_PKS6_NS0_5tupleIJS9_S6_EEENSD_IJSA_SA_EEENS0_18inequality_wrapperIZN2at6native12_GLOBAL__N_124unique_dim_cuda_templateItEESt5tupleIJNSH_6TensorESM_SM_EERKSM_lbbbEUlllE0_EEPmJS6_EEE10hipError_tPvRmT3_T4_T5_T6_T7_T9_mT8_P12ihipStream_tbDpT10_ENKUlT_T0_E_clISt17integral_constantIbLb1EES1B_IbLb0EEEEDaS17_S18_EUlS17_E_NS1_11comp_targetILNS1_3genE9ELNS1_11target_archE1100ELNS1_3gpuE3ELNS1_3repE0EEENS1_30default_config_static_selectorELNS0_4arch9wavefront6targetE1EEEvT1_,comdat
	.globl	_ZN7rocprim17ROCPRIM_400000_NS6detail17trampoline_kernelINS0_14default_configENS1_25partition_config_selectorILNS1_17partition_subalgoE8ElNS0_10empty_typeEbEEZZNS1_14partition_implILS5_8ELb0ES3_jPlPS6_PKS6_NS0_5tupleIJS9_S6_EEENSD_IJSA_SA_EEENS0_18inequality_wrapperIZN2at6native12_GLOBAL__N_124unique_dim_cuda_templateItEESt5tupleIJNSH_6TensorESM_SM_EERKSM_lbbbEUlllE0_EEPmJS6_EEE10hipError_tPvRmT3_T4_T5_T6_T7_T9_mT8_P12ihipStream_tbDpT10_ENKUlT_T0_E_clISt17integral_constantIbLb1EES1B_IbLb0EEEEDaS17_S18_EUlS17_E_NS1_11comp_targetILNS1_3genE9ELNS1_11target_archE1100ELNS1_3gpuE3ELNS1_3repE0EEENS1_30default_config_static_selectorELNS0_4arch9wavefront6targetE1EEEvT1_ ; -- Begin function _ZN7rocprim17ROCPRIM_400000_NS6detail17trampoline_kernelINS0_14default_configENS1_25partition_config_selectorILNS1_17partition_subalgoE8ElNS0_10empty_typeEbEEZZNS1_14partition_implILS5_8ELb0ES3_jPlPS6_PKS6_NS0_5tupleIJS9_S6_EEENSD_IJSA_SA_EEENS0_18inequality_wrapperIZN2at6native12_GLOBAL__N_124unique_dim_cuda_templateItEESt5tupleIJNSH_6TensorESM_SM_EERKSM_lbbbEUlllE0_EEPmJS6_EEE10hipError_tPvRmT3_T4_T5_T6_T7_T9_mT8_P12ihipStream_tbDpT10_ENKUlT_T0_E_clISt17integral_constantIbLb1EES1B_IbLb0EEEEDaS17_S18_EUlS17_E_NS1_11comp_targetILNS1_3genE9ELNS1_11target_archE1100ELNS1_3gpuE3ELNS1_3repE0EEENS1_30default_config_static_selectorELNS0_4arch9wavefront6targetE1EEEvT1_
	.p2align	8
	.type	_ZN7rocprim17ROCPRIM_400000_NS6detail17trampoline_kernelINS0_14default_configENS1_25partition_config_selectorILNS1_17partition_subalgoE8ElNS0_10empty_typeEbEEZZNS1_14partition_implILS5_8ELb0ES3_jPlPS6_PKS6_NS0_5tupleIJS9_S6_EEENSD_IJSA_SA_EEENS0_18inequality_wrapperIZN2at6native12_GLOBAL__N_124unique_dim_cuda_templateItEESt5tupleIJNSH_6TensorESM_SM_EERKSM_lbbbEUlllE0_EEPmJS6_EEE10hipError_tPvRmT3_T4_T5_T6_T7_T9_mT8_P12ihipStream_tbDpT10_ENKUlT_T0_E_clISt17integral_constantIbLb1EES1B_IbLb0EEEEDaS17_S18_EUlS17_E_NS1_11comp_targetILNS1_3genE9ELNS1_11target_archE1100ELNS1_3gpuE3ELNS1_3repE0EEENS1_30default_config_static_selectorELNS0_4arch9wavefront6targetE1EEEvT1_,@function
_ZN7rocprim17ROCPRIM_400000_NS6detail17trampoline_kernelINS0_14default_configENS1_25partition_config_selectorILNS1_17partition_subalgoE8ElNS0_10empty_typeEbEEZZNS1_14partition_implILS5_8ELb0ES3_jPlPS6_PKS6_NS0_5tupleIJS9_S6_EEENSD_IJSA_SA_EEENS0_18inequality_wrapperIZN2at6native12_GLOBAL__N_124unique_dim_cuda_templateItEESt5tupleIJNSH_6TensorESM_SM_EERKSM_lbbbEUlllE0_EEPmJS6_EEE10hipError_tPvRmT3_T4_T5_T6_T7_T9_mT8_P12ihipStream_tbDpT10_ENKUlT_T0_E_clISt17integral_constantIbLb1EES1B_IbLb0EEEEDaS17_S18_EUlS17_E_NS1_11comp_targetILNS1_3genE9ELNS1_11target_archE1100ELNS1_3gpuE3ELNS1_3repE0EEENS1_30default_config_static_selectorELNS0_4arch9wavefront6targetE1EEEvT1_: ; @_ZN7rocprim17ROCPRIM_400000_NS6detail17trampoline_kernelINS0_14default_configENS1_25partition_config_selectorILNS1_17partition_subalgoE8ElNS0_10empty_typeEbEEZZNS1_14partition_implILS5_8ELb0ES3_jPlPS6_PKS6_NS0_5tupleIJS9_S6_EEENSD_IJSA_SA_EEENS0_18inequality_wrapperIZN2at6native12_GLOBAL__N_124unique_dim_cuda_templateItEESt5tupleIJNSH_6TensorESM_SM_EERKSM_lbbbEUlllE0_EEPmJS6_EEE10hipError_tPvRmT3_T4_T5_T6_T7_T9_mT8_P12ihipStream_tbDpT10_ENKUlT_T0_E_clISt17integral_constantIbLb1EES1B_IbLb0EEEEDaS17_S18_EUlS17_E_NS1_11comp_targetILNS1_3genE9ELNS1_11target_archE1100ELNS1_3gpuE3ELNS1_3repE0EEENS1_30default_config_static_selectorELNS0_4arch9wavefront6targetE1EEEvT1_
; %bb.0:
	.section	.rodata,"a",@progbits
	.p2align	6, 0x0
	.amdhsa_kernel _ZN7rocprim17ROCPRIM_400000_NS6detail17trampoline_kernelINS0_14default_configENS1_25partition_config_selectorILNS1_17partition_subalgoE8ElNS0_10empty_typeEbEEZZNS1_14partition_implILS5_8ELb0ES3_jPlPS6_PKS6_NS0_5tupleIJS9_S6_EEENSD_IJSA_SA_EEENS0_18inequality_wrapperIZN2at6native12_GLOBAL__N_124unique_dim_cuda_templateItEESt5tupleIJNSH_6TensorESM_SM_EERKSM_lbbbEUlllE0_EEPmJS6_EEE10hipError_tPvRmT3_T4_T5_T6_T7_T9_mT8_P12ihipStream_tbDpT10_ENKUlT_T0_E_clISt17integral_constantIbLb1EES1B_IbLb0EEEEDaS17_S18_EUlS17_E_NS1_11comp_targetILNS1_3genE9ELNS1_11target_archE1100ELNS1_3gpuE3ELNS1_3repE0EEENS1_30default_config_static_selectorELNS0_4arch9wavefront6targetE1EEEvT1_
		.amdhsa_group_segment_fixed_size 0
		.amdhsa_private_segment_fixed_size 0
		.amdhsa_kernarg_size 120
		.amdhsa_user_sgpr_count 2
		.amdhsa_user_sgpr_dispatch_ptr 0
		.amdhsa_user_sgpr_queue_ptr 0
		.amdhsa_user_sgpr_kernarg_segment_ptr 1
		.amdhsa_user_sgpr_dispatch_id 0
		.amdhsa_user_sgpr_kernarg_preload_length 0
		.amdhsa_user_sgpr_kernarg_preload_offset 0
		.amdhsa_user_sgpr_private_segment_size 0
		.amdhsa_uses_dynamic_stack 0
		.amdhsa_enable_private_segment 0
		.amdhsa_system_sgpr_workgroup_id_x 1
		.amdhsa_system_sgpr_workgroup_id_y 0
		.amdhsa_system_sgpr_workgroup_id_z 0
		.amdhsa_system_sgpr_workgroup_info 0
		.amdhsa_system_vgpr_workitem_id 0
		.amdhsa_next_free_vgpr 1
		.amdhsa_next_free_sgpr 0
		.amdhsa_accum_offset 4
		.amdhsa_reserve_vcc 0
		.amdhsa_float_round_mode_32 0
		.amdhsa_float_round_mode_16_64 0
		.amdhsa_float_denorm_mode_32 3
		.amdhsa_float_denorm_mode_16_64 3
		.amdhsa_dx10_clamp 1
		.amdhsa_ieee_mode 1
		.amdhsa_fp16_overflow 0
		.amdhsa_tg_split 0
		.amdhsa_exception_fp_ieee_invalid_op 0
		.amdhsa_exception_fp_denorm_src 0
		.amdhsa_exception_fp_ieee_div_zero 0
		.amdhsa_exception_fp_ieee_overflow 0
		.amdhsa_exception_fp_ieee_underflow 0
		.amdhsa_exception_fp_ieee_inexact 0
		.amdhsa_exception_int_div_zero 0
	.end_amdhsa_kernel
	.section	.text._ZN7rocprim17ROCPRIM_400000_NS6detail17trampoline_kernelINS0_14default_configENS1_25partition_config_selectorILNS1_17partition_subalgoE8ElNS0_10empty_typeEbEEZZNS1_14partition_implILS5_8ELb0ES3_jPlPS6_PKS6_NS0_5tupleIJS9_S6_EEENSD_IJSA_SA_EEENS0_18inequality_wrapperIZN2at6native12_GLOBAL__N_124unique_dim_cuda_templateItEESt5tupleIJNSH_6TensorESM_SM_EERKSM_lbbbEUlllE0_EEPmJS6_EEE10hipError_tPvRmT3_T4_T5_T6_T7_T9_mT8_P12ihipStream_tbDpT10_ENKUlT_T0_E_clISt17integral_constantIbLb1EES1B_IbLb0EEEEDaS17_S18_EUlS17_E_NS1_11comp_targetILNS1_3genE9ELNS1_11target_archE1100ELNS1_3gpuE3ELNS1_3repE0EEENS1_30default_config_static_selectorELNS0_4arch9wavefront6targetE1EEEvT1_,"axG",@progbits,_ZN7rocprim17ROCPRIM_400000_NS6detail17trampoline_kernelINS0_14default_configENS1_25partition_config_selectorILNS1_17partition_subalgoE8ElNS0_10empty_typeEbEEZZNS1_14partition_implILS5_8ELb0ES3_jPlPS6_PKS6_NS0_5tupleIJS9_S6_EEENSD_IJSA_SA_EEENS0_18inequality_wrapperIZN2at6native12_GLOBAL__N_124unique_dim_cuda_templateItEESt5tupleIJNSH_6TensorESM_SM_EERKSM_lbbbEUlllE0_EEPmJS6_EEE10hipError_tPvRmT3_T4_T5_T6_T7_T9_mT8_P12ihipStream_tbDpT10_ENKUlT_T0_E_clISt17integral_constantIbLb1EES1B_IbLb0EEEEDaS17_S18_EUlS17_E_NS1_11comp_targetILNS1_3genE9ELNS1_11target_archE1100ELNS1_3gpuE3ELNS1_3repE0EEENS1_30default_config_static_selectorELNS0_4arch9wavefront6targetE1EEEvT1_,comdat
.Lfunc_end1450:
	.size	_ZN7rocprim17ROCPRIM_400000_NS6detail17trampoline_kernelINS0_14default_configENS1_25partition_config_selectorILNS1_17partition_subalgoE8ElNS0_10empty_typeEbEEZZNS1_14partition_implILS5_8ELb0ES3_jPlPS6_PKS6_NS0_5tupleIJS9_S6_EEENSD_IJSA_SA_EEENS0_18inequality_wrapperIZN2at6native12_GLOBAL__N_124unique_dim_cuda_templateItEESt5tupleIJNSH_6TensorESM_SM_EERKSM_lbbbEUlllE0_EEPmJS6_EEE10hipError_tPvRmT3_T4_T5_T6_T7_T9_mT8_P12ihipStream_tbDpT10_ENKUlT_T0_E_clISt17integral_constantIbLb1EES1B_IbLb0EEEEDaS17_S18_EUlS17_E_NS1_11comp_targetILNS1_3genE9ELNS1_11target_archE1100ELNS1_3gpuE3ELNS1_3repE0EEENS1_30default_config_static_selectorELNS0_4arch9wavefront6targetE1EEEvT1_, .Lfunc_end1450-_ZN7rocprim17ROCPRIM_400000_NS6detail17trampoline_kernelINS0_14default_configENS1_25partition_config_selectorILNS1_17partition_subalgoE8ElNS0_10empty_typeEbEEZZNS1_14partition_implILS5_8ELb0ES3_jPlPS6_PKS6_NS0_5tupleIJS9_S6_EEENSD_IJSA_SA_EEENS0_18inequality_wrapperIZN2at6native12_GLOBAL__N_124unique_dim_cuda_templateItEESt5tupleIJNSH_6TensorESM_SM_EERKSM_lbbbEUlllE0_EEPmJS6_EEE10hipError_tPvRmT3_T4_T5_T6_T7_T9_mT8_P12ihipStream_tbDpT10_ENKUlT_T0_E_clISt17integral_constantIbLb1EES1B_IbLb0EEEEDaS17_S18_EUlS17_E_NS1_11comp_targetILNS1_3genE9ELNS1_11target_archE1100ELNS1_3gpuE3ELNS1_3repE0EEENS1_30default_config_static_selectorELNS0_4arch9wavefront6targetE1EEEvT1_
                                        ; -- End function
	.section	.AMDGPU.csdata,"",@progbits
; Kernel info:
; codeLenInByte = 0
; NumSgprs: 6
; NumVgprs: 0
; NumAgprs: 0
; TotalNumVgprs: 0
; ScratchSize: 0
; MemoryBound: 0
; FloatMode: 240
; IeeeMode: 1
; LDSByteSize: 0 bytes/workgroup (compile time only)
; SGPRBlocks: 0
; VGPRBlocks: 0
; NumSGPRsForWavesPerEU: 6
; NumVGPRsForWavesPerEU: 1
; AccumOffset: 4
; Occupancy: 8
; WaveLimiterHint : 0
; COMPUTE_PGM_RSRC2:SCRATCH_EN: 0
; COMPUTE_PGM_RSRC2:USER_SGPR: 2
; COMPUTE_PGM_RSRC2:TRAP_HANDLER: 0
; COMPUTE_PGM_RSRC2:TGID_X_EN: 1
; COMPUTE_PGM_RSRC2:TGID_Y_EN: 0
; COMPUTE_PGM_RSRC2:TGID_Z_EN: 0
; COMPUTE_PGM_RSRC2:TIDIG_COMP_CNT: 0
; COMPUTE_PGM_RSRC3_GFX90A:ACCUM_OFFSET: 0
; COMPUTE_PGM_RSRC3_GFX90A:TG_SPLIT: 0
	.section	.text._ZN7rocprim17ROCPRIM_400000_NS6detail17trampoline_kernelINS0_14default_configENS1_25partition_config_selectorILNS1_17partition_subalgoE8ElNS0_10empty_typeEbEEZZNS1_14partition_implILS5_8ELb0ES3_jPlPS6_PKS6_NS0_5tupleIJS9_S6_EEENSD_IJSA_SA_EEENS0_18inequality_wrapperIZN2at6native12_GLOBAL__N_124unique_dim_cuda_templateItEESt5tupleIJNSH_6TensorESM_SM_EERKSM_lbbbEUlllE0_EEPmJS6_EEE10hipError_tPvRmT3_T4_T5_T6_T7_T9_mT8_P12ihipStream_tbDpT10_ENKUlT_T0_E_clISt17integral_constantIbLb1EES1B_IbLb0EEEEDaS17_S18_EUlS17_E_NS1_11comp_targetILNS1_3genE8ELNS1_11target_archE1030ELNS1_3gpuE2ELNS1_3repE0EEENS1_30default_config_static_selectorELNS0_4arch9wavefront6targetE1EEEvT1_,"axG",@progbits,_ZN7rocprim17ROCPRIM_400000_NS6detail17trampoline_kernelINS0_14default_configENS1_25partition_config_selectorILNS1_17partition_subalgoE8ElNS0_10empty_typeEbEEZZNS1_14partition_implILS5_8ELb0ES3_jPlPS6_PKS6_NS0_5tupleIJS9_S6_EEENSD_IJSA_SA_EEENS0_18inequality_wrapperIZN2at6native12_GLOBAL__N_124unique_dim_cuda_templateItEESt5tupleIJNSH_6TensorESM_SM_EERKSM_lbbbEUlllE0_EEPmJS6_EEE10hipError_tPvRmT3_T4_T5_T6_T7_T9_mT8_P12ihipStream_tbDpT10_ENKUlT_T0_E_clISt17integral_constantIbLb1EES1B_IbLb0EEEEDaS17_S18_EUlS17_E_NS1_11comp_targetILNS1_3genE8ELNS1_11target_archE1030ELNS1_3gpuE2ELNS1_3repE0EEENS1_30default_config_static_selectorELNS0_4arch9wavefront6targetE1EEEvT1_,comdat
	.globl	_ZN7rocprim17ROCPRIM_400000_NS6detail17trampoline_kernelINS0_14default_configENS1_25partition_config_selectorILNS1_17partition_subalgoE8ElNS0_10empty_typeEbEEZZNS1_14partition_implILS5_8ELb0ES3_jPlPS6_PKS6_NS0_5tupleIJS9_S6_EEENSD_IJSA_SA_EEENS0_18inequality_wrapperIZN2at6native12_GLOBAL__N_124unique_dim_cuda_templateItEESt5tupleIJNSH_6TensorESM_SM_EERKSM_lbbbEUlllE0_EEPmJS6_EEE10hipError_tPvRmT3_T4_T5_T6_T7_T9_mT8_P12ihipStream_tbDpT10_ENKUlT_T0_E_clISt17integral_constantIbLb1EES1B_IbLb0EEEEDaS17_S18_EUlS17_E_NS1_11comp_targetILNS1_3genE8ELNS1_11target_archE1030ELNS1_3gpuE2ELNS1_3repE0EEENS1_30default_config_static_selectorELNS0_4arch9wavefront6targetE1EEEvT1_ ; -- Begin function _ZN7rocprim17ROCPRIM_400000_NS6detail17trampoline_kernelINS0_14default_configENS1_25partition_config_selectorILNS1_17partition_subalgoE8ElNS0_10empty_typeEbEEZZNS1_14partition_implILS5_8ELb0ES3_jPlPS6_PKS6_NS0_5tupleIJS9_S6_EEENSD_IJSA_SA_EEENS0_18inequality_wrapperIZN2at6native12_GLOBAL__N_124unique_dim_cuda_templateItEESt5tupleIJNSH_6TensorESM_SM_EERKSM_lbbbEUlllE0_EEPmJS6_EEE10hipError_tPvRmT3_T4_T5_T6_T7_T9_mT8_P12ihipStream_tbDpT10_ENKUlT_T0_E_clISt17integral_constantIbLb1EES1B_IbLb0EEEEDaS17_S18_EUlS17_E_NS1_11comp_targetILNS1_3genE8ELNS1_11target_archE1030ELNS1_3gpuE2ELNS1_3repE0EEENS1_30default_config_static_selectorELNS0_4arch9wavefront6targetE1EEEvT1_
	.p2align	8
	.type	_ZN7rocprim17ROCPRIM_400000_NS6detail17trampoline_kernelINS0_14default_configENS1_25partition_config_selectorILNS1_17partition_subalgoE8ElNS0_10empty_typeEbEEZZNS1_14partition_implILS5_8ELb0ES3_jPlPS6_PKS6_NS0_5tupleIJS9_S6_EEENSD_IJSA_SA_EEENS0_18inequality_wrapperIZN2at6native12_GLOBAL__N_124unique_dim_cuda_templateItEESt5tupleIJNSH_6TensorESM_SM_EERKSM_lbbbEUlllE0_EEPmJS6_EEE10hipError_tPvRmT3_T4_T5_T6_T7_T9_mT8_P12ihipStream_tbDpT10_ENKUlT_T0_E_clISt17integral_constantIbLb1EES1B_IbLb0EEEEDaS17_S18_EUlS17_E_NS1_11comp_targetILNS1_3genE8ELNS1_11target_archE1030ELNS1_3gpuE2ELNS1_3repE0EEENS1_30default_config_static_selectorELNS0_4arch9wavefront6targetE1EEEvT1_,@function
_ZN7rocprim17ROCPRIM_400000_NS6detail17trampoline_kernelINS0_14default_configENS1_25partition_config_selectorILNS1_17partition_subalgoE8ElNS0_10empty_typeEbEEZZNS1_14partition_implILS5_8ELb0ES3_jPlPS6_PKS6_NS0_5tupleIJS9_S6_EEENSD_IJSA_SA_EEENS0_18inequality_wrapperIZN2at6native12_GLOBAL__N_124unique_dim_cuda_templateItEESt5tupleIJNSH_6TensorESM_SM_EERKSM_lbbbEUlllE0_EEPmJS6_EEE10hipError_tPvRmT3_T4_T5_T6_T7_T9_mT8_P12ihipStream_tbDpT10_ENKUlT_T0_E_clISt17integral_constantIbLb1EES1B_IbLb0EEEEDaS17_S18_EUlS17_E_NS1_11comp_targetILNS1_3genE8ELNS1_11target_archE1030ELNS1_3gpuE2ELNS1_3repE0EEENS1_30default_config_static_selectorELNS0_4arch9wavefront6targetE1EEEvT1_: ; @_ZN7rocprim17ROCPRIM_400000_NS6detail17trampoline_kernelINS0_14default_configENS1_25partition_config_selectorILNS1_17partition_subalgoE8ElNS0_10empty_typeEbEEZZNS1_14partition_implILS5_8ELb0ES3_jPlPS6_PKS6_NS0_5tupleIJS9_S6_EEENSD_IJSA_SA_EEENS0_18inequality_wrapperIZN2at6native12_GLOBAL__N_124unique_dim_cuda_templateItEESt5tupleIJNSH_6TensorESM_SM_EERKSM_lbbbEUlllE0_EEPmJS6_EEE10hipError_tPvRmT3_T4_T5_T6_T7_T9_mT8_P12ihipStream_tbDpT10_ENKUlT_T0_E_clISt17integral_constantIbLb1EES1B_IbLb0EEEEDaS17_S18_EUlS17_E_NS1_11comp_targetILNS1_3genE8ELNS1_11target_archE1030ELNS1_3gpuE2ELNS1_3repE0EEENS1_30default_config_static_selectorELNS0_4arch9wavefront6targetE1EEEvT1_
; %bb.0:
	.section	.rodata,"a",@progbits
	.p2align	6, 0x0
	.amdhsa_kernel _ZN7rocprim17ROCPRIM_400000_NS6detail17trampoline_kernelINS0_14default_configENS1_25partition_config_selectorILNS1_17partition_subalgoE8ElNS0_10empty_typeEbEEZZNS1_14partition_implILS5_8ELb0ES3_jPlPS6_PKS6_NS0_5tupleIJS9_S6_EEENSD_IJSA_SA_EEENS0_18inequality_wrapperIZN2at6native12_GLOBAL__N_124unique_dim_cuda_templateItEESt5tupleIJNSH_6TensorESM_SM_EERKSM_lbbbEUlllE0_EEPmJS6_EEE10hipError_tPvRmT3_T4_T5_T6_T7_T9_mT8_P12ihipStream_tbDpT10_ENKUlT_T0_E_clISt17integral_constantIbLb1EES1B_IbLb0EEEEDaS17_S18_EUlS17_E_NS1_11comp_targetILNS1_3genE8ELNS1_11target_archE1030ELNS1_3gpuE2ELNS1_3repE0EEENS1_30default_config_static_selectorELNS0_4arch9wavefront6targetE1EEEvT1_
		.amdhsa_group_segment_fixed_size 0
		.amdhsa_private_segment_fixed_size 0
		.amdhsa_kernarg_size 120
		.amdhsa_user_sgpr_count 2
		.amdhsa_user_sgpr_dispatch_ptr 0
		.amdhsa_user_sgpr_queue_ptr 0
		.amdhsa_user_sgpr_kernarg_segment_ptr 1
		.amdhsa_user_sgpr_dispatch_id 0
		.amdhsa_user_sgpr_kernarg_preload_length 0
		.amdhsa_user_sgpr_kernarg_preload_offset 0
		.amdhsa_user_sgpr_private_segment_size 0
		.amdhsa_uses_dynamic_stack 0
		.amdhsa_enable_private_segment 0
		.amdhsa_system_sgpr_workgroup_id_x 1
		.amdhsa_system_sgpr_workgroup_id_y 0
		.amdhsa_system_sgpr_workgroup_id_z 0
		.amdhsa_system_sgpr_workgroup_info 0
		.amdhsa_system_vgpr_workitem_id 0
		.amdhsa_next_free_vgpr 1
		.amdhsa_next_free_sgpr 0
		.amdhsa_accum_offset 4
		.amdhsa_reserve_vcc 0
		.amdhsa_float_round_mode_32 0
		.amdhsa_float_round_mode_16_64 0
		.amdhsa_float_denorm_mode_32 3
		.amdhsa_float_denorm_mode_16_64 3
		.amdhsa_dx10_clamp 1
		.amdhsa_ieee_mode 1
		.amdhsa_fp16_overflow 0
		.amdhsa_tg_split 0
		.amdhsa_exception_fp_ieee_invalid_op 0
		.amdhsa_exception_fp_denorm_src 0
		.amdhsa_exception_fp_ieee_div_zero 0
		.amdhsa_exception_fp_ieee_overflow 0
		.amdhsa_exception_fp_ieee_underflow 0
		.amdhsa_exception_fp_ieee_inexact 0
		.amdhsa_exception_int_div_zero 0
	.end_amdhsa_kernel
	.section	.text._ZN7rocprim17ROCPRIM_400000_NS6detail17trampoline_kernelINS0_14default_configENS1_25partition_config_selectorILNS1_17partition_subalgoE8ElNS0_10empty_typeEbEEZZNS1_14partition_implILS5_8ELb0ES3_jPlPS6_PKS6_NS0_5tupleIJS9_S6_EEENSD_IJSA_SA_EEENS0_18inequality_wrapperIZN2at6native12_GLOBAL__N_124unique_dim_cuda_templateItEESt5tupleIJNSH_6TensorESM_SM_EERKSM_lbbbEUlllE0_EEPmJS6_EEE10hipError_tPvRmT3_T4_T5_T6_T7_T9_mT8_P12ihipStream_tbDpT10_ENKUlT_T0_E_clISt17integral_constantIbLb1EES1B_IbLb0EEEEDaS17_S18_EUlS17_E_NS1_11comp_targetILNS1_3genE8ELNS1_11target_archE1030ELNS1_3gpuE2ELNS1_3repE0EEENS1_30default_config_static_selectorELNS0_4arch9wavefront6targetE1EEEvT1_,"axG",@progbits,_ZN7rocprim17ROCPRIM_400000_NS6detail17trampoline_kernelINS0_14default_configENS1_25partition_config_selectorILNS1_17partition_subalgoE8ElNS0_10empty_typeEbEEZZNS1_14partition_implILS5_8ELb0ES3_jPlPS6_PKS6_NS0_5tupleIJS9_S6_EEENSD_IJSA_SA_EEENS0_18inequality_wrapperIZN2at6native12_GLOBAL__N_124unique_dim_cuda_templateItEESt5tupleIJNSH_6TensorESM_SM_EERKSM_lbbbEUlllE0_EEPmJS6_EEE10hipError_tPvRmT3_T4_T5_T6_T7_T9_mT8_P12ihipStream_tbDpT10_ENKUlT_T0_E_clISt17integral_constantIbLb1EES1B_IbLb0EEEEDaS17_S18_EUlS17_E_NS1_11comp_targetILNS1_3genE8ELNS1_11target_archE1030ELNS1_3gpuE2ELNS1_3repE0EEENS1_30default_config_static_selectorELNS0_4arch9wavefront6targetE1EEEvT1_,comdat
.Lfunc_end1451:
	.size	_ZN7rocprim17ROCPRIM_400000_NS6detail17trampoline_kernelINS0_14default_configENS1_25partition_config_selectorILNS1_17partition_subalgoE8ElNS0_10empty_typeEbEEZZNS1_14partition_implILS5_8ELb0ES3_jPlPS6_PKS6_NS0_5tupleIJS9_S6_EEENSD_IJSA_SA_EEENS0_18inequality_wrapperIZN2at6native12_GLOBAL__N_124unique_dim_cuda_templateItEESt5tupleIJNSH_6TensorESM_SM_EERKSM_lbbbEUlllE0_EEPmJS6_EEE10hipError_tPvRmT3_T4_T5_T6_T7_T9_mT8_P12ihipStream_tbDpT10_ENKUlT_T0_E_clISt17integral_constantIbLb1EES1B_IbLb0EEEEDaS17_S18_EUlS17_E_NS1_11comp_targetILNS1_3genE8ELNS1_11target_archE1030ELNS1_3gpuE2ELNS1_3repE0EEENS1_30default_config_static_selectorELNS0_4arch9wavefront6targetE1EEEvT1_, .Lfunc_end1451-_ZN7rocprim17ROCPRIM_400000_NS6detail17trampoline_kernelINS0_14default_configENS1_25partition_config_selectorILNS1_17partition_subalgoE8ElNS0_10empty_typeEbEEZZNS1_14partition_implILS5_8ELb0ES3_jPlPS6_PKS6_NS0_5tupleIJS9_S6_EEENSD_IJSA_SA_EEENS0_18inequality_wrapperIZN2at6native12_GLOBAL__N_124unique_dim_cuda_templateItEESt5tupleIJNSH_6TensorESM_SM_EERKSM_lbbbEUlllE0_EEPmJS6_EEE10hipError_tPvRmT3_T4_T5_T6_T7_T9_mT8_P12ihipStream_tbDpT10_ENKUlT_T0_E_clISt17integral_constantIbLb1EES1B_IbLb0EEEEDaS17_S18_EUlS17_E_NS1_11comp_targetILNS1_3genE8ELNS1_11target_archE1030ELNS1_3gpuE2ELNS1_3repE0EEENS1_30default_config_static_selectorELNS0_4arch9wavefront6targetE1EEEvT1_
                                        ; -- End function
	.section	.AMDGPU.csdata,"",@progbits
; Kernel info:
; codeLenInByte = 0
; NumSgprs: 6
; NumVgprs: 0
; NumAgprs: 0
; TotalNumVgprs: 0
; ScratchSize: 0
; MemoryBound: 0
; FloatMode: 240
; IeeeMode: 1
; LDSByteSize: 0 bytes/workgroup (compile time only)
; SGPRBlocks: 0
; VGPRBlocks: 0
; NumSGPRsForWavesPerEU: 6
; NumVGPRsForWavesPerEU: 1
; AccumOffset: 4
; Occupancy: 8
; WaveLimiterHint : 0
; COMPUTE_PGM_RSRC2:SCRATCH_EN: 0
; COMPUTE_PGM_RSRC2:USER_SGPR: 2
; COMPUTE_PGM_RSRC2:TRAP_HANDLER: 0
; COMPUTE_PGM_RSRC2:TGID_X_EN: 1
; COMPUTE_PGM_RSRC2:TGID_Y_EN: 0
; COMPUTE_PGM_RSRC2:TGID_Z_EN: 0
; COMPUTE_PGM_RSRC2:TIDIG_COMP_CNT: 0
; COMPUTE_PGM_RSRC3_GFX90A:ACCUM_OFFSET: 0
; COMPUTE_PGM_RSRC3_GFX90A:TG_SPLIT: 0
	.section	.text._ZN7rocprim17ROCPRIM_400000_NS6detail17trampoline_kernelINS0_14default_configENS1_25partition_config_selectorILNS1_17partition_subalgoE8ElNS0_10empty_typeEbEEZZNS1_14partition_implILS5_8ELb0ES3_jPlPS6_PKS6_NS0_5tupleIJS9_S6_EEENSD_IJSA_SA_EEENS0_18inequality_wrapperIZN2at6native12_GLOBAL__N_124unique_dim_cuda_templateItEESt5tupleIJNSH_6TensorESM_SM_EERKSM_lbbbEUlllE0_EEPmJS6_EEE10hipError_tPvRmT3_T4_T5_T6_T7_T9_mT8_P12ihipStream_tbDpT10_ENKUlT_T0_E_clISt17integral_constantIbLb0EES1B_IbLb1EEEEDaS17_S18_EUlS17_E_NS1_11comp_targetILNS1_3genE0ELNS1_11target_archE4294967295ELNS1_3gpuE0ELNS1_3repE0EEENS1_30default_config_static_selectorELNS0_4arch9wavefront6targetE1EEEvT1_,"axG",@progbits,_ZN7rocprim17ROCPRIM_400000_NS6detail17trampoline_kernelINS0_14default_configENS1_25partition_config_selectorILNS1_17partition_subalgoE8ElNS0_10empty_typeEbEEZZNS1_14partition_implILS5_8ELb0ES3_jPlPS6_PKS6_NS0_5tupleIJS9_S6_EEENSD_IJSA_SA_EEENS0_18inequality_wrapperIZN2at6native12_GLOBAL__N_124unique_dim_cuda_templateItEESt5tupleIJNSH_6TensorESM_SM_EERKSM_lbbbEUlllE0_EEPmJS6_EEE10hipError_tPvRmT3_T4_T5_T6_T7_T9_mT8_P12ihipStream_tbDpT10_ENKUlT_T0_E_clISt17integral_constantIbLb0EES1B_IbLb1EEEEDaS17_S18_EUlS17_E_NS1_11comp_targetILNS1_3genE0ELNS1_11target_archE4294967295ELNS1_3gpuE0ELNS1_3repE0EEENS1_30default_config_static_selectorELNS0_4arch9wavefront6targetE1EEEvT1_,comdat
	.globl	_ZN7rocprim17ROCPRIM_400000_NS6detail17trampoline_kernelINS0_14default_configENS1_25partition_config_selectorILNS1_17partition_subalgoE8ElNS0_10empty_typeEbEEZZNS1_14partition_implILS5_8ELb0ES3_jPlPS6_PKS6_NS0_5tupleIJS9_S6_EEENSD_IJSA_SA_EEENS0_18inequality_wrapperIZN2at6native12_GLOBAL__N_124unique_dim_cuda_templateItEESt5tupleIJNSH_6TensorESM_SM_EERKSM_lbbbEUlllE0_EEPmJS6_EEE10hipError_tPvRmT3_T4_T5_T6_T7_T9_mT8_P12ihipStream_tbDpT10_ENKUlT_T0_E_clISt17integral_constantIbLb0EES1B_IbLb1EEEEDaS17_S18_EUlS17_E_NS1_11comp_targetILNS1_3genE0ELNS1_11target_archE4294967295ELNS1_3gpuE0ELNS1_3repE0EEENS1_30default_config_static_selectorELNS0_4arch9wavefront6targetE1EEEvT1_ ; -- Begin function _ZN7rocprim17ROCPRIM_400000_NS6detail17trampoline_kernelINS0_14default_configENS1_25partition_config_selectorILNS1_17partition_subalgoE8ElNS0_10empty_typeEbEEZZNS1_14partition_implILS5_8ELb0ES3_jPlPS6_PKS6_NS0_5tupleIJS9_S6_EEENSD_IJSA_SA_EEENS0_18inequality_wrapperIZN2at6native12_GLOBAL__N_124unique_dim_cuda_templateItEESt5tupleIJNSH_6TensorESM_SM_EERKSM_lbbbEUlllE0_EEPmJS6_EEE10hipError_tPvRmT3_T4_T5_T6_T7_T9_mT8_P12ihipStream_tbDpT10_ENKUlT_T0_E_clISt17integral_constantIbLb0EES1B_IbLb1EEEEDaS17_S18_EUlS17_E_NS1_11comp_targetILNS1_3genE0ELNS1_11target_archE4294967295ELNS1_3gpuE0ELNS1_3repE0EEENS1_30default_config_static_selectorELNS0_4arch9wavefront6targetE1EEEvT1_
	.p2align	8
	.type	_ZN7rocprim17ROCPRIM_400000_NS6detail17trampoline_kernelINS0_14default_configENS1_25partition_config_selectorILNS1_17partition_subalgoE8ElNS0_10empty_typeEbEEZZNS1_14partition_implILS5_8ELb0ES3_jPlPS6_PKS6_NS0_5tupleIJS9_S6_EEENSD_IJSA_SA_EEENS0_18inequality_wrapperIZN2at6native12_GLOBAL__N_124unique_dim_cuda_templateItEESt5tupleIJNSH_6TensorESM_SM_EERKSM_lbbbEUlllE0_EEPmJS6_EEE10hipError_tPvRmT3_T4_T5_T6_T7_T9_mT8_P12ihipStream_tbDpT10_ENKUlT_T0_E_clISt17integral_constantIbLb0EES1B_IbLb1EEEEDaS17_S18_EUlS17_E_NS1_11comp_targetILNS1_3genE0ELNS1_11target_archE4294967295ELNS1_3gpuE0ELNS1_3repE0EEENS1_30default_config_static_selectorELNS0_4arch9wavefront6targetE1EEEvT1_,@function
_ZN7rocprim17ROCPRIM_400000_NS6detail17trampoline_kernelINS0_14default_configENS1_25partition_config_selectorILNS1_17partition_subalgoE8ElNS0_10empty_typeEbEEZZNS1_14partition_implILS5_8ELb0ES3_jPlPS6_PKS6_NS0_5tupleIJS9_S6_EEENSD_IJSA_SA_EEENS0_18inequality_wrapperIZN2at6native12_GLOBAL__N_124unique_dim_cuda_templateItEESt5tupleIJNSH_6TensorESM_SM_EERKSM_lbbbEUlllE0_EEPmJS6_EEE10hipError_tPvRmT3_T4_T5_T6_T7_T9_mT8_P12ihipStream_tbDpT10_ENKUlT_T0_E_clISt17integral_constantIbLb0EES1B_IbLb1EEEEDaS17_S18_EUlS17_E_NS1_11comp_targetILNS1_3genE0ELNS1_11target_archE4294967295ELNS1_3gpuE0ELNS1_3repE0EEENS1_30default_config_static_selectorELNS0_4arch9wavefront6targetE1EEEvT1_: ; @_ZN7rocprim17ROCPRIM_400000_NS6detail17trampoline_kernelINS0_14default_configENS1_25partition_config_selectorILNS1_17partition_subalgoE8ElNS0_10empty_typeEbEEZZNS1_14partition_implILS5_8ELb0ES3_jPlPS6_PKS6_NS0_5tupleIJS9_S6_EEENSD_IJSA_SA_EEENS0_18inequality_wrapperIZN2at6native12_GLOBAL__N_124unique_dim_cuda_templateItEESt5tupleIJNSH_6TensorESM_SM_EERKSM_lbbbEUlllE0_EEPmJS6_EEE10hipError_tPvRmT3_T4_T5_T6_T7_T9_mT8_P12ihipStream_tbDpT10_ENKUlT_T0_E_clISt17integral_constantIbLb0EES1B_IbLb1EEEEDaS17_S18_EUlS17_E_NS1_11comp_targetILNS1_3genE0ELNS1_11target_archE4294967295ELNS1_3gpuE0ELNS1_3repE0EEENS1_30default_config_static_selectorELNS0_4arch9wavefront6targetE1EEEvT1_
; %bb.0:
	.section	.rodata,"a",@progbits
	.p2align	6, 0x0
	.amdhsa_kernel _ZN7rocprim17ROCPRIM_400000_NS6detail17trampoline_kernelINS0_14default_configENS1_25partition_config_selectorILNS1_17partition_subalgoE8ElNS0_10empty_typeEbEEZZNS1_14partition_implILS5_8ELb0ES3_jPlPS6_PKS6_NS0_5tupleIJS9_S6_EEENSD_IJSA_SA_EEENS0_18inequality_wrapperIZN2at6native12_GLOBAL__N_124unique_dim_cuda_templateItEESt5tupleIJNSH_6TensorESM_SM_EERKSM_lbbbEUlllE0_EEPmJS6_EEE10hipError_tPvRmT3_T4_T5_T6_T7_T9_mT8_P12ihipStream_tbDpT10_ENKUlT_T0_E_clISt17integral_constantIbLb0EES1B_IbLb1EEEEDaS17_S18_EUlS17_E_NS1_11comp_targetILNS1_3genE0ELNS1_11target_archE4294967295ELNS1_3gpuE0ELNS1_3repE0EEENS1_30default_config_static_selectorELNS0_4arch9wavefront6targetE1EEEvT1_
		.amdhsa_group_segment_fixed_size 0
		.amdhsa_private_segment_fixed_size 0
		.amdhsa_kernarg_size 136
		.amdhsa_user_sgpr_count 2
		.amdhsa_user_sgpr_dispatch_ptr 0
		.amdhsa_user_sgpr_queue_ptr 0
		.amdhsa_user_sgpr_kernarg_segment_ptr 1
		.amdhsa_user_sgpr_dispatch_id 0
		.amdhsa_user_sgpr_kernarg_preload_length 0
		.amdhsa_user_sgpr_kernarg_preload_offset 0
		.amdhsa_user_sgpr_private_segment_size 0
		.amdhsa_uses_dynamic_stack 0
		.amdhsa_enable_private_segment 0
		.amdhsa_system_sgpr_workgroup_id_x 1
		.amdhsa_system_sgpr_workgroup_id_y 0
		.amdhsa_system_sgpr_workgroup_id_z 0
		.amdhsa_system_sgpr_workgroup_info 0
		.amdhsa_system_vgpr_workitem_id 0
		.amdhsa_next_free_vgpr 1
		.amdhsa_next_free_sgpr 0
		.amdhsa_accum_offset 4
		.amdhsa_reserve_vcc 0
		.amdhsa_float_round_mode_32 0
		.amdhsa_float_round_mode_16_64 0
		.amdhsa_float_denorm_mode_32 3
		.amdhsa_float_denorm_mode_16_64 3
		.amdhsa_dx10_clamp 1
		.amdhsa_ieee_mode 1
		.amdhsa_fp16_overflow 0
		.amdhsa_tg_split 0
		.amdhsa_exception_fp_ieee_invalid_op 0
		.amdhsa_exception_fp_denorm_src 0
		.amdhsa_exception_fp_ieee_div_zero 0
		.amdhsa_exception_fp_ieee_overflow 0
		.amdhsa_exception_fp_ieee_underflow 0
		.amdhsa_exception_fp_ieee_inexact 0
		.amdhsa_exception_int_div_zero 0
	.end_amdhsa_kernel
	.section	.text._ZN7rocprim17ROCPRIM_400000_NS6detail17trampoline_kernelINS0_14default_configENS1_25partition_config_selectorILNS1_17partition_subalgoE8ElNS0_10empty_typeEbEEZZNS1_14partition_implILS5_8ELb0ES3_jPlPS6_PKS6_NS0_5tupleIJS9_S6_EEENSD_IJSA_SA_EEENS0_18inequality_wrapperIZN2at6native12_GLOBAL__N_124unique_dim_cuda_templateItEESt5tupleIJNSH_6TensorESM_SM_EERKSM_lbbbEUlllE0_EEPmJS6_EEE10hipError_tPvRmT3_T4_T5_T6_T7_T9_mT8_P12ihipStream_tbDpT10_ENKUlT_T0_E_clISt17integral_constantIbLb0EES1B_IbLb1EEEEDaS17_S18_EUlS17_E_NS1_11comp_targetILNS1_3genE0ELNS1_11target_archE4294967295ELNS1_3gpuE0ELNS1_3repE0EEENS1_30default_config_static_selectorELNS0_4arch9wavefront6targetE1EEEvT1_,"axG",@progbits,_ZN7rocprim17ROCPRIM_400000_NS6detail17trampoline_kernelINS0_14default_configENS1_25partition_config_selectorILNS1_17partition_subalgoE8ElNS0_10empty_typeEbEEZZNS1_14partition_implILS5_8ELb0ES3_jPlPS6_PKS6_NS0_5tupleIJS9_S6_EEENSD_IJSA_SA_EEENS0_18inequality_wrapperIZN2at6native12_GLOBAL__N_124unique_dim_cuda_templateItEESt5tupleIJNSH_6TensorESM_SM_EERKSM_lbbbEUlllE0_EEPmJS6_EEE10hipError_tPvRmT3_T4_T5_T6_T7_T9_mT8_P12ihipStream_tbDpT10_ENKUlT_T0_E_clISt17integral_constantIbLb0EES1B_IbLb1EEEEDaS17_S18_EUlS17_E_NS1_11comp_targetILNS1_3genE0ELNS1_11target_archE4294967295ELNS1_3gpuE0ELNS1_3repE0EEENS1_30default_config_static_selectorELNS0_4arch9wavefront6targetE1EEEvT1_,comdat
.Lfunc_end1452:
	.size	_ZN7rocprim17ROCPRIM_400000_NS6detail17trampoline_kernelINS0_14default_configENS1_25partition_config_selectorILNS1_17partition_subalgoE8ElNS0_10empty_typeEbEEZZNS1_14partition_implILS5_8ELb0ES3_jPlPS6_PKS6_NS0_5tupleIJS9_S6_EEENSD_IJSA_SA_EEENS0_18inequality_wrapperIZN2at6native12_GLOBAL__N_124unique_dim_cuda_templateItEESt5tupleIJNSH_6TensorESM_SM_EERKSM_lbbbEUlllE0_EEPmJS6_EEE10hipError_tPvRmT3_T4_T5_T6_T7_T9_mT8_P12ihipStream_tbDpT10_ENKUlT_T0_E_clISt17integral_constantIbLb0EES1B_IbLb1EEEEDaS17_S18_EUlS17_E_NS1_11comp_targetILNS1_3genE0ELNS1_11target_archE4294967295ELNS1_3gpuE0ELNS1_3repE0EEENS1_30default_config_static_selectorELNS0_4arch9wavefront6targetE1EEEvT1_, .Lfunc_end1452-_ZN7rocprim17ROCPRIM_400000_NS6detail17trampoline_kernelINS0_14default_configENS1_25partition_config_selectorILNS1_17partition_subalgoE8ElNS0_10empty_typeEbEEZZNS1_14partition_implILS5_8ELb0ES3_jPlPS6_PKS6_NS0_5tupleIJS9_S6_EEENSD_IJSA_SA_EEENS0_18inequality_wrapperIZN2at6native12_GLOBAL__N_124unique_dim_cuda_templateItEESt5tupleIJNSH_6TensorESM_SM_EERKSM_lbbbEUlllE0_EEPmJS6_EEE10hipError_tPvRmT3_T4_T5_T6_T7_T9_mT8_P12ihipStream_tbDpT10_ENKUlT_T0_E_clISt17integral_constantIbLb0EES1B_IbLb1EEEEDaS17_S18_EUlS17_E_NS1_11comp_targetILNS1_3genE0ELNS1_11target_archE4294967295ELNS1_3gpuE0ELNS1_3repE0EEENS1_30default_config_static_selectorELNS0_4arch9wavefront6targetE1EEEvT1_
                                        ; -- End function
	.section	.AMDGPU.csdata,"",@progbits
; Kernel info:
; codeLenInByte = 0
; NumSgprs: 6
; NumVgprs: 0
; NumAgprs: 0
; TotalNumVgprs: 0
; ScratchSize: 0
; MemoryBound: 0
; FloatMode: 240
; IeeeMode: 1
; LDSByteSize: 0 bytes/workgroup (compile time only)
; SGPRBlocks: 0
; VGPRBlocks: 0
; NumSGPRsForWavesPerEU: 6
; NumVGPRsForWavesPerEU: 1
; AccumOffset: 4
; Occupancy: 8
; WaveLimiterHint : 0
; COMPUTE_PGM_RSRC2:SCRATCH_EN: 0
; COMPUTE_PGM_RSRC2:USER_SGPR: 2
; COMPUTE_PGM_RSRC2:TRAP_HANDLER: 0
; COMPUTE_PGM_RSRC2:TGID_X_EN: 1
; COMPUTE_PGM_RSRC2:TGID_Y_EN: 0
; COMPUTE_PGM_RSRC2:TGID_Z_EN: 0
; COMPUTE_PGM_RSRC2:TIDIG_COMP_CNT: 0
; COMPUTE_PGM_RSRC3_GFX90A:ACCUM_OFFSET: 0
; COMPUTE_PGM_RSRC3_GFX90A:TG_SPLIT: 0
	.section	.text._ZN7rocprim17ROCPRIM_400000_NS6detail17trampoline_kernelINS0_14default_configENS1_25partition_config_selectorILNS1_17partition_subalgoE8ElNS0_10empty_typeEbEEZZNS1_14partition_implILS5_8ELb0ES3_jPlPS6_PKS6_NS0_5tupleIJS9_S6_EEENSD_IJSA_SA_EEENS0_18inequality_wrapperIZN2at6native12_GLOBAL__N_124unique_dim_cuda_templateItEESt5tupleIJNSH_6TensorESM_SM_EERKSM_lbbbEUlllE0_EEPmJS6_EEE10hipError_tPvRmT3_T4_T5_T6_T7_T9_mT8_P12ihipStream_tbDpT10_ENKUlT_T0_E_clISt17integral_constantIbLb0EES1B_IbLb1EEEEDaS17_S18_EUlS17_E_NS1_11comp_targetILNS1_3genE5ELNS1_11target_archE942ELNS1_3gpuE9ELNS1_3repE0EEENS1_30default_config_static_selectorELNS0_4arch9wavefront6targetE1EEEvT1_,"axG",@progbits,_ZN7rocprim17ROCPRIM_400000_NS6detail17trampoline_kernelINS0_14default_configENS1_25partition_config_selectorILNS1_17partition_subalgoE8ElNS0_10empty_typeEbEEZZNS1_14partition_implILS5_8ELb0ES3_jPlPS6_PKS6_NS0_5tupleIJS9_S6_EEENSD_IJSA_SA_EEENS0_18inequality_wrapperIZN2at6native12_GLOBAL__N_124unique_dim_cuda_templateItEESt5tupleIJNSH_6TensorESM_SM_EERKSM_lbbbEUlllE0_EEPmJS6_EEE10hipError_tPvRmT3_T4_T5_T6_T7_T9_mT8_P12ihipStream_tbDpT10_ENKUlT_T0_E_clISt17integral_constantIbLb0EES1B_IbLb1EEEEDaS17_S18_EUlS17_E_NS1_11comp_targetILNS1_3genE5ELNS1_11target_archE942ELNS1_3gpuE9ELNS1_3repE0EEENS1_30default_config_static_selectorELNS0_4arch9wavefront6targetE1EEEvT1_,comdat
	.globl	_ZN7rocprim17ROCPRIM_400000_NS6detail17trampoline_kernelINS0_14default_configENS1_25partition_config_selectorILNS1_17partition_subalgoE8ElNS0_10empty_typeEbEEZZNS1_14partition_implILS5_8ELb0ES3_jPlPS6_PKS6_NS0_5tupleIJS9_S6_EEENSD_IJSA_SA_EEENS0_18inequality_wrapperIZN2at6native12_GLOBAL__N_124unique_dim_cuda_templateItEESt5tupleIJNSH_6TensorESM_SM_EERKSM_lbbbEUlllE0_EEPmJS6_EEE10hipError_tPvRmT3_T4_T5_T6_T7_T9_mT8_P12ihipStream_tbDpT10_ENKUlT_T0_E_clISt17integral_constantIbLb0EES1B_IbLb1EEEEDaS17_S18_EUlS17_E_NS1_11comp_targetILNS1_3genE5ELNS1_11target_archE942ELNS1_3gpuE9ELNS1_3repE0EEENS1_30default_config_static_selectorELNS0_4arch9wavefront6targetE1EEEvT1_ ; -- Begin function _ZN7rocprim17ROCPRIM_400000_NS6detail17trampoline_kernelINS0_14default_configENS1_25partition_config_selectorILNS1_17partition_subalgoE8ElNS0_10empty_typeEbEEZZNS1_14partition_implILS5_8ELb0ES3_jPlPS6_PKS6_NS0_5tupleIJS9_S6_EEENSD_IJSA_SA_EEENS0_18inequality_wrapperIZN2at6native12_GLOBAL__N_124unique_dim_cuda_templateItEESt5tupleIJNSH_6TensorESM_SM_EERKSM_lbbbEUlllE0_EEPmJS6_EEE10hipError_tPvRmT3_T4_T5_T6_T7_T9_mT8_P12ihipStream_tbDpT10_ENKUlT_T0_E_clISt17integral_constantIbLb0EES1B_IbLb1EEEEDaS17_S18_EUlS17_E_NS1_11comp_targetILNS1_3genE5ELNS1_11target_archE942ELNS1_3gpuE9ELNS1_3repE0EEENS1_30default_config_static_selectorELNS0_4arch9wavefront6targetE1EEEvT1_
	.p2align	8
	.type	_ZN7rocprim17ROCPRIM_400000_NS6detail17trampoline_kernelINS0_14default_configENS1_25partition_config_selectorILNS1_17partition_subalgoE8ElNS0_10empty_typeEbEEZZNS1_14partition_implILS5_8ELb0ES3_jPlPS6_PKS6_NS0_5tupleIJS9_S6_EEENSD_IJSA_SA_EEENS0_18inequality_wrapperIZN2at6native12_GLOBAL__N_124unique_dim_cuda_templateItEESt5tupleIJNSH_6TensorESM_SM_EERKSM_lbbbEUlllE0_EEPmJS6_EEE10hipError_tPvRmT3_T4_T5_T6_T7_T9_mT8_P12ihipStream_tbDpT10_ENKUlT_T0_E_clISt17integral_constantIbLb0EES1B_IbLb1EEEEDaS17_S18_EUlS17_E_NS1_11comp_targetILNS1_3genE5ELNS1_11target_archE942ELNS1_3gpuE9ELNS1_3repE0EEENS1_30default_config_static_selectorELNS0_4arch9wavefront6targetE1EEEvT1_,@function
_ZN7rocprim17ROCPRIM_400000_NS6detail17trampoline_kernelINS0_14default_configENS1_25partition_config_selectorILNS1_17partition_subalgoE8ElNS0_10empty_typeEbEEZZNS1_14partition_implILS5_8ELb0ES3_jPlPS6_PKS6_NS0_5tupleIJS9_S6_EEENSD_IJSA_SA_EEENS0_18inequality_wrapperIZN2at6native12_GLOBAL__N_124unique_dim_cuda_templateItEESt5tupleIJNSH_6TensorESM_SM_EERKSM_lbbbEUlllE0_EEPmJS6_EEE10hipError_tPvRmT3_T4_T5_T6_T7_T9_mT8_P12ihipStream_tbDpT10_ENKUlT_T0_E_clISt17integral_constantIbLb0EES1B_IbLb1EEEEDaS17_S18_EUlS17_E_NS1_11comp_targetILNS1_3genE5ELNS1_11target_archE942ELNS1_3gpuE9ELNS1_3repE0EEENS1_30default_config_static_selectorELNS0_4arch9wavefront6targetE1EEEvT1_: ; @_ZN7rocprim17ROCPRIM_400000_NS6detail17trampoline_kernelINS0_14default_configENS1_25partition_config_selectorILNS1_17partition_subalgoE8ElNS0_10empty_typeEbEEZZNS1_14partition_implILS5_8ELb0ES3_jPlPS6_PKS6_NS0_5tupleIJS9_S6_EEENSD_IJSA_SA_EEENS0_18inequality_wrapperIZN2at6native12_GLOBAL__N_124unique_dim_cuda_templateItEESt5tupleIJNSH_6TensorESM_SM_EERKSM_lbbbEUlllE0_EEPmJS6_EEE10hipError_tPvRmT3_T4_T5_T6_T7_T9_mT8_P12ihipStream_tbDpT10_ENKUlT_T0_E_clISt17integral_constantIbLb0EES1B_IbLb1EEEEDaS17_S18_EUlS17_E_NS1_11comp_targetILNS1_3genE5ELNS1_11target_archE942ELNS1_3gpuE9ELNS1_3repE0EEENS1_30default_config_static_selectorELNS0_4arch9wavefront6targetE1EEEvT1_
; %bb.0:
	s_load_dwordx2 s[34:35], s[0:1], 0x28
	s_load_dwordx8 s[20:27], s[0:1], 0x40
	s_load_dwordx4 s[28:31], s[0:1], 0x60
	v_cmp_ne_u32_e64 s[2:3], 0, v0
	v_cmp_eq_u32_e64 s[18:19], 0, v0
	s_and_saveexec_b64 s[4:5], s[18:19]
	s_cbranch_execz .LBB1453_4
; %bb.1:
	s_mov_b64 s[8:9], exec
	v_mbcnt_lo_u32_b32 v1, s8, 0
	v_mbcnt_hi_u32_b32 v1, s9, v1
	v_cmp_eq_u32_e32 vcc, 0, v1
                                        ; implicit-def: $vgpr2
	s_and_saveexec_b64 s[6:7], vcc
	s_cbranch_execz .LBB1453_3
; %bb.2:
	s_load_dwordx2 s[10:11], s[0:1], 0x78
	s_bcnt1_i32_b64 s8, s[8:9]
	v_mov_b32_e32 v2, 0
	v_mov_b32_e32 v3, s8
	s_waitcnt lgkmcnt(0)
	global_atomic_add v2, v2, v3, s[10:11] sc0
.LBB1453_3:
	s_or_b64 exec, exec, s[6:7]
	s_waitcnt vmcnt(0)
	v_readfirstlane_b32 s6, v2
	v_mov_b32_e32 v2, 0
	s_nop 0
	v_add_u32_e32 v1, s6, v1
	ds_write_b32 v2, v1
.LBB1453_4:
	s_or_b64 exec, exec, s[4:5]
	v_mov_b32_e32 v3, 0
	s_load_dwordx4 s[4:7], s[0:1], 0x8
	s_load_dword s10, s[0:1], 0x70
	s_waitcnt lgkmcnt(0)
	s_barrier
	ds_read_b32 v1, v3
	s_waitcnt lgkmcnt(0)
	s_barrier
	global_load_dwordx2 v[4:5], v3, s[22:23]
	s_lshl_b64 s[0:1], s[6:7], 3
	s_mul_i32 s12, s10, 0xe00
	s_add_u32 s0, s4, s0
	s_addc_u32 s1, s5, s1
	s_add_i32 s4, s12, s6
	s_add_i32 s10, s10, -1
	s_sub_i32 s52, s24, s4
	s_add_u32 s4, s6, s12
	s_movk_i32 s11, 0xe00
	s_addc_u32 s5, s7, 0
	v_readfirstlane_b32 s33, v1
	v_mov_b32_e32 v6, s24
	v_mov_b32_e32 v7, s25
	v_mul_lo_u32 v2, v1, s11
	s_cmp_eq_u32 s33, s10
	v_cmp_ge_u64_e32 vcc, s[4:5], v[6:7]
	v_lshlrev_b64 v[6:7], 3, v[2:3]
	s_cselect_b64 s[24:25], -1, 0
	v_lshl_add_u64 v[18:19], s[0:1], 0, v[6:7]
	s_and_b64 s[0:1], vcc, s[24:25]
	s_xor_b64 s[36:37], s[0:1], -1
	s_mov_b64 s[8:9], -1
	s_and_b64 vcc, exec, s[36:37]
	s_waitcnt vmcnt(0)
	v_readfirstlane_b32 s22, v4
	v_readfirstlane_b32 s23, v5
	s_cbranch_vccz .LBB1453_6
; %bb.5:
	v_lshlrev_b32_e32 v2, 3, v0
	v_lshl_add_u64 v[4:5], v[18:19], 0, v[2:3]
	v_add_co_u32_e32 v8, vcc, 0x1000, v4
	v_readfirstlane_b32 s4, v18
	s_nop 0
	v_addc_co_u32_e32 v9, vcc, 0, v5, vcc
	v_add_co_u32_e32 v10, vcc, 0x2000, v4
	v_readfirstlane_b32 s5, v19
	s_nop 0
	v_addc_co_u32_e32 v11, vcc, 0, v5, vcc
	v_add_co_u32_e32 v12, vcc, 0x3000, v4
	s_mov_b64 s[8:9], 0
	s_nop 0
	v_addc_co_u32_e32 v13, vcc, 0, v5, vcc
	v_add_co_u32_e32 v14, vcc, 0x4000, v4
	global_load_dwordx2 v[6:7], v2, s[4:5]
	s_nop 0
	v_addc_co_u32_e32 v15, vcc, 0, v5, vcc
	global_load_dwordx2 v[16:17], v[8:9], off
	global_load_dwordx2 v[20:21], v[10:11], off
	;; [unrolled: 1-line block ×4, first 2 shown]
	v_add_co_u32_e32 v8, vcc, 0x5000, v4
	s_nop 1
	v_addc_co_u32_e32 v9, vcc, 0, v5, vcc
	v_add_co_u32_e32 v4, vcc, 0x6000, v4
	global_load_dwordx2 v[8:9], v[8:9], off
	s_nop 0
	v_addc_co_u32_e32 v5, vcc, 0, v5, vcc
	global_load_dwordx2 v[4:5], v[4:5], off
	s_waitcnt vmcnt(5)
	ds_write2st64_b64 v2, v[6:7], v[16:17] offset1:8
	s_waitcnt vmcnt(3)
	ds_write2st64_b64 v2, v[20:21], v[22:23] offset0:16 offset1:24
	s_waitcnt vmcnt(1)
	ds_write2st64_b64 v2, v[24:25], v[8:9] offset0:32 offset1:40
	s_waitcnt vmcnt(0)
	ds_write_b64 v2, v[4:5] offset:24576
	s_waitcnt lgkmcnt(0)
	s_barrier
.LBB1453_6:
	s_andn2_b64 vcc, exec, s[8:9]
	s_addk_i32 s52, 0xe00
	s_cbranch_vccnz .LBB1453_22
; %bb.7:
	v_cmp_gt_u32_e32 vcc, s52, v0
                                        ; implicit-def: $vgpr2_vgpr3_vgpr4_vgpr5_vgpr6_vgpr7_vgpr8_vgpr9_vgpr10_vgpr11_vgpr12_vgpr13_vgpr14_vgpr15_vgpr16_vgpr17
	s_and_saveexec_b64 s[4:5], vcc
	s_cbranch_execz .LBB1453_9
; %bb.8:
	v_lshlrev_b32_e32 v1, 3, v0
	v_readfirstlane_b32 s8, v18
	v_readfirstlane_b32 s9, v19
	s_nop 4
	global_load_dwordx2 v[2:3], v1, s[8:9]
.LBB1453_9:
	s_or_b64 exec, exec, s[4:5]
	v_or_b32_e32 v1, 0x200, v0
	v_cmp_gt_u32_e32 vcc, s52, v1
	s_and_saveexec_b64 s[4:5], vcc
	s_cbranch_execz .LBB1453_11
; %bb.10:
	v_lshlrev_b32_e32 v1, 3, v1
	v_readfirstlane_b32 s8, v18
	v_readfirstlane_b32 s9, v19
	s_nop 4
	global_load_dwordx2 v[4:5], v1, s[8:9]
.LBB1453_11:
	s_or_b64 exec, exec, s[4:5]
	v_or_b32_e32 v1, 0x400, v0
	v_cmp_gt_u32_e32 vcc, s52, v1
	;; [unrolled: 12-line block ×6, first 2 shown]
	s_and_saveexec_b64 s[4:5], vcc
	s_cbranch_execz .LBB1453_21
; %bb.20:
	v_lshlrev_b32_e32 v1, 3, v1
	v_readfirstlane_b32 s8, v18
	v_readfirstlane_b32 s9, v19
	s_nop 4
	global_load_dwordx2 v[14:15], v1, s[8:9]
.LBB1453_21:
	s_or_b64 exec, exec, s[4:5]
	v_lshlrev_b32_e32 v1, 3, v0
	s_waitcnt vmcnt(0)
	ds_write2st64_b64 v1, v[2:3], v[4:5] offset1:8
	ds_write2st64_b64 v1, v[6:7], v[8:9] offset0:16 offset1:24
	ds_write2st64_b64 v1, v[10:11], v[12:13] offset0:32 offset1:40
	ds_write_b64 v1, v[14:15] offset:24576
	s_waitcnt lgkmcnt(0)
	s_barrier
.LBB1453_22:
	v_mul_u32_u24_e32 v1, 7, v0
	v_lshlrev_b32_e32 v32, 3, v1
	ds_read2_b64 v[10:13], v32 offset1:1
	ds_read2_b64 v[6:9], v32 offset0:2 offset1:3
	ds_read2_b64 v[2:5], v32 offset0:4 offset1:5
	ds_read_b64 v[14:15], v32 offset:48
	s_cmp_lg_u32 s33, 0
	s_cselect_b64 s[16:17], -1, 0
	s_cmp_lg_u64 s[6:7], 0
	s_cselect_b64 s[4:5], -1, 0
	s_or_b64 s[4:5], s[4:5], s[16:17]
	v_mad_u32_u24 v27, v0, 7, 1
	v_mad_u32_u24 v26, v0, 7, 2
	;; [unrolled: 1-line block ×6, first 2 shown]
	s_mov_b64 s[8:9], 0
	s_and_b64 vcc, exec, s[4:5]
	v_cmp_gt_i64_e64 s[4:5], s[26:27], 0
	s_waitcnt lgkmcnt(0)
	s_barrier
	s_cbranch_vccz .LBB1453_31
; %bb.23:
	global_load_dwordx2 v[16:17], v[18:19], off offset:-8
	v_cndmask_b32_e64 v18, 0, 1, s[4:5]
	v_lshlrev_b32_e32 v33, 3, v0
	s_mov_b64 s[6:7], 0
	s_and_b64 vcc, exec, s[36:37]
	v_cmp_ne_u32_e64 s[4:5], 1, v18
	ds_write_b64 v33, v[14:15]
	s_cbranch_vccz .LBB1453_33
; %bb.24:
	v_mul_lo_u32 v20, v5, s26
	v_mul_lo_u32 v21, v4, s27
	v_mad_u64_u32 v[18:19], s[8:9], v4, s26, 0
	v_add3_u32 v19, v19, v21, v20
	s_and_b64 vcc, exec, s[4:5]
	v_lshl_add_u64 v[18:19], v[18:19], 1, s[28:29]
	s_cbranch_vccnz .LBB1453_36
; %bb.25:
	v_mul_lo_u32 v22, v15, s26
	v_mul_lo_u32 v23, v14, s27
	v_mad_u64_u32 v[20:21], s[6:7], v14, s26, 0
	v_add3_u32 v21, v21, v23, v22
	v_lshl_add_u64 v[20:21], v[20:21], 1, s[28:29]
	global_load_ushort v22, v[18:19], off
	global_load_ushort v23, v[20:21], off
	s_mov_b64 s[6:7], -1
	s_waitcnt vmcnt(0)
	v_cmp_eq_u16_e32 vcc, v22, v23
	s_and_saveexec_b64 s[8:9], vcc
	s_cbranch_execz .LBB1453_35
; %bb.26:
	s_add_u32 s6, s26, -1
	v_lshl_add_u64 v[20:21], v[20:21], 0, 2
	v_lshl_add_u64 v[22:23], v[18:19], 0, 2
	s_addc_u32 s7, s27, -1
	s_mov_b64 s[10:11], 0
	s_mov_b64 s[14:15], 0
                                        ; implicit-def: $sgpr12_sgpr13
	s_branch .LBB1453_29
.LBB1453_27:                            ;   in Loop: Header=BB1453_29 Depth=1
	global_load_ushort v24, v[22:23], off
	global_load_ushort v25, v[20:21], off
	s_add_u32 s14, s14, 1
	s_addc_u32 s15, s15, 0
	s_andn2_b64 s[12:13], s[12:13], exec
	v_lshl_add_u64 v[20:21], v[20:21], 0, 2
	v_lshl_add_u64 v[22:23], v[22:23], 0, 2
	s_waitcnt vmcnt(0)
	v_cmp_ne_u16_e32 vcc, v24, v25
	s_and_b64 s[38:39], vcc, exec
	s_or_b64 s[12:13], s[12:13], s[38:39]
.LBB1453_28:                            ;   in Loop: Header=BB1453_29 Depth=1
	s_and_b64 s[38:39], exec, s[12:13]
	s_or_b64 s[10:11], s[38:39], s[10:11]
	v_mov_b64_e32 v[24:25], s[14:15]
	s_andn2_b64 exec, exec, s[10:11]
	s_cbranch_execz .LBB1453_34
.LBB1453_29:                            ; =>This Inner Loop Header: Depth=1
	s_or_b64 s[12:13], s[12:13], exec
	s_cmp_eq_u64 s[6:7], s[14:15]
	s_cbranch_scc0 .LBB1453_27
; %bb.30:                               ;   in Loop: Header=BB1453_29 Depth=1
                                        ; implicit-def: $vgpr20_vgpr21
                                        ; implicit-def: $vgpr22_vgpr23
	s_mov_b64 s[14:15], s[26:27]
	s_branch .LBB1453_28
.LBB1453_31:
                                        ; implicit-def: $sgpr12_sgpr13
                                        ; implicit-def: $vgpr35
                                        ; implicit-def: $vgpr34
                                        ; implicit-def: $vgpr25
                                        ; implicit-def: $vgpr20
	s_branch .LBB1453_174
.LBB1453_32:
                                        ; implicit-def: $vgpr16_vgpr17
	s_branch .LBB1453_322
.LBB1453_33:
                                        ; implicit-def: $sgpr12_sgpr13
                                        ; implicit-def: $vgpr35
                                        ; implicit-def: $vgpr34
                                        ; implicit-def: $vgpr25
                                        ; implicit-def: $vgpr20
	s_cbranch_execnz .LBB1453_93
	s_branch .LBB1453_173
.LBB1453_34:
	s_or_b64 exec, exec, s[10:11]
	v_cmp_gt_i64_e32 vcc, s[26:27], v[24:25]
	s_orn2_b64 s[6:7], vcc, exec
.LBB1453_35:
	s_or_b64 exec, exec, s[8:9]
.LBB1453_36:
	v_mul_lo_u32 v22, v3, s26
	v_mul_lo_u32 v23, v2, s27
	v_mad_u64_u32 v[20:21], s[8:9], v2, s26, 0
	v_add3_u32 v21, v21, v23, v22
	s_mov_b64 s[8:9], 0
	s_and_b64 vcc, exec, s[4:5]
	v_lshl_add_u64 v[20:21], v[20:21], 1, s[28:29]
	s_mov_b64 s[10:11], 0
	s_cbranch_vccnz .LBB1453_45
; %bb.37:
	global_load_ushort v22, v[20:21], off
	global_load_ushort v23, v[18:19], off
	s_mov_b64 s[10:11], -1
	s_waitcnt vmcnt(0)
	v_cmp_eq_u16_e32 vcc, v22, v23
	s_and_saveexec_b64 s[12:13], vcc
	s_cbranch_execz .LBB1453_44
; %bb.38:
	s_add_u32 s10, s26, -1
	v_lshl_add_u64 v[18:19], v[18:19], 0, 2
	v_lshl_add_u64 v[22:23], v[20:21], 0, 2
	s_addc_u32 s11, s27, -1
	s_mov_b64 s[14:15], 0
	s_mov_b64 s[40:41], 0
                                        ; implicit-def: $sgpr38_sgpr39
	s_branch .LBB1453_41
.LBB1453_39:                            ;   in Loop: Header=BB1453_41 Depth=1
	global_load_ushort v24, v[22:23], off
	global_load_ushort v25, v[18:19], off
	s_add_u32 s40, s40, 1
	s_addc_u32 s41, s41, 0
	s_andn2_b64 s[38:39], s[38:39], exec
	v_lshl_add_u64 v[18:19], v[18:19], 0, 2
	v_lshl_add_u64 v[22:23], v[22:23], 0, 2
	s_waitcnt vmcnt(0)
	v_cmp_ne_u16_e32 vcc, v24, v25
	s_and_b64 s[42:43], vcc, exec
	s_or_b64 s[38:39], s[38:39], s[42:43]
.LBB1453_40:                            ;   in Loop: Header=BB1453_41 Depth=1
	s_and_b64 s[42:43], exec, s[38:39]
	s_or_b64 s[14:15], s[42:43], s[14:15]
	v_mov_b64_e32 v[24:25], s[40:41]
	s_andn2_b64 exec, exec, s[14:15]
	s_cbranch_execz .LBB1453_43
.LBB1453_41:                            ; =>This Inner Loop Header: Depth=1
	s_or_b64 s[38:39], s[38:39], exec
	s_cmp_eq_u64 s[10:11], s[40:41]
	s_cbranch_scc0 .LBB1453_39
; %bb.42:                               ;   in Loop: Header=BB1453_41 Depth=1
                                        ; implicit-def: $vgpr18_vgpr19
                                        ; implicit-def: $vgpr22_vgpr23
	s_mov_b64 s[40:41], s[26:27]
	s_branch .LBB1453_40
.LBB1453_43:
	s_or_b64 exec, exec, s[14:15]
	v_cmp_gt_i64_e32 vcc, s[26:27], v[24:25]
	s_orn2_b64 s[10:11], vcc, exec
.LBB1453_44:
	s_or_b64 exec, exec, s[12:13]
.LBB1453_45:
	v_mul_lo_u32 v22, v9, s26
	v_mul_lo_u32 v23, v8, s27
	v_mad_u64_u32 v[18:19], s[12:13], v8, s26, 0
	v_add3_u32 v19, v19, v23, v22
	s_and_b64 vcc, exec, s[4:5]
	v_lshl_add_u64 v[18:19], v[18:19], 1, s[28:29]
	s_cbranch_vccnz .LBB1453_54
; %bb.46:
	global_load_ushort v22, v[18:19], off
	global_load_ushort v23, v[20:21], off
	s_mov_b64 s[8:9], -1
	s_waitcnt vmcnt(0)
	v_cmp_eq_u16_e32 vcc, v22, v23
	s_and_saveexec_b64 s[12:13], vcc
	s_cbranch_execz .LBB1453_53
; %bb.47:
	s_add_u32 s8, s26, -1
	v_lshl_add_u64 v[20:21], v[20:21], 0, 2
	v_lshl_add_u64 v[22:23], v[18:19], 0, 2
	s_addc_u32 s9, s27, -1
	s_mov_b64 s[14:15], 0
	s_mov_b64 s[40:41], 0
                                        ; implicit-def: $sgpr38_sgpr39
	s_branch .LBB1453_50
.LBB1453_48:                            ;   in Loop: Header=BB1453_50 Depth=1
	global_load_ushort v24, v[22:23], off
	global_load_ushort v25, v[20:21], off
	s_add_u32 s40, s40, 1
	s_addc_u32 s41, s41, 0
	s_andn2_b64 s[38:39], s[38:39], exec
	v_lshl_add_u64 v[20:21], v[20:21], 0, 2
	v_lshl_add_u64 v[22:23], v[22:23], 0, 2
	s_waitcnt vmcnt(0)
	v_cmp_ne_u16_e32 vcc, v24, v25
	s_and_b64 s[42:43], vcc, exec
	s_or_b64 s[38:39], s[38:39], s[42:43]
.LBB1453_49:                            ;   in Loop: Header=BB1453_50 Depth=1
	s_and_b64 s[42:43], exec, s[38:39]
	s_or_b64 s[14:15], s[42:43], s[14:15]
	v_mov_b64_e32 v[24:25], s[40:41]
	s_andn2_b64 exec, exec, s[14:15]
	s_cbranch_execz .LBB1453_52
.LBB1453_50:                            ; =>This Inner Loop Header: Depth=1
	s_or_b64 s[38:39], s[38:39], exec
	s_cmp_eq_u64 s[8:9], s[40:41]
	s_cbranch_scc0 .LBB1453_48
; %bb.51:                               ;   in Loop: Header=BB1453_50 Depth=1
                                        ; implicit-def: $vgpr20_vgpr21
                                        ; implicit-def: $vgpr22_vgpr23
	s_mov_b64 s[40:41], s[26:27]
	s_branch .LBB1453_49
.LBB1453_52:
	s_or_b64 exec, exec, s[14:15]
	v_cmp_gt_i64_e32 vcc, s[26:27], v[24:25]
	s_orn2_b64 s[8:9], vcc, exec
.LBB1453_53:
	s_or_b64 exec, exec, s[12:13]
.LBB1453_54:
	v_mul_lo_u32 v22, v7, s26
	v_mul_lo_u32 v23, v6, s27
	v_mad_u64_u32 v[20:21], s[12:13], v6, s26, 0
	v_add3_u32 v21, v21, v23, v22
	s_mov_b64 s[12:13], 0
	s_and_b64 vcc, exec, s[4:5]
	v_lshl_add_u64 v[22:23], v[20:21], 1, s[28:29]
	s_mov_b64 s[14:15], 0
	s_cbranch_vccnz .LBB1453_63
; %bb.55:
	global_load_ushort v20, v[22:23], off
	global_load_ushort v21, v[18:19], off
	s_mov_b64 s[14:15], -1
	s_waitcnt vmcnt(0)
	v_cmp_eq_u16_e32 vcc, v20, v21
	s_and_saveexec_b64 s[38:39], vcc
	s_cbranch_execz .LBB1453_62
; %bb.56:
	s_add_u32 s14, s26, -1
	v_lshl_add_u64 v[18:19], v[18:19], 0, 2
	v_lshl_add_u64 v[20:21], v[22:23], 0, 2
	s_addc_u32 s15, s27, -1
	s_mov_b64 s[40:41], 0
	s_mov_b64 s[44:45], 0
                                        ; implicit-def: $sgpr42_sgpr43
	s_branch .LBB1453_59
.LBB1453_57:                            ;   in Loop: Header=BB1453_59 Depth=1
	global_load_ushort v24, v[20:21], off
	global_load_ushort v25, v[18:19], off
	s_add_u32 s44, s44, 1
	s_addc_u32 s45, s45, 0
	s_andn2_b64 s[42:43], s[42:43], exec
	v_lshl_add_u64 v[18:19], v[18:19], 0, 2
	v_lshl_add_u64 v[20:21], v[20:21], 0, 2
	s_waitcnt vmcnt(0)
	v_cmp_ne_u16_e32 vcc, v24, v25
	s_and_b64 s[46:47], vcc, exec
	s_or_b64 s[42:43], s[42:43], s[46:47]
.LBB1453_58:                            ;   in Loop: Header=BB1453_59 Depth=1
	s_and_b64 s[46:47], exec, s[42:43]
	s_or_b64 s[40:41], s[46:47], s[40:41]
	v_mov_b64_e32 v[24:25], s[44:45]
	s_andn2_b64 exec, exec, s[40:41]
	s_cbranch_execz .LBB1453_61
.LBB1453_59:                            ; =>This Inner Loop Header: Depth=1
	s_or_b64 s[42:43], s[42:43], exec
	s_cmp_eq_u64 s[14:15], s[44:45]
	s_cbranch_scc0 .LBB1453_57
; %bb.60:                               ;   in Loop: Header=BB1453_59 Depth=1
                                        ; implicit-def: $vgpr18_vgpr19
                                        ; implicit-def: $vgpr20_vgpr21
	s_mov_b64 s[44:45], s[26:27]
	s_branch .LBB1453_58
.LBB1453_61:
	s_or_b64 exec, exec, s[40:41]
	v_cmp_gt_i64_e32 vcc, s[26:27], v[24:25]
	s_orn2_b64 s[14:15], vcc, exec
.LBB1453_62:
	s_or_b64 exec, exec, s[38:39]
.LBB1453_63:
	v_mul_lo_u32 v20, v13, s26
	v_mul_lo_u32 v21, v12, s27
	v_mad_u64_u32 v[18:19], s[38:39], v12, s26, 0
	v_add3_u32 v19, v19, v21, v20
	s_and_b64 vcc, exec, s[4:5]
	v_lshl_add_u64 v[20:21], v[18:19], 1, s[28:29]
	s_cbranch_vccnz .LBB1453_72
; %bb.64:
	global_load_ushort v18, v[20:21], off
	global_load_ushort v19, v[22:23], off
	s_mov_b64 s[12:13], -1
	s_waitcnt vmcnt(0)
	v_cmp_eq_u16_e32 vcc, v18, v19
	s_and_saveexec_b64 s[38:39], vcc
	s_cbranch_execz .LBB1453_71
; %bb.65:
	s_add_u32 s12, s26, -1
	v_lshl_add_u64 v[18:19], v[22:23], 0, 2
	v_lshl_add_u64 v[22:23], v[20:21], 0, 2
	s_addc_u32 s13, s27, -1
	s_mov_b64 s[40:41], 0
	s_mov_b64 s[44:45], 0
                                        ; implicit-def: $sgpr42_sgpr43
	s_branch .LBB1453_68
.LBB1453_66:                            ;   in Loop: Header=BB1453_68 Depth=1
	global_load_ushort v24, v[22:23], off
	global_load_ushort v25, v[18:19], off
	s_add_u32 s44, s44, 1
	s_addc_u32 s45, s45, 0
	s_andn2_b64 s[42:43], s[42:43], exec
	v_lshl_add_u64 v[18:19], v[18:19], 0, 2
	v_lshl_add_u64 v[22:23], v[22:23], 0, 2
	s_waitcnt vmcnt(0)
	v_cmp_ne_u16_e32 vcc, v24, v25
	s_and_b64 s[46:47], vcc, exec
	s_or_b64 s[42:43], s[42:43], s[46:47]
.LBB1453_67:                            ;   in Loop: Header=BB1453_68 Depth=1
	s_and_b64 s[46:47], exec, s[42:43]
	s_or_b64 s[40:41], s[46:47], s[40:41]
	v_mov_b64_e32 v[24:25], s[44:45]
	s_andn2_b64 exec, exec, s[40:41]
	s_cbranch_execz .LBB1453_70
.LBB1453_68:                            ; =>This Inner Loop Header: Depth=1
	s_or_b64 s[42:43], s[42:43], exec
	s_cmp_eq_u64 s[12:13], s[44:45]
	s_cbranch_scc0 .LBB1453_66
; %bb.69:                               ;   in Loop: Header=BB1453_68 Depth=1
                                        ; implicit-def: $vgpr18_vgpr19
                                        ; implicit-def: $vgpr22_vgpr23
	s_mov_b64 s[44:45], s[26:27]
	s_branch .LBB1453_67
.LBB1453_70:
	s_or_b64 exec, exec, s[40:41]
	v_cmp_gt_i64_e32 vcc, s[26:27], v[24:25]
	s_orn2_b64 s[12:13], vcc, exec
.LBB1453_71:
	s_or_b64 exec, exec, s[38:39]
.LBB1453_72:
	v_mul_lo_u32 v22, v11, s26
	v_mul_lo_u32 v23, v10, s27
	v_mad_u64_u32 v[18:19], s[38:39], v10, s26, 0
	v_add3_u32 v19, v19, v23, v22
	s_mov_b64 s[40:41], 0
	s_and_b64 vcc, exec, s[4:5]
	v_lshl_add_u64 v[18:19], v[18:19], 1, s[28:29]
	s_cbranch_vccnz .LBB1453_81
; %bb.73:
	global_load_ushort v22, v[18:19], off
	global_load_ushort v23, v[20:21], off
	s_mov_b64 s[40:41], -1
	s_waitcnt vmcnt(0)
	v_cmp_eq_u16_e32 vcc, v22, v23
	s_and_saveexec_b64 s[38:39], vcc
	s_cbranch_execz .LBB1453_80
; %bb.74:
	s_add_u32 s40, s26, -1
	v_lshl_add_u64 v[20:21], v[20:21], 0, 2
	v_lshl_add_u64 v[22:23], v[18:19], 0, 2
	s_addc_u32 s41, s27, -1
	s_mov_b64 s[42:43], 0
	s_mov_b64 s[46:47], 0
                                        ; implicit-def: $sgpr44_sgpr45
	s_branch .LBB1453_77
.LBB1453_75:                            ;   in Loop: Header=BB1453_77 Depth=1
	global_load_ushort v24, v[22:23], off
	global_load_ushort v25, v[20:21], off
	s_add_u32 s46, s46, 1
	s_addc_u32 s47, s47, 0
	s_andn2_b64 s[44:45], s[44:45], exec
	v_lshl_add_u64 v[20:21], v[20:21], 0, 2
	v_lshl_add_u64 v[22:23], v[22:23], 0, 2
	s_waitcnt vmcnt(0)
	v_cmp_ne_u16_e32 vcc, v24, v25
	s_and_b64 s[48:49], vcc, exec
	s_or_b64 s[44:45], s[44:45], s[48:49]
.LBB1453_76:                            ;   in Loop: Header=BB1453_77 Depth=1
	s_and_b64 s[48:49], exec, s[44:45]
	s_or_b64 s[42:43], s[48:49], s[42:43]
	v_mov_b64_e32 v[24:25], s[46:47]
	s_andn2_b64 exec, exec, s[42:43]
	s_cbranch_execz .LBB1453_79
.LBB1453_77:                            ; =>This Inner Loop Header: Depth=1
	s_or_b64 s[44:45], s[44:45], exec
	s_cmp_eq_u64 s[40:41], s[46:47]
	s_cbranch_scc0 .LBB1453_75
; %bb.78:                               ;   in Loop: Header=BB1453_77 Depth=1
                                        ; implicit-def: $vgpr20_vgpr21
                                        ; implicit-def: $vgpr22_vgpr23
	s_mov_b64 s[46:47], s[26:27]
	s_branch .LBB1453_76
.LBB1453_79:
	s_or_b64 exec, exec, s[42:43]
	v_cmp_gt_i64_e32 vcc, s[26:27], v[24:25]
	s_orn2_b64 s[40:41], vcc, exec
.LBB1453_80:
	s_or_b64 exec, exec, s[38:39]
.LBB1453_81:
	s_waitcnt vmcnt(0)
	v_mov_b64_e32 v[20:21], v[16:17]
	s_waitcnt lgkmcnt(0)
	s_barrier
	s_and_saveexec_b64 s[38:39], s[2:3]
	s_cbranch_execz .LBB1453_83
; %bb.82:
	v_add_u32_e32 v20, -8, v33
	ds_read_b64 v[20:21], v20
.LBB1453_83:
	s_or_b64 exec, exec, s[38:39]
	v_cndmask_b32_e64 v23, 0, 1, s[14:15]
	v_cndmask_b32_e64 v22, 0, 1, s[12:13]
	;; [unrolled: 1-line block ×3, first 2 shown]
	v_lshlrev_b16_e32 v23, 8, v23
	v_lshlrev_b16_e32 v24, 8, v24
	v_or_b32_sdwa v36, v22, v23 dst_sel:WORD_1 dst_unused:UNUSED_PAD src0_sel:DWORD src1_sel:DWORD
	s_mov_b64 s[14:15], 0
	s_and_b64 vcc, exec, s[4:5]
	s_mov_b64 s[12:13], 0
	s_cbranch_vccnz .LBB1453_92
; %bb.84:
	s_waitcnt lgkmcnt(0)
	v_mul_lo_u32 v22, v21, s26
	v_mul_lo_u32 v23, v20, s27
	v_mad_u64_u32 v[20:21], s[12:13], v20, s26, 0
	v_add3_u32 v21, v21, v23, v22
	v_lshl_add_u64 v[20:21], v[20:21], 1, s[28:29]
	global_load_ushort v22, v[20:21], off
	global_load_ushort v23, v[18:19], off
	s_mov_b64 s[12:13], -1
	s_waitcnt vmcnt(0)
	v_cmp_eq_u16_e32 vcc, v22, v23
	s_and_saveexec_b64 s[38:39], vcc
	s_cbranch_execz .LBB1453_91
; %bb.85:
	s_add_u32 s12, s26, -1
	v_lshl_add_u64 v[18:19], v[18:19], 0, 2
	v_lshl_add_u64 v[20:21], v[20:21], 0, 2
	s_addc_u32 s13, s27, -1
	s_mov_b64 s[40:41], 0
	s_mov_b64 s[44:45], 0
                                        ; implicit-def: $sgpr42_sgpr43
	s_branch .LBB1453_88
.LBB1453_86:                            ;   in Loop: Header=BB1453_88 Depth=1
	global_load_ushort v22, v[20:21], off
	global_load_ushort v23, v[18:19], off
	s_add_u32 s44, s44, 1
	s_addc_u32 s45, s45, 0
	s_andn2_b64 s[42:43], s[42:43], exec
	v_lshl_add_u64 v[18:19], v[18:19], 0, 2
	v_lshl_add_u64 v[20:21], v[20:21], 0, 2
	s_waitcnt vmcnt(0)
	v_cmp_ne_u16_e32 vcc, v22, v23
	s_and_b64 s[46:47], vcc, exec
	s_or_b64 s[42:43], s[42:43], s[46:47]
.LBB1453_87:                            ;   in Loop: Header=BB1453_88 Depth=1
	s_and_b64 s[46:47], exec, s[42:43]
	s_or_b64 s[40:41], s[46:47], s[40:41]
	v_mov_b64_e32 v[22:23], s[44:45]
	s_andn2_b64 exec, exec, s[40:41]
	s_cbranch_execz .LBB1453_90
.LBB1453_88:                            ; =>This Inner Loop Header: Depth=1
	s_or_b64 s[42:43], s[42:43], exec
	s_cmp_eq_u64 s[12:13], s[44:45]
	s_cbranch_scc0 .LBB1453_86
; %bb.89:                               ;   in Loop: Header=BB1453_88 Depth=1
                                        ; implicit-def: $vgpr18_vgpr19
                                        ; implicit-def: $vgpr20_vgpr21
	s_mov_b64 s[44:45], s[26:27]
	s_branch .LBB1453_87
.LBB1453_90:
	s_or_b64 exec, exec, s[40:41]
	v_cmp_gt_i64_e32 vcc, s[26:27], v[22:23]
	s_orn2_b64 s[12:13], vcc, exec
.LBB1453_91:
	s_or_b64 exec, exec, s[38:39]
.LBB1453_92:
	v_cndmask_b32_e64 v25, 0, 1, s[8:9]
	v_cndmask_b32_e64 v34, 0, 1, s[10:11]
	;; [unrolled: 1-line block ×3, first 2 shown]
	s_waitcnt lgkmcnt(0)
	v_or_b32_e32 v20, v24, v36
	s_and_b64 vcc, exec, s[14:15]
	s_cbranch_vccz .LBB1453_173
.LBB1453_93:
	v_cmp_gt_u32_e32 vcc, s52, v29
	s_mov_b64 s[8:9], 0
	s_mov_b64 s[6:7], 0
	s_and_saveexec_b64 s[10:11], vcc
	s_cbranch_execz .LBB1453_104
; %bb.94:
	s_and_b64 vcc, exec, s[4:5]
	s_mov_b64 s[12:13], 0
	s_cbranch_vccnz .LBB1453_103
; %bb.95:
	v_mul_lo_u32 v20, v5, s26
	v_mul_lo_u32 v21, v4, s27
	v_mad_u64_u32 v[18:19], s[6:7], v4, s26, 0
	v_add3_u32 v19, v19, v21, v20
	v_mul_lo_u32 v20, v15, s26
	v_mul_lo_u32 v21, v14, s27
	v_mad_u64_u32 v[22:23], s[6:7], v14, s26, 0
	v_add3_u32 v23, v23, v21, v20
	v_lshl_add_u64 v[20:21], v[18:19], 1, s[28:29]
	v_lshl_add_u64 v[18:19], v[22:23], 1, s[28:29]
	global_load_ushort v22, v[20:21], off
	global_load_ushort v23, v[18:19], off
	s_mov_b64 s[12:13], -1
	s_waitcnt vmcnt(0)
	v_cmp_eq_u16_e32 vcc, v22, v23
	s_and_saveexec_b64 s[6:7], vcc
	s_cbranch_execz .LBB1453_102
; %bb.96:
	s_add_u32 s12, s26, -1
	v_lshl_add_u64 v[18:19], v[18:19], 0, 2
	v_lshl_add_u64 v[20:21], v[20:21], 0, 2
	s_addc_u32 s13, s27, -1
	s_mov_b64 s[14:15], 0
	s_mov_b64 s[40:41], 0
                                        ; implicit-def: $sgpr38_sgpr39
	s_branch .LBB1453_99
.LBB1453_97:                            ;   in Loop: Header=BB1453_99 Depth=1
	global_load_ushort v22, v[20:21], off
	global_load_ushort v23, v[18:19], off
	s_add_u32 s40, s40, 1
	s_addc_u32 s41, s41, 0
	s_andn2_b64 s[38:39], s[38:39], exec
	v_lshl_add_u64 v[18:19], v[18:19], 0, 2
	v_lshl_add_u64 v[20:21], v[20:21], 0, 2
	s_waitcnt vmcnt(0)
	v_cmp_ne_u16_e32 vcc, v22, v23
	s_and_b64 s[42:43], vcc, exec
	s_or_b64 s[38:39], s[38:39], s[42:43]
.LBB1453_98:                            ;   in Loop: Header=BB1453_99 Depth=1
	s_and_b64 s[42:43], exec, s[38:39]
	s_or_b64 s[14:15], s[42:43], s[14:15]
	v_mov_b64_e32 v[22:23], s[40:41]
	s_andn2_b64 exec, exec, s[14:15]
	s_cbranch_execz .LBB1453_101
.LBB1453_99:                            ; =>This Inner Loop Header: Depth=1
	s_or_b64 s[38:39], s[38:39], exec
	s_cmp_eq_u64 s[12:13], s[40:41]
	s_cbranch_scc0 .LBB1453_97
; %bb.100:                              ;   in Loop: Header=BB1453_99 Depth=1
                                        ; implicit-def: $vgpr18_vgpr19
                                        ; implicit-def: $vgpr20_vgpr21
	s_mov_b64 s[40:41], s[26:27]
	s_branch .LBB1453_98
.LBB1453_101:
	s_or_b64 exec, exec, s[14:15]
	v_cmp_gt_i64_e32 vcc, s[26:27], v[22:23]
	s_orn2_b64 s[12:13], vcc, exec
.LBB1453_102:
	s_or_b64 exec, exec, s[6:7]
.LBB1453_103:
	s_and_b64 s[6:7], s[12:13], exec
.LBB1453_104:
	s_or_b64 exec, exec, s[10:11]
	v_cmp_gt_u32_e32 vcc, s52, v31
	s_and_saveexec_b64 s[10:11], vcc
	s_cbranch_execz .LBB1453_115
; %bb.105:
	s_and_b64 vcc, exec, s[4:5]
	s_mov_b64 s[12:13], 0
	s_cbranch_vccnz .LBB1453_114
; %bb.106:
	v_mul_lo_u32 v20, v3, s26
	v_mul_lo_u32 v21, v2, s27
	v_mad_u64_u32 v[18:19], s[8:9], v2, s26, 0
	v_add3_u32 v19, v19, v21, v20
	v_mul_lo_u32 v20, v5, s26
	v_mul_lo_u32 v21, v4, s27
	v_mad_u64_u32 v[22:23], s[8:9], v4, s26, 0
	v_add3_u32 v23, v23, v21, v20
	v_lshl_add_u64 v[20:21], v[18:19], 1, s[28:29]
	v_lshl_add_u64 v[18:19], v[22:23], 1, s[28:29]
	global_load_ushort v22, v[20:21], off
	global_load_ushort v23, v[18:19], off
	s_mov_b64 s[12:13], -1
	s_waitcnt vmcnt(0)
	v_cmp_eq_u16_e32 vcc, v22, v23
	s_and_saveexec_b64 s[8:9], vcc
	s_cbranch_execz .LBB1453_113
; %bb.107:
	s_add_u32 s12, s26, -1
	v_lshl_add_u64 v[18:19], v[18:19], 0, 2
	v_lshl_add_u64 v[20:21], v[20:21], 0, 2
	s_addc_u32 s13, s27, -1
	s_mov_b64 s[14:15], 0
	s_mov_b64 s[40:41], 0
                                        ; implicit-def: $sgpr38_sgpr39
	s_branch .LBB1453_110
.LBB1453_108:                           ;   in Loop: Header=BB1453_110 Depth=1
	global_load_ushort v22, v[20:21], off
	global_load_ushort v23, v[18:19], off
	s_add_u32 s40, s40, 1
	s_addc_u32 s41, s41, 0
	s_andn2_b64 s[38:39], s[38:39], exec
	v_lshl_add_u64 v[18:19], v[18:19], 0, 2
	v_lshl_add_u64 v[20:21], v[20:21], 0, 2
	s_waitcnt vmcnt(0)
	v_cmp_ne_u16_e32 vcc, v22, v23
	s_and_b64 s[42:43], vcc, exec
	s_or_b64 s[38:39], s[38:39], s[42:43]
.LBB1453_109:                           ;   in Loop: Header=BB1453_110 Depth=1
	s_and_b64 s[42:43], exec, s[38:39]
	s_or_b64 s[14:15], s[42:43], s[14:15]
	v_mov_b64_e32 v[22:23], s[40:41]
	s_andn2_b64 exec, exec, s[14:15]
	s_cbranch_execz .LBB1453_112
.LBB1453_110:                           ; =>This Inner Loop Header: Depth=1
	s_or_b64 s[38:39], s[38:39], exec
	s_cmp_eq_u64 s[12:13], s[40:41]
	s_cbranch_scc0 .LBB1453_108
; %bb.111:                              ;   in Loop: Header=BB1453_110 Depth=1
                                        ; implicit-def: $vgpr18_vgpr19
                                        ; implicit-def: $vgpr20_vgpr21
	s_mov_b64 s[40:41], s[26:27]
	s_branch .LBB1453_109
.LBB1453_112:
	s_or_b64 exec, exec, s[14:15]
	v_cmp_gt_i64_e32 vcc, s[26:27], v[22:23]
	s_orn2_b64 s[12:13], vcc, exec
.LBB1453_113:
	s_or_b64 exec, exec, s[8:9]
.LBB1453_114:
	s_and_b64 s[8:9], s[12:13], exec
.LBB1453_115:
	s_or_b64 exec, exec, s[10:11]
	v_cmp_gt_u32_e32 vcc, s52, v28
	s_mov_b64 s[12:13], 0
	s_mov_b64 s[10:11], 0
	s_and_saveexec_b64 s[14:15], vcc
	s_cbranch_execz .LBB1453_126
; %bb.116:
	s_and_b64 vcc, exec, s[4:5]
	s_mov_b64 s[38:39], 0
	s_cbranch_vccnz .LBB1453_125
; %bb.117:
	v_mul_lo_u32 v20, v9, s26
	v_mul_lo_u32 v21, v8, s27
	v_mad_u64_u32 v[18:19], s[10:11], v8, s26, 0
	v_add3_u32 v19, v19, v21, v20
	v_mul_lo_u32 v20, v3, s26
	v_mul_lo_u32 v21, v2, s27
	v_mad_u64_u32 v[22:23], s[10:11], v2, s26, 0
	v_add3_u32 v23, v23, v21, v20
	v_lshl_add_u64 v[20:21], v[18:19], 1, s[28:29]
	v_lshl_add_u64 v[18:19], v[22:23], 1, s[28:29]
	global_load_ushort v22, v[20:21], off
	global_load_ushort v23, v[18:19], off
	s_mov_b64 s[38:39], -1
	s_waitcnt vmcnt(0)
	v_cmp_eq_u16_e32 vcc, v22, v23
	s_and_saveexec_b64 s[10:11], vcc
	s_cbranch_execz .LBB1453_124
; %bb.118:
	s_add_u32 s38, s26, -1
	v_lshl_add_u64 v[18:19], v[18:19], 0, 2
	v_lshl_add_u64 v[20:21], v[20:21], 0, 2
	s_addc_u32 s39, s27, -1
	s_mov_b64 s[40:41], 0
	s_mov_b64 s[44:45], 0
                                        ; implicit-def: $sgpr42_sgpr43
	s_branch .LBB1453_121
.LBB1453_119:                           ;   in Loop: Header=BB1453_121 Depth=1
	global_load_ushort v22, v[20:21], off
	global_load_ushort v23, v[18:19], off
	s_add_u32 s44, s44, 1
	s_addc_u32 s45, s45, 0
	s_andn2_b64 s[42:43], s[42:43], exec
	v_lshl_add_u64 v[18:19], v[18:19], 0, 2
	v_lshl_add_u64 v[20:21], v[20:21], 0, 2
	s_waitcnt vmcnt(0)
	v_cmp_ne_u16_e32 vcc, v22, v23
	s_and_b64 s[46:47], vcc, exec
	s_or_b64 s[42:43], s[42:43], s[46:47]
.LBB1453_120:                           ;   in Loop: Header=BB1453_121 Depth=1
	s_and_b64 s[46:47], exec, s[42:43]
	s_or_b64 s[40:41], s[46:47], s[40:41]
	v_mov_b64_e32 v[22:23], s[44:45]
	s_andn2_b64 exec, exec, s[40:41]
	s_cbranch_execz .LBB1453_123
.LBB1453_121:                           ; =>This Inner Loop Header: Depth=1
	s_or_b64 s[42:43], s[42:43], exec
	s_cmp_eq_u64 s[38:39], s[44:45]
	s_cbranch_scc0 .LBB1453_119
; %bb.122:                              ;   in Loop: Header=BB1453_121 Depth=1
                                        ; implicit-def: $vgpr18_vgpr19
                                        ; implicit-def: $vgpr20_vgpr21
	s_mov_b64 s[44:45], s[26:27]
	s_branch .LBB1453_120
.LBB1453_123:
	s_or_b64 exec, exec, s[40:41]
	v_cmp_gt_i64_e32 vcc, s[26:27], v[22:23]
	s_orn2_b64 s[38:39], vcc, exec
.LBB1453_124:
	s_or_b64 exec, exec, s[10:11]
.LBB1453_125:
	s_and_b64 s[10:11], s[38:39], exec
.LBB1453_126:
	s_or_b64 exec, exec, s[14:15]
	v_cmp_gt_u32_e32 vcc, s52, v30
	s_and_saveexec_b64 s[14:15], vcc
	s_cbranch_execz .LBB1453_137
; %bb.127:
	s_and_b64 vcc, exec, s[4:5]
	s_mov_b64 s[38:39], 0
	s_cbranch_vccnz .LBB1453_136
; %bb.128:
	v_mul_lo_u32 v20, v7, s26
	v_mul_lo_u32 v21, v6, s27
	v_mad_u64_u32 v[18:19], s[12:13], v6, s26, 0
	v_add3_u32 v19, v19, v21, v20
	v_mul_lo_u32 v20, v9, s26
	v_mul_lo_u32 v21, v8, s27
	v_mad_u64_u32 v[22:23], s[12:13], v8, s26, 0
	v_add3_u32 v23, v23, v21, v20
	v_lshl_add_u64 v[20:21], v[18:19], 1, s[28:29]
	v_lshl_add_u64 v[18:19], v[22:23], 1, s[28:29]
	global_load_ushort v22, v[20:21], off
	global_load_ushort v23, v[18:19], off
	s_mov_b64 s[38:39], -1
	s_waitcnt vmcnt(0)
	v_cmp_eq_u16_e32 vcc, v22, v23
	s_and_saveexec_b64 s[12:13], vcc
	s_cbranch_execz .LBB1453_135
; %bb.129:
	s_add_u32 s38, s26, -1
	v_lshl_add_u64 v[18:19], v[18:19], 0, 2
	v_lshl_add_u64 v[20:21], v[20:21], 0, 2
	s_addc_u32 s39, s27, -1
	s_mov_b64 s[40:41], 0
	s_mov_b64 s[44:45], 0
                                        ; implicit-def: $sgpr42_sgpr43
	s_branch .LBB1453_132
.LBB1453_130:                           ;   in Loop: Header=BB1453_132 Depth=1
	global_load_ushort v22, v[20:21], off
	global_load_ushort v23, v[18:19], off
	s_add_u32 s44, s44, 1
	s_addc_u32 s45, s45, 0
	s_andn2_b64 s[42:43], s[42:43], exec
	v_lshl_add_u64 v[18:19], v[18:19], 0, 2
	v_lshl_add_u64 v[20:21], v[20:21], 0, 2
	s_waitcnt vmcnt(0)
	v_cmp_ne_u16_e32 vcc, v22, v23
	s_and_b64 s[46:47], vcc, exec
	s_or_b64 s[42:43], s[42:43], s[46:47]
.LBB1453_131:                           ;   in Loop: Header=BB1453_132 Depth=1
	s_and_b64 s[46:47], exec, s[42:43]
	s_or_b64 s[40:41], s[46:47], s[40:41]
	v_mov_b64_e32 v[22:23], s[44:45]
	s_andn2_b64 exec, exec, s[40:41]
	s_cbranch_execz .LBB1453_134
.LBB1453_132:                           ; =>This Inner Loop Header: Depth=1
	s_or_b64 s[42:43], s[42:43], exec
	s_cmp_eq_u64 s[38:39], s[44:45]
	s_cbranch_scc0 .LBB1453_130
; %bb.133:                              ;   in Loop: Header=BB1453_132 Depth=1
                                        ; implicit-def: $vgpr18_vgpr19
                                        ; implicit-def: $vgpr20_vgpr21
	s_mov_b64 s[44:45], s[26:27]
	s_branch .LBB1453_131
.LBB1453_134:
	s_or_b64 exec, exec, s[40:41]
	v_cmp_gt_i64_e32 vcc, s[26:27], v[22:23]
	s_orn2_b64 s[38:39], vcc, exec
.LBB1453_135:
	s_or_b64 exec, exec, s[12:13]
.LBB1453_136:
	s_and_b64 s[12:13], s[38:39], exec
.LBB1453_137:
	s_or_b64 exec, exec, s[14:15]
	v_cmp_gt_u32_e32 vcc, s52, v26
	s_mov_b64 s[14:15], 0
	s_mov_b64 s[38:39], 0
	s_and_saveexec_b64 s[40:41], vcc
	s_cbranch_execz .LBB1453_148
; %bb.138:
	s_and_b64 vcc, exec, s[4:5]
	s_mov_b64 s[42:43], 0
	s_cbranch_vccnz .LBB1453_147
; %bb.139:
	v_mul_lo_u32 v20, v13, s26
	v_mul_lo_u32 v21, v12, s27
	v_mad_u64_u32 v[18:19], s[38:39], v12, s26, 0
	v_add3_u32 v19, v19, v21, v20
	v_mul_lo_u32 v20, v7, s26
	v_mul_lo_u32 v21, v6, s27
	v_mad_u64_u32 v[22:23], s[38:39], v6, s26, 0
	v_add3_u32 v23, v23, v21, v20
	v_lshl_add_u64 v[20:21], v[18:19], 1, s[28:29]
	v_lshl_add_u64 v[18:19], v[22:23], 1, s[28:29]
	global_load_ushort v22, v[20:21], off
	global_load_ushort v23, v[18:19], off
	s_mov_b64 s[42:43], -1
	s_waitcnt vmcnt(0)
	v_cmp_eq_u16_e32 vcc, v22, v23
	s_and_saveexec_b64 s[38:39], vcc
	s_cbranch_execz .LBB1453_146
; %bb.140:
	s_add_u32 s42, s26, -1
	v_lshl_add_u64 v[18:19], v[18:19], 0, 2
	v_lshl_add_u64 v[20:21], v[20:21], 0, 2
	s_addc_u32 s43, s27, -1
	s_mov_b64 s[44:45], 0
	s_mov_b64 s[48:49], 0
                                        ; implicit-def: $sgpr46_sgpr47
	s_branch .LBB1453_143
.LBB1453_141:                           ;   in Loop: Header=BB1453_143 Depth=1
	global_load_ushort v22, v[20:21], off
	global_load_ushort v23, v[18:19], off
	s_add_u32 s48, s48, 1
	s_addc_u32 s49, s49, 0
	s_andn2_b64 s[46:47], s[46:47], exec
	v_lshl_add_u64 v[18:19], v[18:19], 0, 2
	v_lshl_add_u64 v[20:21], v[20:21], 0, 2
	s_waitcnt vmcnt(0)
	v_cmp_ne_u16_e32 vcc, v22, v23
	s_and_b64 s[50:51], vcc, exec
	s_or_b64 s[46:47], s[46:47], s[50:51]
.LBB1453_142:                           ;   in Loop: Header=BB1453_143 Depth=1
	s_and_b64 s[50:51], exec, s[46:47]
	s_or_b64 s[44:45], s[50:51], s[44:45]
	v_mov_b64_e32 v[22:23], s[48:49]
	s_andn2_b64 exec, exec, s[44:45]
	s_cbranch_execz .LBB1453_145
.LBB1453_143:                           ; =>This Inner Loop Header: Depth=1
	s_or_b64 s[46:47], s[46:47], exec
	s_cmp_eq_u64 s[42:43], s[48:49]
	s_cbranch_scc0 .LBB1453_141
; %bb.144:                              ;   in Loop: Header=BB1453_143 Depth=1
                                        ; implicit-def: $vgpr18_vgpr19
                                        ; implicit-def: $vgpr20_vgpr21
	s_mov_b64 s[48:49], s[26:27]
	s_branch .LBB1453_142
.LBB1453_145:
	s_or_b64 exec, exec, s[44:45]
	v_cmp_gt_i64_e32 vcc, s[26:27], v[22:23]
	s_orn2_b64 s[42:43], vcc, exec
.LBB1453_146:
	s_or_b64 exec, exec, s[38:39]
.LBB1453_147:
	s_and_b64 s[38:39], s[42:43], exec
.LBB1453_148:
	s_or_b64 exec, exec, s[40:41]
	v_cmp_gt_u32_e32 vcc, s52, v27
	s_and_saveexec_b64 s[40:41], vcc
	s_cbranch_execz .LBB1453_159
; %bb.149:
	s_and_b64 vcc, exec, s[4:5]
	s_mov_b64 s[42:43], 0
	s_cbranch_vccnz .LBB1453_158
; %bb.150:
	v_mul_lo_u32 v20, v11, s26
	v_mul_lo_u32 v21, v10, s27
	v_mad_u64_u32 v[18:19], s[14:15], v10, s26, 0
	v_add3_u32 v19, v19, v21, v20
	v_mul_lo_u32 v20, v13, s26
	v_mul_lo_u32 v21, v12, s27
	v_mad_u64_u32 v[22:23], s[14:15], v12, s26, 0
	v_add3_u32 v23, v23, v21, v20
	v_lshl_add_u64 v[20:21], v[18:19], 1, s[28:29]
	v_lshl_add_u64 v[18:19], v[22:23], 1, s[28:29]
	global_load_ushort v22, v[20:21], off
	global_load_ushort v23, v[18:19], off
	s_mov_b64 s[42:43], -1
	s_waitcnt vmcnt(0)
	v_cmp_eq_u16_e32 vcc, v22, v23
	s_and_saveexec_b64 s[14:15], vcc
	s_cbranch_execz .LBB1453_157
; %bb.151:
	s_add_u32 s42, s26, -1
	v_lshl_add_u64 v[18:19], v[18:19], 0, 2
	v_lshl_add_u64 v[20:21], v[20:21], 0, 2
	s_addc_u32 s43, s27, -1
	s_mov_b64 s[44:45], 0
	s_mov_b64 s[48:49], 0
                                        ; implicit-def: $sgpr46_sgpr47
	s_branch .LBB1453_154
.LBB1453_152:                           ;   in Loop: Header=BB1453_154 Depth=1
	global_load_ushort v22, v[20:21], off
	global_load_ushort v23, v[18:19], off
	s_add_u32 s48, s48, 1
	s_addc_u32 s49, s49, 0
	s_andn2_b64 s[46:47], s[46:47], exec
	v_lshl_add_u64 v[18:19], v[18:19], 0, 2
	v_lshl_add_u64 v[20:21], v[20:21], 0, 2
	s_waitcnt vmcnt(0)
	v_cmp_ne_u16_e32 vcc, v22, v23
	s_and_b64 s[50:51], vcc, exec
	s_or_b64 s[46:47], s[46:47], s[50:51]
.LBB1453_153:                           ;   in Loop: Header=BB1453_154 Depth=1
	s_and_b64 s[50:51], exec, s[46:47]
	s_or_b64 s[44:45], s[50:51], s[44:45]
	v_mov_b64_e32 v[22:23], s[48:49]
	s_andn2_b64 exec, exec, s[44:45]
	s_cbranch_execz .LBB1453_156
.LBB1453_154:                           ; =>This Inner Loop Header: Depth=1
	s_or_b64 s[46:47], s[46:47], exec
	s_cmp_eq_u64 s[42:43], s[48:49]
	s_cbranch_scc0 .LBB1453_152
; %bb.155:                              ;   in Loop: Header=BB1453_154 Depth=1
                                        ; implicit-def: $vgpr18_vgpr19
                                        ; implicit-def: $vgpr20_vgpr21
	s_mov_b64 s[48:49], s[26:27]
	s_branch .LBB1453_153
.LBB1453_156:
	s_or_b64 exec, exec, s[44:45]
	v_cmp_gt_i64_e32 vcc, s[26:27], v[22:23]
	s_orn2_b64 s[42:43], vcc, exec
.LBB1453_157:
	s_or_b64 exec, exec, s[14:15]
.LBB1453_158:
	s_and_b64 s[14:15], s[42:43], exec
.LBB1453_159:
	s_or_b64 exec, exec, s[40:41]
	s_waitcnt lgkmcnt(0)
	s_barrier
	s_and_saveexec_b64 s[40:41], s[2:3]
	s_cbranch_execz .LBB1453_161
; %bb.160:
	s_waitcnt vmcnt(0)
	v_add_u32_e32 v16, -8, v33
	ds_read_b64 v[16:17], v16
.LBB1453_161:
	s_or_b64 exec, exec, s[40:41]
	v_cndmask_b32_e64 v19, 0, 1, s[12:13]
	v_cndmask_b32_e64 v18, 0, 1, s[38:39]
	v_cndmask_b32_e64 v20, 0, 1, s[14:15]
	v_lshlrev_b16_e32 v19, 8, v19
	v_cmp_gt_u32_e32 vcc, s52, v1
	v_lshlrev_b16_e32 v22, 8, v20
	v_or_b32_sdwa v23, v18, v19 dst_sel:WORD_1 dst_unused:UNUSED_PAD src0_sel:DWORD src1_sel:DWORD
	s_mov_b64 s[12:13], 0
	s_and_saveexec_b64 s[14:15], vcc
	s_cbranch_execz .LBB1453_172
; %bb.162:
	s_and_b64 vcc, exec, s[4:5]
	s_cbranch_vccnz .LBB1453_171
; %bb.163:
	s_waitcnt vmcnt(0) lgkmcnt(0)
	v_mul_lo_u32 v18, v17, s26
	v_mul_lo_u32 v19, v16, s27
	v_mad_u64_u32 v[16:17], s[4:5], v16, s26, 0
	v_add3_u32 v17, v17, v19, v18
	v_mul_lo_u32 v18, v11, s26
	v_mul_lo_u32 v19, v10, s27
	v_mad_u64_u32 v[20:21], s[4:5], v10, s26, 0
	v_add3_u32 v21, v21, v19, v18
	v_lshl_add_u64 v[18:19], v[16:17], 1, s[28:29]
	v_lshl_add_u64 v[16:17], v[20:21], 1, s[28:29]
	global_load_ushort v20, v[18:19], off
	global_load_ushort v21, v[16:17], off
	s_mov_b64 s[12:13], -1
	s_waitcnt vmcnt(0)
	v_cmp_eq_u16_e32 vcc, v20, v21
	s_and_saveexec_b64 s[4:5], vcc
	s_cbranch_execz .LBB1453_170
; %bb.164:
	s_add_u32 s12, s26, -1
	v_lshl_add_u64 v[16:17], v[16:17], 0, 2
	v_lshl_add_u64 v[18:19], v[18:19], 0, 2
	s_addc_u32 s13, s27, -1
	s_mov_b64 s[38:39], 0
	s_mov_b64 s[42:43], 0
                                        ; implicit-def: $sgpr40_sgpr41
	s_branch .LBB1453_167
.LBB1453_165:                           ;   in Loop: Header=BB1453_167 Depth=1
	global_load_ushort v20, v[18:19], off
	global_load_ushort v21, v[16:17], off
	s_add_u32 s42, s42, 1
	s_addc_u32 s43, s43, 0
	s_andn2_b64 s[40:41], s[40:41], exec
	v_lshl_add_u64 v[16:17], v[16:17], 0, 2
	v_lshl_add_u64 v[18:19], v[18:19], 0, 2
	s_waitcnt vmcnt(0)
	v_cmp_ne_u16_e32 vcc, v20, v21
	s_and_b64 s[44:45], vcc, exec
	s_or_b64 s[40:41], s[40:41], s[44:45]
.LBB1453_166:                           ;   in Loop: Header=BB1453_167 Depth=1
	s_and_b64 s[44:45], exec, s[40:41]
	s_or_b64 s[38:39], s[44:45], s[38:39]
	v_mov_b64_e32 v[20:21], s[42:43]
	s_andn2_b64 exec, exec, s[38:39]
	s_cbranch_execz .LBB1453_169
.LBB1453_167:                           ; =>This Inner Loop Header: Depth=1
	s_or_b64 s[40:41], s[40:41], exec
	s_cmp_eq_u64 s[12:13], s[42:43]
	s_cbranch_scc0 .LBB1453_165
; %bb.168:                              ;   in Loop: Header=BB1453_167 Depth=1
                                        ; implicit-def: $vgpr16_vgpr17
                                        ; implicit-def: $vgpr18_vgpr19
	s_mov_b64 s[42:43], s[26:27]
	s_branch .LBB1453_166
.LBB1453_169:
	s_or_b64 exec, exec, s[38:39]
	v_cmp_gt_i64_e32 vcc, s[26:27], v[20:21]
	s_orn2_b64 s[12:13], vcc, exec
.LBB1453_170:
	s_or_b64 exec, exec, s[4:5]
.LBB1453_171:
	s_and_b64 s[12:13], s[12:13], exec
.LBB1453_172:
	s_or_b64 exec, exec, s[14:15]
	v_cndmask_b32_e64 v25, 0, 1, s[10:11]
	v_cndmask_b32_e64 v34, 0, 1, s[8:9]
	;; [unrolled: 1-line block ×3, first 2 shown]
	v_or_b32_e32 v20, v22, v23
.LBB1453_173:
	s_mov_b64 s[8:9], -1
	s_cbranch_execnz .LBB1453_32
.LBB1453_174:
	s_movk_i32 s4, 0xffd0
	v_mad_i32_i24 v24, v0, s4, v32
	s_mov_b64 s[10:11], 0
	v_cmp_gt_i64_e64 s[6:7], s[26:27], 0
	s_and_b64 vcc, exec, s[36:37]
	ds_write_b64 v24, v[14:15]
	s_cbranch_vccz .LBB1453_182
; %bb.175:
	v_mul_lo_u32 v18, v5, s26
	v_mul_lo_u32 v19, v4, s27
	s_waitcnt vmcnt(0) lgkmcnt(1)
	v_mad_u64_u32 v[16:17], s[4:5], v4, s26, 0
	v_add3_u32 v17, v17, v19, v18
	v_cndmask_b32_e64 v18, 0, 1, s[6:7]
	v_cmp_ne_u32_e64 s[4:5], 1, v18
	s_andn2_b64 vcc, exec, s[6:7]
	v_lshl_add_u64 v[16:17], v[16:17], 1, s[28:29]
	s_cbranch_vccnz .LBB1453_185
; %bb.176:
	v_mul_lo_u32 v20, v15, s26
	v_mul_lo_u32 v21, v14, s27
	v_mad_u64_u32 v[18:19], s[10:11], v14, s26, 0
	v_add3_u32 v19, v19, v21, v20
	v_lshl_add_u64 v[18:19], v[18:19], 1, s[28:29]
	global_load_ushort v20, v[16:17], off
	global_load_ushort v21, v[18:19], off
	s_mov_b64 s[10:11], -1
	s_waitcnt vmcnt(0)
	v_cmp_eq_u16_e32 vcc, v20, v21
	s_and_saveexec_b64 s[12:13], vcc
	s_cbranch_execz .LBB1453_184
; %bb.177:
	s_add_u32 s10, s26, -1
	v_lshl_add_u64 v[18:19], v[18:19], 0, 2
	v_lshl_add_u64 v[20:21], v[16:17], 0, 2
	s_addc_u32 s11, s27, -1
	s_mov_b64 s[14:15], 0
	s_mov_b64 s[40:41], 0
                                        ; implicit-def: $sgpr38_sgpr39
	s_branch .LBB1453_180
.LBB1453_178:                           ;   in Loop: Header=BB1453_180 Depth=1
	global_load_ushort v22, v[20:21], off
	global_load_ushort v23, v[18:19], off
	s_add_u32 s40, s40, 1
	s_addc_u32 s41, s41, 0
	s_andn2_b64 s[38:39], s[38:39], exec
	v_lshl_add_u64 v[18:19], v[18:19], 0, 2
	v_lshl_add_u64 v[20:21], v[20:21], 0, 2
	s_waitcnt vmcnt(0)
	v_cmp_ne_u16_e32 vcc, v22, v23
	s_and_b64 s[42:43], vcc, exec
	s_or_b64 s[38:39], s[38:39], s[42:43]
.LBB1453_179:                           ;   in Loop: Header=BB1453_180 Depth=1
	s_and_b64 s[42:43], exec, s[38:39]
	s_or_b64 s[14:15], s[42:43], s[14:15]
	v_mov_b64_e32 v[22:23], s[40:41]
	s_andn2_b64 exec, exec, s[14:15]
	s_cbranch_execz .LBB1453_183
.LBB1453_180:                           ; =>This Inner Loop Header: Depth=1
	s_or_b64 s[38:39], s[38:39], exec
	s_cmp_eq_u64 s[10:11], s[40:41]
	s_cbranch_scc0 .LBB1453_178
; %bb.181:                              ;   in Loop: Header=BB1453_180 Depth=1
                                        ; implicit-def: $vgpr18_vgpr19
                                        ; implicit-def: $vgpr20_vgpr21
	s_mov_b64 s[40:41], s[26:27]
	s_branch .LBB1453_179
.LBB1453_182:
                                        ; implicit-def: $sgpr12_sgpr13
                                        ; implicit-def: $vgpr35
                                        ; implicit-def: $vgpr34
                                        ; implicit-def: $vgpr25
                                        ; implicit-def: $vgpr20
                                        ; implicit-def: $vgpr16_vgpr17
	s_cbranch_execnz .LBB1453_242
	s_branch .LBB1453_322
.LBB1453_183:
	s_or_b64 exec, exec, s[14:15]
	v_cmp_gt_i64_e32 vcc, s[26:27], v[22:23]
	s_orn2_b64 s[10:11], vcc, exec
.LBB1453_184:
	s_or_b64 exec, exec, s[12:13]
.LBB1453_185:
	v_mul_lo_u32 v20, v3, s26
	v_mul_lo_u32 v21, v2, s27
	v_mad_u64_u32 v[18:19], s[12:13], v2, s26, 0
	v_add3_u32 v19, v19, v21, v20
	s_mov_b64 s[12:13], 0
	s_and_b64 vcc, exec, s[4:5]
	v_lshl_add_u64 v[18:19], v[18:19], 1, s[28:29]
	s_mov_b64 s[14:15], 0
	s_cbranch_vccnz .LBB1453_194
; %bb.186:
	global_load_ushort v20, v[18:19], off
	global_load_ushort v21, v[16:17], off
	s_mov_b64 s[14:15], -1
	s_waitcnt vmcnt(0)
	v_cmp_eq_u16_e32 vcc, v20, v21
	s_and_saveexec_b64 s[38:39], vcc
	s_cbranch_execz .LBB1453_193
; %bb.187:
	s_add_u32 s14, s26, -1
	v_lshl_add_u64 v[16:17], v[16:17], 0, 2
	v_lshl_add_u64 v[20:21], v[18:19], 0, 2
	s_addc_u32 s15, s27, -1
	s_mov_b64 s[40:41], 0
	s_mov_b64 s[44:45], 0
                                        ; implicit-def: $sgpr42_sgpr43
	s_branch .LBB1453_190
.LBB1453_188:                           ;   in Loop: Header=BB1453_190 Depth=1
	global_load_ushort v22, v[20:21], off
	global_load_ushort v23, v[16:17], off
	s_add_u32 s44, s44, 1
	s_addc_u32 s45, s45, 0
	s_andn2_b64 s[42:43], s[42:43], exec
	v_lshl_add_u64 v[16:17], v[16:17], 0, 2
	v_lshl_add_u64 v[20:21], v[20:21], 0, 2
	s_waitcnt vmcnt(0)
	v_cmp_ne_u16_e32 vcc, v22, v23
	s_and_b64 s[46:47], vcc, exec
	s_or_b64 s[42:43], s[42:43], s[46:47]
.LBB1453_189:                           ;   in Loop: Header=BB1453_190 Depth=1
	s_and_b64 s[46:47], exec, s[42:43]
	s_or_b64 s[40:41], s[46:47], s[40:41]
	v_mov_b64_e32 v[22:23], s[44:45]
	s_andn2_b64 exec, exec, s[40:41]
	s_cbranch_execz .LBB1453_192
.LBB1453_190:                           ; =>This Inner Loop Header: Depth=1
	s_or_b64 s[42:43], s[42:43], exec
	s_cmp_eq_u64 s[14:15], s[44:45]
	s_cbranch_scc0 .LBB1453_188
; %bb.191:                              ;   in Loop: Header=BB1453_190 Depth=1
                                        ; implicit-def: $vgpr16_vgpr17
                                        ; implicit-def: $vgpr20_vgpr21
	s_mov_b64 s[44:45], s[26:27]
	s_branch .LBB1453_189
.LBB1453_192:
	s_or_b64 exec, exec, s[40:41]
	v_cmp_gt_i64_e32 vcc, s[26:27], v[22:23]
	s_orn2_b64 s[14:15], vcc, exec
.LBB1453_193:
	s_or_b64 exec, exec, s[38:39]
.LBB1453_194:
	v_mul_lo_u32 v20, v9, s26
	v_mul_lo_u32 v21, v8, s27
	v_mad_u64_u32 v[16:17], s[38:39], v8, s26, 0
	v_add3_u32 v17, v17, v21, v20
	s_and_b64 vcc, exec, s[4:5]
	v_lshl_add_u64 v[16:17], v[16:17], 1, s[28:29]
	s_cbranch_vccnz .LBB1453_203
; %bb.195:
	global_load_ushort v20, v[16:17], off
	global_load_ushort v21, v[18:19], off
	s_mov_b64 s[12:13], -1
	s_waitcnt vmcnt(0)
	v_cmp_eq_u16_e32 vcc, v20, v21
	s_and_saveexec_b64 s[38:39], vcc
	s_cbranch_execz .LBB1453_202
; %bb.196:
	s_add_u32 s12, s26, -1
	v_lshl_add_u64 v[18:19], v[18:19], 0, 2
	v_lshl_add_u64 v[20:21], v[16:17], 0, 2
	s_addc_u32 s13, s27, -1
	s_mov_b64 s[40:41], 0
	s_mov_b64 s[44:45], 0
                                        ; implicit-def: $sgpr42_sgpr43
	s_branch .LBB1453_199
.LBB1453_197:                           ;   in Loop: Header=BB1453_199 Depth=1
	global_load_ushort v22, v[20:21], off
	global_load_ushort v23, v[18:19], off
	s_add_u32 s44, s44, 1
	s_addc_u32 s45, s45, 0
	s_andn2_b64 s[42:43], s[42:43], exec
	v_lshl_add_u64 v[18:19], v[18:19], 0, 2
	v_lshl_add_u64 v[20:21], v[20:21], 0, 2
	s_waitcnt vmcnt(0)
	v_cmp_ne_u16_e32 vcc, v22, v23
	s_and_b64 s[46:47], vcc, exec
	s_or_b64 s[42:43], s[42:43], s[46:47]
.LBB1453_198:                           ;   in Loop: Header=BB1453_199 Depth=1
	s_and_b64 s[46:47], exec, s[42:43]
	s_or_b64 s[40:41], s[46:47], s[40:41]
	v_mov_b64_e32 v[22:23], s[44:45]
	s_andn2_b64 exec, exec, s[40:41]
	s_cbranch_execz .LBB1453_201
.LBB1453_199:                           ; =>This Inner Loop Header: Depth=1
	s_or_b64 s[42:43], s[42:43], exec
	s_cmp_eq_u64 s[12:13], s[44:45]
	s_cbranch_scc0 .LBB1453_197
; %bb.200:                              ;   in Loop: Header=BB1453_199 Depth=1
                                        ; implicit-def: $vgpr18_vgpr19
                                        ; implicit-def: $vgpr20_vgpr21
	s_mov_b64 s[44:45], s[26:27]
	s_branch .LBB1453_198
.LBB1453_201:
	s_or_b64 exec, exec, s[40:41]
	v_cmp_gt_i64_e32 vcc, s[26:27], v[22:23]
	s_orn2_b64 s[12:13], vcc, exec
.LBB1453_202:
	s_or_b64 exec, exec, s[38:39]
.LBB1453_203:
	v_mul_lo_u32 v20, v7, s26
	v_mul_lo_u32 v21, v6, s27
	v_mad_u64_u32 v[18:19], s[38:39], v6, s26, 0
	v_add3_u32 v19, v19, v21, v20
	s_mov_b64 s[38:39], 0
	s_and_b64 vcc, exec, s[4:5]
	v_lshl_add_u64 v[18:19], v[18:19], 1, s[28:29]
	s_mov_b64 s[40:41], 0
	s_cbranch_vccnz .LBB1453_212
; %bb.204:
	global_load_ushort v20, v[18:19], off
	global_load_ushort v21, v[16:17], off
	s_mov_b64 s[40:41], -1
	s_waitcnt vmcnt(0)
	v_cmp_eq_u16_e32 vcc, v20, v21
	s_and_saveexec_b64 s[42:43], vcc
	s_cbranch_execz .LBB1453_211
; %bb.205:
	s_add_u32 s40, s26, -1
	v_lshl_add_u64 v[16:17], v[16:17], 0, 2
	v_lshl_add_u64 v[20:21], v[18:19], 0, 2
	s_addc_u32 s41, s27, -1
	s_mov_b64 s[44:45], 0
	s_mov_b64 s[48:49], 0
                                        ; implicit-def: $sgpr46_sgpr47
	s_branch .LBB1453_208
.LBB1453_206:                           ;   in Loop: Header=BB1453_208 Depth=1
	global_load_ushort v22, v[20:21], off
	global_load_ushort v23, v[16:17], off
	s_add_u32 s48, s48, 1
	s_addc_u32 s49, s49, 0
	s_andn2_b64 s[46:47], s[46:47], exec
	v_lshl_add_u64 v[16:17], v[16:17], 0, 2
	v_lshl_add_u64 v[20:21], v[20:21], 0, 2
	s_waitcnt vmcnt(0)
	v_cmp_ne_u16_e32 vcc, v22, v23
	s_and_b64 s[50:51], vcc, exec
	s_or_b64 s[46:47], s[46:47], s[50:51]
.LBB1453_207:                           ;   in Loop: Header=BB1453_208 Depth=1
	s_and_b64 s[50:51], exec, s[46:47]
	s_or_b64 s[44:45], s[50:51], s[44:45]
	v_mov_b64_e32 v[22:23], s[48:49]
	s_andn2_b64 exec, exec, s[44:45]
	s_cbranch_execz .LBB1453_210
.LBB1453_208:                           ; =>This Inner Loop Header: Depth=1
	s_or_b64 s[46:47], s[46:47], exec
	s_cmp_eq_u64 s[40:41], s[48:49]
	s_cbranch_scc0 .LBB1453_206
; %bb.209:                              ;   in Loop: Header=BB1453_208 Depth=1
                                        ; implicit-def: $vgpr16_vgpr17
                                        ; implicit-def: $vgpr20_vgpr21
	s_mov_b64 s[48:49], s[26:27]
	s_branch .LBB1453_207
.LBB1453_210:
	s_or_b64 exec, exec, s[44:45]
	v_cmp_gt_i64_e32 vcc, s[26:27], v[22:23]
	s_orn2_b64 s[40:41], vcc, exec
.LBB1453_211:
	s_or_b64 exec, exec, s[42:43]
.LBB1453_212:
	v_mul_lo_u32 v20, v13, s26
	v_mul_lo_u32 v21, v12, s27
	v_mad_u64_u32 v[16:17], s[42:43], v12, s26, 0
	v_add3_u32 v17, v17, v21, v20
	s_and_b64 vcc, exec, s[4:5]
	v_lshl_add_u64 v[16:17], v[16:17], 1, s[28:29]
	s_cbranch_vccnz .LBB1453_221
; %bb.213:
	global_load_ushort v20, v[16:17], off
	global_load_ushort v21, v[18:19], off
	s_mov_b64 s[38:39], -1
	s_waitcnt vmcnt(0)
	v_cmp_eq_u16_e32 vcc, v20, v21
	s_and_saveexec_b64 s[42:43], vcc
	s_cbranch_execz .LBB1453_220
; %bb.214:
	s_add_u32 s38, s26, -1
	v_lshl_add_u64 v[18:19], v[18:19], 0, 2
	v_lshl_add_u64 v[20:21], v[16:17], 0, 2
	s_addc_u32 s39, s27, -1
	s_mov_b64 s[44:45], 0
	s_mov_b64 s[48:49], 0
                                        ; implicit-def: $sgpr46_sgpr47
	s_branch .LBB1453_217
.LBB1453_215:                           ;   in Loop: Header=BB1453_217 Depth=1
	global_load_ushort v22, v[20:21], off
	global_load_ushort v23, v[18:19], off
	s_add_u32 s48, s48, 1
	s_addc_u32 s49, s49, 0
	s_andn2_b64 s[46:47], s[46:47], exec
	v_lshl_add_u64 v[18:19], v[18:19], 0, 2
	v_lshl_add_u64 v[20:21], v[20:21], 0, 2
	s_waitcnt vmcnt(0)
	v_cmp_ne_u16_e32 vcc, v22, v23
	s_and_b64 s[50:51], vcc, exec
	s_or_b64 s[46:47], s[46:47], s[50:51]
.LBB1453_216:                           ;   in Loop: Header=BB1453_217 Depth=1
	s_and_b64 s[50:51], exec, s[46:47]
	s_or_b64 s[44:45], s[50:51], s[44:45]
	v_mov_b64_e32 v[22:23], s[48:49]
	s_andn2_b64 exec, exec, s[44:45]
	s_cbranch_execz .LBB1453_219
.LBB1453_217:                           ; =>This Inner Loop Header: Depth=1
	s_or_b64 s[46:47], s[46:47], exec
	s_cmp_eq_u64 s[38:39], s[48:49]
	s_cbranch_scc0 .LBB1453_215
; %bb.218:                              ;   in Loop: Header=BB1453_217 Depth=1
                                        ; implicit-def: $vgpr18_vgpr19
                                        ; implicit-def: $vgpr20_vgpr21
	s_mov_b64 s[48:49], s[26:27]
	s_branch .LBB1453_216
.LBB1453_219:
	s_or_b64 exec, exec, s[44:45]
	v_cmp_gt_i64_e32 vcc, s[26:27], v[22:23]
	s_orn2_b64 s[38:39], vcc, exec
.LBB1453_220:
	s_or_b64 exec, exec, s[42:43]
.LBB1453_221:
	v_mul_lo_u32 v20, v11, s26
	v_mul_lo_u32 v21, v10, s27
	v_mad_u64_u32 v[18:19], s[42:43], v10, s26, 0
	v_add3_u32 v19, v19, v21, v20
	s_and_b64 vcc, exec, s[4:5]
	s_mov_b64 s[44:45], 0
	s_cbranch_vccnz .LBB1453_230
; %bb.222:
	v_lshl_add_u64 v[20:21], v[18:19], 1, s[28:29]
	global_load_ushort v22, v[20:21], off
	global_load_ushort v23, v[16:17], off
	s_mov_b64 s[44:45], -1
	s_waitcnt vmcnt(0)
	v_cmp_eq_u16_e32 vcc, v22, v23
	s_and_saveexec_b64 s[42:43], vcc
	s_cbranch_execz .LBB1453_229
; %bb.223:
	s_add_u32 s44, s26, -1
	v_lshl_add_u64 v[16:17], v[16:17], 0, 2
	v_lshl_add_u64 v[20:21], v[20:21], 0, 2
	s_addc_u32 s45, s27, -1
	s_mov_b64 s[46:47], 0
	s_mov_b64 s[50:51], 0
                                        ; implicit-def: $sgpr48_sgpr49
	s_branch .LBB1453_226
.LBB1453_224:                           ;   in Loop: Header=BB1453_226 Depth=1
	global_load_ushort v22, v[20:21], off
	global_load_ushort v23, v[16:17], off
	s_add_u32 s50, s50, 1
	s_addc_u32 s51, s51, 0
	s_andn2_b64 s[48:49], s[48:49], exec
	v_lshl_add_u64 v[16:17], v[16:17], 0, 2
	v_lshl_add_u64 v[20:21], v[20:21], 0, 2
	s_waitcnt vmcnt(0)
	v_cmp_ne_u16_e32 vcc, v22, v23
	s_and_b64 s[54:55], vcc, exec
	s_or_b64 s[48:49], s[48:49], s[54:55]
.LBB1453_225:                           ;   in Loop: Header=BB1453_226 Depth=1
	s_and_b64 s[54:55], exec, s[48:49]
	s_or_b64 s[46:47], s[54:55], s[46:47]
	v_mov_b64_e32 v[22:23], s[50:51]
	s_andn2_b64 exec, exec, s[46:47]
	s_cbranch_execz .LBB1453_228
.LBB1453_226:                           ; =>This Inner Loop Header: Depth=1
	s_or_b64 s[48:49], s[48:49], exec
	s_cmp_eq_u64 s[44:45], s[50:51]
	s_cbranch_scc0 .LBB1453_224
; %bb.227:                              ;   in Loop: Header=BB1453_226 Depth=1
                                        ; implicit-def: $vgpr16_vgpr17
                                        ; implicit-def: $vgpr20_vgpr21
	s_mov_b64 s[50:51], s[26:27]
	s_branch .LBB1453_225
.LBB1453_228:
	s_or_b64 exec, exec, s[46:47]
	v_cmp_gt_i64_e32 vcc, s[26:27], v[22:23]
	s_orn2_b64 s[44:45], vcc, exec
.LBB1453_229:
	s_or_b64 exec, exec, s[42:43]
.LBB1453_230:
	v_cndmask_b32_e64 v17, 0, 1, s[40:41]
	v_cndmask_b32_e64 v16, 0, 1, s[38:39]
	;; [unrolled: 1-line block ×3, first 2 shown]
	v_lshlrev_b16_e32 v17, 8, v17
	v_cndmask_b32_e64 v25, 0, 1, s[12:13]
	v_cndmask_b32_e64 v20, 0, 1, s[44:45]
	v_or_b32_sdwa v16, v16, v17 dst_sel:WORD_1 dst_unused:UNUSED_PAD src0_sel:DWORD src1_sel:DWORD
	v_lshlrev_b16_e32 v17, 8, v34
	v_lshlrev_b16_e32 v20, 8, v20
	v_or_b32_e32 v17, v25, v17
	v_or_b32_e32 v20, 1, v20
	v_and_b32_e32 v17, 0xffff, v17
	v_cndmask_b32_e64 v35, 0, 1, s[10:11]
	v_or_b32_sdwa v16, v20, v16 dst_sel:DWORD dst_unused:UNUSED_PAD src0_sel:WORD_0 src1_sel:DWORD
	v_lshl_or_b32 v17, v35, 16, v17
	s_waitcnt lgkmcnt(0)
	s_barrier
	s_waitcnt lgkmcnt(0)
                                        ; implicit-def: $sgpr12_sgpr13
                                        ; implicit-def: $vgpr20
	s_and_saveexec_b64 s[10:11], s[2:3]
	s_xor_b64 s[10:11], exec, s[10:11]
	s_cbranch_execz .LBB1453_241
; %bb.231:
	s_mov_b32 s42, 0x3020104
	s_and_b64 vcc, exec, s[4:5]
	s_mov_b64 s[12:13], 0
	s_cbranch_vccnz .LBB1453_240
; %bb.232:
	v_add_u32_e32 v17, -8, v24
	ds_read_b64 v[20:21], v17
	v_lshl_add_u64 v[18:19], v[18:19], 1, s[28:29]
	s_mov_b64 s[12:13], -1
	s_waitcnt lgkmcnt(0)
	v_mul_lo_u32 v17, v21, s26
	v_mul_lo_u32 v22, v20, s27
	v_mad_u64_u32 v[20:21], s[4:5], v20, s26, 0
	v_add3_u32 v21, v21, v22, v17
	v_lshl_add_u64 v[20:21], v[20:21], 1, s[28:29]
	global_load_ushort v17, v[20:21], off
	global_load_ushort v22, v[18:19], off
	s_waitcnt vmcnt(0)
	v_cmp_eq_u16_e32 vcc, v17, v22
	s_and_saveexec_b64 s[4:5], vcc
	s_cbranch_execz .LBB1453_239
; %bb.233:
	s_add_u32 s12, s26, -1
	v_lshl_add_u64 v[18:19], v[18:19], 0, 2
	v_lshl_add_u64 v[20:21], v[20:21], 0, 2
	s_addc_u32 s13, s27, -1
	s_mov_b64 s[14:15], 0
	s_mov_b64 s[40:41], 0
                                        ; implicit-def: $sgpr38_sgpr39
	s_branch .LBB1453_236
.LBB1453_234:                           ;   in Loop: Header=BB1453_236 Depth=1
	global_load_ushort v17, v[20:21], off
	global_load_ushort v22, v[18:19], off
	s_add_u32 s40, s40, 1
	s_addc_u32 s41, s41, 0
	s_andn2_b64 s[38:39], s[38:39], exec
	v_lshl_add_u64 v[18:19], v[18:19], 0, 2
	v_lshl_add_u64 v[20:21], v[20:21], 0, 2
	s_waitcnt vmcnt(0)
	v_cmp_ne_u16_e32 vcc, v17, v22
	s_and_b64 s[44:45], vcc, exec
	s_or_b64 s[38:39], s[38:39], s[44:45]
.LBB1453_235:                           ;   in Loop: Header=BB1453_236 Depth=1
	s_and_b64 s[44:45], exec, s[38:39]
	s_or_b64 s[14:15], s[44:45], s[14:15]
	v_mov_b64_e32 v[22:23], s[40:41]
	s_andn2_b64 exec, exec, s[14:15]
	s_cbranch_execz .LBB1453_238
.LBB1453_236:                           ; =>This Inner Loop Header: Depth=1
	s_or_b64 s[38:39], s[38:39], exec
	s_cmp_eq_u64 s[12:13], s[40:41]
	s_cbranch_scc0 .LBB1453_234
; %bb.237:                              ;   in Loop: Header=BB1453_236 Depth=1
                                        ; implicit-def: $vgpr18_vgpr19
                                        ; implicit-def: $vgpr20_vgpr21
	s_mov_b64 s[40:41], s[26:27]
	s_branch .LBB1453_235
.LBB1453_238:
	s_or_b64 exec, exec, s[14:15]
	v_cmp_gt_i64_e32 vcc, s[26:27], v[22:23]
	s_orn2_b64 s[12:13], vcc, exec
.LBB1453_239:
	s_or_b64 exec, exec, s[4:5]
.LBB1453_240:
	v_perm_b32 v20, v16, v16, s42
	s_and_b64 s[12:13], s[12:13], exec
	s_or_b64 s[8:9], s[8:9], exec
                                        ; implicit-def: $vgpr16_vgpr17
.LBB1453_241:
	s_or_b64 exec, exec, s[10:11]
	s_branch .LBB1453_322
.LBB1453_242:
	v_cmp_gt_u32_e32 vcc, s52, v29
	s_mov_b64 s[10:11], 0
	s_mov_b64 s[4:5], 0
	s_and_saveexec_b64 s[12:13], vcc
	s_cbranch_execz .LBB1453_253
; %bb.243:
	s_andn2_b64 vcc, exec, s[6:7]
	s_mov_b64 s[14:15], 0
	s_cbranch_vccnz .LBB1453_252
; %bb.244:
	v_mul_lo_u32 v18, v5, s26
	v_mul_lo_u32 v19, v4, s27
	s_waitcnt vmcnt(0) lgkmcnt(1)
	v_mad_u64_u32 v[16:17], s[4:5], v4, s26, 0
	v_add3_u32 v17, v17, v19, v18
	v_mul_lo_u32 v18, v15, s26
	v_mul_lo_u32 v19, v14, s27
	v_mad_u64_u32 v[20:21], s[4:5], v14, s26, 0
	v_add3_u32 v21, v21, v19, v18
	v_lshl_add_u64 v[18:19], v[16:17], 1, s[28:29]
	v_lshl_add_u64 v[16:17], v[20:21], 1, s[28:29]
	global_load_ushort v20, v[18:19], off
	global_load_ushort v21, v[16:17], off
	s_mov_b64 s[14:15], -1
	s_waitcnt vmcnt(0)
	v_cmp_eq_u16_e32 vcc, v20, v21
	s_and_saveexec_b64 s[4:5], vcc
	s_cbranch_execz .LBB1453_251
; %bb.245:
	s_add_u32 s14, s26, -1
	v_lshl_add_u64 v[16:17], v[16:17], 0, 2
	v_lshl_add_u64 v[18:19], v[18:19], 0, 2
	s_addc_u32 s15, s27, -1
	s_mov_b64 s[38:39], 0
	s_mov_b64 s[42:43], 0
                                        ; implicit-def: $sgpr40_sgpr41
	s_branch .LBB1453_248
.LBB1453_246:                           ;   in Loop: Header=BB1453_248 Depth=1
	global_load_ushort v20, v[18:19], off
	global_load_ushort v21, v[16:17], off
	s_add_u32 s42, s42, 1
	s_addc_u32 s43, s43, 0
	s_andn2_b64 s[40:41], s[40:41], exec
	v_lshl_add_u64 v[16:17], v[16:17], 0, 2
	v_lshl_add_u64 v[18:19], v[18:19], 0, 2
	s_waitcnt vmcnt(0)
	v_cmp_ne_u16_e32 vcc, v20, v21
	s_and_b64 s[44:45], vcc, exec
	s_or_b64 s[40:41], s[40:41], s[44:45]
.LBB1453_247:                           ;   in Loop: Header=BB1453_248 Depth=1
	s_and_b64 s[44:45], exec, s[40:41]
	s_or_b64 s[38:39], s[44:45], s[38:39]
	v_mov_b64_e32 v[20:21], s[42:43]
	s_andn2_b64 exec, exec, s[38:39]
	s_cbranch_execz .LBB1453_250
.LBB1453_248:                           ; =>This Inner Loop Header: Depth=1
	s_or_b64 s[40:41], s[40:41], exec
	s_cmp_eq_u64 s[14:15], s[42:43]
	s_cbranch_scc0 .LBB1453_246
; %bb.249:                              ;   in Loop: Header=BB1453_248 Depth=1
                                        ; implicit-def: $vgpr16_vgpr17
                                        ; implicit-def: $vgpr18_vgpr19
	s_mov_b64 s[42:43], s[26:27]
	s_branch .LBB1453_247
.LBB1453_250:
	s_or_b64 exec, exec, s[38:39]
	v_cmp_gt_i64_e32 vcc, s[26:27], v[20:21]
	s_orn2_b64 s[14:15], vcc, exec
.LBB1453_251:
	s_or_b64 exec, exec, s[4:5]
.LBB1453_252:
	s_and_b64 s[4:5], s[14:15], exec
.LBB1453_253:
	s_or_b64 exec, exec, s[12:13]
	v_cmp_gt_u32_e32 vcc, s52, v31
	s_and_saveexec_b64 s[12:13], vcc
	s_cbranch_execz .LBB1453_264
; %bb.254:
	s_andn2_b64 vcc, exec, s[6:7]
	s_mov_b64 s[14:15], 0
	s_cbranch_vccnz .LBB1453_263
; %bb.255:
	v_mul_lo_u32 v18, v3, s26
	v_mul_lo_u32 v19, v2, s27
	s_waitcnt vmcnt(0) lgkmcnt(1)
	v_mad_u64_u32 v[16:17], s[10:11], v2, s26, 0
	v_add3_u32 v17, v17, v19, v18
	v_mul_lo_u32 v18, v5, s26
	v_mul_lo_u32 v19, v4, s27
	v_mad_u64_u32 v[20:21], s[10:11], v4, s26, 0
	v_add3_u32 v21, v21, v19, v18
	v_lshl_add_u64 v[18:19], v[16:17], 1, s[28:29]
	v_lshl_add_u64 v[16:17], v[20:21], 1, s[28:29]
	global_load_ushort v20, v[18:19], off
	global_load_ushort v21, v[16:17], off
	s_mov_b64 s[14:15], -1
	s_waitcnt vmcnt(0)
	v_cmp_eq_u16_e32 vcc, v20, v21
	s_and_saveexec_b64 s[10:11], vcc
	s_cbranch_execz .LBB1453_262
; %bb.256:
	s_add_u32 s14, s26, -1
	v_lshl_add_u64 v[16:17], v[16:17], 0, 2
	v_lshl_add_u64 v[18:19], v[18:19], 0, 2
	s_addc_u32 s15, s27, -1
	s_mov_b64 s[38:39], 0
	s_mov_b64 s[42:43], 0
                                        ; implicit-def: $sgpr40_sgpr41
	s_branch .LBB1453_259
.LBB1453_257:                           ;   in Loop: Header=BB1453_259 Depth=1
	global_load_ushort v20, v[18:19], off
	global_load_ushort v21, v[16:17], off
	s_add_u32 s42, s42, 1
	s_addc_u32 s43, s43, 0
	s_andn2_b64 s[40:41], s[40:41], exec
	v_lshl_add_u64 v[16:17], v[16:17], 0, 2
	v_lshl_add_u64 v[18:19], v[18:19], 0, 2
	s_waitcnt vmcnt(0)
	v_cmp_ne_u16_e32 vcc, v20, v21
	s_and_b64 s[44:45], vcc, exec
	s_or_b64 s[40:41], s[40:41], s[44:45]
.LBB1453_258:                           ;   in Loop: Header=BB1453_259 Depth=1
	s_and_b64 s[44:45], exec, s[40:41]
	s_or_b64 s[38:39], s[44:45], s[38:39]
	v_mov_b64_e32 v[20:21], s[42:43]
	s_andn2_b64 exec, exec, s[38:39]
	s_cbranch_execz .LBB1453_261
.LBB1453_259:                           ; =>This Inner Loop Header: Depth=1
	s_or_b64 s[40:41], s[40:41], exec
	s_cmp_eq_u64 s[14:15], s[42:43]
	s_cbranch_scc0 .LBB1453_257
; %bb.260:                              ;   in Loop: Header=BB1453_259 Depth=1
                                        ; implicit-def: $vgpr16_vgpr17
                                        ; implicit-def: $vgpr18_vgpr19
	s_mov_b64 s[42:43], s[26:27]
	s_branch .LBB1453_258
.LBB1453_261:
	s_or_b64 exec, exec, s[38:39]
	v_cmp_gt_i64_e32 vcc, s[26:27], v[20:21]
	s_orn2_b64 s[14:15], vcc, exec
.LBB1453_262:
	s_or_b64 exec, exec, s[10:11]
.LBB1453_263:
	s_and_b64 s[10:11], s[14:15], exec
.LBB1453_264:
	s_or_b64 exec, exec, s[12:13]
	v_cmp_gt_u32_e32 vcc, s52, v28
	s_mov_b64 s[14:15], 0
	s_mov_b64 s[12:13], 0
	s_and_saveexec_b64 s[38:39], vcc
	s_cbranch_execz .LBB1453_275
; %bb.265:
	s_andn2_b64 vcc, exec, s[6:7]
	s_mov_b64 s[40:41], 0
	s_cbranch_vccnz .LBB1453_274
; %bb.266:
	v_mul_lo_u32 v18, v9, s26
	v_mul_lo_u32 v19, v8, s27
	s_waitcnt vmcnt(0) lgkmcnt(1)
	v_mad_u64_u32 v[16:17], s[12:13], v8, s26, 0
	v_add3_u32 v17, v17, v19, v18
	v_mul_lo_u32 v18, v3, s26
	v_mul_lo_u32 v19, v2, s27
	v_mad_u64_u32 v[20:21], s[12:13], v2, s26, 0
	v_add3_u32 v21, v21, v19, v18
	v_lshl_add_u64 v[18:19], v[16:17], 1, s[28:29]
	v_lshl_add_u64 v[16:17], v[20:21], 1, s[28:29]
	global_load_ushort v20, v[18:19], off
	global_load_ushort v21, v[16:17], off
	s_mov_b64 s[40:41], -1
	s_waitcnt vmcnt(0)
	v_cmp_eq_u16_e32 vcc, v20, v21
	s_and_saveexec_b64 s[12:13], vcc
	s_cbranch_execz .LBB1453_273
; %bb.267:
	s_add_u32 s40, s26, -1
	v_lshl_add_u64 v[16:17], v[16:17], 0, 2
	v_lshl_add_u64 v[18:19], v[18:19], 0, 2
	s_addc_u32 s41, s27, -1
	s_mov_b64 s[42:43], 0
	s_mov_b64 s[46:47], 0
                                        ; implicit-def: $sgpr44_sgpr45
	s_branch .LBB1453_270
.LBB1453_268:                           ;   in Loop: Header=BB1453_270 Depth=1
	global_load_ushort v20, v[18:19], off
	global_load_ushort v21, v[16:17], off
	s_add_u32 s46, s46, 1
	s_addc_u32 s47, s47, 0
	s_andn2_b64 s[44:45], s[44:45], exec
	v_lshl_add_u64 v[16:17], v[16:17], 0, 2
	v_lshl_add_u64 v[18:19], v[18:19], 0, 2
	s_waitcnt vmcnt(0)
	v_cmp_ne_u16_e32 vcc, v20, v21
	s_and_b64 s[48:49], vcc, exec
	s_or_b64 s[44:45], s[44:45], s[48:49]
.LBB1453_269:                           ;   in Loop: Header=BB1453_270 Depth=1
	s_and_b64 s[48:49], exec, s[44:45]
	s_or_b64 s[42:43], s[48:49], s[42:43]
	v_mov_b64_e32 v[20:21], s[46:47]
	s_andn2_b64 exec, exec, s[42:43]
	s_cbranch_execz .LBB1453_272
.LBB1453_270:                           ; =>This Inner Loop Header: Depth=1
	s_or_b64 s[44:45], s[44:45], exec
	s_cmp_eq_u64 s[40:41], s[46:47]
	s_cbranch_scc0 .LBB1453_268
; %bb.271:                              ;   in Loop: Header=BB1453_270 Depth=1
                                        ; implicit-def: $vgpr16_vgpr17
                                        ; implicit-def: $vgpr18_vgpr19
	s_mov_b64 s[46:47], s[26:27]
	s_branch .LBB1453_269
.LBB1453_272:
	s_or_b64 exec, exec, s[42:43]
	v_cmp_gt_i64_e32 vcc, s[26:27], v[20:21]
	s_orn2_b64 s[40:41], vcc, exec
.LBB1453_273:
	s_or_b64 exec, exec, s[12:13]
.LBB1453_274:
	s_and_b64 s[12:13], s[40:41], exec
.LBB1453_275:
	s_or_b64 exec, exec, s[38:39]
	v_cmp_gt_u32_e32 vcc, s52, v30
	s_and_saveexec_b64 s[38:39], vcc
	s_cbranch_execz .LBB1453_286
; %bb.276:
	s_andn2_b64 vcc, exec, s[6:7]
	s_mov_b64 s[40:41], 0
	s_cbranch_vccnz .LBB1453_285
; %bb.277:
	v_mul_lo_u32 v18, v7, s26
	v_mul_lo_u32 v19, v6, s27
	s_waitcnt vmcnt(0) lgkmcnt(1)
	v_mad_u64_u32 v[16:17], s[14:15], v6, s26, 0
	v_add3_u32 v17, v17, v19, v18
	v_mul_lo_u32 v18, v9, s26
	v_mul_lo_u32 v19, v8, s27
	v_mad_u64_u32 v[20:21], s[14:15], v8, s26, 0
	v_add3_u32 v21, v21, v19, v18
	v_lshl_add_u64 v[18:19], v[16:17], 1, s[28:29]
	v_lshl_add_u64 v[16:17], v[20:21], 1, s[28:29]
	global_load_ushort v20, v[18:19], off
	global_load_ushort v21, v[16:17], off
	s_mov_b64 s[40:41], -1
	s_waitcnt vmcnt(0)
	v_cmp_eq_u16_e32 vcc, v20, v21
	s_and_saveexec_b64 s[14:15], vcc
	s_cbranch_execz .LBB1453_284
; %bb.278:
	s_add_u32 s40, s26, -1
	v_lshl_add_u64 v[16:17], v[16:17], 0, 2
	v_lshl_add_u64 v[18:19], v[18:19], 0, 2
	s_addc_u32 s41, s27, -1
	s_mov_b64 s[42:43], 0
	s_mov_b64 s[46:47], 0
                                        ; implicit-def: $sgpr44_sgpr45
	s_branch .LBB1453_281
.LBB1453_279:                           ;   in Loop: Header=BB1453_281 Depth=1
	global_load_ushort v20, v[18:19], off
	global_load_ushort v21, v[16:17], off
	s_add_u32 s46, s46, 1
	s_addc_u32 s47, s47, 0
	s_andn2_b64 s[44:45], s[44:45], exec
	v_lshl_add_u64 v[16:17], v[16:17], 0, 2
	v_lshl_add_u64 v[18:19], v[18:19], 0, 2
	s_waitcnt vmcnt(0)
	v_cmp_ne_u16_e32 vcc, v20, v21
	s_and_b64 s[48:49], vcc, exec
	s_or_b64 s[44:45], s[44:45], s[48:49]
.LBB1453_280:                           ;   in Loop: Header=BB1453_281 Depth=1
	s_and_b64 s[48:49], exec, s[44:45]
	s_or_b64 s[42:43], s[48:49], s[42:43]
	v_mov_b64_e32 v[20:21], s[46:47]
	s_andn2_b64 exec, exec, s[42:43]
	s_cbranch_execz .LBB1453_283
.LBB1453_281:                           ; =>This Inner Loop Header: Depth=1
	s_or_b64 s[44:45], s[44:45], exec
	s_cmp_eq_u64 s[40:41], s[46:47]
	s_cbranch_scc0 .LBB1453_279
; %bb.282:                              ;   in Loop: Header=BB1453_281 Depth=1
                                        ; implicit-def: $vgpr16_vgpr17
                                        ; implicit-def: $vgpr18_vgpr19
	s_mov_b64 s[46:47], s[26:27]
	s_branch .LBB1453_280
.LBB1453_283:
	s_or_b64 exec, exec, s[42:43]
	v_cmp_gt_i64_e32 vcc, s[26:27], v[20:21]
	s_orn2_b64 s[40:41], vcc, exec
.LBB1453_284:
	s_or_b64 exec, exec, s[14:15]
.LBB1453_285:
	s_and_b64 s[14:15], s[40:41], exec
.LBB1453_286:
	s_or_b64 exec, exec, s[38:39]
	v_cmp_gt_u32_e32 vcc, s52, v26
	s_mov_b64 s[38:39], 0
	s_mov_b64 s[40:41], 0
	s_and_saveexec_b64 s[42:43], vcc
	s_cbranch_execz .LBB1453_297
; %bb.287:
	s_andn2_b64 vcc, exec, s[6:7]
	s_mov_b64 s[44:45], 0
	s_cbranch_vccnz .LBB1453_296
; %bb.288:
	v_mul_lo_u32 v18, v13, s26
	v_mul_lo_u32 v19, v12, s27
	s_waitcnt vmcnt(0) lgkmcnt(1)
	v_mad_u64_u32 v[16:17], s[40:41], v12, s26, 0
	v_add3_u32 v17, v17, v19, v18
	v_mul_lo_u32 v18, v7, s26
	v_mul_lo_u32 v19, v6, s27
	v_mad_u64_u32 v[20:21], s[40:41], v6, s26, 0
	v_add3_u32 v21, v21, v19, v18
	v_lshl_add_u64 v[18:19], v[16:17], 1, s[28:29]
	v_lshl_add_u64 v[16:17], v[20:21], 1, s[28:29]
	global_load_ushort v20, v[18:19], off
	global_load_ushort v21, v[16:17], off
	s_mov_b64 s[44:45], -1
	s_waitcnt vmcnt(0)
	v_cmp_eq_u16_e32 vcc, v20, v21
	s_and_saveexec_b64 s[40:41], vcc
	s_cbranch_execz .LBB1453_295
; %bb.289:
	s_add_u32 s44, s26, -1
	v_lshl_add_u64 v[16:17], v[16:17], 0, 2
	v_lshl_add_u64 v[18:19], v[18:19], 0, 2
	s_addc_u32 s45, s27, -1
	s_mov_b64 s[46:47], 0
	s_mov_b64 s[50:51], 0
                                        ; implicit-def: $sgpr48_sgpr49
	s_branch .LBB1453_292
.LBB1453_290:                           ;   in Loop: Header=BB1453_292 Depth=1
	global_load_ushort v20, v[18:19], off
	global_load_ushort v21, v[16:17], off
	s_add_u32 s50, s50, 1
	s_addc_u32 s51, s51, 0
	s_andn2_b64 s[48:49], s[48:49], exec
	v_lshl_add_u64 v[16:17], v[16:17], 0, 2
	v_lshl_add_u64 v[18:19], v[18:19], 0, 2
	s_waitcnt vmcnt(0)
	v_cmp_ne_u16_e32 vcc, v20, v21
	s_and_b64 s[54:55], vcc, exec
	s_or_b64 s[48:49], s[48:49], s[54:55]
.LBB1453_291:                           ;   in Loop: Header=BB1453_292 Depth=1
	s_and_b64 s[54:55], exec, s[48:49]
	s_or_b64 s[46:47], s[54:55], s[46:47]
	v_mov_b64_e32 v[20:21], s[50:51]
	s_andn2_b64 exec, exec, s[46:47]
	s_cbranch_execz .LBB1453_294
.LBB1453_292:                           ; =>This Inner Loop Header: Depth=1
	s_or_b64 s[48:49], s[48:49], exec
	s_cmp_eq_u64 s[44:45], s[50:51]
	s_cbranch_scc0 .LBB1453_290
; %bb.293:                              ;   in Loop: Header=BB1453_292 Depth=1
                                        ; implicit-def: $vgpr16_vgpr17
                                        ; implicit-def: $vgpr18_vgpr19
	s_mov_b64 s[50:51], s[26:27]
	s_branch .LBB1453_291
.LBB1453_294:
	s_or_b64 exec, exec, s[46:47]
	v_cmp_gt_i64_e32 vcc, s[26:27], v[20:21]
	s_orn2_b64 s[44:45], vcc, exec
.LBB1453_295:
	s_or_b64 exec, exec, s[40:41]
.LBB1453_296:
	s_and_b64 s[40:41], s[44:45], exec
.LBB1453_297:
	s_or_b64 exec, exec, s[42:43]
	v_cmp_gt_u32_e32 vcc, s52, v27
	s_and_saveexec_b64 s[42:43], vcc
	s_cbranch_execz .LBB1453_308
; %bb.298:
	s_andn2_b64 vcc, exec, s[6:7]
	s_mov_b64 s[44:45], 0
	s_cbranch_vccnz .LBB1453_307
; %bb.299:
	v_mul_lo_u32 v18, v11, s26
	v_mul_lo_u32 v19, v10, s27
	s_waitcnt vmcnt(0) lgkmcnt(1)
	v_mad_u64_u32 v[16:17], s[38:39], v10, s26, 0
	v_add3_u32 v17, v17, v19, v18
	v_mul_lo_u32 v18, v13, s26
	v_mul_lo_u32 v19, v12, s27
	v_mad_u64_u32 v[20:21], s[38:39], v12, s26, 0
	v_add3_u32 v21, v21, v19, v18
	v_lshl_add_u64 v[18:19], v[16:17], 1, s[28:29]
	v_lshl_add_u64 v[16:17], v[20:21], 1, s[28:29]
	global_load_ushort v20, v[18:19], off
	global_load_ushort v21, v[16:17], off
	s_mov_b64 s[44:45], -1
	s_waitcnt vmcnt(0)
	v_cmp_eq_u16_e32 vcc, v20, v21
	s_and_saveexec_b64 s[38:39], vcc
	s_cbranch_execz .LBB1453_306
; %bb.300:
	s_add_u32 s44, s26, -1
	v_lshl_add_u64 v[16:17], v[16:17], 0, 2
	v_lshl_add_u64 v[18:19], v[18:19], 0, 2
	s_addc_u32 s45, s27, -1
	s_mov_b64 s[46:47], 0
	s_mov_b64 s[50:51], 0
                                        ; implicit-def: $sgpr48_sgpr49
	s_branch .LBB1453_303
.LBB1453_301:                           ;   in Loop: Header=BB1453_303 Depth=1
	global_load_ushort v20, v[18:19], off
	global_load_ushort v21, v[16:17], off
	s_add_u32 s50, s50, 1
	s_addc_u32 s51, s51, 0
	s_andn2_b64 s[48:49], s[48:49], exec
	v_lshl_add_u64 v[16:17], v[16:17], 0, 2
	v_lshl_add_u64 v[18:19], v[18:19], 0, 2
	s_waitcnt vmcnt(0)
	v_cmp_ne_u16_e32 vcc, v20, v21
	s_and_b64 s[54:55], vcc, exec
	s_or_b64 s[48:49], s[48:49], s[54:55]
.LBB1453_302:                           ;   in Loop: Header=BB1453_303 Depth=1
	s_and_b64 s[54:55], exec, s[48:49]
	s_or_b64 s[46:47], s[54:55], s[46:47]
	v_mov_b64_e32 v[20:21], s[50:51]
	s_andn2_b64 exec, exec, s[46:47]
	s_cbranch_execz .LBB1453_305
.LBB1453_303:                           ; =>This Inner Loop Header: Depth=1
	s_or_b64 s[48:49], s[48:49], exec
	s_cmp_eq_u64 s[44:45], s[50:51]
	s_cbranch_scc0 .LBB1453_301
; %bb.304:                              ;   in Loop: Header=BB1453_303 Depth=1
                                        ; implicit-def: $vgpr16_vgpr17
                                        ; implicit-def: $vgpr18_vgpr19
	s_mov_b64 s[50:51], s[26:27]
	s_branch .LBB1453_302
.LBB1453_305:
	s_or_b64 exec, exec, s[46:47]
	v_cmp_gt_i64_e32 vcc, s[26:27], v[20:21]
	s_orn2_b64 s[44:45], vcc, exec
.LBB1453_306:
	s_or_b64 exec, exec, s[38:39]
.LBB1453_307:
	s_and_b64 s[38:39], s[44:45], exec
.LBB1453_308:
	s_or_b64 exec, exec, s[42:43]
	s_waitcnt vmcnt(0) lgkmcnt(1)
	v_cndmask_b32_e64 v17, 0, 1, s[14:15]
	v_cndmask_b32_e64 v16, 0, 1, s[40:41]
	v_cndmask_b32_e64 v34, 0, 1, s[10:11]
	v_lshlrev_b16_e32 v17, 8, v17
	v_cndmask_b32_e64 v25, 0, 1, s[12:13]
	v_cndmask_b32_e64 v18, 0, 1, s[38:39]
	v_or_b32_sdwa v16, v16, v17 dst_sel:WORD_1 dst_unused:UNUSED_PAD src0_sel:DWORD src1_sel:DWORD
	v_lshlrev_b16_e32 v17, 8, v34
	v_lshlrev_b16_e32 v18, 8, v18
	v_or_b32_e32 v17, v25, v17
	v_or_b32_e32 v18, 1, v18
	v_and_b32_e32 v17, 0xffff, v17
	v_cndmask_b32_e64 v35, 0, 1, s[4:5]
	v_or_b32_sdwa v16, v18, v16 dst_sel:DWORD dst_unused:UNUSED_PAD src0_sel:WORD_0 src1_sel:DWORD
	v_lshl_or_b32 v17, v35, 16, v17
	s_waitcnt lgkmcnt(0)
	s_barrier
	s_waitcnt lgkmcnt(0)
                                        ; implicit-def: $sgpr12_sgpr13
                                        ; implicit-def: $vgpr20
	s_and_saveexec_b64 s[4:5], s[2:3]
	s_cbranch_execz .LBB1453_321
; %bb.309:
	v_cmp_gt_u32_e32 vcc, s52, v1
	s_mov_b32 s38, 0x3020104
	s_mov_b64 s[10:11], 0
	s_and_saveexec_b64 s[2:3], vcc
	s_cbranch_execz .LBB1453_320
; %bb.310:
	s_andn2_b64 vcc, exec, s[6:7]
	s_cbranch_vccnz .LBB1453_319
; %bb.311:
	v_add_u32_e32 v17, -8, v24
	ds_read_b64 v[18:19], v17
	v_mul_lo_u32 v17, v11, s26
	v_mad_u64_u32 v[22:23], s[6:7], v10, s26, 0
	s_mov_b64 s[10:11], -1
	s_waitcnt lgkmcnt(0)
	v_mul_lo_u32 v20, v19, s26
	v_mul_lo_u32 v21, v18, s27
	v_mad_u64_u32 v[18:19], s[6:7], v18, s26, 0
	v_add3_u32 v19, v19, v21, v20
	v_mul_lo_u32 v20, v10, s27
	v_add3_u32 v23, v23, v20, v17
	v_lshl_add_u64 v[20:21], v[18:19], 1, s[28:29]
	v_lshl_add_u64 v[18:19], v[22:23], 1, s[28:29]
	global_load_ushort v17, v[20:21], off
	global_load_ushort v22, v[18:19], off
	s_waitcnt vmcnt(0)
	v_cmp_eq_u16_e32 vcc, v17, v22
	s_and_saveexec_b64 s[6:7], vcc
	s_cbranch_execz .LBB1453_318
; %bb.312:
	s_add_u32 s10, s26, -1
	v_lshl_add_u64 v[18:19], v[18:19], 0, 2
	v_lshl_add_u64 v[20:21], v[20:21], 0, 2
	s_addc_u32 s11, s27, -1
	s_mov_b64 s[12:13], 0
	s_mov_b64 s[28:29], 0
                                        ; implicit-def: $sgpr14_sgpr15
	s_branch .LBB1453_315
.LBB1453_313:                           ;   in Loop: Header=BB1453_315 Depth=1
	global_load_ushort v17, v[20:21], off
	global_load_ushort v22, v[18:19], off
	s_add_u32 s28, s28, 1
	s_addc_u32 s29, s29, 0
	s_andn2_b64 s[14:15], s[14:15], exec
	v_lshl_add_u64 v[18:19], v[18:19], 0, 2
	v_lshl_add_u64 v[20:21], v[20:21], 0, 2
	s_waitcnt vmcnt(0)
	v_cmp_ne_u16_e32 vcc, v17, v22
	s_and_b64 s[40:41], vcc, exec
	s_or_b64 s[14:15], s[14:15], s[40:41]
.LBB1453_314:                           ;   in Loop: Header=BB1453_315 Depth=1
	s_and_b64 s[40:41], exec, s[14:15]
	s_or_b64 s[12:13], s[40:41], s[12:13]
	v_mov_b64_e32 v[22:23], s[28:29]
	s_andn2_b64 exec, exec, s[12:13]
	s_cbranch_execz .LBB1453_317
.LBB1453_315:                           ; =>This Inner Loop Header: Depth=1
	s_or_b64 s[14:15], s[14:15], exec
	s_cmp_eq_u64 s[10:11], s[28:29]
	s_cbranch_scc0 .LBB1453_313
; %bb.316:                              ;   in Loop: Header=BB1453_315 Depth=1
                                        ; implicit-def: $vgpr18_vgpr19
                                        ; implicit-def: $vgpr20_vgpr21
	s_mov_b64 s[28:29], s[26:27]
	s_branch .LBB1453_314
.LBB1453_317:
	s_or_b64 exec, exec, s[12:13]
	v_cmp_gt_i64_e32 vcc, s[26:27], v[22:23]
	s_orn2_b64 s[10:11], vcc, exec
.LBB1453_318:
	s_or_b64 exec, exec, s[6:7]
.LBB1453_319:
	s_and_b64 s[10:11], s[10:11], exec
.LBB1453_320:
	s_or_b64 exec, exec, s[2:3]
	v_perm_b32 v20, v16, v16, s38
	s_and_b64 s[12:13], s[10:11], exec
	s_or_b64 s[8:9], s[8:9], exec
                                        ; implicit-def: $vgpr16_vgpr17
.LBB1453_321:
	s_or_b64 exec, exec, s[4:5]
.LBB1453_322:
	s_and_saveexec_b64 s[2:3], s[8:9]
	s_cbranch_execz .LBB1453_324
; %bb.323:
	s_waitcnt vmcnt(0) lgkmcnt(0)
	v_lshlrev_b16_e32 v17, 8, v34
	v_and_b32_e32 v18, 0xff, v35
	v_or_b32_sdwa v17, v25, v17 dst_sel:DWORD dst_unused:UNUSED_PAD src0_sel:BYTE_0 src1_sel:DWORD
	v_lshlrev_b32_e32 v18, 16, v18
	s_movk_i32 s4, 0xff
	v_or_b32_sdwa v17, v17, v18 dst_sel:DWORD dst_unused:UNUSED_PAD src0_sel:WORD_0 src1_sel:DWORD
	v_lshrrev_b32_e32 v18, 24, v20
	v_lshlrev_b16_e32 v18, 8, v18
	v_and_b32_sdwa v19, v20, s4 dst_sel:DWORD dst_unused:UNUSED_PAD src0_sel:WORD_1 src1_sel:DWORD
	v_or_b32_sdwa v18, v19, v18 dst_sel:WORD_1 dst_unused:UNUSED_PAD src0_sel:DWORD src1_sel:DWORD
	v_mov_b32_e32 v19, 8
	v_cndmask_b32_e64 v16, 0, 1, s[12:13]
	v_lshrrev_b32_sdwa v19, v19, v20 dst_sel:BYTE_1 dst_unused:UNUSED_PAD src0_sel:DWORD src1_sel:DWORD
	s_nop 0
	v_or_b32_e32 v16, v16, v19
	v_or_b32_sdwa v16, v16, v18 dst_sel:DWORD dst_unused:UNUSED_PAD src0_sel:WORD_0 src1_sel:DWORD
.LBB1453_324:
	s_or_b64 exec, exec, s[2:3]
	s_andn2_b64 vcc, exec, s[0:1]
	s_cbranch_vccnz .LBB1453_326
; %bb.325:
	s_waitcnt vmcnt(0) lgkmcnt(0)
	v_and_b32_e32 v18, 0xffff0000, v16
	v_cmp_gt_u32_e32 vcc, s52, v1
	s_mov_b32 s0, 0x40c0100
	s_nop 0
	v_cndmask_b32_e32 v1, v18, v16, vcc
	v_and_b32_e32 v1, 0xffff00ff, v1
	v_cmp_gt_u32_e32 vcc, s52, v27
	s_nop 1
	v_cndmask_b32_e32 v1, v1, v16, vcc
	v_lshrrev_b32_e32 v18, 24, v1
	v_perm_b32 v1, v18, v1, s0
	v_cmp_gt_u32_e32 vcc, s52, v26
	v_and_b32_e32 v18, 0xffffff00, v17
	s_nop 0
	v_cndmask_b32_e32 v1, v1, v16, vcc
	v_and_b32_e32 v1, 0xffffff, v1
	v_cmp_gt_u32_e32 vcc, s52, v30
	s_nop 1
	v_cndmask_b32_e32 v1, v1, v16, vcc
	v_cmp_gt_u32_e32 vcc, s52, v28
	s_nop 1
	v_cndmask_b32_e32 v18, v18, v17, vcc
	v_and_b32_e32 v18, 0xffff00ff, v18
	v_cndmask_b32_e32 v1, v1, v16, vcc
	v_cmp_gt_u32_e32 vcc, s52, v31
	s_nop 1
	v_cndmask_b32_e32 v18, v18, v17, vcc
	v_lshrrev_b32_e32 v19, 24, v18
	v_cndmask_b32_e32 v1, v1, v16, vcc
	v_perm_b32 v18, v19, v18, s0
	v_cmp_gt_u32_e32 vcc, s52, v29
	s_mov_b32 s0, 0x3020104
	s_nop 0
	v_cndmask_b32_e32 v1, v1, v16, vcc
	v_cndmask_b32_e32 v16, v18, v17, vcc
	v_mov_b32_e32 v17, 8
	v_lshrrev_b32_sdwa v17, v17, v16 dst_sel:BYTE_1 dst_unused:UNUSED_PAD src0_sel:DWORD src1_sel:DWORD
	s_nop 0
	v_or_b32_sdwa v17, v16, v17 dst_sel:DWORD dst_unused:UNUSED_PAD src0_sel:BYTE_0 src1_sel:DWORD
	v_and_b32_e32 v17, 0xffff, v17
	v_bfe_u32 v16, v16, 16, 8
	v_lshl_or_b32 v17, v16, 16, v17
	v_perm_b32 v16, v1, v1, s0
.LBB1453_326:
	s_waitcnt vmcnt(0) lgkmcnt(0)
	v_and_b32_e32 v1, 0xff, v16
	v_bfe_u32 v29, v16, 8, 8
	v_bfe_u32 v31, v16, 16, 8
	v_alignbit_b32 v18, v17, v16, 24
	v_and_b32_e32 v33, 0xff, v18
	v_and_b32_e32 v35, 0xff, v17
	v_add3_u32 v19, v29, v1, v31
	v_bfe_u32 v36, v17, 8, 8
	v_bfe_u32 v18, v17, 16, 8
	v_add3_u32 v19, v19, v33, v35
	v_add3_u32 v39, v19, v36, v18
	v_mbcnt_lo_u32_b32 v18, -1, 0
	v_mbcnt_hi_u32_b32 v37, -1, v18
	v_and_b32_e32 v18, 15, v37
	v_cmp_eq_u32_e64 s[14:15], 0, v18
	v_cmp_lt_u32_e64 s[12:13], 1, v18
	v_cmp_lt_u32_e64 s[10:11], 3, v18
	;; [unrolled: 1-line block ×3, first 2 shown]
	v_and_b32_e32 v18, 16, v37
	v_cmp_eq_u32_e64 s[6:7], 0, v18
	v_or_b32_e32 v18, 63, v0
	v_cmp_lt_u32_e64 s[2:3], 31, v37
	v_lshrrev_b32_e32 v38, 6, v0
	v_cmp_eq_u32_e64 s[4:5], v18, v0
	s_and_b64 vcc, exec, s[16:17]
	s_barrier
	s_cbranch_vccz .LBB1453_353
; %bb.327:
	v_mov_b32_dpp v18, v39 row_shr:1 row_mask:0xf bank_mask:0xf
	v_cndmask_b32_e64 v18, v18, 0, s[14:15]
	v_add_u32_e32 v18, v18, v39
	s_nop 1
	v_mov_b32_dpp v19, v18 row_shr:2 row_mask:0xf bank_mask:0xf
	v_cndmask_b32_e64 v19, 0, v19, s[12:13]
	v_add_u32_e32 v18, v18, v19
	s_nop 1
	;; [unrolled: 4-line block ×4, first 2 shown]
	v_mov_b32_dpp v19, v18 row_bcast:15 row_mask:0xf bank_mask:0xf
	v_cndmask_b32_e64 v19, v19, 0, s[6:7]
	v_add_u32_e32 v18, v18, v19
	s_nop 1
	v_mov_b32_dpp v19, v18 row_bcast:31 row_mask:0xf bank_mask:0xf
	v_cndmask_b32_e64 v19, 0, v19, s[2:3]
	v_add_u32_e32 v18, v18, v19
	s_and_saveexec_b64 s[0:1], s[4:5]
	s_cbranch_execz .LBB1453_329
; %bb.328:
	v_lshlrev_b32_e32 v19, 2, v38
	ds_write_b32 v19, v18
.LBB1453_329:
	s_or_b64 exec, exec, s[0:1]
	v_cmp_gt_u32_e32 vcc, 8, v0
	s_waitcnt lgkmcnt(0)
	s_barrier
	s_and_saveexec_b64 s[0:1], vcc
	s_cbranch_execz .LBB1453_331
; %bb.330:
	v_lshlrev_b32_e32 v19, 2, v0
	ds_read_b32 v20, v19
	v_and_b32_e32 v21, 7, v37
	v_cmp_ne_u32_e32 vcc, 0, v21
	s_waitcnt lgkmcnt(0)
	v_mov_b32_dpp v22, v20 row_shr:1 row_mask:0xf bank_mask:0xf
	v_cndmask_b32_e32 v22, 0, v22, vcc
	v_add_u32_e32 v20, v22, v20
	v_cmp_lt_u32_e32 vcc, 1, v21
	s_nop 0
	v_mov_b32_dpp v22, v20 row_shr:2 row_mask:0xf bank_mask:0xf
	v_cndmask_b32_e32 v22, 0, v22, vcc
	v_add_u32_e32 v20, v20, v22
	v_cmp_lt_u32_e32 vcc, 3, v21
	s_nop 0
	v_mov_b32_dpp v22, v20 row_shr:4 row_mask:0xf bank_mask:0xf
	v_cndmask_b32_e32 v21, 0, v22, vcc
	v_add_u32_e32 v20, v20, v21
	ds_write_b32 v19, v20
.LBB1453_331:
	s_or_b64 exec, exec, s[0:1]
	v_cmp_gt_u32_e32 vcc, 64, v0
	v_cmp_lt_u32_e64 s[0:1], 63, v0
	s_waitcnt lgkmcnt(0)
	s_barrier
	s_waitcnt lgkmcnt(0)
                                        ; implicit-def: $vgpr28
	s_and_saveexec_b64 s[16:17], s[0:1]
	s_cbranch_execz .LBB1453_333
; %bb.332:
	v_lshl_add_u32 v19, v38, 2, -4
	ds_read_b32 v28, v19
	s_waitcnt lgkmcnt(0)
	v_add_u32_e32 v18, v28, v18
.LBB1453_333:
	s_or_b64 exec, exec, s[16:17]
	v_add_u32_e32 v19, -1, v37
	v_and_b32_e32 v20, 64, v37
	v_cmp_lt_i32_e64 s[0:1], v19, v20
	v_cmp_eq_u32_e64 s[16:17], 0, v37
	s_nop 0
	v_cndmask_b32_e64 v19, v19, v37, s[0:1]
	v_lshlrev_b32_e32 v19, 2, v19
	ds_bpermute_b32 v30, v19, v18
	s_and_saveexec_b64 s[0:1], vcc
	s_cbranch_execz .LBB1453_352
; %bb.334:
	v_mov_b32_e32 v25, 0
	ds_read_b32 v18, v25 offset:28
	s_and_saveexec_b64 s[26:27], s[16:17]
	s_cbranch_execz .LBB1453_336
; %bb.335:
	s_add_i32 s28, s33, 64
	s_mov_b32 s29, 0
	s_lshl_b64 s[28:29], s[28:29], 3
	s_add_u32 s28, s30, s28
	v_mov_b32_e32 v19, 1
	s_addc_u32 s29, s31, s29
	s_waitcnt lgkmcnt(0)
	global_store_dwordx2 v25, v[18:19], s[28:29] sc1
.LBB1453_336:
	s_or_b64 exec, exec, s[26:27]
	v_xad_u32 v20, v37, -1, s33
	v_add_u32_e32 v24, 64, v20
	v_lshl_add_u64 v[26:27], v[24:25], 3, s[30:31]
	global_load_dwordx2 v[22:23], v[26:27], off sc1
	s_waitcnt vmcnt(0)
	v_cmp_eq_u16_sdwa s[28:29], v23, v25 src0_sel:BYTE_0 src1_sel:DWORD
	s_and_saveexec_b64 s[26:27], s[28:29]
	s_cbranch_execz .LBB1453_340
; %bb.337:
	s_mov_b64 s[28:29], 0
	v_mov_b32_e32 v19, 0
.LBB1453_338:                           ; =>This Inner Loop Header: Depth=1
	global_load_dwordx2 v[22:23], v[26:27], off sc1
	s_waitcnt vmcnt(0)
	v_cmp_ne_u16_sdwa s[38:39], v23, v19 src0_sel:BYTE_0 src1_sel:DWORD
	s_or_b64 s[28:29], s[38:39], s[28:29]
	s_andn2_b64 exec, exec, s[28:29]
	s_cbranch_execnz .LBB1453_338
; %bb.339:
	s_or_b64 exec, exec, s[28:29]
.LBB1453_340:
	s_or_b64 exec, exec, s[26:27]
	v_and_b32_e32 v32, 63, v37
	v_mov_b32_e32 v19, 2
	v_cmp_ne_u32_e32 vcc, 63, v32
	v_cmp_eq_u16_sdwa s[26:27], v23, v19 src0_sel:BYTE_0 src1_sel:DWORD
	v_lshlrev_b64 v[24:25], v37, -1
	v_addc_co_u32_e32 v27, vcc, 0, v37, vcc
	v_and_b32_e32 v21, s27, v25
	v_lshlrev_b32_e32 v34, 2, v27
	v_or_b32_e32 v21, 0x80000000, v21
	ds_bpermute_b32 v27, v34, v22
	v_and_b32_e32 v26, s26, v24
	v_ffbl_b32_e32 v21, v21
	v_add_u32_e32 v21, 32, v21
	v_ffbl_b32_e32 v26, v26
	v_min_u32_e32 v21, v26, v21
	v_cmp_lt_u32_e32 vcc, v32, v21
	v_add_u32_e32 v41, 2, v32
	v_add_u32_e32 v43, 4, v32
	s_waitcnt lgkmcnt(0)
	v_cndmask_b32_e32 v26, 0, v27, vcc
	v_cmp_gt_u32_e32 vcc, 62, v32
	v_add_u32_e32 v22, v26, v22
	v_add_u32_e32 v45, 8, v32
	v_cndmask_b32_e64 v26, 0, 1, vcc
	v_lshlrev_b32_e32 v26, 1, v26
	v_add_lshl_u32 v40, v26, v37, 2
	ds_bpermute_b32 v26, v40, v22
	v_cmp_le_u32_e32 vcc, v41, v21
	v_add_u32_e32 v48, 16, v32
	v_add_u32_e32 v50, 32, v32
	s_waitcnt lgkmcnt(0)
	v_cndmask_b32_e32 v26, 0, v26, vcc
	v_cmp_gt_u32_e32 vcc, 60, v32
	v_add_u32_e32 v22, v22, v26
	s_nop 0
	v_cndmask_b32_e64 v26, 0, 1, vcc
	v_lshlrev_b32_e32 v26, 2, v26
	v_add_lshl_u32 v42, v26, v37, 2
	ds_bpermute_b32 v26, v42, v22
	v_cmp_le_u32_e32 vcc, v43, v21
	s_waitcnt lgkmcnt(0)
	s_nop 0
	v_cndmask_b32_e32 v26, 0, v26, vcc
	v_cmp_gt_u32_e32 vcc, 56, v32
	v_add_u32_e32 v22, v22, v26
	s_nop 0
	v_cndmask_b32_e64 v26, 0, 1, vcc
	v_lshlrev_b32_e32 v26, 3, v26
	v_add_lshl_u32 v44, v26, v37, 2
	ds_bpermute_b32 v26, v44, v22
	v_cmp_le_u32_e32 vcc, v45, v21
	s_waitcnt lgkmcnt(0)
	s_nop 0
	;; [unrolled: 11-line block ×4, first 2 shown]
	v_cndmask_b32_e32 v21, 0, v26, vcc
	v_add_u32_e32 v22, v22, v21
	v_mov_b32_e32 v21, 0
	s_branch .LBB1453_342
.LBB1453_341:                           ;   in Loop: Header=BB1453_342 Depth=1
	s_or_b64 exec, exec, s[26:27]
	v_cmp_eq_u16_sdwa s[26:27], v23, v19 src0_sel:BYTE_0 src1_sel:DWORD
	ds_bpermute_b32 v51, v34, v22
	v_subrev_u32_e32 v20, 64, v20
	v_and_b32_e32 v26, s27, v25
	v_or_b32_e32 v26, 0x80000000, v26
	v_and_b32_e32 v27, s26, v24
	v_ffbl_b32_e32 v26, v26
	v_add_u32_e32 v26, 32, v26
	v_ffbl_b32_e32 v27, v27
	v_min_u32_e32 v26, v27, v26
	v_cmp_lt_u32_e32 vcc, v32, v26
	s_waitcnt lgkmcnt(0)
	s_nop 0
	v_cndmask_b32_e32 v27, 0, v51, vcc
	v_add_u32_e32 v22, v27, v22
	ds_bpermute_b32 v27, v40, v22
	v_cmp_le_u32_e32 vcc, v41, v26
	s_waitcnt lgkmcnt(0)
	s_nop 0
	v_cndmask_b32_e32 v27, 0, v27, vcc
	v_add_u32_e32 v22, v22, v27
	ds_bpermute_b32 v27, v42, v22
	v_cmp_le_u32_e32 vcc, v43, v26
	;; [unrolled: 6-line block ×5, first 2 shown]
	s_waitcnt lgkmcnt(0)
	s_nop 0
	v_cndmask_b32_e32 v26, 0, v27, vcc
	v_add3_u32 v22, v26, v46, v22
.LBB1453_342:                           ; =>This Loop Header: Depth=1
                                        ;     Child Loop BB1453_345 Depth 2
	v_cmp_ne_u16_sdwa s[26:27], v23, v19 src0_sel:BYTE_0 src1_sel:DWORD
	v_mov_b32_e32 v46, v22
	s_nop 0
	v_cndmask_b32_e64 v23, 0, 1, s[26:27]
	;;#ASMSTART
	;;#ASMEND
	s_nop 0
	v_cmp_ne_u32_e32 vcc, 0, v23
	s_cmp_lg_u64 vcc, exec
	s_cbranch_scc1 .LBB1453_347
; %bb.343:                              ;   in Loop: Header=BB1453_342 Depth=1
	v_lshl_add_u64 v[26:27], v[20:21], 3, s[30:31]
	global_load_dwordx2 v[22:23], v[26:27], off sc1
	s_waitcnt vmcnt(0)
	v_cmp_eq_u16_sdwa s[28:29], v23, v21 src0_sel:BYTE_0 src1_sel:DWORD
	s_and_saveexec_b64 s[26:27], s[28:29]
	s_cbranch_execz .LBB1453_341
; %bb.344:                              ;   in Loop: Header=BB1453_342 Depth=1
	s_mov_b64 s[28:29], 0
.LBB1453_345:                           ;   Parent Loop BB1453_342 Depth=1
                                        ; =>  This Inner Loop Header: Depth=2
	global_load_dwordx2 v[22:23], v[26:27], off sc1
	s_waitcnt vmcnt(0)
	v_cmp_ne_u16_sdwa s[38:39], v23, v21 src0_sel:BYTE_0 src1_sel:DWORD
	s_or_b64 s[28:29], s[38:39], s[28:29]
	s_andn2_b64 exec, exec, s[28:29]
	s_cbranch_execnz .LBB1453_345
; %bb.346:                              ;   in Loop: Header=BB1453_342 Depth=1
	s_or_b64 exec, exec, s[28:29]
	s_branch .LBB1453_341
.LBB1453_347:                           ;   in Loop: Header=BB1453_342 Depth=1
                                        ; implicit-def: $vgpr22
                                        ; implicit-def: $vgpr23
	s_cbranch_execz .LBB1453_342
; %bb.348:
	s_and_saveexec_b64 s[26:27], s[16:17]
	s_cbranch_execz .LBB1453_350
; %bb.349:
	s_add_i32 s28, s33, 64
	s_mov_b32 s29, 0
	s_lshl_b64 s[28:29], s[28:29], 3
	s_add_u32 s28, s30, s28
	v_add_u32_e32 v20, v46, v18
	v_mov_b32_e32 v21, 2
	s_addc_u32 s29, s31, s29
	v_mov_b32_e32 v19, 0
	global_store_dwordx2 v19, v[20:21], s[28:29] sc1
	s_movk_i32 s28, 0x7000
	v_add_u32_e64 v19, s28, 0
	ds_write2_b32 v19, v18, v46 offset1:2
.LBB1453_350:
	s_or_b64 exec, exec, s[26:27]
	s_and_b64 exec, exec, s[18:19]
	s_cbranch_execz .LBB1453_352
; %bb.351:
	v_mov_b32_e32 v18, 0
	ds_write_b32 v18, v46 offset:28
.LBB1453_352:
	s_or_b64 exec, exec, s[0:1]
	v_mov_b32_e32 v18, 0
	s_waitcnt lgkmcnt(0)
	s_barrier
	ds_read_b32 v18, v18 offset:28
	v_cndmask_b32_e64 v19, v30, v28, s[16:17]
	v_cndmask_b32_e64 v19, v19, 0, s[18:19]
	s_movk_i32 s0, 0x7000
	s_waitcnt lgkmcnt(0)
	v_add_u32_e32 v34, v18, v19
	v_add_u32_e32 v32, v34, v1
	v_add_u32_e64 v18, s0, 0
	v_add_u32_e32 v30, v32, v29
	s_barrier
	ds_read2_b32 v[18:19], v18 offset1:2
	v_add_u32_e32 v28, v30, v31
	v_add_u32_e32 v26, v28, v33
	;; [unrolled: 1-line block ×4, first 2 shown]
	v_lshrrev_b64 v[20:21], 24, v[16:17]
	s_branch .LBB1453_363
.LBB1453_353:
                                        ; implicit-def: $vgpr22
                                        ; implicit-def: $vgpr24
                                        ; implicit-def: $vgpr26
                                        ; implicit-def: $vgpr28
                                        ; implicit-def: $vgpr30
                                        ; implicit-def: $vgpr32
                                        ; implicit-def: $vgpr34
                                        ; implicit-def: $vgpr19
	v_lshrrev_b64 v[20:21], 24, v[16:17]
	s_cbranch_execz .LBB1453_363
; %bb.354:
	s_waitcnt lgkmcnt(0)
	v_mov_b32_dpp v18, v39 row_shr:1 row_mask:0xf bank_mask:0xf
	v_cndmask_b32_e64 v18, v18, 0, s[14:15]
	v_add_u32_e32 v18, v18, v39
	s_nop 1
	v_mov_b32_dpp v19, v18 row_shr:2 row_mask:0xf bank_mask:0xf
	v_cndmask_b32_e64 v19, 0, v19, s[12:13]
	v_add_u32_e32 v18, v18, v19
	s_nop 1
	v_mov_b32_dpp v19, v18 row_shr:4 row_mask:0xf bank_mask:0xf
	v_cndmask_b32_e64 v19, 0, v19, s[10:11]
	v_add_u32_e32 v18, v18, v19
	s_nop 1
	v_mov_b32_dpp v19, v18 row_shr:8 row_mask:0xf bank_mask:0xf
	v_cndmask_b32_e64 v19, 0, v19, s[8:9]
	v_add_u32_e32 v18, v18, v19
	s_nop 1
	v_mov_b32_dpp v19, v18 row_bcast:15 row_mask:0xf bank_mask:0xf
	v_cndmask_b32_e64 v19, v19, 0, s[6:7]
	v_add_u32_e32 v18, v18, v19
	s_nop 1
	v_mov_b32_dpp v19, v18 row_bcast:31 row_mask:0xf bank_mask:0xf
	v_cndmask_b32_e64 v19, 0, v19, s[2:3]
	v_add_u32_e32 v18, v18, v19
	s_and_saveexec_b64 s[0:1], s[4:5]
	s_cbranch_execz .LBB1453_356
; %bb.355:
	v_lshlrev_b32_e32 v19, 2, v38
	ds_write_b32 v19, v18
.LBB1453_356:
	s_or_b64 exec, exec, s[0:1]
	v_cmp_gt_u32_e32 vcc, 8, v0
	s_waitcnt lgkmcnt(0)
	s_barrier
	s_and_saveexec_b64 s[0:1], vcc
	s_cbranch_execz .LBB1453_358
; %bb.357:
	v_lshlrev_b32_e32 v19, 2, v0
	ds_read_b32 v21, v19
	v_and_b32_e32 v22, 7, v37
	v_cmp_ne_u32_e32 vcc, 0, v22
	s_waitcnt lgkmcnt(0)
	v_mov_b32_dpp v23, v21 row_shr:1 row_mask:0xf bank_mask:0xf
	v_cndmask_b32_e32 v23, 0, v23, vcc
	v_add_u32_e32 v21, v23, v21
	v_cmp_lt_u32_e32 vcc, 1, v22
	s_nop 0
	v_mov_b32_dpp v23, v21 row_shr:2 row_mask:0xf bank_mask:0xf
	v_cndmask_b32_e32 v23, 0, v23, vcc
	v_add_u32_e32 v21, v21, v23
	v_cmp_lt_u32_e32 vcc, 3, v22
	s_nop 0
	v_mov_b32_dpp v23, v21 row_shr:4 row_mask:0xf bank_mask:0xf
	v_cndmask_b32_e32 v22, 0, v23, vcc
	v_add_u32_e32 v21, v21, v22
	ds_write_b32 v19, v21
.LBB1453_358:
	s_or_b64 exec, exec, s[0:1]
	v_cmp_lt_u32_e32 vcc, 63, v0
	v_mov_b32_e32 v19, 0
	v_mov_b32_e32 v21, 0
	s_waitcnt lgkmcnt(0)
	s_barrier
	s_and_saveexec_b64 s[0:1], vcc
	s_cbranch_execz .LBB1453_360
; %bb.359:
	v_lshl_add_u32 v21, v38, 2, -4
	ds_read_b32 v21, v21
.LBB1453_360:
	s_or_b64 exec, exec, s[0:1]
	v_add_u32_e32 v22, -1, v37
	v_and_b32_e32 v23, 64, v37
	v_cmp_lt_i32_e32 vcc, v22, v23
	s_waitcnt lgkmcnt(0)
	v_add_u32_e32 v18, v21, v18
	v_cndmask_b32_e32 v22, v22, v37, vcc
	v_lshlrev_b32_e32 v22, 2, v22
	ds_bpermute_b32 v22, v22, v18
	ds_read_b32 v18, v19 offset:28
	s_and_saveexec_b64 s[0:1], s[18:19]
	s_cbranch_execz .LBB1453_362
; %bb.361:
	v_mov_b32_e32 v23, 0
	v_mov_b32_e32 v19, 2
	s_waitcnt lgkmcnt(0)
	global_store_dwordx2 v23, v[18:19], s[30:31] offset:512 sc1
.LBB1453_362:
	s_or_b64 exec, exec, s[0:1]
	v_cmp_eq_u32_e32 vcc, 0, v37
	v_mov_b32_e32 v19, 0
	s_waitcnt lgkmcnt(0)
	v_cndmask_b32_e32 v21, v22, v21, vcc
	v_cndmask_b32_e64 v34, v21, 0, s[18:19]
	v_add_u32_e32 v32, v34, v1
	v_add_u32_e32 v30, v32, v29
	;; [unrolled: 1-line block ×6, first 2 shown]
	s_barrier
.LBB1453_363:
	s_movk_i32 s0, 0x201
	s_waitcnt lgkmcnt(0)
	v_cmp_gt_u32_e32 vcc, s0, v18
	v_lshrrev_b32_e32 v21, 8, v16
	v_lshrrev_b32_e32 v1, 8, v17
	s_mov_b64 s[0:1], -1
	s_cbranch_vccnz .LBB1453_367
; %bb.364:
	s_and_b64 vcc, exec, s[0:1]
	s_cbranch_vccnz .LBB1453_389
.LBB1453_365:
	s_and_b64 s[0:1], s[18:19], s[24:25]
	s_and_saveexec_b64 s[2:3], s[0:1]
	s_cbranch_execnz .LBB1453_407
.LBB1453_366:
	s_endpgm
.LBB1453_367:
	v_add_u32_e32 v23, v19, v18
	v_cmp_lt_u32_e32 vcc, v34, v23
	s_or_b64 s[2:3], s[36:37], vcc
	s_and_saveexec_b64 s[0:1], s[2:3]
	s_cbranch_execz .LBB1453_370
; %bb.368:
	v_and_b32_e32 v25, 1, v16
	v_cmp_eq_u32_e32 vcc, 1, v25
	s_and_b64 exec, exec, vcc
	s_cbranch_execz .LBB1453_370
; %bb.369:
	s_lshl_b64 s[2:3], s[22:23], 3
	s_add_u32 s2, s34, s2
	s_addc_u32 s3, s35, s3
	v_mov_b32_e32 v35, 0
	v_lshl_add_u64 v[36:37], v[34:35], 3, s[2:3]
	global_store_dwordx2 v[36:37], v[10:11], off
.LBB1453_370:
	s_or_b64 exec, exec, s[0:1]
	v_cmp_lt_u32_e32 vcc, v32, v23
	s_or_b64 s[2:3], s[36:37], vcc
	s_and_saveexec_b64 s[0:1], s[2:3]
	s_cbranch_execz .LBB1453_373
; %bb.371:
	v_and_b32_e32 v25, 1, v21
	v_cmp_eq_u32_e32 vcc, 1, v25
	s_and_b64 exec, exec, vcc
	s_cbranch_execz .LBB1453_373
; %bb.372:
	s_lshl_b64 s[2:3], s[22:23], 3
	s_add_u32 s2, s34, s2
	s_addc_u32 s3, s35, s3
	v_mov_b32_e32 v33, 0
	v_lshl_add_u64 v[36:37], v[32:33], 3, s[2:3]
	global_store_dwordx2 v[36:37], v[12:13], off
.LBB1453_373:
	s_or_b64 exec, exec, s[0:1]
	v_cmp_lt_u32_e32 vcc, v30, v23
	s_or_b64 s[2:3], s[36:37], vcc
	s_and_saveexec_b64 s[0:1], s[2:3]
	s_cbranch_execz .LBB1453_376
; %bb.374:
	v_mov_b32_e32 v25, 1
	v_and_b32_sdwa v25, v25, v16 dst_sel:DWORD dst_unused:UNUSED_PAD src0_sel:DWORD src1_sel:WORD_1
	v_cmp_eq_u32_e32 vcc, 1, v25
	s_and_b64 exec, exec, vcc
	s_cbranch_execz .LBB1453_376
; %bb.375:
	s_lshl_b64 s[2:3], s[22:23], 3
	s_add_u32 s2, s34, s2
	s_addc_u32 s3, s35, s3
	v_mov_b32_e32 v31, 0
	v_lshl_add_u64 v[36:37], v[30:31], 3, s[2:3]
	global_store_dwordx2 v[36:37], v[6:7], off
.LBB1453_376:
	s_or_b64 exec, exec, s[0:1]
	v_cmp_lt_u32_e32 vcc, v28, v23
	s_or_b64 s[2:3], s[36:37], vcc
	s_and_saveexec_b64 s[0:1], s[2:3]
	s_cbranch_execz .LBB1453_379
; %bb.377:
	v_and_b32_e32 v25, 1, v20
	v_cmp_eq_u32_e32 vcc, 1, v25
	s_and_b64 exec, exec, vcc
	s_cbranch_execz .LBB1453_379
; %bb.378:
	s_lshl_b64 s[2:3], s[22:23], 3
	s_add_u32 s2, s34, s2
	s_addc_u32 s3, s35, s3
	v_mov_b32_e32 v29, 0
	v_lshl_add_u64 v[36:37], v[28:29], 3, s[2:3]
	global_store_dwordx2 v[36:37], v[8:9], off
.LBB1453_379:
	s_or_b64 exec, exec, s[0:1]
	v_cmp_lt_u32_e32 vcc, v26, v23
	s_or_b64 s[2:3], s[36:37], vcc
	s_and_saveexec_b64 s[0:1], s[2:3]
	s_cbranch_execz .LBB1453_382
; %bb.380:
	v_and_b32_e32 v25, 1, v17
	v_cmp_eq_u32_e32 vcc, 1, v25
	s_and_b64 exec, exec, vcc
	s_cbranch_execz .LBB1453_382
; %bb.381:
	s_lshl_b64 s[2:3], s[22:23], 3
	s_add_u32 s2, s34, s2
	s_addc_u32 s3, s35, s3
	v_mov_b32_e32 v27, 0
	v_lshl_add_u64 v[36:37], v[26:27], 3, s[2:3]
	global_store_dwordx2 v[36:37], v[2:3], off
.LBB1453_382:
	;; [unrolled: 18-line block ×3, first 2 shown]
	s_or_b64 exec, exec, s[0:1]
	v_cmp_lt_u32_e32 vcc, v22, v23
	s_or_b64 s[2:3], s[36:37], vcc
	s_and_saveexec_b64 s[0:1], s[2:3]
	s_cbranch_execz .LBB1453_388
; %bb.386:
	v_mov_b32_e32 v23, 1
	v_and_b32_sdwa v23, v23, v17 dst_sel:DWORD dst_unused:UNUSED_PAD src0_sel:DWORD src1_sel:WORD_1
	v_cmp_eq_u32_e32 vcc, 1, v23
	s_and_b64 exec, exec, vcc
	s_cbranch_execz .LBB1453_388
; %bb.387:
	s_lshl_b64 s[2:3], s[22:23], 3
	s_add_u32 s2, s34, s2
	s_addc_u32 s3, s35, s3
	v_mov_b32_e32 v23, 0
	v_lshl_add_u64 v[36:37], v[22:23], 3, s[2:3]
	global_store_dwordx2 v[36:37], v[14:15], off
.LBB1453_388:
	s_or_b64 exec, exec, s[0:1]
	s_branch .LBB1453_365
.LBB1453_389:
	v_and_b32_e32 v23, 1, v16
	v_cmp_eq_u32_e32 vcc, 1, v23
	s_and_saveexec_b64 s[0:1], vcc
	s_cbranch_execz .LBB1453_391
; %bb.390:
	v_sub_u32_e32 v23, v34, v19
	v_lshlrev_b32_e32 v23, 3, v23
	ds_write_b64 v23, v[10:11]
.LBB1453_391:
	s_or_b64 exec, exec, s[0:1]
	v_and_b32_e32 v10, 1, v21
	v_cmp_eq_u32_e32 vcc, 1, v10
	s_and_saveexec_b64 s[0:1], vcc
	s_cbranch_execz .LBB1453_393
; %bb.392:
	v_sub_u32_e32 v10, v32, v19
	v_lshlrev_b32_e32 v10, 3, v10
	ds_write_b64 v10, v[12:13]
.LBB1453_393:
	s_or_b64 exec, exec, s[0:1]
	v_mov_b32_e32 v10, 1
	v_and_b32_sdwa v10, v10, v16 dst_sel:DWORD dst_unused:UNUSED_PAD src0_sel:DWORD src1_sel:WORD_1
	v_cmp_eq_u32_e32 vcc, 1, v10
	s_and_saveexec_b64 s[0:1], vcc
	s_cbranch_execz .LBB1453_395
; %bb.394:
	v_sub_u32_e32 v10, v30, v19
	v_lshlrev_b32_e32 v10, 3, v10
	ds_write_b64 v10, v[6:7]
.LBB1453_395:
	s_or_b64 exec, exec, s[0:1]
	v_and_b32_e32 v6, 1, v20
	v_cmp_eq_u32_e32 vcc, 1, v6
	s_and_saveexec_b64 s[0:1], vcc
	s_cbranch_execz .LBB1453_397
; %bb.396:
	v_sub_u32_e32 v6, v28, v19
	v_lshlrev_b32_e32 v6, 3, v6
	ds_write_b64 v6, v[8:9]
.LBB1453_397:
	s_or_b64 exec, exec, s[0:1]
	v_and_b32_e32 v6, 1, v17
	;; [unrolled: 10-line block ×3, first 2 shown]
	v_cmp_eq_u32_e32 vcc, 1, v1
	s_and_saveexec_b64 s[0:1], vcc
	s_cbranch_execz .LBB1453_401
; %bb.400:
	v_sub_u32_e32 v1, v24, v19
	v_lshlrev_b32_e32 v1, 3, v1
	ds_write_b64 v1, v[4:5]
.LBB1453_401:
	s_or_b64 exec, exec, s[0:1]
	v_mov_b32_e32 v1, 1
	v_and_b32_sdwa v1, v1, v17 dst_sel:DWORD dst_unused:UNUSED_PAD src0_sel:DWORD src1_sel:WORD_1
	v_cmp_eq_u32_e32 vcc, 1, v1
	s_and_saveexec_b64 s[0:1], vcc
	s_cbranch_execz .LBB1453_403
; %bb.402:
	v_sub_u32_e32 v1, v22, v19
	v_lshlrev_b32_e32 v1, 3, v1
	ds_write_b64 v1, v[14:15]
.LBB1453_403:
	s_or_b64 exec, exec, s[0:1]
	v_cmp_lt_u32_e32 vcc, v0, v18
	s_waitcnt lgkmcnt(0)
	s_barrier
	s_and_saveexec_b64 s[0:1], vcc
	s_cbranch_execz .LBB1453_406
; %bb.404:
	v_mov_b32_e32 v5, 0
	v_mov_b32_e32 v4, v19
	s_lshl_b64 s[2:3], s[22:23], 3
	v_lshlrev_b64 v[6:7], 3, v[4:5]
	v_lshl_add_u64 v[6:7], s[2:3], 0, v[6:7]
	v_lshlrev_b32_e32 v2, 3, v0
	v_mov_b32_e32 v3, v5
	v_lshl_add_u64 v[4:5], s[34:35], 0, v[6:7]
	v_lshl_add_u64 v[4:5], v[4:5], 0, v[2:3]
	s_mov_b64 s[2:3], 0
	s_mov_b64 s[4:5], 0x1000
.LBB1453_405:                           ; =>This Inner Loop Header: Depth=1
	ds_read_b64 v[6:7], v2
	v_add_u32_e32 v0, 0x200, v0
	v_cmp_ge_u32_e32 vcc, v0, v18
	v_add_u32_e32 v2, 0x1000, v2
	s_or_b64 s[2:3], vcc, s[2:3]
	s_waitcnt lgkmcnt(0)
	global_store_dwordx2 v[4:5], v[6:7], off
	v_lshl_add_u64 v[4:5], v[4:5], 0, s[4:5]
	s_andn2_b64 exec, exec, s[2:3]
	s_cbranch_execnz .LBB1453_405
.LBB1453_406:
	s_or_b64 exec, exec, s[0:1]
	s_and_b64 s[0:1], s[18:19], s[24:25]
	s_and_saveexec_b64 s[2:3], s[0:1]
	s_cbranch_execz .LBB1453_366
.LBB1453_407:
	v_mov_b32_e32 v1, 0
	v_mov_b32_e32 v0, v18
	v_lshl_add_u64 v[2:3], s[22:23], 0, v[0:1]
	v_mov_b32_e32 v0, v19
	v_lshl_add_u64 v[2:3], v[2:3], 0, v[0:1]
	global_store_dwordx2 v1, v[2:3], s[20:21]
	s_endpgm
	.section	.rodata,"a",@progbits
	.p2align	6, 0x0
	.amdhsa_kernel _ZN7rocprim17ROCPRIM_400000_NS6detail17trampoline_kernelINS0_14default_configENS1_25partition_config_selectorILNS1_17partition_subalgoE8ElNS0_10empty_typeEbEEZZNS1_14partition_implILS5_8ELb0ES3_jPlPS6_PKS6_NS0_5tupleIJS9_S6_EEENSD_IJSA_SA_EEENS0_18inequality_wrapperIZN2at6native12_GLOBAL__N_124unique_dim_cuda_templateItEESt5tupleIJNSH_6TensorESM_SM_EERKSM_lbbbEUlllE0_EEPmJS6_EEE10hipError_tPvRmT3_T4_T5_T6_T7_T9_mT8_P12ihipStream_tbDpT10_ENKUlT_T0_E_clISt17integral_constantIbLb0EES1B_IbLb1EEEEDaS17_S18_EUlS17_E_NS1_11comp_targetILNS1_3genE5ELNS1_11target_archE942ELNS1_3gpuE9ELNS1_3repE0EEENS1_30default_config_static_selectorELNS0_4arch9wavefront6targetE1EEEvT1_
		.amdhsa_group_segment_fixed_size 28684
		.amdhsa_private_segment_fixed_size 0
		.amdhsa_kernarg_size 136
		.amdhsa_user_sgpr_count 2
		.amdhsa_user_sgpr_dispatch_ptr 0
		.amdhsa_user_sgpr_queue_ptr 0
		.amdhsa_user_sgpr_kernarg_segment_ptr 1
		.amdhsa_user_sgpr_dispatch_id 0
		.amdhsa_user_sgpr_kernarg_preload_length 0
		.amdhsa_user_sgpr_kernarg_preload_offset 0
		.amdhsa_user_sgpr_private_segment_size 0
		.amdhsa_uses_dynamic_stack 0
		.amdhsa_enable_private_segment 0
		.amdhsa_system_sgpr_workgroup_id_x 1
		.amdhsa_system_sgpr_workgroup_id_y 0
		.amdhsa_system_sgpr_workgroup_id_z 0
		.amdhsa_system_sgpr_workgroup_info 0
		.amdhsa_system_vgpr_workitem_id 0
		.amdhsa_next_free_vgpr 52
		.amdhsa_next_free_sgpr 56
		.amdhsa_accum_offset 52
		.amdhsa_reserve_vcc 1
		.amdhsa_float_round_mode_32 0
		.amdhsa_float_round_mode_16_64 0
		.amdhsa_float_denorm_mode_32 3
		.amdhsa_float_denorm_mode_16_64 3
		.amdhsa_dx10_clamp 1
		.amdhsa_ieee_mode 1
		.amdhsa_fp16_overflow 0
		.amdhsa_tg_split 0
		.amdhsa_exception_fp_ieee_invalid_op 0
		.amdhsa_exception_fp_denorm_src 0
		.amdhsa_exception_fp_ieee_div_zero 0
		.amdhsa_exception_fp_ieee_overflow 0
		.amdhsa_exception_fp_ieee_underflow 0
		.amdhsa_exception_fp_ieee_inexact 0
		.amdhsa_exception_int_div_zero 0
	.end_amdhsa_kernel
	.section	.text._ZN7rocprim17ROCPRIM_400000_NS6detail17trampoline_kernelINS0_14default_configENS1_25partition_config_selectorILNS1_17partition_subalgoE8ElNS0_10empty_typeEbEEZZNS1_14partition_implILS5_8ELb0ES3_jPlPS6_PKS6_NS0_5tupleIJS9_S6_EEENSD_IJSA_SA_EEENS0_18inequality_wrapperIZN2at6native12_GLOBAL__N_124unique_dim_cuda_templateItEESt5tupleIJNSH_6TensorESM_SM_EERKSM_lbbbEUlllE0_EEPmJS6_EEE10hipError_tPvRmT3_T4_T5_T6_T7_T9_mT8_P12ihipStream_tbDpT10_ENKUlT_T0_E_clISt17integral_constantIbLb0EES1B_IbLb1EEEEDaS17_S18_EUlS17_E_NS1_11comp_targetILNS1_3genE5ELNS1_11target_archE942ELNS1_3gpuE9ELNS1_3repE0EEENS1_30default_config_static_selectorELNS0_4arch9wavefront6targetE1EEEvT1_,"axG",@progbits,_ZN7rocprim17ROCPRIM_400000_NS6detail17trampoline_kernelINS0_14default_configENS1_25partition_config_selectorILNS1_17partition_subalgoE8ElNS0_10empty_typeEbEEZZNS1_14partition_implILS5_8ELb0ES3_jPlPS6_PKS6_NS0_5tupleIJS9_S6_EEENSD_IJSA_SA_EEENS0_18inequality_wrapperIZN2at6native12_GLOBAL__N_124unique_dim_cuda_templateItEESt5tupleIJNSH_6TensorESM_SM_EERKSM_lbbbEUlllE0_EEPmJS6_EEE10hipError_tPvRmT3_T4_T5_T6_T7_T9_mT8_P12ihipStream_tbDpT10_ENKUlT_T0_E_clISt17integral_constantIbLb0EES1B_IbLb1EEEEDaS17_S18_EUlS17_E_NS1_11comp_targetILNS1_3genE5ELNS1_11target_archE942ELNS1_3gpuE9ELNS1_3repE0EEENS1_30default_config_static_selectorELNS0_4arch9wavefront6targetE1EEEvT1_,comdat
.Lfunc_end1453:
	.size	_ZN7rocprim17ROCPRIM_400000_NS6detail17trampoline_kernelINS0_14default_configENS1_25partition_config_selectorILNS1_17partition_subalgoE8ElNS0_10empty_typeEbEEZZNS1_14partition_implILS5_8ELb0ES3_jPlPS6_PKS6_NS0_5tupleIJS9_S6_EEENSD_IJSA_SA_EEENS0_18inequality_wrapperIZN2at6native12_GLOBAL__N_124unique_dim_cuda_templateItEESt5tupleIJNSH_6TensorESM_SM_EERKSM_lbbbEUlllE0_EEPmJS6_EEE10hipError_tPvRmT3_T4_T5_T6_T7_T9_mT8_P12ihipStream_tbDpT10_ENKUlT_T0_E_clISt17integral_constantIbLb0EES1B_IbLb1EEEEDaS17_S18_EUlS17_E_NS1_11comp_targetILNS1_3genE5ELNS1_11target_archE942ELNS1_3gpuE9ELNS1_3repE0EEENS1_30default_config_static_selectorELNS0_4arch9wavefront6targetE1EEEvT1_, .Lfunc_end1453-_ZN7rocprim17ROCPRIM_400000_NS6detail17trampoline_kernelINS0_14default_configENS1_25partition_config_selectorILNS1_17partition_subalgoE8ElNS0_10empty_typeEbEEZZNS1_14partition_implILS5_8ELb0ES3_jPlPS6_PKS6_NS0_5tupleIJS9_S6_EEENSD_IJSA_SA_EEENS0_18inequality_wrapperIZN2at6native12_GLOBAL__N_124unique_dim_cuda_templateItEESt5tupleIJNSH_6TensorESM_SM_EERKSM_lbbbEUlllE0_EEPmJS6_EEE10hipError_tPvRmT3_T4_T5_T6_T7_T9_mT8_P12ihipStream_tbDpT10_ENKUlT_T0_E_clISt17integral_constantIbLb0EES1B_IbLb1EEEEDaS17_S18_EUlS17_E_NS1_11comp_targetILNS1_3genE5ELNS1_11target_archE942ELNS1_3gpuE9ELNS1_3repE0EEENS1_30default_config_static_selectorELNS0_4arch9wavefront6targetE1EEEvT1_
                                        ; -- End function
	.section	.AMDGPU.csdata,"",@progbits
; Kernel info:
; codeLenInByte = 13044
; NumSgprs: 62
; NumVgprs: 52
; NumAgprs: 0
; TotalNumVgprs: 52
; ScratchSize: 0
; MemoryBound: 0
; FloatMode: 240
; IeeeMode: 1
; LDSByteSize: 28684 bytes/workgroup (compile time only)
; SGPRBlocks: 7
; VGPRBlocks: 6
; NumSGPRsForWavesPerEU: 62
; NumVGPRsForWavesPerEU: 52
; AccumOffset: 52
; Occupancy: 4
; WaveLimiterHint : 1
; COMPUTE_PGM_RSRC2:SCRATCH_EN: 0
; COMPUTE_PGM_RSRC2:USER_SGPR: 2
; COMPUTE_PGM_RSRC2:TRAP_HANDLER: 0
; COMPUTE_PGM_RSRC2:TGID_X_EN: 1
; COMPUTE_PGM_RSRC2:TGID_Y_EN: 0
; COMPUTE_PGM_RSRC2:TGID_Z_EN: 0
; COMPUTE_PGM_RSRC2:TIDIG_COMP_CNT: 0
; COMPUTE_PGM_RSRC3_GFX90A:ACCUM_OFFSET: 12
; COMPUTE_PGM_RSRC3_GFX90A:TG_SPLIT: 0
	.section	.text._ZN7rocprim17ROCPRIM_400000_NS6detail17trampoline_kernelINS0_14default_configENS1_25partition_config_selectorILNS1_17partition_subalgoE8ElNS0_10empty_typeEbEEZZNS1_14partition_implILS5_8ELb0ES3_jPlPS6_PKS6_NS0_5tupleIJS9_S6_EEENSD_IJSA_SA_EEENS0_18inequality_wrapperIZN2at6native12_GLOBAL__N_124unique_dim_cuda_templateItEESt5tupleIJNSH_6TensorESM_SM_EERKSM_lbbbEUlllE0_EEPmJS6_EEE10hipError_tPvRmT3_T4_T5_T6_T7_T9_mT8_P12ihipStream_tbDpT10_ENKUlT_T0_E_clISt17integral_constantIbLb0EES1B_IbLb1EEEEDaS17_S18_EUlS17_E_NS1_11comp_targetILNS1_3genE4ELNS1_11target_archE910ELNS1_3gpuE8ELNS1_3repE0EEENS1_30default_config_static_selectorELNS0_4arch9wavefront6targetE1EEEvT1_,"axG",@progbits,_ZN7rocprim17ROCPRIM_400000_NS6detail17trampoline_kernelINS0_14default_configENS1_25partition_config_selectorILNS1_17partition_subalgoE8ElNS0_10empty_typeEbEEZZNS1_14partition_implILS5_8ELb0ES3_jPlPS6_PKS6_NS0_5tupleIJS9_S6_EEENSD_IJSA_SA_EEENS0_18inequality_wrapperIZN2at6native12_GLOBAL__N_124unique_dim_cuda_templateItEESt5tupleIJNSH_6TensorESM_SM_EERKSM_lbbbEUlllE0_EEPmJS6_EEE10hipError_tPvRmT3_T4_T5_T6_T7_T9_mT8_P12ihipStream_tbDpT10_ENKUlT_T0_E_clISt17integral_constantIbLb0EES1B_IbLb1EEEEDaS17_S18_EUlS17_E_NS1_11comp_targetILNS1_3genE4ELNS1_11target_archE910ELNS1_3gpuE8ELNS1_3repE0EEENS1_30default_config_static_selectorELNS0_4arch9wavefront6targetE1EEEvT1_,comdat
	.globl	_ZN7rocprim17ROCPRIM_400000_NS6detail17trampoline_kernelINS0_14default_configENS1_25partition_config_selectorILNS1_17partition_subalgoE8ElNS0_10empty_typeEbEEZZNS1_14partition_implILS5_8ELb0ES3_jPlPS6_PKS6_NS0_5tupleIJS9_S6_EEENSD_IJSA_SA_EEENS0_18inequality_wrapperIZN2at6native12_GLOBAL__N_124unique_dim_cuda_templateItEESt5tupleIJNSH_6TensorESM_SM_EERKSM_lbbbEUlllE0_EEPmJS6_EEE10hipError_tPvRmT3_T4_T5_T6_T7_T9_mT8_P12ihipStream_tbDpT10_ENKUlT_T0_E_clISt17integral_constantIbLb0EES1B_IbLb1EEEEDaS17_S18_EUlS17_E_NS1_11comp_targetILNS1_3genE4ELNS1_11target_archE910ELNS1_3gpuE8ELNS1_3repE0EEENS1_30default_config_static_selectorELNS0_4arch9wavefront6targetE1EEEvT1_ ; -- Begin function _ZN7rocprim17ROCPRIM_400000_NS6detail17trampoline_kernelINS0_14default_configENS1_25partition_config_selectorILNS1_17partition_subalgoE8ElNS0_10empty_typeEbEEZZNS1_14partition_implILS5_8ELb0ES3_jPlPS6_PKS6_NS0_5tupleIJS9_S6_EEENSD_IJSA_SA_EEENS0_18inequality_wrapperIZN2at6native12_GLOBAL__N_124unique_dim_cuda_templateItEESt5tupleIJNSH_6TensorESM_SM_EERKSM_lbbbEUlllE0_EEPmJS6_EEE10hipError_tPvRmT3_T4_T5_T6_T7_T9_mT8_P12ihipStream_tbDpT10_ENKUlT_T0_E_clISt17integral_constantIbLb0EES1B_IbLb1EEEEDaS17_S18_EUlS17_E_NS1_11comp_targetILNS1_3genE4ELNS1_11target_archE910ELNS1_3gpuE8ELNS1_3repE0EEENS1_30default_config_static_selectorELNS0_4arch9wavefront6targetE1EEEvT1_
	.p2align	8
	.type	_ZN7rocprim17ROCPRIM_400000_NS6detail17trampoline_kernelINS0_14default_configENS1_25partition_config_selectorILNS1_17partition_subalgoE8ElNS0_10empty_typeEbEEZZNS1_14partition_implILS5_8ELb0ES3_jPlPS6_PKS6_NS0_5tupleIJS9_S6_EEENSD_IJSA_SA_EEENS0_18inequality_wrapperIZN2at6native12_GLOBAL__N_124unique_dim_cuda_templateItEESt5tupleIJNSH_6TensorESM_SM_EERKSM_lbbbEUlllE0_EEPmJS6_EEE10hipError_tPvRmT3_T4_T5_T6_T7_T9_mT8_P12ihipStream_tbDpT10_ENKUlT_T0_E_clISt17integral_constantIbLb0EES1B_IbLb1EEEEDaS17_S18_EUlS17_E_NS1_11comp_targetILNS1_3genE4ELNS1_11target_archE910ELNS1_3gpuE8ELNS1_3repE0EEENS1_30default_config_static_selectorELNS0_4arch9wavefront6targetE1EEEvT1_,@function
_ZN7rocprim17ROCPRIM_400000_NS6detail17trampoline_kernelINS0_14default_configENS1_25partition_config_selectorILNS1_17partition_subalgoE8ElNS0_10empty_typeEbEEZZNS1_14partition_implILS5_8ELb0ES3_jPlPS6_PKS6_NS0_5tupleIJS9_S6_EEENSD_IJSA_SA_EEENS0_18inequality_wrapperIZN2at6native12_GLOBAL__N_124unique_dim_cuda_templateItEESt5tupleIJNSH_6TensorESM_SM_EERKSM_lbbbEUlllE0_EEPmJS6_EEE10hipError_tPvRmT3_T4_T5_T6_T7_T9_mT8_P12ihipStream_tbDpT10_ENKUlT_T0_E_clISt17integral_constantIbLb0EES1B_IbLb1EEEEDaS17_S18_EUlS17_E_NS1_11comp_targetILNS1_3genE4ELNS1_11target_archE910ELNS1_3gpuE8ELNS1_3repE0EEENS1_30default_config_static_selectorELNS0_4arch9wavefront6targetE1EEEvT1_: ; @_ZN7rocprim17ROCPRIM_400000_NS6detail17trampoline_kernelINS0_14default_configENS1_25partition_config_selectorILNS1_17partition_subalgoE8ElNS0_10empty_typeEbEEZZNS1_14partition_implILS5_8ELb0ES3_jPlPS6_PKS6_NS0_5tupleIJS9_S6_EEENSD_IJSA_SA_EEENS0_18inequality_wrapperIZN2at6native12_GLOBAL__N_124unique_dim_cuda_templateItEESt5tupleIJNSH_6TensorESM_SM_EERKSM_lbbbEUlllE0_EEPmJS6_EEE10hipError_tPvRmT3_T4_T5_T6_T7_T9_mT8_P12ihipStream_tbDpT10_ENKUlT_T0_E_clISt17integral_constantIbLb0EES1B_IbLb1EEEEDaS17_S18_EUlS17_E_NS1_11comp_targetILNS1_3genE4ELNS1_11target_archE910ELNS1_3gpuE8ELNS1_3repE0EEENS1_30default_config_static_selectorELNS0_4arch9wavefront6targetE1EEEvT1_
; %bb.0:
	.section	.rodata,"a",@progbits
	.p2align	6, 0x0
	.amdhsa_kernel _ZN7rocprim17ROCPRIM_400000_NS6detail17trampoline_kernelINS0_14default_configENS1_25partition_config_selectorILNS1_17partition_subalgoE8ElNS0_10empty_typeEbEEZZNS1_14partition_implILS5_8ELb0ES3_jPlPS6_PKS6_NS0_5tupleIJS9_S6_EEENSD_IJSA_SA_EEENS0_18inequality_wrapperIZN2at6native12_GLOBAL__N_124unique_dim_cuda_templateItEESt5tupleIJNSH_6TensorESM_SM_EERKSM_lbbbEUlllE0_EEPmJS6_EEE10hipError_tPvRmT3_T4_T5_T6_T7_T9_mT8_P12ihipStream_tbDpT10_ENKUlT_T0_E_clISt17integral_constantIbLb0EES1B_IbLb1EEEEDaS17_S18_EUlS17_E_NS1_11comp_targetILNS1_3genE4ELNS1_11target_archE910ELNS1_3gpuE8ELNS1_3repE0EEENS1_30default_config_static_selectorELNS0_4arch9wavefront6targetE1EEEvT1_
		.amdhsa_group_segment_fixed_size 0
		.amdhsa_private_segment_fixed_size 0
		.amdhsa_kernarg_size 136
		.amdhsa_user_sgpr_count 2
		.amdhsa_user_sgpr_dispatch_ptr 0
		.amdhsa_user_sgpr_queue_ptr 0
		.amdhsa_user_sgpr_kernarg_segment_ptr 1
		.amdhsa_user_sgpr_dispatch_id 0
		.amdhsa_user_sgpr_kernarg_preload_length 0
		.amdhsa_user_sgpr_kernarg_preload_offset 0
		.amdhsa_user_sgpr_private_segment_size 0
		.amdhsa_uses_dynamic_stack 0
		.amdhsa_enable_private_segment 0
		.amdhsa_system_sgpr_workgroup_id_x 1
		.amdhsa_system_sgpr_workgroup_id_y 0
		.amdhsa_system_sgpr_workgroup_id_z 0
		.amdhsa_system_sgpr_workgroup_info 0
		.amdhsa_system_vgpr_workitem_id 0
		.amdhsa_next_free_vgpr 1
		.amdhsa_next_free_sgpr 0
		.amdhsa_accum_offset 4
		.amdhsa_reserve_vcc 0
		.amdhsa_float_round_mode_32 0
		.amdhsa_float_round_mode_16_64 0
		.amdhsa_float_denorm_mode_32 3
		.amdhsa_float_denorm_mode_16_64 3
		.amdhsa_dx10_clamp 1
		.amdhsa_ieee_mode 1
		.amdhsa_fp16_overflow 0
		.amdhsa_tg_split 0
		.amdhsa_exception_fp_ieee_invalid_op 0
		.amdhsa_exception_fp_denorm_src 0
		.amdhsa_exception_fp_ieee_div_zero 0
		.amdhsa_exception_fp_ieee_overflow 0
		.amdhsa_exception_fp_ieee_underflow 0
		.amdhsa_exception_fp_ieee_inexact 0
		.amdhsa_exception_int_div_zero 0
	.end_amdhsa_kernel
	.section	.text._ZN7rocprim17ROCPRIM_400000_NS6detail17trampoline_kernelINS0_14default_configENS1_25partition_config_selectorILNS1_17partition_subalgoE8ElNS0_10empty_typeEbEEZZNS1_14partition_implILS5_8ELb0ES3_jPlPS6_PKS6_NS0_5tupleIJS9_S6_EEENSD_IJSA_SA_EEENS0_18inequality_wrapperIZN2at6native12_GLOBAL__N_124unique_dim_cuda_templateItEESt5tupleIJNSH_6TensorESM_SM_EERKSM_lbbbEUlllE0_EEPmJS6_EEE10hipError_tPvRmT3_T4_T5_T6_T7_T9_mT8_P12ihipStream_tbDpT10_ENKUlT_T0_E_clISt17integral_constantIbLb0EES1B_IbLb1EEEEDaS17_S18_EUlS17_E_NS1_11comp_targetILNS1_3genE4ELNS1_11target_archE910ELNS1_3gpuE8ELNS1_3repE0EEENS1_30default_config_static_selectorELNS0_4arch9wavefront6targetE1EEEvT1_,"axG",@progbits,_ZN7rocprim17ROCPRIM_400000_NS6detail17trampoline_kernelINS0_14default_configENS1_25partition_config_selectorILNS1_17partition_subalgoE8ElNS0_10empty_typeEbEEZZNS1_14partition_implILS5_8ELb0ES3_jPlPS6_PKS6_NS0_5tupleIJS9_S6_EEENSD_IJSA_SA_EEENS0_18inequality_wrapperIZN2at6native12_GLOBAL__N_124unique_dim_cuda_templateItEESt5tupleIJNSH_6TensorESM_SM_EERKSM_lbbbEUlllE0_EEPmJS6_EEE10hipError_tPvRmT3_T4_T5_T6_T7_T9_mT8_P12ihipStream_tbDpT10_ENKUlT_T0_E_clISt17integral_constantIbLb0EES1B_IbLb1EEEEDaS17_S18_EUlS17_E_NS1_11comp_targetILNS1_3genE4ELNS1_11target_archE910ELNS1_3gpuE8ELNS1_3repE0EEENS1_30default_config_static_selectorELNS0_4arch9wavefront6targetE1EEEvT1_,comdat
.Lfunc_end1454:
	.size	_ZN7rocprim17ROCPRIM_400000_NS6detail17trampoline_kernelINS0_14default_configENS1_25partition_config_selectorILNS1_17partition_subalgoE8ElNS0_10empty_typeEbEEZZNS1_14partition_implILS5_8ELb0ES3_jPlPS6_PKS6_NS0_5tupleIJS9_S6_EEENSD_IJSA_SA_EEENS0_18inequality_wrapperIZN2at6native12_GLOBAL__N_124unique_dim_cuda_templateItEESt5tupleIJNSH_6TensorESM_SM_EERKSM_lbbbEUlllE0_EEPmJS6_EEE10hipError_tPvRmT3_T4_T5_T6_T7_T9_mT8_P12ihipStream_tbDpT10_ENKUlT_T0_E_clISt17integral_constantIbLb0EES1B_IbLb1EEEEDaS17_S18_EUlS17_E_NS1_11comp_targetILNS1_3genE4ELNS1_11target_archE910ELNS1_3gpuE8ELNS1_3repE0EEENS1_30default_config_static_selectorELNS0_4arch9wavefront6targetE1EEEvT1_, .Lfunc_end1454-_ZN7rocprim17ROCPRIM_400000_NS6detail17trampoline_kernelINS0_14default_configENS1_25partition_config_selectorILNS1_17partition_subalgoE8ElNS0_10empty_typeEbEEZZNS1_14partition_implILS5_8ELb0ES3_jPlPS6_PKS6_NS0_5tupleIJS9_S6_EEENSD_IJSA_SA_EEENS0_18inequality_wrapperIZN2at6native12_GLOBAL__N_124unique_dim_cuda_templateItEESt5tupleIJNSH_6TensorESM_SM_EERKSM_lbbbEUlllE0_EEPmJS6_EEE10hipError_tPvRmT3_T4_T5_T6_T7_T9_mT8_P12ihipStream_tbDpT10_ENKUlT_T0_E_clISt17integral_constantIbLb0EES1B_IbLb1EEEEDaS17_S18_EUlS17_E_NS1_11comp_targetILNS1_3genE4ELNS1_11target_archE910ELNS1_3gpuE8ELNS1_3repE0EEENS1_30default_config_static_selectorELNS0_4arch9wavefront6targetE1EEEvT1_
                                        ; -- End function
	.section	.AMDGPU.csdata,"",@progbits
; Kernel info:
; codeLenInByte = 0
; NumSgprs: 6
; NumVgprs: 0
; NumAgprs: 0
; TotalNumVgprs: 0
; ScratchSize: 0
; MemoryBound: 0
; FloatMode: 240
; IeeeMode: 1
; LDSByteSize: 0 bytes/workgroup (compile time only)
; SGPRBlocks: 0
; VGPRBlocks: 0
; NumSGPRsForWavesPerEU: 6
; NumVGPRsForWavesPerEU: 1
; AccumOffset: 4
; Occupancy: 8
; WaveLimiterHint : 0
; COMPUTE_PGM_RSRC2:SCRATCH_EN: 0
; COMPUTE_PGM_RSRC2:USER_SGPR: 2
; COMPUTE_PGM_RSRC2:TRAP_HANDLER: 0
; COMPUTE_PGM_RSRC2:TGID_X_EN: 1
; COMPUTE_PGM_RSRC2:TGID_Y_EN: 0
; COMPUTE_PGM_RSRC2:TGID_Z_EN: 0
; COMPUTE_PGM_RSRC2:TIDIG_COMP_CNT: 0
; COMPUTE_PGM_RSRC3_GFX90A:ACCUM_OFFSET: 0
; COMPUTE_PGM_RSRC3_GFX90A:TG_SPLIT: 0
	.section	.text._ZN7rocprim17ROCPRIM_400000_NS6detail17trampoline_kernelINS0_14default_configENS1_25partition_config_selectorILNS1_17partition_subalgoE8ElNS0_10empty_typeEbEEZZNS1_14partition_implILS5_8ELb0ES3_jPlPS6_PKS6_NS0_5tupleIJS9_S6_EEENSD_IJSA_SA_EEENS0_18inequality_wrapperIZN2at6native12_GLOBAL__N_124unique_dim_cuda_templateItEESt5tupleIJNSH_6TensorESM_SM_EERKSM_lbbbEUlllE0_EEPmJS6_EEE10hipError_tPvRmT3_T4_T5_T6_T7_T9_mT8_P12ihipStream_tbDpT10_ENKUlT_T0_E_clISt17integral_constantIbLb0EES1B_IbLb1EEEEDaS17_S18_EUlS17_E_NS1_11comp_targetILNS1_3genE3ELNS1_11target_archE908ELNS1_3gpuE7ELNS1_3repE0EEENS1_30default_config_static_selectorELNS0_4arch9wavefront6targetE1EEEvT1_,"axG",@progbits,_ZN7rocprim17ROCPRIM_400000_NS6detail17trampoline_kernelINS0_14default_configENS1_25partition_config_selectorILNS1_17partition_subalgoE8ElNS0_10empty_typeEbEEZZNS1_14partition_implILS5_8ELb0ES3_jPlPS6_PKS6_NS0_5tupleIJS9_S6_EEENSD_IJSA_SA_EEENS0_18inequality_wrapperIZN2at6native12_GLOBAL__N_124unique_dim_cuda_templateItEESt5tupleIJNSH_6TensorESM_SM_EERKSM_lbbbEUlllE0_EEPmJS6_EEE10hipError_tPvRmT3_T4_T5_T6_T7_T9_mT8_P12ihipStream_tbDpT10_ENKUlT_T0_E_clISt17integral_constantIbLb0EES1B_IbLb1EEEEDaS17_S18_EUlS17_E_NS1_11comp_targetILNS1_3genE3ELNS1_11target_archE908ELNS1_3gpuE7ELNS1_3repE0EEENS1_30default_config_static_selectorELNS0_4arch9wavefront6targetE1EEEvT1_,comdat
	.globl	_ZN7rocprim17ROCPRIM_400000_NS6detail17trampoline_kernelINS0_14default_configENS1_25partition_config_selectorILNS1_17partition_subalgoE8ElNS0_10empty_typeEbEEZZNS1_14partition_implILS5_8ELb0ES3_jPlPS6_PKS6_NS0_5tupleIJS9_S6_EEENSD_IJSA_SA_EEENS0_18inequality_wrapperIZN2at6native12_GLOBAL__N_124unique_dim_cuda_templateItEESt5tupleIJNSH_6TensorESM_SM_EERKSM_lbbbEUlllE0_EEPmJS6_EEE10hipError_tPvRmT3_T4_T5_T6_T7_T9_mT8_P12ihipStream_tbDpT10_ENKUlT_T0_E_clISt17integral_constantIbLb0EES1B_IbLb1EEEEDaS17_S18_EUlS17_E_NS1_11comp_targetILNS1_3genE3ELNS1_11target_archE908ELNS1_3gpuE7ELNS1_3repE0EEENS1_30default_config_static_selectorELNS0_4arch9wavefront6targetE1EEEvT1_ ; -- Begin function _ZN7rocprim17ROCPRIM_400000_NS6detail17trampoline_kernelINS0_14default_configENS1_25partition_config_selectorILNS1_17partition_subalgoE8ElNS0_10empty_typeEbEEZZNS1_14partition_implILS5_8ELb0ES3_jPlPS6_PKS6_NS0_5tupleIJS9_S6_EEENSD_IJSA_SA_EEENS0_18inequality_wrapperIZN2at6native12_GLOBAL__N_124unique_dim_cuda_templateItEESt5tupleIJNSH_6TensorESM_SM_EERKSM_lbbbEUlllE0_EEPmJS6_EEE10hipError_tPvRmT3_T4_T5_T6_T7_T9_mT8_P12ihipStream_tbDpT10_ENKUlT_T0_E_clISt17integral_constantIbLb0EES1B_IbLb1EEEEDaS17_S18_EUlS17_E_NS1_11comp_targetILNS1_3genE3ELNS1_11target_archE908ELNS1_3gpuE7ELNS1_3repE0EEENS1_30default_config_static_selectorELNS0_4arch9wavefront6targetE1EEEvT1_
	.p2align	8
	.type	_ZN7rocprim17ROCPRIM_400000_NS6detail17trampoline_kernelINS0_14default_configENS1_25partition_config_selectorILNS1_17partition_subalgoE8ElNS0_10empty_typeEbEEZZNS1_14partition_implILS5_8ELb0ES3_jPlPS6_PKS6_NS0_5tupleIJS9_S6_EEENSD_IJSA_SA_EEENS0_18inequality_wrapperIZN2at6native12_GLOBAL__N_124unique_dim_cuda_templateItEESt5tupleIJNSH_6TensorESM_SM_EERKSM_lbbbEUlllE0_EEPmJS6_EEE10hipError_tPvRmT3_T4_T5_T6_T7_T9_mT8_P12ihipStream_tbDpT10_ENKUlT_T0_E_clISt17integral_constantIbLb0EES1B_IbLb1EEEEDaS17_S18_EUlS17_E_NS1_11comp_targetILNS1_3genE3ELNS1_11target_archE908ELNS1_3gpuE7ELNS1_3repE0EEENS1_30default_config_static_selectorELNS0_4arch9wavefront6targetE1EEEvT1_,@function
_ZN7rocprim17ROCPRIM_400000_NS6detail17trampoline_kernelINS0_14default_configENS1_25partition_config_selectorILNS1_17partition_subalgoE8ElNS0_10empty_typeEbEEZZNS1_14partition_implILS5_8ELb0ES3_jPlPS6_PKS6_NS0_5tupleIJS9_S6_EEENSD_IJSA_SA_EEENS0_18inequality_wrapperIZN2at6native12_GLOBAL__N_124unique_dim_cuda_templateItEESt5tupleIJNSH_6TensorESM_SM_EERKSM_lbbbEUlllE0_EEPmJS6_EEE10hipError_tPvRmT3_T4_T5_T6_T7_T9_mT8_P12ihipStream_tbDpT10_ENKUlT_T0_E_clISt17integral_constantIbLb0EES1B_IbLb1EEEEDaS17_S18_EUlS17_E_NS1_11comp_targetILNS1_3genE3ELNS1_11target_archE908ELNS1_3gpuE7ELNS1_3repE0EEENS1_30default_config_static_selectorELNS0_4arch9wavefront6targetE1EEEvT1_: ; @_ZN7rocprim17ROCPRIM_400000_NS6detail17trampoline_kernelINS0_14default_configENS1_25partition_config_selectorILNS1_17partition_subalgoE8ElNS0_10empty_typeEbEEZZNS1_14partition_implILS5_8ELb0ES3_jPlPS6_PKS6_NS0_5tupleIJS9_S6_EEENSD_IJSA_SA_EEENS0_18inequality_wrapperIZN2at6native12_GLOBAL__N_124unique_dim_cuda_templateItEESt5tupleIJNSH_6TensorESM_SM_EERKSM_lbbbEUlllE0_EEPmJS6_EEE10hipError_tPvRmT3_T4_T5_T6_T7_T9_mT8_P12ihipStream_tbDpT10_ENKUlT_T0_E_clISt17integral_constantIbLb0EES1B_IbLb1EEEEDaS17_S18_EUlS17_E_NS1_11comp_targetILNS1_3genE3ELNS1_11target_archE908ELNS1_3gpuE7ELNS1_3repE0EEENS1_30default_config_static_selectorELNS0_4arch9wavefront6targetE1EEEvT1_
; %bb.0:
	.section	.rodata,"a",@progbits
	.p2align	6, 0x0
	.amdhsa_kernel _ZN7rocprim17ROCPRIM_400000_NS6detail17trampoline_kernelINS0_14default_configENS1_25partition_config_selectorILNS1_17partition_subalgoE8ElNS0_10empty_typeEbEEZZNS1_14partition_implILS5_8ELb0ES3_jPlPS6_PKS6_NS0_5tupleIJS9_S6_EEENSD_IJSA_SA_EEENS0_18inequality_wrapperIZN2at6native12_GLOBAL__N_124unique_dim_cuda_templateItEESt5tupleIJNSH_6TensorESM_SM_EERKSM_lbbbEUlllE0_EEPmJS6_EEE10hipError_tPvRmT3_T4_T5_T6_T7_T9_mT8_P12ihipStream_tbDpT10_ENKUlT_T0_E_clISt17integral_constantIbLb0EES1B_IbLb1EEEEDaS17_S18_EUlS17_E_NS1_11comp_targetILNS1_3genE3ELNS1_11target_archE908ELNS1_3gpuE7ELNS1_3repE0EEENS1_30default_config_static_selectorELNS0_4arch9wavefront6targetE1EEEvT1_
		.amdhsa_group_segment_fixed_size 0
		.amdhsa_private_segment_fixed_size 0
		.amdhsa_kernarg_size 136
		.amdhsa_user_sgpr_count 2
		.amdhsa_user_sgpr_dispatch_ptr 0
		.amdhsa_user_sgpr_queue_ptr 0
		.amdhsa_user_sgpr_kernarg_segment_ptr 1
		.amdhsa_user_sgpr_dispatch_id 0
		.amdhsa_user_sgpr_kernarg_preload_length 0
		.amdhsa_user_sgpr_kernarg_preload_offset 0
		.amdhsa_user_sgpr_private_segment_size 0
		.amdhsa_uses_dynamic_stack 0
		.amdhsa_enable_private_segment 0
		.amdhsa_system_sgpr_workgroup_id_x 1
		.amdhsa_system_sgpr_workgroup_id_y 0
		.amdhsa_system_sgpr_workgroup_id_z 0
		.amdhsa_system_sgpr_workgroup_info 0
		.amdhsa_system_vgpr_workitem_id 0
		.amdhsa_next_free_vgpr 1
		.amdhsa_next_free_sgpr 0
		.amdhsa_accum_offset 4
		.amdhsa_reserve_vcc 0
		.amdhsa_float_round_mode_32 0
		.amdhsa_float_round_mode_16_64 0
		.amdhsa_float_denorm_mode_32 3
		.amdhsa_float_denorm_mode_16_64 3
		.amdhsa_dx10_clamp 1
		.amdhsa_ieee_mode 1
		.amdhsa_fp16_overflow 0
		.amdhsa_tg_split 0
		.amdhsa_exception_fp_ieee_invalid_op 0
		.amdhsa_exception_fp_denorm_src 0
		.amdhsa_exception_fp_ieee_div_zero 0
		.amdhsa_exception_fp_ieee_overflow 0
		.amdhsa_exception_fp_ieee_underflow 0
		.amdhsa_exception_fp_ieee_inexact 0
		.amdhsa_exception_int_div_zero 0
	.end_amdhsa_kernel
	.section	.text._ZN7rocprim17ROCPRIM_400000_NS6detail17trampoline_kernelINS0_14default_configENS1_25partition_config_selectorILNS1_17partition_subalgoE8ElNS0_10empty_typeEbEEZZNS1_14partition_implILS5_8ELb0ES3_jPlPS6_PKS6_NS0_5tupleIJS9_S6_EEENSD_IJSA_SA_EEENS0_18inequality_wrapperIZN2at6native12_GLOBAL__N_124unique_dim_cuda_templateItEESt5tupleIJNSH_6TensorESM_SM_EERKSM_lbbbEUlllE0_EEPmJS6_EEE10hipError_tPvRmT3_T4_T5_T6_T7_T9_mT8_P12ihipStream_tbDpT10_ENKUlT_T0_E_clISt17integral_constantIbLb0EES1B_IbLb1EEEEDaS17_S18_EUlS17_E_NS1_11comp_targetILNS1_3genE3ELNS1_11target_archE908ELNS1_3gpuE7ELNS1_3repE0EEENS1_30default_config_static_selectorELNS0_4arch9wavefront6targetE1EEEvT1_,"axG",@progbits,_ZN7rocprim17ROCPRIM_400000_NS6detail17trampoline_kernelINS0_14default_configENS1_25partition_config_selectorILNS1_17partition_subalgoE8ElNS0_10empty_typeEbEEZZNS1_14partition_implILS5_8ELb0ES3_jPlPS6_PKS6_NS0_5tupleIJS9_S6_EEENSD_IJSA_SA_EEENS0_18inequality_wrapperIZN2at6native12_GLOBAL__N_124unique_dim_cuda_templateItEESt5tupleIJNSH_6TensorESM_SM_EERKSM_lbbbEUlllE0_EEPmJS6_EEE10hipError_tPvRmT3_T4_T5_T6_T7_T9_mT8_P12ihipStream_tbDpT10_ENKUlT_T0_E_clISt17integral_constantIbLb0EES1B_IbLb1EEEEDaS17_S18_EUlS17_E_NS1_11comp_targetILNS1_3genE3ELNS1_11target_archE908ELNS1_3gpuE7ELNS1_3repE0EEENS1_30default_config_static_selectorELNS0_4arch9wavefront6targetE1EEEvT1_,comdat
.Lfunc_end1455:
	.size	_ZN7rocprim17ROCPRIM_400000_NS6detail17trampoline_kernelINS0_14default_configENS1_25partition_config_selectorILNS1_17partition_subalgoE8ElNS0_10empty_typeEbEEZZNS1_14partition_implILS5_8ELb0ES3_jPlPS6_PKS6_NS0_5tupleIJS9_S6_EEENSD_IJSA_SA_EEENS0_18inequality_wrapperIZN2at6native12_GLOBAL__N_124unique_dim_cuda_templateItEESt5tupleIJNSH_6TensorESM_SM_EERKSM_lbbbEUlllE0_EEPmJS6_EEE10hipError_tPvRmT3_T4_T5_T6_T7_T9_mT8_P12ihipStream_tbDpT10_ENKUlT_T0_E_clISt17integral_constantIbLb0EES1B_IbLb1EEEEDaS17_S18_EUlS17_E_NS1_11comp_targetILNS1_3genE3ELNS1_11target_archE908ELNS1_3gpuE7ELNS1_3repE0EEENS1_30default_config_static_selectorELNS0_4arch9wavefront6targetE1EEEvT1_, .Lfunc_end1455-_ZN7rocprim17ROCPRIM_400000_NS6detail17trampoline_kernelINS0_14default_configENS1_25partition_config_selectorILNS1_17partition_subalgoE8ElNS0_10empty_typeEbEEZZNS1_14partition_implILS5_8ELb0ES3_jPlPS6_PKS6_NS0_5tupleIJS9_S6_EEENSD_IJSA_SA_EEENS0_18inequality_wrapperIZN2at6native12_GLOBAL__N_124unique_dim_cuda_templateItEESt5tupleIJNSH_6TensorESM_SM_EERKSM_lbbbEUlllE0_EEPmJS6_EEE10hipError_tPvRmT3_T4_T5_T6_T7_T9_mT8_P12ihipStream_tbDpT10_ENKUlT_T0_E_clISt17integral_constantIbLb0EES1B_IbLb1EEEEDaS17_S18_EUlS17_E_NS1_11comp_targetILNS1_3genE3ELNS1_11target_archE908ELNS1_3gpuE7ELNS1_3repE0EEENS1_30default_config_static_selectorELNS0_4arch9wavefront6targetE1EEEvT1_
                                        ; -- End function
	.section	.AMDGPU.csdata,"",@progbits
; Kernel info:
; codeLenInByte = 0
; NumSgprs: 6
; NumVgprs: 0
; NumAgprs: 0
; TotalNumVgprs: 0
; ScratchSize: 0
; MemoryBound: 0
; FloatMode: 240
; IeeeMode: 1
; LDSByteSize: 0 bytes/workgroup (compile time only)
; SGPRBlocks: 0
; VGPRBlocks: 0
; NumSGPRsForWavesPerEU: 6
; NumVGPRsForWavesPerEU: 1
; AccumOffset: 4
; Occupancy: 8
; WaveLimiterHint : 0
; COMPUTE_PGM_RSRC2:SCRATCH_EN: 0
; COMPUTE_PGM_RSRC2:USER_SGPR: 2
; COMPUTE_PGM_RSRC2:TRAP_HANDLER: 0
; COMPUTE_PGM_RSRC2:TGID_X_EN: 1
; COMPUTE_PGM_RSRC2:TGID_Y_EN: 0
; COMPUTE_PGM_RSRC2:TGID_Z_EN: 0
; COMPUTE_PGM_RSRC2:TIDIG_COMP_CNT: 0
; COMPUTE_PGM_RSRC3_GFX90A:ACCUM_OFFSET: 0
; COMPUTE_PGM_RSRC3_GFX90A:TG_SPLIT: 0
	.section	.text._ZN7rocprim17ROCPRIM_400000_NS6detail17trampoline_kernelINS0_14default_configENS1_25partition_config_selectorILNS1_17partition_subalgoE8ElNS0_10empty_typeEbEEZZNS1_14partition_implILS5_8ELb0ES3_jPlPS6_PKS6_NS0_5tupleIJS9_S6_EEENSD_IJSA_SA_EEENS0_18inequality_wrapperIZN2at6native12_GLOBAL__N_124unique_dim_cuda_templateItEESt5tupleIJNSH_6TensorESM_SM_EERKSM_lbbbEUlllE0_EEPmJS6_EEE10hipError_tPvRmT3_T4_T5_T6_T7_T9_mT8_P12ihipStream_tbDpT10_ENKUlT_T0_E_clISt17integral_constantIbLb0EES1B_IbLb1EEEEDaS17_S18_EUlS17_E_NS1_11comp_targetILNS1_3genE2ELNS1_11target_archE906ELNS1_3gpuE6ELNS1_3repE0EEENS1_30default_config_static_selectorELNS0_4arch9wavefront6targetE1EEEvT1_,"axG",@progbits,_ZN7rocprim17ROCPRIM_400000_NS6detail17trampoline_kernelINS0_14default_configENS1_25partition_config_selectorILNS1_17partition_subalgoE8ElNS0_10empty_typeEbEEZZNS1_14partition_implILS5_8ELb0ES3_jPlPS6_PKS6_NS0_5tupleIJS9_S6_EEENSD_IJSA_SA_EEENS0_18inequality_wrapperIZN2at6native12_GLOBAL__N_124unique_dim_cuda_templateItEESt5tupleIJNSH_6TensorESM_SM_EERKSM_lbbbEUlllE0_EEPmJS6_EEE10hipError_tPvRmT3_T4_T5_T6_T7_T9_mT8_P12ihipStream_tbDpT10_ENKUlT_T0_E_clISt17integral_constantIbLb0EES1B_IbLb1EEEEDaS17_S18_EUlS17_E_NS1_11comp_targetILNS1_3genE2ELNS1_11target_archE906ELNS1_3gpuE6ELNS1_3repE0EEENS1_30default_config_static_selectorELNS0_4arch9wavefront6targetE1EEEvT1_,comdat
	.globl	_ZN7rocprim17ROCPRIM_400000_NS6detail17trampoline_kernelINS0_14default_configENS1_25partition_config_selectorILNS1_17partition_subalgoE8ElNS0_10empty_typeEbEEZZNS1_14partition_implILS5_8ELb0ES3_jPlPS6_PKS6_NS0_5tupleIJS9_S6_EEENSD_IJSA_SA_EEENS0_18inequality_wrapperIZN2at6native12_GLOBAL__N_124unique_dim_cuda_templateItEESt5tupleIJNSH_6TensorESM_SM_EERKSM_lbbbEUlllE0_EEPmJS6_EEE10hipError_tPvRmT3_T4_T5_T6_T7_T9_mT8_P12ihipStream_tbDpT10_ENKUlT_T0_E_clISt17integral_constantIbLb0EES1B_IbLb1EEEEDaS17_S18_EUlS17_E_NS1_11comp_targetILNS1_3genE2ELNS1_11target_archE906ELNS1_3gpuE6ELNS1_3repE0EEENS1_30default_config_static_selectorELNS0_4arch9wavefront6targetE1EEEvT1_ ; -- Begin function _ZN7rocprim17ROCPRIM_400000_NS6detail17trampoline_kernelINS0_14default_configENS1_25partition_config_selectorILNS1_17partition_subalgoE8ElNS0_10empty_typeEbEEZZNS1_14partition_implILS5_8ELb0ES3_jPlPS6_PKS6_NS0_5tupleIJS9_S6_EEENSD_IJSA_SA_EEENS0_18inequality_wrapperIZN2at6native12_GLOBAL__N_124unique_dim_cuda_templateItEESt5tupleIJNSH_6TensorESM_SM_EERKSM_lbbbEUlllE0_EEPmJS6_EEE10hipError_tPvRmT3_T4_T5_T6_T7_T9_mT8_P12ihipStream_tbDpT10_ENKUlT_T0_E_clISt17integral_constantIbLb0EES1B_IbLb1EEEEDaS17_S18_EUlS17_E_NS1_11comp_targetILNS1_3genE2ELNS1_11target_archE906ELNS1_3gpuE6ELNS1_3repE0EEENS1_30default_config_static_selectorELNS0_4arch9wavefront6targetE1EEEvT1_
	.p2align	8
	.type	_ZN7rocprim17ROCPRIM_400000_NS6detail17trampoline_kernelINS0_14default_configENS1_25partition_config_selectorILNS1_17partition_subalgoE8ElNS0_10empty_typeEbEEZZNS1_14partition_implILS5_8ELb0ES3_jPlPS6_PKS6_NS0_5tupleIJS9_S6_EEENSD_IJSA_SA_EEENS0_18inequality_wrapperIZN2at6native12_GLOBAL__N_124unique_dim_cuda_templateItEESt5tupleIJNSH_6TensorESM_SM_EERKSM_lbbbEUlllE0_EEPmJS6_EEE10hipError_tPvRmT3_T4_T5_T6_T7_T9_mT8_P12ihipStream_tbDpT10_ENKUlT_T0_E_clISt17integral_constantIbLb0EES1B_IbLb1EEEEDaS17_S18_EUlS17_E_NS1_11comp_targetILNS1_3genE2ELNS1_11target_archE906ELNS1_3gpuE6ELNS1_3repE0EEENS1_30default_config_static_selectorELNS0_4arch9wavefront6targetE1EEEvT1_,@function
_ZN7rocprim17ROCPRIM_400000_NS6detail17trampoline_kernelINS0_14default_configENS1_25partition_config_selectorILNS1_17partition_subalgoE8ElNS0_10empty_typeEbEEZZNS1_14partition_implILS5_8ELb0ES3_jPlPS6_PKS6_NS0_5tupleIJS9_S6_EEENSD_IJSA_SA_EEENS0_18inequality_wrapperIZN2at6native12_GLOBAL__N_124unique_dim_cuda_templateItEESt5tupleIJNSH_6TensorESM_SM_EERKSM_lbbbEUlllE0_EEPmJS6_EEE10hipError_tPvRmT3_T4_T5_T6_T7_T9_mT8_P12ihipStream_tbDpT10_ENKUlT_T0_E_clISt17integral_constantIbLb0EES1B_IbLb1EEEEDaS17_S18_EUlS17_E_NS1_11comp_targetILNS1_3genE2ELNS1_11target_archE906ELNS1_3gpuE6ELNS1_3repE0EEENS1_30default_config_static_selectorELNS0_4arch9wavefront6targetE1EEEvT1_: ; @_ZN7rocprim17ROCPRIM_400000_NS6detail17trampoline_kernelINS0_14default_configENS1_25partition_config_selectorILNS1_17partition_subalgoE8ElNS0_10empty_typeEbEEZZNS1_14partition_implILS5_8ELb0ES3_jPlPS6_PKS6_NS0_5tupleIJS9_S6_EEENSD_IJSA_SA_EEENS0_18inequality_wrapperIZN2at6native12_GLOBAL__N_124unique_dim_cuda_templateItEESt5tupleIJNSH_6TensorESM_SM_EERKSM_lbbbEUlllE0_EEPmJS6_EEE10hipError_tPvRmT3_T4_T5_T6_T7_T9_mT8_P12ihipStream_tbDpT10_ENKUlT_T0_E_clISt17integral_constantIbLb0EES1B_IbLb1EEEEDaS17_S18_EUlS17_E_NS1_11comp_targetILNS1_3genE2ELNS1_11target_archE906ELNS1_3gpuE6ELNS1_3repE0EEENS1_30default_config_static_selectorELNS0_4arch9wavefront6targetE1EEEvT1_
; %bb.0:
	.section	.rodata,"a",@progbits
	.p2align	6, 0x0
	.amdhsa_kernel _ZN7rocprim17ROCPRIM_400000_NS6detail17trampoline_kernelINS0_14default_configENS1_25partition_config_selectorILNS1_17partition_subalgoE8ElNS0_10empty_typeEbEEZZNS1_14partition_implILS5_8ELb0ES3_jPlPS6_PKS6_NS0_5tupleIJS9_S6_EEENSD_IJSA_SA_EEENS0_18inequality_wrapperIZN2at6native12_GLOBAL__N_124unique_dim_cuda_templateItEESt5tupleIJNSH_6TensorESM_SM_EERKSM_lbbbEUlllE0_EEPmJS6_EEE10hipError_tPvRmT3_T4_T5_T6_T7_T9_mT8_P12ihipStream_tbDpT10_ENKUlT_T0_E_clISt17integral_constantIbLb0EES1B_IbLb1EEEEDaS17_S18_EUlS17_E_NS1_11comp_targetILNS1_3genE2ELNS1_11target_archE906ELNS1_3gpuE6ELNS1_3repE0EEENS1_30default_config_static_selectorELNS0_4arch9wavefront6targetE1EEEvT1_
		.amdhsa_group_segment_fixed_size 0
		.amdhsa_private_segment_fixed_size 0
		.amdhsa_kernarg_size 136
		.amdhsa_user_sgpr_count 2
		.amdhsa_user_sgpr_dispatch_ptr 0
		.amdhsa_user_sgpr_queue_ptr 0
		.amdhsa_user_sgpr_kernarg_segment_ptr 1
		.amdhsa_user_sgpr_dispatch_id 0
		.amdhsa_user_sgpr_kernarg_preload_length 0
		.amdhsa_user_sgpr_kernarg_preload_offset 0
		.amdhsa_user_sgpr_private_segment_size 0
		.amdhsa_uses_dynamic_stack 0
		.amdhsa_enable_private_segment 0
		.amdhsa_system_sgpr_workgroup_id_x 1
		.amdhsa_system_sgpr_workgroup_id_y 0
		.amdhsa_system_sgpr_workgroup_id_z 0
		.amdhsa_system_sgpr_workgroup_info 0
		.amdhsa_system_vgpr_workitem_id 0
		.amdhsa_next_free_vgpr 1
		.amdhsa_next_free_sgpr 0
		.amdhsa_accum_offset 4
		.amdhsa_reserve_vcc 0
		.amdhsa_float_round_mode_32 0
		.amdhsa_float_round_mode_16_64 0
		.amdhsa_float_denorm_mode_32 3
		.amdhsa_float_denorm_mode_16_64 3
		.amdhsa_dx10_clamp 1
		.amdhsa_ieee_mode 1
		.amdhsa_fp16_overflow 0
		.amdhsa_tg_split 0
		.amdhsa_exception_fp_ieee_invalid_op 0
		.amdhsa_exception_fp_denorm_src 0
		.amdhsa_exception_fp_ieee_div_zero 0
		.amdhsa_exception_fp_ieee_overflow 0
		.amdhsa_exception_fp_ieee_underflow 0
		.amdhsa_exception_fp_ieee_inexact 0
		.amdhsa_exception_int_div_zero 0
	.end_amdhsa_kernel
	.section	.text._ZN7rocprim17ROCPRIM_400000_NS6detail17trampoline_kernelINS0_14default_configENS1_25partition_config_selectorILNS1_17partition_subalgoE8ElNS0_10empty_typeEbEEZZNS1_14partition_implILS5_8ELb0ES3_jPlPS6_PKS6_NS0_5tupleIJS9_S6_EEENSD_IJSA_SA_EEENS0_18inequality_wrapperIZN2at6native12_GLOBAL__N_124unique_dim_cuda_templateItEESt5tupleIJNSH_6TensorESM_SM_EERKSM_lbbbEUlllE0_EEPmJS6_EEE10hipError_tPvRmT3_T4_T5_T6_T7_T9_mT8_P12ihipStream_tbDpT10_ENKUlT_T0_E_clISt17integral_constantIbLb0EES1B_IbLb1EEEEDaS17_S18_EUlS17_E_NS1_11comp_targetILNS1_3genE2ELNS1_11target_archE906ELNS1_3gpuE6ELNS1_3repE0EEENS1_30default_config_static_selectorELNS0_4arch9wavefront6targetE1EEEvT1_,"axG",@progbits,_ZN7rocprim17ROCPRIM_400000_NS6detail17trampoline_kernelINS0_14default_configENS1_25partition_config_selectorILNS1_17partition_subalgoE8ElNS0_10empty_typeEbEEZZNS1_14partition_implILS5_8ELb0ES3_jPlPS6_PKS6_NS0_5tupleIJS9_S6_EEENSD_IJSA_SA_EEENS0_18inequality_wrapperIZN2at6native12_GLOBAL__N_124unique_dim_cuda_templateItEESt5tupleIJNSH_6TensorESM_SM_EERKSM_lbbbEUlllE0_EEPmJS6_EEE10hipError_tPvRmT3_T4_T5_T6_T7_T9_mT8_P12ihipStream_tbDpT10_ENKUlT_T0_E_clISt17integral_constantIbLb0EES1B_IbLb1EEEEDaS17_S18_EUlS17_E_NS1_11comp_targetILNS1_3genE2ELNS1_11target_archE906ELNS1_3gpuE6ELNS1_3repE0EEENS1_30default_config_static_selectorELNS0_4arch9wavefront6targetE1EEEvT1_,comdat
.Lfunc_end1456:
	.size	_ZN7rocprim17ROCPRIM_400000_NS6detail17trampoline_kernelINS0_14default_configENS1_25partition_config_selectorILNS1_17partition_subalgoE8ElNS0_10empty_typeEbEEZZNS1_14partition_implILS5_8ELb0ES3_jPlPS6_PKS6_NS0_5tupleIJS9_S6_EEENSD_IJSA_SA_EEENS0_18inequality_wrapperIZN2at6native12_GLOBAL__N_124unique_dim_cuda_templateItEESt5tupleIJNSH_6TensorESM_SM_EERKSM_lbbbEUlllE0_EEPmJS6_EEE10hipError_tPvRmT3_T4_T5_T6_T7_T9_mT8_P12ihipStream_tbDpT10_ENKUlT_T0_E_clISt17integral_constantIbLb0EES1B_IbLb1EEEEDaS17_S18_EUlS17_E_NS1_11comp_targetILNS1_3genE2ELNS1_11target_archE906ELNS1_3gpuE6ELNS1_3repE0EEENS1_30default_config_static_selectorELNS0_4arch9wavefront6targetE1EEEvT1_, .Lfunc_end1456-_ZN7rocprim17ROCPRIM_400000_NS6detail17trampoline_kernelINS0_14default_configENS1_25partition_config_selectorILNS1_17partition_subalgoE8ElNS0_10empty_typeEbEEZZNS1_14partition_implILS5_8ELb0ES3_jPlPS6_PKS6_NS0_5tupleIJS9_S6_EEENSD_IJSA_SA_EEENS0_18inequality_wrapperIZN2at6native12_GLOBAL__N_124unique_dim_cuda_templateItEESt5tupleIJNSH_6TensorESM_SM_EERKSM_lbbbEUlllE0_EEPmJS6_EEE10hipError_tPvRmT3_T4_T5_T6_T7_T9_mT8_P12ihipStream_tbDpT10_ENKUlT_T0_E_clISt17integral_constantIbLb0EES1B_IbLb1EEEEDaS17_S18_EUlS17_E_NS1_11comp_targetILNS1_3genE2ELNS1_11target_archE906ELNS1_3gpuE6ELNS1_3repE0EEENS1_30default_config_static_selectorELNS0_4arch9wavefront6targetE1EEEvT1_
                                        ; -- End function
	.section	.AMDGPU.csdata,"",@progbits
; Kernel info:
; codeLenInByte = 0
; NumSgprs: 6
; NumVgprs: 0
; NumAgprs: 0
; TotalNumVgprs: 0
; ScratchSize: 0
; MemoryBound: 0
; FloatMode: 240
; IeeeMode: 1
; LDSByteSize: 0 bytes/workgroup (compile time only)
; SGPRBlocks: 0
; VGPRBlocks: 0
; NumSGPRsForWavesPerEU: 6
; NumVGPRsForWavesPerEU: 1
; AccumOffset: 4
; Occupancy: 8
; WaveLimiterHint : 0
; COMPUTE_PGM_RSRC2:SCRATCH_EN: 0
; COMPUTE_PGM_RSRC2:USER_SGPR: 2
; COMPUTE_PGM_RSRC2:TRAP_HANDLER: 0
; COMPUTE_PGM_RSRC2:TGID_X_EN: 1
; COMPUTE_PGM_RSRC2:TGID_Y_EN: 0
; COMPUTE_PGM_RSRC2:TGID_Z_EN: 0
; COMPUTE_PGM_RSRC2:TIDIG_COMP_CNT: 0
; COMPUTE_PGM_RSRC3_GFX90A:ACCUM_OFFSET: 0
; COMPUTE_PGM_RSRC3_GFX90A:TG_SPLIT: 0
	.section	.text._ZN7rocprim17ROCPRIM_400000_NS6detail17trampoline_kernelINS0_14default_configENS1_25partition_config_selectorILNS1_17partition_subalgoE8ElNS0_10empty_typeEbEEZZNS1_14partition_implILS5_8ELb0ES3_jPlPS6_PKS6_NS0_5tupleIJS9_S6_EEENSD_IJSA_SA_EEENS0_18inequality_wrapperIZN2at6native12_GLOBAL__N_124unique_dim_cuda_templateItEESt5tupleIJNSH_6TensorESM_SM_EERKSM_lbbbEUlllE0_EEPmJS6_EEE10hipError_tPvRmT3_T4_T5_T6_T7_T9_mT8_P12ihipStream_tbDpT10_ENKUlT_T0_E_clISt17integral_constantIbLb0EES1B_IbLb1EEEEDaS17_S18_EUlS17_E_NS1_11comp_targetILNS1_3genE10ELNS1_11target_archE1200ELNS1_3gpuE4ELNS1_3repE0EEENS1_30default_config_static_selectorELNS0_4arch9wavefront6targetE1EEEvT1_,"axG",@progbits,_ZN7rocprim17ROCPRIM_400000_NS6detail17trampoline_kernelINS0_14default_configENS1_25partition_config_selectorILNS1_17partition_subalgoE8ElNS0_10empty_typeEbEEZZNS1_14partition_implILS5_8ELb0ES3_jPlPS6_PKS6_NS0_5tupleIJS9_S6_EEENSD_IJSA_SA_EEENS0_18inequality_wrapperIZN2at6native12_GLOBAL__N_124unique_dim_cuda_templateItEESt5tupleIJNSH_6TensorESM_SM_EERKSM_lbbbEUlllE0_EEPmJS6_EEE10hipError_tPvRmT3_T4_T5_T6_T7_T9_mT8_P12ihipStream_tbDpT10_ENKUlT_T0_E_clISt17integral_constantIbLb0EES1B_IbLb1EEEEDaS17_S18_EUlS17_E_NS1_11comp_targetILNS1_3genE10ELNS1_11target_archE1200ELNS1_3gpuE4ELNS1_3repE0EEENS1_30default_config_static_selectorELNS0_4arch9wavefront6targetE1EEEvT1_,comdat
	.globl	_ZN7rocprim17ROCPRIM_400000_NS6detail17trampoline_kernelINS0_14default_configENS1_25partition_config_selectorILNS1_17partition_subalgoE8ElNS0_10empty_typeEbEEZZNS1_14partition_implILS5_8ELb0ES3_jPlPS6_PKS6_NS0_5tupleIJS9_S6_EEENSD_IJSA_SA_EEENS0_18inequality_wrapperIZN2at6native12_GLOBAL__N_124unique_dim_cuda_templateItEESt5tupleIJNSH_6TensorESM_SM_EERKSM_lbbbEUlllE0_EEPmJS6_EEE10hipError_tPvRmT3_T4_T5_T6_T7_T9_mT8_P12ihipStream_tbDpT10_ENKUlT_T0_E_clISt17integral_constantIbLb0EES1B_IbLb1EEEEDaS17_S18_EUlS17_E_NS1_11comp_targetILNS1_3genE10ELNS1_11target_archE1200ELNS1_3gpuE4ELNS1_3repE0EEENS1_30default_config_static_selectorELNS0_4arch9wavefront6targetE1EEEvT1_ ; -- Begin function _ZN7rocprim17ROCPRIM_400000_NS6detail17trampoline_kernelINS0_14default_configENS1_25partition_config_selectorILNS1_17partition_subalgoE8ElNS0_10empty_typeEbEEZZNS1_14partition_implILS5_8ELb0ES3_jPlPS6_PKS6_NS0_5tupleIJS9_S6_EEENSD_IJSA_SA_EEENS0_18inequality_wrapperIZN2at6native12_GLOBAL__N_124unique_dim_cuda_templateItEESt5tupleIJNSH_6TensorESM_SM_EERKSM_lbbbEUlllE0_EEPmJS6_EEE10hipError_tPvRmT3_T4_T5_T6_T7_T9_mT8_P12ihipStream_tbDpT10_ENKUlT_T0_E_clISt17integral_constantIbLb0EES1B_IbLb1EEEEDaS17_S18_EUlS17_E_NS1_11comp_targetILNS1_3genE10ELNS1_11target_archE1200ELNS1_3gpuE4ELNS1_3repE0EEENS1_30default_config_static_selectorELNS0_4arch9wavefront6targetE1EEEvT1_
	.p2align	8
	.type	_ZN7rocprim17ROCPRIM_400000_NS6detail17trampoline_kernelINS0_14default_configENS1_25partition_config_selectorILNS1_17partition_subalgoE8ElNS0_10empty_typeEbEEZZNS1_14partition_implILS5_8ELb0ES3_jPlPS6_PKS6_NS0_5tupleIJS9_S6_EEENSD_IJSA_SA_EEENS0_18inequality_wrapperIZN2at6native12_GLOBAL__N_124unique_dim_cuda_templateItEESt5tupleIJNSH_6TensorESM_SM_EERKSM_lbbbEUlllE0_EEPmJS6_EEE10hipError_tPvRmT3_T4_T5_T6_T7_T9_mT8_P12ihipStream_tbDpT10_ENKUlT_T0_E_clISt17integral_constantIbLb0EES1B_IbLb1EEEEDaS17_S18_EUlS17_E_NS1_11comp_targetILNS1_3genE10ELNS1_11target_archE1200ELNS1_3gpuE4ELNS1_3repE0EEENS1_30default_config_static_selectorELNS0_4arch9wavefront6targetE1EEEvT1_,@function
_ZN7rocprim17ROCPRIM_400000_NS6detail17trampoline_kernelINS0_14default_configENS1_25partition_config_selectorILNS1_17partition_subalgoE8ElNS0_10empty_typeEbEEZZNS1_14partition_implILS5_8ELb0ES3_jPlPS6_PKS6_NS0_5tupleIJS9_S6_EEENSD_IJSA_SA_EEENS0_18inequality_wrapperIZN2at6native12_GLOBAL__N_124unique_dim_cuda_templateItEESt5tupleIJNSH_6TensorESM_SM_EERKSM_lbbbEUlllE0_EEPmJS6_EEE10hipError_tPvRmT3_T4_T5_T6_T7_T9_mT8_P12ihipStream_tbDpT10_ENKUlT_T0_E_clISt17integral_constantIbLb0EES1B_IbLb1EEEEDaS17_S18_EUlS17_E_NS1_11comp_targetILNS1_3genE10ELNS1_11target_archE1200ELNS1_3gpuE4ELNS1_3repE0EEENS1_30default_config_static_selectorELNS0_4arch9wavefront6targetE1EEEvT1_: ; @_ZN7rocprim17ROCPRIM_400000_NS6detail17trampoline_kernelINS0_14default_configENS1_25partition_config_selectorILNS1_17partition_subalgoE8ElNS0_10empty_typeEbEEZZNS1_14partition_implILS5_8ELb0ES3_jPlPS6_PKS6_NS0_5tupleIJS9_S6_EEENSD_IJSA_SA_EEENS0_18inequality_wrapperIZN2at6native12_GLOBAL__N_124unique_dim_cuda_templateItEESt5tupleIJNSH_6TensorESM_SM_EERKSM_lbbbEUlllE0_EEPmJS6_EEE10hipError_tPvRmT3_T4_T5_T6_T7_T9_mT8_P12ihipStream_tbDpT10_ENKUlT_T0_E_clISt17integral_constantIbLb0EES1B_IbLb1EEEEDaS17_S18_EUlS17_E_NS1_11comp_targetILNS1_3genE10ELNS1_11target_archE1200ELNS1_3gpuE4ELNS1_3repE0EEENS1_30default_config_static_selectorELNS0_4arch9wavefront6targetE1EEEvT1_
; %bb.0:
	.section	.rodata,"a",@progbits
	.p2align	6, 0x0
	.amdhsa_kernel _ZN7rocprim17ROCPRIM_400000_NS6detail17trampoline_kernelINS0_14default_configENS1_25partition_config_selectorILNS1_17partition_subalgoE8ElNS0_10empty_typeEbEEZZNS1_14partition_implILS5_8ELb0ES3_jPlPS6_PKS6_NS0_5tupleIJS9_S6_EEENSD_IJSA_SA_EEENS0_18inequality_wrapperIZN2at6native12_GLOBAL__N_124unique_dim_cuda_templateItEESt5tupleIJNSH_6TensorESM_SM_EERKSM_lbbbEUlllE0_EEPmJS6_EEE10hipError_tPvRmT3_T4_T5_T6_T7_T9_mT8_P12ihipStream_tbDpT10_ENKUlT_T0_E_clISt17integral_constantIbLb0EES1B_IbLb1EEEEDaS17_S18_EUlS17_E_NS1_11comp_targetILNS1_3genE10ELNS1_11target_archE1200ELNS1_3gpuE4ELNS1_3repE0EEENS1_30default_config_static_selectorELNS0_4arch9wavefront6targetE1EEEvT1_
		.amdhsa_group_segment_fixed_size 0
		.amdhsa_private_segment_fixed_size 0
		.amdhsa_kernarg_size 136
		.amdhsa_user_sgpr_count 2
		.amdhsa_user_sgpr_dispatch_ptr 0
		.amdhsa_user_sgpr_queue_ptr 0
		.amdhsa_user_sgpr_kernarg_segment_ptr 1
		.amdhsa_user_sgpr_dispatch_id 0
		.amdhsa_user_sgpr_kernarg_preload_length 0
		.amdhsa_user_sgpr_kernarg_preload_offset 0
		.amdhsa_user_sgpr_private_segment_size 0
		.amdhsa_uses_dynamic_stack 0
		.amdhsa_enable_private_segment 0
		.amdhsa_system_sgpr_workgroup_id_x 1
		.amdhsa_system_sgpr_workgroup_id_y 0
		.amdhsa_system_sgpr_workgroup_id_z 0
		.amdhsa_system_sgpr_workgroup_info 0
		.amdhsa_system_vgpr_workitem_id 0
		.amdhsa_next_free_vgpr 1
		.amdhsa_next_free_sgpr 0
		.amdhsa_accum_offset 4
		.amdhsa_reserve_vcc 0
		.amdhsa_float_round_mode_32 0
		.amdhsa_float_round_mode_16_64 0
		.amdhsa_float_denorm_mode_32 3
		.amdhsa_float_denorm_mode_16_64 3
		.amdhsa_dx10_clamp 1
		.amdhsa_ieee_mode 1
		.amdhsa_fp16_overflow 0
		.amdhsa_tg_split 0
		.amdhsa_exception_fp_ieee_invalid_op 0
		.amdhsa_exception_fp_denorm_src 0
		.amdhsa_exception_fp_ieee_div_zero 0
		.amdhsa_exception_fp_ieee_overflow 0
		.amdhsa_exception_fp_ieee_underflow 0
		.amdhsa_exception_fp_ieee_inexact 0
		.amdhsa_exception_int_div_zero 0
	.end_amdhsa_kernel
	.section	.text._ZN7rocprim17ROCPRIM_400000_NS6detail17trampoline_kernelINS0_14default_configENS1_25partition_config_selectorILNS1_17partition_subalgoE8ElNS0_10empty_typeEbEEZZNS1_14partition_implILS5_8ELb0ES3_jPlPS6_PKS6_NS0_5tupleIJS9_S6_EEENSD_IJSA_SA_EEENS0_18inequality_wrapperIZN2at6native12_GLOBAL__N_124unique_dim_cuda_templateItEESt5tupleIJNSH_6TensorESM_SM_EERKSM_lbbbEUlllE0_EEPmJS6_EEE10hipError_tPvRmT3_T4_T5_T6_T7_T9_mT8_P12ihipStream_tbDpT10_ENKUlT_T0_E_clISt17integral_constantIbLb0EES1B_IbLb1EEEEDaS17_S18_EUlS17_E_NS1_11comp_targetILNS1_3genE10ELNS1_11target_archE1200ELNS1_3gpuE4ELNS1_3repE0EEENS1_30default_config_static_selectorELNS0_4arch9wavefront6targetE1EEEvT1_,"axG",@progbits,_ZN7rocprim17ROCPRIM_400000_NS6detail17trampoline_kernelINS0_14default_configENS1_25partition_config_selectorILNS1_17partition_subalgoE8ElNS0_10empty_typeEbEEZZNS1_14partition_implILS5_8ELb0ES3_jPlPS6_PKS6_NS0_5tupleIJS9_S6_EEENSD_IJSA_SA_EEENS0_18inequality_wrapperIZN2at6native12_GLOBAL__N_124unique_dim_cuda_templateItEESt5tupleIJNSH_6TensorESM_SM_EERKSM_lbbbEUlllE0_EEPmJS6_EEE10hipError_tPvRmT3_T4_T5_T6_T7_T9_mT8_P12ihipStream_tbDpT10_ENKUlT_T0_E_clISt17integral_constantIbLb0EES1B_IbLb1EEEEDaS17_S18_EUlS17_E_NS1_11comp_targetILNS1_3genE10ELNS1_11target_archE1200ELNS1_3gpuE4ELNS1_3repE0EEENS1_30default_config_static_selectorELNS0_4arch9wavefront6targetE1EEEvT1_,comdat
.Lfunc_end1457:
	.size	_ZN7rocprim17ROCPRIM_400000_NS6detail17trampoline_kernelINS0_14default_configENS1_25partition_config_selectorILNS1_17partition_subalgoE8ElNS0_10empty_typeEbEEZZNS1_14partition_implILS5_8ELb0ES3_jPlPS6_PKS6_NS0_5tupleIJS9_S6_EEENSD_IJSA_SA_EEENS0_18inequality_wrapperIZN2at6native12_GLOBAL__N_124unique_dim_cuda_templateItEESt5tupleIJNSH_6TensorESM_SM_EERKSM_lbbbEUlllE0_EEPmJS6_EEE10hipError_tPvRmT3_T4_T5_T6_T7_T9_mT8_P12ihipStream_tbDpT10_ENKUlT_T0_E_clISt17integral_constantIbLb0EES1B_IbLb1EEEEDaS17_S18_EUlS17_E_NS1_11comp_targetILNS1_3genE10ELNS1_11target_archE1200ELNS1_3gpuE4ELNS1_3repE0EEENS1_30default_config_static_selectorELNS0_4arch9wavefront6targetE1EEEvT1_, .Lfunc_end1457-_ZN7rocprim17ROCPRIM_400000_NS6detail17trampoline_kernelINS0_14default_configENS1_25partition_config_selectorILNS1_17partition_subalgoE8ElNS0_10empty_typeEbEEZZNS1_14partition_implILS5_8ELb0ES3_jPlPS6_PKS6_NS0_5tupleIJS9_S6_EEENSD_IJSA_SA_EEENS0_18inequality_wrapperIZN2at6native12_GLOBAL__N_124unique_dim_cuda_templateItEESt5tupleIJNSH_6TensorESM_SM_EERKSM_lbbbEUlllE0_EEPmJS6_EEE10hipError_tPvRmT3_T4_T5_T6_T7_T9_mT8_P12ihipStream_tbDpT10_ENKUlT_T0_E_clISt17integral_constantIbLb0EES1B_IbLb1EEEEDaS17_S18_EUlS17_E_NS1_11comp_targetILNS1_3genE10ELNS1_11target_archE1200ELNS1_3gpuE4ELNS1_3repE0EEENS1_30default_config_static_selectorELNS0_4arch9wavefront6targetE1EEEvT1_
                                        ; -- End function
	.section	.AMDGPU.csdata,"",@progbits
; Kernel info:
; codeLenInByte = 0
; NumSgprs: 6
; NumVgprs: 0
; NumAgprs: 0
; TotalNumVgprs: 0
; ScratchSize: 0
; MemoryBound: 0
; FloatMode: 240
; IeeeMode: 1
; LDSByteSize: 0 bytes/workgroup (compile time only)
; SGPRBlocks: 0
; VGPRBlocks: 0
; NumSGPRsForWavesPerEU: 6
; NumVGPRsForWavesPerEU: 1
; AccumOffset: 4
; Occupancy: 8
; WaveLimiterHint : 0
; COMPUTE_PGM_RSRC2:SCRATCH_EN: 0
; COMPUTE_PGM_RSRC2:USER_SGPR: 2
; COMPUTE_PGM_RSRC2:TRAP_HANDLER: 0
; COMPUTE_PGM_RSRC2:TGID_X_EN: 1
; COMPUTE_PGM_RSRC2:TGID_Y_EN: 0
; COMPUTE_PGM_RSRC2:TGID_Z_EN: 0
; COMPUTE_PGM_RSRC2:TIDIG_COMP_CNT: 0
; COMPUTE_PGM_RSRC3_GFX90A:ACCUM_OFFSET: 0
; COMPUTE_PGM_RSRC3_GFX90A:TG_SPLIT: 0
	.section	.text._ZN7rocprim17ROCPRIM_400000_NS6detail17trampoline_kernelINS0_14default_configENS1_25partition_config_selectorILNS1_17partition_subalgoE8ElNS0_10empty_typeEbEEZZNS1_14partition_implILS5_8ELb0ES3_jPlPS6_PKS6_NS0_5tupleIJS9_S6_EEENSD_IJSA_SA_EEENS0_18inequality_wrapperIZN2at6native12_GLOBAL__N_124unique_dim_cuda_templateItEESt5tupleIJNSH_6TensorESM_SM_EERKSM_lbbbEUlllE0_EEPmJS6_EEE10hipError_tPvRmT3_T4_T5_T6_T7_T9_mT8_P12ihipStream_tbDpT10_ENKUlT_T0_E_clISt17integral_constantIbLb0EES1B_IbLb1EEEEDaS17_S18_EUlS17_E_NS1_11comp_targetILNS1_3genE9ELNS1_11target_archE1100ELNS1_3gpuE3ELNS1_3repE0EEENS1_30default_config_static_selectorELNS0_4arch9wavefront6targetE1EEEvT1_,"axG",@progbits,_ZN7rocprim17ROCPRIM_400000_NS6detail17trampoline_kernelINS0_14default_configENS1_25partition_config_selectorILNS1_17partition_subalgoE8ElNS0_10empty_typeEbEEZZNS1_14partition_implILS5_8ELb0ES3_jPlPS6_PKS6_NS0_5tupleIJS9_S6_EEENSD_IJSA_SA_EEENS0_18inequality_wrapperIZN2at6native12_GLOBAL__N_124unique_dim_cuda_templateItEESt5tupleIJNSH_6TensorESM_SM_EERKSM_lbbbEUlllE0_EEPmJS6_EEE10hipError_tPvRmT3_T4_T5_T6_T7_T9_mT8_P12ihipStream_tbDpT10_ENKUlT_T0_E_clISt17integral_constantIbLb0EES1B_IbLb1EEEEDaS17_S18_EUlS17_E_NS1_11comp_targetILNS1_3genE9ELNS1_11target_archE1100ELNS1_3gpuE3ELNS1_3repE0EEENS1_30default_config_static_selectorELNS0_4arch9wavefront6targetE1EEEvT1_,comdat
	.globl	_ZN7rocprim17ROCPRIM_400000_NS6detail17trampoline_kernelINS0_14default_configENS1_25partition_config_selectorILNS1_17partition_subalgoE8ElNS0_10empty_typeEbEEZZNS1_14partition_implILS5_8ELb0ES3_jPlPS6_PKS6_NS0_5tupleIJS9_S6_EEENSD_IJSA_SA_EEENS0_18inequality_wrapperIZN2at6native12_GLOBAL__N_124unique_dim_cuda_templateItEESt5tupleIJNSH_6TensorESM_SM_EERKSM_lbbbEUlllE0_EEPmJS6_EEE10hipError_tPvRmT3_T4_T5_T6_T7_T9_mT8_P12ihipStream_tbDpT10_ENKUlT_T0_E_clISt17integral_constantIbLb0EES1B_IbLb1EEEEDaS17_S18_EUlS17_E_NS1_11comp_targetILNS1_3genE9ELNS1_11target_archE1100ELNS1_3gpuE3ELNS1_3repE0EEENS1_30default_config_static_selectorELNS0_4arch9wavefront6targetE1EEEvT1_ ; -- Begin function _ZN7rocprim17ROCPRIM_400000_NS6detail17trampoline_kernelINS0_14default_configENS1_25partition_config_selectorILNS1_17partition_subalgoE8ElNS0_10empty_typeEbEEZZNS1_14partition_implILS5_8ELb0ES3_jPlPS6_PKS6_NS0_5tupleIJS9_S6_EEENSD_IJSA_SA_EEENS0_18inequality_wrapperIZN2at6native12_GLOBAL__N_124unique_dim_cuda_templateItEESt5tupleIJNSH_6TensorESM_SM_EERKSM_lbbbEUlllE0_EEPmJS6_EEE10hipError_tPvRmT3_T4_T5_T6_T7_T9_mT8_P12ihipStream_tbDpT10_ENKUlT_T0_E_clISt17integral_constantIbLb0EES1B_IbLb1EEEEDaS17_S18_EUlS17_E_NS1_11comp_targetILNS1_3genE9ELNS1_11target_archE1100ELNS1_3gpuE3ELNS1_3repE0EEENS1_30default_config_static_selectorELNS0_4arch9wavefront6targetE1EEEvT1_
	.p2align	8
	.type	_ZN7rocprim17ROCPRIM_400000_NS6detail17trampoline_kernelINS0_14default_configENS1_25partition_config_selectorILNS1_17partition_subalgoE8ElNS0_10empty_typeEbEEZZNS1_14partition_implILS5_8ELb0ES3_jPlPS6_PKS6_NS0_5tupleIJS9_S6_EEENSD_IJSA_SA_EEENS0_18inequality_wrapperIZN2at6native12_GLOBAL__N_124unique_dim_cuda_templateItEESt5tupleIJNSH_6TensorESM_SM_EERKSM_lbbbEUlllE0_EEPmJS6_EEE10hipError_tPvRmT3_T4_T5_T6_T7_T9_mT8_P12ihipStream_tbDpT10_ENKUlT_T0_E_clISt17integral_constantIbLb0EES1B_IbLb1EEEEDaS17_S18_EUlS17_E_NS1_11comp_targetILNS1_3genE9ELNS1_11target_archE1100ELNS1_3gpuE3ELNS1_3repE0EEENS1_30default_config_static_selectorELNS0_4arch9wavefront6targetE1EEEvT1_,@function
_ZN7rocprim17ROCPRIM_400000_NS6detail17trampoline_kernelINS0_14default_configENS1_25partition_config_selectorILNS1_17partition_subalgoE8ElNS0_10empty_typeEbEEZZNS1_14partition_implILS5_8ELb0ES3_jPlPS6_PKS6_NS0_5tupleIJS9_S6_EEENSD_IJSA_SA_EEENS0_18inequality_wrapperIZN2at6native12_GLOBAL__N_124unique_dim_cuda_templateItEESt5tupleIJNSH_6TensorESM_SM_EERKSM_lbbbEUlllE0_EEPmJS6_EEE10hipError_tPvRmT3_T4_T5_T6_T7_T9_mT8_P12ihipStream_tbDpT10_ENKUlT_T0_E_clISt17integral_constantIbLb0EES1B_IbLb1EEEEDaS17_S18_EUlS17_E_NS1_11comp_targetILNS1_3genE9ELNS1_11target_archE1100ELNS1_3gpuE3ELNS1_3repE0EEENS1_30default_config_static_selectorELNS0_4arch9wavefront6targetE1EEEvT1_: ; @_ZN7rocprim17ROCPRIM_400000_NS6detail17trampoline_kernelINS0_14default_configENS1_25partition_config_selectorILNS1_17partition_subalgoE8ElNS0_10empty_typeEbEEZZNS1_14partition_implILS5_8ELb0ES3_jPlPS6_PKS6_NS0_5tupleIJS9_S6_EEENSD_IJSA_SA_EEENS0_18inequality_wrapperIZN2at6native12_GLOBAL__N_124unique_dim_cuda_templateItEESt5tupleIJNSH_6TensorESM_SM_EERKSM_lbbbEUlllE0_EEPmJS6_EEE10hipError_tPvRmT3_T4_T5_T6_T7_T9_mT8_P12ihipStream_tbDpT10_ENKUlT_T0_E_clISt17integral_constantIbLb0EES1B_IbLb1EEEEDaS17_S18_EUlS17_E_NS1_11comp_targetILNS1_3genE9ELNS1_11target_archE1100ELNS1_3gpuE3ELNS1_3repE0EEENS1_30default_config_static_selectorELNS0_4arch9wavefront6targetE1EEEvT1_
; %bb.0:
	.section	.rodata,"a",@progbits
	.p2align	6, 0x0
	.amdhsa_kernel _ZN7rocprim17ROCPRIM_400000_NS6detail17trampoline_kernelINS0_14default_configENS1_25partition_config_selectorILNS1_17partition_subalgoE8ElNS0_10empty_typeEbEEZZNS1_14partition_implILS5_8ELb0ES3_jPlPS6_PKS6_NS0_5tupleIJS9_S6_EEENSD_IJSA_SA_EEENS0_18inequality_wrapperIZN2at6native12_GLOBAL__N_124unique_dim_cuda_templateItEESt5tupleIJNSH_6TensorESM_SM_EERKSM_lbbbEUlllE0_EEPmJS6_EEE10hipError_tPvRmT3_T4_T5_T6_T7_T9_mT8_P12ihipStream_tbDpT10_ENKUlT_T0_E_clISt17integral_constantIbLb0EES1B_IbLb1EEEEDaS17_S18_EUlS17_E_NS1_11comp_targetILNS1_3genE9ELNS1_11target_archE1100ELNS1_3gpuE3ELNS1_3repE0EEENS1_30default_config_static_selectorELNS0_4arch9wavefront6targetE1EEEvT1_
		.amdhsa_group_segment_fixed_size 0
		.amdhsa_private_segment_fixed_size 0
		.amdhsa_kernarg_size 136
		.amdhsa_user_sgpr_count 2
		.amdhsa_user_sgpr_dispatch_ptr 0
		.amdhsa_user_sgpr_queue_ptr 0
		.amdhsa_user_sgpr_kernarg_segment_ptr 1
		.amdhsa_user_sgpr_dispatch_id 0
		.amdhsa_user_sgpr_kernarg_preload_length 0
		.amdhsa_user_sgpr_kernarg_preload_offset 0
		.amdhsa_user_sgpr_private_segment_size 0
		.amdhsa_uses_dynamic_stack 0
		.amdhsa_enable_private_segment 0
		.amdhsa_system_sgpr_workgroup_id_x 1
		.amdhsa_system_sgpr_workgroup_id_y 0
		.amdhsa_system_sgpr_workgroup_id_z 0
		.amdhsa_system_sgpr_workgroup_info 0
		.amdhsa_system_vgpr_workitem_id 0
		.amdhsa_next_free_vgpr 1
		.amdhsa_next_free_sgpr 0
		.amdhsa_accum_offset 4
		.amdhsa_reserve_vcc 0
		.amdhsa_float_round_mode_32 0
		.amdhsa_float_round_mode_16_64 0
		.amdhsa_float_denorm_mode_32 3
		.amdhsa_float_denorm_mode_16_64 3
		.amdhsa_dx10_clamp 1
		.amdhsa_ieee_mode 1
		.amdhsa_fp16_overflow 0
		.amdhsa_tg_split 0
		.amdhsa_exception_fp_ieee_invalid_op 0
		.amdhsa_exception_fp_denorm_src 0
		.amdhsa_exception_fp_ieee_div_zero 0
		.amdhsa_exception_fp_ieee_overflow 0
		.amdhsa_exception_fp_ieee_underflow 0
		.amdhsa_exception_fp_ieee_inexact 0
		.amdhsa_exception_int_div_zero 0
	.end_amdhsa_kernel
	.section	.text._ZN7rocprim17ROCPRIM_400000_NS6detail17trampoline_kernelINS0_14default_configENS1_25partition_config_selectorILNS1_17partition_subalgoE8ElNS0_10empty_typeEbEEZZNS1_14partition_implILS5_8ELb0ES3_jPlPS6_PKS6_NS0_5tupleIJS9_S6_EEENSD_IJSA_SA_EEENS0_18inequality_wrapperIZN2at6native12_GLOBAL__N_124unique_dim_cuda_templateItEESt5tupleIJNSH_6TensorESM_SM_EERKSM_lbbbEUlllE0_EEPmJS6_EEE10hipError_tPvRmT3_T4_T5_T6_T7_T9_mT8_P12ihipStream_tbDpT10_ENKUlT_T0_E_clISt17integral_constantIbLb0EES1B_IbLb1EEEEDaS17_S18_EUlS17_E_NS1_11comp_targetILNS1_3genE9ELNS1_11target_archE1100ELNS1_3gpuE3ELNS1_3repE0EEENS1_30default_config_static_selectorELNS0_4arch9wavefront6targetE1EEEvT1_,"axG",@progbits,_ZN7rocprim17ROCPRIM_400000_NS6detail17trampoline_kernelINS0_14default_configENS1_25partition_config_selectorILNS1_17partition_subalgoE8ElNS0_10empty_typeEbEEZZNS1_14partition_implILS5_8ELb0ES3_jPlPS6_PKS6_NS0_5tupleIJS9_S6_EEENSD_IJSA_SA_EEENS0_18inequality_wrapperIZN2at6native12_GLOBAL__N_124unique_dim_cuda_templateItEESt5tupleIJNSH_6TensorESM_SM_EERKSM_lbbbEUlllE0_EEPmJS6_EEE10hipError_tPvRmT3_T4_T5_T6_T7_T9_mT8_P12ihipStream_tbDpT10_ENKUlT_T0_E_clISt17integral_constantIbLb0EES1B_IbLb1EEEEDaS17_S18_EUlS17_E_NS1_11comp_targetILNS1_3genE9ELNS1_11target_archE1100ELNS1_3gpuE3ELNS1_3repE0EEENS1_30default_config_static_selectorELNS0_4arch9wavefront6targetE1EEEvT1_,comdat
.Lfunc_end1458:
	.size	_ZN7rocprim17ROCPRIM_400000_NS6detail17trampoline_kernelINS0_14default_configENS1_25partition_config_selectorILNS1_17partition_subalgoE8ElNS0_10empty_typeEbEEZZNS1_14partition_implILS5_8ELb0ES3_jPlPS6_PKS6_NS0_5tupleIJS9_S6_EEENSD_IJSA_SA_EEENS0_18inequality_wrapperIZN2at6native12_GLOBAL__N_124unique_dim_cuda_templateItEESt5tupleIJNSH_6TensorESM_SM_EERKSM_lbbbEUlllE0_EEPmJS6_EEE10hipError_tPvRmT3_T4_T5_T6_T7_T9_mT8_P12ihipStream_tbDpT10_ENKUlT_T0_E_clISt17integral_constantIbLb0EES1B_IbLb1EEEEDaS17_S18_EUlS17_E_NS1_11comp_targetILNS1_3genE9ELNS1_11target_archE1100ELNS1_3gpuE3ELNS1_3repE0EEENS1_30default_config_static_selectorELNS0_4arch9wavefront6targetE1EEEvT1_, .Lfunc_end1458-_ZN7rocprim17ROCPRIM_400000_NS6detail17trampoline_kernelINS0_14default_configENS1_25partition_config_selectorILNS1_17partition_subalgoE8ElNS0_10empty_typeEbEEZZNS1_14partition_implILS5_8ELb0ES3_jPlPS6_PKS6_NS0_5tupleIJS9_S6_EEENSD_IJSA_SA_EEENS0_18inequality_wrapperIZN2at6native12_GLOBAL__N_124unique_dim_cuda_templateItEESt5tupleIJNSH_6TensorESM_SM_EERKSM_lbbbEUlllE0_EEPmJS6_EEE10hipError_tPvRmT3_T4_T5_T6_T7_T9_mT8_P12ihipStream_tbDpT10_ENKUlT_T0_E_clISt17integral_constantIbLb0EES1B_IbLb1EEEEDaS17_S18_EUlS17_E_NS1_11comp_targetILNS1_3genE9ELNS1_11target_archE1100ELNS1_3gpuE3ELNS1_3repE0EEENS1_30default_config_static_selectorELNS0_4arch9wavefront6targetE1EEEvT1_
                                        ; -- End function
	.section	.AMDGPU.csdata,"",@progbits
; Kernel info:
; codeLenInByte = 0
; NumSgprs: 6
; NumVgprs: 0
; NumAgprs: 0
; TotalNumVgprs: 0
; ScratchSize: 0
; MemoryBound: 0
; FloatMode: 240
; IeeeMode: 1
; LDSByteSize: 0 bytes/workgroup (compile time only)
; SGPRBlocks: 0
; VGPRBlocks: 0
; NumSGPRsForWavesPerEU: 6
; NumVGPRsForWavesPerEU: 1
; AccumOffset: 4
; Occupancy: 8
; WaveLimiterHint : 0
; COMPUTE_PGM_RSRC2:SCRATCH_EN: 0
; COMPUTE_PGM_RSRC2:USER_SGPR: 2
; COMPUTE_PGM_RSRC2:TRAP_HANDLER: 0
; COMPUTE_PGM_RSRC2:TGID_X_EN: 1
; COMPUTE_PGM_RSRC2:TGID_Y_EN: 0
; COMPUTE_PGM_RSRC2:TGID_Z_EN: 0
; COMPUTE_PGM_RSRC2:TIDIG_COMP_CNT: 0
; COMPUTE_PGM_RSRC3_GFX90A:ACCUM_OFFSET: 0
; COMPUTE_PGM_RSRC3_GFX90A:TG_SPLIT: 0
	.section	.text._ZN7rocprim17ROCPRIM_400000_NS6detail17trampoline_kernelINS0_14default_configENS1_25partition_config_selectorILNS1_17partition_subalgoE8ElNS0_10empty_typeEbEEZZNS1_14partition_implILS5_8ELb0ES3_jPlPS6_PKS6_NS0_5tupleIJS9_S6_EEENSD_IJSA_SA_EEENS0_18inequality_wrapperIZN2at6native12_GLOBAL__N_124unique_dim_cuda_templateItEESt5tupleIJNSH_6TensorESM_SM_EERKSM_lbbbEUlllE0_EEPmJS6_EEE10hipError_tPvRmT3_T4_T5_T6_T7_T9_mT8_P12ihipStream_tbDpT10_ENKUlT_T0_E_clISt17integral_constantIbLb0EES1B_IbLb1EEEEDaS17_S18_EUlS17_E_NS1_11comp_targetILNS1_3genE8ELNS1_11target_archE1030ELNS1_3gpuE2ELNS1_3repE0EEENS1_30default_config_static_selectorELNS0_4arch9wavefront6targetE1EEEvT1_,"axG",@progbits,_ZN7rocprim17ROCPRIM_400000_NS6detail17trampoline_kernelINS0_14default_configENS1_25partition_config_selectorILNS1_17partition_subalgoE8ElNS0_10empty_typeEbEEZZNS1_14partition_implILS5_8ELb0ES3_jPlPS6_PKS6_NS0_5tupleIJS9_S6_EEENSD_IJSA_SA_EEENS0_18inequality_wrapperIZN2at6native12_GLOBAL__N_124unique_dim_cuda_templateItEESt5tupleIJNSH_6TensorESM_SM_EERKSM_lbbbEUlllE0_EEPmJS6_EEE10hipError_tPvRmT3_T4_T5_T6_T7_T9_mT8_P12ihipStream_tbDpT10_ENKUlT_T0_E_clISt17integral_constantIbLb0EES1B_IbLb1EEEEDaS17_S18_EUlS17_E_NS1_11comp_targetILNS1_3genE8ELNS1_11target_archE1030ELNS1_3gpuE2ELNS1_3repE0EEENS1_30default_config_static_selectorELNS0_4arch9wavefront6targetE1EEEvT1_,comdat
	.globl	_ZN7rocprim17ROCPRIM_400000_NS6detail17trampoline_kernelINS0_14default_configENS1_25partition_config_selectorILNS1_17partition_subalgoE8ElNS0_10empty_typeEbEEZZNS1_14partition_implILS5_8ELb0ES3_jPlPS6_PKS6_NS0_5tupleIJS9_S6_EEENSD_IJSA_SA_EEENS0_18inequality_wrapperIZN2at6native12_GLOBAL__N_124unique_dim_cuda_templateItEESt5tupleIJNSH_6TensorESM_SM_EERKSM_lbbbEUlllE0_EEPmJS6_EEE10hipError_tPvRmT3_T4_T5_T6_T7_T9_mT8_P12ihipStream_tbDpT10_ENKUlT_T0_E_clISt17integral_constantIbLb0EES1B_IbLb1EEEEDaS17_S18_EUlS17_E_NS1_11comp_targetILNS1_3genE8ELNS1_11target_archE1030ELNS1_3gpuE2ELNS1_3repE0EEENS1_30default_config_static_selectorELNS0_4arch9wavefront6targetE1EEEvT1_ ; -- Begin function _ZN7rocprim17ROCPRIM_400000_NS6detail17trampoline_kernelINS0_14default_configENS1_25partition_config_selectorILNS1_17partition_subalgoE8ElNS0_10empty_typeEbEEZZNS1_14partition_implILS5_8ELb0ES3_jPlPS6_PKS6_NS0_5tupleIJS9_S6_EEENSD_IJSA_SA_EEENS0_18inequality_wrapperIZN2at6native12_GLOBAL__N_124unique_dim_cuda_templateItEESt5tupleIJNSH_6TensorESM_SM_EERKSM_lbbbEUlllE0_EEPmJS6_EEE10hipError_tPvRmT3_T4_T5_T6_T7_T9_mT8_P12ihipStream_tbDpT10_ENKUlT_T0_E_clISt17integral_constantIbLb0EES1B_IbLb1EEEEDaS17_S18_EUlS17_E_NS1_11comp_targetILNS1_3genE8ELNS1_11target_archE1030ELNS1_3gpuE2ELNS1_3repE0EEENS1_30default_config_static_selectorELNS0_4arch9wavefront6targetE1EEEvT1_
	.p2align	8
	.type	_ZN7rocprim17ROCPRIM_400000_NS6detail17trampoline_kernelINS0_14default_configENS1_25partition_config_selectorILNS1_17partition_subalgoE8ElNS0_10empty_typeEbEEZZNS1_14partition_implILS5_8ELb0ES3_jPlPS6_PKS6_NS0_5tupleIJS9_S6_EEENSD_IJSA_SA_EEENS0_18inequality_wrapperIZN2at6native12_GLOBAL__N_124unique_dim_cuda_templateItEESt5tupleIJNSH_6TensorESM_SM_EERKSM_lbbbEUlllE0_EEPmJS6_EEE10hipError_tPvRmT3_T4_T5_T6_T7_T9_mT8_P12ihipStream_tbDpT10_ENKUlT_T0_E_clISt17integral_constantIbLb0EES1B_IbLb1EEEEDaS17_S18_EUlS17_E_NS1_11comp_targetILNS1_3genE8ELNS1_11target_archE1030ELNS1_3gpuE2ELNS1_3repE0EEENS1_30default_config_static_selectorELNS0_4arch9wavefront6targetE1EEEvT1_,@function
_ZN7rocprim17ROCPRIM_400000_NS6detail17trampoline_kernelINS0_14default_configENS1_25partition_config_selectorILNS1_17partition_subalgoE8ElNS0_10empty_typeEbEEZZNS1_14partition_implILS5_8ELb0ES3_jPlPS6_PKS6_NS0_5tupleIJS9_S6_EEENSD_IJSA_SA_EEENS0_18inequality_wrapperIZN2at6native12_GLOBAL__N_124unique_dim_cuda_templateItEESt5tupleIJNSH_6TensorESM_SM_EERKSM_lbbbEUlllE0_EEPmJS6_EEE10hipError_tPvRmT3_T4_T5_T6_T7_T9_mT8_P12ihipStream_tbDpT10_ENKUlT_T0_E_clISt17integral_constantIbLb0EES1B_IbLb1EEEEDaS17_S18_EUlS17_E_NS1_11comp_targetILNS1_3genE8ELNS1_11target_archE1030ELNS1_3gpuE2ELNS1_3repE0EEENS1_30default_config_static_selectorELNS0_4arch9wavefront6targetE1EEEvT1_: ; @_ZN7rocprim17ROCPRIM_400000_NS6detail17trampoline_kernelINS0_14default_configENS1_25partition_config_selectorILNS1_17partition_subalgoE8ElNS0_10empty_typeEbEEZZNS1_14partition_implILS5_8ELb0ES3_jPlPS6_PKS6_NS0_5tupleIJS9_S6_EEENSD_IJSA_SA_EEENS0_18inequality_wrapperIZN2at6native12_GLOBAL__N_124unique_dim_cuda_templateItEESt5tupleIJNSH_6TensorESM_SM_EERKSM_lbbbEUlllE0_EEPmJS6_EEE10hipError_tPvRmT3_T4_T5_T6_T7_T9_mT8_P12ihipStream_tbDpT10_ENKUlT_T0_E_clISt17integral_constantIbLb0EES1B_IbLb1EEEEDaS17_S18_EUlS17_E_NS1_11comp_targetILNS1_3genE8ELNS1_11target_archE1030ELNS1_3gpuE2ELNS1_3repE0EEENS1_30default_config_static_selectorELNS0_4arch9wavefront6targetE1EEEvT1_
; %bb.0:
	.section	.rodata,"a",@progbits
	.p2align	6, 0x0
	.amdhsa_kernel _ZN7rocprim17ROCPRIM_400000_NS6detail17trampoline_kernelINS0_14default_configENS1_25partition_config_selectorILNS1_17partition_subalgoE8ElNS0_10empty_typeEbEEZZNS1_14partition_implILS5_8ELb0ES3_jPlPS6_PKS6_NS0_5tupleIJS9_S6_EEENSD_IJSA_SA_EEENS0_18inequality_wrapperIZN2at6native12_GLOBAL__N_124unique_dim_cuda_templateItEESt5tupleIJNSH_6TensorESM_SM_EERKSM_lbbbEUlllE0_EEPmJS6_EEE10hipError_tPvRmT3_T4_T5_T6_T7_T9_mT8_P12ihipStream_tbDpT10_ENKUlT_T0_E_clISt17integral_constantIbLb0EES1B_IbLb1EEEEDaS17_S18_EUlS17_E_NS1_11comp_targetILNS1_3genE8ELNS1_11target_archE1030ELNS1_3gpuE2ELNS1_3repE0EEENS1_30default_config_static_selectorELNS0_4arch9wavefront6targetE1EEEvT1_
		.amdhsa_group_segment_fixed_size 0
		.amdhsa_private_segment_fixed_size 0
		.amdhsa_kernarg_size 136
		.amdhsa_user_sgpr_count 2
		.amdhsa_user_sgpr_dispatch_ptr 0
		.amdhsa_user_sgpr_queue_ptr 0
		.amdhsa_user_sgpr_kernarg_segment_ptr 1
		.amdhsa_user_sgpr_dispatch_id 0
		.amdhsa_user_sgpr_kernarg_preload_length 0
		.amdhsa_user_sgpr_kernarg_preload_offset 0
		.amdhsa_user_sgpr_private_segment_size 0
		.amdhsa_uses_dynamic_stack 0
		.amdhsa_enable_private_segment 0
		.amdhsa_system_sgpr_workgroup_id_x 1
		.amdhsa_system_sgpr_workgroup_id_y 0
		.amdhsa_system_sgpr_workgroup_id_z 0
		.amdhsa_system_sgpr_workgroup_info 0
		.amdhsa_system_vgpr_workitem_id 0
		.amdhsa_next_free_vgpr 1
		.amdhsa_next_free_sgpr 0
		.amdhsa_accum_offset 4
		.amdhsa_reserve_vcc 0
		.amdhsa_float_round_mode_32 0
		.amdhsa_float_round_mode_16_64 0
		.amdhsa_float_denorm_mode_32 3
		.amdhsa_float_denorm_mode_16_64 3
		.amdhsa_dx10_clamp 1
		.amdhsa_ieee_mode 1
		.amdhsa_fp16_overflow 0
		.amdhsa_tg_split 0
		.amdhsa_exception_fp_ieee_invalid_op 0
		.amdhsa_exception_fp_denorm_src 0
		.amdhsa_exception_fp_ieee_div_zero 0
		.amdhsa_exception_fp_ieee_overflow 0
		.amdhsa_exception_fp_ieee_underflow 0
		.amdhsa_exception_fp_ieee_inexact 0
		.amdhsa_exception_int_div_zero 0
	.end_amdhsa_kernel
	.section	.text._ZN7rocprim17ROCPRIM_400000_NS6detail17trampoline_kernelINS0_14default_configENS1_25partition_config_selectorILNS1_17partition_subalgoE8ElNS0_10empty_typeEbEEZZNS1_14partition_implILS5_8ELb0ES3_jPlPS6_PKS6_NS0_5tupleIJS9_S6_EEENSD_IJSA_SA_EEENS0_18inequality_wrapperIZN2at6native12_GLOBAL__N_124unique_dim_cuda_templateItEESt5tupleIJNSH_6TensorESM_SM_EERKSM_lbbbEUlllE0_EEPmJS6_EEE10hipError_tPvRmT3_T4_T5_T6_T7_T9_mT8_P12ihipStream_tbDpT10_ENKUlT_T0_E_clISt17integral_constantIbLb0EES1B_IbLb1EEEEDaS17_S18_EUlS17_E_NS1_11comp_targetILNS1_3genE8ELNS1_11target_archE1030ELNS1_3gpuE2ELNS1_3repE0EEENS1_30default_config_static_selectorELNS0_4arch9wavefront6targetE1EEEvT1_,"axG",@progbits,_ZN7rocprim17ROCPRIM_400000_NS6detail17trampoline_kernelINS0_14default_configENS1_25partition_config_selectorILNS1_17partition_subalgoE8ElNS0_10empty_typeEbEEZZNS1_14partition_implILS5_8ELb0ES3_jPlPS6_PKS6_NS0_5tupleIJS9_S6_EEENSD_IJSA_SA_EEENS0_18inequality_wrapperIZN2at6native12_GLOBAL__N_124unique_dim_cuda_templateItEESt5tupleIJNSH_6TensorESM_SM_EERKSM_lbbbEUlllE0_EEPmJS6_EEE10hipError_tPvRmT3_T4_T5_T6_T7_T9_mT8_P12ihipStream_tbDpT10_ENKUlT_T0_E_clISt17integral_constantIbLb0EES1B_IbLb1EEEEDaS17_S18_EUlS17_E_NS1_11comp_targetILNS1_3genE8ELNS1_11target_archE1030ELNS1_3gpuE2ELNS1_3repE0EEENS1_30default_config_static_selectorELNS0_4arch9wavefront6targetE1EEEvT1_,comdat
.Lfunc_end1459:
	.size	_ZN7rocprim17ROCPRIM_400000_NS6detail17trampoline_kernelINS0_14default_configENS1_25partition_config_selectorILNS1_17partition_subalgoE8ElNS0_10empty_typeEbEEZZNS1_14partition_implILS5_8ELb0ES3_jPlPS6_PKS6_NS0_5tupleIJS9_S6_EEENSD_IJSA_SA_EEENS0_18inequality_wrapperIZN2at6native12_GLOBAL__N_124unique_dim_cuda_templateItEESt5tupleIJNSH_6TensorESM_SM_EERKSM_lbbbEUlllE0_EEPmJS6_EEE10hipError_tPvRmT3_T4_T5_T6_T7_T9_mT8_P12ihipStream_tbDpT10_ENKUlT_T0_E_clISt17integral_constantIbLb0EES1B_IbLb1EEEEDaS17_S18_EUlS17_E_NS1_11comp_targetILNS1_3genE8ELNS1_11target_archE1030ELNS1_3gpuE2ELNS1_3repE0EEENS1_30default_config_static_selectorELNS0_4arch9wavefront6targetE1EEEvT1_, .Lfunc_end1459-_ZN7rocprim17ROCPRIM_400000_NS6detail17trampoline_kernelINS0_14default_configENS1_25partition_config_selectorILNS1_17partition_subalgoE8ElNS0_10empty_typeEbEEZZNS1_14partition_implILS5_8ELb0ES3_jPlPS6_PKS6_NS0_5tupleIJS9_S6_EEENSD_IJSA_SA_EEENS0_18inequality_wrapperIZN2at6native12_GLOBAL__N_124unique_dim_cuda_templateItEESt5tupleIJNSH_6TensorESM_SM_EERKSM_lbbbEUlllE0_EEPmJS6_EEE10hipError_tPvRmT3_T4_T5_T6_T7_T9_mT8_P12ihipStream_tbDpT10_ENKUlT_T0_E_clISt17integral_constantIbLb0EES1B_IbLb1EEEEDaS17_S18_EUlS17_E_NS1_11comp_targetILNS1_3genE8ELNS1_11target_archE1030ELNS1_3gpuE2ELNS1_3repE0EEENS1_30default_config_static_selectorELNS0_4arch9wavefront6targetE1EEEvT1_
                                        ; -- End function
	.section	.AMDGPU.csdata,"",@progbits
; Kernel info:
; codeLenInByte = 0
; NumSgprs: 6
; NumVgprs: 0
; NumAgprs: 0
; TotalNumVgprs: 0
; ScratchSize: 0
; MemoryBound: 0
; FloatMode: 240
; IeeeMode: 1
; LDSByteSize: 0 bytes/workgroup (compile time only)
; SGPRBlocks: 0
; VGPRBlocks: 0
; NumSGPRsForWavesPerEU: 6
; NumVGPRsForWavesPerEU: 1
; AccumOffset: 4
; Occupancy: 8
; WaveLimiterHint : 0
; COMPUTE_PGM_RSRC2:SCRATCH_EN: 0
; COMPUTE_PGM_RSRC2:USER_SGPR: 2
; COMPUTE_PGM_RSRC2:TRAP_HANDLER: 0
; COMPUTE_PGM_RSRC2:TGID_X_EN: 1
; COMPUTE_PGM_RSRC2:TGID_Y_EN: 0
; COMPUTE_PGM_RSRC2:TGID_Z_EN: 0
; COMPUTE_PGM_RSRC2:TIDIG_COMP_CNT: 0
; COMPUTE_PGM_RSRC3_GFX90A:ACCUM_OFFSET: 0
; COMPUTE_PGM_RSRC3_GFX90A:TG_SPLIT: 0
	.section	.text._ZN7rocprim17ROCPRIM_400000_NS6detail17trampoline_kernelINS0_14default_configENS1_25partition_config_selectorILNS1_17partition_subalgoE9EllbEEZZNS1_14partition_implILS5_9ELb0ES3_jPlS8_PNS0_10empty_typeENS0_5tupleIJS8_S9_EEENSB_IJS8_SA_EEENS0_18inequality_wrapperIZN2at6native12_GLOBAL__N_124unique_dim_cuda_templateItEESt5tupleIJNSF_6TensorESK_SK_EERKSK_lbbbEUlllE0_EEPmJS9_EEE10hipError_tPvRmT3_T4_T5_T6_T7_T9_mT8_P12ihipStream_tbDpT10_ENKUlT_T0_E_clISt17integral_constantIbLb0EES1A_EEDaS15_S16_EUlS15_E_NS1_11comp_targetILNS1_3genE0ELNS1_11target_archE4294967295ELNS1_3gpuE0ELNS1_3repE0EEENS1_30default_config_static_selectorELNS0_4arch9wavefront6targetE1EEEvT1_,"axG",@progbits,_ZN7rocprim17ROCPRIM_400000_NS6detail17trampoline_kernelINS0_14default_configENS1_25partition_config_selectorILNS1_17partition_subalgoE9EllbEEZZNS1_14partition_implILS5_9ELb0ES3_jPlS8_PNS0_10empty_typeENS0_5tupleIJS8_S9_EEENSB_IJS8_SA_EEENS0_18inequality_wrapperIZN2at6native12_GLOBAL__N_124unique_dim_cuda_templateItEESt5tupleIJNSF_6TensorESK_SK_EERKSK_lbbbEUlllE0_EEPmJS9_EEE10hipError_tPvRmT3_T4_T5_T6_T7_T9_mT8_P12ihipStream_tbDpT10_ENKUlT_T0_E_clISt17integral_constantIbLb0EES1A_EEDaS15_S16_EUlS15_E_NS1_11comp_targetILNS1_3genE0ELNS1_11target_archE4294967295ELNS1_3gpuE0ELNS1_3repE0EEENS1_30default_config_static_selectorELNS0_4arch9wavefront6targetE1EEEvT1_,comdat
	.globl	_ZN7rocprim17ROCPRIM_400000_NS6detail17trampoline_kernelINS0_14default_configENS1_25partition_config_selectorILNS1_17partition_subalgoE9EllbEEZZNS1_14partition_implILS5_9ELb0ES3_jPlS8_PNS0_10empty_typeENS0_5tupleIJS8_S9_EEENSB_IJS8_SA_EEENS0_18inequality_wrapperIZN2at6native12_GLOBAL__N_124unique_dim_cuda_templateItEESt5tupleIJNSF_6TensorESK_SK_EERKSK_lbbbEUlllE0_EEPmJS9_EEE10hipError_tPvRmT3_T4_T5_T6_T7_T9_mT8_P12ihipStream_tbDpT10_ENKUlT_T0_E_clISt17integral_constantIbLb0EES1A_EEDaS15_S16_EUlS15_E_NS1_11comp_targetILNS1_3genE0ELNS1_11target_archE4294967295ELNS1_3gpuE0ELNS1_3repE0EEENS1_30default_config_static_selectorELNS0_4arch9wavefront6targetE1EEEvT1_ ; -- Begin function _ZN7rocprim17ROCPRIM_400000_NS6detail17trampoline_kernelINS0_14default_configENS1_25partition_config_selectorILNS1_17partition_subalgoE9EllbEEZZNS1_14partition_implILS5_9ELb0ES3_jPlS8_PNS0_10empty_typeENS0_5tupleIJS8_S9_EEENSB_IJS8_SA_EEENS0_18inequality_wrapperIZN2at6native12_GLOBAL__N_124unique_dim_cuda_templateItEESt5tupleIJNSF_6TensorESK_SK_EERKSK_lbbbEUlllE0_EEPmJS9_EEE10hipError_tPvRmT3_T4_T5_T6_T7_T9_mT8_P12ihipStream_tbDpT10_ENKUlT_T0_E_clISt17integral_constantIbLb0EES1A_EEDaS15_S16_EUlS15_E_NS1_11comp_targetILNS1_3genE0ELNS1_11target_archE4294967295ELNS1_3gpuE0ELNS1_3repE0EEENS1_30default_config_static_selectorELNS0_4arch9wavefront6targetE1EEEvT1_
	.p2align	8
	.type	_ZN7rocprim17ROCPRIM_400000_NS6detail17trampoline_kernelINS0_14default_configENS1_25partition_config_selectorILNS1_17partition_subalgoE9EllbEEZZNS1_14partition_implILS5_9ELb0ES3_jPlS8_PNS0_10empty_typeENS0_5tupleIJS8_S9_EEENSB_IJS8_SA_EEENS0_18inequality_wrapperIZN2at6native12_GLOBAL__N_124unique_dim_cuda_templateItEESt5tupleIJNSF_6TensorESK_SK_EERKSK_lbbbEUlllE0_EEPmJS9_EEE10hipError_tPvRmT3_T4_T5_T6_T7_T9_mT8_P12ihipStream_tbDpT10_ENKUlT_T0_E_clISt17integral_constantIbLb0EES1A_EEDaS15_S16_EUlS15_E_NS1_11comp_targetILNS1_3genE0ELNS1_11target_archE4294967295ELNS1_3gpuE0ELNS1_3repE0EEENS1_30default_config_static_selectorELNS0_4arch9wavefront6targetE1EEEvT1_,@function
_ZN7rocprim17ROCPRIM_400000_NS6detail17trampoline_kernelINS0_14default_configENS1_25partition_config_selectorILNS1_17partition_subalgoE9EllbEEZZNS1_14partition_implILS5_9ELb0ES3_jPlS8_PNS0_10empty_typeENS0_5tupleIJS8_S9_EEENSB_IJS8_SA_EEENS0_18inequality_wrapperIZN2at6native12_GLOBAL__N_124unique_dim_cuda_templateItEESt5tupleIJNSF_6TensorESK_SK_EERKSK_lbbbEUlllE0_EEPmJS9_EEE10hipError_tPvRmT3_T4_T5_T6_T7_T9_mT8_P12ihipStream_tbDpT10_ENKUlT_T0_E_clISt17integral_constantIbLb0EES1A_EEDaS15_S16_EUlS15_E_NS1_11comp_targetILNS1_3genE0ELNS1_11target_archE4294967295ELNS1_3gpuE0ELNS1_3repE0EEENS1_30default_config_static_selectorELNS0_4arch9wavefront6targetE1EEEvT1_: ; @_ZN7rocprim17ROCPRIM_400000_NS6detail17trampoline_kernelINS0_14default_configENS1_25partition_config_selectorILNS1_17partition_subalgoE9EllbEEZZNS1_14partition_implILS5_9ELb0ES3_jPlS8_PNS0_10empty_typeENS0_5tupleIJS8_S9_EEENSB_IJS8_SA_EEENS0_18inequality_wrapperIZN2at6native12_GLOBAL__N_124unique_dim_cuda_templateItEESt5tupleIJNSF_6TensorESK_SK_EERKSK_lbbbEUlllE0_EEPmJS9_EEE10hipError_tPvRmT3_T4_T5_T6_T7_T9_mT8_P12ihipStream_tbDpT10_ENKUlT_T0_E_clISt17integral_constantIbLb0EES1A_EEDaS15_S16_EUlS15_E_NS1_11comp_targetILNS1_3genE0ELNS1_11target_archE4294967295ELNS1_3gpuE0ELNS1_3repE0EEENS1_30default_config_static_selectorELNS0_4arch9wavefront6targetE1EEEvT1_
; %bb.0:
	.section	.rodata,"a",@progbits
	.p2align	6, 0x0
	.amdhsa_kernel _ZN7rocprim17ROCPRIM_400000_NS6detail17trampoline_kernelINS0_14default_configENS1_25partition_config_selectorILNS1_17partition_subalgoE9EllbEEZZNS1_14partition_implILS5_9ELb0ES3_jPlS8_PNS0_10empty_typeENS0_5tupleIJS8_S9_EEENSB_IJS8_SA_EEENS0_18inequality_wrapperIZN2at6native12_GLOBAL__N_124unique_dim_cuda_templateItEESt5tupleIJNSF_6TensorESK_SK_EERKSK_lbbbEUlllE0_EEPmJS9_EEE10hipError_tPvRmT3_T4_T5_T6_T7_T9_mT8_P12ihipStream_tbDpT10_ENKUlT_T0_E_clISt17integral_constantIbLb0EES1A_EEDaS15_S16_EUlS15_E_NS1_11comp_targetILNS1_3genE0ELNS1_11target_archE4294967295ELNS1_3gpuE0ELNS1_3repE0EEENS1_30default_config_static_selectorELNS0_4arch9wavefront6targetE1EEEvT1_
		.amdhsa_group_segment_fixed_size 0
		.amdhsa_private_segment_fixed_size 0
		.amdhsa_kernarg_size 120
		.amdhsa_user_sgpr_count 2
		.amdhsa_user_sgpr_dispatch_ptr 0
		.amdhsa_user_sgpr_queue_ptr 0
		.amdhsa_user_sgpr_kernarg_segment_ptr 1
		.amdhsa_user_sgpr_dispatch_id 0
		.amdhsa_user_sgpr_kernarg_preload_length 0
		.amdhsa_user_sgpr_kernarg_preload_offset 0
		.amdhsa_user_sgpr_private_segment_size 0
		.amdhsa_uses_dynamic_stack 0
		.amdhsa_enable_private_segment 0
		.amdhsa_system_sgpr_workgroup_id_x 1
		.amdhsa_system_sgpr_workgroup_id_y 0
		.amdhsa_system_sgpr_workgroup_id_z 0
		.amdhsa_system_sgpr_workgroup_info 0
		.amdhsa_system_vgpr_workitem_id 0
		.amdhsa_next_free_vgpr 1
		.amdhsa_next_free_sgpr 0
		.amdhsa_accum_offset 4
		.amdhsa_reserve_vcc 0
		.amdhsa_float_round_mode_32 0
		.amdhsa_float_round_mode_16_64 0
		.amdhsa_float_denorm_mode_32 3
		.amdhsa_float_denorm_mode_16_64 3
		.amdhsa_dx10_clamp 1
		.amdhsa_ieee_mode 1
		.amdhsa_fp16_overflow 0
		.amdhsa_tg_split 0
		.amdhsa_exception_fp_ieee_invalid_op 0
		.amdhsa_exception_fp_denorm_src 0
		.amdhsa_exception_fp_ieee_div_zero 0
		.amdhsa_exception_fp_ieee_overflow 0
		.amdhsa_exception_fp_ieee_underflow 0
		.amdhsa_exception_fp_ieee_inexact 0
		.amdhsa_exception_int_div_zero 0
	.end_amdhsa_kernel
	.section	.text._ZN7rocprim17ROCPRIM_400000_NS6detail17trampoline_kernelINS0_14default_configENS1_25partition_config_selectorILNS1_17partition_subalgoE9EllbEEZZNS1_14partition_implILS5_9ELb0ES3_jPlS8_PNS0_10empty_typeENS0_5tupleIJS8_S9_EEENSB_IJS8_SA_EEENS0_18inequality_wrapperIZN2at6native12_GLOBAL__N_124unique_dim_cuda_templateItEESt5tupleIJNSF_6TensorESK_SK_EERKSK_lbbbEUlllE0_EEPmJS9_EEE10hipError_tPvRmT3_T4_T5_T6_T7_T9_mT8_P12ihipStream_tbDpT10_ENKUlT_T0_E_clISt17integral_constantIbLb0EES1A_EEDaS15_S16_EUlS15_E_NS1_11comp_targetILNS1_3genE0ELNS1_11target_archE4294967295ELNS1_3gpuE0ELNS1_3repE0EEENS1_30default_config_static_selectorELNS0_4arch9wavefront6targetE1EEEvT1_,"axG",@progbits,_ZN7rocprim17ROCPRIM_400000_NS6detail17trampoline_kernelINS0_14default_configENS1_25partition_config_selectorILNS1_17partition_subalgoE9EllbEEZZNS1_14partition_implILS5_9ELb0ES3_jPlS8_PNS0_10empty_typeENS0_5tupleIJS8_S9_EEENSB_IJS8_SA_EEENS0_18inequality_wrapperIZN2at6native12_GLOBAL__N_124unique_dim_cuda_templateItEESt5tupleIJNSF_6TensorESK_SK_EERKSK_lbbbEUlllE0_EEPmJS9_EEE10hipError_tPvRmT3_T4_T5_T6_T7_T9_mT8_P12ihipStream_tbDpT10_ENKUlT_T0_E_clISt17integral_constantIbLb0EES1A_EEDaS15_S16_EUlS15_E_NS1_11comp_targetILNS1_3genE0ELNS1_11target_archE4294967295ELNS1_3gpuE0ELNS1_3repE0EEENS1_30default_config_static_selectorELNS0_4arch9wavefront6targetE1EEEvT1_,comdat
.Lfunc_end1460:
	.size	_ZN7rocprim17ROCPRIM_400000_NS6detail17trampoline_kernelINS0_14default_configENS1_25partition_config_selectorILNS1_17partition_subalgoE9EllbEEZZNS1_14partition_implILS5_9ELb0ES3_jPlS8_PNS0_10empty_typeENS0_5tupleIJS8_S9_EEENSB_IJS8_SA_EEENS0_18inequality_wrapperIZN2at6native12_GLOBAL__N_124unique_dim_cuda_templateItEESt5tupleIJNSF_6TensorESK_SK_EERKSK_lbbbEUlllE0_EEPmJS9_EEE10hipError_tPvRmT3_T4_T5_T6_T7_T9_mT8_P12ihipStream_tbDpT10_ENKUlT_T0_E_clISt17integral_constantIbLb0EES1A_EEDaS15_S16_EUlS15_E_NS1_11comp_targetILNS1_3genE0ELNS1_11target_archE4294967295ELNS1_3gpuE0ELNS1_3repE0EEENS1_30default_config_static_selectorELNS0_4arch9wavefront6targetE1EEEvT1_, .Lfunc_end1460-_ZN7rocprim17ROCPRIM_400000_NS6detail17trampoline_kernelINS0_14default_configENS1_25partition_config_selectorILNS1_17partition_subalgoE9EllbEEZZNS1_14partition_implILS5_9ELb0ES3_jPlS8_PNS0_10empty_typeENS0_5tupleIJS8_S9_EEENSB_IJS8_SA_EEENS0_18inequality_wrapperIZN2at6native12_GLOBAL__N_124unique_dim_cuda_templateItEESt5tupleIJNSF_6TensorESK_SK_EERKSK_lbbbEUlllE0_EEPmJS9_EEE10hipError_tPvRmT3_T4_T5_T6_T7_T9_mT8_P12ihipStream_tbDpT10_ENKUlT_T0_E_clISt17integral_constantIbLb0EES1A_EEDaS15_S16_EUlS15_E_NS1_11comp_targetILNS1_3genE0ELNS1_11target_archE4294967295ELNS1_3gpuE0ELNS1_3repE0EEENS1_30default_config_static_selectorELNS0_4arch9wavefront6targetE1EEEvT1_
                                        ; -- End function
	.section	.AMDGPU.csdata,"",@progbits
; Kernel info:
; codeLenInByte = 0
; NumSgprs: 6
; NumVgprs: 0
; NumAgprs: 0
; TotalNumVgprs: 0
; ScratchSize: 0
; MemoryBound: 0
; FloatMode: 240
; IeeeMode: 1
; LDSByteSize: 0 bytes/workgroup (compile time only)
; SGPRBlocks: 0
; VGPRBlocks: 0
; NumSGPRsForWavesPerEU: 6
; NumVGPRsForWavesPerEU: 1
; AccumOffset: 4
; Occupancy: 8
; WaveLimiterHint : 0
; COMPUTE_PGM_RSRC2:SCRATCH_EN: 0
; COMPUTE_PGM_RSRC2:USER_SGPR: 2
; COMPUTE_PGM_RSRC2:TRAP_HANDLER: 0
; COMPUTE_PGM_RSRC2:TGID_X_EN: 1
; COMPUTE_PGM_RSRC2:TGID_Y_EN: 0
; COMPUTE_PGM_RSRC2:TGID_Z_EN: 0
; COMPUTE_PGM_RSRC2:TIDIG_COMP_CNT: 0
; COMPUTE_PGM_RSRC3_GFX90A:ACCUM_OFFSET: 0
; COMPUTE_PGM_RSRC3_GFX90A:TG_SPLIT: 0
	.section	.text._ZN7rocprim17ROCPRIM_400000_NS6detail17trampoline_kernelINS0_14default_configENS1_25partition_config_selectorILNS1_17partition_subalgoE9EllbEEZZNS1_14partition_implILS5_9ELb0ES3_jPlS8_PNS0_10empty_typeENS0_5tupleIJS8_S9_EEENSB_IJS8_SA_EEENS0_18inequality_wrapperIZN2at6native12_GLOBAL__N_124unique_dim_cuda_templateItEESt5tupleIJNSF_6TensorESK_SK_EERKSK_lbbbEUlllE0_EEPmJS9_EEE10hipError_tPvRmT3_T4_T5_T6_T7_T9_mT8_P12ihipStream_tbDpT10_ENKUlT_T0_E_clISt17integral_constantIbLb0EES1A_EEDaS15_S16_EUlS15_E_NS1_11comp_targetILNS1_3genE5ELNS1_11target_archE942ELNS1_3gpuE9ELNS1_3repE0EEENS1_30default_config_static_selectorELNS0_4arch9wavefront6targetE1EEEvT1_,"axG",@progbits,_ZN7rocprim17ROCPRIM_400000_NS6detail17trampoline_kernelINS0_14default_configENS1_25partition_config_selectorILNS1_17partition_subalgoE9EllbEEZZNS1_14partition_implILS5_9ELb0ES3_jPlS8_PNS0_10empty_typeENS0_5tupleIJS8_S9_EEENSB_IJS8_SA_EEENS0_18inequality_wrapperIZN2at6native12_GLOBAL__N_124unique_dim_cuda_templateItEESt5tupleIJNSF_6TensorESK_SK_EERKSK_lbbbEUlllE0_EEPmJS9_EEE10hipError_tPvRmT3_T4_T5_T6_T7_T9_mT8_P12ihipStream_tbDpT10_ENKUlT_T0_E_clISt17integral_constantIbLb0EES1A_EEDaS15_S16_EUlS15_E_NS1_11comp_targetILNS1_3genE5ELNS1_11target_archE942ELNS1_3gpuE9ELNS1_3repE0EEENS1_30default_config_static_selectorELNS0_4arch9wavefront6targetE1EEEvT1_,comdat
	.globl	_ZN7rocprim17ROCPRIM_400000_NS6detail17trampoline_kernelINS0_14default_configENS1_25partition_config_selectorILNS1_17partition_subalgoE9EllbEEZZNS1_14partition_implILS5_9ELb0ES3_jPlS8_PNS0_10empty_typeENS0_5tupleIJS8_S9_EEENSB_IJS8_SA_EEENS0_18inequality_wrapperIZN2at6native12_GLOBAL__N_124unique_dim_cuda_templateItEESt5tupleIJNSF_6TensorESK_SK_EERKSK_lbbbEUlllE0_EEPmJS9_EEE10hipError_tPvRmT3_T4_T5_T6_T7_T9_mT8_P12ihipStream_tbDpT10_ENKUlT_T0_E_clISt17integral_constantIbLb0EES1A_EEDaS15_S16_EUlS15_E_NS1_11comp_targetILNS1_3genE5ELNS1_11target_archE942ELNS1_3gpuE9ELNS1_3repE0EEENS1_30default_config_static_selectorELNS0_4arch9wavefront6targetE1EEEvT1_ ; -- Begin function _ZN7rocprim17ROCPRIM_400000_NS6detail17trampoline_kernelINS0_14default_configENS1_25partition_config_selectorILNS1_17partition_subalgoE9EllbEEZZNS1_14partition_implILS5_9ELb0ES3_jPlS8_PNS0_10empty_typeENS0_5tupleIJS8_S9_EEENSB_IJS8_SA_EEENS0_18inequality_wrapperIZN2at6native12_GLOBAL__N_124unique_dim_cuda_templateItEESt5tupleIJNSF_6TensorESK_SK_EERKSK_lbbbEUlllE0_EEPmJS9_EEE10hipError_tPvRmT3_T4_T5_T6_T7_T9_mT8_P12ihipStream_tbDpT10_ENKUlT_T0_E_clISt17integral_constantIbLb0EES1A_EEDaS15_S16_EUlS15_E_NS1_11comp_targetILNS1_3genE5ELNS1_11target_archE942ELNS1_3gpuE9ELNS1_3repE0EEENS1_30default_config_static_selectorELNS0_4arch9wavefront6targetE1EEEvT1_
	.p2align	8
	.type	_ZN7rocprim17ROCPRIM_400000_NS6detail17trampoline_kernelINS0_14default_configENS1_25partition_config_selectorILNS1_17partition_subalgoE9EllbEEZZNS1_14partition_implILS5_9ELb0ES3_jPlS8_PNS0_10empty_typeENS0_5tupleIJS8_S9_EEENSB_IJS8_SA_EEENS0_18inequality_wrapperIZN2at6native12_GLOBAL__N_124unique_dim_cuda_templateItEESt5tupleIJNSF_6TensorESK_SK_EERKSK_lbbbEUlllE0_EEPmJS9_EEE10hipError_tPvRmT3_T4_T5_T6_T7_T9_mT8_P12ihipStream_tbDpT10_ENKUlT_T0_E_clISt17integral_constantIbLb0EES1A_EEDaS15_S16_EUlS15_E_NS1_11comp_targetILNS1_3genE5ELNS1_11target_archE942ELNS1_3gpuE9ELNS1_3repE0EEENS1_30default_config_static_selectorELNS0_4arch9wavefront6targetE1EEEvT1_,@function
_ZN7rocprim17ROCPRIM_400000_NS6detail17trampoline_kernelINS0_14default_configENS1_25partition_config_selectorILNS1_17partition_subalgoE9EllbEEZZNS1_14partition_implILS5_9ELb0ES3_jPlS8_PNS0_10empty_typeENS0_5tupleIJS8_S9_EEENSB_IJS8_SA_EEENS0_18inequality_wrapperIZN2at6native12_GLOBAL__N_124unique_dim_cuda_templateItEESt5tupleIJNSF_6TensorESK_SK_EERKSK_lbbbEUlllE0_EEPmJS9_EEE10hipError_tPvRmT3_T4_T5_T6_T7_T9_mT8_P12ihipStream_tbDpT10_ENKUlT_T0_E_clISt17integral_constantIbLb0EES1A_EEDaS15_S16_EUlS15_E_NS1_11comp_targetILNS1_3genE5ELNS1_11target_archE942ELNS1_3gpuE9ELNS1_3repE0EEENS1_30default_config_static_selectorELNS0_4arch9wavefront6targetE1EEEvT1_: ; @_ZN7rocprim17ROCPRIM_400000_NS6detail17trampoline_kernelINS0_14default_configENS1_25partition_config_selectorILNS1_17partition_subalgoE9EllbEEZZNS1_14partition_implILS5_9ELb0ES3_jPlS8_PNS0_10empty_typeENS0_5tupleIJS8_S9_EEENSB_IJS8_SA_EEENS0_18inequality_wrapperIZN2at6native12_GLOBAL__N_124unique_dim_cuda_templateItEESt5tupleIJNSF_6TensorESK_SK_EERKSK_lbbbEUlllE0_EEPmJS9_EEE10hipError_tPvRmT3_T4_T5_T6_T7_T9_mT8_P12ihipStream_tbDpT10_ENKUlT_T0_E_clISt17integral_constantIbLb0EES1A_EEDaS15_S16_EUlS15_E_NS1_11comp_targetILNS1_3genE5ELNS1_11target_archE942ELNS1_3gpuE9ELNS1_3repE0EEENS1_30default_config_static_selectorELNS0_4arch9wavefront6targetE1EEEvT1_
; %bb.0:
	s_load_dwordx8 s[20:27], s[0:1], 0x40
	s_load_dwordx4 s[4:7], s[0:1], 0x8
	s_load_dwordx2 s[10:11], s[0:1], 0x18
	s_load_dword s3, s[0:1], 0x70
	s_mul_i32 s12, s2, 0xe00
	s_waitcnt lgkmcnt(0)
	v_mov_b32_e32 v2, s24
	s_lshl_b64 s[14:15], s[6:7], 3
	s_add_u32 s18, s4, s14
	s_mul_i32 s4, s3, 0xe00
	s_addc_u32 s19, s5, s15
	s_add_i32 s8, s3, -1
	s_add_i32 s3, s4, s6
	s_sub_i32 s3, s24, s3
	s_addk_i32 s3, 0xe00
	s_add_u32 s4, s6, s4
	s_addc_u32 s5, s7, 0
	v_mov_b32_e32 v3, s25
	s_cmp_eq_u32 s2, s8
	s_load_dwordx2 s[22:23], s[22:23], 0x0
	v_cmp_ge_u64_e32 vcc, s[4:5], v[2:3]
	s_cselect_b64 s[24:25], -1, 0
	s_mov_b32 s13, 0
	s_and_b64 s[8:9], s[24:25], vcc
	s_xor_b64 s[34:35], s[8:9], -1
	s_lshl_b64 s[16:17], s[12:13], 3
	s_add_u32 s12, s18, s16
	s_mov_b64 s[4:5], -1
	s_addc_u32 s13, s19, s17
	s_and_b64 vcc, exec, s[34:35]
	s_cbranch_vccz .LBB1461_2
; %bb.1:
	v_lshlrev_b32_e32 v2, 3, v0
	v_mov_b32_e32 v3, 0
	v_lshl_add_u64 v[4:5], s[12:13], 0, v[2:3]
	v_add_co_u32_e32 v8, vcc, 0x1000, v4
	global_load_dwordx2 v[6:7], v2, s[12:13]
	s_nop 0
	v_addc_co_u32_e32 v9, vcc, 0, v5, vcc
	v_add_co_u32_e32 v10, vcc, 0x2000, v4
	s_mov_b64 s[4:5], 0
	s_nop 0
	v_addc_co_u32_e32 v11, vcc, 0, v5, vcc
	v_add_co_u32_e32 v12, vcc, 0x3000, v4
	s_nop 1
	v_addc_co_u32_e32 v13, vcc, 0, v5, vcc
	v_add_co_u32_e32 v14, vcc, 0x4000, v4
	s_nop 1
	v_addc_co_u32_e32 v15, vcc, 0, v5, vcc
	global_load_dwordx2 v[16:17], v[8:9], off
	global_load_dwordx2 v[18:19], v[10:11], off
	;; [unrolled: 1-line block ×4, first 2 shown]
	v_add_co_u32_e32 v8, vcc, 0x5000, v4
	s_nop 1
	v_addc_co_u32_e32 v9, vcc, 0, v5, vcc
	v_add_co_u32_e32 v4, vcc, 0x6000, v4
	global_load_dwordx2 v[8:9], v[8:9], off
	s_nop 0
	v_addc_co_u32_e32 v5, vcc, 0, v5, vcc
	global_load_dwordx2 v[4:5], v[4:5], off
	s_waitcnt vmcnt(5)
	ds_write2st64_b64 v2, v[6:7], v[16:17] offset1:8
	s_waitcnt vmcnt(3)
	ds_write2st64_b64 v2, v[18:19], v[20:21] offset0:16 offset1:24
	s_waitcnt vmcnt(1)
	ds_write2st64_b64 v2, v[22:23], v[8:9] offset0:32 offset1:40
	s_waitcnt vmcnt(0)
	ds_write_b64 v2, v[4:5] offset:24576
	s_waitcnt lgkmcnt(0)
	s_barrier
.LBB1461_2:
	s_load_dwordx4 s[28:31], s[0:1], 0x60
	s_andn2_b64 vcc, exec, s[4:5]
	v_cmp_gt_u32_e64 s[4:5], s3, v0
	s_cbranch_vccnz .LBB1461_18
; %bb.3:
                                        ; implicit-def: $vgpr2_vgpr3_vgpr4_vgpr5_vgpr6_vgpr7_vgpr8_vgpr9_vgpr10_vgpr11_vgpr12_vgpr13_vgpr14_vgpr15_vgpr16_vgpr17
	s_and_saveexec_b64 s[18:19], s[4:5]
	s_cbranch_execz .LBB1461_5
; %bb.4:
	v_lshlrev_b32_e32 v1, 3, v0
	global_load_dwordx2 v[2:3], v1, s[12:13]
.LBB1461_5:
	s_or_b64 exec, exec, s[18:19]
	v_or_b32_e32 v1, 0x200, v0
	v_cmp_gt_u32_e32 vcc, s3, v1
	s_and_saveexec_b64 s[4:5], vcc
	s_cbranch_execz .LBB1461_7
; %bb.6:
	v_lshlrev_b32_e32 v1, 3, v1
	global_load_dwordx2 v[4:5], v1, s[12:13]
.LBB1461_7:
	s_or_b64 exec, exec, s[4:5]
	v_or_b32_e32 v1, 0x400, v0
	v_cmp_gt_u32_e32 vcc, s3, v1
	s_and_saveexec_b64 s[4:5], vcc
	;; [unrolled: 9-line block ×6, first 2 shown]
	s_cbranch_execz .LBB1461_17
; %bb.16:
	v_lshlrev_b32_e32 v1, 3, v1
	global_load_dwordx2 v[14:15], v1, s[12:13]
.LBB1461_17:
	s_or_b64 exec, exec, s[4:5]
	v_lshlrev_b32_e32 v1, 3, v0
	s_waitcnt vmcnt(0)
	ds_write2st64_b64 v1, v[2:3], v[4:5] offset1:8
	ds_write2st64_b64 v1, v[6:7], v[8:9] offset0:16 offset1:24
	ds_write2st64_b64 v1, v[10:11], v[12:13] offset0:32 offset1:40
	ds_write_b64 v1, v[14:15] offset:24576
	s_waitcnt lgkmcnt(0)
	s_barrier
.LBB1461_18:
	v_mul_u32_u24_e32 v1, 7, v0
	v_lshlrev_b32_e32 v44, 3, v1
	s_waitcnt lgkmcnt(0)
	ds_read2_b64 v[22:25], v44 offset1:1
	ds_read2_b64 v[18:21], v44 offset0:2 offset1:3
	ds_read2_b64 v[14:17], v44 offset0:4 offset1:5
	ds_read_b64 v[28:29], v44 offset:48
	s_add_u32 s4, s10, s14
	s_addc_u32 s5, s11, s15
	s_add_u32 s4, s4, s16
	s_addc_u32 s5, s5, s17
	s_mov_b64 s[10:11], -1
	s_and_b64 vcc, exec, s[34:35]
	s_waitcnt lgkmcnt(0)
	s_barrier
	s_cbranch_vccz .LBB1461_20
; %bb.19:
	v_lshlrev_b32_e32 v2, 3, v0
	v_mov_b32_e32 v3, 0
	v_lshl_add_u64 v[4:5], s[4:5], 0, v[2:3]
	v_add_co_u32_e32 v8, vcc, 0x1000, v4
	global_load_dwordx2 v[6:7], v2, s[4:5]
	s_nop 0
	v_addc_co_u32_e32 v9, vcc, 0, v5, vcc
	v_add_co_u32_e32 v10, vcc, 0x2000, v4
	s_mov_b64 s[10:11], 0
	s_nop 0
	v_addc_co_u32_e32 v11, vcc, 0, v5, vcc
	v_add_co_u32_e32 v12, vcc, 0x3000, v4
	s_nop 1
	v_addc_co_u32_e32 v13, vcc, 0, v5, vcc
	v_add_co_u32_e32 v26, vcc, 0x4000, v4
	s_nop 1
	v_addc_co_u32_e32 v27, vcc, 0, v5, vcc
	global_load_dwordx2 v[30:31], v[8:9], off
	global_load_dwordx2 v[32:33], v[10:11], off
	;; [unrolled: 1-line block ×4, first 2 shown]
	v_add_co_u32_e32 v8, vcc, 0x5000, v4
	s_nop 1
	v_addc_co_u32_e32 v9, vcc, 0, v5, vcc
	v_add_co_u32_e32 v4, vcc, 0x6000, v4
	global_load_dwordx2 v[8:9], v[8:9], off
	s_nop 0
	v_addc_co_u32_e32 v5, vcc, 0, v5, vcc
	global_load_dwordx2 v[4:5], v[4:5], off
	s_waitcnt vmcnt(5)
	ds_write2st64_b64 v2, v[6:7], v[30:31] offset1:8
	s_waitcnt vmcnt(3)
	ds_write2st64_b64 v2, v[32:33], v[34:35] offset0:16 offset1:24
	s_waitcnt vmcnt(1)
	ds_write2st64_b64 v2, v[36:37], v[8:9] offset0:32 offset1:40
	s_waitcnt vmcnt(0)
	ds_write_b64 v2, v[4:5] offset:24576
	s_waitcnt lgkmcnt(0)
	s_barrier
.LBB1461_20:
	s_andn2_b64 vcc, exec, s[10:11]
	s_cbranch_vccnz .LBB1461_36
; %bb.21:
	v_cmp_gt_u32_e32 vcc, s3, v0
                                        ; implicit-def: $vgpr2_vgpr3
	s_and_saveexec_b64 s[10:11], vcc
	s_cbranch_execz .LBB1461_23
; %bb.22:
	v_lshlrev_b32_e32 v2, 3, v0
	global_load_dwordx2 v[2:3], v2, s[4:5]
.LBB1461_23:
	s_or_b64 exec, exec, s[10:11]
	v_or_b32_e32 v6, 0x200, v0
	v_cmp_gt_u32_e32 vcc, s3, v6
                                        ; implicit-def: $vgpr4_vgpr5
	s_and_saveexec_b64 s[10:11], vcc
	s_cbranch_execz .LBB1461_25
; %bb.24:
	v_lshlrev_b32_e32 v4, 3, v6
	global_load_dwordx2 v[4:5], v4, s[4:5]
.LBB1461_25:
	s_or_b64 exec, exec, s[10:11]
	v_or_b32_e32 v8, 0x400, v0
	v_cmp_gt_u32_e32 vcc, s3, v8
                                        ; implicit-def: $vgpr6_vgpr7
	s_and_saveexec_b64 s[10:11], vcc
	s_cbranch_execz .LBB1461_27
; %bb.26:
	v_lshlrev_b32_e32 v6, 3, v8
	global_load_dwordx2 v[6:7], v6, s[4:5]
.LBB1461_27:
	s_or_b64 exec, exec, s[10:11]
	v_or_b32_e32 v10, 0x600, v0
	v_cmp_gt_u32_e32 vcc, s3, v10
                                        ; implicit-def: $vgpr8_vgpr9
	s_and_saveexec_b64 s[10:11], vcc
	s_cbranch_execz .LBB1461_29
; %bb.28:
	v_lshlrev_b32_e32 v8, 3, v10
	global_load_dwordx2 v[8:9], v8, s[4:5]
.LBB1461_29:
	s_or_b64 exec, exec, s[10:11]
	v_or_b32_e32 v12, 0x800, v0
	v_cmp_gt_u32_e32 vcc, s3, v12
                                        ; implicit-def: $vgpr10_vgpr11
	s_and_saveexec_b64 s[10:11], vcc
	s_cbranch_execz .LBB1461_31
; %bb.30:
	v_lshlrev_b32_e32 v10, 3, v12
	global_load_dwordx2 v[10:11], v10, s[4:5]
.LBB1461_31:
	s_or_b64 exec, exec, s[10:11]
	v_or_b32_e32 v26, 0xa00, v0
	v_cmp_gt_u32_e32 vcc, s3, v26
                                        ; implicit-def: $vgpr12_vgpr13
	s_and_saveexec_b64 s[10:11], vcc
	s_cbranch_execz .LBB1461_33
; %bb.32:
	v_lshlrev_b32_e32 v12, 3, v26
	global_load_dwordx2 v[12:13], v12, s[4:5]
.LBB1461_33:
	s_or_b64 exec, exec, s[10:11]
	v_or_b32_e32 v30, 0xc00, v0
	v_cmp_gt_u32_e32 vcc, s3, v30
                                        ; implicit-def: $vgpr26_vgpr27
	s_and_saveexec_b64 s[10:11], vcc
	s_cbranch_execz .LBB1461_35
; %bb.34:
	v_lshlrev_b32_e32 v26, 3, v30
	global_load_dwordx2 v[26:27], v26, s[4:5]
.LBB1461_35:
	s_or_b64 exec, exec, s[10:11]
	s_movk_i32 s4, 0xffd0
	v_mad_i32_i24 v30, v0, s4, v44
	s_waitcnt vmcnt(0)
	ds_write2st64_b64 v30, v[2:3], v[4:5] offset1:8
	ds_write2st64_b64 v30, v[6:7], v[8:9] offset0:16 offset1:24
	ds_write2st64_b64 v30, v[10:11], v[12:13] offset0:32 offset1:40
	ds_write_b64 v30, v[26:27] offset:24576
	s_waitcnt lgkmcnt(0)
	s_barrier
.LBB1461_36:
	ds_read2_b64 v[10:13], v44 offset1:1
	ds_read2_b64 v[6:9], v44 offset0:2 offset1:3
	ds_read2_b64 v[2:5], v44 offset0:4 offset1:5
	ds_read_b64 v[26:27], v44 offset:48
	s_cmp_lg_u32 s2, 0
	s_cselect_b64 s[16:17], -1, 0
	s_cmp_lg_u64 s[6:7], 0
	s_cselect_b64 s[4:5], -1, 0
	s_or_b64 s[4:5], s[16:17], s[4:5]
	v_add_u32_e32 v41, 1, v1
	v_add_u32_e32 v38, 2, v1
	;; [unrolled: 1-line block ×6, first 2 shown]
	s_mov_b64 s[10:11], 0
	s_and_b64 vcc, exec, s[4:5]
	v_cmp_gt_i64_e64 s[4:5], s[26:27], 0
	s_waitcnt lgkmcnt(0)
	s_barrier
	s_cbranch_vccz .LBB1461_45
; %bb.37:
	s_add_u32 s6, s12, -8
	s_addc_u32 s7, s13, -1
	s_load_dwordx2 s[6:7], s[6:7], 0x0
	v_cndmask_b32_e64 v30, 0, 1, s[4:5]
	v_lshlrev_b32_e32 v45, 3, v0
	s_and_b64 vcc, exec, s[34:35]
	v_cmp_ne_u32_e64 s[4:5], 1, v30
	ds_write_b64 v45, v[28:29]
	s_cbranch_vccz .LBB1461_47
; %bb.38:
	v_mul_lo_u32 v32, v17, s26
	v_mul_lo_u32 v33, v16, s27
	v_mad_u64_u32 v[30:31], s[12:13], v16, s26, 0
	v_add3_u32 v31, v31, v33, v32
	s_and_b64 vcc, exec, s[4:5]
	v_lshl_add_u64 v[30:31], v[30:31], 1, s[28:29]
	s_cbranch_vccnz .LBB1461_50
; %bb.39:
	v_mul_lo_u32 v34, v29, s26
	v_mul_lo_u32 v35, v28, s27
	v_mad_u64_u32 v[32:33], s[10:11], v28, s26, 0
	v_add3_u32 v33, v33, v35, v34
	v_lshl_add_u64 v[32:33], v[32:33], 1, s[28:29]
	global_load_ushort v34, v[30:31], off
	global_load_ushort v35, v[32:33], off
	s_mov_b64 s[10:11], -1
	s_waitcnt vmcnt(0)
	v_cmp_eq_u16_e32 vcc, v34, v35
	s_and_saveexec_b64 s[12:13], vcc
	s_cbranch_execz .LBB1461_49
; %bb.40:
	s_add_u32 s10, s26, -1
	v_lshl_add_u64 v[32:33], v[32:33], 0, 2
	v_lshl_add_u64 v[34:35], v[30:31], 0, 2
	s_addc_u32 s11, s27, -1
	s_mov_b64 s[14:15], 0
	s_mov_b64 s[36:37], 0
                                        ; implicit-def: $sgpr18_sgpr19
	s_branch .LBB1461_43
.LBB1461_41:                            ;   in Loop: Header=BB1461_43 Depth=1
	global_load_ushort v36, v[34:35], off
	global_load_ushort v37, v[32:33], off
	s_add_u32 s36, s36, 1
	s_addc_u32 s37, s37, 0
	s_andn2_b64 s[18:19], s[18:19], exec
	v_lshl_add_u64 v[32:33], v[32:33], 0, 2
	v_lshl_add_u64 v[34:35], v[34:35], 0, 2
	s_waitcnt vmcnt(0)
	v_cmp_ne_u16_e32 vcc, v36, v37
	s_and_b64 s[38:39], vcc, exec
	s_or_b64 s[18:19], s[18:19], s[38:39]
.LBB1461_42:                            ;   in Loop: Header=BB1461_43 Depth=1
	s_and_b64 s[38:39], exec, s[18:19]
	s_or_b64 s[14:15], s[38:39], s[14:15]
	v_mov_b64_e32 v[36:37], s[36:37]
	s_andn2_b64 exec, exec, s[14:15]
	s_cbranch_execz .LBB1461_48
.LBB1461_43:                            ; =>This Inner Loop Header: Depth=1
	s_or_b64 s[18:19], s[18:19], exec
	s_cmp_eq_u64 s[10:11], s[36:37]
	s_cbranch_scc0 .LBB1461_41
; %bb.44:                               ;   in Loop: Header=BB1461_43 Depth=1
                                        ; implicit-def: $vgpr32_vgpr33
                                        ; implicit-def: $vgpr34_vgpr35
	s_mov_b64 s[36:37], s[26:27]
	s_branch .LBB1461_42
.LBB1461_45:
                                        ; implicit-def: $sgpr18_sgpr19
                                        ; implicit-def: $vgpr48
                                        ; implicit-def: $vgpr47
                                        ; implicit-def: $vgpr46
                                        ; implicit-def: $vgpr34
	s_branch .LBB1461_188
.LBB1461_46:
                                        ; implicit-def: $vgpr30_vgpr31
	s_branch .LBB1461_336
.LBB1461_47:
                                        ; implicit-def: $sgpr18_sgpr19
                                        ; implicit-def: $vgpr48
                                        ; implicit-def: $vgpr47
                                        ; implicit-def: $vgpr46
                                        ; implicit-def: $vgpr34
	s_cbranch_execnz .LBB1461_107
	s_branch .LBB1461_187
.LBB1461_48:
	s_or_b64 exec, exec, s[14:15]
	v_cmp_gt_i64_e32 vcc, s[26:27], v[36:37]
	s_orn2_b64 s[10:11], vcc, exec
.LBB1461_49:
	s_or_b64 exec, exec, s[12:13]
.LBB1461_50:
	v_mul_lo_u32 v34, v15, s26
	v_mul_lo_u32 v35, v14, s27
	v_mad_u64_u32 v[32:33], s[12:13], v14, s26, 0
	v_add3_u32 v33, v33, v35, v34
	s_mov_b64 s[12:13], 0
	s_and_b64 vcc, exec, s[4:5]
	v_lshl_add_u64 v[32:33], v[32:33], 1, s[28:29]
	s_mov_b64 s[14:15], 0
	s_cbranch_vccnz .LBB1461_59
; %bb.51:
	global_load_ushort v34, v[32:33], off
	global_load_ushort v35, v[30:31], off
	s_mov_b64 s[14:15], -1
	s_waitcnt vmcnt(0)
	v_cmp_eq_u16_e32 vcc, v34, v35
	s_and_saveexec_b64 s[18:19], vcc
	s_cbranch_execz .LBB1461_58
; %bb.52:
	s_add_u32 s14, s26, -1
	v_lshl_add_u64 v[30:31], v[30:31], 0, 2
	v_lshl_add_u64 v[34:35], v[32:33], 0, 2
	s_addc_u32 s15, s27, -1
	s_mov_b64 s[36:37], 0
	s_mov_b64 s[40:41], 0
                                        ; implicit-def: $sgpr38_sgpr39
	s_branch .LBB1461_55
.LBB1461_53:                            ;   in Loop: Header=BB1461_55 Depth=1
	global_load_ushort v36, v[34:35], off
	global_load_ushort v37, v[30:31], off
	s_add_u32 s40, s40, 1
	s_addc_u32 s41, s41, 0
	s_andn2_b64 s[38:39], s[38:39], exec
	v_lshl_add_u64 v[30:31], v[30:31], 0, 2
	v_lshl_add_u64 v[34:35], v[34:35], 0, 2
	s_waitcnt vmcnt(0)
	v_cmp_ne_u16_e32 vcc, v36, v37
	s_and_b64 s[42:43], vcc, exec
	s_or_b64 s[38:39], s[38:39], s[42:43]
.LBB1461_54:                            ;   in Loop: Header=BB1461_55 Depth=1
	s_and_b64 s[42:43], exec, s[38:39]
	s_or_b64 s[36:37], s[42:43], s[36:37]
	v_mov_b64_e32 v[36:37], s[40:41]
	s_andn2_b64 exec, exec, s[36:37]
	s_cbranch_execz .LBB1461_57
.LBB1461_55:                            ; =>This Inner Loop Header: Depth=1
	s_or_b64 s[38:39], s[38:39], exec
	s_cmp_eq_u64 s[14:15], s[40:41]
	s_cbranch_scc0 .LBB1461_53
; %bb.56:                               ;   in Loop: Header=BB1461_55 Depth=1
                                        ; implicit-def: $vgpr30_vgpr31
                                        ; implicit-def: $vgpr34_vgpr35
	s_mov_b64 s[40:41], s[26:27]
	s_branch .LBB1461_54
.LBB1461_57:
	s_or_b64 exec, exec, s[36:37]
	v_cmp_gt_i64_e32 vcc, s[26:27], v[36:37]
	s_orn2_b64 s[14:15], vcc, exec
.LBB1461_58:
	s_or_b64 exec, exec, s[18:19]
.LBB1461_59:
	v_mul_lo_u32 v34, v21, s26
	v_mul_lo_u32 v35, v20, s27
	v_mad_u64_u32 v[30:31], s[18:19], v20, s26, 0
	v_add3_u32 v31, v31, v35, v34
	s_and_b64 vcc, exec, s[4:5]
	v_lshl_add_u64 v[30:31], v[30:31], 1, s[28:29]
	s_cbranch_vccnz .LBB1461_68
; %bb.60:
	global_load_ushort v34, v[30:31], off
	global_load_ushort v35, v[32:33], off
	s_mov_b64 s[12:13], -1
	s_waitcnt vmcnt(0)
	v_cmp_eq_u16_e32 vcc, v34, v35
	s_and_saveexec_b64 s[18:19], vcc
	s_cbranch_execz .LBB1461_67
; %bb.61:
	s_add_u32 s12, s26, -1
	v_lshl_add_u64 v[32:33], v[32:33], 0, 2
	v_lshl_add_u64 v[34:35], v[30:31], 0, 2
	s_addc_u32 s13, s27, -1
	s_mov_b64 s[36:37], 0
	s_mov_b64 s[40:41], 0
                                        ; implicit-def: $sgpr38_sgpr39
	s_branch .LBB1461_64
.LBB1461_62:                            ;   in Loop: Header=BB1461_64 Depth=1
	global_load_ushort v36, v[34:35], off
	global_load_ushort v37, v[32:33], off
	s_add_u32 s40, s40, 1
	s_addc_u32 s41, s41, 0
	s_andn2_b64 s[38:39], s[38:39], exec
	v_lshl_add_u64 v[32:33], v[32:33], 0, 2
	v_lshl_add_u64 v[34:35], v[34:35], 0, 2
	s_waitcnt vmcnt(0)
	v_cmp_ne_u16_e32 vcc, v36, v37
	s_and_b64 s[42:43], vcc, exec
	s_or_b64 s[38:39], s[38:39], s[42:43]
.LBB1461_63:                            ;   in Loop: Header=BB1461_64 Depth=1
	s_and_b64 s[42:43], exec, s[38:39]
	s_or_b64 s[36:37], s[42:43], s[36:37]
	v_mov_b64_e32 v[36:37], s[40:41]
	s_andn2_b64 exec, exec, s[36:37]
	s_cbranch_execz .LBB1461_66
.LBB1461_64:                            ; =>This Inner Loop Header: Depth=1
	s_or_b64 s[38:39], s[38:39], exec
	s_cmp_eq_u64 s[12:13], s[40:41]
	s_cbranch_scc0 .LBB1461_62
; %bb.65:                               ;   in Loop: Header=BB1461_64 Depth=1
                                        ; implicit-def: $vgpr32_vgpr33
                                        ; implicit-def: $vgpr34_vgpr35
	s_mov_b64 s[40:41], s[26:27]
	s_branch .LBB1461_63
.LBB1461_66:
	s_or_b64 exec, exec, s[36:37]
	v_cmp_gt_i64_e32 vcc, s[26:27], v[36:37]
	s_orn2_b64 s[12:13], vcc, exec
.LBB1461_67:
	s_or_b64 exec, exec, s[18:19]
.LBB1461_68:
	v_mul_lo_u32 v34, v19, s26
	v_mul_lo_u32 v35, v18, s27
	v_mad_u64_u32 v[32:33], s[18:19], v18, s26, 0
	v_add3_u32 v33, v33, v35, v34
	s_mov_b64 s[18:19], 0
	s_and_b64 vcc, exec, s[4:5]
	v_lshl_add_u64 v[34:35], v[32:33], 1, s[28:29]
	s_mov_b64 s[36:37], 0
	s_cbranch_vccnz .LBB1461_77
; %bb.69:
	global_load_ushort v32, v[34:35], off
	global_load_ushort v33, v[30:31], off
	s_mov_b64 s[36:37], -1
	s_waitcnt vmcnt(0)
	v_cmp_eq_u16_e32 vcc, v32, v33
	s_and_saveexec_b64 s[38:39], vcc
	s_cbranch_execz .LBB1461_76
; %bb.70:
	s_add_u32 s36, s26, -1
	v_lshl_add_u64 v[30:31], v[30:31], 0, 2
	v_lshl_add_u64 v[32:33], v[34:35], 0, 2
	s_addc_u32 s37, s27, -1
	s_mov_b64 s[40:41], 0
	s_mov_b64 s[44:45], 0
                                        ; implicit-def: $sgpr42_sgpr43
	s_branch .LBB1461_73
.LBB1461_71:                            ;   in Loop: Header=BB1461_73 Depth=1
	global_load_ushort v36, v[32:33], off
	global_load_ushort v37, v[30:31], off
	s_add_u32 s44, s44, 1
	s_addc_u32 s45, s45, 0
	s_andn2_b64 s[42:43], s[42:43], exec
	v_lshl_add_u64 v[30:31], v[30:31], 0, 2
	v_lshl_add_u64 v[32:33], v[32:33], 0, 2
	s_waitcnt vmcnt(0)
	v_cmp_ne_u16_e32 vcc, v36, v37
	s_and_b64 s[46:47], vcc, exec
	s_or_b64 s[42:43], s[42:43], s[46:47]
.LBB1461_72:                            ;   in Loop: Header=BB1461_73 Depth=1
	s_and_b64 s[46:47], exec, s[42:43]
	s_or_b64 s[40:41], s[46:47], s[40:41]
	v_mov_b64_e32 v[36:37], s[44:45]
	s_andn2_b64 exec, exec, s[40:41]
	s_cbranch_execz .LBB1461_75
.LBB1461_73:                            ; =>This Inner Loop Header: Depth=1
	s_or_b64 s[42:43], s[42:43], exec
	s_cmp_eq_u64 s[36:37], s[44:45]
	s_cbranch_scc0 .LBB1461_71
; %bb.74:                               ;   in Loop: Header=BB1461_73 Depth=1
                                        ; implicit-def: $vgpr30_vgpr31
                                        ; implicit-def: $vgpr32_vgpr33
	s_mov_b64 s[44:45], s[26:27]
	s_branch .LBB1461_72
.LBB1461_75:
	s_or_b64 exec, exec, s[40:41]
	v_cmp_gt_i64_e32 vcc, s[26:27], v[36:37]
	s_orn2_b64 s[36:37], vcc, exec
.LBB1461_76:
	s_or_b64 exec, exec, s[38:39]
.LBB1461_77:
	v_mul_lo_u32 v32, v25, s26
	v_mul_lo_u32 v33, v24, s27
	v_mad_u64_u32 v[30:31], s[38:39], v24, s26, 0
	v_add3_u32 v31, v31, v33, v32
	s_and_b64 vcc, exec, s[4:5]
	v_lshl_add_u64 v[32:33], v[30:31], 1, s[28:29]
	s_cbranch_vccnz .LBB1461_86
; %bb.78:
	global_load_ushort v30, v[32:33], off
	global_load_ushort v31, v[34:35], off
	s_mov_b64 s[18:19], -1
	s_waitcnt vmcnt(0)
	v_cmp_eq_u16_e32 vcc, v30, v31
	s_and_saveexec_b64 s[38:39], vcc
	s_cbranch_execz .LBB1461_85
; %bb.79:
	s_add_u32 s18, s26, -1
	v_lshl_add_u64 v[30:31], v[34:35], 0, 2
	v_lshl_add_u64 v[34:35], v[32:33], 0, 2
	s_addc_u32 s19, s27, -1
	s_mov_b64 s[40:41], 0
	s_mov_b64 s[44:45], 0
                                        ; implicit-def: $sgpr42_sgpr43
	s_branch .LBB1461_82
.LBB1461_80:                            ;   in Loop: Header=BB1461_82 Depth=1
	global_load_ushort v36, v[34:35], off
	global_load_ushort v37, v[30:31], off
	s_add_u32 s44, s44, 1
	s_addc_u32 s45, s45, 0
	s_andn2_b64 s[42:43], s[42:43], exec
	v_lshl_add_u64 v[30:31], v[30:31], 0, 2
	v_lshl_add_u64 v[34:35], v[34:35], 0, 2
	s_waitcnt vmcnt(0)
	v_cmp_ne_u16_e32 vcc, v36, v37
	s_and_b64 s[46:47], vcc, exec
	s_or_b64 s[42:43], s[42:43], s[46:47]
.LBB1461_81:                            ;   in Loop: Header=BB1461_82 Depth=1
	s_and_b64 s[46:47], exec, s[42:43]
	s_or_b64 s[40:41], s[46:47], s[40:41]
	v_mov_b64_e32 v[36:37], s[44:45]
	s_andn2_b64 exec, exec, s[40:41]
	s_cbranch_execz .LBB1461_84
.LBB1461_82:                            ; =>This Inner Loop Header: Depth=1
	s_or_b64 s[42:43], s[42:43], exec
	s_cmp_eq_u64 s[18:19], s[44:45]
	s_cbranch_scc0 .LBB1461_80
; %bb.83:                               ;   in Loop: Header=BB1461_82 Depth=1
                                        ; implicit-def: $vgpr30_vgpr31
                                        ; implicit-def: $vgpr34_vgpr35
	s_mov_b64 s[44:45], s[26:27]
	s_branch .LBB1461_81
.LBB1461_84:
	s_or_b64 exec, exec, s[40:41]
	v_cmp_gt_i64_e32 vcc, s[26:27], v[36:37]
	s_orn2_b64 s[18:19], vcc, exec
.LBB1461_85:
	s_or_b64 exec, exec, s[38:39]
.LBB1461_86:
	v_mul_lo_u32 v34, v23, s26
	v_mul_lo_u32 v35, v22, s27
	v_mad_u64_u32 v[30:31], s[38:39], v22, s26, 0
	v_add3_u32 v31, v31, v35, v34
	s_mov_b64 s[40:41], 0
	s_and_b64 vcc, exec, s[4:5]
	v_lshl_add_u64 v[30:31], v[30:31], 1, s[28:29]
	s_cbranch_vccnz .LBB1461_95
; %bb.87:
	global_load_ushort v34, v[30:31], off
	global_load_ushort v35, v[32:33], off
	s_mov_b64 s[40:41], -1
	s_waitcnt vmcnt(0)
	v_cmp_eq_u16_e32 vcc, v34, v35
	s_and_saveexec_b64 s[38:39], vcc
	s_cbranch_execz .LBB1461_94
; %bb.88:
	s_add_u32 s40, s26, -1
	v_lshl_add_u64 v[32:33], v[32:33], 0, 2
	v_lshl_add_u64 v[34:35], v[30:31], 0, 2
	s_addc_u32 s41, s27, -1
	s_mov_b64 s[42:43], 0
	s_mov_b64 s[46:47], 0
                                        ; implicit-def: $sgpr44_sgpr45
	s_branch .LBB1461_91
.LBB1461_89:                            ;   in Loop: Header=BB1461_91 Depth=1
	global_load_ushort v36, v[34:35], off
	global_load_ushort v37, v[32:33], off
	s_add_u32 s46, s46, 1
	s_addc_u32 s47, s47, 0
	s_andn2_b64 s[44:45], s[44:45], exec
	v_lshl_add_u64 v[32:33], v[32:33], 0, 2
	v_lshl_add_u64 v[34:35], v[34:35], 0, 2
	s_waitcnt vmcnt(0)
	v_cmp_ne_u16_e32 vcc, v36, v37
	s_and_b64 s[48:49], vcc, exec
	s_or_b64 s[44:45], s[44:45], s[48:49]
.LBB1461_90:                            ;   in Loop: Header=BB1461_91 Depth=1
	s_and_b64 s[48:49], exec, s[44:45]
	s_or_b64 s[42:43], s[48:49], s[42:43]
	v_mov_b64_e32 v[36:37], s[46:47]
	s_andn2_b64 exec, exec, s[42:43]
	s_cbranch_execz .LBB1461_93
.LBB1461_91:                            ; =>This Inner Loop Header: Depth=1
	s_or_b64 s[44:45], s[44:45], exec
	s_cmp_eq_u64 s[40:41], s[46:47]
	s_cbranch_scc0 .LBB1461_89
; %bb.92:                               ;   in Loop: Header=BB1461_91 Depth=1
                                        ; implicit-def: $vgpr32_vgpr33
                                        ; implicit-def: $vgpr34_vgpr35
	s_mov_b64 s[46:47], s[26:27]
	s_branch .LBB1461_90
.LBB1461_93:
	s_or_b64 exec, exec, s[42:43]
	v_cmp_gt_i64_e32 vcc, s[26:27], v[36:37]
	s_orn2_b64 s[40:41], vcc, exec
.LBB1461_94:
	s_or_b64 exec, exec, s[38:39]
.LBB1461_95:
	v_cmp_ne_u32_e32 vcc, 0, v0
	s_waitcnt lgkmcnt(0)
	v_mov_b64_e32 v[32:33], s[6:7]
	s_barrier
	s_and_saveexec_b64 s[38:39], vcc
	s_cbranch_execz .LBB1461_97
; %bb.96:
	v_add_u32_e32 v32, -8, v45
	ds_read_b64 v[32:33], v32
.LBB1461_97:
	s_or_b64 exec, exec, s[38:39]
	v_cndmask_b32_e64 v35, 0, 1, s[36:37]
	v_cndmask_b32_e64 v34, 0, 1, s[18:19]
	;; [unrolled: 1-line block ×3, first 2 shown]
	v_lshlrev_b16_e32 v35, 8, v35
	v_lshlrev_b16_e32 v36, 8, v36
	v_or_b32_sdwa v37, v34, v35 dst_sel:WORD_1 dst_unused:UNUSED_PAD src0_sel:DWORD src1_sel:DWORD
	s_mov_b64 s[36:37], 0
	s_and_b64 vcc, exec, s[4:5]
	s_mov_b64 s[18:19], 0
	s_cbranch_vccnz .LBB1461_106
; %bb.98:
	s_waitcnt lgkmcnt(0)
	v_mul_lo_u32 v34, v33, s26
	v_mul_lo_u32 v35, v32, s27
	v_mad_u64_u32 v[32:33], s[18:19], v32, s26, 0
	v_add3_u32 v33, v33, v35, v34
	v_lshl_add_u64 v[32:33], v[32:33], 1, s[28:29]
	global_load_ushort v34, v[32:33], off
	global_load_ushort v35, v[30:31], off
	s_mov_b64 s[18:19], -1
	s_waitcnt vmcnt(0)
	v_cmp_eq_u16_e32 vcc, v34, v35
	s_and_saveexec_b64 s[38:39], vcc
	s_cbranch_execz .LBB1461_105
; %bb.99:
	s_add_u32 s18, s26, -1
	v_lshl_add_u64 v[30:31], v[30:31], 0, 2
	v_lshl_add_u64 v[32:33], v[32:33], 0, 2
	s_addc_u32 s19, s27, -1
	s_mov_b64 s[40:41], 0
	s_mov_b64 s[44:45], 0
                                        ; implicit-def: $sgpr42_sgpr43
	s_branch .LBB1461_102
.LBB1461_100:                           ;   in Loop: Header=BB1461_102 Depth=1
	global_load_ushort v34, v[32:33], off
	global_load_ushort v35, v[30:31], off
	s_add_u32 s44, s44, 1
	s_addc_u32 s45, s45, 0
	s_andn2_b64 s[42:43], s[42:43], exec
	v_lshl_add_u64 v[30:31], v[30:31], 0, 2
	v_lshl_add_u64 v[32:33], v[32:33], 0, 2
	s_waitcnt vmcnt(0)
	v_cmp_ne_u16_e32 vcc, v34, v35
	s_and_b64 s[46:47], vcc, exec
	s_or_b64 s[42:43], s[42:43], s[46:47]
.LBB1461_101:                           ;   in Loop: Header=BB1461_102 Depth=1
	s_and_b64 s[46:47], exec, s[42:43]
	s_or_b64 s[40:41], s[46:47], s[40:41]
	v_mov_b64_e32 v[34:35], s[44:45]
	s_andn2_b64 exec, exec, s[40:41]
	s_cbranch_execz .LBB1461_104
.LBB1461_102:                           ; =>This Inner Loop Header: Depth=1
	s_or_b64 s[42:43], s[42:43], exec
	s_cmp_eq_u64 s[18:19], s[44:45]
	s_cbranch_scc0 .LBB1461_100
; %bb.103:                              ;   in Loop: Header=BB1461_102 Depth=1
                                        ; implicit-def: $vgpr30_vgpr31
                                        ; implicit-def: $vgpr32_vgpr33
	s_mov_b64 s[44:45], s[26:27]
	s_branch .LBB1461_101
.LBB1461_104:
	s_or_b64 exec, exec, s[40:41]
	v_cmp_gt_i64_e32 vcc, s[26:27], v[34:35]
	s_orn2_b64 s[18:19], vcc, exec
.LBB1461_105:
	s_or_b64 exec, exec, s[38:39]
.LBB1461_106:
	v_cndmask_b32_e64 v46, 0, 1, s[12:13]
	v_cndmask_b32_e64 v47, 0, 1, s[14:15]
	;; [unrolled: 1-line block ×3, first 2 shown]
	v_or_b32_e32 v34, v36, v37
	s_and_b64 vcc, exec, s[36:37]
	s_cbranch_vccz .LBB1461_187
.LBB1461_107:
	v_cmp_gt_u32_e32 vcc, s3, v40
	s_mov_b64 s[12:13], 0
	s_mov_b64 s[10:11], 0
	s_and_saveexec_b64 s[14:15], vcc
	s_cbranch_execz .LBB1461_118
; %bb.108:
	s_and_b64 vcc, exec, s[4:5]
	s_mov_b64 s[18:19], 0
	s_cbranch_vccnz .LBB1461_117
; %bb.109:
	s_waitcnt lgkmcnt(0)
	v_mul_lo_u32 v32, v17, s26
	v_mul_lo_u32 v33, v16, s27
	v_mad_u64_u32 v[30:31], s[10:11], v16, s26, 0
	v_add3_u32 v31, v31, v33, v32
	v_mul_lo_u32 v32, v29, s26
	v_mul_lo_u32 v33, v28, s27
	v_mad_u64_u32 v[34:35], s[10:11], v28, s26, 0
	v_add3_u32 v35, v35, v33, v32
	v_lshl_add_u64 v[32:33], v[30:31], 1, s[28:29]
	v_lshl_add_u64 v[30:31], v[34:35], 1, s[28:29]
	global_load_ushort v34, v[32:33], off
	global_load_ushort v35, v[30:31], off
	s_mov_b64 s[18:19], -1
	s_waitcnt vmcnt(0)
	v_cmp_eq_u16_e32 vcc, v34, v35
	s_and_saveexec_b64 s[10:11], vcc
	s_cbranch_execz .LBB1461_116
; %bb.110:
	s_add_u32 s18, s26, -1
	v_lshl_add_u64 v[30:31], v[30:31], 0, 2
	v_lshl_add_u64 v[32:33], v[32:33], 0, 2
	s_addc_u32 s19, s27, -1
	s_mov_b64 s[36:37], 0
	s_mov_b64 s[40:41], 0
                                        ; implicit-def: $sgpr38_sgpr39
	s_branch .LBB1461_113
.LBB1461_111:                           ;   in Loop: Header=BB1461_113 Depth=1
	global_load_ushort v34, v[32:33], off
	global_load_ushort v35, v[30:31], off
	s_add_u32 s40, s40, 1
	s_addc_u32 s41, s41, 0
	s_andn2_b64 s[38:39], s[38:39], exec
	v_lshl_add_u64 v[30:31], v[30:31], 0, 2
	v_lshl_add_u64 v[32:33], v[32:33], 0, 2
	s_waitcnt vmcnt(0)
	v_cmp_ne_u16_e32 vcc, v34, v35
	s_and_b64 s[42:43], vcc, exec
	s_or_b64 s[38:39], s[38:39], s[42:43]
.LBB1461_112:                           ;   in Loop: Header=BB1461_113 Depth=1
	s_and_b64 s[42:43], exec, s[38:39]
	s_or_b64 s[36:37], s[42:43], s[36:37]
	v_mov_b64_e32 v[34:35], s[40:41]
	s_andn2_b64 exec, exec, s[36:37]
	s_cbranch_execz .LBB1461_115
.LBB1461_113:                           ; =>This Inner Loop Header: Depth=1
	s_or_b64 s[38:39], s[38:39], exec
	s_cmp_eq_u64 s[18:19], s[40:41]
	s_cbranch_scc0 .LBB1461_111
; %bb.114:                              ;   in Loop: Header=BB1461_113 Depth=1
                                        ; implicit-def: $vgpr30_vgpr31
                                        ; implicit-def: $vgpr32_vgpr33
	s_mov_b64 s[40:41], s[26:27]
	s_branch .LBB1461_112
.LBB1461_115:
	s_or_b64 exec, exec, s[36:37]
	v_cmp_gt_i64_e32 vcc, s[26:27], v[34:35]
	s_orn2_b64 s[18:19], vcc, exec
.LBB1461_116:
	s_or_b64 exec, exec, s[10:11]
.LBB1461_117:
	s_and_b64 s[10:11], s[18:19], exec
.LBB1461_118:
	s_or_b64 exec, exec, s[14:15]
	v_cmp_gt_u32_e32 vcc, s3, v43
	s_and_saveexec_b64 s[14:15], vcc
	s_cbranch_execz .LBB1461_129
; %bb.119:
	s_and_b64 vcc, exec, s[4:5]
	s_mov_b64 s[18:19], 0
	s_cbranch_vccnz .LBB1461_128
; %bb.120:
	s_waitcnt lgkmcnt(0)
	v_mul_lo_u32 v32, v15, s26
	v_mul_lo_u32 v33, v14, s27
	v_mad_u64_u32 v[30:31], s[12:13], v14, s26, 0
	v_add3_u32 v31, v31, v33, v32
	v_mul_lo_u32 v32, v17, s26
	v_mul_lo_u32 v33, v16, s27
	v_mad_u64_u32 v[34:35], s[12:13], v16, s26, 0
	v_add3_u32 v35, v35, v33, v32
	v_lshl_add_u64 v[32:33], v[30:31], 1, s[28:29]
	v_lshl_add_u64 v[30:31], v[34:35], 1, s[28:29]
	global_load_ushort v34, v[32:33], off
	global_load_ushort v35, v[30:31], off
	s_mov_b64 s[18:19], -1
	s_waitcnt vmcnt(0)
	v_cmp_eq_u16_e32 vcc, v34, v35
	s_and_saveexec_b64 s[12:13], vcc
	s_cbranch_execz .LBB1461_127
; %bb.121:
	s_add_u32 s18, s26, -1
	v_lshl_add_u64 v[30:31], v[30:31], 0, 2
	v_lshl_add_u64 v[32:33], v[32:33], 0, 2
	s_addc_u32 s19, s27, -1
	s_mov_b64 s[36:37], 0
	s_mov_b64 s[40:41], 0
                                        ; implicit-def: $sgpr38_sgpr39
	s_branch .LBB1461_124
.LBB1461_122:                           ;   in Loop: Header=BB1461_124 Depth=1
	global_load_ushort v34, v[32:33], off
	global_load_ushort v35, v[30:31], off
	s_add_u32 s40, s40, 1
	s_addc_u32 s41, s41, 0
	s_andn2_b64 s[38:39], s[38:39], exec
	v_lshl_add_u64 v[30:31], v[30:31], 0, 2
	v_lshl_add_u64 v[32:33], v[32:33], 0, 2
	s_waitcnt vmcnt(0)
	v_cmp_ne_u16_e32 vcc, v34, v35
	s_and_b64 s[42:43], vcc, exec
	s_or_b64 s[38:39], s[38:39], s[42:43]
.LBB1461_123:                           ;   in Loop: Header=BB1461_124 Depth=1
	s_and_b64 s[42:43], exec, s[38:39]
	s_or_b64 s[36:37], s[42:43], s[36:37]
	v_mov_b64_e32 v[34:35], s[40:41]
	s_andn2_b64 exec, exec, s[36:37]
	s_cbranch_execz .LBB1461_126
.LBB1461_124:                           ; =>This Inner Loop Header: Depth=1
	s_or_b64 s[38:39], s[38:39], exec
	s_cmp_eq_u64 s[18:19], s[40:41]
	s_cbranch_scc0 .LBB1461_122
; %bb.125:                              ;   in Loop: Header=BB1461_124 Depth=1
                                        ; implicit-def: $vgpr30_vgpr31
                                        ; implicit-def: $vgpr32_vgpr33
	s_mov_b64 s[40:41], s[26:27]
	s_branch .LBB1461_123
.LBB1461_126:
	s_or_b64 exec, exec, s[36:37]
	v_cmp_gt_i64_e32 vcc, s[26:27], v[34:35]
	s_orn2_b64 s[18:19], vcc, exec
.LBB1461_127:
	s_or_b64 exec, exec, s[12:13]
.LBB1461_128:
	s_and_b64 s[12:13], s[18:19], exec
.LBB1461_129:
	s_or_b64 exec, exec, s[14:15]
	v_cmp_gt_u32_e32 vcc, s3, v39
	s_mov_b64 s[18:19], 0
	s_mov_b64 s[14:15], 0
	s_and_saveexec_b64 s[36:37], vcc
	s_cbranch_execz .LBB1461_140
; %bb.130:
	s_and_b64 vcc, exec, s[4:5]
	s_mov_b64 s[38:39], 0
	s_cbranch_vccnz .LBB1461_139
; %bb.131:
	s_waitcnt lgkmcnt(0)
	v_mul_lo_u32 v32, v21, s26
	v_mul_lo_u32 v33, v20, s27
	v_mad_u64_u32 v[30:31], s[14:15], v20, s26, 0
	v_add3_u32 v31, v31, v33, v32
	v_mul_lo_u32 v32, v15, s26
	v_mul_lo_u32 v33, v14, s27
	v_mad_u64_u32 v[34:35], s[14:15], v14, s26, 0
	v_add3_u32 v35, v35, v33, v32
	v_lshl_add_u64 v[32:33], v[30:31], 1, s[28:29]
	v_lshl_add_u64 v[30:31], v[34:35], 1, s[28:29]
	global_load_ushort v34, v[32:33], off
	global_load_ushort v35, v[30:31], off
	s_mov_b64 s[38:39], -1
	s_waitcnt vmcnt(0)
	v_cmp_eq_u16_e32 vcc, v34, v35
	s_and_saveexec_b64 s[14:15], vcc
	s_cbranch_execz .LBB1461_138
; %bb.132:
	s_add_u32 s38, s26, -1
	v_lshl_add_u64 v[30:31], v[30:31], 0, 2
	v_lshl_add_u64 v[32:33], v[32:33], 0, 2
	s_addc_u32 s39, s27, -1
	s_mov_b64 s[40:41], 0
	s_mov_b64 s[44:45], 0
                                        ; implicit-def: $sgpr42_sgpr43
	s_branch .LBB1461_135
.LBB1461_133:                           ;   in Loop: Header=BB1461_135 Depth=1
	global_load_ushort v34, v[32:33], off
	global_load_ushort v35, v[30:31], off
	s_add_u32 s44, s44, 1
	s_addc_u32 s45, s45, 0
	s_andn2_b64 s[42:43], s[42:43], exec
	v_lshl_add_u64 v[30:31], v[30:31], 0, 2
	v_lshl_add_u64 v[32:33], v[32:33], 0, 2
	s_waitcnt vmcnt(0)
	v_cmp_ne_u16_e32 vcc, v34, v35
	s_and_b64 s[46:47], vcc, exec
	s_or_b64 s[42:43], s[42:43], s[46:47]
.LBB1461_134:                           ;   in Loop: Header=BB1461_135 Depth=1
	s_and_b64 s[46:47], exec, s[42:43]
	s_or_b64 s[40:41], s[46:47], s[40:41]
	v_mov_b64_e32 v[34:35], s[44:45]
	s_andn2_b64 exec, exec, s[40:41]
	s_cbranch_execz .LBB1461_137
.LBB1461_135:                           ; =>This Inner Loop Header: Depth=1
	s_or_b64 s[42:43], s[42:43], exec
	s_cmp_eq_u64 s[38:39], s[44:45]
	s_cbranch_scc0 .LBB1461_133
; %bb.136:                              ;   in Loop: Header=BB1461_135 Depth=1
                                        ; implicit-def: $vgpr30_vgpr31
                                        ; implicit-def: $vgpr32_vgpr33
	s_mov_b64 s[44:45], s[26:27]
	s_branch .LBB1461_134
.LBB1461_137:
	s_or_b64 exec, exec, s[40:41]
	v_cmp_gt_i64_e32 vcc, s[26:27], v[34:35]
	s_orn2_b64 s[38:39], vcc, exec
.LBB1461_138:
	s_or_b64 exec, exec, s[14:15]
.LBB1461_139:
	s_and_b64 s[14:15], s[38:39], exec
.LBB1461_140:
	s_or_b64 exec, exec, s[36:37]
	v_cmp_gt_u32_e32 vcc, s3, v42
	s_and_saveexec_b64 s[36:37], vcc
	s_cbranch_execz .LBB1461_151
; %bb.141:
	s_and_b64 vcc, exec, s[4:5]
	s_mov_b64 s[38:39], 0
	s_cbranch_vccnz .LBB1461_150
; %bb.142:
	s_waitcnt lgkmcnt(0)
	v_mul_lo_u32 v32, v19, s26
	v_mul_lo_u32 v33, v18, s27
	v_mad_u64_u32 v[30:31], s[18:19], v18, s26, 0
	v_add3_u32 v31, v31, v33, v32
	v_mul_lo_u32 v32, v21, s26
	v_mul_lo_u32 v33, v20, s27
	v_mad_u64_u32 v[34:35], s[18:19], v20, s26, 0
	v_add3_u32 v35, v35, v33, v32
	v_lshl_add_u64 v[32:33], v[30:31], 1, s[28:29]
	v_lshl_add_u64 v[30:31], v[34:35], 1, s[28:29]
	global_load_ushort v34, v[32:33], off
	global_load_ushort v35, v[30:31], off
	s_mov_b64 s[38:39], -1
	s_waitcnt vmcnt(0)
	v_cmp_eq_u16_e32 vcc, v34, v35
	s_and_saveexec_b64 s[18:19], vcc
	s_cbranch_execz .LBB1461_149
; %bb.143:
	s_add_u32 s38, s26, -1
	v_lshl_add_u64 v[30:31], v[30:31], 0, 2
	v_lshl_add_u64 v[32:33], v[32:33], 0, 2
	s_addc_u32 s39, s27, -1
	s_mov_b64 s[40:41], 0
	s_mov_b64 s[44:45], 0
                                        ; implicit-def: $sgpr42_sgpr43
	s_branch .LBB1461_146
.LBB1461_144:                           ;   in Loop: Header=BB1461_146 Depth=1
	global_load_ushort v34, v[32:33], off
	global_load_ushort v35, v[30:31], off
	s_add_u32 s44, s44, 1
	s_addc_u32 s45, s45, 0
	s_andn2_b64 s[42:43], s[42:43], exec
	v_lshl_add_u64 v[30:31], v[30:31], 0, 2
	v_lshl_add_u64 v[32:33], v[32:33], 0, 2
	s_waitcnt vmcnt(0)
	v_cmp_ne_u16_e32 vcc, v34, v35
	s_and_b64 s[46:47], vcc, exec
	s_or_b64 s[42:43], s[42:43], s[46:47]
.LBB1461_145:                           ;   in Loop: Header=BB1461_146 Depth=1
	s_and_b64 s[46:47], exec, s[42:43]
	s_or_b64 s[40:41], s[46:47], s[40:41]
	v_mov_b64_e32 v[34:35], s[44:45]
	s_andn2_b64 exec, exec, s[40:41]
	s_cbranch_execz .LBB1461_148
.LBB1461_146:                           ; =>This Inner Loop Header: Depth=1
	s_or_b64 s[42:43], s[42:43], exec
	s_cmp_eq_u64 s[38:39], s[44:45]
	s_cbranch_scc0 .LBB1461_144
; %bb.147:                              ;   in Loop: Header=BB1461_146 Depth=1
                                        ; implicit-def: $vgpr30_vgpr31
                                        ; implicit-def: $vgpr32_vgpr33
	s_mov_b64 s[44:45], s[26:27]
	s_branch .LBB1461_145
.LBB1461_148:
	s_or_b64 exec, exec, s[40:41]
	v_cmp_gt_i64_e32 vcc, s[26:27], v[34:35]
	s_orn2_b64 s[38:39], vcc, exec
.LBB1461_149:
	s_or_b64 exec, exec, s[18:19]
.LBB1461_150:
	s_and_b64 s[18:19], s[38:39], exec
.LBB1461_151:
	s_or_b64 exec, exec, s[36:37]
	v_cmp_gt_u32_e32 vcc, s3, v38
	s_mov_b64 s[36:37], 0
	s_mov_b64 s[38:39], 0
	s_and_saveexec_b64 s[40:41], vcc
	s_cbranch_execz .LBB1461_162
; %bb.152:
	s_and_b64 vcc, exec, s[4:5]
	s_mov_b64 s[42:43], 0
	s_cbranch_vccnz .LBB1461_161
; %bb.153:
	s_waitcnt lgkmcnt(0)
	v_mul_lo_u32 v32, v25, s26
	v_mul_lo_u32 v33, v24, s27
	v_mad_u64_u32 v[30:31], s[38:39], v24, s26, 0
	v_add3_u32 v31, v31, v33, v32
	v_mul_lo_u32 v32, v19, s26
	v_mul_lo_u32 v33, v18, s27
	v_mad_u64_u32 v[34:35], s[38:39], v18, s26, 0
	v_add3_u32 v35, v35, v33, v32
	v_lshl_add_u64 v[32:33], v[30:31], 1, s[28:29]
	v_lshl_add_u64 v[30:31], v[34:35], 1, s[28:29]
	global_load_ushort v34, v[32:33], off
	global_load_ushort v35, v[30:31], off
	s_mov_b64 s[42:43], -1
	s_waitcnt vmcnt(0)
	v_cmp_eq_u16_e32 vcc, v34, v35
	s_and_saveexec_b64 s[38:39], vcc
	s_cbranch_execz .LBB1461_160
; %bb.154:
	s_add_u32 s42, s26, -1
	v_lshl_add_u64 v[30:31], v[30:31], 0, 2
	v_lshl_add_u64 v[32:33], v[32:33], 0, 2
	s_addc_u32 s43, s27, -1
	s_mov_b64 s[44:45], 0
	s_mov_b64 s[48:49], 0
                                        ; implicit-def: $sgpr46_sgpr47
	s_branch .LBB1461_157
.LBB1461_155:                           ;   in Loop: Header=BB1461_157 Depth=1
	global_load_ushort v34, v[32:33], off
	global_load_ushort v35, v[30:31], off
	s_add_u32 s48, s48, 1
	s_addc_u32 s49, s49, 0
	s_andn2_b64 s[46:47], s[46:47], exec
	v_lshl_add_u64 v[30:31], v[30:31], 0, 2
	v_lshl_add_u64 v[32:33], v[32:33], 0, 2
	s_waitcnt vmcnt(0)
	v_cmp_ne_u16_e32 vcc, v34, v35
	s_and_b64 s[50:51], vcc, exec
	s_or_b64 s[46:47], s[46:47], s[50:51]
.LBB1461_156:                           ;   in Loop: Header=BB1461_157 Depth=1
	s_and_b64 s[50:51], exec, s[46:47]
	s_or_b64 s[44:45], s[50:51], s[44:45]
	v_mov_b64_e32 v[34:35], s[48:49]
	s_andn2_b64 exec, exec, s[44:45]
	s_cbranch_execz .LBB1461_159
.LBB1461_157:                           ; =>This Inner Loop Header: Depth=1
	s_or_b64 s[46:47], s[46:47], exec
	s_cmp_eq_u64 s[42:43], s[48:49]
	s_cbranch_scc0 .LBB1461_155
; %bb.158:                              ;   in Loop: Header=BB1461_157 Depth=1
                                        ; implicit-def: $vgpr30_vgpr31
                                        ; implicit-def: $vgpr32_vgpr33
	s_mov_b64 s[48:49], s[26:27]
	s_branch .LBB1461_156
.LBB1461_159:
	s_or_b64 exec, exec, s[44:45]
	v_cmp_gt_i64_e32 vcc, s[26:27], v[34:35]
	s_orn2_b64 s[42:43], vcc, exec
.LBB1461_160:
	s_or_b64 exec, exec, s[38:39]
.LBB1461_161:
	s_and_b64 s[38:39], s[42:43], exec
.LBB1461_162:
	s_or_b64 exec, exec, s[40:41]
	v_cmp_gt_u32_e32 vcc, s3, v41
	s_and_saveexec_b64 s[40:41], vcc
	s_cbranch_execz .LBB1461_173
; %bb.163:
	s_and_b64 vcc, exec, s[4:5]
	s_mov_b64 s[42:43], 0
	s_cbranch_vccnz .LBB1461_172
; %bb.164:
	s_waitcnt lgkmcnt(0)
	v_mul_lo_u32 v32, v23, s26
	v_mul_lo_u32 v33, v22, s27
	v_mad_u64_u32 v[30:31], s[36:37], v22, s26, 0
	v_add3_u32 v31, v31, v33, v32
	v_mul_lo_u32 v32, v25, s26
	v_mul_lo_u32 v33, v24, s27
	v_mad_u64_u32 v[34:35], s[36:37], v24, s26, 0
	v_add3_u32 v35, v35, v33, v32
	v_lshl_add_u64 v[32:33], v[30:31], 1, s[28:29]
	v_lshl_add_u64 v[30:31], v[34:35], 1, s[28:29]
	global_load_ushort v34, v[32:33], off
	global_load_ushort v35, v[30:31], off
	s_mov_b64 s[42:43], -1
	s_waitcnt vmcnt(0)
	v_cmp_eq_u16_e32 vcc, v34, v35
	s_and_saveexec_b64 s[36:37], vcc
	s_cbranch_execz .LBB1461_171
; %bb.165:
	s_add_u32 s42, s26, -1
	v_lshl_add_u64 v[30:31], v[30:31], 0, 2
	v_lshl_add_u64 v[32:33], v[32:33], 0, 2
	s_addc_u32 s43, s27, -1
	s_mov_b64 s[44:45], 0
	s_mov_b64 s[48:49], 0
                                        ; implicit-def: $sgpr46_sgpr47
	s_branch .LBB1461_168
.LBB1461_166:                           ;   in Loop: Header=BB1461_168 Depth=1
	global_load_ushort v34, v[32:33], off
	global_load_ushort v35, v[30:31], off
	s_add_u32 s48, s48, 1
	s_addc_u32 s49, s49, 0
	s_andn2_b64 s[46:47], s[46:47], exec
	v_lshl_add_u64 v[30:31], v[30:31], 0, 2
	v_lshl_add_u64 v[32:33], v[32:33], 0, 2
	s_waitcnt vmcnt(0)
	v_cmp_ne_u16_e32 vcc, v34, v35
	s_and_b64 s[50:51], vcc, exec
	s_or_b64 s[46:47], s[46:47], s[50:51]
.LBB1461_167:                           ;   in Loop: Header=BB1461_168 Depth=1
	s_and_b64 s[50:51], exec, s[46:47]
	s_or_b64 s[44:45], s[50:51], s[44:45]
	v_mov_b64_e32 v[34:35], s[48:49]
	s_andn2_b64 exec, exec, s[44:45]
	s_cbranch_execz .LBB1461_170
.LBB1461_168:                           ; =>This Inner Loop Header: Depth=1
	s_or_b64 s[46:47], s[46:47], exec
	s_cmp_eq_u64 s[42:43], s[48:49]
	s_cbranch_scc0 .LBB1461_166
; %bb.169:                              ;   in Loop: Header=BB1461_168 Depth=1
                                        ; implicit-def: $vgpr30_vgpr31
                                        ; implicit-def: $vgpr32_vgpr33
	s_mov_b64 s[48:49], s[26:27]
	s_branch .LBB1461_167
.LBB1461_170:
	s_or_b64 exec, exec, s[44:45]
	v_cmp_gt_i64_e32 vcc, s[26:27], v[34:35]
	s_orn2_b64 s[42:43], vcc, exec
.LBB1461_171:
	s_or_b64 exec, exec, s[36:37]
.LBB1461_172:
	s_and_b64 s[36:37], s[42:43], exec
.LBB1461_173:
	s_or_b64 exec, exec, s[40:41]
	v_cmp_ne_u32_e32 vcc, 0, v0
	s_waitcnt lgkmcnt(0)
	v_mov_b64_e32 v[30:31], s[6:7]
	s_barrier
	s_and_saveexec_b64 s[6:7], vcc
	s_cbranch_execz .LBB1461_175
; %bb.174:
	v_add_u32_e32 v30, -8, v45
	ds_read_b64 v[30:31], v30
.LBB1461_175:
	s_or_b64 exec, exec, s[6:7]
	v_cndmask_b32_e64 v33, 0, 1, s[18:19]
	v_cndmask_b32_e64 v32, 0, 1, s[38:39]
	v_cndmask_b32_e64 v34, 0, 1, s[36:37]
	v_lshlrev_b16_e32 v33, 8, v33
	v_cmp_gt_u32_e32 vcc, s3, v1
	v_lshlrev_b16_e32 v36, 8, v34
	v_or_b32_sdwa v37, v32, v33 dst_sel:WORD_1 dst_unused:UNUSED_PAD src0_sel:DWORD src1_sel:DWORD
	s_mov_b64 s[18:19], 0
	s_and_saveexec_b64 s[6:7], vcc
	s_cbranch_execz .LBB1461_186
; %bb.176:
	s_and_b64 vcc, exec, s[4:5]
	s_cbranch_vccnz .LBB1461_185
; %bb.177:
	s_waitcnt lgkmcnt(0)
	v_mul_lo_u32 v32, v31, s26
	v_mul_lo_u32 v33, v30, s27
	v_mad_u64_u32 v[30:31], s[4:5], v30, s26, 0
	v_add3_u32 v31, v31, v33, v32
	v_mul_lo_u32 v32, v23, s26
	v_mul_lo_u32 v33, v22, s27
	v_mad_u64_u32 v[34:35], s[4:5], v22, s26, 0
	v_add3_u32 v35, v35, v33, v32
	v_lshl_add_u64 v[32:33], v[30:31], 1, s[28:29]
	v_lshl_add_u64 v[30:31], v[34:35], 1, s[28:29]
	global_load_ushort v34, v[32:33], off
	global_load_ushort v35, v[30:31], off
	s_mov_b64 s[18:19], -1
	s_waitcnt vmcnt(0)
	v_cmp_eq_u16_e32 vcc, v34, v35
	s_and_saveexec_b64 s[4:5], vcc
	s_cbranch_execz .LBB1461_184
; %bb.178:
	s_add_u32 s18, s26, -1
	v_lshl_add_u64 v[30:31], v[30:31], 0, 2
	v_lshl_add_u64 v[32:33], v[32:33], 0, 2
	s_addc_u32 s19, s27, -1
	s_mov_b64 s[36:37], 0
	s_mov_b64 s[40:41], 0
                                        ; implicit-def: $sgpr38_sgpr39
	s_branch .LBB1461_181
.LBB1461_179:                           ;   in Loop: Header=BB1461_181 Depth=1
	global_load_ushort v34, v[32:33], off
	global_load_ushort v35, v[30:31], off
	s_add_u32 s40, s40, 1
	s_addc_u32 s41, s41, 0
	s_andn2_b64 s[38:39], s[38:39], exec
	v_lshl_add_u64 v[30:31], v[30:31], 0, 2
	v_lshl_add_u64 v[32:33], v[32:33], 0, 2
	s_waitcnt vmcnt(0)
	v_cmp_ne_u16_e32 vcc, v34, v35
	s_and_b64 s[42:43], vcc, exec
	s_or_b64 s[38:39], s[38:39], s[42:43]
.LBB1461_180:                           ;   in Loop: Header=BB1461_181 Depth=1
	s_and_b64 s[42:43], exec, s[38:39]
	s_or_b64 s[36:37], s[42:43], s[36:37]
	v_mov_b64_e32 v[34:35], s[40:41]
	s_andn2_b64 exec, exec, s[36:37]
	s_cbranch_execz .LBB1461_183
.LBB1461_181:                           ; =>This Inner Loop Header: Depth=1
	s_or_b64 s[38:39], s[38:39], exec
	s_cmp_eq_u64 s[18:19], s[40:41]
	s_cbranch_scc0 .LBB1461_179
; %bb.182:                              ;   in Loop: Header=BB1461_181 Depth=1
                                        ; implicit-def: $vgpr30_vgpr31
                                        ; implicit-def: $vgpr32_vgpr33
	s_mov_b64 s[40:41], s[26:27]
	s_branch .LBB1461_180
.LBB1461_183:
	s_or_b64 exec, exec, s[36:37]
	v_cmp_gt_i64_e32 vcc, s[26:27], v[34:35]
	s_orn2_b64 s[18:19], vcc, exec
.LBB1461_184:
	s_or_b64 exec, exec, s[4:5]
.LBB1461_185:
	s_and_b64 s[18:19], s[18:19], exec
.LBB1461_186:
	s_or_b64 exec, exec, s[6:7]
	v_cndmask_b32_e64 v46, 0, 1, s[14:15]
	v_cndmask_b32_e64 v47, 0, 1, s[12:13]
	v_cndmask_b32_e64 v48, 0, 1, s[10:11]
	v_or_b32_e32 v34, v36, v37
.LBB1461_187:
	s_mov_b64 s[10:11], -1
	s_cbranch_execnz .LBB1461_46
.LBB1461_188:
	s_movk_i32 s4, 0xffd0
	v_mad_i32_i24 v44, v0, s4, v44
	s_mov_b64 s[12:13], 0
	s_waitcnt lgkmcnt(0)
	v_cmp_gt_i64_e64 s[6:7], s[26:27], 0
	s_and_b64 vcc, exec, s[34:35]
	ds_write_b64 v44, v[28:29]
	s_cbranch_vccz .LBB1461_196
; %bb.189:
	v_mul_lo_u32 v32, v17, s26
	v_mul_lo_u32 v33, v16, s27
	v_mad_u64_u32 v[30:31], s[4:5], v16, s26, 0
	v_add3_u32 v31, v31, v33, v32
	v_cndmask_b32_e64 v32, 0, 1, s[6:7]
	v_cmp_ne_u32_e64 s[4:5], 1, v32
	s_andn2_b64 vcc, exec, s[6:7]
	v_lshl_add_u64 v[30:31], v[30:31], 1, s[28:29]
	s_cbranch_vccnz .LBB1461_199
; %bb.190:
	v_mul_lo_u32 v34, v29, s26
	v_mul_lo_u32 v35, v28, s27
	v_mad_u64_u32 v[32:33], s[12:13], v28, s26, 0
	v_add3_u32 v33, v33, v35, v34
	v_lshl_add_u64 v[32:33], v[32:33], 1, s[28:29]
	global_load_ushort v34, v[30:31], off
	global_load_ushort v35, v[32:33], off
	s_mov_b64 s[12:13], -1
	s_waitcnt vmcnt(0)
	v_cmp_eq_u16_e32 vcc, v34, v35
	s_and_saveexec_b64 s[14:15], vcc
	s_cbranch_execz .LBB1461_198
; %bb.191:
	s_add_u32 s12, s26, -1
	v_lshl_add_u64 v[32:33], v[32:33], 0, 2
	v_lshl_add_u64 v[34:35], v[30:31], 0, 2
	s_addc_u32 s13, s27, -1
	s_mov_b64 s[18:19], 0
	s_mov_b64 s[38:39], 0
                                        ; implicit-def: $sgpr36_sgpr37
	s_branch .LBB1461_194
.LBB1461_192:                           ;   in Loop: Header=BB1461_194 Depth=1
	global_load_ushort v36, v[34:35], off
	global_load_ushort v37, v[32:33], off
	s_add_u32 s38, s38, 1
	s_addc_u32 s39, s39, 0
	s_andn2_b64 s[36:37], s[36:37], exec
	v_lshl_add_u64 v[32:33], v[32:33], 0, 2
	v_lshl_add_u64 v[34:35], v[34:35], 0, 2
	s_waitcnt vmcnt(0)
	v_cmp_ne_u16_e32 vcc, v36, v37
	s_and_b64 s[40:41], vcc, exec
	s_or_b64 s[36:37], s[36:37], s[40:41]
.LBB1461_193:                           ;   in Loop: Header=BB1461_194 Depth=1
	s_and_b64 s[40:41], exec, s[36:37]
	s_or_b64 s[18:19], s[40:41], s[18:19]
	v_mov_b64_e32 v[36:37], s[38:39]
	s_andn2_b64 exec, exec, s[18:19]
	s_cbranch_execz .LBB1461_197
.LBB1461_194:                           ; =>This Inner Loop Header: Depth=1
	s_or_b64 s[36:37], s[36:37], exec
	s_cmp_eq_u64 s[12:13], s[38:39]
	s_cbranch_scc0 .LBB1461_192
; %bb.195:                              ;   in Loop: Header=BB1461_194 Depth=1
                                        ; implicit-def: $vgpr32_vgpr33
                                        ; implicit-def: $vgpr34_vgpr35
	s_mov_b64 s[38:39], s[26:27]
	s_branch .LBB1461_193
.LBB1461_196:
                                        ; implicit-def: $sgpr18_sgpr19
                                        ; implicit-def: $vgpr48
                                        ; implicit-def: $vgpr47
                                        ; implicit-def: $vgpr46
                                        ; implicit-def: $vgpr34
                                        ; implicit-def: $vgpr30_vgpr31
	s_cbranch_execnz .LBB1461_256
	s_branch .LBB1461_336
.LBB1461_197:
	s_or_b64 exec, exec, s[18:19]
	v_cmp_gt_i64_e32 vcc, s[26:27], v[36:37]
	s_orn2_b64 s[12:13], vcc, exec
.LBB1461_198:
	s_or_b64 exec, exec, s[14:15]
.LBB1461_199:
	v_mul_lo_u32 v34, v15, s26
	v_mul_lo_u32 v35, v14, s27
	v_mad_u64_u32 v[32:33], s[14:15], v14, s26, 0
	v_add3_u32 v33, v33, v35, v34
	s_mov_b64 s[14:15], 0
	s_and_b64 vcc, exec, s[4:5]
	v_lshl_add_u64 v[32:33], v[32:33], 1, s[28:29]
	s_mov_b64 s[18:19], 0
	s_cbranch_vccnz .LBB1461_208
; %bb.200:
	global_load_ushort v34, v[32:33], off
	global_load_ushort v35, v[30:31], off
	s_mov_b64 s[18:19], -1
	s_waitcnt vmcnt(0)
	v_cmp_eq_u16_e32 vcc, v34, v35
	s_and_saveexec_b64 s[36:37], vcc
	s_cbranch_execz .LBB1461_207
; %bb.201:
	s_add_u32 s18, s26, -1
	v_lshl_add_u64 v[30:31], v[30:31], 0, 2
	v_lshl_add_u64 v[34:35], v[32:33], 0, 2
	s_addc_u32 s19, s27, -1
	s_mov_b64 s[38:39], 0
	s_mov_b64 s[42:43], 0
                                        ; implicit-def: $sgpr40_sgpr41
	s_branch .LBB1461_204
.LBB1461_202:                           ;   in Loop: Header=BB1461_204 Depth=1
	global_load_ushort v36, v[34:35], off
	global_load_ushort v37, v[30:31], off
	s_add_u32 s42, s42, 1
	s_addc_u32 s43, s43, 0
	s_andn2_b64 s[40:41], s[40:41], exec
	v_lshl_add_u64 v[30:31], v[30:31], 0, 2
	v_lshl_add_u64 v[34:35], v[34:35], 0, 2
	s_waitcnt vmcnt(0)
	v_cmp_ne_u16_e32 vcc, v36, v37
	s_and_b64 s[44:45], vcc, exec
	s_or_b64 s[40:41], s[40:41], s[44:45]
.LBB1461_203:                           ;   in Loop: Header=BB1461_204 Depth=1
	s_and_b64 s[44:45], exec, s[40:41]
	s_or_b64 s[38:39], s[44:45], s[38:39]
	v_mov_b64_e32 v[36:37], s[42:43]
	s_andn2_b64 exec, exec, s[38:39]
	s_cbranch_execz .LBB1461_206
.LBB1461_204:                           ; =>This Inner Loop Header: Depth=1
	s_or_b64 s[40:41], s[40:41], exec
	s_cmp_eq_u64 s[18:19], s[42:43]
	s_cbranch_scc0 .LBB1461_202
; %bb.205:                              ;   in Loop: Header=BB1461_204 Depth=1
                                        ; implicit-def: $vgpr30_vgpr31
                                        ; implicit-def: $vgpr34_vgpr35
	s_mov_b64 s[42:43], s[26:27]
	s_branch .LBB1461_203
.LBB1461_206:
	s_or_b64 exec, exec, s[38:39]
	v_cmp_gt_i64_e32 vcc, s[26:27], v[36:37]
	s_orn2_b64 s[18:19], vcc, exec
.LBB1461_207:
	s_or_b64 exec, exec, s[36:37]
.LBB1461_208:
	v_mul_lo_u32 v34, v21, s26
	v_mul_lo_u32 v35, v20, s27
	v_mad_u64_u32 v[30:31], s[36:37], v20, s26, 0
	v_add3_u32 v31, v31, v35, v34
	s_and_b64 vcc, exec, s[4:5]
	v_lshl_add_u64 v[30:31], v[30:31], 1, s[28:29]
	s_cbranch_vccnz .LBB1461_217
; %bb.209:
	global_load_ushort v34, v[30:31], off
	global_load_ushort v35, v[32:33], off
	s_mov_b64 s[14:15], -1
	s_waitcnt vmcnt(0)
	v_cmp_eq_u16_e32 vcc, v34, v35
	s_and_saveexec_b64 s[36:37], vcc
	s_cbranch_execz .LBB1461_216
; %bb.210:
	s_add_u32 s14, s26, -1
	v_lshl_add_u64 v[32:33], v[32:33], 0, 2
	v_lshl_add_u64 v[34:35], v[30:31], 0, 2
	s_addc_u32 s15, s27, -1
	s_mov_b64 s[38:39], 0
	s_mov_b64 s[42:43], 0
                                        ; implicit-def: $sgpr40_sgpr41
	s_branch .LBB1461_213
.LBB1461_211:                           ;   in Loop: Header=BB1461_213 Depth=1
	global_load_ushort v36, v[34:35], off
	global_load_ushort v37, v[32:33], off
	s_add_u32 s42, s42, 1
	s_addc_u32 s43, s43, 0
	s_andn2_b64 s[40:41], s[40:41], exec
	v_lshl_add_u64 v[32:33], v[32:33], 0, 2
	v_lshl_add_u64 v[34:35], v[34:35], 0, 2
	s_waitcnt vmcnt(0)
	v_cmp_ne_u16_e32 vcc, v36, v37
	s_and_b64 s[44:45], vcc, exec
	s_or_b64 s[40:41], s[40:41], s[44:45]
.LBB1461_212:                           ;   in Loop: Header=BB1461_213 Depth=1
	s_and_b64 s[44:45], exec, s[40:41]
	s_or_b64 s[38:39], s[44:45], s[38:39]
	v_mov_b64_e32 v[36:37], s[42:43]
	s_andn2_b64 exec, exec, s[38:39]
	s_cbranch_execz .LBB1461_215
.LBB1461_213:                           ; =>This Inner Loop Header: Depth=1
	s_or_b64 s[40:41], s[40:41], exec
	s_cmp_eq_u64 s[14:15], s[42:43]
	s_cbranch_scc0 .LBB1461_211
; %bb.214:                              ;   in Loop: Header=BB1461_213 Depth=1
                                        ; implicit-def: $vgpr32_vgpr33
                                        ; implicit-def: $vgpr34_vgpr35
	s_mov_b64 s[42:43], s[26:27]
	s_branch .LBB1461_212
.LBB1461_215:
	s_or_b64 exec, exec, s[38:39]
	v_cmp_gt_i64_e32 vcc, s[26:27], v[36:37]
	s_orn2_b64 s[14:15], vcc, exec
.LBB1461_216:
	s_or_b64 exec, exec, s[36:37]
.LBB1461_217:
	v_mul_lo_u32 v34, v19, s26
	v_mul_lo_u32 v35, v18, s27
	v_mad_u64_u32 v[32:33], s[36:37], v18, s26, 0
	v_add3_u32 v33, v33, v35, v34
	s_mov_b64 s[36:37], 0
	s_and_b64 vcc, exec, s[4:5]
	v_lshl_add_u64 v[32:33], v[32:33], 1, s[28:29]
	s_mov_b64 s[38:39], 0
	s_cbranch_vccnz .LBB1461_226
; %bb.218:
	global_load_ushort v34, v[32:33], off
	global_load_ushort v35, v[30:31], off
	s_mov_b64 s[38:39], -1
	s_waitcnt vmcnt(0)
	v_cmp_eq_u16_e32 vcc, v34, v35
	s_and_saveexec_b64 s[40:41], vcc
	s_cbranch_execz .LBB1461_225
; %bb.219:
	s_add_u32 s38, s26, -1
	v_lshl_add_u64 v[30:31], v[30:31], 0, 2
	v_lshl_add_u64 v[34:35], v[32:33], 0, 2
	s_addc_u32 s39, s27, -1
	s_mov_b64 s[42:43], 0
	s_mov_b64 s[46:47], 0
                                        ; implicit-def: $sgpr44_sgpr45
	s_branch .LBB1461_222
.LBB1461_220:                           ;   in Loop: Header=BB1461_222 Depth=1
	global_load_ushort v36, v[34:35], off
	global_load_ushort v37, v[30:31], off
	s_add_u32 s46, s46, 1
	s_addc_u32 s47, s47, 0
	s_andn2_b64 s[44:45], s[44:45], exec
	v_lshl_add_u64 v[30:31], v[30:31], 0, 2
	v_lshl_add_u64 v[34:35], v[34:35], 0, 2
	s_waitcnt vmcnt(0)
	v_cmp_ne_u16_e32 vcc, v36, v37
	s_and_b64 s[48:49], vcc, exec
	s_or_b64 s[44:45], s[44:45], s[48:49]
.LBB1461_221:                           ;   in Loop: Header=BB1461_222 Depth=1
	s_and_b64 s[48:49], exec, s[44:45]
	s_or_b64 s[42:43], s[48:49], s[42:43]
	v_mov_b64_e32 v[36:37], s[46:47]
	s_andn2_b64 exec, exec, s[42:43]
	s_cbranch_execz .LBB1461_224
.LBB1461_222:                           ; =>This Inner Loop Header: Depth=1
	s_or_b64 s[44:45], s[44:45], exec
	s_cmp_eq_u64 s[38:39], s[46:47]
	s_cbranch_scc0 .LBB1461_220
; %bb.223:                              ;   in Loop: Header=BB1461_222 Depth=1
                                        ; implicit-def: $vgpr30_vgpr31
                                        ; implicit-def: $vgpr34_vgpr35
	s_mov_b64 s[46:47], s[26:27]
	s_branch .LBB1461_221
.LBB1461_224:
	s_or_b64 exec, exec, s[42:43]
	v_cmp_gt_i64_e32 vcc, s[26:27], v[36:37]
	s_orn2_b64 s[38:39], vcc, exec
.LBB1461_225:
	s_or_b64 exec, exec, s[40:41]
.LBB1461_226:
	v_mul_lo_u32 v34, v25, s26
	v_mul_lo_u32 v35, v24, s27
	v_mad_u64_u32 v[30:31], s[40:41], v24, s26, 0
	v_add3_u32 v31, v31, v35, v34
	s_and_b64 vcc, exec, s[4:5]
	v_lshl_add_u64 v[30:31], v[30:31], 1, s[28:29]
	s_cbranch_vccnz .LBB1461_235
; %bb.227:
	global_load_ushort v34, v[30:31], off
	global_load_ushort v35, v[32:33], off
	s_mov_b64 s[36:37], -1
	s_waitcnt vmcnt(0)
	v_cmp_eq_u16_e32 vcc, v34, v35
	s_and_saveexec_b64 s[40:41], vcc
	s_cbranch_execz .LBB1461_234
; %bb.228:
	s_add_u32 s36, s26, -1
	v_lshl_add_u64 v[32:33], v[32:33], 0, 2
	v_lshl_add_u64 v[34:35], v[30:31], 0, 2
	s_addc_u32 s37, s27, -1
	s_mov_b64 s[42:43], 0
	s_mov_b64 s[46:47], 0
                                        ; implicit-def: $sgpr44_sgpr45
	s_branch .LBB1461_231
.LBB1461_229:                           ;   in Loop: Header=BB1461_231 Depth=1
	global_load_ushort v36, v[34:35], off
	global_load_ushort v37, v[32:33], off
	s_add_u32 s46, s46, 1
	s_addc_u32 s47, s47, 0
	s_andn2_b64 s[44:45], s[44:45], exec
	v_lshl_add_u64 v[32:33], v[32:33], 0, 2
	v_lshl_add_u64 v[34:35], v[34:35], 0, 2
	s_waitcnt vmcnt(0)
	v_cmp_ne_u16_e32 vcc, v36, v37
	s_and_b64 s[48:49], vcc, exec
	s_or_b64 s[44:45], s[44:45], s[48:49]
.LBB1461_230:                           ;   in Loop: Header=BB1461_231 Depth=1
	s_and_b64 s[48:49], exec, s[44:45]
	s_or_b64 s[42:43], s[48:49], s[42:43]
	v_mov_b64_e32 v[36:37], s[46:47]
	s_andn2_b64 exec, exec, s[42:43]
	s_cbranch_execz .LBB1461_233
.LBB1461_231:                           ; =>This Inner Loop Header: Depth=1
	s_or_b64 s[44:45], s[44:45], exec
	s_cmp_eq_u64 s[36:37], s[46:47]
	s_cbranch_scc0 .LBB1461_229
; %bb.232:                              ;   in Loop: Header=BB1461_231 Depth=1
                                        ; implicit-def: $vgpr32_vgpr33
                                        ; implicit-def: $vgpr34_vgpr35
	s_mov_b64 s[46:47], s[26:27]
	s_branch .LBB1461_230
.LBB1461_233:
	s_or_b64 exec, exec, s[42:43]
	v_cmp_gt_i64_e32 vcc, s[26:27], v[36:37]
	s_orn2_b64 s[36:37], vcc, exec
.LBB1461_234:
	s_or_b64 exec, exec, s[40:41]
.LBB1461_235:
	v_mul_lo_u32 v34, v23, s26
	v_mul_lo_u32 v35, v22, s27
	v_mad_u64_u32 v[32:33], s[40:41], v22, s26, 0
	v_add3_u32 v33, v33, v35, v34
	s_and_b64 vcc, exec, s[4:5]
	s_mov_b64 s[42:43], 0
	s_cbranch_vccnz .LBB1461_244
; %bb.236:
	v_lshl_add_u64 v[34:35], v[32:33], 1, s[28:29]
	global_load_ushort v36, v[34:35], off
	global_load_ushort v37, v[30:31], off
	s_mov_b64 s[42:43], -1
	s_waitcnt vmcnt(0)
	v_cmp_eq_u16_e32 vcc, v36, v37
	s_and_saveexec_b64 s[40:41], vcc
	s_cbranch_execz .LBB1461_243
; %bb.237:
	s_add_u32 s42, s26, -1
	v_lshl_add_u64 v[30:31], v[30:31], 0, 2
	v_lshl_add_u64 v[34:35], v[34:35], 0, 2
	s_addc_u32 s43, s27, -1
	s_mov_b64 s[44:45], 0
	s_mov_b64 s[48:49], 0
                                        ; implicit-def: $sgpr46_sgpr47
	s_branch .LBB1461_240
.LBB1461_238:                           ;   in Loop: Header=BB1461_240 Depth=1
	global_load_ushort v36, v[34:35], off
	global_load_ushort v37, v[30:31], off
	s_add_u32 s48, s48, 1
	s_addc_u32 s49, s49, 0
	s_andn2_b64 s[46:47], s[46:47], exec
	v_lshl_add_u64 v[30:31], v[30:31], 0, 2
	v_lshl_add_u64 v[34:35], v[34:35], 0, 2
	s_waitcnt vmcnt(0)
	v_cmp_ne_u16_e32 vcc, v36, v37
	s_and_b64 s[50:51], vcc, exec
	s_or_b64 s[46:47], s[46:47], s[50:51]
.LBB1461_239:                           ;   in Loop: Header=BB1461_240 Depth=1
	s_and_b64 s[50:51], exec, s[46:47]
	s_or_b64 s[44:45], s[50:51], s[44:45]
	v_mov_b64_e32 v[36:37], s[48:49]
	s_andn2_b64 exec, exec, s[44:45]
	s_cbranch_execz .LBB1461_242
.LBB1461_240:                           ; =>This Inner Loop Header: Depth=1
	s_or_b64 s[46:47], s[46:47], exec
	s_cmp_eq_u64 s[42:43], s[48:49]
	s_cbranch_scc0 .LBB1461_238
; %bb.241:                              ;   in Loop: Header=BB1461_240 Depth=1
                                        ; implicit-def: $vgpr30_vgpr31
                                        ; implicit-def: $vgpr34_vgpr35
	s_mov_b64 s[48:49], s[26:27]
	s_branch .LBB1461_239
.LBB1461_242:
	s_or_b64 exec, exec, s[44:45]
	v_cmp_gt_i64_e32 vcc, s[26:27], v[36:37]
	s_orn2_b64 s[42:43], vcc, exec
.LBB1461_243:
	s_or_b64 exec, exec, s[40:41]
.LBB1461_244:
	v_cndmask_b32_e64 v31, 0, 1, s[38:39]
	v_cndmask_b32_e64 v30, 0, 1, s[36:37]
	;; [unrolled: 1-line block ×3, first 2 shown]
	v_lshlrev_b16_e32 v31, 8, v31
	v_cndmask_b32_e64 v46, 0, 1, s[14:15]
	v_cndmask_b32_e64 v34, 0, 1, s[42:43]
	v_or_b32_sdwa v30, v30, v31 dst_sel:WORD_1 dst_unused:UNUSED_PAD src0_sel:DWORD src1_sel:DWORD
	v_lshlrev_b16_e32 v31, 8, v47
	v_lshlrev_b16_e32 v34, 8, v34
	v_or_b32_e32 v31, v46, v31
	v_or_b32_e32 v34, 1, v34
	v_and_b32_e32 v31, 0xffff, v31
	v_cndmask_b32_e64 v48, 0, 1, s[12:13]
	v_or_b32_sdwa v30, v34, v30 dst_sel:DWORD dst_unused:UNUSED_PAD src0_sel:WORD_0 src1_sel:DWORD
	v_lshl_or_b32 v31, v48, 16, v31
	v_cmp_ne_u32_e32 vcc, 0, v0
	s_waitcnt lgkmcnt(0)
	s_barrier
	s_waitcnt lgkmcnt(0)
                                        ; implicit-def: $sgpr18_sgpr19
                                        ; implicit-def: $vgpr34
	s_and_saveexec_b64 s[12:13], vcc
	s_xor_b64 s[12:13], exec, s[12:13]
	s_cbranch_execz .LBB1461_255
; %bb.245:
	s_mov_b32 s33, 0x3020104
	s_and_b64 vcc, exec, s[4:5]
	s_mov_b64 s[14:15], 0
	s_cbranch_vccnz .LBB1461_254
; %bb.246:
	v_add_u32_e32 v31, -8, v44
	ds_read_b64 v[34:35], v31
	v_lshl_add_u64 v[32:33], v[32:33], 1, s[28:29]
	s_mov_b64 s[14:15], -1
	s_waitcnt lgkmcnt(0)
	v_mul_lo_u32 v31, v35, s26
	v_mul_lo_u32 v36, v34, s27
	v_mad_u64_u32 v[34:35], s[4:5], v34, s26, 0
	v_add3_u32 v35, v35, v36, v31
	v_lshl_add_u64 v[34:35], v[34:35], 1, s[28:29]
	global_load_ushort v31, v[34:35], off
	global_load_ushort v36, v[32:33], off
	s_waitcnt vmcnt(0)
	v_cmp_eq_u16_e32 vcc, v31, v36
	s_and_saveexec_b64 s[4:5], vcc
	s_cbranch_execz .LBB1461_253
; %bb.247:
	s_add_u32 s14, s26, -1
	v_lshl_add_u64 v[32:33], v[32:33], 0, 2
	v_lshl_add_u64 v[34:35], v[34:35], 0, 2
	s_addc_u32 s15, s27, -1
	s_mov_b64 s[18:19], 0
	s_mov_b64 s[38:39], 0
                                        ; implicit-def: $sgpr36_sgpr37
	s_branch .LBB1461_250
.LBB1461_248:                           ;   in Loop: Header=BB1461_250 Depth=1
	global_load_ushort v31, v[34:35], off
	global_load_ushort v36, v[32:33], off
	s_add_u32 s38, s38, 1
	s_addc_u32 s39, s39, 0
	s_andn2_b64 s[36:37], s[36:37], exec
	v_lshl_add_u64 v[32:33], v[32:33], 0, 2
	v_lshl_add_u64 v[34:35], v[34:35], 0, 2
	s_waitcnt vmcnt(0)
	v_cmp_ne_u16_e32 vcc, v31, v36
	s_and_b64 s[40:41], vcc, exec
	s_or_b64 s[36:37], s[36:37], s[40:41]
.LBB1461_249:                           ;   in Loop: Header=BB1461_250 Depth=1
	s_and_b64 s[40:41], exec, s[36:37]
	s_or_b64 s[18:19], s[40:41], s[18:19]
	v_mov_b64_e32 v[36:37], s[38:39]
	s_andn2_b64 exec, exec, s[18:19]
	s_cbranch_execz .LBB1461_252
.LBB1461_250:                           ; =>This Inner Loop Header: Depth=1
	s_or_b64 s[36:37], s[36:37], exec
	s_cmp_eq_u64 s[14:15], s[38:39]
	s_cbranch_scc0 .LBB1461_248
; %bb.251:                              ;   in Loop: Header=BB1461_250 Depth=1
                                        ; implicit-def: $vgpr32_vgpr33
                                        ; implicit-def: $vgpr34_vgpr35
	s_mov_b64 s[38:39], s[26:27]
	s_branch .LBB1461_249
.LBB1461_252:
	s_or_b64 exec, exec, s[18:19]
	v_cmp_gt_i64_e32 vcc, s[26:27], v[36:37]
	s_orn2_b64 s[14:15], vcc, exec
.LBB1461_253:
	s_or_b64 exec, exec, s[4:5]
.LBB1461_254:
	v_perm_b32 v34, v30, v30, s33
	s_and_b64 s[18:19], s[14:15], exec
	s_or_b64 s[10:11], s[10:11], exec
                                        ; implicit-def: $vgpr30_vgpr31
.LBB1461_255:
	s_or_b64 exec, exec, s[12:13]
	s_branch .LBB1461_336
.LBB1461_256:
	v_cmp_gt_u32_e32 vcc, s3, v40
	s_mov_b64 s[12:13], 0
	s_mov_b64 s[4:5], 0
	s_and_saveexec_b64 s[14:15], vcc
	s_cbranch_execz .LBB1461_267
; %bb.257:
	s_andn2_b64 vcc, exec, s[6:7]
	s_mov_b64 s[18:19], 0
	s_cbranch_vccnz .LBB1461_266
; %bb.258:
	v_mul_lo_u32 v32, v17, s26
	v_mul_lo_u32 v33, v16, s27
	v_mad_u64_u32 v[30:31], s[4:5], v16, s26, 0
	v_add3_u32 v31, v31, v33, v32
	v_mul_lo_u32 v32, v29, s26
	v_mul_lo_u32 v33, v28, s27
	v_mad_u64_u32 v[34:35], s[4:5], v28, s26, 0
	v_add3_u32 v35, v35, v33, v32
	v_lshl_add_u64 v[32:33], v[30:31], 1, s[28:29]
	v_lshl_add_u64 v[30:31], v[34:35], 1, s[28:29]
	global_load_ushort v34, v[32:33], off
	global_load_ushort v35, v[30:31], off
	s_mov_b64 s[18:19], -1
	s_waitcnt vmcnt(0)
	v_cmp_eq_u16_e32 vcc, v34, v35
	s_and_saveexec_b64 s[4:5], vcc
	s_cbranch_execz .LBB1461_265
; %bb.259:
	s_add_u32 s18, s26, -1
	v_lshl_add_u64 v[30:31], v[30:31], 0, 2
	v_lshl_add_u64 v[32:33], v[32:33], 0, 2
	s_addc_u32 s19, s27, -1
	s_mov_b64 s[36:37], 0
	s_mov_b64 s[40:41], 0
                                        ; implicit-def: $sgpr38_sgpr39
	s_branch .LBB1461_262
.LBB1461_260:                           ;   in Loop: Header=BB1461_262 Depth=1
	global_load_ushort v34, v[32:33], off
	global_load_ushort v35, v[30:31], off
	s_add_u32 s40, s40, 1
	s_addc_u32 s41, s41, 0
	s_andn2_b64 s[38:39], s[38:39], exec
	v_lshl_add_u64 v[30:31], v[30:31], 0, 2
	v_lshl_add_u64 v[32:33], v[32:33], 0, 2
	s_waitcnt vmcnt(0)
	v_cmp_ne_u16_e32 vcc, v34, v35
	s_and_b64 s[42:43], vcc, exec
	s_or_b64 s[38:39], s[38:39], s[42:43]
.LBB1461_261:                           ;   in Loop: Header=BB1461_262 Depth=1
	s_and_b64 s[42:43], exec, s[38:39]
	s_or_b64 s[36:37], s[42:43], s[36:37]
	v_mov_b64_e32 v[34:35], s[40:41]
	s_andn2_b64 exec, exec, s[36:37]
	s_cbranch_execz .LBB1461_264
.LBB1461_262:                           ; =>This Inner Loop Header: Depth=1
	s_or_b64 s[38:39], s[38:39], exec
	s_cmp_eq_u64 s[18:19], s[40:41]
	s_cbranch_scc0 .LBB1461_260
; %bb.263:                              ;   in Loop: Header=BB1461_262 Depth=1
                                        ; implicit-def: $vgpr30_vgpr31
                                        ; implicit-def: $vgpr32_vgpr33
	s_mov_b64 s[40:41], s[26:27]
	s_branch .LBB1461_261
.LBB1461_264:
	s_or_b64 exec, exec, s[36:37]
	v_cmp_gt_i64_e32 vcc, s[26:27], v[34:35]
	s_orn2_b64 s[18:19], vcc, exec
.LBB1461_265:
	s_or_b64 exec, exec, s[4:5]
.LBB1461_266:
	s_and_b64 s[4:5], s[18:19], exec
.LBB1461_267:
	s_or_b64 exec, exec, s[14:15]
	v_cmp_gt_u32_e32 vcc, s3, v43
	s_and_saveexec_b64 s[14:15], vcc
	s_cbranch_execz .LBB1461_278
; %bb.268:
	s_andn2_b64 vcc, exec, s[6:7]
	s_mov_b64 s[18:19], 0
	s_cbranch_vccnz .LBB1461_277
; %bb.269:
	v_mul_lo_u32 v32, v15, s26
	v_mul_lo_u32 v33, v14, s27
	v_mad_u64_u32 v[30:31], s[12:13], v14, s26, 0
	v_add3_u32 v31, v31, v33, v32
	v_mul_lo_u32 v32, v17, s26
	v_mul_lo_u32 v33, v16, s27
	v_mad_u64_u32 v[34:35], s[12:13], v16, s26, 0
	v_add3_u32 v35, v35, v33, v32
	v_lshl_add_u64 v[32:33], v[30:31], 1, s[28:29]
	v_lshl_add_u64 v[30:31], v[34:35], 1, s[28:29]
	global_load_ushort v34, v[32:33], off
	global_load_ushort v35, v[30:31], off
	s_mov_b64 s[18:19], -1
	s_waitcnt vmcnt(0)
	v_cmp_eq_u16_e32 vcc, v34, v35
	s_and_saveexec_b64 s[12:13], vcc
	s_cbranch_execz .LBB1461_276
; %bb.270:
	s_add_u32 s18, s26, -1
	v_lshl_add_u64 v[30:31], v[30:31], 0, 2
	v_lshl_add_u64 v[32:33], v[32:33], 0, 2
	s_addc_u32 s19, s27, -1
	s_mov_b64 s[36:37], 0
	s_mov_b64 s[40:41], 0
                                        ; implicit-def: $sgpr38_sgpr39
	s_branch .LBB1461_273
.LBB1461_271:                           ;   in Loop: Header=BB1461_273 Depth=1
	global_load_ushort v34, v[32:33], off
	global_load_ushort v35, v[30:31], off
	s_add_u32 s40, s40, 1
	s_addc_u32 s41, s41, 0
	s_andn2_b64 s[38:39], s[38:39], exec
	v_lshl_add_u64 v[30:31], v[30:31], 0, 2
	v_lshl_add_u64 v[32:33], v[32:33], 0, 2
	s_waitcnt vmcnt(0)
	v_cmp_ne_u16_e32 vcc, v34, v35
	s_and_b64 s[42:43], vcc, exec
	s_or_b64 s[38:39], s[38:39], s[42:43]
.LBB1461_272:                           ;   in Loop: Header=BB1461_273 Depth=1
	s_and_b64 s[42:43], exec, s[38:39]
	s_or_b64 s[36:37], s[42:43], s[36:37]
	v_mov_b64_e32 v[34:35], s[40:41]
	s_andn2_b64 exec, exec, s[36:37]
	s_cbranch_execz .LBB1461_275
.LBB1461_273:                           ; =>This Inner Loop Header: Depth=1
	s_or_b64 s[38:39], s[38:39], exec
	s_cmp_eq_u64 s[18:19], s[40:41]
	s_cbranch_scc0 .LBB1461_271
; %bb.274:                              ;   in Loop: Header=BB1461_273 Depth=1
                                        ; implicit-def: $vgpr30_vgpr31
                                        ; implicit-def: $vgpr32_vgpr33
	s_mov_b64 s[40:41], s[26:27]
	s_branch .LBB1461_272
.LBB1461_275:
	s_or_b64 exec, exec, s[36:37]
	v_cmp_gt_i64_e32 vcc, s[26:27], v[34:35]
	s_orn2_b64 s[18:19], vcc, exec
.LBB1461_276:
	s_or_b64 exec, exec, s[12:13]
.LBB1461_277:
	s_and_b64 s[12:13], s[18:19], exec
.LBB1461_278:
	s_or_b64 exec, exec, s[14:15]
	v_cmp_gt_u32_e32 vcc, s3, v39
	s_mov_b64 s[18:19], 0
	s_mov_b64 s[14:15], 0
	s_and_saveexec_b64 s[36:37], vcc
	s_cbranch_execz .LBB1461_289
; %bb.279:
	s_andn2_b64 vcc, exec, s[6:7]
	s_mov_b64 s[38:39], 0
	s_cbranch_vccnz .LBB1461_288
; %bb.280:
	v_mul_lo_u32 v32, v21, s26
	v_mul_lo_u32 v33, v20, s27
	v_mad_u64_u32 v[30:31], s[14:15], v20, s26, 0
	v_add3_u32 v31, v31, v33, v32
	v_mul_lo_u32 v32, v15, s26
	v_mul_lo_u32 v33, v14, s27
	v_mad_u64_u32 v[34:35], s[14:15], v14, s26, 0
	v_add3_u32 v35, v35, v33, v32
	v_lshl_add_u64 v[32:33], v[30:31], 1, s[28:29]
	v_lshl_add_u64 v[30:31], v[34:35], 1, s[28:29]
	global_load_ushort v34, v[32:33], off
	global_load_ushort v35, v[30:31], off
	s_mov_b64 s[38:39], -1
	s_waitcnt vmcnt(0)
	v_cmp_eq_u16_e32 vcc, v34, v35
	s_and_saveexec_b64 s[14:15], vcc
	s_cbranch_execz .LBB1461_287
; %bb.281:
	s_add_u32 s38, s26, -1
	v_lshl_add_u64 v[30:31], v[30:31], 0, 2
	v_lshl_add_u64 v[32:33], v[32:33], 0, 2
	s_addc_u32 s39, s27, -1
	s_mov_b64 s[40:41], 0
	s_mov_b64 s[44:45], 0
                                        ; implicit-def: $sgpr42_sgpr43
	s_branch .LBB1461_284
.LBB1461_282:                           ;   in Loop: Header=BB1461_284 Depth=1
	global_load_ushort v34, v[32:33], off
	global_load_ushort v35, v[30:31], off
	s_add_u32 s44, s44, 1
	s_addc_u32 s45, s45, 0
	s_andn2_b64 s[42:43], s[42:43], exec
	v_lshl_add_u64 v[30:31], v[30:31], 0, 2
	v_lshl_add_u64 v[32:33], v[32:33], 0, 2
	s_waitcnt vmcnt(0)
	v_cmp_ne_u16_e32 vcc, v34, v35
	s_and_b64 s[46:47], vcc, exec
	s_or_b64 s[42:43], s[42:43], s[46:47]
.LBB1461_283:                           ;   in Loop: Header=BB1461_284 Depth=1
	s_and_b64 s[46:47], exec, s[42:43]
	s_or_b64 s[40:41], s[46:47], s[40:41]
	v_mov_b64_e32 v[34:35], s[44:45]
	s_andn2_b64 exec, exec, s[40:41]
	s_cbranch_execz .LBB1461_286
.LBB1461_284:                           ; =>This Inner Loop Header: Depth=1
	s_or_b64 s[42:43], s[42:43], exec
	s_cmp_eq_u64 s[38:39], s[44:45]
	s_cbranch_scc0 .LBB1461_282
; %bb.285:                              ;   in Loop: Header=BB1461_284 Depth=1
                                        ; implicit-def: $vgpr30_vgpr31
                                        ; implicit-def: $vgpr32_vgpr33
	s_mov_b64 s[44:45], s[26:27]
	s_branch .LBB1461_283
.LBB1461_286:
	s_or_b64 exec, exec, s[40:41]
	v_cmp_gt_i64_e32 vcc, s[26:27], v[34:35]
	s_orn2_b64 s[38:39], vcc, exec
.LBB1461_287:
	s_or_b64 exec, exec, s[14:15]
.LBB1461_288:
	s_and_b64 s[14:15], s[38:39], exec
.LBB1461_289:
	s_or_b64 exec, exec, s[36:37]
	v_cmp_gt_u32_e32 vcc, s3, v42
	s_and_saveexec_b64 s[36:37], vcc
	s_cbranch_execz .LBB1461_300
; %bb.290:
	s_andn2_b64 vcc, exec, s[6:7]
	s_mov_b64 s[38:39], 0
	s_cbranch_vccnz .LBB1461_299
; %bb.291:
	v_mul_lo_u32 v32, v19, s26
	v_mul_lo_u32 v33, v18, s27
	v_mad_u64_u32 v[30:31], s[18:19], v18, s26, 0
	v_add3_u32 v31, v31, v33, v32
	v_mul_lo_u32 v32, v21, s26
	v_mul_lo_u32 v33, v20, s27
	v_mad_u64_u32 v[34:35], s[18:19], v20, s26, 0
	v_add3_u32 v35, v35, v33, v32
	v_lshl_add_u64 v[32:33], v[30:31], 1, s[28:29]
	v_lshl_add_u64 v[30:31], v[34:35], 1, s[28:29]
	global_load_ushort v34, v[32:33], off
	global_load_ushort v35, v[30:31], off
	s_mov_b64 s[38:39], -1
	s_waitcnt vmcnt(0)
	v_cmp_eq_u16_e32 vcc, v34, v35
	s_and_saveexec_b64 s[18:19], vcc
	s_cbranch_execz .LBB1461_298
; %bb.292:
	s_add_u32 s38, s26, -1
	v_lshl_add_u64 v[30:31], v[30:31], 0, 2
	v_lshl_add_u64 v[32:33], v[32:33], 0, 2
	s_addc_u32 s39, s27, -1
	s_mov_b64 s[40:41], 0
	s_mov_b64 s[44:45], 0
                                        ; implicit-def: $sgpr42_sgpr43
	s_branch .LBB1461_295
.LBB1461_293:                           ;   in Loop: Header=BB1461_295 Depth=1
	global_load_ushort v34, v[32:33], off
	global_load_ushort v35, v[30:31], off
	s_add_u32 s44, s44, 1
	s_addc_u32 s45, s45, 0
	s_andn2_b64 s[42:43], s[42:43], exec
	v_lshl_add_u64 v[30:31], v[30:31], 0, 2
	v_lshl_add_u64 v[32:33], v[32:33], 0, 2
	s_waitcnt vmcnt(0)
	v_cmp_ne_u16_e32 vcc, v34, v35
	s_and_b64 s[46:47], vcc, exec
	s_or_b64 s[42:43], s[42:43], s[46:47]
.LBB1461_294:                           ;   in Loop: Header=BB1461_295 Depth=1
	s_and_b64 s[46:47], exec, s[42:43]
	s_or_b64 s[40:41], s[46:47], s[40:41]
	v_mov_b64_e32 v[34:35], s[44:45]
	s_andn2_b64 exec, exec, s[40:41]
	s_cbranch_execz .LBB1461_297
.LBB1461_295:                           ; =>This Inner Loop Header: Depth=1
	s_or_b64 s[42:43], s[42:43], exec
	s_cmp_eq_u64 s[38:39], s[44:45]
	s_cbranch_scc0 .LBB1461_293
; %bb.296:                              ;   in Loop: Header=BB1461_295 Depth=1
                                        ; implicit-def: $vgpr30_vgpr31
                                        ; implicit-def: $vgpr32_vgpr33
	s_mov_b64 s[44:45], s[26:27]
	s_branch .LBB1461_294
.LBB1461_297:
	s_or_b64 exec, exec, s[40:41]
	v_cmp_gt_i64_e32 vcc, s[26:27], v[34:35]
	s_orn2_b64 s[38:39], vcc, exec
.LBB1461_298:
	s_or_b64 exec, exec, s[18:19]
.LBB1461_299:
	s_and_b64 s[18:19], s[38:39], exec
.LBB1461_300:
	s_or_b64 exec, exec, s[36:37]
	v_cmp_gt_u32_e32 vcc, s3, v38
	s_mov_b64 s[36:37], 0
	s_mov_b64 s[38:39], 0
	s_and_saveexec_b64 s[40:41], vcc
	s_cbranch_execz .LBB1461_311
; %bb.301:
	s_andn2_b64 vcc, exec, s[6:7]
	s_mov_b64 s[42:43], 0
	s_cbranch_vccnz .LBB1461_310
; %bb.302:
	v_mul_lo_u32 v32, v25, s26
	v_mul_lo_u32 v33, v24, s27
	v_mad_u64_u32 v[30:31], s[38:39], v24, s26, 0
	v_add3_u32 v31, v31, v33, v32
	v_mul_lo_u32 v32, v19, s26
	v_mul_lo_u32 v33, v18, s27
	v_mad_u64_u32 v[34:35], s[38:39], v18, s26, 0
	v_add3_u32 v35, v35, v33, v32
	v_lshl_add_u64 v[32:33], v[30:31], 1, s[28:29]
	v_lshl_add_u64 v[30:31], v[34:35], 1, s[28:29]
	global_load_ushort v34, v[32:33], off
	global_load_ushort v35, v[30:31], off
	s_mov_b64 s[42:43], -1
	s_waitcnt vmcnt(0)
	v_cmp_eq_u16_e32 vcc, v34, v35
	s_and_saveexec_b64 s[38:39], vcc
	s_cbranch_execz .LBB1461_309
; %bb.303:
	s_add_u32 s42, s26, -1
	v_lshl_add_u64 v[30:31], v[30:31], 0, 2
	v_lshl_add_u64 v[32:33], v[32:33], 0, 2
	s_addc_u32 s43, s27, -1
	s_mov_b64 s[44:45], 0
	s_mov_b64 s[48:49], 0
                                        ; implicit-def: $sgpr46_sgpr47
	s_branch .LBB1461_306
.LBB1461_304:                           ;   in Loop: Header=BB1461_306 Depth=1
	global_load_ushort v34, v[32:33], off
	global_load_ushort v35, v[30:31], off
	s_add_u32 s48, s48, 1
	s_addc_u32 s49, s49, 0
	s_andn2_b64 s[46:47], s[46:47], exec
	v_lshl_add_u64 v[30:31], v[30:31], 0, 2
	v_lshl_add_u64 v[32:33], v[32:33], 0, 2
	s_waitcnt vmcnt(0)
	v_cmp_ne_u16_e32 vcc, v34, v35
	s_and_b64 s[50:51], vcc, exec
	s_or_b64 s[46:47], s[46:47], s[50:51]
.LBB1461_305:                           ;   in Loop: Header=BB1461_306 Depth=1
	s_and_b64 s[50:51], exec, s[46:47]
	s_or_b64 s[44:45], s[50:51], s[44:45]
	v_mov_b64_e32 v[34:35], s[48:49]
	s_andn2_b64 exec, exec, s[44:45]
	s_cbranch_execz .LBB1461_308
.LBB1461_306:                           ; =>This Inner Loop Header: Depth=1
	s_or_b64 s[46:47], s[46:47], exec
	s_cmp_eq_u64 s[42:43], s[48:49]
	s_cbranch_scc0 .LBB1461_304
; %bb.307:                              ;   in Loop: Header=BB1461_306 Depth=1
                                        ; implicit-def: $vgpr30_vgpr31
                                        ; implicit-def: $vgpr32_vgpr33
	s_mov_b64 s[48:49], s[26:27]
	s_branch .LBB1461_305
.LBB1461_308:
	s_or_b64 exec, exec, s[44:45]
	v_cmp_gt_i64_e32 vcc, s[26:27], v[34:35]
	s_orn2_b64 s[42:43], vcc, exec
.LBB1461_309:
	s_or_b64 exec, exec, s[38:39]
.LBB1461_310:
	s_and_b64 s[38:39], s[42:43], exec
.LBB1461_311:
	s_or_b64 exec, exec, s[40:41]
	v_cmp_gt_u32_e32 vcc, s3, v41
	s_and_saveexec_b64 s[40:41], vcc
	s_cbranch_execz .LBB1461_322
; %bb.312:
	s_andn2_b64 vcc, exec, s[6:7]
	s_mov_b64 s[42:43], 0
	s_cbranch_vccnz .LBB1461_321
; %bb.313:
	v_mul_lo_u32 v32, v23, s26
	v_mul_lo_u32 v33, v22, s27
	v_mad_u64_u32 v[30:31], s[36:37], v22, s26, 0
	v_add3_u32 v31, v31, v33, v32
	v_mul_lo_u32 v32, v25, s26
	v_mul_lo_u32 v33, v24, s27
	v_mad_u64_u32 v[34:35], s[36:37], v24, s26, 0
	v_add3_u32 v35, v35, v33, v32
	v_lshl_add_u64 v[32:33], v[30:31], 1, s[28:29]
	v_lshl_add_u64 v[30:31], v[34:35], 1, s[28:29]
	global_load_ushort v34, v[32:33], off
	global_load_ushort v35, v[30:31], off
	s_mov_b64 s[42:43], -1
	s_waitcnt vmcnt(0)
	v_cmp_eq_u16_e32 vcc, v34, v35
	s_and_saveexec_b64 s[36:37], vcc
	s_cbranch_execz .LBB1461_320
; %bb.314:
	s_add_u32 s42, s26, -1
	v_lshl_add_u64 v[30:31], v[30:31], 0, 2
	v_lshl_add_u64 v[32:33], v[32:33], 0, 2
	s_addc_u32 s43, s27, -1
	s_mov_b64 s[44:45], 0
	s_mov_b64 s[48:49], 0
                                        ; implicit-def: $sgpr46_sgpr47
	s_branch .LBB1461_317
.LBB1461_315:                           ;   in Loop: Header=BB1461_317 Depth=1
	global_load_ushort v34, v[32:33], off
	global_load_ushort v35, v[30:31], off
	s_add_u32 s48, s48, 1
	s_addc_u32 s49, s49, 0
	s_andn2_b64 s[46:47], s[46:47], exec
	v_lshl_add_u64 v[30:31], v[30:31], 0, 2
	v_lshl_add_u64 v[32:33], v[32:33], 0, 2
	s_waitcnt vmcnt(0)
	v_cmp_ne_u16_e32 vcc, v34, v35
	s_and_b64 s[50:51], vcc, exec
	s_or_b64 s[46:47], s[46:47], s[50:51]
.LBB1461_316:                           ;   in Loop: Header=BB1461_317 Depth=1
	s_and_b64 s[50:51], exec, s[46:47]
	s_or_b64 s[44:45], s[50:51], s[44:45]
	v_mov_b64_e32 v[34:35], s[48:49]
	s_andn2_b64 exec, exec, s[44:45]
	s_cbranch_execz .LBB1461_319
.LBB1461_317:                           ; =>This Inner Loop Header: Depth=1
	s_or_b64 s[46:47], s[46:47], exec
	s_cmp_eq_u64 s[42:43], s[48:49]
	s_cbranch_scc0 .LBB1461_315
; %bb.318:                              ;   in Loop: Header=BB1461_317 Depth=1
                                        ; implicit-def: $vgpr30_vgpr31
                                        ; implicit-def: $vgpr32_vgpr33
	s_mov_b64 s[48:49], s[26:27]
	s_branch .LBB1461_316
.LBB1461_319:
	s_or_b64 exec, exec, s[44:45]
	v_cmp_gt_i64_e32 vcc, s[26:27], v[34:35]
	s_orn2_b64 s[42:43], vcc, exec
.LBB1461_320:
	s_or_b64 exec, exec, s[36:37]
.LBB1461_321:
	s_and_b64 s[36:37], s[42:43], exec
.LBB1461_322:
	s_or_b64 exec, exec, s[40:41]
	v_cndmask_b32_e64 v31, 0, 1, s[18:19]
	v_cndmask_b32_e64 v30, 0, 1, s[38:39]
	;; [unrolled: 1-line block ×3, first 2 shown]
	v_lshlrev_b16_e32 v31, 8, v31
	v_cndmask_b32_e64 v46, 0, 1, s[14:15]
	v_cndmask_b32_e64 v32, 0, 1, s[36:37]
	v_or_b32_sdwa v30, v30, v31 dst_sel:WORD_1 dst_unused:UNUSED_PAD src0_sel:DWORD src1_sel:DWORD
	v_lshlrev_b16_e32 v31, 8, v47
	v_lshlrev_b16_e32 v32, 8, v32
	v_or_b32_e32 v31, v46, v31
	v_or_b32_e32 v32, 1, v32
	v_and_b32_e32 v31, 0xffff, v31
	v_cndmask_b32_e64 v48, 0, 1, s[4:5]
	v_or_b32_sdwa v30, v32, v30 dst_sel:DWORD dst_unused:UNUSED_PAD src0_sel:WORD_0 src1_sel:DWORD
	v_lshl_or_b32 v31, v48, 16, v31
	v_cmp_ne_u32_e32 vcc, 0, v0
	s_waitcnt lgkmcnt(0)
	s_barrier
	s_waitcnt lgkmcnt(0)
                                        ; implicit-def: $sgpr18_sgpr19
                                        ; implicit-def: $vgpr34
	s_and_saveexec_b64 s[4:5], vcc
	s_cbranch_execz .LBB1461_335
; %bb.323:
	v_cmp_gt_u32_e32 vcc, s3, v1
	s_mov_b32 s33, 0x3020104
	s_mov_b64 s[14:15], 0
	s_and_saveexec_b64 s[12:13], vcc
	s_cbranch_execz .LBB1461_334
; %bb.324:
	s_andn2_b64 vcc, exec, s[6:7]
	s_cbranch_vccnz .LBB1461_333
; %bb.325:
	v_add_u32_e32 v31, -8, v44
	ds_read_b64 v[32:33], v31
	v_mul_lo_u32 v31, v23, s26
	v_mad_u64_u32 v[36:37], s[6:7], v22, s26, 0
	s_mov_b64 s[14:15], -1
	s_waitcnt lgkmcnt(0)
	v_mul_lo_u32 v34, v33, s26
	v_mul_lo_u32 v35, v32, s27
	v_mad_u64_u32 v[32:33], s[6:7], v32, s26, 0
	v_add3_u32 v33, v33, v35, v34
	v_mul_lo_u32 v34, v22, s27
	v_add3_u32 v37, v37, v34, v31
	v_lshl_add_u64 v[34:35], v[32:33], 1, s[28:29]
	v_lshl_add_u64 v[32:33], v[36:37], 1, s[28:29]
	global_load_ushort v31, v[34:35], off
	global_load_ushort v36, v[32:33], off
	s_waitcnt vmcnt(0)
	v_cmp_eq_u16_e32 vcc, v31, v36
	s_and_saveexec_b64 s[6:7], vcc
	s_cbranch_execz .LBB1461_332
; %bb.326:
	s_add_u32 s14, s26, -1
	v_lshl_add_u64 v[32:33], v[32:33], 0, 2
	v_lshl_add_u64 v[34:35], v[34:35], 0, 2
	s_addc_u32 s15, s27, -1
	s_mov_b64 s[18:19], 0
	s_mov_b64 s[36:37], 0
                                        ; implicit-def: $sgpr28_sgpr29
	s_branch .LBB1461_329
.LBB1461_327:                           ;   in Loop: Header=BB1461_329 Depth=1
	global_load_ushort v31, v[34:35], off
	global_load_ushort v36, v[32:33], off
	s_add_u32 s36, s36, 1
	s_addc_u32 s37, s37, 0
	s_andn2_b64 s[28:29], s[28:29], exec
	v_lshl_add_u64 v[32:33], v[32:33], 0, 2
	v_lshl_add_u64 v[34:35], v[34:35], 0, 2
	s_waitcnt vmcnt(0)
	v_cmp_ne_u16_e32 vcc, v31, v36
	s_and_b64 s[38:39], vcc, exec
	s_or_b64 s[28:29], s[28:29], s[38:39]
.LBB1461_328:                           ;   in Loop: Header=BB1461_329 Depth=1
	s_and_b64 s[38:39], exec, s[28:29]
	s_or_b64 s[18:19], s[38:39], s[18:19]
	v_mov_b64_e32 v[36:37], s[36:37]
	s_andn2_b64 exec, exec, s[18:19]
	s_cbranch_execz .LBB1461_331
.LBB1461_329:                           ; =>This Inner Loop Header: Depth=1
	s_or_b64 s[28:29], s[28:29], exec
	s_cmp_eq_u64 s[14:15], s[36:37]
	s_cbranch_scc0 .LBB1461_327
; %bb.330:                              ;   in Loop: Header=BB1461_329 Depth=1
                                        ; implicit-def: $vgpr32_vgpr33
                                        ; implicit-def: $vgpr34_vgpr35
	s_mov_b64 s[36:37], s[26:27]
	s_branch .LBB1461_328
.LBB1461_331:
	s_or_b64 exec, exec, s[18:19]
	v_cmp_gt_i64_e32 vcc, s[26:27], v[36:37]
	s_orn2_b64 s[14:15], vcc, exec
.LBB1461_332:
	s_or_b64 exec, exec, s[6:7]
.LBB1461_333:
	s_and_b64 s[14:15], s[14:15], exec
.LBB1461_334:
	s_or_b64 exec, exec, s[12:13]
	v_perm_b32 v34, v30, v30, s33
	s_and_b64 s[18:19], s[14:15], exec
	s_or_b64 s[10:11], s[10:11], exec
                                        ; implicit-def: $vgpr30_vgpr31
.LBB1461_335:
	s_or_b64 exec, exec, s[4:5]
.LBB1461_336:
	s_and_saveexec_b64 s[4:5], s[10:11]
	s_cbranch_execz .LBB1461_338
; %bb.337:
	s_waitcnt lgkmcnt(0)
	v_lshlrev_b16_e32 v31, 8, v47
	v_and_b32_e32 v32, 0xff, v48
	v_or_b32_sdwa v31, v46, v31 dst_sel:DWORD dst_unused:UNUSED_PAD src0_sel:BYTE_0 src1_sel:DWORD
	v_lshlrev_b32_e32 v32, 16, v32
	s_movk_i32 s6, 0xff
	v_or_b32_sdwa v31, v31, v32 dst_sel:DWORD dst_unused:UNUSED_PAD src0_sel:WORD_0 src1_sel:DWORD
	v_lshrrev_b32_e32 v32, 24, v34
	v_lshlrev_b16_e32 v32, 8, v32
	v_and_b32_sdwa v33, v34, s6 dst_sel:DWORD dst_unused:UNUSED_PAD src0_sel:WORD_1 src1_sel:DWORD
	v_or_b32_sdwa v32, v33, v32 dst_sel:WORD_1 dst_unused:UNUSED_PAD src0_sel:DWORD src1_sel:DWORD
	v_mov_b32_e32 v33, 8
	v_cndmask_b32_e64 v30, 0, 1, s[18:19]
	v_lshrrev_b32_sdwa v33, v33, v34 dst_sel:BYTE_1 dst_unused:UNUSED_PAD src0_sel:DWORD src1_sel:DWORD
	s_nop 0
	v_or_b32_e32 v30, v30, v33
	v_or_b32_sdwa v30, v30, v32 dst_sel:DWORD dst_unused:UNUSED_PAD src0_sel:WORD_0 src1_sel:DWORD
.LBB1461_338:
	s_or_b64 exec, exec, s[4:5]
	s_andn2_b64 vcc, exec, s[8:9]
	s_cbranch_vccnz .LBB1461_340
; %bb.339:
	s_waitcnt lgkmcnt(0)
	v_and_b32_e32 v32, 0xffff0000, v30
	v_cmp_gt_u32_e32 vcc, s3, v1
	s_mov_b32 s4, 0x40c0100
	s_nop 0
	v_cndmask_b32_e32 v1, v32, v30, vcc
	v_and_b32_e32 v1, 0xffff00ff, v1
	v_cmp_gt_u32_e32 vcc, s3, v41
	s_nop 1
	v_cndmask_b32_e32 v1, v1, v30, vcc
	v_lshrrev_b32_e32 v32, 24, v1
	v_perm_b32 v1, v32, v1, s4
	v_cmp_gt_u32_e32 vcc, s3, v38
	v_and_b32_e32 v32, 0xffffff00, v31
	s_nop 0
	v_cndmask_b32_e32 v1, v1, v30, vcc
	v_and_b32_e32 v1, 0xffffff, v1
	v_cmp_gt_u32_e32 vcc, s3, v42
	s_nop 1
	v_cndmask_b32_e32 v1, v1, v30, vcc
	v_cmp_gt_u32_e32 vcc, s3, v39
	s_nop 1
	v_cndmask_b32_e32 v32, v32, v31, vcc
	v_and_b32_e32 v32, 0xffff00ff, v32
	v_cndmask_b32_e32 v1, v1, v30, vcc
	v_cmp_gt_u32_e32 vcc, s3, v43
	s_nop 1
	v_cndmask_b32_e32 v32, v32, v31, vcc
	v_lshrrev_b32_e32 v33, 24, v32
	v_cndmask_b32_e32 v1, v1, v30, vcc
	v_perm_b32 v32, v33, v32, s4
	v_cmp_gt_u32_e32 vcc, s3, v40
	s_mov_b32 s3, 0x3020104
	s_nop 0
	v_cndmask_b32_e32 v1, v1, v30, vcc
	v_cndmask_b32_e32 v30, v32, v31, vcc
	v_mov_b32_e32 v31, 8
	v_lshrrev_b32_sdwa v31, v31, v30 dst_sel:BYTE_1 dst_unused:UNUSED_PAD src0_sel:DWORD src1_sel:DWORD
	s_nop 0
	v_or_b32_sdwa v31, v30, v31 dst_sel:DWORD dst_unused:UNUSED_PAD src0_sel:BYTE_0 src1_sel:DWORD
	v_and_b32_e32 v31, 0xffff, v31
	v_bfe_u32 v30, v30, 16, 8
	v_lshl_or_b32 v31, v30, 16, v31
	v_perm_b32 v30, v1, v1, s3
.LBB1461_340:
	s_waitcnt lgkmcnt(0)
	v_and_b32_e32 v1, 0xff, v30
	v_bfe_u32 v43, v30, 8, 8
	v_bfe_u32 v45, v30, 16, 8
	v_alignbit_b32 v32, v31, v30, 24
	v_and_b32_e32 v47, 0xff, v32
	v_and_b32_e32 v48, 0xff, v31
	v_add3_u32 v33, v43, v1, v45
	v_bfe_u32 v49, v31, 8, 8
	v_bfe_u32 v32, v31, 16, 8
	v_add3_u32 v33, v33, v47, v48
	v_add3_u32 v52, v33, v49, v32
	v_mbcnt_lo_u32_b32 v32, -1, 0
	v_mbcnt_hi_u32_b32 v50, -1, v32
	v_and_b32_e32 v32, 15, v50
	v_cmp_eq_u32_e64 s[14:15], 0, v32
	v_cmp_lt_u32_e64 s[12:13], 1, v32
	v_cmp_lt_u32_e64 s[10:11], 3, v32
	v_cmp_lt_u32_e64 s[8:9], 7, v32
	v_and_b32_e32 v32, 16, v50
	v_cmp_eq_u32_e64 s[6:7], 0, v32
	v_or_b32_e32 v32, 63, v0
	v_cmp_lt_u32_e64 s[18:19], 31, v50
	v_lshrrev_b32_e32 v51, 6, v0
	v_cmp_eq_u32_e64 s[4:5], v32, v0
	s_and_b64 vcc, exec, s[16:17]
	s_barrier
	s_cbranch_vccz .LBB1461_367
; %bb.341:
	v_mov_b32_dpp v32, v52 row_shr:1 row_mask:0xf bank_mask:0xf
	v_cndmask_b32_e64 v32, v32, 0, s[14:15]
	v_add_u32_e32 v32, v32, v52
	s_nop 1
	v_mov_b32_dpp v33, v32 row_shr:2 row_mask:0xf bank_mask:0xf
	v_cndmask_b32_e64 v33, 0, v33, s[12:13]
	v_add_u32_e32 v32, v32, v33
	s_nop 1
	;; [unrolled: 4-line block ×4, first 2 shown]
	v_mov_b32_dpp v33, v32 row_bcast:15 row_mask:0xf bank_mask:0xf
	v_cndmask_b32_e64 v33, v33, 0, s[6:7]
	v_add_u32_e32 v32, v32, v33
	s_nop 1
	v_mov_b32_dpp v33, v32 row_bcast:31 row_mask:0xf bank_mask:0xf
	v_cndmask_b32_e64 v33, 0, v33, s[18:19]
	v_add_u32_e32 v32, v32, v33
	s_and_saveexec_b64 s[16:17], s[4:5]
	s_cbranch_execz .LBB1461_343
; %bb.342:
	v_lshlrev_b32_e32 v33, 2, v51
	ds_write_b32 v33, v32
.LBB1461_343:
	s_or_b64 exec, exec, s[16:17]
	v_cmp_gt_u32_e32 vcc, 8, v0
	s_waitcnt lgkmcnt(0)
	s_barrier
	s_and_saveexec_b64 s[16:17], vcc
	s_cbranch_execz .LBB1461_345
; %bb.344:
	v_lshlrev_b32_e32 v33, 2, v0
	ds_read_b32 v34, v33
	v_and_b32_e32 v35, 7, v50
	v_cmp_ne_u32_e32 vcc, 0, v35
	s_waitcnt lgkmcnt(0)
	v_mov_b32_dpp v36, v34 row_shr:1 row_mask:0xf bank_mask:0xf
	v_cndmask_b32_e32 v36, 0, v36, vcc
	v_add_u32_e32 v34, v36, v34
	v_cmp_lt_u32_e32 vcc, 1, v35
	s_nop 0
	v_mov_b32_dpp v36, v34 row_shr:2 row_mask:0xf bank_mask:0xf
	v_cndmask_b32_e32 v36, 0, v36, vcc
	v_add_u32_e32 v34, v34, v36
	v_cmp_lt_u32_e32 vcc, 3, v35
	s_nop 0
	v_mov_b32_dpp v36, v34 row_shr:4 row_mask:0xf bank_mask:0xf
	v_cndmask_b32_e32 v35, 0, v36, vcc
	v_add_u32_e32 v34, v34, v35
	ds_write_b32 v33, v34
.LBB1461_345:
	s_or_b64 exec, exec, s[16:17]
	v_cmp_gt_u32_e32 vcc, 64, v0
	v_cmp_lt_u32_e64 s[16:17], 63, v0
	s_waitcnt lgkmcnt(0)
	s_barrier
	s_waitcnt lgkmcnt(0)
                                        ; implicit-def: $vgpr42
	s_and_saveexec_b64 s[26:27], s[16:17]
	s_cbranch_execz .LBB1461_347
; %bb.346:
	v_lshl_add_u32 v33, v51, 2, -4
	ds_read_b32 v42, v33
	s_waitcnt lgkmcnt(0)
	v_add_u32_e32 v32, v42, v32
.LBB1461_347:
	s_or_b64 exec, exec, s[26:27]
	v_add_u32_e32 v33, -1, v50
	v_and_b32_e32 v34, 64, v50
	v_cmp_lt_i32_e64 s[16:17], v33, v34
	s_nop 1
	v_cndmask_b32_e64 v33, v33, v50, s[16:17]
	v_lshlrev_b32_e32 v33, 2, v33
	ds_bpermute_b32 v44, v33, v32
	v_cmp_eq_u32_e64 s[16:17], 0, v50
	s_and_saveexec_b64 s[26:27], vcc
	s_cbranch_execz .LBB1461_366
; %bb.348:
	v_mov_b32_e32 v39, 0
	ds_read_b32 v32, v39 offset:28
	s_and_saveexec_b64 s[28:29], s[16:17]
	s_cbranch_execz .LBB1461_350
; %bb.349:
	s_add_i32 s36, s2, 64
	s_mov_b32 s37, 0
	s_lshl_b64 s[36:37], s[36:37], 3
	s_add_u32 s36, s30, s36
	v_mov_b32_e32 v33, 1
	s_addc_u32 s37, s31, s37
	s_waitcnt lgkmcnt(0)
	global_store_dwordx2 v39, v[32:33], s[36:37] sc1
.LBB1461_350:
	s_or_b64 exec, exec, s[28:29]
	v_xad_u32 v34, v50, -1, s2
	v_add_u32_e32 v38, 64, v34
	v_lshl_add_u64 v[40:41], v[38:39], 3, s[30:31]
	global_load_dwordx2 v[36:37], v[40:41], off sc1
	s_waitcnt vmcnt(0)
	v_cmp_eq_u16_sdwa s[36:37], v37, v39 src0_sel:BYTE_0 src1_sel:DWORD
	s_and_saveexec_b64 s[28:29], s[36:37]
	s_cbranch_execz .LBB1461_354
; %bb.351:
	s_mov_b64 s[36:37], 0
	v_mov_b32_e32 v33, 0
.LBB1461_352:                           ; =>This Inner Loop Header: Depth=1
	global_load_dwordx2 v[36:37], v[40:41], off sc1
	s_waitcnt vmcnt(0)
	v_cmp_ne_u16_sdwa s[38:39], v37, v33 src0_sel:BYTE_0 src1_sel:DWORD
	s_or_b64 s[36:37], s[38:39], s[36:37]
	s_andn2_b64 exec, exec, s[36:37]
	s_cbranch_execnz .LBB1461_352
; %bb.353:
	s_or_b64 exec, exec, s[36:37]
.LBB1461_354:
	s_or_b64 exec, exec, s[28:29]
	v_and_b32_e32 v46, 63, v50
	v_mov_b32_e32 v33, 2
	v_cmp_ne_u32_e32 vcc, 63, v46
	v_cmp_eq_u16_sdwa s[28:29], v37, v33 src0_sel:BYTE_0 src1_sel:DWORD
	v_lshlrev_b64 v[38:39], v50, -1
	v_addc_co_u32_e32 v41, vcc, 0, v50, vcc
	v_and_b32_e32 v35, s29, v39
	v_lshlrev_b32_e32 v53, 2, v41
	v_or_b32_e32 v35, 0x80000000, v35
	ds_bpermute_b32 v41, v53, v36
	v_and_b32_e32 v40, s28, v38
	v_ffbl_b32_e32 v35, v35
	v_add_u32_e32 v35, 32, v35
	v_ffbl_b32_e32 v40, v40
	v_min_u32_e32 v35, v40, v35
	v_cmp_lt_u32_e32 vcc, v46, v35
	v_add_u32_e32 v55, 2, v46
	v_add_u32_e32 v57, 4, v46
	s_waitcnt lgkmcnt(0)
	v_cndmask_b32_e32 v40, 0, v41, vcc
	v_cmp_gt_u32_e32 vcc, 62, v46
	v_add_u32_e32 v36, v40, v36
	v_add_u32_e32 v59, 8, v46
	v_cndmask_b32_e64 v40, 0, 1, vcc
	v_lshlrev_b32_e32 v40, 1, v40
	v_add_lshl_u32 v54, v40, v50, 2
	ds_bpermute_b32 v40, v54, v36
	v_cmp_le_u32_e32 vcc, v55, v35
	v_add_u32_e32 v62, 16, v46
	v_add_u32_e32 v64, 32, v46
	s_waitcnt lgkmcnt(0)
	v_cndmask_b32_e32 v40, 0, v40, vcc
	v_cmp_gt_u32_e32 vcc, 60, v46
	v_add_u32_e32 v36, v36, v40
	s_nop 0
	v_cndmask_b32_e64 v40, 0, 1, vcc
	v_lshlrev_b32_e32 v40, 2, v40
	v_add_lshl_u32 v56, v40, v50, 2
	ds_bpermute_b32 v40, v56, v36
	v_cmp_le_u32_e32 vcc, v57, v35
	s_waitcnt lgkmcnt(0)
	s_nop 0
	v_cndmask_b32_e32 v40, 0, v40, vcc
	v_cmp_gt_u32_e32 vcc, 56, v46
	v_add_u32_e32 v36, v36, v40
	s_nop 0
	v_cndmask_b32_e64 v40, 0, 1, vcc
	v_lshlrev_b32_e32 v40, 3, v40
	v_add_lshl_u32 v58, v40, v50, 2
	ds_bpermute_b32 v40, v58, v36
	v_cmp_le_u32_e32 vcc, v59, v35
	s_waitcnt lgkmcnt(0)
	s_nop 0
	;; [unrolled: 11-line block ×4, first 2 shown]
	v_cndmask_b32_e32 v35, 0, v40, vcc
	v_add_u32_e32 v36, v36, v35
	v_mov_b32_e32 v35, 0
	s_branch .LBB1461_356
.LBB1461_355:                           ;   in Loop: Header=BB1461_356 Depth=1
	s_or_b64 exec, exec, s[28:29]
	v_cmp_eq_u16_sdwa s[28:29], v37, v33 src0_sel:BYTE_0 src1_sel:DWORD
	ds_bpermute_b32 v65, v53, v36
	v_subrev_u32_e32 v34, 64, v34
	v_and_b32_e32 v40, s29, v39
	v_or_b32_e32 v40, 0x80000000, v40
	v_and_b32_e32 v41, s28, v38
	v_ffbl_b32_e32 v40, v40
	v_add_u32_e32 v40, 32, v40
	v_ffbl_b32_e32 v41, v41
	v_min_u32_e32 v40, v41, v40
	v_cmp_lt_u32_e32 vcc, v46, v40
	s_waitcnt lgkmcnt(0)
	s_nop 0
	v_cndmask_b32_e32 v41, 0, v65, vcc
	v_add_u32_e32 v36, v41, v36
	ds_bpermute_b32 v41, v54, v36
	v_cmp_le_u32_e32 vcc, v55, v40
	s_waitcnt lgkmcnt(0)
	s_nop 0
	v_cndmask_b32_e32 v41, 0, v41, vcc
	v_add_u32_e32 v36, v36, v41
	ds_bpermute_b32 v41, v56, v36
	v_cmp_le_u32_e32 vcc, v57, v40
	;; [unrolled: 6-line block ×5, first 2 shown]
	s_waitcnt lgkmcnt(0)
	s_nop 0
	v_cndmask_b32_e32 v40, 0, v41, vcc
	v_add3_u32 v36, v40, v60, v36
.LBB1461_356:                           ; =>This Loop Header: Depth=1
                                        ;     Child Loop BB1461_359 Depth 2
	v_cmp_ne_u16_sdwa s[28:29], v37, v33 src0_sel:BYTE_0 src1_sel:DWORD
	v_mov_b32_e32 v60, v36
	s_nop 0
	v_cndmask_b32_e64 v37, 0, 1, s[28:29]
	;;#ASMSTART
	;;#ASMEND
	s_nop 0
	v_cmp_ne_u32_e32 vcc, 0, v37
	s_cmp_lg_u64 vcc, exec
	s_cbranch_scc1 .LBB1461_361
; %bb.357:                              ;   in Loop: Header=BB1461_356 Depth=1
	v_lshl_add_u64 v[40:41], v[34:35], 3, s[30:31]
	global_load_dwordx2 v[36:37], v[40:41], off sc1
	s_waitcnt vmcnt(0)
	v_cmp_eq_u16_sdwa s[36:37], v37, v35 src0_sel:BYTE_0 src1_sel:DWORD
	s_and_saveexec_b64 s[28:29], s[36:37]
	s_cbranch_execz .LBB1461_355
; %bb.358:                              ;   in Loop: Header=BB1461_356 Depth=1
	s_mov_b64 s[36:37], 0
.LBB1461_359:                           ;   Parent Loop BB1461_356 Depth=1
                                        ; =>  This Inner Loop Header: Depth=2
	global_load_dwordx2 v[36:37], v[40:41], off sc1
	s_waitcnt vmcnt(0)
	v_cmp_ne_u16_sdwa s[38:39], v37, v35 src0_sel:BYTE_0 src1_sel:DWORD
	s_or_b64 s[36:37], s[38:39], s[36:37]
	s_andn2_b64 exec, exec, s[36:37]
	s_cbranch_execnz .LBB1461_359
; %bb.360:                              ;   in Loop: Header=BB1461_356 Depth=1
	s_or_b64 exec, exec, s[36:37]
	s_branch .LBB1461_355
.LBB1461_361:                           ;   in Loop: Header=BB1461_356 Depth=1
                                        ; implicit-def: $vgpr36
                                        ; implicit-def: $vgpr37
	s_cbranch_execz .LBB1461_356
; %bb.362:
	s_and_saveexec_b64 s[28:29], s[16:17]
	s_cbranch_execz .LBB1461_364
; %bb.363:
	s_add_i32 s2, s2, 64
	s_mov_b32 s3, 0
	s_lshl_b64 s[2:3], s[2:3], 3
	s_add_u32 s2, s30, s2
	v_add_u32_e32 v34, v60, v32
	v_mov_b32_e32 v35, 2
	s_addc_u32 s3, s31, s3
	v_mov_b32_e32 v33, 0
	global_store_dwordx2 v33, v[34:35], s[2:3] sc1
	s_movk_i32 s2, 0x7000
	v_add_u32_e64 v33, s2, 0
	ds_write2_b32 v33, v32, v60 offset1:2
.LBB1461_364:
	s_or_b64 exec, exec, s[28:29]
	v_cmp_eq_u32_e32 vcc, 0, v0
	s_and_b64 exec, exec, vcc
	s_cbranch_execz .LBB1461_366
; %bb.365:
	v_mov_b32_e32 v32, 0
	ds_write_b32 v32, v60 offset:28
.LBB1461_366:
	s_or_b64 exec, exec, s[26:27]
	v_mov_b32_e32 v32, 0
	s_waitcnt lgkmcnt(0)
	s_barrier
	ds_read_b32 v32, v32 offset:28
	v_cndmask_b32_e64 v33, v44, v42, s[16:17]
	v_cmp_ne_u32_e32 vcc, 0, v0
	s_movk_i32 s2, 0x7000
	s_waitcnt lgkmcnt(0)
	v_cndmask_b32_e32 v33, 0, v33, vcc
	v_add_u32_e32 v46, v32, v33
	v_add_u32_e64 v32, s2, 0
	v_add_u32_e32 v44, v46, v1
	s_barrier
	ds_read2_b32 v[32:33], v32 offset1:2
	v_add_u32_e32 v42, v44, v43
	v_add_u32_e32 v40, v42, v45
	;; [unrolled: 1-line block ×5, first 2 shown]
	s_waitcnt lgkmcnt(0)
	v_readfirstlane_b32 s26, v32
	v_readfirstlane_b32 s16, v33
	v_lshrrev_b64 v[32:33], 24, v[30:31]
	s_branch .LBB1461_377
.LBB1461_367:
                                        ; implicit-def: $vgpr34
                                        ; implicit-def: $vgpr36
                                        ; implicit-def: $vgpr38
                                        ; implicit-def: $vgpr40
                                        ; implicit-def: $vgpr42
                                        ; implicit-def: $vgpr44
                                        ; implicit-def: $vgpr46
                                        ; implicit-def: $sgpr16
                                        ; implicit-def: $sgpr26
	v_lshrrev_b64 v[32:33], 24, v[30:31]
	s_cbranch_execz .LBB1461_377
; %bb.368:
	s_nop 0
	v_mov_b32_dpp v33, v52 row_shr:1 row_mask:0xf bank_mask:0xf
	v_cndmask_b32_e64 v33, v33, 0, s[14:15]
	v_add_u32_e32 v33, v33, v52
	s_nop 1
	v_mov_b32_dpp v34, v33 row_shr:2 row_mask:0xf bank_mask:0xf
	v_cndmask_b32_e64 v34, 0, v34, s[12:13]
	v_add_u32_e32 v33, v33, v34
	s_nop 1
	v_mov_b32_dpp v34, v33 row_shr:4 row_mask:0xf bank_mask:0xf
	v_cndmask_b32_e64 v34, 0, v34, s[10:11]
	v_add_u32_e32 v33, v33, v34
	s_nop 1
	v_mov_b32_dpp v34, v33 row_shr:8 row_mask:0xf bank_mask:0xf
	v_cndmask_b32_e64 v34, 0, v34, s[8:9]
	v_add_u32_e32 v33, v33, v34
	s_nop 1
	v_mov_b32_dpp v34, v33 row_bcast:15 row_mask:0xf bank_mask:0xf
	v_cndmask_b32_e64 v34, v34, 0, s[6:7]
	v_add_u32_e32 v33, v33, v34
	s_nop 1
	v_mov_b32_dpp v34, v33 row_bcast:31 row_mask:0xf bank_mask:0xf
	v_cndmask_b32_e64 v34, 0, v34, s[18:19]
	v_add_u32_e32 v33, v33, v34
	s_and_saveexec_b64 s[2:3], s[4:5]
	s_cbranch_execz .LBB1461_370
; %bb.369:
	v_lshlrev_b32_e32 v34, 2, v51
	ds_write_b32 v34, v33
.LBB1461_370:
	s_or_b64 exec, exec, s[2:3]
	v_cmp_gt_u32_e32 vcc, 8, v0
	s_waitcnt lgkmcnt(0)
	s_barrier
	s_and_saveexec_b64 s[2:3], vcc
	s_cbranch_execz .LBB1461_372
; %bb.371:
	v_lshlrev_b32_e32 v34, 2, v0
	ds_read_b32 v35, v34
	v_and_b32_e32 v36, 7, v50
	v_cmp_ne_u32_e32 vcc, 0, v36
	s_waitcnt lgkmcnt(0)
	v_mov_b32_dpp v37, v35 row_shr:1 row_mask:0xf bank_mask:0xf
	v_cndmask_b32_e32 v37, 0, v37, vcc
	v_add_u32_e32 v35, v37, v35
	v_cmp_lt_u32_e32 vcc, 1, v36
	s_nop 0
	v_mov_b32_dpp v37, v35 row_shr:2 row_mask:0xf bank_mask:0xf
	v_cndmask_b32_e32 v37, 0, v37, vcc
	v_add_u32_e32 v35, v35, v37
	v_cmp_lt_u32_e32 vcc, 3, v36
	s_nop 0
	v_mov_b32_dpp v37, v35 row_shr:4 row_mask:0xf bank_mask:0xf
	v_cndmask_b32_e32 v36, 0, v37, vcc
	v_add_u32_e32 v35, v35, v36
	ds_write_b32 v34, v35
.LBB1461_372:
	s_or_b64 exec, exec, s[2:3]
	v_cmp_lt_u32_e32 vcc, 63, v0
	v_mov_b32_e32 v35, 0
	v_mov_b32_e32 v34, 0
	s_waitcnt lgkmcnt(0)
	s_barrier
	s_and_saveexec_b64 s[2:3], vcc
	s_cbranch_execz .LBB1461_374
; %bb.373:
	v_lshl_add_u32 v34, v51, 2, -4
	ds_read_b32 v34, v34
.LBB1461_374:
	s_or_b64 exec, exec, s[2:3]
	v_add_u32_e32 v36, -1, v50
	v_and_b32_e32 v37, 64, v50
	v_cmp_lt_i32_e32 vcc, v36, v37
	s_waitcnt lgkmcnt(0)
	v_add_u32_e32 v33, v34, v33
	ds_read_b32 v35, v35 offset:28
	v_cndmask_b32_e32 v36, v36, v50, vcc
	v_lshlrev_b32_e32 v36, 2, v36
	ds_bpermute_b32 v33, v36, v33
	s_mov_b32 s16, 0
	v_cmp_eq_u32_e32 vcc, 0, v0
	s_waitcnt lgkmcnt(1)
	v_readfirstlane_b32 s26, v35
	s_and_saveexec_b64 s[2:3], vcc
	s_cbranch_execz .LBB1461_376
; %bb.375:
	v_mov_b32_e32 v35, 0
	v_mov_b32_e32 v36, s26
	;; [unrolled: 1-line block ×3, first 2 shown]
	global_store_dwordx2 v35, v[36:37], s[30:31] offset:512 sc1
.LBB1461_376:
	s_or_b64 exec, exec, s[2:3]
	v_cmp_eq_u32_e64 s[2:3], 0, v50
	s_waitcnt lgkmcnt(0)
	s_barrier
	v_cndmask_b32_e64 v33, v33, v34, s[2:3]
	v_cndmask_b32_e64 v46, v33, 0, vcc
	v_add_u32_e32 v44, v46, v1
	v_add_u32_e32 v42, v44, v43
	;; [unrolled: 1-line block ×6, first 2 shown]
.LBB1461_377:
	s_load_dwordx4 s[4:7], s[0:1], 0x28
	s_cmpk_lt_u32 s26, 0x201
	s_cselect_b64 s[2:3], -1, 0
	v_lshrrev_b32_e32 v33, 8, v30
	v_lshrrev_b32_e32 v1, 8, v31
	s_mov_b64 s[0:1], -1
	s_and_b64 vcc, exec, s[2:3]
	s_cbranch_vccz .LBB1461_400
; %bb.378:
	s_add_i32 s8, s16, s26
	v_cmp_gt_u32_e32 vcc, s8, v46
	s_or_b64 s[10:11], s[34:35], vcc
	s_and_saveexec_b64 s[0:1], s[10:11]
	s_cbranch_execz .LBB1461_381
; %bb.379:
	v_and_b32_e32 v35, 1, v30
	v_cmp_eq_u32_e32 vcc, 1, v35
	s_and_b64 exec, exec, vcc
	s_cbranch_execz .LBB1461_381
; %bb.380:
	s_lshl_b64 s[10:11], s[22:23], 3
	s_waitcnt lgkmcnt(0)
	s_add_u32 s10, s4, s10
	s_addc_u32 s11, s5, s11
	v_mov_b32_e32 v47, 0
	v_lshl_add_u64 v[48:49], v[46:47], 3, s[10:11]
	global_store_dwordx2 v[48:49], v[22:23], off
.LBB1461_381:
	s_or_b64 exec, exec, s[0:1]
	v_cmp_gt_u32_e32 vcc, s8, v44
	s_or_b64 s[10:11], s[34:35], vcc
	s_and_saveexec_b64 s[0:1], s[10:11]
	s_cbranch_execz .LBB1461_384
; %bb.382:
	v_and_b32_e32 v35, 1, v33
	v_cmp_eq_u32_e32 vcc, 1, v35
	s_and_b64 exec, exec, vcc
	s_cbranch_execz .LBB1461_384
; %bb.383:
	s_lshl_b64 s[10:11], s[22:23], 3
	s_waitcnt lgkmcnt(0)
	s_add_u32 s10, s4, s10
	s_addc_u32 s11, s5, s11
	v_mov_b32_e32 v45, 0
	v_lshl_add_u64 v[48:49], v[44:45], 3, s[10:11]
	global_store_dwordx2 v[48:49], v[24:25], off
.LBB1461_384:
	s_or_b64 exec, exec, s[0:1]
	v_cmp_gt_u32_e32 vcc, s8, v42
	s_or_b64 s[10:11], s[34:35], vcc
	s_and_saveexec_b64 s[0:1], s[10:11]
	s_cbranch_execz .LBB1461_387
; %bb.385:
	v_mov_b32_e32 v35, 1
	v_and_b32_sdwa v35, v35, v30 dst_sel:DWORD dst_unused:UNUSED_PAD src0_sel:DWORD src1_sel:WORD_1
	v_cmp_eq_u32_e32 vcc, 1, v35
	s_and_b64 exec, exec, vcc
	s_cbranch_execz .LBB1461_387
; %bb.386:
	s_lshl_b64 s[10:11], s[22:23], 3
	s_waitcnt lgkmcnt(0)
	s_add_u32 s10, s4, s10
	s_addc_u32 s11, s5, s11
	v_mov_b32_e32 v43, 0
	v_lshl_add_u64 v[48:49], v[42:43], 3, s[10:11]
	global_store_dwordx2 v[48:49], v[18:19], off
.LBB1461_387:
	s_or_b64 exec, exec, s[0:1]
	v_cmp_gt_u32_e32 vcc, s8, v40
	s_or_b64 s[10:11], s[34:35], vcc
	s_and_saveexec_b64 s[0:1], s[10:11]
	s_cbranch_execz .LBB1461_390
; %bb.388:
	v_and_b32_e32 v35, 1, v32
	v_cmp_eq_u32_e32 vcc, 1, v35
	s_and_b64 exec, exec, vcc
	s_cbranch_execz .LBB1461_390
; %bb.389:
	s_lshl_b64 s[10:11], s[22:23], 3
	s_waitcnt lgkmcnt(0)
	s_add_u32 s10, s4, s10
	s_addc_u32 s11, s5, s11
	v_mov_b32_e32 v41, 0
	v_lshl_add_u64 v[48:49], v[40:41], 3, s[10:11]
	global_store_dwordx2 v[48:49], v[20:21], off
.LBB1461_390:
	s_or_b64 exec, exec, s[0:1]
	v_cmp_gt_u32_e32 vcc, s8, v38
	s_or_b64 s[10:11], s[34:35], vcc
	s_and_saveexec_b64 s[0:1], s[10:11]
	s_cbranch_execz .LBB1461_393
; %bb.391:
	v_and_b32_e32 v35, 1, v31
	v_cmp_eq_u32_e32 vcc, 1, v35
	s_and_b64 exec, exec, vcc
	s_cbranch_execz .LBB1461_393
; %bb.392:
	s_lshl_b64 s[10:11], s[22:23], 3
	s_waitcnt lgkmcnt(0)
	s_add_u32 s10, s4, s10
	s_addc_u32 s11, s5, s11
	v_mov_b32_e32 v39, 0
	v_lshl_add_u64 v[48:49], v[38:39], 3, s[10:11]
	global_store_dwordx2 v[48:49], v[14:15], off
.LBB1461_393:
	;; [unrolled: 19-line block ×3, first 2 shown]
	s_or_b64 exec, exec, s[0:1]
	v_cmp_gt_u32_e32 vcc, s8, v34
	s_or_b64 s[8:9], s[34:35], vcc
	s_and_saveexec_b64 s[0:1], s[8:9]
	s_cbranch_execz .LBB1461_399
; %bb.397:
	v_mov_b32_e32 v35, 1
	v_and_b32_sdwa v35, v35, v31 dst_sel:DWORD dst_unused:UNUSED_PAD src0_sel:DWORD src1_sel:WORD_1
	v_cmp_eq_u32_e32 vcc, 1, v35
	s_and_b64 exec, exec, vcc
	s_cbranch_execz .LBB1461_399
; %bb.398:
	s_lshl_b64 s[8:9], s[22:23], 3
	s_waitcnt lgkmcnt(0)
	s_add_u32 s8, s4, s8
	s_addc_u32 s9, s5, s9
	v_mov_b32_e32 v35, 0
	v_lshl_add_u64 v[48:49], v[34:35], 3, s[8:9]
	global_store_dwordx2 v[48:49], v[28:29], off
.LBB1461_399:
	s_or_b64 exec, exec, s[0:1]
	s_mov_b64 s[0:1], 0
.LBB1461_400:
	v_and_b32_e32 v48, 1, v30
	s_and_b64 vcc, exec, s[0:1]
	v_cmp_eq_u32_e64 s[0:1], 1, v48
	s_cbranch_vccz .LBB1461_419
; %bb.401:
	s_and_saveexec_b64 s[8:9], s[0:1]
	s_cbranch_execz .LBB1461_403
; %bb.402:
	v_subrev_u32_e32 v35, s16, v46
	v_lshlrev_b32_e32 v35, 3, v35
	ds_write_b64 v35, v[22:23]
.LBB1461_403:
	s_or_b64 exec, exec, s[8:9]
	v_and_b32_e32 v22, 1, v33
	v_cmp_eq_u32_e32 vcc, 1, v22
	s_and_saveexec_b64 s[0:1], vcc
	s_cbranch_execz .LBB1461_405
; %bb.404:
	v_subrev_u32_e32 v22, s16, v44
	v_lshlrev_b32_e32 v22, 3, v22
	ds_write_b64 v22, v[24:25]
.LBB1461_405:
	s_or_b64 exec, exec, s[0:1]
	v_mov_b32_e32 v22, 1
	v_and_b32_sdwa v22, v22, v30 dst_sel:DWORD dst_unused:UNUSED_PAD src0_sel:DWORD src1_sel:WORD_1
	v_cmp_eq_u32_e32 vcc, 1, v22
	s_and_saveexec_b64 s[0:1], vcc
	s_cbranch_execz .LBB1461_407
; %bb.406:
	v_subrev_u32_e32 v22, s16, v42
	v_lshlrev_b32_e32 v22, 3, v22
	ds_write_b64 v22, v[18:19]
.LBB1461_407:
	s_or_b64 exec, exec, s[0:1]
	v_and_b32_e32 v18, 1, v32
	v_cmp_eq_u32_e32 vcc, 1, v18
	s_and_saveexec_b64 s[0:1], vcc
	s_cbranch_execz .LBB1461_409
; %bb.408:
	v_subrev_u32_e32 v18, s16, v40
	v_lshlrev_b32_e32 v18, 3, v18
	ds_write_b64 v18, v[20:21]
.LBB1461_409:
	s_or_b64 exec, exec, s[0:1]
	v_and_b32_e32 v18, 1, v31
	;; [unrolled: 10-line block ×3, first 2 shown]
	v_cmp_eq_u32_e32 vcc, 1, v14
	s_and_saveexec_b64 s[0:1], vcc
	s_cbranch_execz .LBB1461_413
; %bb.412:
	v_subrev_u32_e32 v14, s16, v36
	v_lshlrev_b32_e32 v14, 3, v14
	ds_write_b64 v14, v[16:17]
.LBB1461_413:
	s_or_b64 exec, exec, s[0:1]
	v_mov_b32_e32 v14, 1
	v_and_b32_sdwa v14, v14, v31 dst_sel:DWORD dst_unused:UNUSED_PAD src0_sel:DWORD src1_sel:WORD_1
	v_cmp_eq_u32_e32 vcc, 1, v14
	s_and_saveexec_b64 s[0:1], vcc
	s_cbranch_execz .LBB1461_415
; %bb.414:
	v_subrev_u32_e32 v14, s16, v34
	v_lshlrev_b32_e32 v14, 3, v14
	ds_write_b64 v14, v[28:29]
.LBB1461_415:
	s_or_b64 exec, exec, s[0:1]
	v_cmp_gt_u32_e32 vcc, s26, v0
	s_waitcnt lgkmcnt(0)
	s_barrier
	s_and_saveexec_b64 s[0:1], vcc
	s_cbranch_execz .LBB1461_418
; %bb.416:
	s_mov_b32 s17, 0
	s_lshl_b64 s[8:9], s[22:23], 3
	s_lshl_b64 s[10:11], s[16:17], 3
	s_add_u32 s8, s8, s10
	s_addc_u32 s9, s9, s11
	s_add_u32 s4, s4, s8
	v_lshlrev_b32_e32 v14, 3, v0
	v_mov_b32_e32 v15, 0
	s_addc_u32 s5, s5, s9
	v_lshl_add_u64 v[16:17], s[4:5], 0, v[14:15]
	s_mov_b64 s[4:5], 0
	s_mov_b64 s[8:9], 0x1000
	v_mov_b32_e32 v15, v0
.LBB1461_417:                           ; =>This Inner Loop Header: Depth=1
	ds_read_b64 v[18:19], v14
	v_add_u32_e32 v15, 0x200, v15
	v_cmp_le_u32_e32 vcc, s26, v15
	v_add_u32_e32 v14, 0x1000, v14
	s_or_b64 s[4:5], vcc, s[4:5]
	s_waitcnt lgkmcnt(0)
	global_store_dwordx2 v[16:17], v[18:19], off
	v_lshl_add_u64 v[16:17], v[16:17], 0, s[8:9]
	s_andn2_b64 exec, exec, s[4:5]
	s_cbranch_execnz .LBB1461_417
.LBB1461_418:
	s_or_b64 exec, exec, s[0:1]
.LBB1461_419:
	s_mov_b64 s[0:1], -1
	s_and_b64 vcc, exec, s[2:3]
	s_waitcnt lgkmcnt(0)
	s_barrier
	s_cbranch_vccnz .LBB1461_423
; %bb.420:
	s_and_b64 vcc, exec, s[0:1]
	s_cbranch_vccnz .LBB1461_445
.LBB1461_421:
	v_cmp_eq_u32_e32 vcc, 0, v0
	s_and_b64 s[0:1], vcc, s[24:25]
	s_and_saveexec_b64 s[2:3], s[0:1]
	s_cbranch_execnz .LBB1461_463
.LBB1461_422:
	s_endpgm
.LBB1461_423:
	s_add_i32 s2, s16, s26
	v_cmp_gt_u32_e32 vcc, s2, v46
	s_or_b64 s[4:5], s[34:35], vcc
	s_and_saveexec_b64 s[0:1], s[4:5]
	s_cbranch_execz .LBB1461_426
; %bb.424:
	v_cmp_eq_u32_e32 vcc, 1, v48
	s_and_b64 exec, exec, vcc
	s_cbranch_execz .LBB1461_426
; %bb.425:
	s_lshl_b64 s[4:5], s[22:23], 3
	s_add_u32 s4, s6, s4
	s_addc_u32 s5, s7, s5
	v_mov_b32_e32 v47, 0
	v_lshl_add_u64 v[14:15], v[46:47], 3, s[4:5]
	global_store_dwordx2 v[14:15], v[10:11], off
.LBB1461_426:
	s_or_b64 exec, exec, s[0:1]
	v_cmp_gt_u32_e32 vcc, s2, v44
	s_or_b64 s[4:5], s[34:35], vcc
	s_and_saveexec_b64 s[0:1], s[4:5]
	s_cbranch_execz .LBB1461_429
; %bb.427:
	v_and_b32_e32 v14, 1, v33
	v_cmp_eq_u32_e32 vcc, 1, v14
	s_and_b64 exec, exec, vcc
	s_cbranch_execz .LBB1461_429
; %bb.428:
	s_lshl_b64 s[4:5], s[22:23], 3
	s_add_u32 s4, s6, s4
	s_addc_u32 s5, s7, s5
	v_mov_b32_e32 v45, 0
	v_lshl_add_u64 v[14:15], v[44:45], 3, s[4:5]
	global_store_dwordx2 v[14:15], v[12:13], off
.LBB1461_429:
	s_or_b64 exec, exec, s[0:1]
	v_cmp_gt_u32_e32 vcc, s2, v42
	s_or_b64 s[4:5], s[34:35], vcc
	s_and_saveexec_b64 s[0:1], s[4:5]
	s_cbranch_execz .LBB1461_432
; %bb.430:
	v_mov_b32_e32 v14, 1
	v_and_b32_sdwa v14, v14, v30 dst_sel:DWORD dst_unused:UNUSED_PAD src0_sel:DWORD src1_sel:WORD_1
	v_cmp_eq_u32_e32 vcc, 1, v14
	s_and_b64 exec, exec, vcc
	s_cbranch_execz .LBB1461_432
; %bb.431:
	s_lshl_b64 s[4:5], s[22:23], 3
	s_add_u32 s4, s6, s4
	s_addc_u32 s5, s7, s5
	v_mov_b32_e32 v43, 0
	v_lshl_add_u64 v[14:15], v[42:43], 3, s[4:5]
	global_store_dwordx2 v[14:15], v[6:7], off
.LBB1461_432:
	s_or_b64 exec, exec, s[0:1]
	v_cmp_gt_u32_e32 vcc, s2, v40
	s_or_b64 s[4:5], s[34:35], vcc
	s_and_saveexec_b64 s[0:1], s[4:5]
	s_cbranch_execz .LBB1461_435
; %bb.433:
	v_and_b32_e32 v14, 1, v32
	v_cmp_eq_u32_e32 vcc, 1, v14
	s_and_b64 exec, exec, vcc
	s_cbranch_execz .LBB1461_435
; %bb.434:
	s_lshl_b64 s[4:5], s[22:23], 3
	s_add_u32 s4, s6, s4
	s_addc_u32 s5, s7, s5
	v_mov_b32_e32 v41, 0
	v_lshl_add_u64 v[14:15], v[40:41], 3, s[4:5]
	global_store_dwordx2 v[14:15], v[8:9], off
.LBB1461_435:
	s_or_b64 exec, exec, s[0:1]
	v_cmp_gt_u32_e32 vcc, s2, v38
	s_or_b64 s[4:5], s[34:35], vcc
	s_and_saveexec_b64 s[0:1], s[4:5]
	s_cbranch_execz .LBB1461_438
; %bb.436:
	v_and_b32_e32 v14, 1, v31
	v_cmp_eq_u32_e32 vcc, 1, v14
	s_and_b64 exec, exec, vcc
	s_cbranch_execz .LBB1461_438
; %bb.437:
	s_lshl_b64 s[4:5], s[22:23], 3
	s_add_u32 s4, s6, s4
	s_addc_u32 s5, s7, s5
	v_mov_b32_e32 v39, 0
	v_lshl_add_u64 v[14:15], v[38:39], 3, s[4:5]
	global_store_dwordx2 v[14:15], v[2:3], off
.LBB1461_438:
	;; [unrolled: 18-line block ×3, first 2 shown]
	s_or_b64 exec, exec, s[0:1]
	v_cmp_gt_u32_e32 vcc, s2, v34
	s_or_b64 s[2:3], s[34:35], vcc
	s_and_saveexec_b64 s[0:1], s[2:3]
	s_cbranch_execz .LBB1461_444
; %bb.442:
	v_mov_b32_e32 v14, 1
	v_and_b32_sdwa v14, v14, v31 dst_sel:DWORD dst_unused:UNUSED_PAD src0_sel:DWORD src1_sel:WORD_1
	v_cmp_eq_u32_e32 vcc, 1, v14
	s_and_b64 exec, exec, vcc
	s_cbranch_execz .LBB1461_444
; %bb.443:
	s_lshl_b64 s[2:3], s[22:23], 3
	s_add_u32 s2, s6, s2
	s_addc_u32 s3, s7, s3
	v_mov_b32_e32 v35, 0
	v_lshl_add_u64 v[14:15], v[34:35], 3, s[2:3]
	global_store_dwordx2 v[14:15], v[26:27], off
.LBB1461_444:
	s_or_b64 exec, exec, s[0:1]
	s_branch .LBB1461_421
.LBB1461_445:
	v_cmp_eq_u32_e32 vcc, 1, v48
	s_and_saveexec_b64 s[0:1], vcc
	s_cbranch_execz .LBB1461_447
; %bb.446:
	v_subrev_u32_e32 v14, s16, v46
	v_lshlrev_b32_e32 v14, 3, v14
	ds_write_b64 v14, v[10:11]
.LBB1461_447:
	s_or_b64 exec, exec, s[0:1]
	v_and_b32_e32 v10, 1, v33
	v_cmp_eq_u32_e32 vcc, 1, v10
	s_and_saveexec_b64 s[0:1], vcc
	s_cbranch_execz .LBB1461_449
; %bb.448:
	v_subrev_u32_e32 v10, s16, v44
	v_lshlrev_b32_e32 v10, 3, v10
	ds_write_b64 v10, v[12:13]
.LBB1461_449:
	s_or_b64 exec, exec, s[0:1]
	v_mov_b32_e32 v10, 1
	v_and_b32_sdwa v10, v10, v30 dst_sel:DWORD dst_unused:UNUSED_PAD src0_sel:DWORD src1_sel:WORD_1
	v_cmp_eq_u32_e32 vcc, 1, v10
	s_and_saveexec_b64 s[0:1], vcc
	s_cbranch_execz .LBB1461_451
; %bb.450:
	v_subrev_u32_e32 v10, s16, v42
	v_lshlrev_b32_e32 v10, 3, v10
	ds_write_b64 v10, v[6:7]
.LBB1461_451:
	s_or_b64 exec, exec, s[0:1]
	v_and_b32_e32 v6, 1, v32
	v_cmp_eq_u32_e32 vcc, 1, v6
	s_and_saveexec_b64 s[0:1], vcc
	s_cbranch_execz .LBB1461_453
; %bb.452:
	v_subrev_u32_e32 v6, s16, v40
	v_lshlrev_b32_e32 v6, 3, v6
	ds_write_b64 v6, v[8:9]
.LBB1461_453:
	s_or_b64 exec, exec, s[0:1]
	v_and_b32_e32 v6, 1, v31
	;; [unrolled: 10-line block ×3, first 2 shown]
	v_cmp_eq_u32_e32 vcc, 1, v1
	s_and_saveexec_b64 s[0:1], vcc
	s_cbranch_execz .LBB1461_457
; %bb.456:
	v_subrev_u32_e32 v1, s16, v36
	v_lshlrev_b32_e32 v1, 3, v1
	ds_write_b64 v1, v[4:5]
.LBB1461_457:
	s_or_b64 exec, exec, s[0:1]
	v_mov_b32_e32 v1, 1
	v_and_b32_sdwa v1, v1, v31 dst_sel:DWORD dst_unused:UNUSED_PAD src0_sel:DWORD src1_sel:WORD_1
	v_cmp_eq_u32_e32 vcc, 1, v1
	s_and_saveexec_b64 s[0:1], vcc
	s_cbranch_execz .LBB1461_459
; %bb.458:
	v_subrev_u32_e32 v1, s16, v34
	v_lshlrev_b32_e32 v1, 3, v1
	ds_write_b64 v1, v[26:27]
.LBB1461_459:
	s_or_b64 exec, exec, s[0:1]
	v_cmp_gt_u32_e32 vcc, s26, v0
	s_waitcnt lgkmcnt(0)
	s_barrier
	s_and_saveexec_b64 s[0:1], vcc
	s_cbranch_execz .LBB1461_462
; %bb.460:
	s_mov_b32 s17, 0
	s_lshl_b64 s[2:3], s[22:23], 3
	s_lshl_b64 s[4:5], s[16:17], 3
	s_add_u32 s2, s2, s4
	s_addc_u32 s3, s3, s5
	s_add_u32 s2, s6, s2
	v_lshlrev_b32_e32 v2, 3, v0
	v_mov_b32_e32 v3, 0
	s_addc_u32 s3, s7, s3
	v_lshl_add_u64 v[4:5], s[2:3], 0, v[2:3]
	s_mov_b64 s[2:3], 0
	s_mov_b64 s[4:5], 0x1000
	v_mov_b32_e32 v1, v0
.LBB1461_461:                           ; =>This Inner Loop Header: Depth=1
	ds_read_b64 v[6:7], v2
	v_add_u32_e32 v1, 0x200, v1
	v_cmp_le_u32_e32 vcc, s26, v1
	v_add_u32_e32 v2, 0x1000, v2
	s_or_b64 s[2:3], vcc, s[2:3]
	s_waitcnt lgkmcnt(0)
	global_store_dwordx2 v[4:5], v[6:7], off
	v_lshl_add_u64 v[4:5], v[4:5], 0, s[4:5]
	s_andn2_b64 exec, exec, s[2:3]
	s_cbranch_execnz .LBB1461_461
.LBB1461_462:
	s_or_b64 exec, exec, s[0:1]
	v_cmp_eq_u32_e32 vcc, 0, v0
	s_and_b64 s[0:1], vcc, s[24:25]
	s_and_saveexec_b64 s[2:3], s[0:1]
	s_cbranch_execz .LBB1461_422
.LBB1461_463:
	s_add_u32 s0, s22, s26
	s_addc_u32 s1, s23, 0
	s_add_u32 s0, s0, s16
	s_addc_u32 s1, s1, 0
	v_mov_b32_e32 v2, 0
	v_mov_b64_e32 v[0:1], s[0:1]
	global_store_dwordx2 v2, v[0:1], s[20:21]
	s_endpgm
	.section	.rodata,"a",@progbits
	.p2align	6, 0x0
	.amdhsa_kernel _ZN7rocprim17ROCPRIM_400000_NS6detail17trampoline_kernelINS0_14default_configENS1_25partition_config_selectorILNS1_17partition_subalgoE9EllbEEZZNS1_14partition_implILS5_9ELb0ES3_jPlS8_PNS0_10empty_typeENS0_5tupleIJS8_S9_EEENSB_IJS8_SA_EEENS0_18inequality_wrapperIZN2at6native12_GLOBAL__N_124unique_dim_cuda_templateItEESt5tupleIJNSF_6TensorESK_SK_EERKSK_lbbbEUlllE0_EEPmJS9_EEE10hipError_tPvRmT3_T4_T5_T6_T7_T9_mT8_P12ihipStream_tbDpT10_ENKUlT_T0_E_clISt17integral_constantIbLb0EES1A_EEDaS15_S16_EUlS15_E_NS1_11comp_targetILNS1_3genE5ELNS1_11target_archE942ELNS1_3gpuE9ELNS1_3repE0EEENS1_30default_config_static_selectorELNS0_4arch9wavefront6targetE1EEEvT1_
		.amdhsa_group_segment_fixed_size 28684
		.amdhsa_private_segment_fixed_size 0
		.amdhsa_kernarg_size 120
		.amdhsa_user_sgpr_count 2
		.amdhsa_user_sgpr_dispatch_ptr 0
		.amdhsa_user_sgpr_queue_ptr 0
		.amdhsa_user_sgpr_kernarg_segment_ptr 1
		.amdhsa_user_sgpr_dispatch_id 0
		.amdhsa_user_sgpr_kernarg_preload_length 0
		.amdhsa_user_sgpr_kernarg_preload_offset 0
		.amdhsa_user_sgpr_private_segment_size 0
		.amdhsa_uses_dynamic_stack 0
		.amdhsa_enable_private_segment 0
		.amdhsa_system_sgpr_workgroup_id_x 1
		.amdhsa_system_sgpr_workgroup_id_y 0
		.amdhsa_system_sgpr_workgroup_id_z 0
		.amdhsa_system_sgpr_workgroup_info 0
		.amdhsa_system_vgpr_workitem_id 0
		.amdhsa_next_free_vgpr 66
		.amdhsa_next_free_sgpr 52
		.amdhsa_accum_offset 68
		.amdhsa_reserve_vcc 1
		.amdhsa_float_round_mode_32 0
		.amdhsa_float_round_mode_16_64 0
		.amdhsa_float_denorm_mode_32 3
		.amdhsa_float_denorm_mode_16_64 3
		.amdhsa_dx10_clamp 1
		.amdhsa_ieee_mode 1
		.amdhsa_fp16_overflow 0
		.amdhsa_tg_split 0
		.amdhsa_exception_fp_ieee_invalid_op 0
		.amdhsa_exception_fp_denorm_src 0
		.amdhsa_exception_fp_ieee_div_zero 0
		.amdhsa_exception_fp_ieee_overflow 0
		.amdhsa_exception_fp_ieee_underflow 0
		.amdhsa_exception_fp_ieee_inexact 0
		.amdhsa_exception_int_div_zero 0
	.end_amdhsa_kernel
	.section	.text._ZN7rocprim17ROCPRIM_400000_NS6detail17trampoline_kernelINS0_14default_configENS1_25partition_config_selectorILNS1_17partition_subalgoE9EllbEEZZNS1_14partition_implILS5_9ELb0ES3_jPlS8_PNS0_10empty_typeENS0_5tupleIJS8_S9_EEENSB_IJS8_SA_EEENS0_18inequality_wrapperIZN2at6native12_GLOBAL__N_124unique_dim_cuda_templateItEESt5tupleIJNSF_6TensorESK_SK_EERKSK_lbbbEUlllE0_EEPmJS9_EEE10hipError_tPvRmT3_T4_T5_T6_T7_T9_mT8_P12ihipStream_tbDpT10_ENKUlT_T0_E_clISt17integral_constantIbLb0EES1A_EEDaS15_S16_EUlS15_E_NS1_11comp_targetILNS1_3genE5ELNS1_11target_archE942ELNS1_3gpuE9ELNS1_3repE0EEENS1_30default_config_static_selectorELNS0_4arch9wavefront6targetE1EEEvT1_,"axG",@progbits,_ZN7rocprim17ROCPRIM_400000_NS6detail17trampoline_kernelINS0_14default_configENS1_25partition_config_selectorILNS1_17partition_subalgoE9EllbEEZZNS1_14partition_implILS5_9ELb0ES3_jPlS8_PNS0_10empty_typeENS0_5tupleIJS8_S9_EEENSB_IJS8_SA_EEENS0_18inequality_wrapperIZN2at6native12_GLOBAL__N_124unique_dim_cuda_templateItEESt5tupleIJNSF_6TensorESK_SK_EERKSK_lbbbEUlllE0_EEPmJS9_EEE10hipError_tPvRmT3_T4_T5_T6_T7_T9_mT8_P12ihipStream_tbDpT10_ENKUlT_T0_E_clISt17integral_constantIbLb0EES1A_EEDaS15_S16_EUlS15_E_NS1_11comp_targetILNS1_3genE5ELNS1_11target_archE942ELNS1_3gpuE9ELNS1_3repE0EEENS1_30default_config_static_selectorELNS0_4arch9wavefront6targetE1EEEvT1_,comdat
.Lfunc_end1461:
	.size	_ZN7rocprim17ROCPRIM_400000_NS6detail17trampoline_kernelINS0_14default_configENS1_25partition_config_selectorILNS1_17partition_subalgoE9EllbEEZZNS1_14partition_implILS5_9ELb0ES3_jPlS8_PNS0_10empty_typeENS0_5tupleIJS8_S9_EEENSB_IJS8_SA_EEENS0_18inequality_wrapperIZN2at6native12_GLOBAL__N_124unique_dim_cuda_templateItEESt5tupleIJNSF_6TensorESK_SK_EERKSK_lbbbEUlllE0_EEPmJS9_EEE10hipError_tPvRmT3_T4_T5_T6_T7_T9_mT8_P12ihipStream_tbDpT10_ENKUlT_T0_E_clISt17integral_constantIbLb0EES1A_EEDaS15_S16_EUlS15_E_NS1_11comp_targetILNS1_3genE5ELNS1_11target_archE942ELNS1_3gpuE9ELNS1_3repE0EEENS1_30default_config_static_selectorELNS0_4arch9wavefront6targetE1EEEvT1_, .Lfunc_end1461-_ZN7rocprim17ROCPRIM_400000_NS6detail17trampoline_kernelINS0_14default_configENS1_25partition_config_selectorILNS1_17partition_subalgoE9EllbEEZZNS1_14partition_implILS5_9ELb0ES3_jPlS8_PNS0_10empty_typeENS0_5tupleIJS8_S9_EEENSB_IJS8_SA_EEENS0_18inequality_wrapperIZN2at6native12_GLOBAL__N_124unique_dim_cuda_templateItEESt5tupleIJNSF_6TensorESK_SK_EERKSK_lbbbEUlllE0_EEPmJS9_EEE10hipError_tPvRmT3_T4_T5_T6_T7_T9_mT8_P12ihipStream_tbDpT10_ENKUlT_T0_E_clISt17integral_constantIbLb0EES1A_EEDaS15_S16_EUlS15_E_NS1_11comp_targetILNS1_3genE5ELNS1_11target_archE942ELNS1_3gpuE9ELNS1_3repE0EEENS1_30default_config_static_selectorELNS0_4arch9wavefront6targetE1EEEvT1_
                                        ; -- End function
	.section	.AMDGPU.csdata,"",@progbits
; Kernel info:
; codeLenInByte = 14392
; NumSgprs: 58
; NumVgprs: 66
; NumAgprs: 0
; TotalNumVgprs: 66
; ScratchSize: 0
; MemoryBound: 0
; FloatMode: 240
; IeeeMode: 1
; LDSByteSize: 28684 bytes/workgroup (compile time only)
; SGPRBlocks: 7
; VGPRBlocks: 8
; NumSGPRsForWavesPerEU: 58
; NumVGPRsForWavesPerEU: 66
; AccumOffset: 68
; Occupancy: 4
; WaveLimiterHint : 1
; COMPUTE_PGM_RSRC2:SCRATCH_EN: 0
; COMPUTE_PGM_RSRC2:USER_SGPR: 2
; COMPUTE_PGM_RSRC2:TRAP_HANDLER: 0
; COMPUTE_PGM_RSRC2:TGID_X_EN: 1
; COMPUTE_PGM_RSRC2:TGID_Y_EN: 0
; COMPUTE_PGM_RSRC2:TGID_Z_EN: 0
; COMPUTE_PGM_RSRC2:TIDIG_COMP_CNT: 0
; COMPUTE_PGM_RSRC3_GFX90A:ACCUM_OFFSET: 16
; COMPUTE_PGM_RSRC3_GFX90A:TG_SPLIT: 0
	.section	.text._ZN7rocprim17ROCPRIM_400000_NS6detail17trampoline_kernelINS0_14default_configENS1_25partition_config_selectorILNS1_17partition_subalgoE9EllbEEZZNS1_14partition_implILS5_9ELb0ES3_jPlS8_PNS0_10empty_typeENS0_5tupleIJS8_S9_EEENSB_IJS8_SA_EEENS0_18inequality_wrapperIZN2at6native12_GLOBAL__N_124unique_dim_cuda_templateItEESt5tupleIJNSF_6TensorESK_SK_EERKSK_lbbbEUlllE0_EEPmJS9_EEE10hipError_tPvRmT3_T4_T5_T6_T7_T9_mT8_P12ihipStream_tbDpT10_ENKUlT_T0_E_clISt17integral_constantIbLb0EES1A_EEDaS15_S16_EUlS15_E_NS1_11comp_targetILNS1_3genE4ELNS1_11target_archE910ELNS1_3gpuE8ELNS1_3repE0EEENS1_30default_config_static_selectorELNS0_4arch9wavefront6targetE1EEEvT1_,"axG",@progbits,_ZN7rocprim17ROCPRIM_400000_NS6detail17trampoline_kernelINS0_14default_configENS1_25partition_config_selectorILNS1_17partition_subalgoE9EllbEEZZNS1_14partition_implILS5_9ELb0ES3_jPlS8_PNS0_10empty_typeENS0_5tupleIJS8_S9_EEENSB_IJS8_SA_EEENS0_18inequality_wrapperIZN2at6native12_GLOBAL__N_124unique_dim_cuda_templateItEESt5tupleIJNSF_6TensorESK_SK_EERKSK_lbbbEUlllE0_EEPmJS9_EEE10hipError_tPvRmT3_T4_T5_T6_T7_T9_mT8_P12ihipStream_tbDpT10_ENKUlT_T0_E_clISt17integral_constantIbLb0EES1A_EEDaS15_S16_EUlS15_E_NS1_11comp_targetILNS1_3genE4ELNS1_11target_archE910ELNS1_3gpuE8ELNS1_3repE0EEENS1_30default_config_static_selectorELNS0_4arch9wavefront6targetE1EEEvT1_,comdat
	.globl	_ZN7rocprim17ROCPRIM_400000_NS6detail17trampoline_kernelINS0_14default_configENS1_25partition_config_selectorILNS1_17partition_subalgoE9EllbEEZZNS1_14partition_implILS5_9ELb0ES3_jPlS8_PNS0_10empty_typeENS0_5tupleIJS8_S9_EEENSB_IJS8_SA_EEENS0_18inequality_wrapperIZN2at6native12_GLOBAL__N_124unique_dim_cuda_templateItEESt5tupleIJNSF_6TensorESK_SK_EERKSK_lbbbEUlllE0_EEPmJS9_EEE10hipError_tPvRmT3_T4_T5_T6_T7_T9_mT8_P12ihipStream_tbDpT10_ENKUlT_T0_E_clISt17integral_constantIbLb0EES1A_EEDaS15_S16_EUlS15_E_NS1_11comp_targetILNS1_3genE4ELNS1_11target_archE910ELNS1_3gpuE8ELNS1_3repE0EEENS1_30default_config_static_selectorELNS0_4arch9wavefront6targetE1EEEvT1_ ; -- Begin function _ZN7rocprim17ROCPRIM_400000_NS6detail17trampoline_kernelINS0_14default_configENS1_25partition_config_selectorILNS1_17partition_subalgoE9EllbEEZZNS1_14partition_implILS5_9ELb0ES3_jPlS8_PNS0_10empty_typeENS0_5tupleIJS8_S9_EEENSB_IJS8_SA_EEENS0_18inequality_wrapperIZN2at6native12_GLOBAL__N_124unique_dim_cuda_templateItEESt5tupleIJNSF_6TensorESK_SK_EERKSK_lbbbEUlllE0_EEPmJS9_EEE10hipError_tPvRmT3_T4_T5_T6_T7_T9_mT8_P12ihipStream_tbDpT10_ENKUlT_T0_E_clISt17integral_constantIbLb0EES1A_EEDaS15_S16_EUlS15_E_NS1_11comp_targetILNS1_3genE4ELNS1_11target_archE910ELNS1_3gpuE8ELNS1_3repE0EEENS1_30default_config_static_selectorELNS0_4arch9wavefront6targetE1EEEvT1_
	.p2align	8
	.type	_ZN7rocprim17ROCPRIM_400000_NS6detail17trampoline_kernelINS0_14default_configENS1_25partition_config_selectorILNS1_17partition_subalgoE9EllbEEZZNS1_14partition_implILS5_9ELb0ES3_jPlS8_PNS0_10empty_typeENS0_5tupleIJS8_S9_EEENSB_IJS8_SA_EEENS0_18inequality_wrapperIZN2at6native12_GLOBAL__N_124unique_dim_cuda_templateItEESt5tupleIJNSF_6TensorESK_SK_EERKSK_lbbbEUlllE0_EEPmJS9_EEE10hipError_tPvRmT3_T4_T5_T6_T7_T9_mT8_P12ihipStream_tbDpT10_ENKUlT_T0_E_clISt17integral_constantIbLb0EES1A_EEDaS15_S16_EUlS15_E_NS1_11comp_targetILNS1_3genE4ELNS1_11target_archE910ELNS1_3gpuE8ELNS1_3repE0EEENS1_30default_config_static_selectorELNS0_4arch9wavefront6targetE1EEEvT1_,@function
_ZN7rocprim17ROCPRIM_400000_NS6detail17trampoline_kernelINS0_14default_configENS1_25partition_config_selectorILNS1_17partition_subalgoE9EllbEEZZNS1_14partition_implILS5_9ELb0ES3_jPlS8_PNS0_10empty_typeENS0_5tupleIJS8_S9_EEENSB_IJS8_SA_EEENS0_18inequality_wrapperIZN2at6native12_GLOBAL__N_124unique_dim_cuda_templateItEESt5tupleIJNSF_6TensorESK_SK_EERKSK_lbbbEUlllE0_EEPmJS9_EEE10hipError_tPvRmT3_T4_T5_T6_T7_T9_mT8_P12ihipStream_tbDpT10_ENKUlT_T0_E_clISt17integral_constantIbLb0EES1A_EEDaS15_S16_EUlS15_E_NS1_11comp_targetILNS1_3genE4ELNS1_11target_archE910ELNS1_3gpuE8ELNS1_3repE0EEENS1_30default_config_static_selectorELNS0_4arch9wavefront6targetE1EEEvT1_: ; @_ZN7rocprim17ROCPRIM_400000_NS6detail17trampoline_kernelINS0_14default_configENS1_25partition_config_selectorILNS1_17partition_subalgoE9EllbEEZZNS1_14partition_implILS5_9ELb0ES3_jPlS8_PNS0_10empty_typeENS0_5tupleIJS8_S9_EEENSB_IJS8_SA_EEENS0_18inequality_wrapperIZN2at6native12_GLOBAL__N_124unique_dim_cuda_templateItEESt5tupleIJNSF_6TensorESK_SK_EERKSK_lbbbEUlllE0_EEPmJS9_EEE10hipError_tPvRmT3_T4_T5_T6_T7_T9_mT8_P12ihipStream_tbDpT10_ENKUlT_T0_E_clISt17integral_constantIbLb0EES1A_EEDaS15_S16_EUlS15_E_NS1_11comp_targetILNS1_3genE4ELNS1_11target_archE910ELNS1_3gpuE8ELNS1_3repE0EEENS1_30default_config_static_selectorELNS0_4arch9wavefront6targetE1EEEvT1_
; %bb.0:
	.section	.rodata,"a",@progbits
	.p2align	6, 0x0
	.amdhsa_kernel _ZN7rocprim17ROCPRIM_400000_NS6detail17trampoline_kernelINS0_14default_configENS1_25partition_config_selectorILNS1_17partition_subalgoE9EllbEEZZNS1_14partition_implILS5_9ELb0ES3_jPlS8_PNS0_10empty_typeENS0_5tupleIJS8_S9_EEENSB_IJS8_SA_EEENS0_18inequality_wrapperIZN2at6native12_GLOBAL__N_124unique_dim_cuda_templateItEESt5tupleIJNSF_6TensorESK_SK_EERKSK_lbbbEUlllE0_EEPmJS9_EEE10hipError_tPvRmT3_T4_T5_T6_T7_T9_mT8_P12ihipStream_tbDpT10_ENKUlT_T0_E_clISt17integral_constantIbLb0EES1A_EEDaS15_S16_EUlS15_E_NS1_11comp_targetILNS1_3genE4ELNS1_11target_archE910ELNS1_3gpuE8ELNS1_3repE0EEENS1_30default_config_static_selectorELNS0_4arch9wavefront6targetE1EEEvT1_
		.amdhsa_group_segment_fixed_size 0
		.amdhsa_private_segment_fixed_size 0
		.amdhsa_kernarg_size 120
		.amdhsa_user_sgpr_count 2
		.amdhsa_user_sgpr_dispatch_ptr 0
		.amdhsa_user_sgpr_queue_ptr 0
		.amdhsa_user_sgpr_kernarg_segment_ptr 1
		.amdhsa_user_sgpr_dispatch_id 0
		.amdhsa_user_sgpr_kernarg_preload_length 0
		.amdhsa_user_sgpr_kernarg_preload_offset 0
		.amdhsa_user_sgpr_private_segment_size 0
		.amdhsa_uses_dynamic_stack 0
		.amdhsa_enable_private_segment 0
		.amdhsa_system_sgpr_workgroup_id_x 1
		.amdhsa_system_sgpr_workgroup_id_y 0
		.amdhsa_system_sgpr_workgroup_id_z 0
		.amdhsa_system_sgpr_workgroup_info 0
		.amdhsa_system_vgpr_workitem_id 0
		.amdhsa_next_free_vgpr 1
		.amdhsa_next_free_sgpr 0
		.amdhsa_accum_offset 4
		.amdhsa_reserve_vcc 0
		.amdhsa_float_round_mode_32 0
		.amdhsa_float_round_mode_16_64 0
		.amdhsa_float_denorm_mode_32 3
		.amdhsa_float_denorm_mode_16_64 3
		.amdhsa_dx10_clamp 1
		.amdhsa_ieee_mode 1
		.amdhsa_fp16_overflow 0
		.amdhsa_tg_split 0
		.amdhsa_exception_fp_ieee_invalid_op 0
		.amdhsa_exception_fp_denorm_src 0
		.amdhsa_exception_fp_ieee_div_zero 0
		.amdhsa_exception_fp_ieee_overflow 0
		.amdhsa_exception_fp_ieee_underflow 0
		.amdhsa_exception_fp_ieee_inexact 0
		.amdhsa_exception_int_div_zero 0
	.end_amdhsa_kernel
	.section	.text._ZN7rocprim17ROCPRIM_400000_NS6detail17trampoline_kernelINS0_14default_configENS1_25partition_config_selectorILNS1_17partition_subalgoE9EllbEEZZNS1_14partition_implILS5_9ELb0ES3_jPlS8_PNS0_10empty_typeENS0_5tupleIJS8_S9_EEENSB_IJS8_SA_EEENS0_18inequality_wrapperIZN2at6native12_GLOBAL__N_124unique_dim_cuda_templateItEESt5tupleIJNSF_6TensorESK_SK_EERKSK_lbbbEUlllE0_EEPmJS9_EEE10hipError_tPvRmT3_T4_T5_T6_T7_T9_mT8_P12ihipStream_tbDpT10_ENKUlT_T0_E_clISt17integral_constantIbLb0EES1A_EEDaS15_S16_EUlS15_E_NS1_11comp_targetILNS1_3genE4ELNS1_11target_archE910ELNS1_3gpuE8ELNS1_3repE0EEENS1_30default_config_static_selectorELNS0_4arch9wavefront6targetE1EEEvT1_,"axG",@progbits,_ZN7rocprim17ROCPRIM_400000_NS6detail17trampoline_kernelINS0_14default_configENS1_25partition_config_selectorILNS1_17partition_subalgoE9EllbEEZZNS1_14partition_implILS5_9ELb0ES3_jPlS8_PNS0_10empty_typeENS0_5tupleIJS8_S9_EEENSB_IJS8_SA_EEENS0_18inequality_wrapperIZN2at6native12_GLOBAL__N_124unique_dim_cuda_templateItEESt5tupleIJNSF_6TensorESK_SK_EERKSK_lbbbEUlllE0_EEPmJS9_EEE10hipError_tPvRmT3_T4_T5_T6_T7_T9_mT8_P12ihipStream_tbDpT10_ENKUlT_T0_E_clISt17integral_constantIbLb0EES1A_EEDaS15_S16_EUlS15_E_NS1_11comp_targetILNS1_3genE4ELNS1_11target_archE910ELNS1_3gpuE8ELNS1_3repE0EEENS1_30default_config_static_selectorELNS0_4arch9wavefront6targetE1EEEvT1_,comdat
.Lfunc_end1462:
	.size	_ZN7rocprim17ROCPRIM_400000_NS6detail17trampoline_kernelINS0_14default_configENS1_25partition_config_selectorILNS1_17partition_subalgoE9EllbEEZZNS1_14partition_implILS5_9ELb0ES3_jPlS8_PNS0_10empty_typeENS0_5tupleIJS8_S9_EEENSB_IJS8_SA_EEENS0_18inequality_wrapperIZN2at6native12_GLOBAL__N_124unique_dim_cuda_templateItEESt5tupleIJNSF_6TensorESK_SK_EERKSK_lbbbEUlllE0_EEPmJS9_EEE10hipError_tPvRmT3_T4_T5_T6_T7_T9_mT8_P12ihipStream_tbDpT10_ENKUlT_T0_E_clISt17integral_constantIbLb0EES1A_EEDaS15_S16_EUlS15_E_NS1_11comp_targetILNS1_3genE4ELNS1_11target_archE910ELNS1_3gpuE8ELNS1_3repE0EEENS1_30default_config_static_selectorELNS0_4arch9wavefront6targetE1EEEvT1_, .Lfunc_end1462-_ZN7rocprim17ROCPRIM_400000_NS6detail17trampoline_kernelINS0_14default_configENS1_25partition_config_selectorILNS1_17partition_subalgoE9EllbEEZZNS1_14partition_implILS5_9ELb0ES3_jPlS8_PNS0_10empty_typeENS0_5tupleIJS8_S9_EEENSB_IJS8_SA_EEENS0_18inequality_wrapperIZN2at6native12_GLOBAL__N_124unique_dim_cuda_templateItEESt5tupleIJNSF_6TensorESK_SK_EERKSK_lbbbEUlllE0_EEPmJS9_EEE10hipError_tPvRmT3_T4_T5_T6_T7_T9_mT8_P12ihipStream_tbDpT10_ENKUlT_T0_E_clISt17integral_constantIbLb0EES1A_EEDaS15_S16_EUlS15_E_NS1_11comp_targetILNS1_3genE4ELNS1_11target_archE910ELNS1_3gpuE8ELNS1_3repE0EEENS1_30default_config_static_selectorELNS0_4arch9wavefront6targetE1EEEvT1_
                                        ; -- End function
	.section	.AMDGPU.csdata,"",@progbits
; Kernel info:
; codeLenInByte = 0
; NumSgprs: 6
; NumVgprs: 0
; NumAgprs: 0
; TotalNumVgprs: 0
; ScratchSize: 0
; MemoryBound: 0
; FloatMode: 240
; IeeeMode: 1
; LDSByteSize: 0 bytes/workgroup (compile time only)
; SGPRBlocks: 0
; VGPRBlocks: 0
; NumSGPRsForWavesPerEU: 6
; NumVGPRsForWavesPerEU: 1
; AccumOffset: 4
; Occupancy: 8
; WaveLimiterHint : 0
; COMPUTE_PGM_RSRC2:SCRATCH_EN: 0
; COMPUTE_PGM_RSRC2:USER_SGPR: 2
; COMPUTE_PGM_RSRC2:TRAP_HANDLER: 0
; COMPUTE_PGM_RSRC2:TGID_X_EN: 1
; COMPUTE_PGM_RSRC2:TGID_Y_EN: 0
; COMPUTE_PGM_RSRC2:TGID_Z_EN: 0
; COMPUTE_PGM_RSRC2:TIDIG_COMP_CNT: 0
; COMPUTE_PGM_RSRC3_GFX90A:ACCUM_OFFSET: 0
; COMPUTE_PGM_RSRC3_GFX90A:TG_SPLIT: 0
	.section	.text._ZN7rocprim17ROCPRIM_400000_NS6detail17trampoline_kernelINS0_14default_configENS1_25partition_config_selectorILNS1_17partition_subalgoE9EllbEEZZNS1_14partition_implILS5_9ELb0ES3_jPlS8_PNS0_10empty_typeENS0_5tupleIJS8_S9_EEENSB_IJS8_SA_EEENS0_18inequality_wrapperIZN2at6native12_GLOBAL__N_124unique_dim_cuda_templateItEESt5tupleIJNSF_6TensorESK_SK_EERKSK_lbbbEUlllE0_EEPmJS9_EEE10hipError_tPvRmT3_T4_T5_T6_T7_T9_mT8_P12ihipStream_tbDpT10_ENKUlT_T0_E_clISt17integral_constantIbLb0EES1A_EEDaS15_S16_EUlS15_E_NS1_11comp_targetILNS1_3genE3ELNS1_11target_archE908ELNS1_3gpuE7ELNS1_3repE0EEENS1_30default_config_static_selectorELNS0_4arch9wavefront6targetE1EEEvT1_,"axG",@progbits,_ZN7rocprim17ROCPRIM_400000_NS6detail17trampoline_kernelINS0_14default_configENS1_25partition_config_selectorILNS1_17partition_subalgoE9EllbEEZZNS1_14partition_implILS5_9ELb0ES3_jPlS8_PNS0_10empty_typeENS0_5tupleIJS8_S9_EEENSB_IJS8_SA_EEENS0_18inequality_wrapperIZN2at6native12_GLOBAL__N_124unique_dim_cuda_templateItEESt5tupleIJNSF_6TensorESK_SK_EERKSK_lbbbEUlllE0_EEPmJS9_EEE10hipError_tPvRmT3_T4_T5_T6_T7_T9_mT8_P12ihipStream_tbDpT10_ENKUlT_T0_E_clISt17integral_constantIbLb0EES1A_EEDaS15_S16_EUlS15_E_NS1_11comp_targetILNS1_3genE3ELNS1_11target_archE908ELNS1_3gpuE7ELNS1_3repE0EEENS1_30default_config_static_selectorELNS0_4arch9wavefront6targetE1EEEvT1_,comdat
	.globl	_ZN7rocprim17ROCPRIM_400000_NS6detail17trampoline_kernelINS0_14default_configENS1_25partition_config_selectorILNS1_17partition_subalgoE9EllbEEZZNS1_14partition_implILS5_9ELb0ES3_jPlS8_PNS0_10empty_typeENS0_5tupleIJS8_S9_EEENSB_IJS8_SA_EEENS0_18inequality_wrapperIZN2at6native12_GLOBAL__N_124unique_dim_cuda_templateItEESt5tupleIJNSF_6TensorESK_SK_EERKSK_lbbbEUlllE0_EEPmJS9_EEE10hipError_tPvRmT3_T4_T5_T6_T7_T9_mT8_P12ihipStream_tbDpT10_ENKUlT_T0_E_clISt17integral_constantIbLb0EES1A_EEDaS15_S16_EUlS15_E_NS1_11comp_targetILNS1_3genE3ELNS1_11target_archE908ELNS1_3gpuE7ELNS1_3repE0EEENS1_30default_config_static_selectorELNS0_4arch9wavefront6targetE1EEEvT1_ ; -- Begin function _ZN7rocprim17ROCPRIM_400000_NS6detail17trampoline_kernelINS0_14default_configENS1_25partition_config_selectorILNS1_17partition_subalgoE9EllbEEZZNS1_14partition_implILS5_9ELb0ES3_jPlS8_PNS0_10empty_typeENS0_5tupleIJS8_S9_EEENSB_IJS8_SA_EEENS0_18inequality_wrapperIZN2at6native12_GLOBAL__N_124unique_dim_cuda_templateItEESt5tupleIJNSF_6TensorESK_SK_EERKSK_lbbbEUlllE0_EEPmJS9_EEE10hipError_tPvRmT3_T4_T5_T6_T7_T9_mT8_P12ihipStream_tbDpT10_ENKUlT_T0_E_clISt17integral_constantIbLb0EES1A_EEDaS15_S16_EUlS15_E_NS1_11comp_targetILNS1_3genE3ELNS1_11target_archE908ELNS1_3gpuE7ELNS1_3repE0EEENS1_30default_config_static_selectorELNS0_4arch9wavefront6targetE1EEEvT1_
	.p2align	8
	.type	_ZN7rocprim17ROCPRIM_400000_NS6detail17trampoline_kernelINS0_14default_configENS1_25partition_config_selectorILNS1_17partition_subalgoE9EllbEEZZNS1_14partition_implILS5_9ELb0ES3_jPlS8_PNS0_10empty_typeENS0_5tupleIJS8_S9_EEENSB_IJS8_SA_EEENS0_18inequality_wrapperIZN2at6native12_GLOBAL__N_124unique_dim_cuda_templateItEESt5tupleIJNSF_6TensorESK_SK_EERKSK_lbbbEUlllE0_EEPmJS9_EEE10hipError_tPvRmT3_T4_T5_T6_T7_T9_mT8_P12ihipStream_tbDpT10_ENKUlT_T0_E_clISt17integral_constantIbLb0EES1A_EEDaS15_S16_EUlS15_E_NS1_11comp_targetILNS1_3genE3ELNS1_11target_archE908ELNS1_3gpuE7ELNS1_3repE0EEENS1_30default_config_static_selectorELNS0_4arch9wavefront6targetE1EEEvT1_,@function
_ZN7rocprim17ROCPRIM_400000_NS6detail17trampoline_kernelINS0_14default_configENS1_25partition_config_selectorILNS1_17partition_subalgoE9EllbEEZZNS1_14partition_implILS5_9ELb0ES3_jPlS8_PNS0_10empty_typeENS0_5tupleIJS8_S9_EEENSB_IJS8_SA_EEENS0_18inequality_wrapperIZN2at6native12_GLOBAL__N_124unique_dim_cuda_templateItEESt5tupleIJNSF_6TensorESK_SK_EERKSK_lbbbEUlllE0_EEPmJS9_EEE10hipError_tPvRmT3_T4_T5_T6_T7_T9_mT8_P12ihipStream_tbDpT10_ENKUlT_T0_E_clISt17integral_constantIbLb0EES1A_EEDaS15_S16_EUlS15_E_NS1_11comp_targetILNS1_3genE3ELNS1_11target_archE908ELNS1_3gpuE7ELNS1_3repE0EEENS1_30default_config_static_selectorELNS0_4arch9wavefront6targetE1EEEvT1_: ; @_ZN7rocprim17ROCPRIM_400000_NS6detail17trampoline_kernelINS0_14default_configENS1_25partition_config_selectorILNS1_17partition_subalgoE9EllbEEZZNS1_14partition_implILS5_9ELb0ES3_jPlS8_PNS0_10empty_typeENS0_5tupleIJS8_S9_EEENSB_IJS8_SA_EEENS0_18inequality_wrapperIZN2at6native12_GLOBAL__N_124unique_dim_cuda_templateItEESt5tupleIJNSF_6TensorESK_SK_EERKSK_lbbbEUlllE0_EEPmJS9_EEE10hipError_tPvRmT3_T4_T5_T6_T7_T9_mT8_P12ihipStream_tbDpT10_ENKUlT_T0_E_clISt17integral_constantIbLb0EES1A_EEDaS15_S16_EUlS15_E_NS1_11comp_targetILNS1_3genE3ELNS1_11target_archE908ELNS1_3gpuE7ELNS1_3repE0EEENS1_30default_config_static_selectorELNS0_4arch9wavefront6targetE1EEEvT1_
; %bb.0:
	.section	.rodata,"a",@progbits
	.p2align	6, 0x0
	.amdhsa_kernel _ZN7rocprim17ROCPRIM_400000_NS6detail17trampoline_kernelINS0_14default_configENS1_25partition_config_selectorILNS1_17partition_subalgoE9EllbEEZZNS1_14partition_implILS5_9ELb0ES3_jPlS8_PNS0_10empty_typeENS0_5tupleIJS8_S9_EEENSB_IJS8_SA_EEENS0_18inequality_wrapperIZN2at6native12_GLOBAL__N_124unique_dim_cuda_templateItEESt5tupleIJNSF_6TensorESK_SK_EERKSK_lbbbEUlllE0_EEPmJS9_EEE10hipError_tPvRmT3_T4_T5_T6_T7_T9_mT8_P12ihipStream_tbDpT10_ENKUlT_T0_E_clISt17integral_constantIbLb0EES1A_EEDaS15_S16_EUlS15_E_NS1_11comp_targetILNS1_3genE3ELNS1_11target_archE908ELNS1_3gpuE7ELNS1_3repE0EEENS1_30default_config_static_selectorELNS0_4arch9wavefront6targetE1EEEvT1_
		.amdhsa_group_segment_fixed_size 0
		.amdhsa_private_segment_fixed_size 0
		.amdhsa_kernarg_size 120
		.amdhsa_user_sgpr_count 2
		.amdhsa_user_sgpr_dispatch_ptr 0
		.amdhsa_user_sgpr_queue_ptr 0
		.amdhsa_user_sgpr_kernarg_segment_ptr 1
		.amdhsa_user_sgpr_dispatch_id 0
		.amdhsa_user_sgpr_kernarg_preload_length 0
		.amdhsa_user_sgpr_kernarg_preload_offset 0
		.amdhsa_user_sgpr_private_segment_size 0
		.amdhsa_uses_dynamic_stack 0
		.amdhsa_enable_private_segment 0
		.amdhsa_system_sgpr_workgroup_id_x 1
		.amdhsa_system_sgpr_workgroup_id_y 0
		.amdhsa_system_sgpr_workgroup_id_z 0
		.amdhsa_system_sgpr_workgroup_info 0
		.amdhsa_system_vgpr_workitem_id 0
		.amdhsa_next_free_vgpr 1
		.amdhsa_next_free_sgpr 0
		.amdhsa_accum_offset 4
		.amdhsa_reserve_vcc 0
		.amdhsa_float_round_mode_32 0
		.amdhsa_float_round_mode_16_64 0
		.amdhsa_float_denorm_mode_32 3
		.amdhsa_float_denorm_mode_16_64 3
		.amdhsa_dx10_clamp 1
		.amdhsa_ieee_mode 1
		.amdhsa_fp16_overflow 0
		.amdhsa_tg_split 0
		.amdhsa_exception_fp_ieee_invalid_op 0
		.amdhsa_exception_fp_denorm_src 0
		.amdhsa_exception_fp_ieee_div_zero 0
		.amdhsa_exception_fp_ieee_overflow 0
		.amdhsa_exception_fp_ieee_underflow 0
		.amdhsa_exception_fp_ieee_inexact 0
		.amdhsa_exception_int_div_zero 0
	.end_amdhsa_kernel
	.section	.text._ZN7rocprim17ROCPRIM_400000_NS6detail17trampoline_kernelINS0_14default_configENS1_25partition_config_selectorILNS1_17partition_subalgoE9EllbEEZZNS1_14partition_implILS5_9ELb0ES3_jPlS8_PNS0_10empty_typeENS0_5tupleIJS8_S9_EEENSB_IJS8_SA_EEENS0_18inequality_wrapperIZN2at6native12_GLOBAL__N_124unique_dim_cuda_templateItEESt5tupleIJNSF_6TensorESK_SK_EERKSK_lbbbEUlllE0_EEPmJS9_EEE10hipError_tPvRmT3_T4_T5_T6_T7_T9_mT8_P12ihipStream_tbDpT10_ENKUlT_T0_E_clISt17integral_constantIbLb0EES1A_EEDaS15_S16_EUlS15_E_NS1_11comp_targetILNS1_3genE3ELNS1_11target_archE908ELNS1_3gpuE7ELNS1_3repE0EEENS1_30default_config_static_selectorELNS0_4arch9wavefront6targetE1EEEvT1_,"axG",@progbits,_ZN7rocprim17ROCPRIM_400000_NS6detail17trampoline_kernelINS0_14default_configENS1_25partition_config_selectorILNS1_17partition_subalgoE9EllbEEZZNS1_14partition_implILS5_9ELb0ES3_jPlS8_PNS0_10empty_typeENS0_5tupleIJS8_S9_EEENSB_IJS8_SA_EEENS0_18inequality_wrapperIZN2at6native12_GLOBAL__N_124unique_dim_cuda_templateItEESt5tupleIJNSF_6TensorESK_SK_EERKSK_lbbbEUlllE0_EEPmJS9_EEE10hipError_tPvRmT3_T4_T5_T6_T7_T9_mT8_P12ihipStream_tbDpT10_ENKUlT_T0_E_clISt17integral_constantIbLb0EES1A_EEDaS15_S16_EUlS15_E_NS1_11comp_targetILNS1_3genE3ELNS1_11target_archE908ELNS1_3gpuE7ELNS1_3repE0EEENS1_30default_config_static_selectorELNS0_4arch9wavefront6targetE1EEEvT1_,comdat
.Lfunc_end1463:
	.size	_ZN7rocprim17ROCPRIM_400000_NS6detail17trampoline_kernelINS0_14default_configENS1_25partition_config_selectorILNS1_17partition_subalgoE9EllbEEZZNS1_14partition_implILS5_9ELb0ES3_jPlS8_PNS0_10empty_typeENS0_5tupleIJS8_S9_EEENSB_IJS8_SA_EEENS0_18inequality_wrapperIZN2at6native12_GLOBAL__N_124unique_dim_cuda_templateItEESt5tupleIJNSF_6TensorESK_SK_EERKSK_lbbbEUlllE0_EEPmJS9_EEE10hipError_tPvRmT3_T4_T5_T6_T7_T9_mT8_P12ihipStream_tbDpT10_ENKUlT_T0_E_clISt17integral_constantIbLb0EES1A_EEDaS15_S16_EUlS15_E_NS1_11comp_targetILNS1_3genE3ELNS1_11target_archE908ELNS1_3gpuE7ELNS1_3repE0EEENS1_30default_config_static_selectorELNS0_4arch9wavefront6targetE1EEEvT1_, .Lfunc_end1463-_ZN7rocprim17ROCPRIM_400000_NS6detail17trampoline_kernelINS0_14default_configENS1_25partition_config_selectorILNS1_17partition_subalgoE9EllbEEZZNS1_14partition_implILS5_9ELb0ES3_jPlS8_PNS0_10empty_typeENS0_5tupleIJS8_S9_EEENSB_IJS8_SA_EEENS0_18inequality_wrapperIZN2at6native12_GLOBAL__N_124unique_dim_cuda_templateItEESt5tupleIJNSF_6TensorESK_SK_EERKSK_lbbbEUlllE0_EEPmJS9_EEE10hipError_tPvRmT3_T4_T5_T6_T7_T9_mT8_P12ihipStream_tbDpT10_ENKUlT_T0_E_clISt17integral_constantIbLb0EES1A_EEDaS15_S16_EUlS15_E_NS1_11comp_targetILNS1_3genE3ELNS1_11target_archE908ELNS1_3gpuE7ELNS1_3repE0EEENS1_30default_config_static_selectorELNS0_4arch9wavefront6targetE1EEEvT1_
                                        ; -- End function
	.section	.AMDGPU.csdata,"",@progbits
; Kernel info:
; codeLenInByte = 0
; NumSgprs: 6
; NumVgprs: 0
; NumAgprs: 0
; TotalNumVgprs: 0
; ScratchSize: 0
; MemoryBound: 0
; FloatMode: 240
; IeeeMode: 1
; LDSByteSize: 0 bytes/workgroup (compile time only)
; SGPRBlocks: 0
; VGPRBlocks: 0
; NumSGPRsForWavesPerEU: 6
; NumVGPRsForWavesPerEU: 1
; AccumOffset: 4
; Occupancy: 8
; WaveLimiterHint : 0
; COMPUTE_PGM_RSRC2:SCRATCH_EN: 0
; COMPUTE_PGM_RSRC2:USER_SGPR: 2
; COMPUTE_PGM_RSRC2:TRAP_HANDLER: 0
; COMPUTE_PGM_RSRC2:TGID_X_EN: 1
; COMPUTE_PGM_RSRC2:TGID_Y_EN: 0
; COMPUTE_PGM_RSRC2:TGID_Z_EN: 0
; COMPUTE_PGM_RSRC2:TIDIG_COMP_CNT: 0
; COMPUTE_PGM_RSRC3_GFX90A:ACCUM_OFFSET: 0
; COMPUTE_PGM_RSRC3_GFX90A:TG_SPLIT: 0
	.section	.text._ZN7rocprim17ROCPRIM_400000_NS6detail17trampoline_kernelINS0_14default_configENS1_25partition_config_selectorILNS1_17partition_subalgoE9EllbEEZZNS1_14partition_implILS5_9ELb0ES3_jPlS8_PNS0_10empty_typeENS0_5tupleIJS8_S9_EEENSB_IJS8_SA_EEENS0_18inequality_wrapperIZN2at6native12_GLOBAL__N_124unique_dim_cuda_templateItEESt5tupleIJNSF_6TensorESK_SK_EERKSK_lbbbEUlllE0_EEPmJS9_EEE10hipError_tPvRmT3_T4_T5_T6_T7_T9_mT8_P12ihipStream_tbDpT10_ENKUlT_T0_E_clISt17integral_constantIbLb0EES1A_EEDaS15_S16_EUlS15_E_NS1_11comp_targetILNS1_3genE2ELNS1_11target_archE906ELNS1_3gpuE6ELNS1_3repE0EEENS1_30default_config_static_selectorELNS0_4arch9wavefront6targetE1EEEvT1_,"axG",@progbits,_ZN7rocprim17ROCPRIM_400000_NS6detail17trampoline_kernelINS0_14default_configENS1_25partition_config_selectorILNS1_17partition_subalgoE9EllbEEZZNS1_14partition_implILS5_9ELb0ES3_jPlS8_PNS0_10empty_typeENS0_5tupleIJS8_S9_EEENSB_IJS8_SA_EEENS0_18inequality_wrapperIZN2at6native12_GLOBAL__N_124unique_dim_cuda_templateItEESt5tupleIJNSF_6TensorESK_SK_EERKSK_lbbbEUlllE0_EEPmJS9_EEE10hipError_tPvRmT3_T4_T5_T6_T7_T9_mT8_P12ihipStream_tbDpT10_ENKUlT_T0_E_clISt17integral_constantIbLb0EES1A_EEDaS15_S16_EUlS15_E_NS1_11comp_targetILNS1_3genE2ELNS1_11target_archE906ELNS1_3gpuE6ELNS1_3repE0EEENS1_30default_config_static_selectorELNS0_4arch9wavefront6targetE1EEEvT1_,comdat
	.globl	_ZN7rocprim17ROCPRIM_400000_NS6detail17trampoline_kernelINS0_14default_configENS1_25partition_config_selectorILNS1_17partition_subalgoE9EllbEEZZNS1_14partition_implILS5_9ELb0ES3_jPlS8_PNS0_10empty_typeENS0_5tupleIJS8_S9_EEENSB_IJS8_SA_EEENS0_18inequality_wrapperIZN2at6native12_GLOBAL__N_124unique_dim_cuda_templateItEESt5tupleIJNSF_6TensorESK_SK_EERKSK_lbbbEUlllE0_EEPmJS9_EEE10hipError_tPvRmT3_T4_T5_T6_T7_T9_mT8_P12ihipStream_tbDpT10_ENKUlT_T0_E_clISt17integral_constantIbLb0EES1A_EEDaS15_S16_EUlS15_E_NS1_11comp_targetILNS1_3genE2ELNS1_11target_archE906ELNS1_3gpuE6ELNS1_3repE0EEENS1_30default_config_static_selectorELNS0_4arch9wavefront6targetE1EEEvT1_ ; -- Begin function _ZN7rocprim17ROCPRIM_400000_NS6detail17trampoline_kernelINS0_14default_configENS1_25partition_config_selectorILNS1_17partition_subalgoE9EllbEEZZNS1_14partition_implILS5_9ELb0ES3_jPlS8_PNS0_10empty_typeENS0_5tupleIJS8_S9_EEENSB_IJS8_SA_EEENS0_18inequality_wrapperIZN2at6native12_GLOBAL__N_124unique_dim_cuda_templateItEESt5tupleIJNSF_6TensorESK_SK_EERKSK_lbbbEUlllE0_EEPmJS9_EEE10hipError_tPvRmT3_T4_T5_T6_T7_T9_mT8_P12ihipStream_tbDpT10_ENKUlT_T0_E_clISt17integral_constantIbLb0EES1A_EEDaS15_S16_EUlS15_E_NS1_11comp_targetILNS1_3genE2ELNS1_11target_archE906ELNS1_3gpuE6ELNS1_3repE0EEENS1_30default_config_static_selectorELNS0_4arch9wavefront6targetE1EEEvT1_
	.p2align	8
	.type	_ZN7rocprim17ROCPRIM_400000_NS6detail17trampoline_kernelINS0_14default_configENS1_25partition_config_selectorILNS1_17partition_subalgoE9EllbEEZZNS1_14partition_implILS5_9ELb0ES3_jPlS8_PNS0_10empty_typeENS0_5tupleIJS8_S9_EEENSB_IJS8_SA_EEENS0_18inequality_wrapperIZN2at6native12_GLOBAL__N_124unique_dim_cuda_templateItEESt5tupleIJNSF_6TensorESK_SK_EERKSK_lbbbEUlllE0_EEPmJS9_EEE10hipError_tPvRmT3_T4_T5_T6_T7_T9_mT8_P12ihipStream_tbDpT10_ENKUlT_T0_E_clISt17integral_constantIbLb0EES1A_EEDaS15_S16_EUlS15_E_NS1_11comp_targetILNS1_3genE2ELNS1_11target_archE906ELNS1_3gpuE6ELNS1_3repE0EEENS1_30default_config_static_selectorELNS0_4arch9wavefront6targetE1EEEvT1_,@function
_ZN7rocprim17ROCPRIM_400000_NS6detail17trampoline_kernelINS0_14default_configENS1_25partition_config_selectorILNS1_17partition_subalgoE9EllbEEZZNS1_14partition_implILS5_9ELb0ES3_jPlS8_PNS0_10empty_typeENS0_5tupleIJS8_S9_EEENSB_IJS8_SA_EEENS0_18inequality_wrapperIZN2at6native12_GLOBAL__N_124unique_dim_cuda_templateItEESt5tupleIJNSF_6TensorESK_SK_EERKSK_lbbbEUlllE0_EEPmJS9_EEE10hipError_tPvRmT3_T4_T5_T6_T7_T9_mT8_P12ihipStream_tbDpT10_ENKUlT_T0_E_clISt17integral_constantIbLb0EES1A_EEDaS15_S16_EUlS15_E_NS1_11comp_targetILNS1_3genE2ELNS1_11target_archE906ELNS1_3gpuE6ELNS1_3repE0EEENS1_30default_config_static_selectorELNS0_4arch9wavefront6targetE1EEEvT1_: ; @_ZN7rocprim17ROCPRIM_400000_NS6detail17trampoline_kernelINS0_14default_configENS1_25partition_config_selectorILNS1_17partition_subalgoE9EllbEEZZNS1_14partition_implILS5_9ELb0ES3_jPlS8_PNS0_10empty_typeENS0_5tupleIJS8_S9_EEENSB_IJS8_SA_EEENS0_18inequality_wrapperIZN2at6native12_GLOBAL__N_124unique_dim_cuda_templateItEESt5tupleIJNSF_6TensorESK_SK_EERKSK_lbbbEUlllE0_EEPmJS9_EEE10hipError_tPvRmT3_T4_T5_T6_T7_T9_mT8_P12ihipStream_tbDpT10_ENKUlT_T0_E_clISt17integral_constantIbLb0EES1A_EEDaS15_S16_EUlS15_E_NS1_11comp_targetILNS1_3genE2ELNS1_11target_archE906ELNS1_3gpuE6ELNS1_3repE0EEENS1_30default_config_static_selectorELNS0_4arch9wavefront6targetE1EEEvT1_
; %bb.0:
	.section	.rodata,"a",@progbits
	.p2align	6, 0x0
	.amdhsa_kernel _ZN7rocprim17ROCPRIM_400000_NS6detail17trampoline_kernelINS0_14default_configENS1_25partition_config_selectorILNS1_17partition_subalgoE9EllbEEZZNS1_14partition_implILS5_9ELb0ES3_jPlS8_PNS0_10empty_typeENS0_5tupleIJS8_S9_EEENSB_IJS8_SA_EEENS0_18inequality_wrapperIZN2at6native12_GLOBAL__N_124unique_dim_cuda_templateItEESt5tupleIJNSF_6TensorESK_SK_EERKSK_lbbbEUlllE0_EEPmJS9_EEE10hipError_tPvRmT3_T4_T5_T6_T7_T9_mT8_P12ihipStream_tbDpT10_ENKUlT_T0_E_clISt17integral_constantIbLb0EES1A_EEDaS15_S16_EUlS15_E_NS1_11comp_targetILNS1_3genE2ELNS1_11target_archE906ELNS1_3gpuE6ELNS1_3repE0EEENS1_30default_config_static_selectorELNS0_4arch9wavefront6targetE1EEEvT1_
		.amdhsa_group_segment_fixed_size 0
		.amdhsa_private_segment_fixed_size 0
		.amdhsa_kernarg_size 120
		.amdhsa_user_sgpr_count 2
		.amdhsa_user_sgpr_dispatch_ptr 0
		.amdhsa_user_sgpr_queue_ptr 0
		.amdhsa_user_sgpr_kernarg_segment_ptr 1
		.amdhsa_user_sgpr_dispatch_id 0
		.amdhsa_user_sgpr_kernarg_preload_length 0
		.amdhsa_user_sgpr_kernarg_preload_offset 0
		.amdhsa_user_sgpr_private_segment_size 0
		.amdhsa_uses_dynamic_stack 0
		.amdhsa_enable_private_segment 0
		.amdhsa_system_sgpr_workgroup_id_x 1
		.amdhsa_system_sgpr_workgroup_id_y 0
		.amdhsa_system_sgpr_workgroup_id_z 0
		.amdhsa_system_sgpr_workgroup_info 0
		.amdhsa_system_vgpr_workitem_id 0
		.amdhsa_next_free_vgpr 1
		.amdhsa_next_free_sgpr 0
		.amdhsa_accum_offset 4
		.amdhsa_reserve_vcc 0
		.amdhsa_float_round_mode_32 0
		.amdhsa_float_round_mode_16_64 0
		.amdhsa_float_denorm_mode_32 3
		.amdhsa_float_denorm_mode_16_64 3
		.amdhsa_dx10_clamp 1
		.amdhsa_ieee_mode 1
		.amdhsa_fp16_overflow 0
		.amdhsa_tg_split 0
		.amdhsa_exception_fp_ieee_invalid_op 0
		.amdhsa_exception_fp_denorm_src 0
		.amdhsa_exception_fp_ieee_div_zero 0
		.amdhsa_exception_fp_ieee_overflow 0
		.amdhsa_exception_fp_ieee_underflow 0
		.amdhsa_exception_fp_ieee_inexact 0
		.amdhsa_exception_int_div_zero 0
	.end_amdhsa_kernel
	.section	.text._ZN7rocprim17ROCPRIM_400000_NS6detail17trampoline_kernelINS0_14default_configENS1_25partition_config_selectorILNS1_17partition_subalgoE9EllbEEZZNS1_14partition_implILS5_9ELb0ES3_jPlS8_PNS0_10empty_typeENS0_5tupleIJS8_S9_EEENSB_IJS8_SA_EEENS0_18inequality_wrapperIZN2at6native12_GLOBAL__N_124unique_dim_cuda_templateItEESt5tupleIJNSF_6TensorESK_SK_EERKSK_lbbbEUlllE0_EEPmJS9_EEE10hipError_tPvRmT3_T4_T5_T6_T7_T9_mT8_P12ihipStream_tbDpT10_ENKUlT_T0_E_clISt17integral_constantIbLb0EES1A_EEDaS15_S16_EUlS15_E_NS1_11comp_targetILNS1_3genE2ELNS1_11target_archE906ELNS1_3gpuE6ELNS1_3repE0EEENS1_30default_config_static_selectorELNS0_4arch9wavefront6targetE1EEEvT1_,"axG",@progbits,_ZN7rocprim17ROCPRIM_400000_NS6detail17trampoline_kernelINS0_14default_configENS1_25partition_config_selectorILNS1_17partition_subalgoE9EllbEEZZNS1_14partition_implILS5_9ELb0ES3_jPlS8_PNS0_10empty_typeENS0_5tupleIJS8_S9_EEENSB_IJS8_SA_EEENS0_18inequality_wrapperIZN2at6native12_GLOBAL__N_124unique_dim_cuda_templateItEESt5tupleIJNSF_6TensorESK_SK_EERKSK_lbbbEUlllE0_EEPmJS9_EEE10hipError_tPvRmT3_T4_T5_T6_T7_T9_mT8_P12ihipStream_tbDpT10_ENKUlT_T0_E_clISt17integral_constantIbLb0EES1A_EEDaS15_S16_EUlS15_E_NS1_11comp_targetILNS1_3genE2ELNS1_11target_archE906ELNS1_3gpuE6ELNS1_3repE0EEENS1_30default_config_static_selectorELNS0_4arch9wavefront6targetE1EEEvT1_,comdat
.Lfunc_end1464:
	.size	_ZN7rocprim17ROCPRIM_400000_NS6detail17trampoline_kernelINS0_14default_configENS1_25partition_config_selectorILNS1_17partition_subalgoE9EllbEEZZNS1_14partition_implILS5_9ELb0ES3_jPlS8_PNS0_10empty_typeENS0_5tupleIJS8_S9_EEENSB_IJS8_SA_EEENS0_18inequality_wrapperIZN2at6native12_GLOBAL__N_124unique_dim_cuda_templateItEESt5tupleIJNSF_6TensorESK_SK_EERKSK_lbbbEUlllE0_EEPmJS9_EEE10hipError_tPvRmT3_T4_T5_T6_T7_T9_mT8_P12ihipStream_tbDpT10_ENKUlT_T0_E_clISt17integral_constantIbLb0EES1A_EEDaS15_S16_EUlS15_E_NS1_11comp_targetILNS1_3genE2ELNS1_11target_archE906ELNS1_3gpuE6ELNS1_3repE0EEENS1_30default_config_static_selectorELNS0_4arch9wavefront6targetE1EEEvT1_, .Lfunc_end1464-_ZN7rocprim17ROCPRIM_400000_NS6detail17trampoline_kernelINS0_14default_configENS1_25partition_config_selectorILNS1_17partition_subalgoE9EllbEEZZNS1_14partition_implILS5_9ELb0ES3_jPlS8_PNS0_10empty_typeENS0_5tupleIJS8_S9_EEENSB_IJS8_SA_EEENS0_18inequality_wrapperIZN2at6native12_GLOBAL__N_124unique_dim_cuda_templateItEESt5tupleIJNSF_6TensorESK_SK_EERKSK_lbbbEUlllE0_EEPmJS9_EEE10hipError_tPvRmT3_T4_T5_T6_T7_T9_mT8_P12ihipStream_tbDpT10_ENKUlT_T0_E_clISt17integral_constantIbLb0EES1A_EEDaS15_S16_EUlS15_E_NS1_11comp_targetILNS1_3genE2ELNS1_11target_archE906ELNS1_3gpuE6ELNS1_3repE0EEENS1_30default_config_static_selectorELNS0_4arch9wavefront6targetE1EEEvT1_
                                        ; -- End function
	.section	.AMDGPU.csdata,"",@progbits
; Kernel info:
; codeLenInByte = 0
; NumSgprs: 6
; NumVgprs: 0
; NumAgprs: 0
; TotalNumVgprs: 0
; ScratchSize: 0
; MemoryBound: 0
; FloatMode: 240
; IeeeMode: 1
; LDSByteSize: 0 bytes/workgroup (compile time only)
; SGPRBlocks: 0
; VGPRBlocks: 0
; NumSGPRsForWavesPerEU: 6
; NumVGPRsForWavesPerEU: 1
; AccumOffset: 4
; Occupancy: 8
; WaveLimiterHint : 0
; COMPUTE_PGM_RSRC2:SCRATCH_EN: 0
; COMPUTE_PGM_RSRC2:USER_SGPR: 2
; COMPUTE_PGM_RSRC2:TRAP_HANDLER: 0
; COMPUTE_PGM_RSRC2:TGID_X_EN: 1
; COMPUTE_PGM_RSRC2:TGID_Y_EN: 0
; COMPUTE_PGM_RSRC2:TGID_Z_EN: 0
; COMPUTE_PGM_RSRC2:TIDIG_COMP_CNT: 0
; COMPUTE_PGM_RSRC3_GFX90A:ACCUM_OFFSET: 0
; COMPUTE_PGM_RSRC3_GFX90A:TG_SPLIT: 0
	.section	.text._ZN7rocprim17ROCPRIM_400000_NS6detail17trampoline_kernelINS0_14default_configENS1_25partition_config_selectorILNS1_17partition_subalgoE9EllbEEZZNS1_14partition_implILS5_9ELb0ES3_jPlS8_PNS0_10empty_typeENS0_5tupleIJS8_S9_EEENSB_IJS8_SA_EEENS0_18inequality_wrapperIZN2at6native12_GLOBAL__N_124unique_dim_cuda_templateItEESt5tupleIJNSF_6TensorESK_SK_EERKSK_lbbbEUlllE0_EEPmJS9_EEE10hipError_tPvRmT3_T4_T5_T6_T7_T9_mT8_P12ihipStream_tbDpT10_ENKUlT_T0_E_clISt17integral_constantIbLb0EES1A_EEDaS15_S16_EUlS15_E_NS1_11comp_targetILNS1_3genE10ELNS1_11target_archE1200ELNS1_3gpuE4ELNS1_3repE0EEENS1_30default_config_static_selectorELNS0_4arch9wavefront6targetE1EEEvT1_,"axG",@progbits,_ZN7rocprim17ROCPRIM_400000_NS6detail17trampoline_kernelINS0_14default_configENS1_25partition_config_selectorILNS1_17partition_subalgoE9EllbEEZZNS1_14partition_implILS5_9ELb0ES3_jPlS8_PNS0_10empty_typeENS0_5tupleIJS8_S9_EEENSB_IJS8_SA_EEENS0_18inequality_wrapperIZN2at6native12_GLOBAL__N_124unique_dim_cuda_templateItEESt5tupleIJNSF_6TensorESK_SK_EERKSK_lbbbEUlllE0_EEPmJS9_EEE10hipError_tPvRmT3_T4_T5_T6_T7_T9_mT8_P12ihipStream_tbDpT10_ENKUlT_T0_E_clISt17integral_constantIbLb0EES1A_EEDaS15_S16_EUlS15_E_NS1_11comp_targetILNS1_3genE10ELNS1_11target_archE1200ELNS1_3gpuE4ELNS1_3repE0EEENS1_30default_config_static_selectorELNS0_4arch9wavefront6targetE1EEEvT1_,comdat
	.globl	_ZN7rocprim17ROCPRIM_400000_NS6detail17trampoline_kernelINS0_14default_configENS1_25partition_config_selectorILNS1_17partition_subalgoE9EllbEEZZNS1_14partition_implILS5_9ELb0ES3_jPlS8_PNS0_10empty_typeENS0_5tupleIJS8_S9_EEENSB_IJS8_SA_EEENS0_18inequality_wrapperIZN2at6native12_GLOBAL__N_124unique_dim_cuda_templateItEESt5tupleIJNSF_6TensorESK_SK_EERKSK_lbbbEUlllE0_EEPmJS9_EEE10hipError_tPvRmT3_T4_T5_T6_T7_T9_mT8_P12ihipStream_tbDpT10_ENKUlT_T0_E_clISt17integral_constantIbLb0EES1A_EEDaS15_S16_EUlS15_E_NS1_11comp_targetILNS1_3genE10ELNS1_11target_archE1200ELNS1_3gpuE4ELNS1_3repE0EEENS1_30default_config_static_selectorELNS0_4arch9wavefront6targetE1EEEvT1_ ; -- Begin function _ZN7rocprim17ROCPRIM_400000_NS6detail17trampoline_kernelINS0_14default_configENS1_25partition_config_selectorILNS1_17partition_subalgoE9EllbEEZZNS1_14partition_implILS5_9ELb0ES3_jPlS8_PNS0_10empty_typeENS0_5tupleIJS8_S9_EEENSB_IJS8_SA_EEENS0_18inequality_wrapperIZN2at6native12_GLOBAL__N_124unique_dim_cuda_templateItEESt5tupleIJNSF_6TensorESK_SK_EERKSK_lbbbEUlllE0_EEPmJS9_EEE10hipError_tPvRmT3_T4_T5_T6_T7_T9_mT8_P12ihipStream_tbDpT10_ENKUlT_T0_E_clISt17integral_constantIbLb0EES1A_EEDaS15_S16_EUlS15_E_NS1_11comp_targetILNS1_3genE10ELNS1_11target_archE1200ELNS1_3gpuE4ELNS1_3repE0EEENS1_30default_config_static_selectorELNS0_4arch9wavefront6targetE1EEEvT1_
	.p2align	8
	.type	_ZN7rocprim17ROCPRIM_400000_NS6detail17trampoline_kernelINS0_14default_configENS1_25partition_config_selectorILNS1_17partition_subalgoE9EllbEEZZNS1_14partition_implILS5_9ELb0ES3_jPlS8_PNS0_10empty_typeENS0_5tupleIJS8_S9_EEENSB_IJS8_SA_EEENS0_18inequality_wrapperIZN2at6native12_GLOBAL__N_124unique_dim_cuda_templateItEESt5tupleIJNSF_6TensorESK_SK_EERKSK_lbbbEUlllE0_EEPmJS9_EEE10hipError_tPvRmT3_T4_T5_T6_T7_T9_mT8_P12ihipStream_tbDpT10_ENKUlT_T0_E_clISt17integral_constantIbLb0EES1A_EEDaS15_S16_EUlS15_E_NS1_11comp_targetILNS1_3genE10ELNS1_11target_archE1200ELNS1_3gpuE4ELNS1_3repE0EEENS1_30default_config_static_selectorELNS0_4arch9wavefront6targetE1EEEvT1_,@function
_ZN7rocprim17ROCPRIM_400000_NS6detail17trampoline_kernelINS0_14default_configENS1_25partition_config_selectorILNS1_17partition_subalgoE9EllbEEZZNS1_14partition_implILS5_9ELb0ES3_jPlS8_PNS0_10empty_typeENS0_5tupleIJS8_S9_EEENSB_IJS8_SA_EEENS0_18inequality_wrapperIZN2at6native12_GLOBAL__N_124unique_dim_cuda_templateItEESt5tupleIJNSF_6TensorESK_SK_EERKSK_lbbbEUlllE0_EEPmJS9_EEE10hipError_tPvRmT3_T4_T5_T6_T7_T9_mT8_P12ihipStream_tbDpT10_ENKUlT_T0_E_clISt17integral_constantIbLb0EES1A_EEDaS15_S16_EUlS15_E_NS1_11comp_targetILNS1_3genE10ELNS1_11target_archE1200ELNS1_3gpuE4ELNS1_3repE0EEENS1_30default_config_static_selectorELNS0_4arch9wavefront6targetE1EEEvT1_: ; @_ZN7rocprim17ROCPRIM_400000_NS6detail17trampoline_kernelINS0_14default_configENS1_25partition_config_selectorILNS1_17partition_subalgoE9EllbEEZZNS1_14partition_implILS5_9ELb0ES3_jPlS8_PNS0_10empty_typeENS0_5tupleIJS8_S9_EEENSB_IJS8_SA_EEENS0_18inequality_wrapperIZN2at6native12_GLOBAL__N_124unique_dim_cuda_templateItEESt5tupleIJNSF_6TensorESK_SK_EERKSK_lbbbEUlllE0_EEPmJS9_EEE10hipError_tPvRmT3_T4_T5_T6_T7_T9_mT8_P12ihipStream_tbDpT10_ENKUlT_T0_E_clISt17integral_constantIbLb0EES1A_EEDaS15_S16_EUlS15_E_NS1_11comp_targetILNS1_3genE10ELNS1_11target_archE1200ELNS1_3gpuE4ELNS1_3repE0EEENS1_30default_config_static_selectorELNS0_4arch9wavefront6targetE1EEEvT1_
; %bb.0:
	.section	.rodata,"a",@progbits
	.p2align	6, 0x0
	.amdhsa_kernel _ZN7rocprim17ROCPRIM_400000_NS6detail17trampoline_kernelINS0_14default_configENS1_25partition_config_selectorILNS1_17partition_subalgoE9EllbEEZZNS1_14partition_implILS5_9ELb0ES3_jPlS8_PNS0_10empty_typeENS0_5tupleIJS8_S9_EEENSB_IJS8_SA_EEENS0_18inequality_wrapperIZN2at6native12_GLOBAL__N_124unique_dim_cuda_templateItEESt5tupleIJNSF_6TensorESK_SK_EERKSK_lbbbEUlllE0_EEPmJS9_EEE10hipError_tPvRmT3_T4_T5_T6_T7_T9_mT8_P12ihipStream_tbDpT10_ENKUlT_T0_E_clISt17integral_constantIbLb0EES1A_EEDaS15_S16_EUlS15_E_NS1_11comp_targetILNS1_3genE10ELNS1_11target_archE1200ELNS1_3gpuE4ELNS1_3repE0EEENS1_30default_config_static_selectorELNS0_4arch9wavefront6targetE1EEEvT1_
		.amdhsa_group_segment_fixed_size 0
		.amdhsa_private_segment_fixed_size 0
		.amdhsa_kernarg_size 120
		.amdhsa_user_sgpr_count 2
		.amdhsa_user_sgpr_dispatch_ptr 0
		.amdhsa_user_sgpr_queue_ptr 0
		.amdhsa_user_sgpr_kernarg_segment_ptr 1
		.amdhsa_user_sgpr_dispatch_id 0
		.amdhsa_user_sgpr_kernarg_preload_length 0
		.amdhsa_user_sgpr_kernarg_preload_offset 0
		.amdhsa_user_sgpr_private_segment_size 0
		.amdhsa_uses_dynamic_stack 0
		.amdhsa_enable_private_segment 0
		.amdhsa_system_sgpr_workgroup_id_x 1
		.amdhsa_system_sgpr_workgroup_id_y 0
		.amdhsa_system_sgpr_workgroup_id_z 0
		.amdhsa_system_sgpr_workgroup_info 0
		.amdhsa_system_vgpr_workitem_id 0
		.amdhsa_next_free_vgpr 1
		.amdhsa_next_free_sgpr 0
		.amdhsa_accum_offset 4
		.amdhsa_reserve_vcc 0
		.amdhsa_float_round_mode_32 0
		.amdhsa_float_round_mode_16_64 0
		.amdhsa_float_denorm_mode_32 3
		.amdhsa_float_denorm_mode_16_64 3
		.amdhsa_dx10_clamp 1
		.amdhsa_ieee_mode 1
		.amdhsa_fp16_overflow 0
		.amdhsa_tg_split 0
		.amdhsa_exception_fp_ieee_invalid_op 0
		.amdhsa_exception_fp_denorm_src 0
		.amdhsa_exception_fp_ieee_div_zero 0
		.amdhsa_exception_fp_ieee_overflow 0
		.amdhsa_exception_fp_ieee_underflow 0
		.amdhsa_exception_fp_ieee_inexact 0
		.amdhsa_exception_int_div_zero 0
	.end_amdhsa_kernel
	.section	.text._ZN7rocprim17ROCPRIM_400000_NS6detail17trampoline_kernelINS0_14default_configENS1_25partition_config_selectorILNS1_17partition_subalgoE9EllbEEZZNS1_14partition_implILS5_9ELb0ES3_jPlS8_PNS0_10empty_typeENS0_5tupleIJS8_S9_EEENSB_IJS8_SA_EEENS0_18inequality_wrapperIZN2at6native12_GLOBAL__N_124unique_dim_cuda_templateItEESt5tupleIJNSF_6TensorESK_SK_EERKSK_lbbbEUlllE0_EEPmJS9_EEE10hipError_tPvRmT3_T4_T5_T6_T7_T9_mT8_P12ihipStream_tbDpT10_ENKUlT_T0_E_clISt17integral_constantIbLb0EES1A_EEDaS15_S16_EUlS15_E_NS1_11comp_targetILNS1_3genE10ELNS1_11target_archE1200ELNS1_3gpuE4ELNS1_3repE0EEENS1_30default_config_static_selectorELNS0_4arch9wavefront6targetE1EEEvT1_,"axG",@progbits,_ZN7rocprim17ROCPRIM_400000_NS6detail17trampoline_kernelINS0_14default_configENS1_25partition_config_selectorILNS1_17partition_subalgoE9EllbEEZZNS1_14partition_implILS5_9ELb0ES3_jPlS8_PNS0_10empty_typeENS0_5tupleIJS8_S9_EEENSB_IJS8_SA_EEENS0_18inequality_wrapperIZN2at6native12_GLOBAL__N_124unique_dim_cuda_templateItEESt5tupleIJNSF_6TensorESK_SK_EERKSK_lbbbEUlllE0_EEPmJS9_EEE10hipError_tPvRmT3_T4_T5_T6_T7_T9_mT8_P12ihipStream_tbDpT10_ENKUlT_T0_E_clISt17integral_constantIbLb0EES1A_EEDaS15_S16_EUlS15_E_NS1_11comp_targetILNS1_3genE10ELNS1_11target_archE1200ELNS1_3gpuE4ELNS1_3repE0EEENS1_30default_config_static_selectorELNS0_4arch9wavefront6targetE1EEEvT1_,comdat
.Lfunc_end1465:
	.size	_ZN7rocprim17ROCPRIM_400000_NS6detail17trampoline_kernelINS0_14default_configENS1_25partition_config_selectorILNS1_17partition_subalgoE9EllbEEZZNS1_14partition_implILS5_9ELb0ES3_jPlS8_PNS0_10empty_typeENS0_5tupleIJS8_S9_EEENSB_IJS8_SA_EEENS0_18inequality_wrapperIZN2at6native12_GLOBAL__N_124unique_dim_cuda_templateItEESt5tupleIJNSF_6TensorESK_SK_EERKSK_lbbbEUlllE0_EEPmJS9_EEE10hipError_tPvRmT3_T4_T5_T6_T7_T9_mT8_P12ihipStream_tbDpT10_ENKUlT_T0_E_clISt17integral_constantIbLb0EES1A_EEDaS15_S16_EUlS15_E_NS1_11comp_targetILNS1_3genE10ELNS1_11target_archE1200ELNS1_3gpuE4ELNS1_3repE0EEENS1_30default_config_static_selectorELNS0_4arch9wavefront6targetE1EEEvT1_, .Lfunc_end1465-_ZN7rocprim17ROCPRIM_400000_NS6detail17trampoline_kernelINS0_14default_configENS1_25partition_config_selectorILNS1_17partition_subalgoE9EllbEEZZNS1_14partition_implILS5_9ELb0ES3_jPlS8_PNS0_10empty_typeENS0_5tupleIJS8_S9_EEENSB_IJS8_SA_EEENS0_18inequality_wrapperIZN2at6native12_GLOBAL__N_124unique_dim_cuda_templateItEESt5tupleIJNSF_6TensorESK_SK_EERKSK_lbbbEUlllE0_EEPmJS9_EEE10hipError_tPvRmT3_T4_T5_T6_T7_T9_mT8_P12ihipStream_tbDpT10_ENKUlT_T0_E_clISt17integral_constantIbLb0EES1A_EEDaS15_S16_EUlS15_E_NS1_11comp_targetILNS1_3genE10ELNS1_11target_archE1200ELNS1_3gpuE4ELNS1_3repE0EEENS1_30default_config_static_selectorELNS0_4arch9wavefront6targetE1EEEvT1_
                                        ; -- End function
	.section	.AMDGPU.csdata,"",@progbits
; Kernel info:
; codeLenInByte = 0
; NumSgprs: 6
; NumVgprs: 0
; NumAgprs: 0
; TotalNumVgprs: 0
; ScratchSize: 0
; MemoryBound: 0
; FloatMode: 240
; IeeeMode: 1
; LDSByteSize: 0 bytes/workgroup (compile time only)
; SGPRBlocks: 0
; VGPRBlocks: 0
; NumSGPRsForWavesPerEU: 6
; NumVGPRsForWavesPerEU: 1
; AccumOffset: 4
; Occupancy: 8
; WaveLimiterHint : 0
; COMPUTE_PGM_RSRC2:SCRATCH_EN: 0
; COMPUTE_PGM_RSRC2:USER_SGPR: 2
; COMPUTE_PGM_RSRC2:TRAP_HANDLER: 0
; COMPUTE_PGM_RSRC2:TGID_X_EN: 1
; COMPUTE_PGM_RSRC2:TGID_Y_EN: 0
; COMPUTE_PGM_RSRC2:TGID_Z_EN: 0
; COMPUTE_PGM_RSRC2:TIDIG_COMP_CNT: 0
; COMPUTE_PGM_RSRC3_GFX90A:ACCUM_OFFSET: 0
; COMPUTE_PGM_RSRC3_GFX90A:TG_SPLIT: 0
	.section	.text._ZN7rocprim17ROCPRIM_400000_NS6detail17trampoline_kernelINS0_14default_configENS1_25partition_config_selectorILNS1_17partition_subalgoE9EllbEEZZNS1_14partition_implILS5_9ELb0ES3_jPlS8_PNS0_10empty_typeENS0_5tupleIJS8_S9_EEENSB_IJS8_SA_EEENS0_18inequality_wrapperIZN2at6native12_GLOBAL__N_124unique_dim_cuda_templateItEESt5tupleIJNSF_6TensorESK_SK_EERKSK_lbbbEUlllE0_EEPmJS9_EEE10hipError_tPvRmT3_T4_T5_T6_T7_T9_mT8_P12ihipStream_tbDpT10_ENKUlT_T0_E_clISt17integral_constantIbLb0EES1A_EEDaS15_S16_EUlS15_E_NS1_11comp_targetILNS1_3genE9ELNS1_11target_archE1100ELNS1_3gpuE3ELNS1_3repE0EEENS1_30default_config_static_selectorELNS0_4arch9wavefront6targetE1EEEvT1_,"axG",@progbits,_ZN7rocprim17ROCPRIM_400000_NS6detail17trampoline_kernelINS0_14default_configENS1_25partition_config_selectorILNS1_17partition_subalgoE9EllbEEZZNS1_14partition_implILS5_9ELb0ES3_jPlS8_PNS0_10empty_typeENS0_5tupleIJS8_S9_EEENSB_IJS8_SA_EEENS0_18inequality_wrapperIZN2at6native12_GLOBAL__N_124unique_dim_cuda_templateItEESt5tupleIJNSF_6TensorESK_SK_EERKSK_lbbbEUlllE0_EEPmJS9_EEE10hipError_tPvRmT3_T4_T5_T6_T7_T9_mT8_P12ihipStream_tbDpT10_ENKUlT_T0_E_clISt17integral_constantIbLb0EES1A_EEDaS15_S16_EUlS15_E_NS1_11comp_targetILNS1_3genE9ELNS1_11target_archE1100ELNS1_3gpuE3ELNS1_3repE0EEENS1_30default_config_static_selectorELNS0_4arch9wavefront6targetE1EEEvT1_,comdat
	.globl	_ZN7rocprim17ROCPRIM_400000_NS6detail17trampoline_kernelINS0_14default_configENS1_25partition_config_selectorILNS1_17partition_subalgoE9EllbEEZZNS1_14partition_implILS5_9ELb0ES3_jPlS8_PNS0_10empty_typeENS0_5tupleIJS8_S9_EEENSB_IJS8_SA_EEENS0_18inequality_wrapperIZN2at6native12_GLOBAL__N_124unique_dim_cuda_templateItEESt5tupleIJNSF_6TensorESK_SK_EERKSK_lbbbEUlllE0_EEPmJS9_EEE10hipError_tPvRmT3_T4_T5_T6_T7_T9_mT8_P12ihipStream_tbDpT10_ENKUlT_T0_E_clISt17integral_constantIbLb0EES1A_EEDaS15_S16_EUlS15_E_NS1_11comp_targetILNS1_3genE9ELNS1_11target_archE1100ELNS1_3gpuE3ELNS1_3repE0EEENS1_30default_config_static_selectorELNS0_4arch9wavefront6targetE1EEEvT1_ ; -- Begin function _ZN7rocprim17ROCPRIM_400000_NS6detail17trampoline_kernelINS0_14default_configENS1_25partition_config_selectorILNS1_17partition_subalgoE9EllbEEZZNS1_14partition_implILS5_9ELb0ES3_jPlS8_PNS0_10empty_typeENS0_5tupleIJS8_S9_EEENSB_IJS8_SA_EEENS0_18inequality_wrapperIZN2at6native12_GLOBAL__N_124unique_dim_cuda_templateItEESt5tupleIJNSF_6TensorESK_SK_EERKSK_lbbbEUlllE0_EEPmJS9_EEE10hipError_tPvRmT3_T4_T5_T6_T7_T9_mT8_P12ihipStream_tbDpT10_ENKUlT_T0_E_clISt17integral_constantIbLb0EES1A_EEDaS15_S16_EUlS15_E_NS1_11comp_targetILNS1_3genE9ELNS1_11target_archE1100ELNS1_3gpuE3ELNS1_3repE0EEENS1_30default_config_static_selectorELNS0_4arch9wavefront6targetE1EEEvT1_
	.p2align	8
	.type	_ZN7rocprim17ROCPRIM_400000_NS6detail17trampoline_kernelINS0_14default_configENS1_25partition_config_selectorILNS1_17partition_subalgoE9EllbEEZZNS1_14partition_implILS5_9ELb0ES3_jPlS8_PNS0_10empty_typeENS0_5tupleIJS8_S9_EEENSB_IJS8_SA_EEENS0_18inequality_wrapperIZN2at6native12_GLOBAL__N_124unique_dim_cuda_templateItEESt5tupleIJNSF_6TensorESK_SK_EERKSK_lbbbEUlllE0_EEPmJS9_EEE10hipError_tPvRmT3_T4_T5_T6_T7_T9_mT8_P12ihipStream_tbDpT10_ENKUlT_T0_E_clISt17integral_constantIbLb0EES1A_EEDaS15_S16_EUlS15_E_NS1_11comp_targetILNS1_3genE9ELNS1_11target_archE1100ELNS1_3gpuE3ELNS1_3repE0EEENS1_30default_config_static_selectorELNS0_4arch9wavefront6targetE1EEEvT1_,@function
_ZN7rocprim17ROCPRIM_400000_NS6detail17trampoline_kernelINS0_14default_configENS1_25partition_config_selectorILNS1_17partition_subalgoE9EllbEEZZNS1_14partition_implILS5_9ELb0ES3_jPlS8_PNS0_10empty_typeENS0_5tupleIJS8_S9_EEENSB_IJS8_SA_EEENS0_18inequality_wrapperIZN2at6native12_GLOBAL__N_124unique_dim_cuda_templateItEESt5tupleIJNSF_6TensorESK_SK_EERKSK_lbbbEUlllE0_EEPmJS9_EEE10hipError_tPvRmT3_T4_T5_T6_T7_T9_mT8_P12ihipStream_tbDpT10_ENKUlT_T0_E_clISt17integral_constantIbLb0EES1A_EEDaS15_S16_EUlS15_E_NS1_11comp_targetILNS1_3genE9ELNS1_11target_archE1100ELNS1_3gpuE3ELNS1_3repE0EEENS1_30default_config_static_selectorELNS0_4arch9wavefront6targetE1EEEvT1_: ; @_ZN7rocprim17ROCPRIM_400000_NS6detail17trampoline_kernelINS0_14default_configENS1_25partition_config_selectorILNS1_17partition_subalgoE9EllbEEZZNS1_14partition_implILS5_9ELb0ES3_jPlS8_PNS0_10empty_typeENS0_5tupleIJS8_S9_EEENSB_IJS8_SA_EEENS0_18inequality_wrapperIZN2at6native12_GLOBAL__N_124unique_dim_cuda_templateItEESt5tupleIJNSF_6TensorESK_SK_EERKSK_lbbbEUlllE0_EEPmJS9_EEE10hipError_tPvRmT3_T4_T5_T6_T7_T9_mT8_P12ihipStream_tbDpT10_ENKUlT_T0_E_clISt17integral_constantIbLb0EES1A_EEDaS15_S16_EUlS15_E_NS1_11comp_targetILNS1_3genE9ELNS1_11target_archE1100ELNS1_3gpuE3ELNS1_3repE0EEENS1_30default_config_static_selectorELNS0_4arch9wavefront6targetE1EEEvT1_
; %bb.0:
	.section	.rodata,"a",@progbits
	.p2align	6, 0x0
	.amdhsa_kernel _ZN7rocprim17ROCPRIM_400000_NS6detail17trampoline_kernelINS0_14default_configENS1_25partition_config_selectorILNS1_17partition_subalgoE9EllbEEZZNS1_14partition_implILS5_9ELb0ES3_jPlS8_PNS0_10empty_typeENS0_5tupleIJS8_S9_EEENSB_IJS8_SA_EEENS0_18inequality_wrapperIZN2at6native12_GLOBAL__N_124unique_dim_cuda_templateItEESt5tupleIJNSF_6TensorESK_SK_EERKSK_lbbbEUlllE0_EEPmJS9_EEE10hipError_tPvRmT3_T4_T5_T6_T7_T9_mT8_P12ihipStream_tbDpT10_ENKUlT_T0_E_clISt17integral_constantIbLb0EES1A_EEDaS15_S16_EUlS15_E_NS1_11comp_targetILNS1_3genE9ELNS1_11target_archE1100ELNS1_3gpuE3ELNS1_3repE0EEENS1_30default_config_static_selectorELNS0_4arch9wavefront6targetE1EEEvT1_
		.amdhsa_group_segment_fixed_size 0
		.amdhsa_private_segment_fixed_size 0
		.amdhsa_kernarg_size 120
		.amdhsa_user_sgpr_count 2
		.amdhsa_user_sgpr_dispatch_ptr 0
		.amdhsa_user_sgpr_queue_ptr 0
		.amdhsa_user_sgpr_kernarg_segment_ptr 1
		.amdhsa_user_sgpr_dispatch_id 0
		.amdhsa_user_sgpr_kernarg_preload_length 0
		.amdhsa_user_sgpr_kernarg_preload_offset 0
		.amdhsa_user_sgpr_private_segment_size 0
		.amdhsa_uses_dynamic_stack 0
		.amdhsa_enable_private_segment 0
		.amdhsa_system_sgpr_workgroup_id_x 1
		.amdhsa_system_sgpr_workgroup_id_y 0
		.amdhsa_system_sgpr_workgroup_id_z 0
		.amdhsa_system_sgpr_workgroup_info 0
		.amdhsa_system_vgpr_workitem_id 0
		.amdhsa_next_free_vgpr 1
		.amdhsa_next_free_sgpr 0
		.amdhsa_accum_offset 4
		.amdhsa_reserve_vcc 0
		.amdhsa_float_round_mode_32 0
		.amdhsa_float_round_mode_16_64 0
		.amdhsa_float_denorm_mode_32 3
		.amdhsa_float_denorm_mode_16_64 3
		.amdhsa_dx10_clamp 1
		.amdhsa_ieee_mode 1
		.amdhsa_fp16_overflow 0
		.amdhsa_tg_split 0
		.amdhsa_exception_fp_ieee_invalid_op 0
		.amdhsa_exception_fp_denorm_src 0
		.amdhsa_exception_fp_ieee_div_zero 0
		.amdhsa_exception_fp_ieee_overflow 0
		.amdhsa_exception_fp_ieee_underflow 0
		.amdhsa_exception_fp_ieee_inexact 0
		.amdhsa_exception_int_div_zero 0
	.end_amdhsa_kernel
	.section	.text._ZN7rocprim17ROCPRIM_400000_NS6detail17trampoline_kernelINS0_14default_configENS1_25partition_config_selectorILNS1_17partition_subalgoE9EllbEEZZNS1_14partition_implILS5_9ELb0ES3_jPlS8_PNS0_10empty_typeENS0_5tupleIJS8_S9_EEENSB_IJS8_SA_EEENS0_18inequality_wrapperIZN2at6native12_GLOBAL__N_124unique_dim_cuda_templateItEESt5tupleIJNSF_6TensorESK_SK_EERKSK_lbbbEUlllE0_EEPmJS9_EEE10hipError_tPvRmT3_T4_T5_T6_T7_T9_mT8_P12ihipStream_tbDpT10_ENKUlT_T0_E_clISt17integral_constantIbLb0EES1A_EEDaS15_S16_EUlS15_E_NS1_11comp_targetILNS1_3genE9ELNS1_11target_archE1100ELNS1_3gpuE3ELNS1_3repE0EEENS1_30default_config_static_selectorELNS0_4arch9wavefront6targetE1EEEvT1_,"axG",@progbits,_ZN7rocprim17ROCPRIM_400000_NS6detail17trampoline_kernelINS0_14default_configENS1_25partition_config_selectorILNS1_17partition_subalgoE9EllbEEZZNS1_14partition_implILS5_9ELb0ES3_jPlS8_PNS0_10empty_typeENS0_5tupleIJS8_S9_EEENSB_IJS8_SA_EEENS0_18inequality_wrapperIZN2at6native12_GLOBAL__N_124unique_dim_cuda_templateItEESt5tupleIJNSF_6TensorESK_SK_EERKSK_lbbbEUlllE0_EEPmJS9_EEE10hipError_tPvRmT3_T4_T5_T6_T7_T9_mT8_P12ihipStream_tbDpT10_ENKUlT_T0_E_clISt17integral_constantIbLb0EES1A_EEDaS15_S16_EUlS15_E_NS1_11comp_targetILNS1_3genE9ELNS1_11target_archE1100ELNS1_3gpuE3ELNS1_3repE0EEENS1_30default_config_static_selectorELNS0_4arch9wavefront6targetE1EEEvT1_,comdat
.Lfunc_end1466:
	.size	_ZN7rocprim17ROCPRIM_400000_NS6detail17trampoline_kernelINS0_14default_configENS1_25partition_config_selectorILNS1_17partition_subalgoE9EllbEEZZNS1_14partition_implILS5_9ELb0ES3_jPlS8_PNS0_10empty_typeENS0_5tupleIJS8_S9_EEENSB_IJS8_SA_EEENS0_18inequality_wrapperIZN2at6native12_GLOBAL__N_124unique_dim_cuda_templateItEESt5tupleIJNSF_6TensorESK_SK_EERKSK_lbbbEUlllE0_EEPmJS9_EEE10hipError_tPvRmT3_T4_T5_T6_T7_T9_mT8_P12ihipStream_tbDpT10_ENKUlT_T0_E_clISt17integral_constantIbLb0EES1A_EEDaS15_S16_EUlS15_E_NS1_11comp_targetILNS1_3genE9ELNS1_11target_archE1100ELNS1_3gpuE3ELNS1_3repE0EEENS1_30default_config_static_selectorELNS0_4arch9wavefront6targetE1EEEvT1_, .Lfunc_end1466-_ZN7rocprim17ROCPRIM_400000_NS6detail17trampoline_kernelINS0_14default_configENS1_25partition_config_selectorILNS1_17partition_subalgoE9EllbEEZZNS1_14partition_implILS5_9ELb0ES3_jPlS8_PNS0_10empty_typeENS0_5tupleIJS8_S9_EEENSB_IJS8_SA_EEENS0_18inequality_wrapperIZN2at6native12_GLOBAL__N_124unique_dim_cuda_templateItEESt5tupleIJNSF_6TensorESK_SK_EERKSK_lbbbEUlllE0_EEPmJS9_EEE10hipError_tPvRmT3_T4_T5_T6_T7_T9_mT8_P12ihipStream_tbDpT10_ENKUlT_T0_E_clISt17integral_constantIbLb0EES1A_EEDaS15_S16_EUlS15_E_NS1_11comp_targetILNS1_3genE9ELNS1_11target_archE1100ELNS1_3gpuE3ELNS1_3repE0EEENS1_30default_config_static_selectorELNS0_4arch9wavefront6targetE1EEEvT1_
                                        ; -- End function
	.section	.AMDGPU.csdata,"",@progbits
; Kernel info:
; codeLenInByte = 0
; NumSgprs: 6
; NumVgprs: 0
; NumAgprs: 0
; TotalNumVgprs: 0
; ScratchSize: 0
; MemoryBound: 0
; FloatMode: 240
; IeeeMode: 1
; LDSByteSize: 0 bytes/workgroup (compile time only)
; SGPRBlocks: 0
; VGPRBlocks: 0
; NumSGPRsForWavesPerEU: 6
; NumVGPRsForWavesPerEU: 1
; AccumOffset: 4
; Occupancy: 8
; WaveLimiterHint : 0
; COMPUTE_PGM_RSRC2:SCRATCH_EN: 0
; COMPUTE_PGM_RSRC2:USER_SGPR: 2
; COMPUTE_PGM_RSRC2:TRAP_HANDLER: 0
; COMPUTE_PGM_RSRC2:TGID_X_EN: 1
; COMPUTE_PGM_RSRC2:TGID_Y_EN: 0
; COMPUTE_PGM_RSRC2:TGID_Z_EN: 0
; COMPUTE_PGM_RSRC2:TIDIG_COMP_CNT: 0
; COMPUTE_PGM_RSRC3_GFX90A:ACCUM_OFFSET: 0
; COMPUTE_PGM_RSRC3_GFX90A:TG_SPLIT: 0
	.section	.text._ZN7rocprim17ROCPRIM_400000_NS6detail17trampoline_kernelINS0_14default_configENS1_25partition_config_selectorILNS1_17partition_subalgoE9EllbEEZZNS1_14partition_implILS5_9ELb0ES3_jPlS8_PNS0_10empty_typeENS0_5tupleIJS8_S9_EEENSB_IJS8_SA_EEENS0_18inequality_wrapperIZN2at6native12_GLOBAL__N_124unique_dim_cuda_templateItEESt5tupleIJNSF_6TensorESK_SK_EERKSK_lbbbEUlllE0_EEPmJS9_EEE10hipError_tPvRmT3_T4_T5_T6_T7_T9_mT8_P12ihipStream_tbDpT10_ENKUlT_T0_E_clISt17integral_constantIbLb0EES1A_EEDaS15_S16_EUlS15_E_NS1_11comp_targetILNS1_3genE8ELNS1_11target_archE1030ELNS1_3gpuE2ELNS1_3repE0EEENS1_30default_config_static_selectorELNS0_4arch9wavefront6targetE1EEEvT1_,"axG",@progbits,_ZN7rocprim17ROCPRIM_400000_NS6detail17trampoline_kernelINS0_14default_configENS1_25partition_config_selectorILNS1_17partition_subalgoE9EllbEEZZNS1_14partition_implILS5_9ELb0ES3_jPlS8_PNS0_10empty_typeENS0_5tupleIJS8_S9_EEENSB_IJS8_SA_EEENS0_18inequality_wrapperIZN2at6native12_GLOBAL__N_124unique_dim_cuda_templateItEESt5tupleIJNSF_6TensorESK_SK_EERKSK_lbbbEUlllE0_EEPmJS9_EEE10hipError_tPvRmT3_T4_T5_T6_T7_T9_mT8_P12ihipStream_tbDpT10_ENKUlT_T0_E_clISt17integral_constantIbLb0EES1A_EEDaS15_S16_EUlS15_E_NS1_11comp_targetILNS1_3genE8ELNS1_11target_archE1030ELNS1_3gpuE2ELNS1_3repE0EEENS1_30default_config_static_selectorELNS0_4arch9wavefront6targetE1EEEvT1_,comdat
	.globl	_ZN7rocprim17ROCPRIM_400000_NS6detail17trampoline_kernelINS0_14default_configENS1_25partition_config_selectorILNS1_17partition_subalgoE9EllbEEZZNS1_14partition_implILS5_9ELb0ES3_jPlS8_PNS0_10empty_typeENS0_5tupleIJS8_S9_EEENSB_IJS8_SA_EEENS0_18inequality_wrapperIZN2at6native12_GLOBAL__N_124unique_dim_cuda_templateItEESt5tupleIJNSF_6TensorESK_SK_EERKSK_lbbbEUlllE0_EEPmJS9_EEE10hipError_tPvRmT3_T4_T5_T6_T7_T9_mT8_P12ihipStream_tbDpT10_ENKUlT_T0_E_clISt17integral_constantIbLb0EES1A_EEDaS15_S16_EUlS15_E_NS1_11comp_targetILNS1_3genE8ELNS1_11target_archE1030ELNS1_3gpuE2ELNS1_3repE0EEENS1_30default_config_static_selectorELNS0_4arch9wavefront6targetE1EEEvT1_ ; -- Begin function _ZN7rocprim17ROCPRIM_400000_NS6detail17trampoline_kernelINS0_14default_configENS1_25partition_config_selectorILNS1_17partition_subalgoE9EllbEEZZNS1_14partition_implILS5_9ELb0ES3_jPlS8_PNS0_10empty_typeENS0_5tupleIJS8_S9_EEENSB_IJS8_SA_EEENS0_18inequality_wrapperIZN2at6native12_GLOBAL__N_124unique_dim_cuda_templateItEESt5tupleIJNSF_6TensorESK_SK_EERKSK_lbbbEUlllE0_EEPmJS9_EEE10hipError_tPvRmT3_T4_T5_T6_T7_T9_mT8_P12ihipStream_tbDpT10_ENKUlT_T0_E_clISt17integral_constantIbLb0EES1A_EEDaS15_S16_EUlS15_E_NS1_11comp_targetILNS1_3genE8ELNS1_11target_archE1030ELNS1_3gpuE2ELNS1_3repE0EEENS1_30default_config_static_selectorELNS0_4arch9wavefront6targetE1EEEvT1_
	.p2align	8
	.type	_ZN7rocprim17ROCPRIM_400000_NS6detail17trampoline_kernelINS0_14default_configENS1_25partition_config_selectorILNS1_17partition_subalgoE9EllbEEZZNS1_14partition_implILS5_9ELb0ES3_jPlS8_PNS0_10empty_typeENS0_5tupleIJS8_S9_EEENSB_IJS8_SA_EEENS0_18inequality_wrapperIZN2at6native12_GLOBAL__N_124unique_dim_cuda_templateItEESt5tupleIJNSF_6TensorESK_SK_EERKSK_lbbbEUlllE0_EEPmJS9_EEE10hipError_tPvRmT3_T4_T5_T6_T7_T9_mT8_P12ihipStream_tbDpT10_ENKUlT_T0_E_clISt17integral_constantIbLb0EES1A_EEDaS15_S16_EUlS15_E_NS1_11comp_targetILNS1_3genE8ELNS1_11target_archE1030ELNS1_3gpuE2ELNS1_3repE0EEENS1_30default_config_static_selectorELNS0_4arch9wavefront6targetE1EEEvT1_,@function
_ZN7rocprim17ROCPRIM_400000_NS6detail17trampoline_kernelINS0_14default_configENS1_25partition_config_selectorILNS1_17partition_subalgoE9EllbEEZZNS1_14partition_implILS5_9ELb0ES3_jPlS8_PNS0_10empty_typeENS0_5tupleIJS8_S9_EEENSB_IJS8_SA_EEENS0_18inequality_wrapperIZN2at6native12_GLOBAL__N_124unique_dim_cuda_templateItEESt5tupleIJNSF_6TensorESK_SK_EERKSK_lbbbEUlllE0_EEPmJS9_EEE10hipError_tPvRmT3_T4_T5_T6_T7_T9_mT8_P12ihipStream_tbDpT10_ENKUlT_T0_E_clISt17integral_constantIbLb0EES1A_EEDaS15_S16_EUlS15_E_NS1_11comp_targetILNS1_3genE8ELNS1_11target_archE1030ELNS1_3gpuE2ELNS1_3repE0EEENS1_30default_config_static_selectorELNS0_4arch9wavefront6targetE1EEEvT1_: ; @_ZN7rocprim17ROCPRIM_400000_NS6detail17trampoline_kernelINS0_14default_configENS1_25partition_config_selectorILNS1_17partition_subalgoE9EllbEEZZNS1_14partition_implILS5_9ELb0ES3_jPlS8_PNS0_10empty_typeENS0_5tupleIJS8_S9_EEENSB_IJS8_SA_EEENS0_18inequality_wrapperIZN2at6native12_GLOBAL__N_124unique_dim_cuda_templateItEESt5tupleIJNSF_6TensorESK_SK_EERKSK_lbbbEUlllE0_EEPmJS9_EEE10hipError_tPvRmT3_T4_T5_T6_T7_T9_mT8_P12ihipStream_tbDpT10_ENKUlT_T0_E_clISt17integral_constantIbLb0EES1A_EEDaS15_S16_EUlS15_E_NS1_11comp_targetILNS1_3genE8ELNS1_11target_archE1030ELNS1_3gpuE2ELNS1_3repE0EEENS1_30default_config_static_selectorELNS0_4arch9wavefront6targetE1EEEvT1_
; %bb.0:
	.section	.rodata,"a",@progbits
	.p2align	6, 0x0
	.amdhsa_kernel _ZN7rocprim17ROCPRIM_400000_NS6detail17trampoline_kernelINS0_14default_configENS1_25partition_config_selectorILNS1_17partition_subalgoE9EllbEEZZNS1_14partition_implILS5_9ELb0ES3_jPlS8_PNS0_10empty_typeENS0_5tupleIJS8_S9_EEENSB_IJS8_SA_EEENS0_18inequality_wrapperIZN2at6native12_GLOBAL__N_124unique_dim_cuda_templateItEESt5tupleIJNSF_6TensorESK_SK_EERKSK_lbbbEUlllE0_EEPmJS9_EEE10hipError_tPvRmT3_T4_T5_T6_T7_T9_mT8_P12ihipStream_tbDpT10_ENKUlT_T0_E_clISt17integral_constantIbLb0EES1A_EEDaS15_S16_EUlS15_E_NS1_11comp_targetILNS1_3genE8ELNS1_11target_archE1030ELNS1_3gpuE2ELNS1_3repE0EEENS1_30default_config_static_selectorELNS0_4arch9wavefront6targetE1EEEvT1_
		.amdhsa_group_segment_fixed_size 0
		.amdhsa_private_segment_fixed_size 0
		.amdhsa_kernarg_size 120
		.amdhsa_user_sgpr_count 2
		.amdhsa_user_sgpr_dispatch_ptr 0
		.amdhsa_user_sgpr_queue_ptr 0
		.amdhsa_user_sgpr_kernarg_segment_ptr 1
		.amdhsa_user_sgpr_dispatch_id 0
		.amdhsa_user_sgpr_kernarg_preload_length 0
		.amdhsa_user_sgpr_kernarg_preload_offset 0
		.amdhsa_user_sgpr_private_segment_size 0
		.amdhsa_uses_dynamic_stack 0
		.amdhsa_enable_private_segment 0
		.amdhsa_system_sgpr_workgroup_id_x 1
		.amdhsa_system_sgpr_workgroup_id_y 0
		.amdhsa_system_sgpr_workgroup_id_z 0
		.amdhsa_system_sgpr_workgroup_info 0
		.amdhsa_system_vgpr_workitem_id 0
		.amdhsa_next_free_vgpr 1
		.amdhsa_next_free_sgpr 0
		.amdhsa_accum_offset 4
		.amdhsa_reserve_vcc 0
		.amdhsa_float_round_mode_32 0
		.amdhsa_float_round_mode_16_64 0
		.amdhsa_float_denorm_mode_32 3
		.amdhsa_float_denorm_mode_16_64 3
		.amdhsa_dx10_clamp 1
		.amdhsa_ieee_mode 1
		.amdhsa_fp16_overflow 0
		.amdhsa_tg_split 0
		.amdhsa_exception_fp_ieee_invalid_op 0
		.amdhsa_exception_fp_denorm_src 0
		.amdhsa_exception_fp_ieee_div_zero 0
		.amdhsa_exception_fp_ieee_overflow 0
		.amdhsa_exception_fp_ieee_underflow 0
		.amdhsa_exception_fp_ieee_inexact 0
		.amdhsa_exception_int_div_zero 0
	.end_amdhsa_kernel
	.section	.text._ZN7rocprim17ROCPRIM_400000_NS6detail17trampoline_kernelINS0_14default_configENS1_25partition_config_selectorILNS1_17partition_subalgoE9EllbEEZZNS1_14partition_implILS5_9ELb0ES3_jPlS8_PNS0_10empty_typeENS0_5tupleIJS8_S9_EEENSB_IJS8_SA_EEENS0_18inequality_wrapperIZN2at6native12_GLOBAL__N_124unique_dim_cuda_templateItEESt5tupleIJNSF_6TensorESK_SK_EERKSK_lbbbEUlllE0_EEPmJS9_EEE10hipError_tPvRmT3_T4_T5_T6_T7_T9_mT8_P12ihipStream_tbDpT10_ENKUlT_T0_E_clISt17integral_constantIbLb0EES1A_EEDaS15_S16_EUlS15_E_NS1_11comp_targetILNS1_3genE8ELNS1_11target_archE1030ELNS1_3gpuE2ELNS1_3repE0EEENS1_30default_config_static_selectorELNS0_4arch9wavefront6targetE1EEEvT1_,"axG",@progbits,_ZN7rocprim17ROCPRIM_400000_NS6detail17trampoline_kernelINS0_14default_configENS1_25partition_config_selectorILNS1_17partition_subalgoE9EllbEEZZNS1_14partition_implILS5_9ELb0ES3_jPlS8_PNS0_10empty_typeENS0_5tupleIJS8_S9_EEENSB_IJS8_SA_EEENS0_18inequality_wrapperIZN2at6native12_GLOBAL__N_124unique_dim_cuda_templateItEESt5tupleIJNSF_6TensorESK_SK_EERKSK_lbbbEUlllE0_EEPmJS9_EEE10hipError_tPvRmT3_T4_T5_T6_T7_T9_mT8_P12ihipStream_tbDpT10_ENKUlT_T0_E_clISt17integral_constantIbLb0EES1A_EEDaS15_S16_EUlS15_E_NS1_11comp_targetILNS1_3genE8ELNS1_11target_archE1030ELNS1_3gpuE2ELNS1_3repE0EEENS1_30default_config_static_selectorELNS0_4arch9wavefront6targetE1EEEvT1_,comdat
.Lfunc_end1467:
	.size	_ZN7rocprim17ROCPRIM_400000_NS6detail17trampoline_kernelINS0_14default_configENS1_25partition_config_selectorILNS1_17partition_subalgoE9EllbEEZZNS1_14partition_implILS5_9ELb0ES3_jPlS8_PNS0_10empty_typeENS0_5tupleIJS8_S9_EEENSB_IJS8_SA_EEENS0_18inequality_wrapperIZN2at6native12_GLOBAL__N_124unique_dim_cuda_templateItEESt5tupleIJNSF_6TensorESK_SK_EERKSK_lbbbEUlllE0_EEPmJS9_EEE10hipError_tPvRmT3_T4_T5_T6_T7_T9_mT8_P12ihipStream_tbDpT10_ENKUlT_T0_E_clISt17integral_constantIbLb0EES1A_EEDaS15_S16_EUlS15_E_NS1_11comp_targetILNS1_3genE8ELNS1_11target_archE1030ELNS1_3gpuE2ELNS1_3repE0EEENS1_30default_config_static_selectorELNS0_4arch9wavefront6targetE1EEEvT1_, .Lfunc_end1467-_ZN7rocprim17ROCPRIM_400000_NS6detail17trampoline_kernelINS0_14default_configENS1_25partition_config_selectorILNS1_17partition_subalgoE9EllbEEZZNS1_14partition_implILS5_9ELb0ES3_jPlS8_PNS0_10empty_typeENS0_5tupleIJS8_S9_EEENSB_IJS8_SA_EEENS0_18inequality_wrapperIZN2at6native12_GLOBAL__N_124unique_dim_cuda_templateItEESt5tupleIJNSF_6TensorESK_SK_EERKSK_lbbbEUlllE0_EEPmJS9_EEE10hipError_tPvRmT3_T4_T5_T6_T7_T9_mT8_P12ihipStream_tbDpT10_ENKUlT_T0_E_clISt17integral_constantIbLb0EES1A_EEDaS15_S16_EUlS15_E_NS1_11comp_targetILNS1_3genE8ELNS1_11target_archE1030ELNS1_3gpuE2ELNS1_3repE0EEENS1_30default_config_static_selectorELNS0_4arch9wavefront6targetE1EEEvT1_
                                        ; -- End function
	.section	.AMDGPU.csdata,"",@progbits
; Kernel info:
; codeLenInByte = 0
; NumSgprs: 6
; NumVgprs: 0
; NumAgprs: 0
; TotalNumVgprs: 0
; ScratchSize: 0
; MemoryBound: 0
; FloatMode: 240
; IeeeMode: 1
; LDSByteSize: 0 bytes/workgroup (compile time only)
; SGPRBlocks: 0
; VGPRBlocks: 0
; NumSGPRsForWavesPerEU: 6
; NumVGPRsForWavesPerEU: 1
; AccumOffset: 4
; Occupancy: 8
; WaveLimiterHint : 0
; COMPUTE_PGM_RSRC2:SCRATCH_EN: 0
; COMPUTE_PGM_RSRC2:USER_SGPR: 2
; COMPUTE_PGM_RSRC2:TRAP_HANDLER: 0
; COMPUTE_PGM_RSRC2:TGID_X_EN: 1
; COMPUTE_PGM_RSRC2:TGID_Y_EN: 0
; COMPUTE_PGM_RSRC2:TGID_Z_EN: 0
; COMPUTE_PGM_RSRC2:TIDIG_COMP_CNT: 0
; COMPUTE_PGM_RSRC3_GFX90A:ACCUM_OFFSET: 0
; COMPUTE_PGM_RSRC3_GFX90A:TG_SPLIT: 0
	.section	.text._ZN7rocprim17ROCPRIM_400000_NS6detail17trampoline_kernelINS0_14default_configENS1_25partition_config_selectorILNS1_17partition_subalgoE9EllbEEZZNS1_14partition_implILS5_9ELb0ES3_jPlS8_PNS0_10empty_typeENS0_5tupleIJS8_S9_EEENSB_IJS8_SA_EEENS0_18inequality_wrapperIZN2at6native12_GLOBAL__N_124unique_dim_cuda_templateItEESt5tupleIJNSF_6TensorESK_SK_EERKSK_lbbbEUlllE0_EEPmJS9_EEE10hipError_tPvRmT3_T4_T5_T6_T7_T9_mT8_P12ihipStream_tbDpT10_ENKUlT_T0_E_clISt17integral_constantIbLb1EES1A_EEDaS15_S16_EUlS15_E_NS1_11comp_targetILNS1_3genE0ELNS1_11target_archE4294967295ELNS1_3gpuE0ELNS1_3repE0EEENS1_30default_config_static_selectorELNS0_4arch9wavefront6targetE1EEEvT1_,"axG",@progbits,_ZN7rocprim17ROCPRIM_400000_NS6detail17trampoline_kernelINS0_14default_configENS1_25partition_config_selectorILNS1_17partition_subalgoE9EllbEEZZNS1_14partition_implILS5_9ELb0ES3_jPlS8_PNS0_10empty_typeENS0_5tupleIJS8_S9_EEENSB_IJS8_SA_EEENS0_18inequality_wrapperIZN2at6native12_GLOBAL__N_124unique_dim_cuda_templateItEESt5tupleIJNSF_6TensorESK_SK_EERKSK_lbbbEUlllE0_EEPmJS9_EEE10hipError_tPvRmT3_T4_T5_T6_T7_T9_mT8_P12ihipStream_tbDpT10_ENKUlT_T0_E_clISt17integral_constantIbLb1EES1A_EEDaS15_S16_EUlS15_E_NS1_11comp_targetILNS1_3genE0ELNS1_11target_archE4294967295ELNS1_3gpuE0ELNS1_3repE0EEENS1_30default_config_static_selectorELNS0_4arch9wavefront6targetE1EEEvT1_,comdat
	.globl	_ZN7rocprim17ROCPRIM_400000_NS6detail17trampoline_kernelINS0_14default_configENS1_25partition_config_selectorILNS1_17partition_subalgoE9EllbEEZZNS1_14partition_implILS5_9ELb0ES3_jPlS8_PNS0_10empty_typeENS0_5tupleIJS8_S9_EEENSB_IJS8_SA_EEENS0_18inequality_wrapperIZN2at6native12_GLOBAL__N_124unique_dim_cuda_templateItEESt5tupleIJNSF_6TensorESK_SK_EERKSK_lbbbEUlllE0_EEPmJS9_EEE10hipError_tPvRmT3_T4_T5_T6_T7_T9_mT8_P12ihipStream_tbDpT10_ENKUlT_T0_E_clISt17integral_constantIbLb1EES1A_EEDaS15_S16_EUlS15_E_NS1_11comp_targetILNS1_3genE0ELNS1_11target_archE4294967295ELNS1_3gpuE0ELNS1_3repE0EEENS1_30default_config_static_selectorELNS0_4arch9wavefront6targetE1EEEvT1_ ; -- Begin function _ZN7rocprim17ROCPRIM_400000_NS6detail17trampoline_kernelINS0_14default_configENS1_25partition_config_selectorILNS1_17partition_subalgoE9EllbEEZZNS1_14partition_implILS5_9ELb0ES3_jPlS8_PNS0_10empty_typeENS0_5tupleIJS8_S9_EEENSB_IJS8_SA_EEENS0_18inequality_wrapperIZN2at6native12_GLOBAL__N_124unique_dim_cuda_templateItEESt5tupleIJNSF_6TensorESK_SK_EERKSK_lbbbEUlllE0_EEPmJS9_EEE10hipError_tPvRmT3_T4_T5_T6_T7_T9_mT8_P12ihipStream_tbDpT10_ENKUlT_T0_E_clISt17integral_constantIbLb1EES1A_EEDaS15_S16_EUlS15_E_NS1_11comp_targetILNS1_3genE0ELNS1_11target_archE4294967295ELNS1_3gpuE0ELNS1_3repE0EEENS1_30default_config_static_selectorELNS0_4arch9wavefront6targetE1EEEvT1_
	.p2align	8
	.type	_ZN7rocprim17ROCPRIM_400000_NS6detail17trampoline_kernelINS0_14default_configENS1_25partition_config_selectorILNS1_17partition_subalgoE9EllbEEZZNS1_14partition_implILS5_9ELb0ES3_jPlS8_PNS0_10empty_typeENS0_5tupleIJS8_S9_EEENSB_IJS8_SA_EEENS0_18inequality_wrapperIZN2at6native12_GLOBAL__N_124unique_dim_cuda_templateItEESt5tupleIJNSF_6TensorESK_SK_EERKSK_lbbbEUlllE0_EEPmJS9_EEE10hipError_tPvRmT3_T4_T5_T6_T7_T9_mT8_P12ihipStream_tbDpT10_ENKUlT_T0_E_clISt17integral_constantIbLb1EES1A_EEDaS15_S16_EUlS15_E_NS1_11comp_targetILNS1_3genE0ELNS1_11target_archE4294967295ELNS1_3gpuE0ELNS1_3repE0EEENS1_30default_config_static_selectorELNS0_4arch9wavefront6targetE1EEEvT1_,@function
_ZN7rocprim17ROCPRIM_400000_NS6detail17trampoline_kernelINS0_14default_configENS1_25partition_config_selectorILNS1_17partition_subalgoE9EllbEEZZNS1_14partition_implILS5_9ELb0ES3_jPlS8_PNS0_10empty_typeENS0_5tupleIJS8_S9_EEENSB_IJS8_SA_EEENS0_18inequality_wrapperIZN2at6native12_GLOBAL__N_124unique_dim_cuda_templateItEESt5tupleIJNSF_6TensorESK_SK_EERKSK_lbbbEUlllE0_EEPmJS9_EEE10hipError_tPvRmT3_T4_T5_T6_T7_T9_mT8_P12ihipStream_tbDpT10_ENKUlT_T0_E_clISt17integral_constantIbLb1EES1A_EEDaS15_S16_EUlS15_E_NS1_11comp_targetILNS1_3genE0ELNS1_11target_archE4294967295ELNS1_3gpuE0ELNS1_3repE0EEENS1_30default_config_static_selectorELNS0_4arch9wavefront6targetE1EEEvT1_: ; @_ZN7rocprim17ROCPRIM_400000_NS6detail17trampoline_kernelINS0_14default_configENS1_25partition_config_selectorILNS1_17partition_subalgoE9EllbEEZZNS1_14partition_implILS5_9ELb0ES3_jPlS8_PNS0_10empty_typeENS0_5tupleIJS8_S9_EEENSB_IJS8_SA_EEENS0_18inequality_wrapperIZN2at6native12_GLOBAL__N_124unique_dim_cuda_templateItEESt5tupleIJNSF_6TensorESK_SK_EERKSK_lbbbEUlllE0_EEPmJS9_EEE10hipError_tPvRmT3_T4_T5_T6_T7_T9_mT8_P12ihipStream_tbDpT10_ENKUlT_T0_E_clISt17integral_constantIbLb1EES1A_EEDaS15_S16_EUlS15_E_NS1_11comp_targetILNS1_3genE0ELNS1_11target_archE4294967295ELNS1_3gpuE0ELNS1_3repE0EEENS1_30default_config_static_selectorELNS0_4arch9wavefront6targetE1EEEvT1_
; %bb.0:
	.section	.rodata,"a",@progbits
	.p2align	6, 0x0
	.amdhsa_kernel _ZN7rocprim17ROCPRIM_400000_NS6detail17trampoline_kernelINS0_14default_configENS1_25partition_config_selectorILNS1_17partition_subalgoE9EllbEEZZNS1_14partition_implILS5_9ELb0ES3_jPlS8_PNS0_10empty_typeENS0_5tupleIJS8_S9_EEENSB_IJS8_SA_EEENS0_18inequality_wrapperIZN2at6native12_GLOBAL__N_124unique_dim_cuda_templateItEESt5tupleIJNSF_6TensorESK_SK_EERKSK_lbbbEUlllE0_EEPmJS9_EEE10hipError_tPvRmT3_T4_T5_T6_T7_T9_mT8_P12ihipStream_tbDpT10_ENKUlT_T0_E_clISt17integral_constantIbLb1EES1A_EEDaS15_S16_EUlS15_E_NS1_11comp_targetILNS1_3genE0ELNS1_11target_archE4294967295ELNS1_3gpuE0ELNS1_3repE0EEENS1_30default_config_static_selectorELNS0_4arch9wavefront6targetE1EEEvT1_
		.amdhsa_group_segment_fixed_size 0
		.amdhsa_private_segment_fixed_size 0
		.amdhsa_kernarg_size 136
		.amdhsa_user_sgpr_count 2
		.amdhsa_user_sgpr_dispatch_ptr 0
		.amdhsa_user_sgpr_queue_ptr 0
		.amdhsa_user_sgpr_kernarg_segment_ptr 1
		.amdhsa_user_sgpr_dispatch_id 0
		.amdhsa_user_sgpr_kernarg_preload_length 0
		.amdhsa_user_sgpr_kernarg_preload_offset 0
		.amdhsa_user_sgpr_private_segment_size 0
		.amdhsa_uses_dynamic_stack 0
		.amdhsa_enable_private_segment 0
		.amdhsa_system_sgpr_workgroup_id_x 1
		.amdhsa_system_sgpr_workgroup_id_y 0
		.amdhsa_system_sgpr_workgroup_id_z 0
		.amdhsa_system_sgpr_workgroup_info 0
		.amdhsa_system_vgpr_workitem_id 0
		.amdhsa_next_free_vgpr 1
		.amdhsa_next_free_sgpr 0
		.amdhsa_accum_offset 4
		.amdhsa_reserve_vcc 0
		.amdhsa_float_round_mode_32 0
		.amdhsa_float_round_mode_16_64 0
		.amdhsa_float_denorm_mode_32 3
		.amdhsa_float_denorm_mode_16_64 3
		.amdhsa_dx10_clamp 1
		.amdhsa_ieee_mode 1
		.amdhsa_fp16_overflow 0
		.amdhsa_tg_split 0
		.amdhsa_exception_fp_ieee_invalid_op 0
		.amdhsa_exception_fp_denorm_src 0
		.amdhsa_exception_fp_ieee_div_zero 0
		.amdhsa_exception_fp_ieee_overflow 0
		.amdhsa_exception_fp_ieee_underflow 0
		.amdhsa_exception_fp_ieee_inexact 0
		.amdhsa_exception_int_div_zero 0
	.end_amdhsa_kernel
	.section	.text._ZN7rocprim17ROCPRIM_400000_NS6detail17trampoline_kernelINS0_14default_configENS1_25partition_config_selectorILNS1_17partition_subalgoE9EllbEEZZNS1_14partition_implILS5_9ELb0ES3_jPlS8_PNS0_10empty_typeENS0_5tupleIJS8_S9_EEENSB_IJS8_SA_EEENS0_18inequality_wrapperIZN2at6native12_GLOBAL__N_124unique_dim_cuda_templateItEESt5tupleIJNSF_6TensorESK_SK_EERKSK_lbbbEUlllE0_EEPmJS9_EEE10hipError_tPvRmT3_T4_T5_T6_T7_T9_mT8_P12ihipStream_tbDpT10_ENKUlT_T0_E_clISt17integral_constantIbLb1EES1A_EEDaS15_S16_EUlS15_E_NS1_11comp_targetILNS1_3genE0ELNS1_11target_archE4294967295ELNS1_3gpuE0ELNS1_3repE0EEENS1_30default_config_static_selectorELNS0_4arch9wavefront6targetE1EEEvT1_,"axG",@progbits,_ZN7rocprim17ROCPRIM_400000_NS6detail17trampoline_kernelINS0_14default_configENS1_25partition_config_selectorILNS1_17partition_subalgoE9EllbEEZZNS1_14partition_implILS5_9ELb0ES3_jPlS8_PNS0_10empty_typeENS0_5tupleIJS8_S9_EEENSB_IJS8_SA_EEENS0_18inequality_wrapperIZN2at6native12_GLOBAL__N_124unique_dim_cuda_templateItEESt5tupleIJNSF_6TensorESK_SK_EERKSK_lbbbEUlllE0_EEPmJS9_EEE10hipError_tPvRmT3_T4_T5_T6_T7_T9_mT8_P12ihipStream_tbDpT10_ENKUlT_T0_E_clISt17integral_constantIbLb1EES1A_EEDaS15_S16_EUlS15_E_NS1_11comp_targetILNS1_3genE0ELNS1_11target_archE4294967295ELNS1_3gpuE0ELNS1_3repE0EEENS1_30default_config_static_selectorELNS0_4arch9wavefront6targetE1EEEvT1_,comdat
.Lfunc_end1468:
	.size	_ZN7rocprim17ROCPRIM_400000_NS6detail17trampoline_kernelINS0_14default_configENS1_25partition_config_selectorILNS1_17partition_subalgoE9EllbEEZZNS1_14partition_implILS5_9ELb0ES3_jPlS8_PNS0_10empty_typeENS0_5tupleIJS8_S9_EEENSB_IJS8_SA_EEENS0_18inequality_wrapperIZN2at6native12_GLOBAL__N_124unique_dim_cuda_templateItEESt5tupleIJNSF_6TensorESK_SK_EERKSK_lbbbEUlllE0_EEPmJS9_EEE10hipError_tPvRmT3_T4_T5_T6_T7_T9_mT8_P12ihipStream_tbDpT10_ENKUlT_T0_E_clISt17integral_constantIbLb1EES1A_EEDaS15_S16_EUlS15_E_NS1_11comp_targetILNS1_3genE0ELNS1_11target_archE4294967295ELNS1_3gpuE0ELNS1_3repE0EEENS1_30default_config_static_selectorELNS0_4arch9wavefront6targetE1EEEvT1_, .Lfunc_end1468-_ZN7rocprim17ROCPRIM_400000_NS6detail17trampoline_kernelINS0_14default_configENS1_25partition_config_selectorILNS1_17partition_subalgoE9EllbEEZZNS1_14partition_implILS5_9ELb0ES3_jPlS8_PNS0_10empty_typeENS0_5tupleIJS8_S9_EEENSB_IJS8_SA_EEENS0_18inequality_wrapperIZN2at6native12_GLOBAL__N_124unique_dim_cuda_templateItEESt5tupleIJNSF_6TensorESK_SK_EERKSK_lbbbEUlllE0_EEPmJS9_EEE10hipError_tPvRmT3_T4_T5_T6_T7_T9_mT8_P12ihipStream_tbDpT10_ENKUlT_T0_E_clISt17integral_constantIbLb1EES1A_EEDaS15_S16_EUlS15_E_NS1_11comp_targetILNS1_3genE0ELNS1_11target_archE4294967295ELNS1_3gpuE0ELNS1_3repE0EEENS1_30default_config_static_selectorELNS0_4arch9wavefront6targetE1EEEvT1_
                                        ; -- End function
	.section	.AMDGPU.csdata,"",@progbits
; Kernel info:
; codeLenInByte = 0
; NumSgprs: 6
; NumVgprs: 0
; NumAgprs: 0
; TotalNumVgprs: 0
; ScratchSize: 0
; MemoryBound: 0
; FloatMode: 240
; IeeeMode: 1
; LDSByteSize: 0 bytes/workgroup (compile time only)
; SGPRBlocks: 0
; VGPRBlocks: 0
; NumSGPRsForWavesPerEU: 6
; NumVGPRsForWavesPerEU: 1
; AccumOffset: 4
; Occupancy: 8
; WaveLimiterHint : 0
; COMPUTE_PGM_RSRC2:SCRATCH_EN: 0
; COMPUTE_PGM_RSRC2:USER_SGPR: 2
; COMPUTE_PGM_RSRC2:TRAP_HANDLER: 0
; COMPUTE_PGM_RSRC2:TGID_X_EN: 1
; COMPUTE_PGM_RSRC2:TGID_Y_EN: 0
; COMPUTE_PGM_RSRC2:TGID_Z_EN: 0
; COMPUTE_PGM_RSRC2:TIDIG_COMP_CNT: 0
; COMPUTE_PGM_RSRC3_GFX90A:ACCUM_OFFSET: 0
; COMPUTE_PGM_RSRC3_GFX90A:TG_SPLIT: 0
	.section	.text._ZN7rocprim17ROCPRIM_400000_NS6detail17trampoline_kernelINS0_14default_configENS1_25partition_config_selectorILNS1_17partition_subalgoE9EllbEEZZNS1_14partition_implILS5_9ELb0ES3_jPlS8_PNS0_10empty_typeENS0_5tupleIJS8_S9_EEENSB_IJS8_SA_EEENS0_18inequality_wrapperIZN2at6native12_GLOBAL__N_124unique_dim_cuda_templateItEESt5tupleIJNSF_6TensorESK_SK_EERKSK_lbbbEUlllE0_EEPmJS9_EEE10hipError_tPvRmT3_T4_T5_T6_T7_T9_mT8_P12ihipStream_tbDpT10_ENKUlT_T0_E_clISt17integral_constantIbLb1EES1A_EEDaS15_S16_EUlS15_E_NS1_11comp_targetILNS1_3genE5ELNS1_11target_archE942ELNS1_3gpuE9ELNS1_3repE0EEENS1_30default_config_static_selectorELNS0_4arch9wavefront6targetE1EEEvT1_,"axG",@progbits,_ZN7rocprim17ROCPRIM_400000_NS6detail17trampoline_kernelINS0_14default_configENS1_25partition_config_selectorILNS1_17partition_subalgoE9EllbEEZZNS1_14partition_implILS5_9ELb0ES3_jPlS8_PNS0_10empty_typeENS0_5tupleIJS8_S9_EEENSB_IJS8_SA_EEENS0_18inequality_wrapperIZN2at6native12_GLOBAL__N_124unique_dim_cuda_templateItEESt5tupleIJNSF_6TensorESK_SK_EERKSK_lbbbEUlllE0_EEPmJS9_EEE10hipError_tPvRmT3_T4_T5_T6_T7_T9_mT8_P12ihipStream_tbDpT10_ENKUlT_T0_E_clISt17integral_constantIbLb1EES1A_EEDaS15_S16_EUlS15_E_NS1_11comp_targetILNS1_3genE5ELNS1_11target_archE942ELNS1_3gpuE9ELNS1_3repE0EEENS1_30default_config_static_selectorELNS0_4arch9wavefront6targetE1EEEvT1_,comdat
	.globl	_ZN7rocprim17ROCPRIM_400000_NS6detail17trampoline_kernelINS0_14default_configENS1_25partition_config_selectorILNS1_17partition_subalgoE9EllbEEZZNS1_14partition_implILS5_9ELb0ES3_jPlS8_PNS0_10empty_typeENS0_5tupleIJS8_S9_EEENSB_IJS8_SA_EEENS0_18inequality_wrapperIZN2at6native12_GLOBAL__N_124unique_dim_cuda_templateItEESt5tupleIJNSF_6TensorESK_SK_EERKSK_lbbbEUlllE0_EEPmJS9_EEE10hipError_tPvRmT3_T4_T5_T6_T7_T9_mT8_P12ihipStream_tbDpT10_ENKUlT_T0_E_clISt17integral_constantIbLb1EES1A_EEDaS15_S16_EUlS15_E_NS1_11comp_targetILNS1_3genE5ELNS1_11target_archE942ELNS1_3gpuE9ELNS1_3repE0EEENS1_30default_config_static_selectorELNS0_4arch9wavefront6targetE1EEEvT1_ ; -- Begin function _ZN7rocprim17ROCPRIM_400000_NS6detail17trampoline_kernelINS0_14default_configENS1_25partition_config_selectorILNS1_17partition_subalgoE9EllbEEZZNS1_14partition_implILS5_9ELb0ES3_jPlS8_PNS0_10empty_typeENS0_5tupleIJS8_S9_EEENSB_IJS8_SA_EEENS0_18inequality_wrapperIZN2at6native12_GLOBAL__N_124unique_dim_cuda_templateItEESt5tupleIJNSF_6TensorESK_SK_EERKSK_lbbbEUlllE0_EEPmJS9_EEE10hipError_tPvRmT3_T4_T5_T6_T7_T9_mT8_P12ihipStream_tbDpT10_ENKUlT_T0_E_clISt17integral_constantIbLb1EES1A_EEDaS15_S16_EUlS15_E_NS1_11comp_targetILNS1_3genE5ELNS1_11target_archE942ELNS1_3gpuE9ELNS1_3repE0EEENS1_30default_config_static_selectorELNS0_4arch9wavefront6targetE1EEEvT1_
	.p2align	8
	.type	_ZN7rocprim17ROCPRIM_400000_NS6detail17trampoline_kernelINS0_14default_configENS1_25partition_config_selectorILNS1_17partition_subalgoE9EllbEEZZNS1_14partition_implILS5_9ELb0ES3_jPlS8_PNS0_10empty_typeENS0_5tupleIJS8_S9_EEENSB_IJS8_SA_EEENS0_18inequality_wrapperIZN2at6native12_GLOBAL__N_124unique_dim_cuda_templateItEESt5tupleIJNSF_6TensorESK_SK_EERKSK_lbbbEUlllE0_EEPmJS9_EEE10hipError_tPvRmT3_T4_T5_T6_T7_T9_mT8_P12ihipStream_tbDpT10_ENKUlT_T0_E_clISt17integral_constantIbLb1EES1A_EEDaS15_S16_EUlS15_E_NS1_11comp_targetILNS1_3genE5ELNS1_11target_archE942ELNS1_3gpuE9ELNS1_3repE0EEENS1_30default_config_static_selectorELNS0_4arch9wavefront6targetE1EEEvT1_,@function
_ZN7rocprim17ROCPRIM_400000_NS6detail17trampoline_kernelINS0_14default_configENS1_25partition_config_selectorILNS1_17partition_subalgoE9EllbEEZZNS1_14partition_implILS5_9ELb0ES3_jPlS8_PNS0_10empty_typeENS0_5tupleIJS8_S9_EEENSB_IJS8_SA_EEENS0_18inequality_wrapperIZN2at6native12_GLOBAL__N_124unique_dim_cuda_templateItEESt5tupleIJNSF_6TensorESK_SK_EERKSK_lbbbEUlllE0_EEPmJS9_EEE10hipError_tPvRmT3_T4_T5_T6_T7_T9_mT8_P12ihipStream_tbDpT10_ENKUlT_T0_E_clISt17integral_constantIbLb1EES1A_EEDaS15_S16_EUlS15_E_NS1_11comp_targetILNS1_3genE5ELNS1_11target_archE942ELNS1_3gpuE9ELNS1_3repE0EEENS1_30default_config_static_selectorELNS0_4arch9wavefront6targetE1EEEvT1_: ; @_ZN7rocprim17ROCPRIM_400000_NS6detail17trampoline_kernelINS0_14default_configENS1_25partition_config_selectorILNS1_17partition_subalgoE9EllbEEZZNS1_14partition_implILS5_9ELb0ES3_jPlS8_PNS0_10empty_typeENS0_5tupleIJS8_S9_EEENSB_IJS8_SA_EEENS0_18inequality_wrapperIZN2at6native12_GLOBAL__N_124unique_dim_cuda_templateItEESt5tupleIJNSF_6TensorESK_SK_EERKSK_lbbbEUlllE0_EEPmJS9_EEE10hipError_tPvRmT3_T4_T5_T6_T7_T9_mT8_P12ihipStream_tbDpT10_ENKUlT_T0_E_clISt17integral_constantIbLb1EES1A_EEDaS15_S16_EUlS15_E_NS1_11comp_targetILNS1_3genE5ELNS1_11target_archE942ELNS1_3gpuE9ELNS1_3repE0EEENS1_30default_config_static_selectorELNS0_4arch9wavefront6targetE1EEEvT1_
; %bb.0:
	s_load_dwordx4 s[4:7], s[0:1], 0x8
	s_load_dwordx2 s[10:11], s[0:1], 0x18
	s_load_dwordx8 s[20:27], s[0:1], 0x40
	s_load_dwordx4 s[36:39], s[0:1], 0x60
	v_cmp_ne_u32_e64 s[2:3], 0, v0
	v_cmp_eq_u32_e64 s[18:19], 0, v0
	s_and_saveexec_b64 s[8:9], s[18:19]
	s_cbranch_execz .LBB1469_4
; %bb.1:
	s_mov_b64 s[14:15], exec
	v_mbcnt_lo_u32_b32 v1, s14, 0
	v_mbcnt_hi_u32_b32 v1, s15, v1
	v_cmp_eq_u32_e32 vcc, 0, v1
                                        ; implicit-def: $vgpr2
	s_and_saveexec_b64 s[12:13], vcc
	s_cbranch_execz .LBB1469_3
; %bb.2:
	s_load_dwordx2 s[16:17], s[0:1], 0x78
	s_bcnt1_i32_b64 s14, s[14:15]
	v_mov_b32_e32 v2, 0
	v_mov_b32_e32 v3, s14
	s_waitcnt lgkmcnt(0)
	global_atomic_add v2, v2, v3, s[16:17] sc0
.LBB1469_3:
	s_or_b64 exec, exec, s[12:13]
	s_waitcnt vmcnt(0)
	v_readfirstlane_b32 s12, v2
	v_mov_b32_e32 v2, 0
	s_nop 0
	v_add_u32_e32 v1, s12, v1
	ds_write_b32 v2, v1
.LBB1469_4:
	s_or_b64 exec, exec, s[8:9]
	v_mov_b32_e32 v3, 0
	s_load_dwordx4 s[28:31], s[0:1], 0x28
	s_load_dword s8, s[0:1], 0x70
	s_waitcnt lgkmcnt(0)
	s_barrier
	ds_read_b32 v1, v3
	s_waitcnt lgkmcnt(0)
	s_barrier
	global_load_dwordx2 v[4:5], v3, s[22:23]
	s_lshl_b64 s[12:13], s[6:7], 3
	s_mul_i32 s14, s8, 0xe00
	s_add_u32 s16, s4, s12
	s_addc_u32 s17, s5, s13
	s_add_i32 s4, s14, s6
	s_sub_i32 s54, s24, s4
	s_add_i32 s15, s8, -1
	s_addk_i32 s54, 0xe00
	s_add_u32 s4, s6, s14
	v_readfirstlane_b32 s33, v1
	s_addc_u32 s5, s7, 0
	v_mov_b32_e32 v6, s24
	v_mov_b32_e32 v7, s25
	s_cmp_eq_u32 s33, s15
	s_mov_b32 s9, 0
	s_mul_i32 s8, s33, 0xe00
	v_cmp_ge_u64_e32 vcc, s[4:5], v[6:7]
	s_cselect_b64 s[24:25], -1, 0
	s_lshl_b64 s[14:15], s[8:9], 3
	s_and_b64 s[8:9], vcc, s[24:25]
	s_xor_b64 s[34:35], s[8:9], -1
	s_add_u32 s4, s16, s14
	s_mov_b64 s[0:1], -1
	s_addc_u32 s5, s17, s15
	s_and_b64 vcc, exec, s[34:35]
	s_waitcnt vmcnt(0)
	v_readfirstlane_b32 s22, v4
	v_readfirstlane_b32 s23, v5
	s_cbranch_vccz .LBB1469_6
; %bb.5:
	v_lshlrev_b32_e32 v2, 3, v0
	v_lshl_add_u64 v[4:5], s[4:5], 0, v[2:3]
	v_add_co_u32_e32 v8, vcc, 0x1000, v4
	global_load_dwordx2 v[6:7], v2, s[4:5]
	s_nop 0
	v_addc_co_u32_e32 v9, vcc, 0, v5, vcc
	v_add_co_u32_e32 v10, vcc, 0x2000, v4
	s_mov_b64 s[0:1], 0
	s_nop 0
	v_addc_co_u32_e32 v11, vcc, 0, v5, vcc
	v_add_co_u32_e32 v12, vcc, 0x3000, v4
	s_nop 1
	v_addc_co_u32_e32 v13, vcc, 0, v5, vcc
	v_add_co_u32_e32 v14, vcc, 0x4000, v4
	s_nop 1
	v_addc_co_u32_e32 v15, vcc, 0, v5, vcc
	global_load_dwordx2 v[16:17], v[8:9], off
	global_load_dwordx2 v[18:19], v[10:11], off
	global_load_dwordx2 v[20:21], v[12:13], off
	global_load_dwordx2 v[22:23], v[14:15], off
	v_add_co_u32_e32 v8, vcc, 0x5000, v4
	s_nop 1
	v_addc_co_u32_e32 v9, vcc, 0, v5, vcc
	v_add_co_u32_e32 v4, vcc, 0x6000, v4
	global_load_dwordx2 v[8:9], v[8:9], off
	s_nop 0
	v_addc_co_u32_e32 v5, vcc, 0, v5, vcc
	global_load_dwordx2 v[4:5], v[4:5], off
	s_waitcnt vmcnt(5)
	ds_write2st64_b64 v2, v[6:7], v[16:17] offset1:8
	s_waitcnt vmcnt(3)
	ds_write2st64_b64 v2, v[18:19], v[20:21] offset0:16 offset1:24
	s_waitcnt vmcnt(1)
	ds_write2st64_b64 v2, v[22:23], v[8:9] offset0:32 offset1:40
	s_waitcnt vmcnt(0)
	ds_write_b64 v2, v[4:5] offset:24576
	s_waitcnt lgkmcnt(0)
	s_barrier
.LBB1469_6:
	s_andn2_b64 vcc, exec, s[0:1]
	v_cmp_gt_u32_e64 s[0:1], s54, v0
	s_cbranch_vccnz .LBB1469_22
; %bb.7:
                                        ; implicit-def: $vgpr2_vgpr3_vgpr4_vgpr5_vgpr6_vgpr7_vgpr8_vgpr9_vgpr10_vgpr11_vgpr12_vgpr13_vgpr14_vgpr15_vgpr16_vgpr17
	s_and_saveexec_b64 s[16:17], s[0:1]
	s_cbranch_execz .LBB1469_9
; %bb.8:
	v_lshlrev_b32_e32 v1, 3, v0
	global_load_dwordx2 v[2:3], v1, s[4:5]
.LBB1469_9:
	s_or_b64 exec, exec, s[16:17]
	v_or_b32_e32 v1, 0x200, v0
	v_cmp_gt_u32_e32 vcc, s54, v1
	s_and_saveexec_b64 s[0:1], vcc
	s_cbranch_execz .LBB1469_11
; %bb.10:
	v_lshlrev_b32_e32 v1, 3, v1
	global_load_dwordx2 v[4:5], v1, s[4:5]
.LBB1469_11:
	s_or_b64 exec, exec, s[0:1]
	v_or_b32_e32 v1, 0x400, v0
	v_cmp_gt_u32_e32 vcc, s54, v1
	s_and_saveexec_b64 s[0:1], vcc
	;; [unrolled: 9-line block ×6, first 2 shown]
	s_cbranch_execz .LBB1469_21
; %bb.20:
	v_lshlrev_b32_e32 v1, 3, v1
	global_load_dwordx2 v[14:15], v1, s[4:5]
.LBB1469_21:
	s_or_b64 exec, exec, s[0:1]
	v_lshlrev_b32_e32 v1, 3, v0
	s_waitcnt vmcnt(0)
	ds_write2st64_b64 v1, v[2:3], v[4:5] offset1:8
	ds_write2st64_b64 v1, v[6:7], v[8:9] offset0:16 offset1:24
	ds_write2st64_b64 v1, v[10:11], v[12:13] offset0:32 offset1:40
	ds_write_b64 v1, v[14:15] offset:24576
	s_waitcnt lgkmcnt(0)
	s_barrier
.LBB1469_22:
	v_mul_u32_u24_e32 v1, 7, v0
	v_lshlrev_b32_e32 v46, 3, v1
	ds_read2_b64 v[22:25], v46 offset1:1
	ds_read2_b64 v[18:21], v46 offset0:2 offset1:3
	ds_read2_b64 v[14:17], v46 offset0:4 offset1:5
	ds_read_b64 v[28:29], v46 offset:48
	s_add_u32 s0, s10, s12
	s_addc_u32 s1, s11, s13
	s_add_u32 s0, s0, s14
	s_addc_u32 s1, s1, s15
	s_mov_b64 s[10:11], -1
	s_and_b64 vcc, exec, s[34:35]
	s_waitcnt lgkmcnt(0)
	s_barrier
	s_cbranch_vccz .LBB1469_24
; %bb.23:
	v_lshlrev_b32_e32 v2, 3, v0
	v_mov_b32_e32 v3, 0
	v_lshl_add_u64 v[4:5], s[0:1], 0, v[2:3]
	v_add_co_u32_e32 v8, vcc, 0x1000, v4
	global_load_dwordx2 v[6:7], v2, s[0:1]
	s_nop 0
	v_addc_co_u32_e32 v9, vcc, 0, v5, vcc
	v_add_co_u32_e32 v10, vcc, 0x2000, v4
	s_mov_b64 s[10:11], 0
	s_nop 0
	v_addc_co_u32_e32 v11, vcc, 0, v5, vcc
	v_add_co_u32_e32 v12, vcc, 0x3000, v4
	s_nop 1
	v_addc_co_u32_e32 v13, vcc, 0, v5, vcc
	v_add_co_u32_e32 v26, vcc, 0x4000, v4
	s_nop 1
	v_addc_co_u32_e32 v27, vcc, 0, v5, vcc
	global_load_dwordx2 v[30:31], v[8:9], off
	global_load_dwordx2 v[32:33], v[10:11], off
	;; [unrolled: 1-line block ×4, first 2 shown]
	v_add_co_u32_e32 v8, vcc, 0x5000, v4
	s_nop 1
	v_addc_co_u32_e32 v9, vcc, 0, v5, vcc
	v_add_co_u32_e32 v4, vcc, 0x6000, v4
	global_load_dwordx2 v[8:9], v[8:9], off
	s_nop 0
	v_addc_co_u32_e32 v5, vcc, 0, v5, vcc
	global_load_dwordx2 v[4:5], v[4:5], off
	s_waitcnt vmcnt(5)
	ds_write2st64_b64 v2, v[6:7], v[30:31] offset1:8
	s_waitcnt vmcnt(3)
	ds_write2st64_b64 v2, v[32:33], v[34:35] offset0:16 offset1:24
	s_waitcnt vmcnt(1)
	ds_write2st64_b64 v2, v[36:37], v[8:9] offset0:32 offset1:40
	s_waitcnt vmcnt(0)
	ds_write_b64 v2, v[4:5] offset:24576
	s_waitcnt lgkmcnt(0)
	s_barrier
.LBB1469_24:
	s_andn2_b64 vcc, exec, s[10:11]
	s_cbranch_vccnz .LBB1469_40
; %bb.25:
	v_cmp_gt_u32_e32 vcc, s54, v0
                                        ; implicit-def: $vgpr2_vgpr3
	s_and_saveexec_b64 s[10:11], vcc
	s_cbranch_execz .LBB1469_27
; %bb.26:
	v_lshlrev_b32_e32 v2, 3, v0
	global_load_dwordx2 v[2:3], v2, s[0:1]
.LBB1469_27:
	s_or_b64 exec, exec, s[10:11]
	v_or_b32_e32 v6, 0x200, v0
	v_cmp_gt_u32_e32 vcc, s54, v6
                                        ; implicit-def: $vgpr4_vgpr5
	s_and_saveexec_b64 s[10:11], vcc
	s_cbranch_execz .LBB1469_29
; %bb.28:
	v_lshlrev_b32_e32 v4, 3, v6
	global_load_dwordx2 v[4:5], v4, s[0:1]
.LBB1469_29:
	s_or_b64 exec, exec, s[10:11]
	v_or_b32_e32 v8, 0x400, v0
	v_cmp_gt_u32_e32 vcc, s54, v8
                                        ; implicit-def: $vgpr6_vgpr7
	s_and_saveexec_b64 s[10:11], vcc
	s_cbranch_execz .LBB1469_31
; %bb.30:
	v_lshlrev_b32_e32 v6, 3, v8
	global_load_dwordx2 v[6:7], v6, s[0:1]
.LBB1469_31:
	s_or_b64 exec, exec, s[10:11]
	v_or_b32_e32 v10, 0x600, v0
	v_cmp_gt_u32_e32 vcc, s54, v10
                                        ; implicit-def: $vgpr8_vgpr9
	s_and_saveexec_b64 s[10:11], vcc
	s_cbranch_execz .LBB1469_33
; %bb.32:
	v_lshlrev_b32_e32 v8, 3, v10
	global_load_dwordx2 v[8:9], v8, s[0:1]
.LBB1469_33:
	s_or_b64 exec, exec, s[10:11]
	v_or_b32_e32 v12, 0x800, v0
	v_cmp_gt_u32_e32 vcc, s54, v12
                                        ; implicit-def: $vgpr10_vgpr11
	s_and_saveexec_b64 s[10:11], vcc
	s_cbranch_execz .LBB1469_35
; %bb.34:
	v_lshlrev_b32_e32 v10, 3, v12
	global_load_dwordx2 v[10:11], v10, s[0:1]
.LBB1469_35:
	s_or_b64 exec, exec, s[10:11]
	v_or_b32_e32 v26, 0xa00, v0
	v_cmp_gt_u32_e32 vcc, s54, v26
                                        ; implicit-def: $vgpr12_vgpr13
	s_and_saveexec_b64 s[10:11], vcc
	s_cbranch_execz .LBB1469_37
; %bb.36:
	v_lshlrev_b32_e32 v12, 3, v26
	global_load_dwordx2 v[12:13], v12, s[0:1]
.LBB1469_37:
	s_or_b64 exec, exec, s[10:11]
	v_or_b32_e32 v30, 0xc00, v0
	v_cmp_gt_u32_e32 vcc, s54, v30
                                        ; implicit-def: $vgpr26_vgpr27
	s_and_saveexec_b64 s[10:11], vcc
	s_cbranch_execz .LBB1469_39
; %bb.38:
	v_lshlrev_b32_e32 v26, 3, v30
	global_load_dwordx2 v[26:27], v26, s[0:1]
.LBB1469_39:
	s_or_b64 exec, exec, s[10:11]
	s_movk_i32 s0, 0xffd0
	v_mad_i32_i24 v30, v0, s0, v46
	s_waitcnt vmcnt(0)
	ds_write2st64_b64 v30, v[2:3], v[4:5] offset1:8
	ds_write2st64_b64 v30, v[6:7], v[8:9] offset0:16 offset1:24
	ds_write2st64_b64 v30, v[10:11], v[12:13] offset0:32 offset1:40
	ds_write_b64 v30, v[26:27] offset:24576
	s_waitcnt lgkmcnt(0)
	s_barrier
.LBB1469_40:
	ds_read2_b64 v[10:13], v46 offset1:1
	ds_read2_b64 v[6:9], v46 offset0:2 offset1:3
	ds_read2_b64 v[2:5], v46 offset0:4 offset1:5
	ds_read_b64 v[26:27], v46 offset:48
	s_cmp_lg_u32 s33, 0
	s_cselect_b64 s[0:1], -1, 0
	s_cmp_lg_u64 s[6:7], 0
	s_cselect_b64 s[6:7], -1, 0
	s_or_b64 s[6:7], s[6:7], s[0:1]
	v_add_u32_e32 v43, 1, v1
	v_add_u32_e32 v40, 2, v1
	;; [unrolled: 1-line block ×6, first 2 shown]
	s_mov_b64 s[10:11], 0
	s_and_b64 vcc, exec, s[6:7]
	v_cmp_gt_i64_e64 s[12:13], s[26:27], 0
	s_waitcnt lgkmcnt(0)
	s_barrier
	s_cbranch_vccz .LBB1469_49
; %bb.41:
	v_mov_b32_e32 v30, 0
	global_load_dwordx2 v[30:31], v30, s[4:5] offset:-8
	v_cndmask_b32_e64 v32, 0, 1, s[12:13]
	v_lshlrev_b32_e32 v47, 3, v0
	s_mov_b64 s[6:7], 0
	s_and_b64 vcc, exec, s[34:35]
	v_cmp_ne_u32_e64 s[4:5], 1, v32
	ds_write_b64 v47, v[28:29]
	s_cbranch_vccz .LBB1469_51
; %bb.42:
	v_mul_lo_u32 v34, v17, s26
	v_mul_lo_u32 v35, v16, s27
	v_mad_u64_u32 v[32:33], s[10:11], v16, s26, 0
	v_add3_u32 v33, v33, v35, v34
	s_and_b64 vcc, exec, s[4:5]
	v_lshl_add_u64 v[32:33], v[32:33], 1, s[36:37]
	s_cbranch_vccnz .LBB1469_54
; %bb.43:
	v_mul_lo_u32 v36, v29, s26
	v_mul_lo_u32 v37, v28, s27
	v_mad_u64_u32 v[34:35], s[6:7], v28, s26, 0
	v_add3_u32 v35, v35, v37, v36
	v_lshl_add_u64 v[34:35], v[34:35], 1, s[36:37]
	global_load_ushort v36, v[32:33], off
	global_load_ushort v37, v[34:35], off
	s_mov_b64 s[6:7], -1
	s_waitcnt vmcnt(0)
	v_cmp_eq_u16_e32 vcc, v36, v37
	s_and_saveexec_b64 s[10:11], vcc
	s_cbranch_execz .LBB1469_53
; %bb.44:
	s_add_u32 s6, s26, -1
	v_lshl_add_u64 v[34:35], v[34:35], 0, 2
	v_lshl_add_u64 v[36:37], v[32:33], 0, 2
	s_addc_u32 s7, s27, -1
	s_mov_b64 s[12:13], 0
	s_mov_b64 s[16:17], 0
                                        ; implicit-def: $sgpr14_sgpr15
	s_branch .LBB1469_47
.LBB1469_45:                            ;   in Loop: Header=BB1469_47 Depth=1
	global_load_ushort v38, v[36:37], off
	global_load_ushort v39, v[34:35], off
	s_add_u32 s16, s16, 1
	s_addc_u32 s17, s17, 0
	s_andn2_b64 s[14:15], s[14:15], exec
	v_lshl_add_u64 v[34:35], v[34:35], 0, 2
	v_lshl_add_u64 v[36:37], v[36:37], 0, 2
	s_waitcnt vmcnt(0)
	v_cmp_ne_u16_e32 vcc, v38, v39
	s_and_b64 s[40:41], vcc, exec
	s_or_b64 s[14:15], s[14:15], s[40:41]
.LBB1469_46:                            ;   in Loop: Header=BB1469_47 Depth=1
	s_and_b64 s[40:41], exec, s[14:15]
	s_or_b64 s[12:13], s[40:41], s[12:13]
	v_mov_b64_e32 v[38:39], s[16:17]
	s_andn2_b64 exec, exec, s[12:13]
	s_cbranch_execz .LBB1469_52
.LBB1469_47:                            ; =>This Inner Loop Header: Depth=1
	s_or_b64 s[14:15], s[14:15], exec
	s_cmp_eq_u64 s[6:7], s[16:17]
	s_cbranch_scc0 .LBB1469_45
; %bb.48:                               ;   in Loop: Header=BB1469_47 Depth=1
                                        ; implicit-def: $vgpr34_vgpr35
                                        ; implicit-def: $vgpr36_vgpr37
	s_mov_b64 s[16:17], s[26:27]
	s_branch .LBB1469_46
.LBB1469_49:
                                        ; implicit-def: $sgpr14_sgpr15
                                        ; implicit-def: $vgpr49
                                        ; implicit-def: $vgpr48
                                        ; implicit-def: $vgpr39
                                        ; implicit-def: $vgpr34
	s_branch .LBB1469_192
.LBB1469_50:
                                        ; implicit-def: $vgpr30_vgpr31
	s_branch .LBB1469_340
.LBB1469_51:
                                        ; implicit-def: $sgpr14_sgpr15
                                        ; implicit-def: $vgpr49
                                        ; implicit-def: $vgpr48
                                        ; implicit-def: $vgpr39
                                        ; implicit-def: $vgpr34
	s_cbranch_execnz .LBB1469_111
	s_branch .LBB1469_191
.LBB1469_52:
	s_or_b64 exec, exec, s[12:13]
	v_cmp_gt_i64_e32 vcc, s[26:27], v[38:39]
	s_orn2_b64 s[6:7], vcc, exec
.LBB1469_53:
	s_or_b64 exec, exec, s[10:11]
.LBB1469_54:
	v_mul_lo_u32 v36, v15, s26
	v_mul_lo_u32 v37, v14, s27
	v_mad_u64_u32 v[34:35], s[10:11], v14, s26, 0
	v_add3_u32 v35, v35, v37, v36
	s_mov_b64 s[10:11], 0
	s_and_b64 vcc, exec, s[4:5]
	v_lshl_add_u64 v[34:35], v[34:35], 1, s[36:37]
	s_mov_b64 s[12:13], 0
	s_cbranch_vccnz .LBB1469_63
; %bb.55:
	global_load_ushort v36, v[34:35], off
	global_load_ushort v37, v[32:33], off
	s_mov_b64 s[12:13], -1
	s_waitcnt vmcnt(0)
	v_cmp_eq_u16_e32 vcc, v36, v37
	s_and_saveexec_b64 s[14:15], vcc
	s_cbranch_execz .LBB1469_62
; %bb.56:
	s_add_u32 s12, s26, -1
	v_lshl_add_u64 v[32:33], v[32:33], 0, 2
	v_lshl_add_u64 v[36:37], v[34:35], 0, 2
	s_addc_u32 s13, s27, -1
	s_mov_b64 s[16:17], 0
	s_mov_b64 s[42:43], 0
                                        ; implicit-def: $sgpr40_sgpr41
	s_branch .LBB1469_59
.LBB1469_57:                            ;   in Loop: Header=BB1469_59 Depth=1
	global_load_ushort v38, v[36:37], off
	global_load_ushort v39, v[32:33], off
	s_add_u32 s42, s42, 1
	s_addc_u32 s43, s43, 0
	s_andn2_b64 s[40:41], s[40:41], exec
	v_lshl_add_u64 v[32:33], v[32:33], 0, 2
	v_lshl_add_u64 v[36:37], v[36:37], 0, 2
	s_waitcnt vmcnt(0)
	v_cmp_ne_u16_e32 vcc, v38, v39
	s_and_b64 s[44:45], vcc, exec
	s_or_b64 s[40:41], s[40:41], s[44:45]
.LBB1469_58:                            ;   in Loop: Header=BB1469_59 Depth=1
	s_and_b64 s[44:45], exec, s[40:41]
	s_or_b64 s[16:17], s[44:45], s[16:17]
	v_mov_b64_e32 v[38:39], s[42:43]
	s_andn2_b64 exec, exec, s[16:17]
	s_cbranch_execz .LBB1469_61
.LBB1469_59:                            ; =>This Inner Loop Header: Depth=1
	s_or_b64 s[40:41], s[40:41], exec
	s_cmp_eq_u64 s[12:13], s[42:43]
	s_cbranch_scc0 .LBB1469_57
; %bb.60:                               ;   in Loop: Header=BB1469_59 Depth=1
                                        ; implicit-def: $vgpr32_vgpr33
                                        ; implicit-def: $vgpr36_vgpr37
	s_mov_b64 s[42:43], s[26:27]
	s_branch .LBB1469_58
.LBB1469_61:
	s_or_b64 exec, exec, s[16:17]
	v_cmp_gt_i64_e32 vcc, s[26:27], v[38:39]
	s_orn2_b64 s[12:13], vcc, exec
.LBB1469_62:
	s_or_b64 exec, exec, s[14:15]
.LBB1469_63:
	v_mul_lo_u32 v36, v21, s26
	v_mul_lo_u32 v37, v20, s27
	v_mad_u64_u32 v[32:33], s[14:15], v20, s26, 0
	v_add3_u32 v33, v33, v37, v36
	s_and_b64 vcc, exec, s[4:5]
	v_lshl_add_u64 v[32:33], v[32:33], 1, s[36:37]
	s_cbranch_vccnz .LBB1469_72
; %bb.64:
	global_load_ushort v36, v[32:33], off
	global_load_ushort v37, v[34:35], off
	s_mov_b64 s[10:11], -1
	s_waitcnt vmcnt(0)
	v_cmp_eq_u16_e32 vcc, v36, v37
	s_and_saveexec_b64 s[14:15], vcc
	s_cbranch_execz .LBB1469_71
; %bb.65:
	s_add_u32 s10, s26, -1
	v_lshl_add_u64 v[34:35], v[34:35], 0, 2
	v_lshl_add_u64 v[36:37], v[32:33], 0, 2
	s_addc_u32 s11, s27, -1
	s_mov_b64 s[16:17], 0
	s_mov_b64 s[42:43], 0
                                        ; implicit-def: $sgpr40_sgpr41
	s_branch .LBB1469_68
.LBB1469_66:                            ;   in Loop: Header=BB1469_68 Depth=1
	global_load_ushort v38, v[36:37], off
	global_load_ushort v39, v[34:35], off
	s_add_u32 s42, s42, 1
	s_addc_u32 s43, s43, 0
	s_andn2_b64 s[40:41], s[40:41], exec
	v_lshl_add_u64 v[34:35], v[34:35], 0, 2
	v_lshl_add_u64 v[36:37], v[36:37], 0, 2
	s_waitcnt vmcnt(0)
	v_cmp_ne_u16_e32 vcc, v38, v39
	s_and_b64 s[44:45], vcc, exec
	s_or_b64 s[40:41], s[40:41], s[44:45]
.LBB1469_67:                            ;   in Loop: Header=BB1469_68 Depth=1
	s_and_b64 s[44:45], exec, s[40:41]
	s_or_b64 s[16:17], s[44:45], s[16:17]
	v_mov_b64_e32 v[38:39], s[42:43]
	s_andn2_b64 exec, exec, s[16:17]
	s_cbranch_execz .LBB1469_70
.LBB1469_68:                            ; =>This Inner Loop Header: Depth=1
	s_or_b64 s[40:41], s[40:41], exec
	s_cmp_eq_u64 s[10:11], s[42:43]
	s_cbranch_scc0 .LBB1469_66
; %bb.69:                               ;   in Loop: Header=BB1469_68 Depth=1
                                        ; implicit-def: $vgpr34_vgpr35
                                        ; implicit-def: $vgpr36_vgpr37
	s_mov_b64 s[42:43], s[26:27]
	s_branch .LBB1469_67
.LBB1469_70:
	s_or_b64 exec, exec, s[16:17]
	v_cmp_gt_i64_e32 vcc, s[26:27], v[38:39]
	s_orn2_b64 s[10:11], vcc, exec
.LBB1469_71:
	s_or_b64 exec, exec, s[14:15]
.LBB1469_72:
	v_mul_lo_u32 v36, v19, s26
	v_mul_lo_u32 v37, v18, s27
	v_mad_u64_u32 v[34:35], s[14:15], v18, s26, 0
	v_add3_u32 v35, v35, v37, v36
	s_mov_b64 s[14:15], 0
	s_and_b64 vcc, exec, s[4:5]
	v_lshl_add_u64 v[36:37], v[34:35], 1, s[36:37]
	s_mov_b64 s[16:17], 0
	s_cbranch_vccnz .LBB1469_81
; %bb.73:
	global_load_ushort v34, v[36:37], off
	global_load_ushort v35, v[32:33], off
	s_mov_b64 s[16:17], -1
	s_waitcnt vmcnt(0)
	v_cmp_eq_u16_e32 vcc, v34, v35
	s_and_saveexec_b64 s[40:41], vcc
	s_cbranch_execz .LBB1469_80
; %bb.74:
	s_add_u32 s16, s26, -1
	v_lshl_add_u64 v[32:33], v[32:33], 0, 2
	v_lshl_add_u64 v[34:35], v[36:37], 0, 2
	s_addc_u32 s17, s27, -1
	s_mov_b64 s[42:43], 0
	s_mov_b64 s[46:47], 0
                                        ; implicit-def: $sgpr44_sgpr45
	s_branch .LBB1469_77
.LBB1469_75:                            ;   in Loop: Header=BB1469_77 Depth=1
	global_load_ushort v38, v[34:35], off
	global_load_ushort v39, v[32:33], off
	s_add_u32 s46, s46, 1
	s_addc_u32 s47, s47, 0
	s_andn2_b64 s[44:45], s[44:45], exec
	v_lshl_add_u64 v[32:33], v[32:33], 0, 2
	v_lshl_add_u64 v[34:35], v[34:35], 0, 2
	s_waitcnt vmcnt(0)
	v_cmp_ne_u16_e32 vcc, v38, v39
	s_and_b64 s[48:49], vcc, exec
	s_or_b64 s[44:45], s[44:45], s[48:49]
.LBB1469_76:                            ;   in Loop: Header=BB1469_77 Depth=1
	s_and_b64 s[48:49], exec, s[44:45]
	s_or_b64 s[42:43], s[48:49], s[42:43]
	v_mov_b64_e32 v[38:39], s[46:47]
	s_andn2_b64 exec, exec, s[42:43]
	s_cbranch_execz .LBB1469_79
.LBB1469_77:                            ; =>This Inner Loop Header: Depth=1
	s_or_b64 s[44:45], s[44:45], exec
	s_cmp_eq_u64 s[16:17], s[46:47]
	s_cbranch_scc0 .LBB1469_75
; %bb.78:                               ;   in Loop: Header=BB1469_77 Depth=1
                                        ; implicit-def: $vgpr32_vgpr33
                                        ; implicit-def: $vgpr34_vgpr35
	s_mov_b64 s[46:47], s[26:27]
	s_branch .LBB1469_76
.LBB1469_79:
	s_or_b64 exec, exec, s[42:43]
	v_cmp_gt_i64_e32 vcc, s[26:27], v[38:39]
	s_orn2_b64 s[16:17], vcc, exec
.LBB1469_80:
	s_or_b64 exec, exec, s[40:41]
.LBB1469_81:
	v_mul_lo_u32 v34, v25, s26
	v_mul_lo_u32 v35, v24, s27
	v_mad_u64_u32 v[32:33], s[40:41], v24, s26, 0
	v_add3_u32 v33, v33, v35, v34
	s_and_b64 vcc, exec, s[4:5]
	v_lshl_add_u64 v[34:35], v[32:33], 1, s[36:37]
	s_cbranch_vccnz .LBB1469_90
; %bb.82:
	global_load_ushort v32, v[34:35], off
	global_load_ushort v33, v[36:37], off
	s_mov_b64 s[14:15], -1
	s_waitcnt vmcnt(0)
	v_cmp_eq_u16_e32 vcc, v32, v33
	s_and_saveexec_b64 s[40:41], vcc
	s_cbranch_execz .LBB1469_89
; %bb.83:
	s_add_u32 s14, s26, -1
	v_lshl_add_u64 v[32:33], v[36:37], 0, 2
	v_lshl_add_u64 v[36:37], v[34:35], 0, 2
	s_addc_u32 s15, s27, -1
	s_mov_b64 s[42:43], 0
	s_mov_b64 s[46:47], 0
                                        ; implicit-def: $sgpr44_sgpr45
	s_branch .LBB1469_86
.LBB1469_84:                            ;   in Loop: Header=BB1469_86 Depth=1
	global_load_ushort v38, v[36:37], off
	global_load_ushort v39, v[32:33], off
	s_add_u32 s46, s46, 1
	s_addc_u32 s47, s47, 0
	s_andn2_b64 s[44:45], s[44:45], exec
	v_lshl_add_u64 v[32:33], v[32:33], 0, 2
	v_lshl_add_u64 v[36:37], v[36:37], 0, 2
	s_waitcnt vmcnt(0)
	v_cmp_ne_u16_e32 vcc, v38, v39
	s_and_b64 s[48:49], vcc, exec
	s_or_b64 s[44:45], s[44:45], s[48:49]
.LBB1469_85:                            ;   in Loop: Header=BB1469_86 Depth=1
	s_and_b64 s[48:49], exec, s[44:45]
	s_or_b64 s[42:43], s[48:49], s[42:43]
	v_mov_b64_e32 v[38:39], s[46:47]
	s_andn2_b64 exec, exec, s[42:43]
	s_cbranch_execz .LBB1469_88
.LBB1469_86:                            ; =>This Inner Loop Header: Depth=1
	s_or_b64 s[44:45], s[44:45], exec
	s_cmp_eq_u64 s[14:15], s[46:47]
	s_cbranch_scc0 .LBB1469_84
; %bb.87:                               ;   in Loop: Header=BB1469_86 Depth=1
                                        ; implicit-def: $vgpr32_vgpr33
                                        ; implicit-def: $vgpr36_vgpr37
	s_mov_b64 s[46:47], s[26:27]
	s_branch .LBB1469_85
.LBB1469_88:
	s_or_b64 exec, exec, s[42:43]
	v_cmp_gt_i64_e32 vcc, s[26:27], v[38:39]
	s_orn2_b64 s[14:15], vcc, exec
.LBB1469_89:
	s_or_b64 exec, exec, s[40:41]
.LBB1469_90:
	v_mul_lo_u32 v36, v23, s26
	v_mul_lo_u32 v37, v22, s27
	v_mad_u64_u32 v[32:33], s[40:41], v22, s26, 0
	v_add3_u32 v33, v33, v37, v36
	s_mov_b64 s[42:43], 0
	s_and_b64 vcc, exec, s[4:5]
	v_lshl_add_u64 v[32:33], v[32:33], 1, s[36:37]
	s_cbranch_vccnz .LBB1469_99
; %bb.91:
	global_load_ushort v36, v[32:33], off
	global_load_ushort v37, v[34:35], off
	s_mov_b64 s[42:43], -1
	s_waitcnt vmcnt(0)
	v_cmp_eq_u16_e32 vcc, v36, v37
	s_and_saveexec_b64 s[40:41], vcc
	s_cbranch_execz .LBB1469_98
; %bb.92:
	s_add_u32 s42, s26, -1
	v_lshl_add_u64 v[34:35], v[34:35], 0, 2
	v_lshl_add_u64 v[36:37], v[32:33], 0, 2
	s_addc_u32 s43, s27, -1
	s_mov_b64 s[44:45], 0
	s_mov_b64 s[48:49], 0
                                        ; implicit-def: $sgpr46_sgpr47
	s_branch .LBB1469_95
.LBB1469_93:                            ;   in Loop: Header=BB1469_95 Depth=1
	global_load_ushort v38, v[36:37], off
	global_load_ushort v39, v[34:35], off
	s_add_u32 s48, s48, 1
	s_addc_u32 s49, s49, 0
	s_andn2_b64 s[46:47], s[46:47], exec
	v_lshl_add_u64 v[34:35], v[34:35], 0, 2
	v_lshl_add_u64 v[36:37], v[36:37], 0, 2
	s_waitcnt vmcnt(0)
	v_cmp_ne_u16_e32 vcc, v38, v39
	s_and_b64 s[50:51], vcc, exec
	s_or_b64 s[46:47], s[46:47], s[50:51]
.LBB1469_94:                            ;   in Loop: Header=BB1469_95 Depth=1
	s_and_b64 s[50:51], exec, s[46:47]
	s_or_b64 s[44:45], s[50:51], s[44:45]
	v_mov_b64_e32 v[38:39], s[48:49]
	s_andn2_b64 exec, exec, s[44:45]
	s_cbranch_execz .LBB1469_97
.LBB1469_95:                            ; =>This Inner Loop Header: Depth=1
	s_or_b64 s[46:47], s[46:47], exec
	s_cmp_eq_u64 s[42:43], s[48:49]
	s_cbranch_scc0 .LBB1469_93
; %bb.96:                               ;   in Loop: Header=BB1469_95 Depth=1
                                        ; implicit-def: $vgpr34_vgpr35
                                        ; implicit-def: $vgpr36_vgpr37
	s_mov_b64 s[48:49], s[26:27]
	s_branch .LBB1469_94
.LBB1469_97:
	s_or_b64 exec, exec, s[44:45]
	v_cmp_gt_i64_e32 vcc, s[26:27], v[38:39]
	s_orn2_b64 s[42:43], vcc, exec
.LBB1469_98:
	s_or_b64 exec, exec, s[40:41]
.LBB1469_99:
	s_waitcnt vmcnt(0)
	v_mov_b64_e32 v[34:35], v[30:31]
	s_waitcnt lgkmcnt(0)
	s_barrier
	s_and_saveexec_b64 s[40:41], s[2:3]
	s_cbranch_execz .LBB1469_101
; %bb.100:
	v_add_u32_e32 v34, -8, v47
	ds_read_b64 v[34:35], v34
.LBB1469_101:
	s_or_b64 exec, exec, s[40:41]
	v_cndmask_b32_e64 v37, 0, 1, s[16:17]
	v_cndmask_b32_e64 v36, 0, 1, s[14:15]
	;; [unrolled: 1-line block ×3, first 2 shown]
	v_lshlrev_b16_e32 v37, 8, v37
	v_lshlrev_b16_e32 v38, 8, v38
	v_or_b32_sdwa v50, v36, v37 dst_sel:WORD_1 dst_unused:UNUSED_PAD src0_sel:DWORD src1_sel:DWORD
	s_mov_b64 s[16:17], 0
	s_and_b64 vcc, exec, s[4:5]
	s_mov_b64 s[14:15], 0
	s_cbranch_vccnz .LBB1469_110
; %bb.102:
	s_waitcnt lgkmcnt(0)
	v_mul_lo_u32 v36, v35, s26
	v_mul_lo_u32 v37, v34, s27
	v_mad_u64_u32 v[34:35], s[14:15], v34, s26, 0
	v_add3_u32 v35, v35, v37, v36
	v_lshl_add_u64 v[34:35], v[34:35], 1, s[36:37]
	global_load_ushort v36, v[34:35], off
	global_load_ushort v37, v[32:33], off
	s_mov_b64 s[14:15], -1
	s_waitcnt vmcnt(0)
	v_cmp_eq_u16_e32 vcc, v36, v37
	s_and_saveexec_b64 s[40:41], vcc
	s_cbranch_execz .LBB1469_109
; %bb.103:
	s_add_u32 s14, s26, -1
	v_lshl_add_u64 v[32:33], v[32:33], 0, 2
	v_lshl_add_u64 v[34:35], v[34:35], 0, 2
	s_addc_u32 s15, s27, -1
	s_mov_b64 s[42:43], 0
	s_mov_b64 s[46:47], 0
                                        ; implicit-def: $sgpr44_sgpr45
	s_branch .LBB1469_106
.LBB1469_104:                           ;   in Loop: Header=BB1469_106 Depth=1
	global_load_ushort v36, v[34:35], off
	global_load_ushort v37, v[32:33], off
	s_add_u32 s46, s46, 1
	s_addc_u32 s47, s47, 0
	s_andn2_b64 s[44:45], s[44:45], exec
	v_lshl_add_u64 v[32:33], v[32:33], 0, 2
	v_lshl_add_u64 v[34:35], v[34:35], 0, 2
	s_waitcnt vmcnt(0)
	v_cmp_ne_u16_e32 vcc, v36, v37
	s_and_b64 s[48:49], vcc, exec
	s_or_b64 s[44:45], s[44:45], s[48:49]
.LBB1469_105:                           ;   in Loop: Header=BB1469_106 Depth=1
	s_and_b64 s[48:49], exec, s[44:45]
	s_or_b64 s[42:43], s[48:49], s[42:43]
	v_mov_b64_e32 v[36:37], s[46:47]
	s_andn2_b64 exec, exec, s[42:43]
	s_cbranch_execz .LBB1469_108
.LBB1469_106:                           ; =>This Inner Loop Header: Depth=1
	s_or_b64 s[44:45], s[44:45], exec
	s_cmp_eq_u64 s[14:15], s[46:47]
	s_cbranch_scc0 .LBB1469_104
; %bb.107:                              ;   in Loop: Header=BB1469_106 Depth=1
                                        ; implicit-def: $vgpr32_vgpr33
                                        ; implicit-def: $vgpr34_vgpr35
	s_mov_b64 s[46:47], s[26:27]
	s_branch .LBB1469_105
.LBB1469_108:
	s_or_b64 exec, exec, s[42:43]
	v_cmp_gt_i64_e32 vcc, s[26:27], v[36:37]
	s_orn2_b64 s[14:15], vcc, exec
.LBB1469_109:
	s_or_b64 exec, exec, s[40:41]
.LBB1469_110:
	v_cndmask_b32_e64 v39, 0, 1, s[10:11]
	v_cndmask_b32_e64 v48, 0, 1, s[12:13]
	;; [unrolled: 1-line block ×3, first 2 shown]
	s_waitcnt lgkmcnt(0)
	v_or_b32_e32 v34, v38, v50
	s_and_b64 vcc, exec, s[16:17]
	s_cbranch_vccz .LBB1469_191
.LBB1469_111:
	v_cmp_gt_u32_e32 vcc, s54, v42
	s_mov_b64 s[10:11], 0
	s_mov_b64 s[6:7], 0
	s_and_saveexec_b64 s[12:13], vcc
	s_cbranch_execz .LBB1469_122
; %bb.112:
	s_and_b64 vcc, exec, s[4:5]
	s_mov_b64 s[14:15], 0
	s_cbranch_vccnz .LBB1469_121
; %bb.113:
	v_mul_lo_u32 v34, v17, s26
	v_mul_lo_u32 v35, v16, s27
	v_mad_u64_u32 v[32:33], s[6:7], v16, s26, 0
	v_add3_u32 v33, v33, v35, v34
	v_mul_lo_u32 v34, v29, s26
	v_mul_lo_u32 v35, v28, s27
	v_mad_u64_u32 v[36:37], s[6:7], v28, s26, 0
	v_add3_u32 v37, v37, v35, v34
	v_lshl_add_u64 v[34:35], v[32:33], 1, s[36:37]
	v_lshl_add_u64 v[32:33], v[36:37], 1, s[36:37]
	global_load_ushort v36, v[34:35], off
	global_load_ushort v37, v[32:33], off
	s_mov_b64 s[14:15], -1
	s_waitcnt vmcnt(0)
	v_cmp_eq_u16_e32 vcc, v36, v37
	s_and_saveexec_b64 s[6:7], vcc
	s_cbranch_execz .LBB1469_120
; %bb.114:
	s_add_u32 s14, s26, -1
	v_lshl_add_u64 v[32:33], v[32:33], 0, 2
	v_lshl_add_u64 v[34:35], v[34:35], 0, 2
	s_addc_u32 s15, s27, -1
	s_mov_b64 s[16:17], 0
	s_mov_b64 s[42:43], 0
                                        ; implicit-def: $sgpr40_sgpr41
	s_branch .LBB1469_117
.LBB1469_115:                           ;   in Loop: Header=BB1469_117 Depth=1
	global_load_ushort v36, v[34:35], off
	global_load_ushort v37, v[32:33], off
	s_add_u32 s42, s42, 1
	s_addc_u32 s43, s43, 0
	s_andn2_b64 s[40:41], s[40:41], exec
	v_lshl_add_u64 v[32:33], v[32:33], 0, 2
	v_lshl_add_u64 v[34:35], v[34:35], 0, 2
	s_waitcnt vmcnt(0)
	v_cmp_ne_u16_e32 vcc, v36, v37
	s_and_b64 s[44:45], vcc, exec
	s_or_b64 s[40:41], s[40:41], s[44:45]
.LBB1469_116:                           ;   in Loop: Header=BB1469_117 Depth=1
	s_and_b64 s[44:45], exec, s[40:41]
	s_or_b64 s[16:17], s[44:45], s[16:17]
	v_mov_b64_e32 v[36:37], s[42:43]
	s_andn2_b64 exec, exec, s[16:17]
	s_cbranch_execz .LBB1469_119
.LBB1469_117:                           ; =>This Inner Loop Header: Depth=1
	s_or_b64 s[40:41], s[40:41], exec
	s_cmp_eq_u64 s[14:15], s[42:43]
	s_cbranch_scc0 .LBB1469_115
; %bb.118:                              ;   in Loop: Header=BB1469_117 Depth=1
                                        ; implicit-def: $vgpr32_vgpr33
                                        ; implicit-def: $vgpr34_vgpr35
	s_mov_b64 s[42:43], s[26:27]
	s_branch .LBB1469_116
.LBB1469_119:
	s_or_b64 exec, exec, s[16:17]
	v_cmp_gt_i64_e32 vcc, s[26:27], v[36:37]
	s_orn2_b64 s[14:15], vcc, exec
.LBB1469_120:
	s_or_b64 exec, exec, s[6:7]
.LBB1469_121:
	s_and_b64 s[6:7], s[14:15], exec
.LBB1469_122:
	s_or_b64 exec, exec, s[12:13]
	v_cmp_gt_u32_e32 vcc, s54, v45
	s_and_saveexec_b64 s[12:13], vcc
	s_cbranch_execz .LBB1469_133
; %bb.123:
	s_and_b64 vcc, exec, s[4:5]
	s_mov_b64 s[14:15], 0
	s_cbranch_vccnz .LBB1469_132
; %bb.124:
	v_mul_lo_u32 v34, v15, s26
	v_mul_lo_u32 v35, v14, s27
	v_mad_u64_u32 v[32:33], s[10:11], v14, s26, 0
	v_add3_u32 v33, v33, v35, v34
	v_mul_lo_u32 v34, v17, s26
	v_mul_lo_u32 v35, v16, s27
	v_mad_u64_u32 v[36:37], s[10:11], v16, s26, 0
	v_add3_u32 v37, v37, v35, v34
	v_lshl_add_u64 v[34:35], v[32:33], 1, s[36:37]
	v_lshl_add_u64 v[32:33], v[36:37], 1, s[36:37]
	global_load_ushort v36, v[34:35], off
	global_load_ushort v37, v[32:33], off
	s_mov_b64 s[14:15], -1
	s_waitcnt vmcnt(0)
	v_cmp_eq_u16_e32 vcc, v36, v37
	s_and_saveexec_b64 s[10:11], vcc
	s_cbranch_execz .LBB1469_131
; %bb.125:
	s_add_u32 s14, s26, -1
	v_lshl_add_u64 v[32:33], v[32:33], 0, 2
	v_lshl_add_u64 v[34:35], v[34:35], 0, 2
	s_addc_u32 s15, s27, -1
	s_mov_b64 s[16:17], 0
	s_mov_b64 s[42:43], 0
                                        ; implicit-def: $sgpr40_sgpr41
	s_branch .LBB1469_128
.LBB1469_126:                           ;   in Loop: Header=BB1469_128 Depth=1
	global_load_ushort v36, v[34:35], off
	global_load_ushort v37, v[32:33], off
	s_add_u32 s42, s42, 1
	s_addc_u32 s43, s43, 0
	s_andn2_b64 s[40:41], s[40:41], exec
	v_lshl_add_u64 v[32:33], v[32:33], 0, 2
	v_lshl_add_u64 v[34:35], v[34:35], 0, 2
	s_waitcnt vmcnt(0)
	v_cmp_ne_u16_e32 vcc, v36, v37
	s_and_b64 s[44:45], vcc, exec
	s_or_b64 s[40:41], s[40:41], s[44:45]
.LBB1469_127:                           ;   in Loop: Header=BB1469_128 Depth=1
	s_and_b64 s[44:45], exec, s[40:41]
	s_or_b64 s[16:17], s[44:45], s[16:17]
	v_mov_b64_e32 v[36:37], s[42:43]
	s_andn2_b64 exec, exec, s[16:17]
	s_cbranch_execz .LBB1469_130
.LBB1469_128:                           ; =>This Inner Loop Header: Depth=1
	s_or_b64 s[40:41], s[40:41], exec
	s_cmp_eq_u64 s[14:15], s[42:43]
	s_cbranch_scc0 .LBB1469_126
; %bb.129:                              ;   in Loop: Header=BB1469_128 Depth=1
                                        ; implicit-def: $vgpr32_vgpr33
                                        ; implicit-def: $vgpr34_vgpr35
	s_mov_b64 s[42:43], s[26:27]
	s_branch .LBB1469_127
.LBB1469_130:
	s_or_b64 exec, exec, s[16:17]
	v_cmp_gt_i64_e32 vcc, s[26:27], v[36:37]
	s_orn2_b64 s[14:15], vcc, exec
.LBB1469_131:
	s_or_b64 exec, exec, s[10:11]
.LBB1469_132:
	s_and_b64 s[10:11], s[14:15], exec
.LBB1469_133:
	s_or_b64 exec, exec, s[12:13]
	v_cmp_gt_u32_e32 vcc, s54, v41
	s_mov_b64 s[14:15], 0
	s_mov_b64 s[12:13], 0
	s_and_saveexec_b64 s[16:17], vcc
	s_cbranch_execz .LBB1469_144
; %bb.134:
	s_and_b64 vcc, exec, s[4:5]
	s_mov_b64 s[40:41], 0
	s_cbranch_vccnz .LBB1469_143
; %bb.135:
	v_mul_lo_u32 v34, v21, s26
	v_mul_lo_u32 v35, v20, s27
	v_mad_u64_u32 v[32:33], s[12:13], v20, s26, 0
	v_add3_u32 v33, v33, v35, v34
	v_mul_lo_u32 v34, v15, s26
	v_mul_lo_u32 v35, v14, s27
	v_mad_u64_u32 v[36:37], s[12:13], v14, s26, 0
	v_add3_u32 v37, v37, v35, v34
	v_lshl_add_u64 v[34:35], v[32:33], 1, s[36:37]
	v_lshl_add_u64 v[32:33], v[36:37], 1, s[36:37]
	global_load_ushort v36, v[34:35], off
	global_load_ushort v37, v[32:33], off
	s_mov_b64 s[40:41], -1
	s_waitcnt vmcnt(0)
	v_cmp_eq_u16_e32 vcc, v36, v37
	s_and_saveexec_b64 s[12:13], vcc
	s_cbranch_execz .LBB1469_142
; %bb.136:
	s_add_u32 s40, s26, -1
	v_lshl_add_u64 v[32:33], v[32:33], 0, 2
	v_lshl_add_u64 v[34:35], v[34:35], 0, 2
	s_addc_u32 s41, s27, -1
	s_mov_b64 s[42:43], 0
	s_mov_b64 s[46:47], 0
                                        ; implicit-def: $sgpr44_sgpr45
	s_branch .LBB1469_139
.LBB1469_137:                           ;   in Loop: Header=BB1469_139 Depth=1
	global_load_ushort v36, v[34:35], off
	global_load_ushort v37, v[32:33], off
	s_add_u32 s46, s46, 1
	s_addc_u32 s47, s47, 0
	s_andn2_b64 s[44:45], s[44:45], exec
	v_lshl_add_u64 v[32:33], v[32:33], 0, 2
	v_lshl_add_u64 v[34:35], v[34:35], 0, 2
	s_waitcnt vmcnt(0)
	v_cmp_ne_u16_e32 vcc, v36, v37
	s_and_b64 s[48:49], vcc, exec
	s_or_b64 s[44:45], s[44:45], s[48:49]
.LBB1469_138:                           ;   in Loop: Header=BB1469_139 Depth=1
	s_and_b64 s[48:49], exec, s[44:45]
	s_or_b64 s[42:43], s[48:49], s[42:43]
	v_mov_b64_e32 v[36:37], s[46:47]
	s_andn2_b64 exec, exec, s[42:43]
	s_cbranch_execz .LBB1469_141
.LBB1469_139:                           ; =>This Inner Loop Header: Depth=1
	s_or_b64 s[44:45], s[44:45], exec
	s_cmp_eq_u64 s[40:41], s[46:47]
	s_cbranch_scc0 .LBB1469_137
; %bb.140:                              ;   in Loop: Header=BB1469_139 Depth=1
                                        ; implicit-def: $vgpr32_vgpr33
                                        ; implicit-def: $vgpr34_vgpr35
	s_mov_b64 s[46:47], s[26:27]
	s_branch .LBB1469_138
.LBB1469_141:
	s_or_b64 exec, exec, s[42:43]
	v_cmp_gt_i64_e32 vcc, s[26:27], v[36:37]
	s_orn2_b64 s[40:41], vcc, exec
.LBB1469_142:
	s_or_b64 exec, exec, s[12:13]
.LBB1469_143:
	s_and_b64 s[12:13], s[40:41], exec
.LBB1469_144:
	s_or_b64 exec, exec, s[16:17]
	v_cmp_gt_u32_e32 vcc, s54, v44
	s_and_saveexec_b64 s[16:17], vcc
	s_cbranch_execz .LBB1469_155
; %bb.145:
	s_and_b64 vcc, exec, s[4:5]
	s_mov_b64 s[40:41], 0
	s_cbranch_vccnz .LBB1469_154
; %bb.146:
	v_mul_lo_u32 v34, v19, s26
	v_mul_lo_u32 v35, v18, s27
	v_mad_u64_u32 v[32:33], s[14:15], v18, s26, 0
	v_add3_u32 v33, v33, v35, v34
	v_mul_lo_u32 v34, v21, s26
	v_mul_lo_u32 v35, v20, s27
	v_mad_u64_u32 v[36:37], s[14:15], v20, s26, 0
	v_add3_u32 v37, v37, v35, v34
	v_lshl_add_u64 v[34:35], v[32:33], 1, s[36:37]
	v_lshl_add_u64 v[32:33], v[36:37], 1, s[36:37]
	global_load_ushort v36, v[34:35], off
	global_load_ushort v37, v[32:33], off
	s_mov_b64 s[40:41], -1
	s_waitcnt vmcnt(0)
	v_cmp_eq_u16_e32 vcc, v36, v37
	s_and_saveexec_b64 s[14:15], vcc
	s_cbranch_execz .LBB1469_153
; %bb.147:
	s_add_u32 s40, s26, -1
	v_lshl_add_u64 v[32:33], v[32:33], 0, 2
	v_lshl_add_u64 v[34:35], v[34:35], 0, 2
	s_addc_u32 s41, s27, -1
	s_mov_b64 s[42:43], 0
	s_mov_b64 s[46:47], 0
                                        ; implicit-def: $sgpr44_sgpr45
	s_branch .LBB1469_150
.LBB1469_148:                           ;   in Loop: Header=BB1469_150 Depth=1
	global_load_ushort v36, v[34:35], off
	global_load_ushort v37, v[32:33], off
	s_add_u32 s46, s46, 1
	s_addc_u32 s47, s47, 0
	s_andn2_b64 s[44:45], s[44:45], exec
	v_lshl_add_u64 v[32:33], v[32:33], 0, 2
	v_lshl_add_u64 v[34:35], v[34:35], 0, 2
	s_waitcnt vmcnt(0)
	v_cmp_ne_u16_e32 vcc, v36, v37
	s_and_b64 s[48:49], vcc, exec
	s_or_b64 s[44:45], s[44:45], s[48:49]
.LBB1469_149:                           ;   in Loop: Header=BB1469_150 Depth=1
	s_and_b64 s[48:49], exec, s[44:45]
	s_or_b64 s[42:43], s[48:49], s[42:43]
	v_mov_b64_e32 v[36:37], s[46:47]
	s_andn2_b64 exec, exec, s[42:43]
	s_cbranch_execz .LBB1469_152
.LBB1469_150:                           ; =>This Inner Loop Header: Depth=1
	s_or_b64 s[44:45], s[44:45], exec
	s_cmp_eq_u64 s[40:41], s[46:47]
	s_cbranch_scc0 .LBB1469_148
; %bb.151:                              ;   in Loop: Header=BB1469_150 Depth=1
                                        ; implicit-def: $vgpr32_vgpr33
                                        ; implicit-def: $vgpr34_vgpr35
	s_mov_b64 s[46:47], s[26:27]
	s_branch .LBB1469_149
.LBB1469_152:
	s_or_b64 exec, exec, s[42:43]
	v_cmp_gt_i64_e32 vcc, s[26:27], v[36:37]
	s_orn2_b64 s[40:41], vcc, exec
.LBB1469_153:
	s_or_b64 exec, exec, s[14:15]
.LBB1469_154:
	s_and_b64 s[14:15], s[40:41], exec
.LBB1469_155:
	s_or_b64 exec, exec, s[16:17]
	v_cmp_gt_u32_e32 vcc, s54, v40
	s_mov_b64 s[16:17], 0
	s_mov_b64 s[40:41], 0
	s_and_saveexec_b64 s[42:43], vcc
	s_cbranch_execz .LBB1469_166
; %bb.156:
	s_and_b64 vcc, exec, s[4:5]
	s_mov_b64 s[44:45], 0
	s_cbranch_vccnz .LBB1469_165
; %bb.157:
	v_mul_lo_u32 v34, v25, s26
	v_mul_lo_u32 v35, v24, s27
	v_mad_u64_u32 v[32:33], s[40:41], v24, s26, 0
	v_add3_u32 v33, v33, v35, v34
	v_mul_lo_u32 v34, v19, s26
	v_mul_lo_u32 v35, v18, s27
	v_mad_u64_u32 v[36:37], s[40:41], v18, s26, 0
	v_add3_u32 v37, v37, v35, v34
	v_lshl_add_u64 v[34:35], v[32:33], 1, s[36:37]
	v_lshl_add_u64 v[32:33], v[36:37], 1, s[36:37]
	global_load_ushort v36, v[34:35], off
	global_load_ushort v37, v[32:33], off
	s_mov_b64 s[44:45], -1
	s_waitcnt vmcnt(0)
	v_cmp_eq_u16_e32 vcc, v36, v37
	s_and_saveexec_b64 s[40:41], vcc
	s_cbranch_execz .LBB1469_164
; %bb.158:
	s_add_u32 s44, s26, -1
	v_lshl_add_u64 v[32:33], v[32:33], 0, 2
	v_lshl_add_u64 v[34:35], v[34:35], 0, 2
	s_addc_u32 s45, s27, -1
	s_mov_b64 s[46:47], 0
	s_mov_b64 s[50:51], 0
                                        ; implicit-def: $sgpr48_sgpr49
	s_branch .LBB1469_161
.LBB1469_159:                           ;   in Loop: Header=BB1469_161 Depth=1
	global_load_ushort v36, v[34:35], off
	global_load_ushort v37, v[32:33], off
	s_add_u32 s50, s50, 1
	s_addc_u32 s51, s51, 0
	s_andn2_b64 s[48:49], s[48:49], exec
	v_lshl_add_u64 v[32:33], v[32:33], 0, 2
	v_lshl_add_u64 v[34:35], v[34:35], 0, 2
	s_waitcnt vmcnt(0)
	v_cmp_ne_u16_e32 vcc, v36, v37
	s_and_b64 s[52:53], vcc, exec
	s_or_b64 s[48:49], s[48:49], s[52:53]
.LBB1469_160:                           ;   in Loop: Header=BB1469_161 Depth=1
	s_and_b64 s[52:53], exec, s[48:49]
	s_or_b64 s[46:47], s[52:53], s[46:47]
	v_mov_b64_e32 v[36:37], s[50:51]
	s_andn2_b64 exec, exec, s[46:47]
	s_cbranch_execz .LBB1469_163
.LBB1469_161:                           ; =>This Inner Loop Header: Depth=1
	s_or_b64 s[48:49], s[48:49], exec
	s_cmp_eq_u64 s[44:45], s[50:51]
	s_cbranch_scc0 .LBB1469_159
; %bb.162:                              ;   in Loop: Header=BB1469_161 Depth=1
                                        ; implicit-def: $vgpr32_vgpr33
                                        ; implicit-def: $vgpr34_vgpr35
	s_mov_b64 s[50:51], s[26:27]
	s_branch .LBB1469_160
.LBB1469_163:
	s_or_b64 exec, exec, s[46:47]
	v_cmp_gt_i64_e32 vcc, s[26:27], v[36:37]
	s_orn2_b64 s[44:45], vcc, exec
.LBB1469_164:
	s_or_b64 exec, exec, s[40:41]
.LBB1469_165:
	s_and_b64 s[40:41], s[44:45], exec
.LBB1469_166:
	s_or_b64 exec, exec, s[42:43]
	v_cmp_gt_u32_e32 vcc, s54, v43
	s_and_saveexec_b64 s[42:43], vcc
	s_cbranch_execz .LBB1469_177
; %bb.167:
	s_and_b64 vcc, exec, s[4:5]
	s_mov_b64 s[44:45], 0
	s_cbranch_vccnz .LBB1469_176
; %bb.168:
	v_mul_lo_u32 v34, v23, s26
	v_mul_lo_u32 v35, v22, s27
	v_mad_u64_u32 v[32:33], s[16:17], v22, s26, 0
	v_add3_u32 v33, v33, v35, v34
	v_mul_lo_u32 v34, v25, s26
	v_mul_lo_u32 v35, v24, s27
	v_mad_u64_u32 v[36:37], s[16:17], v24, s26, 0
	v_add3_u32 v37, v37, v35, v34
	v_lshl_add_u64 v[34:35], v[32:33], 1, s[36:37]
	v_lshl_add_u64 v[32:33], v[36:37], 1, s[36:37]
	global_load_ushort v36, v[34:35], off
	global_load_ushort v37, v[32:33], off
	s_mov_b64 s[44:45], -1
	s_waitcnt vmcnt(0)
	v_cmp_eq_u16_e32 vcc, v36, v37
	s_and_saveexec_b64 s[16:17], vcc
	s_cbranch_execz .LBB1469_175
; %bb.169:
	s_add_u32 s44, s26, -1
	v_lshl_add_u64 v[32:33], v[32:33], 0, 2
	v_lshl_add_u64 v[34:35], v[34:35], 0, 2
	s_addc_u32 s45, s27, -1
	s_mov_b64 s[46:47], 0
	s_mov_b64 s[50:51], 0
                                        ; implicit-def: $sgpr48_sgpr49
	s_branch .LBB1469_172
.LBB1469_170:                           ;   in Loop: Header=BB1469_172 Depth=1
	global_load_ushort v36, v[34:35], off
	global_load_ushort v37, v[32:33], off
	s_add_u32 s50, s50, 1
	s_addc_u32 s51, s51, 0
	s_andn2_b64 s[48:49], s[48:49], exec
	v_lshl_add_u64 v[32:33], v[32:33], 0, 2
	v_lshl_add_u64 v[34:35], v[34:35], 0, 2
	s_waitcnt vmcnt(0)
	v_cmp_ne_u16_e32 vcc, v36, v37
	s_and_b64 s[52:53], vcc, exec
	s_or_b64 s[48:49], s[48:49], s[52:53]
.LBB1469_171:                           ;   in Loop: Header=BB1469_172 Depth=1
	s_and_b64 s[52:53], exec, s[48:49]
	s_or_b64 s[46:47], s[52:53], s[46:47]
	v_mov_b64_e32 v[36:37], s[50:51]
	s_andn2_b64 exec, exec, s[46:47]
	s_cbranch_execz .LBB1469_174
.LBB1469_172:                           ; =>This Inner Loop Header: Depth=1
	s_or_b64 s[48:49], s[48:49], exec
	s_cmp_eq_u64 s[44:45], s[50:51]
	s_cbranch_scc0 .LBB1469_170
; %bb.173:                              ;   in Loop: Header=BB1469_172 Depth=1
                                        ; implicit-def: $vgpr32_vgpr33
                                        ; implicit-def: $vgpr34_vgpr35
	s_mov_b64 s[50:51], s[26:27]
	s_branch .LBB1469_171
.LBB1469_174:
	s_or_b64 exec, exec, s[46:47]
	v_cmp_gt_i64_e32 vcc, s[26:27], v[36:37]
	s_orn2_b64 s[44:45], vcc, exec
.LBB1469_175:
	s_or_b64 exec, exec, s[16:17]
.LBB1469_176:
	s_and_b64 s[16:17], s[44:45], exec
.LBB1469_177:
	s_or_b64 exec, exec, s[42:43]
	s_waitcnt lgkmcnt(0)
	s_barrier
	s_and_saveexec_b64 s[42:43], s[2:3]
	s_cbranch_execz .LBB1469_179
; %bb.178:
	s_waitcnt vmcnt(0)
	v_add_u32_e32 v30, -8, v47
	ds_read_b64 v[30:31], v30
.LBB1469_179:
	s_or_b64 exec, exec, s[42:43]
	v_cndmask_b32_e64 v33, 0, 1, s[14:15]
	v_cndmask_b32_e64 v32, 0, 1, s[40:41]
	;; [unrolled: 1-line block ×3, first 2 shown]
	v_lshlrev_b16_e32 v33, 8, v33
	v_cmp_gt_u32_e32 vcc, s54, v1
	v_lshlrev_b16_e32 v36, 8, v34
	v_or_b32_sdwa v37, v32, v33 dst_sel:WORD_1 dst_unused:UNUSED_PAD src0_sel:DWORD src1_sel:DWORD
	s_mov_b64 s[14:15], 0
	s_and_saveexec_b64 s[16:17], vcc
	s_cbranch_execz .LBB1469_190
; %bb.180:
	s_and_b64 vcc, exec, s[4:5]
	s_cbranch_vccnz .LBB1469_189
; %bb.181:
	s_waitcnt vmcnt(0) lgkmcnt(0)
	v_mul_lo_u32 v32, v31, s26
	v_mul_lo_u32 v33, v30, s27
	v_mad_u64_u32 v[30:31], s[4:5], v30, s26, 0
	v_add3_u32 v31, v31, v33, v32
	v_mul_lo_u32 v32, v23, s26
	v_mul_lo_u32 v33, v22, s27
	v_mad_u64_u32 v[34:35], s[4:5], v22, s26, 0
	v_add3_u32 v35, v35, v33, v32
	v_lshl_add_u64 v[32:33], v[30:31], 1, s[36:37]
	v_lshl_add_u64 v[30:31], v[34:35], 1, s[36:37]
	global_load_ushort v34, v[32:33], off
	global_load_ushort v35, v[30:31], off
	s_mov_b64 s[14:15], -1
	s_waitcnt vmcnt(0)
	v_cmp_eq_u16_e32 vcc, v34, v35
	s_and_saveexec_b64 s[4:5], vcc
	s_cbranch_execz .LBB1469_188
; %bb.182:
	s_add_u32 s14, s26, -1
	v_lshl_add_u64 v[30:31], v[30:31], 0, 2
	v_lshl_add_u64 v[32:33], v[32:33], 0, 2
	s_addc_u32 s15, s27, -1
	s_mov_b64 s[40:41], 0
	s_mov_b64 s[44:45], 0
                                        ; implicit-def: $sgpr42_sgpr43
	s_branch .LBB1469_185
.LBB1469_183:                           ;   in Loop: Header=BB1469_185 Depth=1
	global_load_ushort v34, v[32:33], off
	global_load_ushort v35, v[30:31], off
	s_add_u32 s44, s44, 1
	s_addc_u32 s45, s45, 0
	s_andn2_b64 s[42:43], s[42:43], exec
	v_lshl_add_u64 v[30:31], v[30:31], 0, 2
	v_lshl_add_u64 v[32:33], v[32:33], 0, 2
	s_waitcnt vmcnt(0)
	v_cmp_ne_u16_e32 vcc, v34, v35
	s_and_b64 s[46:47], vcc, exec
	s_or_b64 s[42:43], s[42:43], s[46:47]
.LBB1469_184:                           ;   in Loop: Header=BB1469_185 Depth=1
	s_and_b64 s[46:47], exec, s[42:43]
	s_or_b64 s[40:41], s[46:47], s[40:41]
	v_mov_b64_e32 v[34:35], s[44:45]
	s_andn2_b64 exec, exec, s[40:41]
	s_cbranch_execz .LBB1469_187
.LBB1469_185:                           ; =>This Inner Loop Header: Depth=1
	s_or_b64 s[42:43], s[42:43], exec
	s_cmp_eq_u64 s[14:15], s[44:45]
	s_cbranch_scc0 .LBB1469_183
; %bb.186:                              ;   in Loop: Header=BB1469_185 Depth=1
                                        ; implicit-def: $vgpr30_vgpr31
                                        ; implicit-def: $vgpr32_vgpr33
	s_mov_b64 s[44:45], s[26:27]
	s_branch .LBB1469_184
.LBB1469_187:
	s_or_b64 exec, exec, s[40:41]
	v_cmp_gt_i64_e32 vcc, s[26:27], v[34:35]
	s_orn2_b64 s[14:15], vcc, exec
.LBB1469_188:
	s_or_b64 exec, exec, s[4:5]
.LBB1469_189:
	s_and_b64 s[14:15], s[14:15], exec
.LBB1469_190:
	s_or_b64 exec, exec, s[16:17]
	v_cndmask_b32_e64 v39, 0, 1, s[12:13]
	v_cndmask_b32_e64 v48, 0, 1, s[10:11]
	;; [unrolled: 1-line block ×3, first 2 shown]
	v_or_b32_e32 v34, v36, v37
.LBB1469_191:
	s_mov_b64 s[10:11], -1
	s_cbranch_execnz .LBB1469_50
.LBB1469_192:
	s_movk_i32 s4, 0xffd0
	v_mad_i32_i24 v38, v0, s4, v46
	s_mov_b64 s[12:13], 0
	v_cmp_gt_i64_e64 s[6:7], s[26:27], 0
	s_and_b64 vcc, exec, s[34:35]
	ds_write_b64 v38, v[28:29]
	s_cbranch_vccz .LBB1469_200
; %bb.193:
	v_mul_lo_u32 v32, v17, s26
	v_mul_lo_u32 v33, v16, s27
	s_waitcnt vmcnt(0) lgkmcnt(1)
	v_mad_u64_u32 v[30:31], s[4:5], v16, s26, 0
	v_add3_u32 v31, v31, v33, v32
	v_cndmask_b32_e64 v32, 0, 1, s[6:7]
	v_cmp_ne_u32_e64 s[4:5], 1, v32
	s_andn2_b64 vcc, exec, s[6:7]
	v_lshl_add_u64 v[30:31], v[30:31], 1, s[36:37]
	s_cbranch_vccnz .LBB1469_203
; %bb.194:
	v_mul_lo_u32 v34, v29, s26
	v_mul_lo_u32 v35, v28, s27
	v_mad_u64_u32 v[32:33], s[12:13], v28, s26, 0
	v_add3_u32 v33, v33, v35, v34
	v_lshl_add_u64 v[32:33], v[32:33], 1, s[36:37]
	global_load_ushort v34, v[30:31], off
	global_load_ushort v35, v[32:33], off
	s_mov_b64 s[12:13], -1
	s_waitcnt vmcnt(0)
	v_cmp_eq_u16_e32 vcc, v34, v35
	s_and_saveexec_b64 s[14:15], vcc
	s_cbranch_execz .LBB1469_202
; %bb.195:
	s_add_u32 s12, s26, -1
	v_lshl_add_u64 v[32:33], v[32:33], 0, 2
	v_lshl_add_u64 v[34:35], v[30:31], 0, 2
	s_addc_u32 s13, s27, -1
	s_mov_b64 s[16:17], 0
	s_mov_b64 s[42:43], 0
                                        ; implicit-def: $sgpr40_sgpr41
	s_branch .LBB1469_198
.LBB1469_196:                           ;   in Loop: Header=BB1469_198 Depth=1
	global_load_ushort v36, v[34:35], off
	global_load_ushort v37, v[32:33], off
	s_add_u32 s42, s42, 1
	s_addc_u32 s43, s43, 0
	s_andn2_b64 s[40:41], s[40:41], exec
	v_lshl_add_u64 v[32:33], v[32:33], 0, 2
	v_lshl_add_u64 v[34:35], v[34:35], 0, 2
	s_waitcnt vmcnt(0)
	v_cmp_ne_u16_e32 vcc, v36, v37
	s_and_b64 s[44:45], vcc, exec
	s_or_b64 s[40:41], s[40:41], s[44:45]
.LBB1469_197:                           ;   in Loop: Header=BB1469_198 Depth=1
	s_and_b64 s[44:45], exec, s[40:41]
	s_or_b64 s[16:17], s[44:45], s[16:17]
	v_mov_b64_e32 v[36:37], s[42:43]
	s_andn2_b64 exec, exec, s[16:17]
	s_cbranch_execz .LBB1469_201
.LBB1469_198:                           ; =>This Inner Loop Header: Depth=1
	s_or_b64 s[40:41], s[40:41], exec
	s_cmp_eq_u64 s[12:13], s[42:43]
	s_cbranch_scc0 .LBB1469_196
; %bb.199:                              ;   in Loop: Header=BB1469_198 Depth=1
                                        ; implicit-def: $vgpr32_vgpr33
                                        ; implicit-def: $vgpr34_vgpr35
	s_mov_b64 s[42:43], s[26:27]
	s_branch .LBB1469_197
.LBB1469_200:
                                        ; implicit-def: $sgpr14_sgpr15
                                        ; implicit-def: $vgpr49
                                        ; implicit-def: $vgpr48
                                        ; implicit-def: $vgpr39
                                        ; implicit-def: $vgpr34
                                        ; implicit-def: $vgpr30_vgpr31
	s_cbranch_execnz .LBB1469_260
	s_branch .LBB1469_340
.LBB1469_201:
	s_or_b64 exec, exec, s[16:17]
	v_cmp_gt_i64_e32 vcc, s[26:27], v[36:37]
	s_orn2_b64 s[12:13], vcc, exec
.LBB1469_202:
	s_or_b64 exec, exec, s[14:15]
.LBB1469_203:
	v_mul_lo_u32 v34, v15, s26
	v_mul_lo_u32 v35, v14, s27
	v_mad_u64_u32 v[32:33], s[14:15], v14, s26, 0
	v_add3_u32 v33, v33, v35, v34
	s_mov_b64 s[14:15], 0
	s_and_b64 vcc, exec, s[4:5]
	v_lshl_add_u64 v[32:33], v[32:33], 1, s[36:37]
	s_mov_b64 s[16:17], 0
	s_cbranch_vccnz .LBB1469_212
; %bb.204:
	global_load_ushort v34, v[32:33], off
	global_load_ushort v35, v[30:31], off
	s_mov_b64 s[16:17], -1
	s_waitcnt vmcnt(0)
	v_cmp_eq_u16_e32 vcc, v34, v35
	s_and_saveexec_b64 s[40:41], vcc
	s_cbranch_execz .LBB1469_211
; %bb.205:
	s_add_u32 s16, s26, -1
	v_lshl_add_u64 v[30:31], v[30:31], 0, 2
	v_lshl_add_u64 v[34:35], v[32:33], 0, 2
	s_addc_u32 s17, s27, -1
	s_mov_b64 s[42:43], 0
	s_mov_b64 s[46:47], 0
                                        ; implicit-def: $sgpr44_sgpr45
	s_branch .LBB1469_208
.LBB1469_206:                           ;   in Loop: Header=BB1469_208 Depth=1
	global_load_ushort v36, v[34:35], off
	global_load_ushort v37, v[30:31], off
	s_add_u32 s46, s46, 1
	s_addc_u32 s47, s47, 0
	s_andn2_b64 s[44:45], s[44:45], exec
	v_lshl_add_u64 v[30:31], v[30:31], 0, 2
	v_lshl_add_u64 v[34:35], v[34:35], 0, 2
	s_waitcnt vmcnt(0)
	v_cmp_ne_u16_e32 vcc, v36, v37
	s_and_b64 s[48:49], vcc, exec
	s_or_b64 s[44:45], s[44:45], s[48:49]
.LBB1469_207:                           ;   in Loop: Header=BB1469_208 Depth=1
	s_and_b64 s[48:49], exec, s[44:45]
	s_or_b64 s[42:43], s[48:49], s[42:43]
	v_mov_b64_e32 v[36:37], s[46:47]
	s_andn2_b64 exec, exec, s[42:43]
	s_cbranch_execz .LBB1469_210
.LBB1469_208:                           ; =>This Inner Loop Header: Depth=1
	s_or_b64 s[44:45], s[44:45], exec
	s_cmp_eq_u64 s[16:17], s[46:47]
	s_cbranch_scc0 .LBB1469_206
; %bb.209:                              ;   in Loop: Header=BB1469_208 Depth=1
                                        ; implicit-def: $vgpr30_vgpr31
                                        ; implicit-def: $vgpr34_vgpr35
	s_mov_b64 s[46:47], s[26:27]
	s_branch .LBB1469_207
.LBB1469_210:
	s_or_b64 exec, exec, s[42:43]
	v_cmp_gt_i64_e32 vcc, s[26:27], v[36:37]
	s_orn2_b64 s[16:17], vcc, exec
.LBB1469_211:
	s_or_b64 exec, exec, s[40:41]
.LBB1469_212:
	v_mul_lo_u32 v34, v21, s26
	v_mul_lo_u32 v35, v20, s27
	v_mad_u64_u32 v[30:31], s[40:41], v20, s26, 0
	v_add3_u32 v31, v31, v35, v34
	s_and_b64 vcc, exec, s[4:5]
	v_lshl_add_u64 v[30:31], v[30:31], 1, s[36:37]
	s_cbranch_vccnz .LBB1469_221
; %bb.213:
	global_load_ushort v34, v[30:31], off
	global_load_ushort v35, v[32:33], off
	s_mov_b64 s[14:15], -1
	s_waitcnt vmcnt(0)
	v_cmp_eq_u16_e32 vcc, v34, v35
	s_and_saveexec_b64 s[40:41], vcc
	s_cbranch_execz .LBB1469_220
; %bb.214:
	s_add_u32 s14, s26, -1
	v_lshl_add_u64 v[32:33], v[32:33], 0, 2
	v_lshl_add_u64 v[34:35], v[30:31], 0, 2
	s_addc_u32 s15, s27, -1
	s_mov_b64 s[42:43], 0
	s_mov_b64 s[46:47], 0
                                        ; implicit-def: $sgpr44_sgpr45
	s_branch .LBB1469_217
.LBB1469_215:                           ;   in Loop: Header=BB1469_217 Depth=1
	global_load_ushort v36, v[34:35], off
	global_load_ushort v37, v[32:33], off
	s_add_u32 s46, s46, 1
	s_addc_u32 s47, s47, 0
	s_andn2_b64 s[44:45], s[44:45], exec
	v_lshl_add_u64 v[32:33], v[32:33], 0, 2
	v_lshl_add_u64 v[34:35], v[34:35], 0, 2
	s_waitcnt vmcnt(0)
	v_cmp_ne_u16_e32 vcc, v36, v37
	s_and_b64 s[48:49], vcc, exec
	s_or_b64 s[44:45], s[44:45], s[48:49]
.LBB1469_216:                           ;   in Loop: Header=BB1469_217 Depth=1
	s_and_b64 s[48:49], exec, s[44:45]
	s_or_b64 s[42:43], s[48:49], s[42:43]
	v_mov_b64_e32 v[36:37], s[46:47]
	s_andn2_b64 exec, exec, s[42:43]
	s_cbranch_execz .LBB1469_219
.LBB1469_217:                           ; =>This Inner Loop Header: Depth=1
	s_or_b64 s[44:45], s[44:45], exec
	s_cmp_eq_u64 s[14:15], s[46:47]
	s_cbranch_scc0 .LBB1469_215
; %bb.218:                              ;   in Loop: Header=BB1469_217 Depth=1
                                        ; implicit-def: $vgpr32_vgpr33
                                        ; implicit-def: $vgpr34_vgpr35
	s_mov_b64 s[46:47], s[26:27]
	s_branch .LBB1469_216
.LBB1469_219:
	s_or_b64 exec, exec, s[42:43]
	v_cmp_gt_i64_e32 vcc, s[26:27], v[36:37]
	s_orn2_b64 s[14:15], vcc, exec
.LBB1469_220:
	s_or_b64 exec, exec, s[40:41]
.LBB1469_221:
	v_mul_lo_u32 v34, v19, s26
	v_mul_lo_u32 v35, v18, s27
	v_mad_u64_u32 v[32:33], s[40:41], v18, s26, 0
	v_add3_u32 v33, v33, v35, v34
	s_mov_b64 s[40:41], 0
	s_and_b64 vcc, exec, s[4:5]
	v_lshl_add_u64 v[32:33], v[32:33], 1, s[36:37]
	s_mov_b64 s[42:43], 0
	s_cbranch_vccnz .LBB1469_230
; %bb.222:
	global_load_ushort v34, v[32:33], off
	global_load_ushort v35, v[30:31], off
	s_mov_b64 s[42:43], -1
	s_waitcnt vmcnt(0)
	v_cmp_eq_u16_e32 vcc, v34, v35
	s_and_saveexec_b64 s[44:45], vcc
	s_cbranch_execz .LBB1469_229
; %bb.223:
	s_add_u32 s42, s26, -1
	v_lshl_add_u64 v[30:31], v[30:31], 0, 2
	v_lshl_add_u64 v[34:35], v[32:33], 0, 2
	s_addc_u32 s43, s27, -1
	s_mov_b64 s[46:47], 0
	s_mov_b64 s[50:51], 0
                                        ; implicit-def: $sgpr48_sgpr49
	s_branch .LBB1469_226
.LBB1469_224:                           ;   in Loop: Header=BB1469_226 Depth=1
	global_load_ushort v36, v[34:35], off
	global_load_ushort v37, v[30:31], off
	s_add_u32 s50, s50, 1
	s_addc_u32 s51, s51, 0
	s_andn2_b64 s[48:49], s[48:49], exec
	v_lshl_add_u64 v[30:31], v[30:31], 0, 2
	v_lshl_add_u64 v[34:35], v[34:35], 0, 2
	s_waitcnt vmcnt(0)
	v_cmp_ne_u16_e32 vcc, v36, v37
	s_and_b64 s[52:53], vcc, exec
	s_or_b64 s[48:49], s[48:49], s[52:53]
.LBB1469_225:                           ;   in Loop: Header=BB1469_226 Depth=1
	s_and_b64 s[52:53], exec, s[48:49]
	s_or_b64 s[46:47], s[52:53], s[46:47]
	v_mov_b64_e32 v[36:37], s[50:51]
	s_andn2_b64 exec, exec, s[46:47]
	s_cbranch_execz .LBB1469_228
.LBB1469_226:                           ; =>This Inner Loop Header: Depth=1
	s_or_b64 s[48:49], s[48:49], exec
	s_cmp_eq_u64 s[42:43], s[50:51]
	s_cbranch_scc0 .LBB1469_224
; %bb.227:                              ;   in Loop: Header=BB1469_226 Depth=1
                                        ; implicit-def: $vgpr30_vgpr31
                                        ; implicit-def: $vgpr34_vgpr35
	s_mov_b64 s[50:51], s[26:27]
	s_branch .LBB1469_225
.LBB1469_228:
	s_or_b64 exec, exec, s[46:47]
	v_cmp_gt_i64_e32 vcc, s[26:27], v[36:37]
	s_orn2_b64 s[42:43], vcc, exec
.LBB1469_229:
	s_or_b64 exec, exec, s[44:45]
.LBB1469_230:
	v_mul_lo_u32 v34, v25, s26
	v_mul_lo_u32 v35, v24, s27
	v_mad_u64_u32 v[30:31], s[44:45], v24, s26, 0
	v_add3_u32 v31, v31, v35, v34
	s_and_b64 vcc, exec, s[4:5]
	v_lshl_add_u64 v[30:31], v[30:31], 1, s[36:37]
	s_cbranch_vccnz .LBB1469_239
; %bb.231:
	global_load_ushort v34, v[30:31], off
	global_load_ushort v35, v[32:33], off
	s_mov_b64 s[40:41], -1
	s_waitcnt vmcnt(0)
	v_cmp_eq_u16_e32 vcc, v34, v35
	s_and_saveexec_b64 s[44:45], vcc
	s_cbranch_execz .LBB1469_238
; %bb.232:
	s_add_u32 s40, s26, -1
	v_lshl_add_u64 v[32:33], v[32:33], 0, 2
	v_lshl_add_u64 v[34:35], v[30:31], 0, 2
	s_addc_u32 s41, s27, -1
	s_mov_b64 s[46:47], 0
	s_mov_b64 s[50:51], 0
                                        ; implicit-def: $sgpr48_sgpr49
	s_branch .LBB1469_235
.LBB1469_233:                           ;   in Loop: Header=BB1469_235 Depth=1
	global_load_ushort v36, v[34:35], off
	global_load_ushort v37, v[32:33], off
	s_add_u32 s50, s50, 1
	s_addc_u32 s51, s51, 0
	s_andn2_b64 s[48:49], s[48:49], exec
	v_lshl_add_u64 v[32:33], v[32:33], 0, 2
	v_lshl_add_u64 v[34:35], v[34:35], 0, 2
	s_waitcnt vmcnt(0)
	v_cmp_ne_u16_e32 vcc, v36, v37
	s_and_b64 s[52:53], vcc, exec
	s_or_b64 s[48:49], s[48:49], s[52:53]
.LBB1469_234:                           ;   in Loop: Header=BB1469_235 Depth=1
	s_and_b64 s[52:53], exec, s[48:49]
	s_or_b64 s[46:47], s[52:53], s[46:47]
	v_mov_b64_e32 v[36:37], s[50:51]
	s_andn2_b64 exec, exec, s[46:47]
	s_cbranch_execz .LBB1469_237
.LBB1469_235:                           ; =>This Inner Loop Header: Depth=1
	s_or_b64 s[48:49], s[48:49], exec
	s_cmp_eq_u64 s[40:41], s[50:51]
	s_cbranch_scc0 .LBB1469_233
; %bb.236:                              ;   in Loop: Header=BB1469_235 Depth=1
                                        ; implicit-def: $vgpr32_vgpr33
                                        ; implicit-def: $vgpr34_vgpr35
	s_mov_b64 s[50:51], s[26:27]
	s_branch .LBB1469_234
.LBB1469_237:
	s_or_b64 exec, exec, s[46:47]
	v_cmp_gt_i64_e32 vcc, s[26:27], v[36:37]
	s_orn2_b64 s[40:41], vcc, exec
.LBB1469_238:
	s_or_b64 exec, exec, s[44:45]
.LBB1469_239:
	v_mul_lo_u32 v34, v23, s26
	v_mul_lo_u32 v35, v22, s27
	v_mad_u64_u32 v[32:33], s[44:45], v22, s26, 0
	v_add3_u32 v33, v33, v35, v34
	s_and_b64 vcc, exec, s[4:5]
	s_mov_b64 s[46:47], 0
	s_cbranch_vccnz .LBB1469_248
; %bb.240:
	v_lshl_add_u64 v[34:35], v[32:33], 1, s[36:37]
	global_load_ushort v36, v[34:35], off
	global_load_ushort v37, v[30:31], off
	s_mov_b64 s[46:47], -1
	s_waitcnt vmcnt(0)
	v_cmp_eq_u16_e32 vcc, v36, v37
	s_and_saveexec_b64 s[44:45], vcc
	s_cbranch_execz .LBB1469_247
; %bb.241:
	s_add_u32 s46, s26, -1
	v_lshl_add_u64 v[30:31], v[30:31], 0, 2
	v_lshl_add_u64 v[34:35], v[34:35], 0, 2
	s_addc_u32 s47, s27, -1
	s_mov_b64 s[48:49], 0
	s_mov_b64 s[52:53], 0
                                        ; implicit-def: $sgpr50_sgpr51
	s_branch .LBB1469_244
.LBB1469_242:                           ;   in Loop: Header=BB1469_244 Depth=1
	global_load_ushort v36, v[34:35], off
	global_load_ushort v37, v[30:31], off
	s_add_u32 s52, s52, 1
	s_addc_u32 s53, s53, 0
	s_andn2_b64 s[50:51], s[50:51], exec
	v_lshl_add_u64 v[30:31], v[30:31], 0, 2
	v_lshl_add_u64 v[34:35], v[34:35], 0, 2
	s_waitcnt vmcnt(0)
	v_cmp_ne_u16_e32 vcc, v36, v37
	s_and_b64 s[56:57], vcc, exec
	s_or_b64 s[50:51], s[50:51], s[56:57]
.LBB1469_243:                           ;   in Loop: Header=BB1469_244 Depth=1
	s_and_b64 s[56:57], exec, s[50:51]
	s_or_b64 s[48:49], s[56:57], s[48:49]
	v_mov_b64_e32 v[36:37], s[52:53]
	s_andn2_b64 exec, exec, s[48:49]
	s_cbranch_execz .LBB1469_246
.LBB1469_244:                           ; =>This Inner Loop Header: Depth=1
	s_or_b64 s[50:51], s[50:51], exec
	s_cmp_eq_u64 s[46:47], s[52:53]
	s_cbranch_scc0 .LBB1469_242
; %bb.245:                              ;   in Loop: Header=BB1469_244 Depth=1
                                        ; implicit-def: $vgpr30_vgpr31
                                        ; implicit-def: $vgpr34_vgpr35
	s_mov_b64 s[52:53], s[26:27]
	s_branch .LBB1469_243
.LBB1469_246:
	s_or_b64 exec, exec, s[48:49]
	v_cmp_gt_i64_e32 vcc, s[26:27], v[36:37]
	s_orn2_b64 s[46:47], vcc, exec
.LBB1469_247:
	s_or_b64 exec, exec, s[44:45]
.LBB1469_248:
	v_cndmask_b32_e64 v31, 0, 1, s[42:43]
	v_cndmask_b32_e64 v30, 0, 1, s[40:41]
	;; [unrolled: 1-line block ×3, first 2 shown]
	v_lshlrev_b16_e32 v31, 8, v31
	v_cndmask_b32_e64 v39, 0, 1, s[14:15]
	v_cndmask_b32_e64 v34, 0, 1, s[46:47]
	v_or_b32_sdwa v30, v30, v31 dst_sel:WORD_1 dst_unused:UNUSED_PAD src0_sel:DWORD src1_sel:DWORD
	v_lshlrev_b16_e32 v31, 8, v48
	v_lshlrev_b16_e32 v34, 8, v34
	v_or_b32_e32 v31, v39, v31
	v_or_b32_e32 v34, 1, v34
	v_and_b32_e32 v31, 0xffff, v31
	v_cndmask_b32_e64 v49, 0, 1, s[12:13]
	v_or_b32_sdwa v30, v34, v30 dst_sel:DWORD dst_unused:UNUSED_PAD src0_sel:WORD_0 src1_sel:DWORD
	v_lshl_or_b32 v31, v49, 16, v31
	s_waitcnt lgkmcnt(0)
	s_barrier
	s_waitcnt lgkmcnt(0)
                                        ; implicit-def: $sgpr14_sgpr15
                                        ; implicit-def: $vgpr34
	s_and_saveexec_b64 s[12:13], s[2:3]
	s_xor_b64 s[12:13], exec, s[12:13]
	s_cbranch_execz .LBB1469_259
; %bb.249:
	s_mov_b32 s44, 0x3020104
	s_and_b64 vcc, exec, s[4:5]
	s_mov_b64 s[14:15], 0
	s_cbranch_vccnz .LBB1469_258
; %bb.250:
	v_add_u32_e32 v31, -8, v38
	ds_read_b64 v[34:35], v31
	v_lshl_add_u64 v[32:33], v[32:33], 1, s[36:37]
	s_mov_b64 s[14:15], -1
	s_waitcnt lgkmcnt(0)
	v_mul_lo_u32 v31, v35, s26
	v_mul_lo_u32 v36, v34, s27
	v_mad_u64_u32 v[34:35], s[4:5], v34, s26, 0
	v_add3_u32 v35, v35, v36, v31
	v_lshl_add_u64 v[34:35], v[34:35], 1, s[36:37]
	global_load_ushort v31, v[34:35], off
	global_load_ushort v36, v[32:33], off
	s_waitcnt vmcnt(0)
	v_cmp_eq_u16_e32 vcc, v31, v36
	s_and_saveexec_b64 s[4:5], vcc
	s_cbranch_execz .LBB1469_257
; %bb.251:
	s_add_u32 s14, s26, -1
	v_lshl_add_u64 v[32:33], v[32:33], 0, 2
	v_lshl_add_u64 v[34:35], v[34:35], 0, 2
	s_addc_u32 s15, s27, -1
	s_mov_b64 s[16:17], 0
	s_mov_b64 s[42:43], 0
                                        ; implicit-def: $sgpr40_sgpr41
	s_branch .LBB1469_254
.LBB1469_252:                           ;   in Loop: Header=BB1469_254 Depth=1
	global_load_ushort v31, v[34:35], off
	global_load_ushort v36, v[32:33], off
	s_add_u32 s42, s42, 1
	s_addc_u32 s43, s43, 0
	s_andn2_b64 s[40:41], s[40:41], exec
	v_lshl_add_u64 v[32:33], v[32:33], 0, 2
	v_lshl_add_u64 v[34:35], v[34:35], 0, 2
	s_waitcnt vmcnt(0)
	v_cmp_ne_u16_e32 vcc, v31, v36
	s_and_b64 s[46:47], vcc, exec
	s_or_b64 s[40:41], s[40:41], s[46:47]
.LBB1469_253:                           ;   in Loop: Header=BB1469_254 Depth=1
	s_and_b64 s[46:47], exec, s[40:41]
	s_or_b64 s[16:17], s[46:47], s[16:17]
	v_mov_b64_e32 v[36:37], s[42:43]
	s_andn2_b64 exec, exec, s[16:17]
	s_cbranch_execz .LBB1469_256
.LBB1469_254:                           ; =>This Inner Loop Header: Depth=1
	s_or_b64 s[40:41], s[40:41], exec
	s_cmp_eq_u64 s[14:15], s[42:43]
	s_cbranch_scc0 .LBB1469_252
; %bb.255:                              ;   in Loop: Header=BB1469_254 Depth=1
                                        ; implicit-def: $vgpr32_vgpr33
                                        ; implicit-def: $vgpr34_vgpr35
	s_mov_b64 s[42:43], s[26:27]
	s_branch .LBB1469_253
.LBB1469_256:
	s_or_b64 exec, exec, s[16:17]
	v_cmp_gt_i64_e32 vcc, s[26:27], v[36:37]
	s_orn2_b64 s[14:15], vcc, exec
.LBB1469_257:
	s_or_b64 exec, exec, s[4:5]
.LBB1469_258:
	v_perm_b32 v34, v30, v30, s44
	s_and_b64 s[14:15], s[14:15], exec
	s_or_b64 s[10:11], s[10:11], exec
                                        ; implicit-def: $vgpr30_vgpr31
.LBB1469_259:
	s_or_b64 exec, exec, s[12:13]
	s_branch .LBB1469_340
.LBB1469_260:
	v_cmp_gt_u32_e32 vcc, s54, v42
	s_mov_b64 s[12:13], 0
	s_mov_b64 s[4:5], 0
	s_and_saveexec_b64 s[14:15], vcc
	s_cbranch_execz .LBB1469_271
; %bb.261:
	s_andn2_b64 vcc, exec, s[6:7]
	s_mov_b64 s[16:17], 0
	s_cbranch_vccnz .LBB1469_270
; %bb.262:
	v_mul_lo_u32 v32, v17, s26
	v_mul_lo_u32 v33, v16, s27
	s_waitcnt vmcnt(0) lgkmcnt(1)
	v_mad_u64_u32 v[30:31], s[4:5], v16, s26, 0
	v_add3_u32 v31, v31, v33, v32
	v_mul_lo_u32 v32, v29, s26
	v_mul_lo_u32 v33, v28, s27
	v_mad_u64_u32 v[34:35], s[4:5], v28, s26, 0
	v_add3_u32 v35, v35, v33, v32
	v_lshl_add_u64 v[32:33], v[30:31], 1, s[36:37]
	v_lshl_add_u64 v[30:31], v[34:35], 1, s[36:37]
	global_load_ushort v34, v[32:33], off
	global_load_ushort v35, v[30:31], off
	s_mov_b64 s[16:17], -1
	s_waitcnt vmcnt(0)
	v_cmp_eq_u16_e32 vcc, v34, v35
	s_and_saveexec_b64 s[4:5], vcc
	s_cbranch_execz .LBB1469_269
; %bb.263:
	s_add_u32 s16, s26, -1
	v_lshl_add_u64 v[30:31], v[30:31], 0, 2
	v_lshl_add_u64 v[32:33], v[32:33], 0, 2
	s_addc_u32 s17, s27, -1
	s_mov_b64 s[40:41], 0
	s_mov_b64 s[44:45], 0
                                        ; implicit-def: $sgpr42_sgpr43
	s_branch .LBB1469_266
.LBB1469_264:                           ;   in Loop: Header=BB1469_266 Depth=1
	global_load_ushort v34, v[32:33], off
	global_load_ushort v35, v[30:31], off
	s_add_u32 s44, s44, 1
	s_addc_u32 s45, s45, 0
	s_andn2_b64 s[42:43], s[42:43], exec
	v_lshl_add_u64 v[30:31], v[30:31], 0, 2
	v_lshl_add_u64 v[32:33], v[32:33], 0, 2
	s_waitcnt vmcnt(0)
	v_cmp_ne_u16_e32 vcc, v34, v35
	s_and_b64 s[46:47], vcc, exec
	s_or_b64 s[42:43], s[42:43], s[46:47]
.LBB1469_265:                           ;   in Loop: Header=BB1469_266 Depth=1
	s_and_b64 s[46:47], exec, s[42:43]
	s_or_b64 s[40:41], s[46:47], s[40:41]
	v_mov_b64_e32 v[34:35], s[44:45]
	s_andn2_b64 exec, exec, s[40:41]
	s_cbranch_execz .LBB1469_268
.LBB1469_266:                           ; =>This Inner Loop Header: Depth=1
	s_or_b64 s[42:43], s[42:43], exec
	s_cmp_eq_u64 s[16:17], s[44:45]
	s_cbranch_scc0 .LBB1469_264
; %bb.267:                              ;   in Loop: Header=BB1469_266 Depth=1
                                        ; implicit-def: $vgpr30_vgpr31
                                        ; implicit-def: $vgpr32_vgpr33
	s_mov_b64 s[44:45], s[26:27]
	s_branch .LBB1469_265
.LBB1469_268:
	s_or_b64 exec, exec, s[40:41]
	v_cmp_gt_i64_e32 vcc, s[26:27], v[34:35]
	s_orn2_b64 s[16:17], vcc, exec
.LBB1469_269:
	s_or_b64 exec, exec, s[4:5]
.LBB1469_270:
	s_and_b64 s[4:5], s[16:17], exec
.LBB1469_271:
	s_or_b64 exec, exec, s[14:15]
	v_cmp_gt_u32_e32 vcc, s54, v45
	s_and_saveexec_b64 s[14:15], vcc
	s_cbranch_execz .LBB1469_282
; %bb.272:
	s_andn2_b64 vcc, exec, s[6:7]
	s_mov_b64 s[16:17], 0
	s_cbranch_vccnz .LBB1469_281
; %bb.273:
	v_mul_lo_u32 v32, v15, s26
	v_mul_lo_u32 v33, v14, s27
	s_waitcnt vmcnt(0) lgkmcnt(1)
	v_mad_u64_u32 v[30:31], s[12:13], v14, s26, 0
	v_add3_u32 v31, v31, v33, v32
	v_mul_lo_u32 v32, v17, s26
	v_mul_lo_u32 v33, v16, s27
	v_mad_u64_u32 v[34:35], s[12:13], v16, s26, 0
	v_add3_u32 v35, v35, v33, v32
	v_lshl_add_u64 v[32:33], v[30:31], 1, s[36:37]
	v_lshl_add_u64 v[30:31], v[34:35], 1, s[36:37]
	global_load_ushort v34, v[32:33], off
	global_load_ushort v35, v[30:31], off
	s_mov_b64 s[16:17], -1
	s_waitcnt vmcnt(0)
	v_cmp_eq_u16_e32 vcc, v34, v35
	s_and_saveexec_b64 s[12:13], vcc
	s_cbranch_execz .LBB1469_280
; %bb.274:
	s_add_u32 s16, s26, -1
	v_lshl_add_u64 v[30:31], v[30:31], 0, 2
	v_lshl_add_u64 v[32:33], v[32:33], 0, 2
	s_addc_u32 s17, s27, -1
	s_mov_b64 s[40:41], 0
	s_mov_b64 s[44:45], 0
                                        ; implicit-def: $sgpr42_sgpr43
	s_branch .LBB1469_277
.LBB1469_275:                           ;   in Loop: Header=BB1469_277 Depth=1
	global_load_ushort v34, v[32:33], off
	global_load_ushort v35, v[30:31], off
	s_add_u32 s44, s44, 1
	s_addc_u32 s45, s45, 0
	s_andn2_b64 s[42:43], s[42:43], exec
	v_lshl_add_u64 v[30:31], v[30:31], 0, 2
	v_lshl_add_u64 v[32:33], v[32:33], 0, 2
	s_waitcnt vmcnt(0)
	v_cmp_ne_u16_e32 vcc, v34, v35
	s_and_b64 s[46:47], vcc, exec
	s_or_b64 s[42:43], s[42:43], s[46:47]
.LBB1469_276:                           ;   in Loop: Header=BB1469_277 Depth=1
	s_and_b64 s[46:47], exec, s[42:43]
	s_or_b64 s[40:41], s[46:47], s[40:41]
	v_mov_b64_e32 v[34:35], s[44:45]
	s_andn2_b64 exec, exec, s[40:41]
	s_cbranch_execz .LBB1469_279
.LBB1469_277:                           ; =>This Inner Loop Header: Depth=1
	s_or_b64 s[42:43], s[42:43], exec
	s_cmp_eq_u64 s[16:17], s[44:45]
	s_cbranch_scc0 .LBB1469_275
; %bb.278:                              ;   in Loop: Header=BB1469_277 Depth=1
                                        ; implicit-def: $vgpr30_vgpr31
                                        ; implicit-def: $vgpr32_vgpr33
	s_mov_b64 s[44:45], s[26:27]
	s_branch .LBB1469_276
.LBB1469_279:
	s_or_b64 exec, exec, s[40:41]
	v_cmp_gt_i64_e32 vcc, s[26:27], v[34:35]
	s_orn2_b64 s[16:17], vcc, exec
.LBB1469_280:
	s_or_b64 exec, exec, s[12:13]
.LBB1469_281:
	s_and_b64 s[12:13], s[16:17], exec
.LBB1469_282:
	s_or_b64 exec, exec, s[14:15]
	v_cmp_gt_u32_e32 vcc, s54, v41
	s_mov_b64 s[16:17], 0
	s_mov_b64 s[14:15], 0
	s_and_saveexec_b64 s[40:41], vcc
	s_cbranch_execz .LBB1469_293
; %bb.283:
	s_andn2_b64 vcc, exec, s[6:7]
	s_mov_b64 s[42:43], 0
	s_cbranch_vccnz .LBB1469_292
; %bb.284:
	v_mul_lo_u32 v32, v21, s26
	v_mul_lo_u32 v33, v20, s27
	s_waitcnt vmcnt(0) lgkmcnt(1)
	v_mad_u64_u32 v[30:31], s[14:15], v20, s26, 0
	v_add3_u32 v31, v31, v33, v32
	v_mul_lo_u32 v32, v15, s26
	v_mul_lo_u32 v33, v14, s27
	v_mad_u64_u32 v[34:35], s[14:15], v14, s26, 0
	v_add3_u32 v35, v35, v33, v32
	v_lshl_add_u64 v[32:33], v[30:31], 1, s[36:37]
	v_lshl_add_u64 v[30:31], v[34:35], 1, s[36:37]
	global_load_ushort v34, v[32:33], off
	global_load_ushort v35, v[30:31], off
	s_mov_b64 s[42:43], -1
	s_waitcnt vmcnt(0)
	v_cmp_eq_u16_e32 vcc, v34, v35
	s_and_saveexec_b64 s[14:15], vcc
	s_cbranch_execz .LBB1469_291
; %bb.285:
	s_add_u32 s42, s26, -1
	v_lshl_add_u64 v[30:31], v[30:31], 0, 2
	v_lshl_add_u64 v[32:33], v[32:33], 0, 2
	s_addc_u32 s43, s27, -1
	s_mov_b64 s[44:45], 0
	s_mov_b64 s[48:49], 0
                                        ; implicit-def: $sgpr46_sgpr47
	s_branch .LBB1469_288
.LBB1469_286:                           ;   in Loop: Header=BB1469_288 Depth=1
	global_load_ushort v34, v[32:33], off
	global_load_ushort v35, v[30:31], off
	s_add_u32 s48, s48, 1
	s_addc_u32 s49, s49, 0
	s_andn2_b64 s[46:47], s[46:47], exec
	v_lshl_add_u64 v[30:31], v[30:31], 0, 2
	v_lshl_add_u64 v[32:33], v[32:33], 0, 2
	s_waitcnt vmcnt(0)
	v_cmp_ne_u16_e32 vcc, v34, v35
	s_and_b64 s[50:51], vcc, exec
	s_or_b64 s[46:47], s[46:47], s[50:51]
.LBB1469_287:                           ;   in Loop: Header=BB1469_288 Depth=1
	s_and_b64 s[50:51], exec, s[46:47]
	s_or_b64 s[44:45], s[50:51], s[44:45]
	v_mov_b64_e32 v[34:35], s[48:49]
	s_andn2_b64 exec, exec, s[44:45]
	s_cbranch_execz .LBB1469_290
.LBB1469_288:                           ; =>This Inner Loop Header: Depth=1
	s_or_b64 s[46:47], s[46:47], exec
	s_cmp_eq_u64 s[42:43], s[48:49]
	s_cbranch_scc0 .LBB1469_286
; %bb.289:                              ;   in Loop: Header=BB1469_288 Depth=1
                                        ; implicit-def: $vgpr30_vgpr31
                                        ; implicit-def: $vgpr32_vgpr33
	s_mov_b64 s[48:49], s[26:27]
	s_branch .LBB1469_287
.LBB1469_290:
	s_or_b64 exec, exec, s[44:45]
	v_cmp_gt_i64_e32 vcc, s[26:27], v[34:35]
	s_orn2_b64 s[42:43], vcc, exec
.LBB1469_291:
	s_or_b64 exec, exec, s[14:15]
.LBB1469_292:
	s_and_b64 s[14:15], s[42:43], exec
.LBB1469_293:
	s_or_b64 exec, exec, s[40:41]
	v_cmp_gt_u32_e32 vcc, s54, v44
	s_and_saveexec_b64 s[40:41], vcc
	s_cbranch_execz .LBB1469_304
; %bb.294:
	s_andn2_b64 vcc, exec, s[6:7]
	s_mov_b64 s[42:43], 0
	s_cbranch_vccnz .LBB1469_303
; %bb.295:
	v_mul_lo_u32 v32, v19, s26
	v_mul_lo_u32 v33, v18, s27
	s_waitcnt vmcnt(0) lgkmcnt(1)
	v_mad_u64_u32 v[30:31], s[16:17], v18, s26, 0
	v_add3_u32 v31, v31, v33, v32
	v_mul_lo_u32 v32, v21, s26
	v_mul_lo_u32 v33, v20, s27
	v_mad_u64_u32 v[34:35], s[16:17], v20, s26, 0
	v_add3_u32 v35, v35, v33, v32
	v_lshl_add_u64 v[32:33], v[30:31], 1, s[36:37]
	v_lshl_add_u64 v[30:31], v[34:35], 1, s[36:37]
	global_load_ushort v34, v[32:33], off
	global_load_ushort v35, v[30:31], off
	s_mov_b64 s[42:43], -1
	s_waitcnt vmcnt(0)
	v_cmp_eq_u16_e32 vcc, v34, v35
	s_and_saveexec_b64 s[16:17], vcc
	s_cbranch_execz .LBB1469_302
; %bb.296:
	s_add_u32 s42, s26, -1
	v_lshl_add_u64 v[30:31], v[30:31], 0, 2
	v_lshl_add_u64 v[32:33], v[32:33], 0, 2
	s_addc_u32 s43, s27, -1
	s_mov_b64 s[44:45], 0
	s_mov_b64 s[48:49], 0
                                        ; implicit-def: $sgpr46_sgpr47
	s_branch .LBB1469_299
.LBB1469_297:                           ;   in Loop: Header=BB1469_299 Depth=1
	global_load_ushort v34, v[32:33], off
	global_load_ushort v35, v[30:31], off
	s_add_u32 s48, s48, 1
	s_addc_u32 s49, s49, 0
	s_andn2_b64 s[46:47], s[46:47], exec
	v_lshl_add_u64 v[30:31], v[30:31], 0, 2
	v_lshl_add_u64 v[32:33], v[32:33], 0, 2
	s_waitcnt vmcnt(0)
	v_cmp_ne_u16_e32 vcc, v34, v35
	s_and_b64 s[50:51], vcc, exec
	s_or_b64 s[46:47], s[46:47], s[50:51]
.LBB1469_298:                           ;   in Loop: Header=BB1469_299 Depth=1
	s_and_b64 s[50:51], exec, s[46:47]
	s_or_b64 s[44:45], s[50:51], s[44:45]
	v_mov_b64_e32 v[34:35], s[48:49]
	s_andn2_b64 exec, exec, s[44:45]
	s_cbranch_execz .LBB1469_301
.LBB1469_299:                           ; =>This Inner Loop Header: Depth=1
	s_or_b64 s[46:47], s[46:47], exec
	s_cmp_eq_u64 s[42:43], s[48:49]
	s_cbranch_scc0 .LBB1469_297
; %bb.300:                              ;   in Loop: Header=BB1469_299 Depth=1
                                        ; implicit-def: $vgpr30_vgpr31
                                        ; implicit-def: $vgpr32_vgpr33
	s_mov_b64 s[48:49], s[26:27]
	s_branch .LBB1469_298
.LBB1469_301:
	s_or_b64 exec, exec, s[44:45]
	v_cmp_gt_i64_e32 vcc, s[26:27], v[34:35]
	s_orn2_b64 s[42:43], vcc, exec
.LBB1469_302:
	s_or_b64 exec, exec, s[16:17]
.LBB1469_303:
	s_and_b64 s[16:17], s[42:43], exec
.LBB1469_304:
	s_or_b64 exec, exec, s[40:41]
	v_cmp_gt_u32_e32 vcc, s54, v40
	s_mov_b64 s[40:41], 0
	s_mov_b64 s[42:43], 0
	s_and_saveexec_b64 s[44:45], vcc
	s_cbranch_execz .LBB1469_315
; %bb.305:
	s_andn2_b64 vcc, exec, s[6:7]
	s_mov_b64 s[46:47], 0
	s_cbranch_vccnz .LBB1469_314
; %bb.306:
	v_mul_lo_u32 v32, v25, s26
	v_mul_lo_u32 v33, v24, s27
	s_waitcnt vmcnt(0) lgkmcnt(1)
	v_mad_u64_u32 v[30:31], s[42:43], v24, s26, 0
	v_add3_u32 v31, v31, v33, v32
	v_mul_lo_u32 v32, v19, s26
	v_mul_lo_u32 v33, v18, s27
	v_mad_u64_u32 v[34:35], s[42:43], v18, s26, 0
	v_add3_u32 v35, v35, v33, v32
	v_lshl_add_u64 v[32:33], v[30:31], 1, s[36:37]
	v_lshl_add_u64 v[30:31], v[34:35], 1, s[36:37]
	global_load_ushort v34, v[32:33], off
	global_load_ushort v35, v[30:31], off
	s_mov_b64 s[46:47], -1
	s_waitcnt vmcnt(0)
	v_cmp_eq_u16_e32 vcc, v34, v35
	s_and_saveexec_b64 s[42:43], vcc
	s_cbranch_execz .LBB1469_313
; %bb.307:
	s_add_u32 s46, s26, -1
	v_lshl_add_u64 v[30:31], v[30:31], 0, 2
	v_lshl_add_u64 v[32:33], v[32:33], 0, 2
	s_addc_u32 s47, s27, -1
	s_mov_b64 s[48:49], 0
	s_mov_b64 s[52:53], 0
                                        ; implicit-def: $sgpr50_sgpr51
	s_branch .LBB1469_310
.LBB1469_308:                           ;   in Loop: Header=BB1469_310 Depth=1
	global_load_ushort v34, v[32:33], off
	global_load_ushort v35, v[30:31], off
	s_add_u32 s52, s52, 1
	s_addc_u32 s53, s53, 0
	s_andn2_b64 s[50:51], s[50:51], exec
	v_lshl_add_u64 v[30:31], v[30:31], 0, 2
	v_lshl_add_u64 v[32:33], v[32:33], 0, 2
	s_waitcnt vmcnt(0)
	v_cmp_ne_u16_e32 vcc, v34, v35
	s_and_b64 s[56:57], vcc, exec
	s_or_b64 s[50:51], s[50:51], s[56:57]
.LBB1469_309:                           ;   in Loop: Header=BB1469_310 Depth=1
	s_and_b64 s[56:57], exec, s[50:51]
	s_or_b64 s[48:49], s[56:57], s[48:49]
	v_mov_b64_e32 v[34:35], s[52:53]
	s_andn2_b64 exec, exec, s[48:49]
	s_cbranch_execz .LBB1469_312
.LBB1469_310:                           ; =>This Inner Loop Header: Depth=1
	s_or_b64 s[50:51], s[50:51], exec
	s_cmp_eq_u64 s[46:47], s[52:53]
	s_cbranch_scc0 .LBB1469_308
; %bb.311:                              ;   in Loop: Header=BB1469_310 Depth=1
                                        ; implicit-def: $vgpr30_vgpr31
                                        ; implicit-def: $vgpr32_vgpr33
	s_mov_b64 s[52:53], s[26:27]
	s_branch .LBB1469_309
.LBB1469_312:
	s_or_b64 exec, exec, s[48:49]
	v_cmp_gt_i64_e32 vcc, s[26:27], v[34:35]
	s_orn2_b64 s[46:47], vcc, exec
.LBB1469_313:
	s_or_b64 exec, exec, s[42:43]
.LBB1469_314:
	s_and_b64 s[42:43], s[46:47], exec
.LBB1469_315:
	s_or_b64 exec, exec, s[44:45]
	v_cmp_gt_u32_e32 vcc, s54, v43
	s_and_saveexec_b64 s[44:45], vcc
	s_cbranch_execz .LBB1469_326
; %bb.316:
	s_andn2_b64 vcc, exec, s[6:7]
	s_mov_b64 s[46:47], 0
	s_cbranch_vccnz .LBB1469_325
; %bb.317:
	v_mul_lo_u32 v32, v23, s26
	v_mul_lo_u32 v33, v22, s27
	s_waitcnt vmcnt(0) lgkmcnt(1)
	v_mad_u64_u32 v[30:31], s[40:41], v22, s26, 0
	v_add3_u32 v31, v31, v33, v32
	v_mul_lo_u32 v32, v25, s26
	v_mul_lo_u32 v33, v24, s27
	v_mad_u64_u32 v[34:35], s[40:41], v24, s26, 0
	v_add3_u32 v35, v35, v33, v32
	v_lshl_add_u64 v[32:33], v[30:31], 1, s[36:37]
	v_lshl_add_u64 v[30:31], v[34:35], 1, s[36:37]
	global_load_ushort v34, v[32:33], off
	global_load_ushort v35, v[30:31], off
	s_mov_b64 s[46:47], -1
	s_waitcnt vmcnt(0)
	v_cmp_eq_u16_e32 vcc, v34, v35
	s_and_saveexec_b64 s[40:41], vcc
	s_cbranch_execz .LBB1469_324
; %bb.318:
	s_add_u32 s46, s26, -1
	v_lshl_add_u64 v[30:31], v[30:31], 0, 2
	v_lshl_add_u64 v[32:33], v[32:33], 0, 2
	s_addc_u32 s47, s27, -1
	s_mov_b64 s[48:49], 0
	s_mov_b64 s[52:53], 0
                                        ; implicit-def: $sgpr50_sgpr51
	s_branch .LBB1469_321
.LBB1469_319:                           ;   in Loop: Header=BB1469_321 Depth=1
	global_load_ushort v34, v[32:33], off
	global_load_ushort v35, v[30:31], off
	s_add_u32 s52, s52, 1
	s_addc_u32 s53, s53, 0
	s_andn2_b64 s[50:51], s[50:51], exec
	v_lshl_add_u64 v[30:31], v[30:31], 0, 2
	v_lshl_add_u64 v[32:33], v[32:33], 0, 2
	s_waitcnt vmcnt(0)
	v_cmp_ne_u16_e32 vcc, v34, v35
	s_and_b64 s[56:57], vcc, exec
	s_or_b64 s[50:51], s[50:51], s[56:57]
.LBB1469_320:                           ;   in Loop: Header=BB1469_321 Depth=1
	s_and_b64 s[56:57], exec, s[50:51]
	s_or_b64 s[48:49], s[56:57], s[48:49]
	v_mov_b64_e32 v[34:35], s[52:53]
	s_andn2_b64 exec, exec, s[48:49]
	s_cbranch_execz .LBB1469_323
.LBB1469_321:                           ; =>This Inner Loop Header: Depth=1
	s_or_b64 s[50:51], s[50:51], exec
	s_cmp_eq_u64 s[46:47], s[52:53]
	s_cbranch_scc0 .LBB1469_319
; %bb.322:                              ;   in Loop: Header=BB1469_321 Depth=1
                                        ; implicit-def: $vgpr30_vgpr31
                                        ; implicit-def: $vgpr32_vgpr33
	s_mov_b64 s[52:53], s[26:27]
	s_branch .LBB1469_320
.LBB1469_323:
	s_or_b64 exec, exec, s[48:49]
	v_cmp_gt_i64_e32 vcc, s[26:27], v[34:35]
	s_orn2_b64 s[46:47], vcc, exec
.LBB1469_324:
	s_or_b64 exec, exec, s[40:41]
.LBB1469_325:
	s_and_b64 s[40:41], s[46:47], exec
.LBB1469_326:
	s_or_b64 exec, exec, s[44:45]
	s_waitcnt vmcnt(0) lgkmcnt(1)
	v_cndmask_b32_e64 v31, 0, 1, s[16:17]
	v_cndmask_b32_e64 v30, 0, 1, s[42:43]
	;; [unrolled: 1-line block ×3, first 2 shown]
	v_lshlrev_b16_e32 v31, 8, v31
	v_cndmask_b32_e64 v39, 0, 1, s[14:15]
	v_cndmask_b32_e64 v32, 0, 1, s[40:41]
	v_or_b32_sdwa v30, v30, v31 dst_sel:WORD_1 dst_unused:UNUSED_PAD src0_sel:DWORD src1_sel:DWORD
	v_lshlrev_b16_e32 v31, 8, v48
	v_lshlrev_b16_e32 v32, 8, v32
	v_or_b32_e32 v31, v39, v31
	v_or_b32_e32 v32, 1, v32
	v_and_b32_e32 v31, 0xffff, v31
	v_cndmask_b32_e64 v49, 0, 1, s[4:5]
	v_or_b32_sdwa v30, v32, v30 dst_sel:DWORD dst_unused:UNUSED_PAD src0_sel:WORD_0 src1_sel:DWORD
	v_lshl_or_b32 v31, v49, 16, v31
	s_waitcnt lgkmcnt(0)
	s_barrier
	s_waitcnt lgkmcnt(0)
                                        ; implicit-def: $sgpr14_sgpr15
                                        ; implicit-def: $vgpr34
	s_and_saveexec_b64 s[4:5], s[2:3]
	s_cbranch_execz .LBB1469_339
; %bb.327:
	v_cmp_gt_u32_e32 vcc, s54, v1
	s_mov_b32 s40, 0x3020104
	s_mov_b64 s[12:13], 0
	s_and_saveexec_b64 s[2:3], vcc
	s_cbranch_execz .LBB1469_338
; %bb.328:
	s_andn2_b64 vcc, exec, s[6:7]
	s_cbranch_vccnz .LBB1469_337
; %bb.329:
	v_add_u32_e32 v31, -8, v38
	ds_read_b64 v[32:33], v31
	v_mul_lo_u32 v31, v23, s26
	v_mad_u64_u32 v[36:37], s[6:7], v22, s26, 0
	s_mov_b64 s[12:13], -1
	s_waitcnt lgkmcnt(0)
	v_mul_lo_u32 v34, v33, s26
	v_mul_lo_u32 v35, v32, s27
	v_mad_u64_u32 v[32:33], s[6:7], v32, s26, 0
	v_add3_u32 v33, v33, v35, v34
	v_mul_lo_u32 v34, v22, s27
	v_add3_u32 v37, v37, v34, v31
	v_lshl_add_u64 v[34:35], v[32:33], 1, s[36:37]
	v_lshl_add_u64 v[32:33], v[36:37], 1, s[36:37]
	global_load_ushort v31, v[34:35], off
	global_load_ushort v36, v[32:33], off
	s_waitcnt vmcnt(0)
	v_cmp_eq_u16_e32 vcc, v31, v36
	s_and_saveexec_b64 s[6:7], vcc
	s_cbranch_execz .LBB1469_336
; %bb.330:
	s_add_u32 s12, s26, -1
	v_lshl_add_u64 v[32:33], v[32:33], 0, 2
	v_lshl_add_u64 v[34:35], v[34:35], 0, 2
	s_addc_u32 s13, s27, -1
	s_mov_b64 s[14:15], 0
	s_mov_b64 s[36:37], 0
                                        ; implicit-def: $sgpr16_sgpr17
	s_branch .LBB1469_333
.LBB1469_331:                           ;   in Loop: Header=BB1469_333 Depth=1
	global_load_ushort v31, v[34:35], off
	global_load_ushort v36, v[32:33], off
	s_add_u32 s36, s36, 1
	s_addc_u32 s37, s37, 0
	s_andn2_b64 s[16:17], s[16:17], exec
	v_lshl_add_u64 v[32:33], v[32:33], 0, 2
	v_lshl_add_u64 v[34:35], v[34:35], 0, 2
	s_waitcnt vmcnt(0)
	v_cmp_ne_u16_e32 vcc, v31, v36
	s_and_b64 s[42:43], vcc, exec
	s_or_b64 s[16:17], s[16:17], s[42:43]
.LBB1469_332:                           ;   in Loop: Header=BB1469_333 Depth=1
	s_and_b64 s[42:43], exec, s[16:17]
	s_or_b64 s[14:15], s[42:43], s[14:15]
	v_mov_b64_e32 v[36:37], s[36:37]
	s_andn2_b64 exec, exec, s[14:15]
	s_cbranch_execz .LBB1469_335
.LBB1469_333:                           ; =>This Inner Loop Header: Depth=1
	s_or_b64 s[16:17], s[16:17], exec
	s_cmp_eq_u64 s[12:13], s[36:37]
	s_cbranch_scc0 .LBB1469_331
; %bb.334:                              ;   in Loop: Header=BB1469_333 Depth=1
                                        ; implicit-def: $vgpr32_vgpr33
                                        ; implicit-def: $vgpr34_vgpr35
	s_mov_b64 s[36:37], s[26:27]
	s_branch .LBB1469_332
.LBB1469_335:
	s_or_b64 exec, exec, s[14:15]
	v_cmp_gt_i64_e32 vcc, s[26:27], v[36:37]
	s_orn2_b64 s[12:13], vcc, exec
.LBB1469_336:
	s_or_b64 exec, exec, s[6:7]
.LBB1469_337:
	s_and_b64 s[12:13], s[12:13], exec
.LBB1469_338:
	s_or_b64 exec, exec, s[2:3]
	v_perm_b32 v34, v30, v30, s40
	s_and_b64 s[14:15], s[12:13], exec
	s_or_b64 s[10:11], s[10:11], exec
                                        ; implicit-def: $vgpr30_vgpr31
.LBB1469_339:
	s_or_b64 exec, exec, s[4:5]
.LBB1469_340:
	s_and_saveexec_b64 s[2:3], s[10:11]
	s_cbranch_execz .LBB1469_342
; %bb.341:
	s_waitcnt vmcnt(0) lgkmcnt(0)
	v_lshlrev_b16_e32 v31, 8, v48
	v_and_b32_e32 v32, 0xff, v49
	v_or_b32_sdwa v31, v39, v31 dst_sel:DWORD dst_unused:UNUSED_PAD src0_sel:BYTE_0 src1_sel:DWORD
	v_lshlrev_b32_e32 v32, 16, v32
	s_movk_i32 s4, 0xff
	v_or_b32_sdwa v31, v31, v32 dst_sel:DWORD dst_unused:UNUSED_PAD src0_sel:WORD_0 src1_sel:DWORD
	v_lshrrev_b32_e32 v32, 24, v34
	v_lshlrev_b16_e32 v32, 8, v32
	v_and_b32_sdwa v33, v34, s4 dst_sel:DWORD dst_unused:UNUSED_PAD src0_sel:WORD_1 src1_sel:DWORD
	v_or_b32_sdwa v32, v33, v32 dst_sel:WORD_1 dst_unused:UNUSED_PAD src0_sel:DWORD src1_sel:DWORD
	v_mov_b32_e32 v33, 8
	v_cndmask_b32_e64 v30, 0, 1, s[14:15]
	v_lshrrev_b32_sdwa v33, v33, v34 dst_sel:BYTE_1 dst_unused:UNUSED_PAD src0_sel:DWORD src1_sel:DWORD
	s_nop 0
	v_or_b32_e32 v30, v30, v33
	v_or_b32_sdwa v30, v30, v32 dst_sel:DWORD dst_unused:UNUSED_PAD src0_sel:WORD_0 src1_sel:DWORD
.LBB1469_342:
	s_or_b64 exec, exec, s[2:3]
	s_andn2_b64 vcc, exec, s[8:9]
	s_cbranch_vccnz .LBB1469_344
; %bb.343:
	s_waitcnt vmcnt(0) lgkmcnt(0)
	v_and_b32_e32 v32, 0xffff0000, v30
	v_cmp_gt_u32_e32 vcc, s54, v1
	s_mov_b32 s2, 0x40c0100
	s_nop 0
	v_cndmask_b32_e32 v1, v32, v30, vcc
	v_and_b32_e32 v1, 0xffff00ff, v1
	v_cmp_gt_u32_e32 vcc, s54, v43
	s_nop 1
	v_cndmask_b32_e32 v1, v1, v30, vcc
	v_lshrrev_b32_e32 v32, 24, v1
	v_perm_b32 v1, v32, v1, s2
	v_cmp_gt_u32_e32 vcc, s54, v40
	v_and_b32_e32 v32, 0xffffff00, v31
	s_nop 0
	v_cndmask_b32_e32 v1, v1, v30, vcc
	v_and_b32_e32 v1, 0xffffff, v1
	v_cmp_gt_u32_e32 vcc, s54, v44
	s_nop 1
	v_cndmask_b32_e32 v1, v1, v30, vcc
	v_cmp_gt_u32_e32 vcc, s54, v41
	s_nop 1
	v_cndmask_b32_e32 v32, v32, v31, vcc
	v_and_b32_e32 v32, 0xffff00ff, v32
	v_cndmask_b32_e32 v1, v1, v30, vcc
	v_cmp_gt_u32_e32 vcc, s54, v45
	s_nop 1
	v_cndmask_b32_e32 v32, v32, v31, vcc
	v_lshrrev_b32_e32 v33, 24, v32
	v_cndmask_b32_e32 v1, v1, v30, vcc
	v_perm_b32 v32, v33, v32, s2
	v_cmp_gt_u32_e32 vcc, s54, v42
	s_mov_b32 s2, 0x3020104
	s_nop 0
	v_cndmask_b32_e32 v1, v1, v30, vcc
	v_cndmask_b32_e32 v30, v32, v31, vcc
	v_mov_b32_e32 v31, 8
	v_lshrrev_b32_sdwa v31, v31, v30 dst_sel:BYTE_1 dst_unused:UNUSED_PAD src0_sel:DWORD src1_sel:DWORD
	s_nop 0
	v_or_b32_sdwa v31, v30, v31 dst_sel:DWORD dst_unused:UNUSED_PAD src0_sel:BYTE_0 src1_sel:DWORD
	v_and_b32_e32 v31, 0xffff, v31
	v_bfe_u32 v30, v30, 16, 8
	v_lshl_or_b32 v31, v30, 16, v31
	v_perm_b32 v30, v1, v1, s2
.LBB1469_344:
	s_waitcnt vmcnt(0) lgkmcnt(0)
	v_and_b32_e32 v1, 0xff, v30
	v_bfe_u32 v43, v30, 8, 8
	v_bfe_u32 v45, v30, 16, 8
	v_alignbit_b32 v32, v31, v30, 24
	v_and_b32_e32 v47, 0xff, v32
	v_and_b32_e32 v48, 0xff, v31
	v_add3_u32 v33, v43, v1, v45
	v_bfe_u32 v49, v31, 8, 8
	v_bfe_u32 v32, v31, 16, 8
	v_add3_u32 v33, v33, v47, v48
	v_add3_u32 v52, v33, v49, v32
	v_mbcnt_lo_u32_b32 v32, -1, 0
	v_mbcnt_hi_u32_b32 v50, -1, v32
	v_and_b32_e32 v32, 15, v50
	v_cmp_eq_u32_e64 s[14:15], 0, v32
	v_cmp_lt_u32_e64 s[12:13], 1, v32
	v_cmp_lt_u32_e64 s[10:11], 3, v32
	;; [unrolled: 1-line block ×3, first 2 shown]
	v_and_b32_e32 v32, 16, v50
	v_cmp_eq_u32_e64 s[6:7], 0, v32
	v_or_b32_e32 v32, 63, v0
	v_cmp_lt_u32_e64 s[2:3], 31, v50
	v_lshrrev_b32_e32 v51, 6, v0
	v_cmp_eq_u32_e64 s[4:5], v32, v0
	s_and_b64 vcc, exec, s[0:1]
	s_barrier
	s_cbranch_vccz .LBB1469_375
; %bb.345:
	v_mov_b32_dpp v32, v52 row_shr:1 row_mask:0xf bank_mask:0xf
	v_cndmask_b32_e64 v32, v32, 0, s[14:15]
	v_add_u32_e32 v32, v32, v52
	s_nop 1
	v_mov_b32_dpp v33, v32 row_shr:2 row_mask:0xf bank_mask:0xf
	v_cndmask_b32_e64 v33, 0, v33, s[12:13]
	v_add_u32_e32 v32, v32, v33
	s_nop 1
	;; [unrolled: 4-line block ×4, first 2 shown]
	v_mov_b32_dpp v33, v32 row_bcast:15 row_mask:0xf bank_mask:0xf
	v_cndmask_b32_e64 v33, v33, 0, s[6:7]
	v_add_u32_e32 v32, v32, v33
	s_nop 1
	v_mov_b32_dpp v33, v32 row_bcast:31 row_mask:0xf bank_mask:0xf
	v_cndmask_b32_e64 v33, 0, v33, s[2:3]
	v_add_u32_e32 v32, v32, v33
	s_and_saveexec_b64 s[0:1], s[4:5]
	s_cbranch_execz .LBB1469_347
; %bb.346:
	v_lshlrev_b32_e32 v33, 2, v51
	ds_write_b32 v33, v32
.LBB1469_347:
	s_or_b64 exec, exec, s[0:1]
	v_cmp_gt_u32_e32 vcc, 8, v0
	s_waitcnt lgkmcnt(0)
	s_barrier
	s_and_saveexec_b64 s[0:1], vcc
	s_cbranch_execz .LBB1469_349
; %bb.348:
	v_lshlrev_b32_e32 v33, 2, v0
	ds_read_b32 v34, v33
	v_and_b32_e32 v35, 7, v50
	v_cmp_ne_u32_e32 vcc, 0, v35
	s_waitcnt lgkmcnt(0)
	v_mov_b32_dpp v36, v34 row_shr:1 row_mask:0xf bank_mask:0xf
	v_cndmask_b32_e32 v36, 0, v36, vcc
	v_add_u32_e32 v34, v36, v34
	v_cmp_lt_u32_e32 vcc, 1, v35
	s_nop 0
	v_mov_b32_dpp v36, v34 row_shr:2 row_mask:0xf bank_mask:0xf
	v_cndmask_b32_e32 v36, 0, v36, vcc
	v_add_u32_e32 v34, v34, v36
	v_cmp_lt_u32_e32 vcc, 3, v35
	s_nop 0
	v_mov_b32_dpp v36, v34 row_shr:4 row_mask:0xf bank_mask:0xf
	v_cndmask_b32_e32 v35, 0, v36, vcc
	v_add_u32_e32 v34, v34, v35
	ds_write_b32 v33, v34
.LBB1469_349:
	s_or_b64 exec, exec, s[0:1]
	v_cmp_gt_u32_e32 vcc, 64, v0
	v_cmp_lt_u32_e64 s[0:1], 63, v0
	s_waitcnt lgkmcnt(0)
	s_barrier
	s_waitcnt lgkmcnt(0)
                                        ; implicit-def: $vgpr42
	s_and_saveexec_b64 s[16:17], s[0:1]
	s_cbranch_execz .LBB1469_351
; %bb.350:
	v_lshl_add_u32 v33, v51, 2, -4
	ds_read_b32 v42, v33
	s_waitcnt lgkmcnt(0)
	v_add_u32_e32 v32, v42, v32
.LBB1469_351:
	s_or_b64 exec, exec, s[16:17]
	v_add_u32_e32 v33, -1, v50
	v_and_b32_e32 v34, 64, v50
	v_cmp_lt_i32_e64 s[0:1], v33, v34
	v_cmp_eq_u32_e64 s[16:17], 0, v50
	s_nop 0
	v_cndmask_b32_e64 v33, v33, v50, s[0:1]
	v_lshlrev_b32_e32 v33, 2, v33
	ds_bpermute_b32 v44, v33, v32
	s_and_saveexec_b64 s[0:1], vcc
	s_cbranch_execz .LBB1469_374
; %bb.352:
	v_mov_b32_e32 v41, 0
	ds_read_b32 v32, v41 offset:28
	s_and_saveexec_b64 s[26:27], s[16:17]
	s_cbranch_execz .LBB1469_354
; %bb.353:
	s_add_i32 s36, s33, 64
	s_mov_b32 s37, 0
	s_lshl_b64 s[36:37], s[36:37], 3
	s_add_u32 s36, s38, s36
	v_mov_b32_e32 v33, 1
	s_addc_u32 s37, s39, s37
	s_waitcnt lgkmcnt(0)
	global_store_dwordx2 v41, v[32:33], s[36:37] sc1
.LBB1469_354:
	s_or_b64 exec, exec, s[26:27]
	v_xad_u32 v34, v50, -1, s33
	v_add_u32_e32 v40, 64, v34
	v_lshl_add_u64 v[36:37], v[40:41], 3, s[38:39]
	global_load_dwordx2 v[38:39], v[36:37], off sc1
	s_waitcnt vmcnt(0)
	v_cmp_eq_u16_sdwa s[36:37], v39, v41 src0_sel:BYTE_0 src1_sel:DWORD
	s_and_saveexec_b64 s[26:27], s[36:37]
	s_cbranch_execz .LBB1469_360
; %bb.355:
	s_mov_b32 s40, 1
	s_mov_b64 s[36:37], 0
	v_mov_b32_e32 v33, 0
.LBB1469_356:                           ; =>This Loop Header: Depth=1
                                        ;     Child Loop BB1469_357 Depth 2
	s_max_u32 s41, s40, 1
.LBB1469_357:                           ;   Parent Loop BB1469_356 Depth=1
                                        ; =>  This Inner Loop Header: Depth=2
	s_add_i32 s41, s41, -1
	s_cmp_eq_u32 s41, 0
	s_sleep 1
	s_cbranch_scc0 .LBB1469_357
; %bb.358:                              ;   in Loop: Header=BB1469_356 Depth=1
	global_load_dwordx2 v[38:39], v[36:37], off sc1
	s_cmp_lt_u32 s40, 32
	s_cselect_b64 s[42:43], -1, 0
	s_cmp_lg_u64 s[42:43], 0
	s_addc_u32 s40, s40, 0
	s_waitcnt vmcnt(0)
	v_cmp_ne_u16_sdwa s[42:43], v39, v33 src0_sel:BYTE_0 src1_sel:DWORD
	s_or_b64 s[36:37], s[42:43], s[36:37]
	s_andn2_b64 exec, exec, s[36:37]
	s_cbranch_execnz .LBB1469_356
; %bb.359:
	s_or_b64 exec, exec, s[36:37]
.LBB1469_360:
	s_or_b64 exec, exec, s[26:27]
	v_and_b32_e32 v46, 63, v50
	v_mov_b32_e32 v33, 2
	v_cmp_ne_u32_e32 vcc, 63, v46
	v_cmp_eq_u16_sdwa s[26:27], v39, v33 src0_sel:BYTE_0 src1_sel:DWORD
	v_lshlrev_b64 v[36:37], v50, -1
	v_addc_co_u32_e32 v41, vcc, 0, v50, vcc
	v_and_b32_e32 v35, s27, v37
	v_lshlrev_b32_e32 v53, 2, v41
	v_or_b32_e32 v35, 0x80000000, v35
	ds_bpermute_b32 v41, v53, v38
	v_and_b32_e32 v40, s26, v36
	v_ffbl_b32_e32 v35, v35
	v_add_u32_e32 v35, 32, v35
	v_ffbl_b32_e32 v40, v40
	v_min_u32_e32 v35, v40, v35
	v_cmp_lt_u32_e32 vcc, v46, v35
	v_add_u32_e32 v55, 2, v46
	v_add_u32_e32 v57, 4, v46
	s_waitcnt lgkmcnt(0)
	v_cndmask_b32_e32 v40, 0, v41, vcc
	v_cmp_gt_u32_e32 vcc, 62, v46
	v_add_u32_e32 v38, v40, v38
	v_add_u32_e32 v59, 8, v46
	v_cndmask_b32_e64 v40, 0, 1, vcc
	v_lshlrev_b32_e32 v40, 1, v40
	v_add_lshl_u32 v54, v40, v50, 2
	ds_bpermute_b32 v40, v54, v38
	v_cmp_le_u32_e32 vcc, v55, v35
	v_add_u32_e32 v62, 16, v46
	v_add_u32_e32 v64, 32, v46
	s_waitcnt lgkmcnt(0)
	v_cndmask_b32_e32 v40, 0, v40, vcc
	v_cmp_gt_u32_e32 vcc, 60, v46
	v_add_u32_e32 v38, v38, v40
	s_nop 0
	v_cndmask_b32_e64 v40, 0, 1, vcc
	v_lshlrev_b32_e32 v40, 2, v40
	v_add_lshl_u32 v56, v40, v50, 2
	ds_bpermute_b32 v40, v56, v38
	v_cmp_le_u32_e32 vcc, v57, v35
	s_waitcnt lgkmcnt(0)
	s_nop 0
	v_cndmask_b32_e32 v40, 0, v40, vcc
	v_cmp_gt_u32_e32 vcc, 56, v46
	v_add_u32_e32 v38, v38, v40
	s_nop 0
	v_cndmask_b32_e64 v40, 0, 1, vcc
	v_lshlrev_b32_e32 v40, 3, v40
	v_add_lshl_u32 v58, v40, v50, 2
	ds_bpermute_b32 v40, v58, v38
	v_cmp_le_u32_e32 vcc, v59, v35
	s_waitcnt lgkmcnt(0)
	s_nop 0
	;; [unrolled: 11-line block ×4, first 2 shown]
	v_cndmask_b32_e32 v35, 0, v40, vcc
	v_add_u32_e32 v38, v38, v35
	v_mov_b32_e32 v35, 0
	s_branch .LBB1469_362
.LBB1469_361:                           ;   in Loop: Header=BB1469_362 Depth=1
	s_or_b64 exec, exec, s[26:27]
	v_cmp_eq_u16_sdwa s[26:27], v39, v33 src0_sel:BYTE_0 src1_sel:DWORD
	ds_bpermute_b32 v65, v53, v38
	v_subrev_u32_e32 v34, 64, v34
	v_and_b32_e32 v40, s27, v37
	v_or_b32_e32 v40, 0x80000000, v40
	v_and_b32_e32 v41, s26, v36
	v_ffbl_b32_e32 v40, v40
	v_add_u32_e32 v40, 32, v40
	v_ffbl_b32_e32 v41, v41
	v_min_u32_e32 v40, v41, v40
	v_cmp_lt_u32_e32 vcc, v46, v40
	s_waitcnt lgkmcnt(0)
	s_nop 0
	v_cndmask_b32_e32 v41, 0, v65, vcc
	v_add_u32_e32 v38, v41, v38
	ds_bpermute_b32 v41, v54, v38
	v_cmp_le_u32_e32 vcc, v55, v40
	s_waitcnt lgkmcnt(0)
	s_nop 0
	v_cndmask_b32_e32 v41, 0, v41, vcc
	v_add_u32_e32 v38, v38, v41
	ds_bpermute_b32 v41, v56, v38
	v_cmp_le_u32_e32 vcc, v57, v40
	;; [unrolled: 6-line block ×5, first 2 shown]
	s_waitcnt lgkmcnt(0)
	s_nop 0
	v_cndmask_b32_e32 v40, 0, v41, vcc
	v_add3_u32 v38, v40, v60, v38
.LBB1469_362:                           ; =>This Loop Header: Depth=1
                                        ;     Child Loop BB1469_365 Depth 2
                                        ;       Child Loop BB1469_366 Depth 3
	v_cmp_ne_u16_sdwa s[26:27], v39, v33 src0_sel:BYTE_0 src1_sel:DWORD
	v_mov_b32_e32 v60, v38
	s_nop 0
	v_cndmask_b32_e64 v39, 0, 1, s[26:27]
	;;#ASMSTART
	;;#ASMEND
	s_nop 0
	v_cmp_ne_u32_e32 vcc, 0, v39
	s_cmp_lg_u64 vcc, exec
	s_cbranch_scc1 .LBB1469_369
; %bb.363:                              ;   in Loop: Header=BB1469_362 Depth=1
	v_lshl_add_u64 v[40:41], v[34:35], 3, s[38:39]
	global_load_dwordx2 v[38:39], v[40:41], off sc1
	s_waitcnt vmcnt(0)
	v_cmp_eq_u16_sdwa s[36:37], v39, v35 src0_sel:BYTE_0 src1_sel:DWORD
	s_and_saveexec_b64 s[26:27], s[36:37]
	s_cbranch_execz .LBB1469_361
; %bb.364:                              ;   in Loop: Header=BB1469_362 Depth=1
	s_mov_b32 s40, 1
	s_mov_b64 s[36:37], 0
.LBB1469_365:                           ;   Parent Loop BB1469_362 Depth=1
                                        ; =>  This Loop Header: Depth=2
                                        ;       Child Loop BB1469_366 Depth 3
	s_max_u32 s41, s40, 1
.LBB1469_366:                           ;   Parent Loop BB1469_362 Depth=1
                                        ;     Parent Loop BB1469_365 Depth=2
                                        ; =>    This Inner Loop Header: Depth=3
	s_add_i32 s41, s41, -1
	s_cmp_eq_u32 s41, 0
	s_sleep 1
	s_cbranch_scc0 .LBB1469_366
; %bb.367:                              ;   in Loop: Header=BB1469_365 Depth=2
	global_load_dwordx2 v[38:39], v[40:41], off sc1
	s_cmp_lt_u32 s40, 32
	s_cselect_b64 s[42:43], -1, 0
	s_cmp_lg_u64 s[42:43], 0
	s_addc_u32 s40, s40, 0
	s_waitcnt vmcnt(0)
	v_cmp_ne_u16_sdwa s[42:43], v39, v35 src0_sel:BYTE_0 src1_sel:DWORD
	s_or_b64 s[36:37], s[42:43], s[36:37]
	s_andn2_b64 exec, exec, s[36:37]
	s_cbranch_execnz .LBB1469_365
; %bb.368:                              ;   in Loop: Header=BB1469_362 Depth=1
	s_or_b64 exec, exec, s[36:37]
	s_branch .LBB1469_361
.LBB1469_369:                           ;   in Loop: Header=BB1469_362 Depth=1
                                        ; implicit-def: $vgpr38
                                        ; implicit-def: $vgpr39
	s_cbranch_execz .LBB1469_362
; %bb.370:
	s_and_saveexec_b64 s[26:27], s[16:17]
	s_cbranch_execz .LBB1469_372
; %bb.371:
	s_add_i32 s36, s33, 64
	s_mov_b32 s37, 0
	s_lshl_b64 s[36:37], s[36:37], 3
	s_add_u32 s36, s38, s36
	v_add_u32_e32 v34, v60, v32
	v_mov_b32_e32 v35, 2
	s_addc_u32 s37, s39, s37
	v_mov_b32_e32 v33, 0
	s_movk_i32 s33, 0x7000
	global_store_dwordx2 v33, v[34:35], s[36:37] sc1
	v_add_u32_e64 v33, s33, 0
	ds_write2_b32 v33, v32, v60 offset1:2
.LBB1469_372:
	s_or_b64 exec, exec, s[26:27]
	s_and_b64 exec, exec, s[18:19]
	s_cbranch_execz .LBB1469_374
; %bb.373:
	v_mov_b32_e32 v32, 0
	ds_write_b32 v32, v60 offset:28
.LBB1469_374:
	s_or_b64 exec, exec, s[0:1]
	v_mov_b32_e32 v32, 0
	s_waitcnt lgkmcnt(0)
	s_barrier
	ds_read_b32 v32, v32 offset:28
	v_cndmask_b32_e64 v33, v44, v42, s[16:17]
	v_cndmask_b32_e64 v33, v33, 0, s[18:19]
	s_movk_i32 s0, 0x7000
	s_waitcnt lgkmcnt(0)
	v_add_u32_e32 v46, v32, v33
	v_add_u32_e64 v32, s0, 0
	v_add_u32_e32 v44, v46, v1
	s_barrier
	ds_read2_b32 v[32:33], v32 offset1:2
	v_add_u32_e32 v42, v44, v43
	v_add_u32_e32 v40, v42, v45
	;; [unrolled: 1-line block ×5, first 2 shown]
	s_waitcnt lgkmcnt(0)
	v_readfirstlane_b32 s26, v32
	v_readfirstlane_b32 s16, v33
	v_lshrrev_b64 v[32:33], 24, v[30:31]
	s_branch .LBB1469_385
.LBB1469_375:
                                        ; implicit-def: $vgpr34
                                        ; implicit-def: $vgpr36
                                        ; implicit-def: $vgpr38
                                        ; implicit-def: $vgpr40
                                        ; implicit-def: $vgpr42
                                        ; implicit-def: $vgpr44
                                        ; implicit-def: $vgpr46
                                        ; implicit-def: $sgpr16
                                        ; implicit-def: $sgpr26
	v_lshrrev_b64 v[32:33], 24, v[30:31]
	s_cbranch_execz .LBB1469_385
; %bb.376:
	s_nop 0
	v_mov_b32_dpp v33, v52 row_shr:1 row_mask:0xf bank_mask:0xf
	v_cndmask_b32_e64 v33, v33, 0, s[14:15]
	v_add_u32_e32 v33, v33, v52
	s_nop 1
	v_mov_b32_dpp v34, v33 row_shr:2 row_mask:0xf bank_mask:0xf
	v_cndmask_b32_e64 v34, 0, v34, s[12:13]
	v_add_u32_e32 v33, v33, v34
	;; [unrolled: 4-line block ×4, first 2 shown]
	s_nop 1
	v_mov_b32_dpp v34, v33 row_bcast:15 row_mask:0xf bank_mask:0xf
	v_cndmask_b32_e64 v34, v34, 0, s[6:7]
	v_add_u32_e32 v33, v33, v34
	s_nop 1
	v_mov_b32_dpp v34, v33 row_bcast:31 row_mask:0xf bank_mask:0xf
	v_cndmask_b32_e64 v34, 0, v34, s[2:3]
	v_add_u32_e32 v33, v33, v34
	s_and_saveexec_b64 s[0:1], s[4:5]
	s_cbranch_execz .LBB1469_378
; %bb.377:
	v_lshlrev_b32_e32 v34, 2, v51
	ds_write_b32 v34, v33
.LBB1469_378:
	s_or_b64 exec, exec, s[0:1]
	v_cmp_gt_u32_e32 vcc, 8, v0
	s_waitcnt lgkmcnt(0)
	s_barrier
	s_and_saveexec_b64 s[0:1], vcc
	s_cbranch_execz .LBB1469_380
; %bb.379:
	v_lshlrev_b32_e32 v34, 2, v0
	ds_read_b32 v35, v34
	v_and_b32_e32 v36, 7, v50
	v_cmp_ne_u32_e32 vcc, 0, v36
	s_waitcnt lgkmcnt(0)
	v_mov_b32_dpp v37, v35 row_shr:1 row_mask:0xf bank_mask:0xf
	v_cndmask_b32_e32 v37, 0, v37, vcc
	v_add_u32_e32 v35, v37, v35
	v_cmp_lt_u32_e32 vcc, 1, v36
	s_nop 0
	v_mov_b32_dpp v37, v35 row_shr:2 row_mask:0xf bank_mask:0xf
	v_cndmask_b32_e32 v37, 0, v37, vcc
	v_add_u32_e32 v35, v35, v37
	v_cmp_lt_u32_e32 vcc, 3, v36
	s_nop 0
	v_mov_b32_dpp v37, v35 row_shr:4 row_mask:0xf bank_mask:0xf
	v_cndmask_b32_e32 v36, 0, v37, vcc
	v_add_u32_e32 v35, v35, v36
	ds_write_b32 v34, v35
.LBB1469_380:
	s_or_b64 exec, exec, s[0:1]
	v_cmp_lt_u32_e32 vcc, 63, v0
	v_mov_b32_e32 v35, 0
	v_mov_b32_e32 v34, 0
	s_waitcnt lgkmcnt(0)
	s_barrier
	s_and_saveexec_b64 s[0:1], vcc
	s_cbranch_execz .LBB1469_382
; %bb.381:
	v_lshl_add_u32 v34, v51, 2, -4
	ds_read_b32 v34, v34
.LBB1469_382:
	s_or_b64 exec, exec, s[0:1]
	v_add_u32_e32 v36, -1, v50
	v_and_b32_e32 v37, 64, v50
	v_cmp_lt_i32_e32 vcc, v36, v37
	s_waitcnt lgkmcnt(0)
	v_add_u32_e32 v33, v34, v33
	ds_read_b32 v35, v35 offset:28
	v_cndmask_b32_e32 v36, v36, v50, vcc
	v_lshlrev_b32_e32 v36, 2, v36
	ds_bpermute_b32 v33, v36, v33
	s_waitcnt lgkmcnt(1)
	v_readfirstlane_b32 s26, v35
	s_and_saveexec_b64 s[0:1], s[18:19]
	s_cbranch_execz .LBB1469_384
; %bb.383:
	v_mov_b32_e32 v35, 0
	v_mov_b32_e32 v36, s26
	;; [unrolled: 1-line block ×3, first 2 shown]
	global_store_dwordx2 v35, v[36:37], s[38:39] offset:512 sc1
.LBB1469_384:
	s_or_b64 exec, exec, s[0:1]
	v_cmp_eq_u32_e32 vcc, 0, v50
	s_mov_b32 s16, 0
	s_waitcnt lgkmcnt(0)
	v_cndmask_b32_e32 v33, v33, v34, vcc
	v_cndmask_b32_e64 v46, v33, 0, s[18:19]
	v_add_u32_e32 v44, v46, v1
	v_add_u32_e32 v42, v44, v43
	;; [unrolled: 1-line block ×6, first 2 shown]
	s_barrier
.LBB1469_385:
	s_cmpk_lt_u32 s26, 0x201
	s_cselect_b64 s[2:3], -1, 0
	v_lshrrev_b32_e32 v33, 8, v30
	v_lshrrev_b32_e32 v1, 8, v31
	s_mov_b64 s[0:1], -1
	s_and_b64 vcc, exec, s[2:3]
	s_cbranch_vccz .LBB1469_408
; %bb.386:
	s_add_i32 s4, s16, s26
	v_cmp_gt_u32_e32 vcc, s4, v46
	s_or_b64 s[6:7], s[34:35], vcc
	s_and_saveexec_b64 s[0:1], s[6:7]
	s_cbranch_execz .LBB1469_389
; %bb.387:
	v_and_b32_e32 v35, 1, v30
	v_cmp_eq_u32_e32 vcc, 1, v35
	s_and_b64 exec, exec, vcc
	s_cbranch_execz .LBB1469_389
; %bb.388:
	s_lshl_b64 s[6:7], s[22:23], 3
	s_add_u32 s6, s28, s6
	s_addc_u32 s7, s29, s7
	v_mov_b32_e32 v47, 0
	v_lshl_add_u64 v[48:49], v[46:47], 3, s[6:7]
	global_store_dwordx2 v[48:49], v[22:23], off
.LBB1469_389:
	s_or_b64 exec, exec, s[0:1]
	v_cmp_gt_u32_e32 vcc, s4, v44
	s_or_b64 s[6:7], s[34:35], vcc
	s_and_saveexec_b64 s[0:1], s[6:7]
	s_cbranch_execz .LBB1469_392
; %bb.390:
	v_and_b32_e32 v35, 1, v33
	v_cmp_eq_u32_e32 vcc, 1, v35
	s_and_b64 exec, exec, vcc
	s_cbranch_execz .LBB1469_392
; %bb.391:
	s_lshl_b64 s[6:7], s[22:23], 3
	s_add_u32 s6, s28, s6
	s_addc_u32 s7, s29, s7
	v_mov_b32_e32 v45, 0
	v_lshl_add_u64 v[48:49], v[44:45], 3, s[6:7]
	global_store_dwordx2 v[48:49], v[24:25], off
.LBB1469_392:
	s_or_b64 exec, exec, s[0:1]
	v_cmp_gt_u32_e32 vcc, s4, v42
	s_or_b64 s[6:7], s[34:35], vcc
	s_and_saveexec_b64 s[0:1], s[6:7]
	s_cbranch_execz .LBB1469_395
; %bb.393:
	v_mov_b32_e32 v35, 1
	v_and_b32_sdwa v35, v35, v30 dst_sel:DWORD dst_unused:UNUSED_PAD src0_sel:DWORD src1_sel:WORD_1
	v_cmp_eq_u32_e32 vcc, 1, v35
	s_and_b64 exec, exec, vcc
	s_cbranch_execz .LBB1469_395
; %bb.394:
	s_lshl_b64 s[6:7], s[22:23], 3
	s_add_u32 s6, s28, s6
	s_addc_u32 s7, s29, s7
	v_mov_b32_e32 v43, 0
	v_lshl_add_u64 v[48:49], v[42:43], 3, s[6:7]
	global_store_dwordx2 v[48:49], v[18:19], off
.LBB1469_395:
	s_or_b64 exec, exec, s[0:1]
	v_cmp_gt_u32_e32 vcc, s4, v40
	s_or_b64 s[6:7], s[34:35], vcc
	s_and_saveexec_b64 s[0:1], s[6:7]
	s_cbranch_execz .LBB1469_398
; %bb.396:
	v_and_b32_e32 v35, 1, v32
	v_cmp_eq_u32_e32 vcc, 1, v35
	s_and_b64 exec, exec, vcc
	s_cbranch_execz .LBB1469_398
; %bb.397:
	s_lshl_b64 s[6:7], s[22:23], 3
	s_add_u32 s6, s28, s6
	s_addc_u32 s7, s29, s7
	v_mov_b32_e32 v41, 0
	v_lshl_add_u64 v[48:49], v[40:41], 3, s[6:7]
	global_store_dwordx2 v[48:49], v[20:21], off
.LBB1469_398:
	s_or_b64 exec, exec, s[0:1]
	v_cmp_gt_u32_e32 vcc, s4, v38
	s_or_b64 s[6:7], s[34:35], vcc
	s_and_saveexec_b64 s[0:1], s[6:7]
	s_cbranch_execz .LBB1469_401
; %bb.399:
	v_and_b32_e32 v35, 1, v31
	v_cmp_eq_u32_e32 vcc, 1, v35
	s_and_b64 exec, exec, vcc
	s_cbranch_execz .LBB1469_401
; %bb.400:
	s_lshl_b64 s[6:7], s[22:23], 3
	s_add_u32 s6, s28, s6
	s_addc_u32 s7, s29, s7
	v_mov_b32_e32 v39, 0
	v_lshl_add_u64 v[48:49], v[38:39], 3, s[6:7]
	global_store_dwordx2 v[48:49], v[14:15], off
.LBB1469_401:
	;; [unrolled: 18-line block ×3, first 2 shown]
	s_or_b64 exec, exec, s[0:1]
	v_cmp_gt_u32_e32 vcc, s4, v34
	s_or_b64 s[4:5], s[34:35], vcc
	s_and_saveexec_b64 s[0:1], s[4:5]
	s_cbranch_execz .LBB1469_407
; %bb.405:
	v_mov_b32_e32 v35, 1
	v_and_b32_sdwa v35, v35, v31 dst_sel:DWORD dst_unused:UNUSED_PAD src0_sel:DWORD src1_sel:WORD_1
	v_cmp_eq_u32_e32 vcc, 1, v35
	s_and_b64 exec, exec, vcc
	s_cbranch_execz .LBB1469_407
; %bb.406:
	s_lshl_b64 s[4:5], s[22:23], 3
	s_add_u32 s4, s28, s4
	s_addc_u32 s5, s29, s5
	v_mov_b32_e32 v35, 0
	v_lshl_add_u64 v[48:49], v[34:35], 3, s[4:5]
	global_store_dwordx2 v[48:49], v[28:29], off
.LBB1469_407:
	s_or_b64 exec, exec, s[0:1]
	s_mov_b64 s[0:1], 0
.LBB1469_408:
	v_and_b32_e32 v48, 1, v30
	s_and_b64 vcc, exec, s[0:1]
	v_cmp_eq_u32_e64 s[0:1], 1, v48
	s_cbranch_vccz .LBB1469_427
; %bb.409:
	s_and_saveexec_b64 s[4:5], s[0:1]
	s_cbranch_execz .LBB1469_411
; %bb.410:
	v_subrev_u32_e32 v35, s16, v46
	v_lshlrev_b32_e32 v35, 3, v35
	ds_write_b64 v35, v[22:23]
.LBB1469_411:
	s_or_b64 exec, exec, s[4:5]
	v_and_b32_e32 v22, 1, v33
	v_cmp_eq_u32_e32 vcc, 1, v22
	s_and_saveexec_b64 s[0:1], vcc
	s_cbranch_execz .LBB1469_413
; %bb.412:
	v_subrev_u32_e32 v22, s16, v44
	v_lshlrev_b32_e32 v22, 3, v22
	ds_write_b64 v22, v[24:25]
.LBB1469_413:
	s_or_b64 exec, exec, s[0:1]
	v_mov_b32_e32 v22, 1
	v_and_b32_sdwa v22, v22, v30 dst_sel:DWORD dst_unused:UNUSED_PAD src0_sel:DWORD src1_sel:WORD_1
	v_cmp_eq_u32_e32 vcc, 1, v22
	s_and_saveexec_b64 s[0:1], vcc
	s_cbranch_execz .LBB1469_415
; %bb.414:
	v_subrev_u32_e32 v22, s16, v42
	v_lshlrev_b32_e32 v22, 3, v22
	ds_write_b64 v22, v[18:19]
.LBB1469_415:
	s_or_b64 exec, exec, s[0:1]
	v_and_b32_e32 v18, 1, v32
	v_cmp_eq_u32_e32 vcc, 1, v18
	s_and_saveexec_b64 s[0:1], vcc
	s_cbranch_execz .LBB1469_417
; %bb.416:
	v_subrev_u32_e32 v18, s16, v40
	v_lshlrev_b32_e32 v18, 3, v18
	ds_write_b64 v18, v[20:21]
.LBB1469_417:
	s_or_b64 exec, exec, s[0:1]
	v_and_b32_e32 v18, 1, v31
	;; [unrolled: 10-line block ×3, first 2 shown]
	v_cmp_eq_u32_e32 vcc, 1, v14
	s_and_saveexec_b64 s[0:1], vcc
	s_cbranch_execz .LBB1469_421
; %bb.420:
	v_subrev_u32_e32 v14, s16, v36
	v_lshlrev_b32_e32 v14, 3, v14
	ds_write_b64 v14, v[16:17]
.LBB1469_421:
	s_or_b64 exec, exec, s[0:1]
	v_mov_b32_e32 v14, 1
	v_and_b32_sdwa v14, v14, v31 dst_sel:DWORD dst_unused:UNUSED_PAD src0_sel:DWORD src1_sel:WORD_1
	v_cmp_eq_u32_e32 vcc, 1, v14
	s_and_saveexec_b64 s[0:1], vcc
	s_cbranch_execz .LBB1469_423
; %bb.422:
	v_subrev_u32_e32 v14, s16, v34
	v_lshlrev_b32_e32 v14, 3, v14
	ds_write_b64 v14, v[28:29]
.LBB1469_423:
	s_or_b64 exec, exec, s[0:1]
	v_cmp_gt_u32_e32 vcc, s26, v0
	s_waitcnt lgkmcnt(0)
	s_barrier
	s_and_saveexec_b64 s[0:1], vcc
	s_cbranch_execz .LBB1469_426
; %bb.424:
	s_mov_b32 s17, 0
	s_lshl_b64 s[4:5], s[22:23], 3
	s_lshl_b64 s[6:7], s[16:17], 3
	s_add_u32 s4, s4, s6
	s_addc_u32 s5, s5, s7
	s_add_u32 s4, s28, s4
	v_lshlrev_b32_e32 v14, 3, v0
	v_mov_b32_e32 v15, 0
	s_addc_u32 s5, s29, s5
	v_lshl_add_u64 v[16:17], s[4:5], 0, v[14:15]
	s_mov_b64 s[4:5], 0
	s_mov_b64 s[6:7], 0x1000
	v_mov_b32_e32 v15, v0
.LBB1469_425:                           ; =>This Inner Loop Header: Depth=1
	ds_read_b64 v[18:19], v14
	v_add_u32_e32 v15, 0x200, v15
	v_cmp_le_u32_e32 vcc, s26, v15
	v_add_u32_e32 v14, 0x1000, v14
	s_or_b64 s[4:5], vcc, s[4:5]
	s_waitcnt lgkmcnt(0)
	global_store_dwordx2 v[16:17], v[18:19], off
	v_lshl_add_u64 v[16:17], v[16:17], 0, s[6:7]
	s_andn2_b64 exec, exec, s[4:5]
	s_cbranch_execnz .LBB1469_425
.LBB1469_426:
	s_or_b64 exec, exec, s[0:1]
.LBB1469_427:
	s_mov_b64 s[0:1], -1
	s_and_b64 vcc, exec, s[2:3]
	s_barrier
	s_cbranch_vccnz .LBB1469_431
; %bb.428:
	s_and_b64 vcc, exec, s[0:1]
	s_cbranch_vccnz .LBB1469_453
.LBB1469_429:
	s_and_b64 s[0:1], s[18:19], s[24:25]
	s_and_saveexec_b64 s[2:3], s[0:1]
	s_cbranch_execnz .LBB1469_471
.LBB1469_430:
	s_endpgm
.LBB1469_431:
	s_add_i32 s2, s16, s26
	v_cmp_gt_u32_e32 vcc, s2, v46
	s_or_b64 s[4:5], s[34:35], vcc
	s_and_saveexec_b64 s[0:1], s[4:5]
	s_cbranch_execz .LBB1469_434
; %bb.432:
	v_cmp_eq_u32_e32 vcc, 1, v48
	s_and_b64 exec, exec, vcc
	s_cbranch_execz .LBB1469_434
; %bb.433:
	s_lshl_b64 s[4:5], s[22:23], 3
	s_add_u32 s4, s30, s4
	s_addc_u32 s5, s31, s5
	v_mov_b32_e32 v47, 0
	v_lshl_add_u64 v[14:15], v[46:47], 3, s[4:5]
	global_store_dwordx2 v[14:15], v[10:11], off
.LBB1469_434:
	s_or_b64 exec, exec, s[0:1]
	v_cmp_gt_u32_e32 vcc, s2, v44
	s_or_b64 s[4:5], s[34:35], vcc
	s_and_saveexec_b64 s[0:1], s[4:5]
	s_cbranch_execz .LBB1469_437
; %bb.435:
	v_and_b32_e32 v14, 1, v33
	v_cmp_eq_u32_e32 vcc, 1, v14
	s_and_b64 exec, exec, vcc
	s_cbranch_execz .LBB1469_437
; %bb.436:
	s_lshl_b64 s[4:5], s[22:23], 3
	s_add_u32 s4, s30, s4
	s_addc_u32 s5, s31, s5
	v_mov_b32_e32 v45, 0
	v_lshl_add_u64 v[14:15], v[44:45], 3, s[4:5]
	global_store_dwordx2 v[14:15], v[12:13], off
.LBB1469_437:
	s_or_b64 exec, exec, s[0:1]
	v_cmp_gt_u32_e32 vcc, s2, v42
	s_or_b64 s[4:5], s[34:35], vcc
	s_and_saveexec_b64 s[0:1], s[4:5]
	s_cbranch_execz .LBB1469_440
; %bb.438:
	v_mov_b32_e32 v14, 1
	v_and_b32_sdwa v14, v14, v30 dst_sel:DWORD dst_unused:UNUSED_PAD src0_sel:DWORD src1_sel:WORD_1
	v_cmp_eq_u32_e32 vcc, 1, v14
	s_and_b64 exec, exec, vcc
	s_cbranch_execz .LBB1469_440
; %bb.439:
	s_lshl_b64 s[4:5], s[22:23], 3
	s_add_u32 s4, s30, s4
	s_addc_u32 s5, s31, s5
	v_mov_b32_e32 v43, 0
	v_lshl_add_u64 v[14:15], v[42:43], 3, s[4:5]
	global_store_dwordx2 v[14:15], v[6:7], off
.LBB1469_440:
	s_or_b64 exec, exec, s[0:1]
	v_cmp_gt_u32_e32 vcc, s2, v40
	s_or_b64 s[4:5], s[34:35], vcc
	s_and_saveexec_b64 s[0:1], s[4:5]
	s_cbranch_execz .LBB1469_443
; %bb.441:
	v_and_b32_e32 v14, 1, v32
	v_cmp_eq_u32_e32 vcc, 1, v14
	s_and_b64 exec, exec, vcc
	s_cbranch_execz .LBB1469_443
; %bb.442:
	s_lshl_b64 s[4:5], s[22:23], 3
	s_add_u32 s4, s30, s4
	s_addc_u32 s5, s31, s5
	v_mov_b32_e32 v41, 0
	v_lshl_add_u64 v[14:15], v[40:41], 3, s[4:5]
	global_store_dwordx2 v[14:15], v[8:9], off
.LBB1469_443:
	s_or_b64 exec, exec, s[0:1]
	v_cmp_gt_u32_e32 vcc, s2, v38
	s_or_b64 s[4:5], s[34:35], vcc
	s_and_saveexec_b64 s[0:1], s[4:5]
	s_cbranch_execz .LBB1469_446
; %bb.444:
	v_and_b32_e32 v14, 1, v31
	v_cmp_eq_u32_e32 vcc, 1, v14
	s_and_b64 exec, exec, vcc
	s_cbranch_execz .LBB1469_446
; %bb.445:
	s_lshl_b64 s[4:5], s[22:23], 3
	s_add_u32 s4, s30, s4
	s_addc_u32 s5, s31, s5
	v_mov_b32_e32 v39, 0
	v_lshl_add_u64 v[14:15], v[38:39], 3, s[4:5]
	global_store_dwordx2 v[14:15], v[2:3], off
.LBB1469_446:
	;; [unrolled: 18-line block ×3, first 2 shown]
	s_or_b64 exec, exec, s[0:1]
	v_cmp_gt_u32_e32 vcc, s2, v34
	s_or_b64 s[2:3], s[34:35], vcc
	s_and_saveexec_b64 s[0:1], s[2:3]
	s_cbranch_execz .LBB1469_452
; %bb.450:
	v_mov_b32_e32 v14, 1
	v_and_b32_sdwa v14, v14, v31 dst_sel:DWORD dst_unused:UNUSED_PAD src0_sel:DWORD src1_sel:WORD_1
	v_cmp_eq_u32_e32 vcc, 1, v14
	s_and_b64 exec, exec, vcc
	s_cbranch_execz .LBB1469_452
; %bb.451:
	s_lshl_b64 s[2:3], s[22:23], 3
	s_add_u32 s2, s30, s2
	s_addc_u32 s3, s31, s3
	v_mov_b32_e32 v35, 0
	v_lshl_add_u64 v[14:15], v[34:35], 3, s[2:3]
	global_store_dwordx2 v[14:15], v[26:27], off
.LBB1469_452:
	s_or_b64 exec, exec, s[0:1]
	s_branch .LBB1469_429
.LBB1469_453:
	v_cmp_eq_u32_e32 vcc, 1, v48
	s_and_saveexec_b64 s[0:1], vcc
	s_cbranch_execz .LBB1469_455
; %bb.454:
	v_subrev_u32_e32 v14, s16, v46
	v_lshlrev_b32_e32 v14, 3, v14
	ds_write_b64 v14, v[10:11]
.LBB1469_455:
	s_or_b64 exec, exec, s[0:1]
	v_and_b32_e32 v10, 1, v33
	v_cmp_eq_u32_e32 vcc, 1, v10
	s_and_saveexec_b64 s[0:1], vcc
	s_cbranch_execz .LBB1469_457
; %bb.456:
	v_subrev_u32_e32 v10, s16, v44
	v_lshlrev_b32_e32 v10, 3, v10
	ds_write_b64 v10, v[12:13]
.LBB1469_457:
	s_or_b64 exec, exec, s[0:1]
	v_mov_b32_e32 v10, 1
	v_and_b32_sdwa v10, v10, v30 dst_sel:DWORD dst_unused:UNUSED_PAD src0_sel:DWORD src1_sel:WORD_1
	v_cmp_eq_u32_e32 vcc, 1, v10
	s_and_saveexec_b64 s[0:1], vcc
	s_cbranch_execz .LBB1469_459
; %bb.458:
	v_subrev_u32_e32 v10, s16, v42
	v_lshlrev_b32_e32 v10, 3, v10
	ds_write_b64 v10, v[6:7]
.LBB1469_459:
	s_or_b64 exec, exec, s[0:1]
	v_and_b32_e32 v6, 1, v32
	v_cmp_eq_u32_e32 vcc, 1, v6
	s_and_saveexec_b64 s[0:1], vcc
	s_cbranch_execz .LBB1469_461
; %bb.460:
	v_subrev_u32_e32 v6, s16, v40
	v_lshlrev_b32_e32 v6, 3, v6
	ds_write_b64 v6, v[8:9]
.LBB1469_461:
	s_or_b64 exec, exec, s[0:1]
	v_and_b32_e32 v6, 1, v31
	;; [unrolled: 10-line block ×3, first 2 shown]
	v_cmp_eq_u32_e32 vcc, 1, v1
	s_and_saveexec_b64 s[0:1], vcc
	s_cbranch_execz .LBB1469_465
; %bb.464:
	v_subrev_u32_e32 v1, s16, v36
	v_lshlrev_b32_e32 v1, 3, v1
	ds_write_b64 v1, v[4:5]
.LBB1469_465:
	s_or_b64 exec, exec, s[0:1]
	v_mov_b32_e32 v1, 1
	v_and_b32_sdwa v1, v1, v31 dst_sel:DWORD dst_unused:UNUSED_PAD src0_sel:DWORD src1_sel:WORD_1
	v_cmp_eq_u32_e32 vcc, 1, v1
	s_and_saveexec_b64 s[0:1], vcc
	s_cbranch_execz .LBB1469_467
; %bb.466:
	v_subrev_u32_e32 v1, s16, v34
	v_lshlrev_b32_e32 v1, 3, v1
	ds_write_b64 v1, v[26:27]
.LBB1469_467:
	s_or_b64 exec, exec, s[0:1]
	v_cmp_gt_u32_e32 vcc, s26, v0
	s_waitcnt lgkmcnt(0)
	s_barrier
	s_and_saveexec_b64 s[0:1], vcc
	s_cbranch_execz .LBB1469_470
; %bb.468:
	s_mov_b32 s17, 0
	s_lshl_b64 s[2:3], s[22:23], 3
	s_lshl_b64 s[4:5], s[16:17], 3
	s_add_u32 s2, s2, s4
	s_addc_u32 s3, s3, s5
	s_add_u32 s2, s30, s2
	v_lshlrev_b32_e32 v2, 3, v0
	v_mov_b32_e32 v3, 0
	s_addc_u32 s3, s31, s3
	v_lshl_add_u64 v[4:5], s[2:3], 0, v[2:3]
	s_mov_b64 s[2:3], 0
	s_mov_b64 s[4:5], 0x1000
.LBB1469_469:                           ; =>This Inner Loop Header: Depth=1
	ds_read_b64 v[6:7], v2
	v_add_u32_e32 v0, 0x200, v0
	v_cmp_le_u32_e32 vcc, s26, v0
	v_add_u32_e32 v2, 0x1000, v2
	s_or_b64 s[2:3], vcc, s[2:3]
	s_waitcnt lgkmcnt(0)
	global_store_dwordx2 v[4:5], v[6:7], off
	v_lshl_add_u64 v[4:5], v[4:5], 0, s[4:5]
	s_andn2_b64 exec, exec, s[2:3]
	s_cbranch_execnz .LBB1469_469
.LBB1469_470:
	s_or_b64 exec, exec, s[0:1]
	s_and_b64 s[0:1], s[18:19], s[24:25]
	s_and_saveexec_b64 s[2:3], s[0:1]
	s_cbranch_execz .LBB1469_430
.LBB1469_471:
	s_add_u32 s0, s22, s26
	s_addc_u32 s1, s23, 0
	s_add_u32 s0, s0, s16
	s_addc_u32 s1, s1, 0
	v_mov_b32_e32 v2, 0
	v_mov_b64_e32 v[0:1], s[0:1]
	global_store_dwordx2 v2, v[0:1], s[20:21]
	s_endpgm
	.section	.rodata,"a",@progbits
	.p2align	6, 0x0
	.amdhsa_kernel _ZN7rocprim17ROCPRIM_400000_NS6detail17trampoline_kernelINS0_14default_configENS1_25partition_config_selectorILNS1_17partition_subalgoE9EllbEEZZNS1_14partition_implILS5_9ELb0ES3_jPlS8_PNS0_10empty_typeENS0_5tupleIJS8_S9_EEENSB_IJS8_SA_EEENS0_18inequality_wrapperIZN2at6native12_GLOBAL__N_124unique_dim_cuda_templateItEESt5tupleIJNSF_6TensorESK_SK_EERKSK_lbbbEUlllE0_EEPmJS9_EEE10hipError_tPvRmT3_T4_T5_T6_T7_T9_mT8_P12ihipStream_tbDpT10_ENKUlT_T0_E_clISt17integral_constantIbLb1EES1A_EEDaS15_S16_EUlS15_E_NS1_11comp_targetILNS1_3genE5ELNS1_11target_archE942ELNS1_3gpuE9ELNS1_3repE0EEENS1_30default_config_static_selectorELNS0_4arch9wavefront6targetE1EEEvT1_
		.amdhsa_group_segment_fixed_size 28684
		.amdhsa_private_segment_fixed_size 0
		.amdhsa_kernarg_size 136
		.amdhsa_user_sgpr_count 2
		.amdhsa_user_sgpr_dispatch_ptr 0
		.amdhsa_user_sgpr_queue_ptr 0
		.amdhsa_user_sgpr_kernarg_segment_ptr 1
		.amdhsa_user_sgpr_dispatch_id 0
		.amdhsa_user_sgpr_kernarg_preload_length 0
		.amdhsa_user_sgpr_kernarg_preload_offset 0
		.amdhsa_user_sgpr_private_segment_size 0
		.amdhsa_uses_dynamic_stack 0
		.amdhsa_enable_private_segment 0
		.amdhsa_system_sgpr_workgroup_id_x 1
		.amdhsa_system_sgpr_workgroup_id_y 0
		.amdhsa_system_sgpr_workgroup_id_z 0
		.amdhsa_system_sgpr_workgroup_info 0
		.amdhsa_system_vgpr_workitem_id 0
		.amdhsa_next_free_vgpr 66
		.amdhsa_next_free_sgpr 58
		.amdhsa_accum_offset 68
		.amdhsa_reserve_vcc 1
		.amdhsa_float_round_mode_32 0
		.amdhsa_float_round_mode_16_64 0
		.amdhsa_float_denorm_mode_32 3
		.amdhsa_float_denorm_mode_16_64 3
		.amdhsa_dx10_clamp 1
		.amdhsa_ieee_mode 1
		.amdhsa_fp16_overflow 0
		.amdhsa_tg_split 0
		.amdhsa_exception_fp_ieee_invalid_op 0
		.amdhsa_exception_fp_denorm_src 0
		.amdhsa_exception_fp_ieee_div_zero 0
		.amdhsa_exception_fp_ieee_overflow 0
		.amdhsa_exception_fp_ieee_underflow 0
		.amdhsa_exception_fp_ieee_inexact 0
		.amdhsa_exception_int_div_zero 0
	.end_amdhsa_kernel
	.section	.text._ZN7rocprim17ROCPRIM_400000_NS6detail17trampoline_kernelINS0_14default_configENS1_25partition_config_selectorILNS1_17partition_subalgoE9EllbEEZZNS1_14partition_implILS5_9ELb0ES3_jPlS8_PNS0_10empty_typeENS0_5tupleIJS8_S9_EEENSB_IJS8_SA_EEENS0_18inequality_wrapperIZN2at6native12_GLOBAL__N_124unique_dim_cuda_templateItEESt5tupleIJNSF_6TensorESK_SK_EERKSK_lbbbEUlllE0_EEPmJS9_EEE10hipError_tPvRmT3_T4_T5_T6_T7_T9_mT8_P12ihipStream_tbDpT10_ENKUlT_T0_E_clISt17integral_constantIbLb1EES1A_EEDaS15_S16_EUlS15_E_NS1_11comp_targetILNS1_3genE5ELNS1_11target_archE942ELNS1_3gpuE9ELNS1_3repE0EEENS1_30default_config_static_selectorELNS0_4arch9wavefront6targetE1EEEvT1_,"axG",@progbits,_ZN7rocprim17ROCPRIM_400000_NS6detail17trampoline_kernelINS0_14default_configENS1_25partition_config_selectorILNS1_17partition_subalgoE9EllbEEZZNS1_14partition_implILS5_9ELb0ES3_jPlS8_PNS0_10empty_typeENS0_5tupleIJS8_S9_EEENSB_IJS8_SA_EEENS0_18inequality_wrapperIZN2at6native12_GLOBAL__N_124unique_dim_cuda_templateItEESt5tupleIJNSF_6TensorESK_SK_EERKSK_lbbbEUlllE0_EEPmJS9_EEE10hipError_tPvRmT3_T4_T5_T6_T7_T9_mT8_P12ihipStream_tbDpT10_ENKUlT_T0_E_clISt17integral_constantIbLb1EES1A_EEDaS15_S16_EUlS15_E_NS1_11comp_targetILNS1_3genE5ELNS1_11target_archE942ELNS1_3gpuE9ELNS1_3repE0EEENS1_30default_config_static_selectorELNS0_4arch9wavefront6targetE1EEEvT1_,comdat
.Lfunc_end1469:
	.size	_ZN7rocprim17ROCPRIM_400000_NS6detail17trampoline_kernelINS0_14default_configENS1_25partition_config_selectorILNS1_17partition_subalgoE9EllbEEZZNS1_14partition_implILS5_9ELb0ES3_jPlS8_PNS0_10empty_typeENS0_5tupleIJS8_S9_EEENSB_IJS8_SA_EEENS0_18inequality_wrapperIZN2at6native12_GLOBAL__N_124unique_dim_cuda_templateItEESt5tupleIJNSF_6TensorESK_SK_EERKSK_lbbbEUlllE0_EEPmJS9_EEE10hipError_tPvRmT3_T4_T5_T6_T7_T9_mT8_P12ihipStream_tbDpT10_ENKUlT_T0_E_clISt17integral_constantIbLb1EES1A_EEDaS15_S16_EUlS15_E_NS1_11comp_targetILNS1_3genE5ELNS1_11target_archE942ELNS1_3gpuE9ELNS1_3repE0EEENS1_30default_config_static_selectorELNS0_4arch9wavefront6targetE1EEEvT1_, .Lfunc_end1469-_ZN7rocprim17ROCPRIM_400000_NS6detail17trampoline_kernelINS0_14default_configENS1_25partition_config_selectorILNS1_17partition_subalgoE9EllbEEZZNS1_14partition_implILS5_9ELb0ES3_jPlS8_PNS0_10empty_typeENS0_5tupleIJS8_S9_EEENSB_IJS8_SA_EEENS0_18inequality_wrapperIZN2at6native12_GLOBAL__N_124unique_dim_cuda_templateItEESt5tupleIJNSF_6TensorESK_SK_EERKSK_lbbbEUlllE0_EEPmJS9_EEE10hipError_tPvRmT3_T4_T5_T6_T7_T9_mT8_P12ihipStream_tbDpT10_ENKUlT_T0_E_clISt17integral_constantIbLb1EES1A_EEDaS15_S16_EUlS15_E_NS1_11comp_targetILNS1_3genE5ELNS1_11target_archE942ELNS1_3gpuE9ELNS1_3repE0EEENS1_30default_config_static_selectorELNS0_4arch9wavefront6targetE1EEEvT1_
                                        ; -- End function
	.section	.AMDGPU.csdata,"",@progbits
; Kernel info:
; codeLenInByte = 14564
; NumSgprs: 64
; NumVgprs: 66
; NumAgprs: 0
; TotalNumVgprs: 66
; ScratchSize: 0
; MemoryBound: 0
; FloatMode: 240
; IeeeMode: 1
; LDSByteSize: 28684 bytes/workgroup (compile time only)
; SGPRBlocks: 7
; VGPRBlocks: 8
; NumSGPRsForWavesPerEU: 64
; NumVGPRsForWavesPerEU: 66
; AccumOffset: 68
; Occupancy: 4
; WaveLimiterHint : 1
; COMPUTE_PGM_RSRC2:SCRATCH_EN: 0
; COMPUTE_PGM_RSRC2:USER_SGPR: 2
; COMPUTE_PGM_RSRC2:TRAP_HANDLER: 0
; COMPUTE_PGM_RSRC2:TGID_X_EN: 1
; COMPUTE_PGM_RSRC2:TGID_Y_EN: 0
; COMPUTE_PGM_RSRC2:TGID_Z_EN: 0
; COMPUTE_PGM_RSRC2:TIDIG_COMP_CNT: 0
; COMPUTE_PGM_RSRC3_GFX90A:ACCUM_OFFSET: 16
; COMPUTE_PGM_RSRC3_GFX90A:TG_SPLIT: 0
	.section	.text._ZN7rocprim17ROCPRIM_400000_NS6detail17trampoline_kernelINS0_14default_configENS1_25partition_config_selectorILNS1_17partition_subalgoE9EllbEEZZNS1_14partition_implILS5_9ELb0ES3_jPlS8_PNS0_10empty_typeENS0_5tupleIJS8_S9_EEENSB_IJS8_SA_EEENS0_18inequality_wrapperIZN2at6native12_GLOBAL__N_124unique_dim_cuda_templateItEESt5tupleIJNSF_6TensorESK_SK_EERKSK_lbbbEUlllE0_EEPmJS9_EEE10hipError_tPvRmT3_T4_T5_T6_T7_T9_mT8_P12ihipStream_tbDpT10_ENKUlT_T0_E_clISt17integral_constantIbLb1EES1A_EEDaS15_S16_EUlS15_E_NS1_11comp_targetILNS1_3genE4ELNS1_11target_archE910ELNS1_3gpuE8ELNS1_3repE0EEENS1_30default_config_static_selectorELNS0_4arch9wavefront6targetE1EEEvT1_,"axG",@progbits,_ZN7rocprim17ROCPRIM_400000_NS6detail17trampoline_kernelINS0_14default_configENS1_25partition_config_selectorILNS1_17partition_subalgoE9EllbEEZZNS1_14partition_implILS5_9ELb0ES3_jPlS8_PNS0_10empty_typeENS0_5tupleIJS8_S9_EEENSB_IJS8_SA_EEENS0_18inequality_wrapperIZN2at6native12_GLOBAL__N_124unique_dim_cuda_templateItEESt5tupleIJNSF_6TensorESK_SK_EERKSK_lbbbEUlllE0_EEPmJS9_EEE10hipError_tPvRmT3_T4_T5_T6_T7_T9_mT8_P12ihipStream_tbDpT10_ENKUlT_T0_E_clISt17integral_constantIbLb1EES1A_EEDaS15_S16_EUlS15_E_NS1_11comp_targetILNS1_3genE4ELNS1_11target_archE910ELNS1_3gpuE8ELNS1_3repE0EEENS1_30default_config_static_selectorELNS0_4arch9wavefront6targetE1EEEvT1_,comdat
	.globl	_ZN7rocprim17ROCPRIM_400000_NS6detail17trampoline_kernelINS0_14default_configENS1_25partition_config_selectorILNS1_17partition_subalgoE9EllbEEZZNS1_14partition_implILS5_9ELb0ES3_jPlS8_PNS0_10empty_typeENS0_5tupleIJS8_S9_EEENSB_IJS8_SA_EEENS0_18inequality_wrapperIZN2at6native12_GLOBAL__N_124unique_dim_cuda_templateItEESt5tupleIJNSF_6TensorESK_SK_EERKSK_lbbbEUlllE0_EEPmJS9_EEE10hipError_tPvRmT3_T4_T5_T6_T7_T9_mT8_P12ihipStream_tbDpT10_ENKUlT_T0_E_clISt17integral_constantIbLb1EES1A_EEDaS15_S16_EUlS15_E_NS1_11comp_targetILNS1_3genE4ELNS1_11target_archE910ELNS1_3gpuE8ELNS1_3repE0EEENS1_30default_config_static_selectorELNS0_4arch9wavefront6targetE1EEEvT1_ ; -- Begin function _ZN7rocprim17ROCPRIM_400000_NS6detail17trampoline_kernelINS0_14default_configENS1_25partition_config_selectorILNS1_17partition_subalgoE9EllbEEZZNS1_14partition_implILS5_9ELb0ES3_jPlS8_PNS0_10empty_typeENS0_5tupleIJS8_S9_EEENSB_IJS8_SA_EEENS0_18inequality_wrapperIZN2at6native12_GLOBAL__N_124unique_dim_cuda_templateItEESt5tupleIJNSF_6TensorESK_SK_EERKSK_lbbbEUlllE0_EEPmJS9_EEE10hipError_tPvRmT3_T4_T5_T6_T7_T9_mT8_P12ihipStream_tbDpT10_ENKUlT_T0_E_clISt17integral_constantIbLb1EES1A_EEDaS15_S16_EUlS15_E_NS1_11comp_targetILNS1_3genE4ELNS1_11target_archE910ELNS1_3gpuE8ELNS1_3repE0EEENS1_30default_config_static_selectorELNS0_4arch9wavefront6targetE1EEEvT1_
	.p2align	8
	.type	_ZN7rocprim17ROCPRIM_400000_NS6detail17trampoline_kernelINS0_14default_configENS1_25partition_config_selectorILNS1_17partition_subalgoE9EllbEEZZNS1_14partition_implILS5_9ELb0ES3_jPlS8_PNS0_10empty_typeENS0_5tupleIJS8_S9_EEENSB_IJS8_SA_EEENS0_18inequality_wrapperIZN2at6native12_GLOBAL__N_124unique_dim_cuda_templateItEESt5tupleIJNSF_6TensorESK_SK_EERKSK_lbbbEUlllE0_EEPmJS9_EEE10hipError_tPvRmT3_T4_T5_T6_T7_T9_mT8_P12ihipStream_tbDpT10_ENKUlT_T0_E_clISt17integral_constantIbLb1EES1A_EEDaS15_S16_EUlS15_E_NS1_11comp_targetILNS1_3genE4ELNS1_11target_archE910ELNS1_3gpuE8ELNS1_3repE0EEENS1_30default_config_static_selectorELNS0_4arch9wavefront6targetE1EEEvT1_,@function
_ZN7rocprim17ROCPRIM_400000_NS6detail17trampoline_kernelINS0_14default_configENS1_25partition_config_selectorILNS1_17partition_subalgoE9EllbEEZZNS1_14partition_implILS5_9ELb0ES3_jPlS8_PNS0_10empty_typeENS0_5tupleIJS8_S9_EEENSB_IJS8_SA_EEENS0_18inequality_wrapperIZN2at6native12_GLOBAL__N_124unique_dim_cuda_templateItEESt5tupleIJNSF_6TensorESK_SK_EERKSK_lbbbEUlllE0_EEPmJS9_EEE10hipError_tPvRmT3_T4_T5_T6_T7_T9_mT8_P12ihipStream_tbDpT10_ENKUlT_T0_E_clISt17integral_constantIbLb1EES1A_EEDaS15_S16_EUlS15_E_NS1_11comp_targetILNS1_3genE4ELNS1_11target_archE910ELNS1_3gpuE8ELNS1_3repE0EEENS1_30default_config_static_selectorELNS0_4arch9wavefront6targetE1EEEvT1_: ; @_ZN7rocprim17ROCPRIM_400000_NS6detail17trampoline_kernelINS0_14default_configENS1_25partition_config_selectorILNS1_17partition_subalgoE9EllbEEZZNS1_14partition_implILS5_9ELb0ES3_jPlS8_PNS0_10empty_typeENS0_5tupleIJS8_S9_EEENSB_IJS8_SA_EEENS0_18inequality_wrapperIZN2at6native12_GLOBAL__N_124unique_dim_cuda_templateItEESt5tupleIJNSF_6TensorESK_SK_EERKSK_lbbbEUlllE0_EEPmJS9_EEE10hipError_tPvRmT3_T4_T5_T6_T7_T9_mT8_P12ihipStream_tbDpT10_ENKUlT_T0_E_clISt17integral_constantIbLb1EES1A_EEDaS15_S16_EUlS15_E_NS1_11comp_targetILNS1_3genE4ELNS1_11target_archE910ELNS1_3gpuE8ELNS1_3repE0EEENS1_30default_config_static_selectorELNS0_4arch9wavefront6targetE1EEEvT1_
; %bb.0:
	.section	.rodata,"a",@progbits
	.p2align	6, 0x0
	.amdhsa_kernel _ZN7rocprim17ROCPRIM_400000_NS6detail17trampoline_kernelINS0_14default_configENS1_25partition_config_selectorILNS1_17partition_subalgoE9EllbEEZZNS1_14partition_implILS5_9ELb0ES3_jPlS8_PNS0_10empty_typeENS0_5tupleIJS8_S9_EEENSB_IJS8_SA_EEENS0_18inequality_wrapperIZN2at6native12_GLOBAL__N_124unique_dim_cuda_templateItEESt5tupleIJNSF_6TensorESK_SK_EERKSK_lbbbEUlllE0_EEPmJS9_EEE10hipError_tPvRmT3_T4_T5_T6_T7_T9_mT8_P12ihipStream_tbDpT10_ENKUlT_T0_E_clISt17integral_constantIbLb1EES1A_EEDaS15_S16_EUlS15_E_NS1_11comp_targetILNS1_3genE4ELNS1_11target_archE910ELNS1_3gpuE8ELNS1_3repE0EEENS1_30default_config_static_selectorELNS0_4arch9wavefront6targetE1EEEvT1_
		.amdhsa_group_segment_fixed_size 0
		.amdhsa_private_segment_fixed_size 0
		.amdhsa_kernarg_size 136
		.amdhsa_user_sgpr_count 2
		.amdhsa_user_sgpr_dispatch_ptr 0
		.amdhsa_user_sgpr_queue_ptr 0
		.amdhsa_user_sgpr_kernarg_segment_ptr 1
		.amdhsa_user_sgpr_dispatch_id 0
		.amdhsa_user_sgpr_kernarg_preload_length 0
		.amdhsa_user_sgpr_kernarg_preload_offset 0
		.amdhsa_user_sgpr_private_segment_size 0
		.amdhsa_uses_dynamic_stack 0
		.amdhsa_enable_private_segment 0
		.amdhsa_system_sgpr_workgroup_id_x 1
		.amdhsa_system_sgpr_workgroup_id_y 0
		.amdhsa_system_sgpr_workgroup_id_z 0
		.amdhsa_system_sgpr_workgroup_info 0
		.amdhsa_system_vgpr_workitem_id 0
		.amdhsa_next_free_vgpr 1
		.amdhsa_next_free_sgpr 0
		.amdhsa_accum_offset 4
		.amdhsa_reserve_vcc 0
		.amdhsa_float_round_mode_32 0
		.amdhsa_float_round_mode_16_64 0
		.amdhsa_float_denorm_mode_32 3
		.amdhsa_float_denorm_mode_16_64 3
		.amdhsa_dx10_clamp 1
		.amdhsa_ieee_mode 1
		.amdhsa_fp16_overflow 0
		.amdhsa_tg_split 0
		.amdhsa_exception_fp_ieee_invalid_op 0
		.amdhsa_exception_fp_denorm_src 0
		.amdhsa_exception_fp_ieee_div_zero 0
		.amdhsa_exception_fp_ieee_overflow 0
		.amdhsa_exception_fp_ieee_underflow 0
		.amdhsa_exception_fp_ieee_inexact 0
		.amdhsa_exception_int_div_zero 0
	.end_amdhsa_kernel
	.section	.text._ZN7rocprim17ROCPRIM_400000_NS6detail17trampoline_kernelINS0_14default_configENS1_25partition_config_selectorILNS1_17partition_subalgoE9EllbEEZZNS1_14partition_implILS5_9ELb0ES3_jPlS8_PNS0_10empty_typeENS0_5tupleIJS8_S9_EEENSB_IJS8_SA_EEENS0_18inequality_wrapperIZN2at6native12_GLOBAL__N_124unique_dim_cuda_templateItEESt5tupleIJNSF_6TensorESK_SK_EERKSK_lbbbEUlllE0_EEPmJS9_EEE10hipError_tPvRmT3_T4_T5_T6_T7_T9_mT8_P12ihipStream_tbDpT10_ENKUlT_T0_E_clISt17integral_constantIbLb1EES1A_EEDaS15_S16_EUlS15_E_NS1_11comp_targetILNS1_3genE4ELNS1_11target_archE910ELNS1_3gpuE8ELNS1_3repE0EEENS1_30default_config_static_selectorELNS0_4arch9wavefront6targetE1EEEvT1_,"axG",@progbits,_ZN7rocprim17ROCPRIM_400000_NS6detail17trampoline_kernelINS0_14default_configENS1_25partition_config_selectorILNS1_17partition_subalgoE9EllbEEZZNS1_14partition_implILS5_9ELb0ES3_jPlS8_PNS0_10empty_typeENS0_5tupleIJS8_S9_EEENSB_IJS8_SA_EEENS0_18inequality_wrapperIZN2at6native12_GLOBAL__N_124unique_dim_cuda_templateItEESt5tupleIJNSF_6TensorESK_SK_EERKSK_lbbbEUlllE0_EEPmJS9_EEE10hipError_tPvRmT3_T4_T5_T6_T7_T9_mT8_P12ihipStream_tbDpT10_ENKUlT_T0_E_clISt17integral_constantIbLb1EES1A_EEDaS15_S16_EUlS15_E_NS1_11comp_targetILNS1_3genE4ELNS1_11target_archE910ELNS1_3gpuE8ELNS1_3repE0EEENS1_30default_config_static_selectorELNS0_4arch9wavefront6targetE1EEEvT1_,comdat
.Lfunc_end1470:
	.size	_ZN7rocprim17ROCPRIM_400000_NS6detail17trampoline_kernelINS0_14default_configENS1_25partition_config_selectorILNS1_17partition_subalgoE9EllbEEZZNS1_14partition_implILS5_9ELb0ES3_jPlS8_PNS0_10empty_typeENS0_5tupleIJS8_S9_EEENSB_IJS8_SA_EEENS0_18inequality_wrapperIZN2at6native12_GLOBAL__N_124unique_dim_cuda_templateItEESt5tupleIJNSF_6TensorESK_SK_EERKSK_lbbbEUlllE0_EEPmJS9_EEE10hipError_tPvRmT3_T4_T5_T6_T7_T9_mT8_P12ihipStream_tbDpT10_ENKUlT_T0_E_clISt17integral_constantIbLb1EES1A_EEDaS15_S16_EUlS15_E_NS1_11comp_targetILNS1_3genE4ELNS1_11target_archE910ELNS1_3gpuE8ELNS1_3repE0EEENS1_30default_config_static_selectorELNS0_4arch9wavefront6targetE1EEEvT1_, .Lfunc_end1470-_ZN7rocprim17ROCPRIM_400000_NS6detail17trampoline_kernelINS0_14default_configENS1_25partition_config_selectorILNS1_17partition_subalgoE9EllbEEZZNS1_14partition_implILS5_9ELb0ES3_jPlS8_PNS0_10empty_typeENS0_5tupleIJS8_S9_EEENSB_IJS8_SA_EEENS0_18inequality_wrapperIZN2at6native12_GLOBAL__N_124unique_dim_cuda_templateItEESt5tupleIJNSF_6TensorESK_SK_EERKSK_lbbbEUlllE0_EEPmJS9_EEE10hipError_tPvRmT3_T4_T5_T6_T7_T9_mT8_P12ihipStream_tbDpT10_ENKUlT_T0_E_clISt17integral_constantIbLb1EES1A_EEDaS15_S16_EUlS15_E_NS1_11comp_targetILNS1_3genE4ELNS1_11target_archE910ELNS1_3gpuE8ELNS1_3repE0EEENS1_30default_config_static_selectorELNS0_4arch9wavefront6targetE1EEEvT1_
                                        ; -- End function
	.section	.AMDGPU.csdata,"",@progbits
; Kernel info:
; codeLenInByte = 0
; NumSgprs: 6
; NumVgprs: 0
; NumAgprs: 0
; TotalNumVgprs: 0
; ScratchSize: 0
; MemoryBound: 0
; FloatMode: 240
; IeeeMode: 1
; LDSByteSize: 0 bytes/workgroup (compile time only)
; SGPRBlocks: 0
; VGPRBlocks: 0
; NumSGPRsForWavesPerEU: 6
; NumVGPRsForWavesPerEU: 1
; AccumOffset: 4
; Occupancy: 8
; WaveLimiterHint : 0
; COMPUTE_PGM_RSRC2:SCRATCH_EN: 0
; COMPUTE_PGM_RSRC2:USER_SGPR: 2
; COMPUTE_PGM_RSRC2:TRAP_HANDLER: 0
; COMPUTE_PGM_RSRC2:TGID_X_EN: 1
; COMPUTE_PGM_RSRC2:TGID_Y_EN: 0
; COMPUTE_PGM_RSRC2:TGID_Z_EN: 0
; COMPUTE_PGM_RSRC2:TIDIG_COMP_CNT: 0
; COMPUTE_PGM_RSRC3_GFX90A:ACCUM_OFFSET: 0
; COMPUTE_PGM_RSRC3_GFX90A:TG_SPLIT: 0
	.section	.text._ZN7rocprim17ROCPRIM_400000_NS6detail17trampoline_kernelINS0_14default_configENS1_25partition_config_selectorILNS1_17partition_subalgoE9EllbEEZZNS1_14partition_implILS5_9ELb0ES3_jPlS8_PNS0_10empty_typeENS0_5tupleIJS8_S9_EEENSB_IJS8_SA_EEENS0_18inequality_wrapperIZN2at6native12_GLOBAL__N_124unique_dim_cuda_templateItEESt5tupleIJNSF_6TensorESK_SK_EERKSK_lbbbEUlllE0_EEPmJS9_EEE10hipError_tPvRmT3_T4_T5_T6_T7_T9_mT8_P12ihipStream_tbDpT10_ENKUlT_T0_E_clISt17integral_constantIbLb1EES1A_EEDaS15_S16_EUlS15_E_NS1_11comp_targetILNS1_3genE3ELNS1_11target_archE908ELNS1_3gpuE7ELNS1_3repE0EEENS1_30default_config_static_selectorELNS0_4arch9wavefront6targetE1EEEvT1_,"axG",@progbits,_ZN7rocprim17ROCPRIM_400000_NS6detail17trampoline_kernelINS0_14default_configENS1_25partition_config_selectorILNS1_17partition_subalgoE9EllbEEZZNS1_14partition_implILS5_9ELb0ES3_jPlS8_PNS0_10empty_typeENS0_5tupleIJS8_S9_EEENSB_IJS8_SA_EEENS0_18inequality_wrapperIZN2at6native12_GLOBAL__N_124unique_dim_cuda_templateItEESt5tupleIJNSF_6TensorESK_SK_EERKSK_lbbbEUlllE0_EEPmJS9_EEE10hipError_tPvRmT3_T4_T5_T6_T7_T9_mT8_P12ihipStream_tbDpT10_ENKUlT_T0_E_clISt17integral_constantIbLb1EES1A_EEDaS15_S16_EUlS15_E_NS1_11comp_targetILNS1_3genE3ELNS1_11target_archE908ELNS1_3gpuE7ELNS1_3repE0EEENS1_30default_config_static_selectorELNS0_4arch9wavefront6targetE1EEEvT1_,comdat
	.globl	_ZN7rocprim17ROCPRIM_400000_NS6detail17trampoline_kernelINS0_14default_configENS1_25partition_config_selectorILNS1_17partition_subalgoE9EllbEEZZNS1_14partition_implILS5_9ELb0ES3_jPlS8_PNS0_10empty_typeENS0_5tupleIJS8_S9_EEENSB_IJS8_SA_EEENS0_18inequality_wrapperIZN2at6native12_GLOBAL__N_124unique_dim_cuda_templateItEESt5tupleIJNSF_6TensorESK_SK_EERKSK_lbbbEUlllE0_EEPmJS9_EEE10hipError_tPvRmT3_T4_T5_T6_T7_T9_mT8_P12ihipStream_tbDpT10_ENKUlT_T0_E_clISt17integral_constantIbLb1EES1A_EEDaS15_S16_EUlS15_E_NS1_11comp_targetILNS1_3genE3ELNS1_11target_archE908ELNS1_3gpuE7ELNS1_3repE0EEENS1_30default_config_static_selectorELNS0_4arch9wavefront6targetE1EEEvT1_ ; -- Begin function _ZN7rocprim17ROCPRIM_400000_NS6detail17trampoline_kernelINS0_14default_configENS1_25partition_config_selectorILNS1_17partition_subalgoE9EllbEEZZNS1_14partition_implILS5_9ELb0ES3_jPlS8_PNS0_10empty_typeENS0_5tupleIJS8_S9_EEENSB_IJS8_SA_EEENS0_18inequality_wrapperIZN2at6native12_GLOBAL__N_124unique_dim_cuda_templateItEESt5tupleIJNSF_6TensorESK_SK_EERKSK_lbbbEUlllE0_EEPmJS9_EEE10hipError_tPvRmT3_T4_T5_T6_T7_T9_mT8_P12ihipStream_tbDpT10_ENKUlT_T0_E_clISt17integral_constantIbLb1EES1A_EEDaS15_S16_EUlS15_E_NS1_11comp_targetILNS1_3genE3ELNS1_11target_archE908ELNS1_3gpuE7ELNS1_3repE0EEENS1_30default_config_static_selectorELNS0_4arch9wavefront6targetE1EEEvT1_
	.p2align	8
	.type	_ZN7rocprim17ROCPRIM_400000_NS6detail17trampoline_kernelINS0_14default_configENS1_25partition_config_selectorILNS1_17partition_subalgoE9EllbEEZZNS1_14partition_implILS5_9ELb0ES3_jPlS8_PNS0_10empty_typeENS0_5tupleIJS8_S9_EEENSB_IJS8_SA_EEENS0_18inequality_wrapperIZN2at6native12_GLOBAL__N_124unique_dim_cuda_templateItEESt5tupleIJNSF_6TensorESK_SK_EERKSK_lbbbEUlllE0_EEPmJS9_EEE10hipError_tPvRmT3_T4_T5_T6_T7_T9_mT8_P12ihipStream_tbDpT10_ENKUlT_T0_E_clISt17integral_constantIbLb1EES1A_EEDaS15_S16_EUlS15_E_NS1_11comp_targetILNS1_3genE3ELNS1_11target_archE908ELNS1_3gpuE7ELNS1_3repE0EEENS1_30default_config_static_selectorELNS0_4arch9wavefront6targetE1EEEvT1_,@function
_ZN7rocprim17ROCPRIM_400000_NS6detail17trampoline_kernelINS0_14default_configENS1_25partition_config_selectorILNS1_17partition_subalgoE9EllbEEZZNS1_14partition_implILS5_9ELb0ES3_jPlS8_PNS0_10empty_typeENS0_5tupleIJS8_S9_EEENSB_IJS8_SA_EEENS0_18inequality_wrapperIZN2at6native12_GLOBAL__N_124unique_dim_cuda_templateItEESt5tupleIJNSF_6TensorESK_SK_EERKSK_lbbbEUlllE0_EEPmJS9_EEE10hipError_tPvRmT3_T4_T5_T6_T7_T9_mT8_P12ihipStream_tbDpT10_ENKUlT_T0_E_clISt17integral_constantIbLb1EES1A_EEDaS15_S16_EUlS15_E_NS1_11comp_targetILNS1_3genE3ELNS1_11target_archE908ELNS1_3gpuE7ELNS1_3repE0EEENS1_30default_config_static_selectorELNS0_4arch9wavefront6targetE1EEEvT1_: ; @_ZN7rocprim17ROCPRIM_400000_NS6detail17trampoline_kernelINS0_14default_configENS1_25partition_config_selectorILNS1_17partition_subalgoE9EllbEEZZNS1_14partition_implILS5_9ELb0ES3_jPlS8_PNS0_10empty_typeENS0_5tupleIJS8_S9_EEENSB_IJS8_SA_EEENS0_18inequality_wrapperIZN2at6native12_GLOBAL__N_124unique_dim_cuda_templateItEESt5tupleIJNSF_6TensorESK_SK_EERKSK_lbbbEUlllE0_EEPmJS9_EEE10hipError_tPvRmT3_T4_T5_T6_T7_T9_mT8_P12ihipStream_tbDpT10_ENKUlT_T0_E_clISt17integral_constantIbLb1EES1A_EEDaS15_S16_EUlS15_E_NS1_11comp_targetILNS1_3genE3ELNS1_11target_archE908ELNS1_3gpuE7ELNS1_3repE0EEENS1_30default_config_static_selectorELNS0_4arch9wavefront6targetE1EEEvT1_
; %bb.0:
	.section	.rodata,"a",@progbits
	.p2align	6, 0x0
	.amdhsa_kernel _ZN7rocprim17ROCPRIM_400000_NS6detail17trampoline_kernelINS0_14default_configENS1_25partition_config_selectorILNS1_17partition_subalgoE9EllbEEZZNS1_14partition_implILS5_9ELb0ES3_jPlS8_PNS0_10empty_typeENS0_5tupleIJS8_S9_EEENSB_IJS8_SA_EEENS0_18inequality_wrapperIZN2at6native12_GLOBAL__N_124unique_dim_cuda_templateItEESt5tupleIJNSF_6TensorESK_SK_EERKSK_lbbbEUlllE0_EEPmJS9_EEE10hipError_tPvRmT3_T4_T5_T6_T7_T9_mT8_P12ihipStream_tbDpT10_ENKUlT_T0_E_clISt17integral_constantIbLb1EES1A_EEDaS15_S16_EUlS15_E_NS1_11comp_targetILNS1_3genE3ELNS1_11target_archE908ELNS1_3gpuE7ELNS1_3repE0EEENS1_30default_config_static_selectorELNS0_4arch9wavefront6targetE1EEEvT1_
		.amdhsa_group_segment_fixed_size 0
		.amdhsa_private_segment_fixed_size 0
		.amdhsa_kernarg_size 136
		.amdhsa_user_sgpr_count 2
		.amdhsa_user_sgpr_dispatch_ptr 0
		.amdhsa_user_sgpr_queue_ptr 0
		.amdhsa_user_sgpr_kernarg_segment_ptr 1
		.amdhsa_user_sgpr_dispatch_id 0
		.amdhsa_user_sgpr_kernarg_preload_length 0
		.amdhsa_user_sgpr_kernarg_preload_offset 0
		.amdhsa_user_sgpr_private_segment_size 0
		.amdhsa_uses_dynamic_stack 0
		.amdhsa_enable_private_segment 0
		.amdhsa_system_sgpr_workgroup_id_x 1
		.amdhsa_system_sgpr_workgroup_id_y 0
		.amdhsa_system_sgpr_workgroup_id_z 0
		.amdhsa_system_sgpr_workgroup_info 0
		.amdhsa_system_vgpr_workitem_id 0
		.amdhsa_next_free_vgpr 1
		.amdhsa_next_free_sgpr 0
		.amdhsa_accum_offset 4
		.amdhsa_reserve_vcc 0
		.amdhsa_float_round_mode_32 0
		.amdhsa_float_round_mode_16_64 0
		.amdhsa_float_denorm_mode_32 3
		.amdhsa_float_denorm_mode_16_64 3
		.amdhsa_dx10_clamp 1
		.amdhsa_ieee_mode 1
		.amdhsa_fp16_overflow 0
		.amdhsa_tg_split 0
		.amdhsa_exception_fp_ieee_invalid_op 0
		.amdhsa_exception_fp_denorm_src 0
		.amdhsa_exception_fp_ieee_div_zero 0
		.amdhsa_exception_fp_ieee_overflow 0
		.amdhsa_exception_fp_ieee_underflow 0
		.amdhsa_exception_fp_ieee_inexact 0
		.amdhsa_exception_int_div_zero 0
	.end_amdhsa_kernel
	.section	.text._ZN7rocprim17ROCPRIM_400000_NS6detail17trampoline_kernelINS0_14default_configENS1_25partition_config_selectorILNS1_17partition_subalgoE9EllbEEZZNS1_14partition_implILS5_9ELb0ES3_jPlS8_PNS0_10empty_typeENS0_5tupleIJS8_S9_EEENSB_IJS8_SA_EEENS0_18inequality_wrapperIZN2at6native12_GLOBAL__N_124unique_dim_cuda_templateItEESt5tupleIJNSF_6TensorESK_SK_EERKSK_lbbbEUlllE0_EEPmJS9_EEE10hipError_tPvRmT3_T4_T5_T6_T7_T9_mT8_P12ihipStream_tbDpT10_ENKUlT_T0_E_clISt17integral_constantIbLb1EES1A_EEDaS15_S16_EUlS15_E_NS1_11comp_targetILNS1_3genE3ELNS1_11target_archE908ELNS1_3gpuE7ELNS1_3repE0EEENS1_30default_config_static_selectorELNS0_4arch9wavefront6targetE1EEEvT1_,"axG",@progbits,_ZN7rocprim17ROCPRIM_400000_NS6detail17trampoline_kernelINS0_14default_configENS1_25partition_config_selectorILNS1_17partition_subalgoE9EllbEEZZNS1_14partition_implILS5_9ELb0ES3_jPlS8_PNS0_10empty_typeENS0_5tupleIJS8_S9_EEENSB_IJS8_SA_EEENS0_18inequality_wrapperIZN2at6native12_GLOBAL__N_124unique_dim_cuda_templateItEESt5tupleIJNSF_6TensorESK_SK_EERKSK_lbbbEUlllE0_EEPmJS9_EEE10hipError_tPvRmT3_T4_T5_T6_T7_T9_mT8_P12ihipStream_tbDpT10_ENKUlT_T0_E_clISt17integral_constantIbLb1EES1A_EEDaS15_S16_EUlS15_E_NS1_11comp_targetILNS1_3genE3ELNS1_11target_archE908ELNS1_3gpuE7ELNS1_3repE0EEENS1_30default_config_static_selectorELNS0_4arch9wavefront6targetE1EEEvT1_,comdat
.Lfunc_end1471:
	.size	_ZN7rocprim17ROCPRIM_400000_NS6detail17trampoline_kernelINS0_14default_configENS1_25partition_config_selectorILNS1_17partition_subalgoE9EllbEEZZNS1_14partition_implILS5_9ELb0ES3_jPlS8_PNS0_10empty_typeENS0_5tupleIJS8_S9_EEENSB_IJS8_SA_EEENS0_18inequality_wrapperIZN2at6native12_GLOBAL__N_124unique_dim_cuda_templateItEESt5tupleIJNSF_6TensorESK_SK_EERKSK_lbbbEUlllE0_EEPmJS9_EEE10hipError_tPvRmT3_T4_T5_T6_T7_T9_mT8_P12ihipStream_tbDpT10_ENKUlT_T0_E_clISt17integral_constantIbLb1EES1A_EEDaS15_S16_EUlS15_E_NS1_11comp_targetILNS1_3genE3ELNS1_11target_archE908ELNS1_3gpuE7ELNS1_3repE0EEENS1_30default_config_static_selectorELNS0_4arch9wavefront6targetE1EEEvT1_, .Lfunc_end1471-_ZN7rocprim17ROCPRIM_400000_NS6detail17trampoline_kernelINS0_14default_configENS1_25partition_config_selectorILNS1_17partition_subalgoE9EllbEEZZNS1_14partition_implILS5_9ELb0ES3_jPlS8_PNS0_10empty_typeENS0_5tupleIJS8_S9_EEENSB_IJS8_SA_EEENS0_18inequality_wrapperIZN2at6native12_GLOBAL__N_124unique_dim_cuda_templateItEESt5tupleIJNSF_6TensorESK_SK_EERKSK_lbbbEUlllE0_EEPmJS9_EEE10hipError_tPvRmT3_T4_T5_T6_T7_T9_mT8_P12ihipStream_tbDpT10_ENKUlT_T0_E_clISt17integral_constantIbLb1EES1A_EEDaS15_S16_EUlS15_E_NS1_11comp_targetILNS1_3genE3ELNS1_11target_archE908ELNS1_3gpuE7ELNS1_3repE0EEENS1_30default_config_static_selectorELNS0_4arch9wavefront6targetE1EEEvT1_
                                        ; -- End function
	.section	.AMDGPU.csdata,"",@progbits
; Kernel info:
; codeLenInByte = 0
; NumSgprs: 6
; NumVgprs: 0
; NumAgprs: 0
; TotalNumVgprs: 0
; ScratchSize: 0
; MemoryBound: 0
; FloatMode: 240
; IeeeMode: 1
; LDSByteSize: 0 bytes/workgroup (compile time only)
; SGPRBlocks: 0
; VGPRBlocks: 0
; NumSGPRsForWavesPerEU: 6
; NumVGPRsForWavesPerEU: 1
; AccumOffset: 4
; Occupancy: 8
; WaveLimiterHint : 0
; COMPUTE_PGM_RSRC2:SCRATCH_EN: 0
; COMPUTE_PGM_RSRC2:USER_SGPR: 2
; COMPUTE_PGM_RSRC2:TRAP_HANDLER: 0
; COMPUTE_PGM_RSRC2:TGID_X_EN: 1
; COMPUTE_PGM_RSRC2:TGID_Y_EN: 0
; COMPUTE_PGM_RSRC2:TGID_Z_EN: 0
; COMPUTE_PGM_RSRC2:TIDIG_COMP_CNT: 0
; COMPUTE_PGM_RSRC3_GFX90A:ACCUM_OFFSET: 0
; COMPUTE_PGM_RSRC3_GFX90A:TG_SPLIT: 0
	.section	.text._ZN7rocprim17ROCPRIM_400000_NS6detail17trampoline_kernelINS0_14default_configENS1_25partition_config_selectorILNS1_17partition_subalgoE9EllbEEZZNS1_14partition_implILS5_9ELb0ES3_jPlS8_PNS0_10empty_typeENS0_5tupleIJS8_S9_EEENSB_IJS8_SA_EEENS0_18inequality_wrapperIZN2at6native12_GLOBAL__N_124unique_dim_cuda_templateItEESt5tupleIJNSF_6TensorESK_SK_EERKSK_lbbbEUlllE0_EEPmJS9_EEE10hipError_tPvRmT3_T4_T5_T6_T7_T9_mT8_P12ihipStream_tbDpT10_ENKUlT_T0_E_clISt17integral_constantIbLb1EES1A_EEDaS15_S16_EUlS15_E_NS1_11comp_targetILNS1_3genE2ELNS1_11target_archE906ELNS1_3gpuE6ELNS1_3repE0EEENS1_30default_config_static_selectorELNS0_4arch9wavefront6targetE1EEEvT1_,"axG",@progbits,_ZN7rocprim17ROCPRIM_400000_NS6detail17trampoline_kernelINS0_14default_configENS1_25partition_config_selectorILNS1_17partition_subalgoE9EllbEEZZNS1_14partition_implILS5_9ELb0ES3_jPlS8_PNS0_10empty_typeENS0_5tupleIJS8_S9_EEENSB_IJS8_SA_EEENS0_18inequality_wrapperIZN2at6native12_GLOBAL__N_124unique_dim_cuda_templateItEESt5tupleIJNSF_6TensorESK_SK_EERKSK_lbbbEUlllE0_EEPmJS9_EEE10hipError_tPvRmT3_T4_T5_T6_T7_T9_mT8_P12ihipStream_tbDpT10_ENKUlT_T0_E_clISt17integral_constantIbLb1EES1A_EEDaS15_S16_EUlS15_E_NS1_11comp_targetILNS1_3genE2ELNS1_11target_archE906ELNS1_3gpuE6ELNS1_3repE0EEENS1_30default_config_static_selectorELNS0_4arch9wavefront6targetE1EEEvT1_,comdat
	.globl	_ZN7rocprim17ROCPRIM_400000_NS6detail17trampoline_kernelINS0_14default_configENS1_25partition_config_selectorILNS1_17partition_subalgoE9EllbEEZZNS1_14partition_implILS5_9ELb0ES3_jPlS8_PNS0_10empty_typeENS0_5tupleIJS8_S9_EEENSB_IJS8_SA_EEENS0_18inequality_wrapperIZN2at6native12_GLOBAL__N_124unique_dim_cuda_templateItEESt5tupleIJNSF_6TensorESK_SK_EERKSK_lbbbEUlllE0_EEPmJS9_EEE10hipError_tPvRmT3_T4_T5_T6_T7_T9_mT8_P12ihipStream_tbDpT10_ENKUlT_T0_E_clISt17integral_constantIbLb1EES1A_EEDaS15_S16_EUlS15_E_NS1_11comp_targetILNS1_3genE2ELNS1_11target_archE906ELNS1_3gpuE6ELNS1_3repE0EEENS1_30default_config_static_selectorELNS0_4arch9wavefront6targetE1EEEvT1_ ; -- Begin function _ZN7rocprim17ROCPRIM_400000_NS6detail17trampoline_kernelINS0_14default_configENS1_25partition_config_selectorILNS1_17partition_subalgoE9EllbEEZZNS1_14partition_implILS5_9ELb0ES3_jPlS8_PNS0_10empty_typeENS0_5tupleIJS8_S9_EEENSB_IJS8_SA_EEENS0_18inequality_wrapperIZN2at6native12_GLOBAL__N_124unique_dim_cuda_templateItEESt5tupleIJNSF_6TensorESK_SK_EERKSK_lbbbEUlllE0_EEPmJS9_EEE10hipError_tPvRmT3_T4_T5_T6_T7_T9_mT8_P12ihipStream_tbDpT10_ENKUlT_T0_E_clISt17integral_constantIbLb1EES1A_EEDaS15_S16_EUlS15_E_NS1_11comp_targetILNS1_3genE2ELNS1_11target_archE906ELNS1_3gpuE6ELNS1_3repE0EEENS1_30default_config_static_selectorELNS0_4arch9wavefront6targetE1EEEvT1_
	.p2align	8
	.type	_ZN7rocprim17ROCPRIM_400000_NS6detail17trampoline_kernelINS0_14default_configENS1_25partition_config_selectorILNS1_17partition_subalgoE9EllbEEZZNS1_14partition_implILS5_9ELb0ES3_jPlS8_PNS0_10empty_typeENS0_5tupleIJS8_S9_EEENSB_IJS8_SA_EEENS0_18inequality_wrapperIZN2at6native12_GLOBAL__N_124unique_dim_cuda_templateItEESt5tupleIJNSF_6TensorESK_SK_EERKSK_lbbbEUlllE0_EEPmJS9_EEE10hipError_tPvRmT3_T4_T5_T6_T7_T9_mT8_P12ihipStream_tbDpT10_ENKUlT_T0_E_clISt17integral_constantIbLb1EES1A_EEDaS15_S16_EUlS15_E_NS1_11comp_targetILNS1_3genE2ELNS1_11target_archE906ELNS1_3gpuE6ELNS1_3repE0EEENS1_30default_config_static_selectorELNS0_4arch9wavefront6targetE1EEEvT1_,@function
_ZN7rocprim17ROCPRIM_400000_NS6detail17trampoline_kernelINS0_14default_configENS1_25partition_config_selectorILNS1_17partition_subalgoE9EllbEEZZNS1_14partition_implILS5_9ELb0ES3_jPlS8_PNS0_10empty_typeENS0_5tupleIJS8_S9_EEENSB_IJS8_SA_EEENS0_18inequality_wrapperIZN2at6native12_GLOBAL__N_124unique_dim_cuda_templateItEESt5tupleIJNSF_6TensorESK_SK_EERKSK_lbbbEUlllE0_EEPmJS9_EEE10hipError_tPvRmT3_T4_T5_T6_T7_T9_mT8_P12ihipStream_tbDpT10_ENKUlT_T0_E_clISt17integral_constantIbLb1EES1A_EEDaS15_S16_EUlS15_E_NS1_11comp_targetILNS1_3genE2ELNS1_11target_archE906ELNS1_3gpuE6ELNS1_3repE0EEENS1_30default_config_static_selectorELNS0_4arch9wavefront6targetE1EEEvT1_: ; @_ZN7rocprim17ROCPRIM_400000_NS6detail17trampoline_kernelINS0_14default_configENS1_25partition_config_selectorILNS1_17partition_subalgoE9EllbEEZZNS1_14partition_implILS5_9ELb0ES3_jPlS8_PNS0_10empty_typeENS0_5tupleIJS8_S9_EEENSB_IJS8_SA_EEENS0_18inequality_wrapperIZN2at6native12_GLOBAL__N_124unique_dim_cuda_templateItEESt5tupleIJNSF_6TensorESK_SK_EERKSK_lbbbEUlllE0_EEPmJS9_EEE10hipError_tPvRmT3_T4_T5_T6_T7_T9_mT8_P12ihipStream_tbDpT10_ENKUlT_T0_E_clISt17integral_constantIbLb1EES1A_EEDaS15_S16_EUlS15_E_NS1_11comp_targetILNS1_3genE2ELNS1_11target_archE906ELNS1_3gpuE6ELNS1_3repE0EEENS1_30default_config_static_selectorELNS0_4arch9wavefront6targetE1EEEvT1_
; %bb.0:
	.section	.rodata,"a",@progbits
	.p2align	6, 0x0
	.amdhsa_kernel _ZN7rocprim17ROCPRIM_400000_NS6detail17trampoline_kernelINS0_14default_configENS1_25partition_config_selectorILNS1_17partition_subalgoE9EllbEEZZNS1_14partition_implILS5_9ELb0ES3_jPlS8_PNS0_10empty_typeENS0_5tupleIJS8_S9_EEENSB_IJS8_SA_EEENS0_18inequality_wrapperIZN2at6native12_GLOBAL__N_124unique_dim_cuda_templateItEESt5tupleIJNSF_6TensorESK_SK_EERKSK_lbbbEUlllE0_EEPmJS9_EEE10hipError_tPvRmT3_T4_T5_T6_T7_T9_mT8_P12ihipStream_tbDpT10_ENKUlT_T0_E_clISt17integral_constantIbLb1EES1A_EEDaS15_S16_EUlS15_E_NS1_11comp_targetILNS1_3genE2ELNS1_11target_archE906ELNS1_3gpuE6ELNS1_3repE0EEENS1_30default_config_static_selectorELNS0_4arch9wavefront6targetE1EEEvT1_
		.amdhsa_group_segment_fixed_size 0
		.amdhsa_private_segment_fixed_size 0
		.amdhsa_kernarg_size 136
		.amdhsa_user_sgpr_count 2
		.amdhsa_user_sgpr_dispatch_ptr 0
		.amdhsa_user_sgpr_queue_ptr 0
		.amdhsa_user_sgpr_kernarg_segment_ptr 1
		.amdhsa_user_sgpr_dispatch_id 0
		.amdhsa_user_sgpr_kernarg_preload_length 0
		.amdhsa_user_sgpr_kernarg_preload_offset 0
		.amdhsa_user_sgpr_private_segment_size 0
		.amdhsa_uses_dynamic_stack 0
		.amdhsa_enable_private_segment 0
		.amdhsa_system_sgpr_workgroup_id_x 1
		.amdhsa_system_sgpr_workgroup_id_y 0
		.amdhsa_system_sgpr_workgroup_id_z 0
		.amdhsa_system_sgpr_workgroup_info 0
		.amdhsa_system_vgpr_workitem_id 0
		.amdhsa_next_free_vgpr 1
		.amdhsa_next_free_sgpr 0
		.amdhsa_accum_offset 4
		.amdhsa_reserve_vcc 0
		.amdhsa_float_round_mode_32 0
		.amdhsa_float_round_mode_16_64 0
		.amdhsa_float_denorm_mode_32 3
		.amdhsa_float_denorm_mode_16_64 3
		.amdhsa_dx10_clamp 1
		.amdhsa_ieee_mode 1
		.amdhsa_fp16_overflow 0
		.amdhsa_tg_split 0
		.amdhsa_exception_fp_ieee_invalid_op 0
		.amdhsa_exception_fp_denorm_src 0
		.amdhsa_exception_fp_ieee_div_zero 0
		.amdhsa_exception_fp_ieee_overflow 0
		.amdhsa_exception_fp_ieee_underflow 0
		.amdhsa_exception_fp_ieee_inexact 0
		.amdhsa_exception_int_div_zero 0
	.end_amdhsa_kernel
	.section	.text._ZN7rocprim17ROCPRIM_400000_NS6detail17trampoline_kernelINS0_14default_configENS1_25partition_config_selectorILNS1_17partition_subalgoE9EllbEEZZNS1_14partition_implILS5_9ELb0ES3_jPlS8_PNS0_10empty_typeENS0_5tupleIJS8_S9_EEENSB_IJS8_SA_EEENS0_18inequality_wrapperIZN2at6native12_GLOBAL__N_124unique_dim_cuda_templateItEESt5tupleIJNSF_6TensorESK_SK_EERKSK_lbbbEUlllE0_EEPmJS9_EEE10hipError_tPvRmT3_T4_T5_T6_T7_T9_mT8_P12ihipStream_tbDpT10_ENKUlT_T0_E_clISt17integral_constantIbLb1EES1A_EEDaS15_S16_EUlS15_E_NS1_11comp_targetILNS1_3genE2ELNS1_11target_archE906ELNS1_3gpuE6ELNS1_3repE0EEENS1_30default_config_static_selectorELNS0_4arch9wavefront6targetE1EEEvT1_,"axG",@progbits,_ZN7rocprim17ROCPRIM_400000_NS6detail17trampoline_kernelINS0_14default_configENS1_25partition_config_selectorILNS1_17partition_subalgoE9EllbEEZZNS1_14partition_implILS5_9ELb0ES3_jPlS8_PNS0_10empty_typeENS0_5tupleIJS8_S9_EEENSB_IJS8_SA_EEENS0_18inequality_wrapperIZN2at6native12_GLOBAL__N_124unique_dim_cuda_templateItEESt5tupleIJNSF_6TensorESK_SK_EERKSK_lbbbEUlllE0_EEPmJS9_EEE10hipError_tPvRmT3_T4_T5_T6_T7_T9_mT8_P12ihipStream_tbDpT10_ENKUlT_T0_E_clISt17integral_constantIbLb1EES1A_EEDaS15_S16_EUlS15_E_NS1_11comp_targetILNS1_3genE2ELNS1_11target_archE906ELNS1_3gpuE6ELNS1_3repE0EEENS1_30default_config_static_selectorELNS0_4arch9wavefront6targetE1EEEvT1_,comdat
.Lfunc_end1472:
	.size	_ZN7rocprim17ROCPRIM_400000_NS6detail17trampoline_kernelINS0_14default_configENS1_25partition_config_selectorILNS1_17partition_subalgoE9EllbEEZZNS1_14partition_implILS5_9ELb0ES3_jPlS8_PNS0_10empty_typeENS0_5tupleIJS8_S9_EEENSB_IJS8_SA_EEENS0_18inequality_wrapperIZN2at6native12_GLOBAL__N_124unique_dim_cuda_templateItEESt5tupleIJNSF_6TensorESK_SK_EERKSK_lbbbEUlllE0_EEPmJS9_EEE10hipError_tPvRmT3_T4_T5_T6_T7_T9_mT8_P12ihipStream_tbDpT10_ENKUlT_T0_E_clISt17integral_constantIbLb1EES1A_EEDaS15_S16_EUlS15_E_NS1_11comp_targetILNS1_3genE2ELNS1_11target_archE906ELNS1_3gpuE6ELNS1_3repE0EEENS1_30default_config_static_selectorELNS0_4arch9wavefront6targetE1EEEvT1_, .Lfunc_end1472-_ZN7rocprim17ROCPRIM_400000_NS6detail17trampoline_kernelINS0_14default_configENS1_25partition_config_selectorILNS1_17partition_subalgoE9EllbEEZZNS1_14partition_implILS5_9ELb0ES3_jPlS8_PNS0_10empty_typeENS0_5tupleIJS8_S9_EEENSB_IJS8_SA_EEENS0_18inequality_wrapperIZN2at6native12_GLOBAL__N_124unique_dim_cuda_templateItEESt5tupleIJNSF_6TensorESK_SK_EERKSK_lbbbEUlllE0_EEPmJS9_EEE10hipError_tPvRmT3_T4_T5_T6_T7_T9_mT8_P12ihipStream_tbDpT10_ENKUlT_T0_E_clISt17integral_constantIbLb1EES1A_EEDaS15_S16_EUlS15_E_NS1_11comp_targetILNS1_3genE2ELNS1_11target_archE906ELNS1_3gpuE6ELNS1_3repE0EEENS1_30default_config_static_selectorELNS0_4arch9wavefront6targetE1EEEvT1_
                                        ; -- End function
	.section	.AMDGPU.csdata,"",@progbits
; Kernel info:
; codeLenInByte = 0
; NumSgprs: 6
; NumVgprs: 0
; NumAgprs: 0
; TotalNumVgprs: 0
; ScratchSize: 0
; MemoryBound: 0
; FloatMode: 240
; IeeeMode: 1
; LDSByteSize: 0 bytes/workgroup (compile time only)
; SGPRBlocks: 0
; VGPRBlocks: 0
; NumSGPRsForWavesPerEU: 6
; NumVGPRsForWavesPerEU: 1
; AccumOffset: 4
; Occupancy: 8
; WaveLimiterHint : 0
; COMPUTE_PGM_RSRC2:SCRATCH_EN: 0
; COMPUTE_PGM_RSRC2:USER_SGPR: 2
; COMPUTE_PGM_RSRC2:TRAP_HANDLER: 0
; COMPUTE_PGM_RSRC2:TGID_X_EN: 1
; COMPUTE_PGM_RSRC2:TGID_Y_EN: 0
; COMPUTE_PGM_RSRC2:TGID_Z_EN: 0
; COMPUTE_PGM_RSRC2:TIDIG_COMP_CNT: 0
; COMPUTE_PGM_RSRC3_GFX90A:ACCUM_OFFSET: 0
; COMPUTE_PGM_RSRC3_GFX90A:TG_SPLIT: 0
	.section	.text._ZN7rocprim17ROCPRIM_400000_NS6detail17trampoline_kernelINS0_14default_configENS1_25partition_config_selectorILNS1_17partition_subalgoE9EllbEEZZNS1_14partition_implILS5_9ELb0ES3_jPlS8_PNS0_10empty_typeENS0_5tupleIJS8_S9_EEENSB_IJS8_SA_EEENS0_18inequality_wrapperIZN2at6native12_GLOBAL__N_124unique_dim_cuda_templateItEESt5tupleIJNSF_6TensorESK_SK_EERKSK_lbbbEUlllE0_EEPmJS9_EEE10hipError_tPvRmT3_T4_T5_T6_T7_T9_mT8_P12ihipStream_tbDpT10_ENKUlT_T0_E_clISt17integral_constantIbLb1EES1A_EEDaS15_S16_EUlS15_E_NS1_11comp_targetILNS1_3genE10ELNS1_11target_archE1200ELNS1_3gpuE4ELNS1_3repE0EEENS1_30default_config_static_selectorELNS0_4arch9wavefront6targetE1EEEvT1_,"axG",@progbits,_ZN7rocprim17ROCPRIM_400000_NS6detail17trampoline_kernelINS0_14default_configENS1_25partition_config_selectorILNS1_17partition_subalgoE9EllbEEZZNS1_14partition_implILS5_9ELb0ES3_jPlS8_PNS0_10empty_typeENS0_5tupleIJS8_S9_EEENSB_IJS8_SA_EEENS0_18inequality_wrapperIZN2at6native12_GLOBAL__N_124unique_dim_cuda_templateItEESt5tupleIJNSF_6TensorESK_SK_EERKSK_lbbbEUlllE0_EEPmJS9_EEE10hipError_tPvRmT3_T4_T5_T6_T7_T9_mT8_P12ihipStream_tbDpT10_ENKUlT_T0_E_clISt17integral_constantIbLb1EES1A_EEDaS15_S16_EUlS15_E_NS1_11comp_targetILNS1_3genE10ELNS1_11target_archE1200ELNS1_3gpuE4ELNS1_3repE0EEENS1_30default_config_static_selectorELNS0_4arch9wavefront6targetE1EEEvT1_,comdat
	.globl	_ZN7rocprim17ROCPRIM_400000_NS6detail17trampoline_kernelINS0_14default_configENS1_25partition_config_selectorILNS1_17partition_subalgoE9EllbEEZZNS1_14partition_implILS5_9ELb0ES3_jPlS8_PNS0_10empty_typeENS0_5tupleIJS8_S9_EEENSB_IJS8_SA_EEENS0_18inequality_wrapperIZN2at6native12_GLOBAL__N_124unique_dim_cuda_templateItEESt5tupleIJNSF_6TensorESK_SK_EERKSK_lbbbEUlllE0_EEPmJS9_EEE10hipError_tPvRmT3_T4_T5_T6_T7_T9_mT8_P12ihipStream_tbDpT10_ENKUlT_T0_E_clISt17integral_constantIbLb1EES1A_EEDaS15_S16_EUlS15_E_NS1_11comp_targetILNS1_3genE10ELNS1_11target_archE1200ELNS1_3gpuE4ELNS1_3repE0EEENS1_30default_config_static_selectorELNS0_4arch9wavefront6targetE1EEEvT1_ ; -- Begin function _ZN7rocprim17ROCPRIM_400000_NS6detail17trampoline_kernelINS0_14default_configENS1_25partition_config_selectorILNS1_17partition_subalgoE9EllbEEZZNS1_14partition_implILS5_9ELb0ES3_jPlS8_PNS0_10empty_typeENS0_5tupleIJS8_S9_EEENSB_IJS8_SA_EEENS0_18inequality_wrapperIZN2at6native12_GLOBAL__N_124unique_dim_cuda_templateItEESt5tupleIJNSF_6TensorESK_SK_EERKSK_lbbbEUlllE0_EEPmJS9_EEE10hipError_tPvRmT3_T4_T5_T6_T7_T9_mT8_P12ihipStream_tbDpT10_ENKUlT_T0_E_clISt17integral_constantIbLb1EES1A_EEDaS15_S16_EUlS15_E_NS1_11comp_targetILNS1_3genE10ELNS1_11target_archE1200ELNS1_3gpuE4ELNS1_3repE0EEENS1_30default_config_static_selectorELNS0_4arch9wavefront6targetE1EEEvT1_
	.p2align	8
	.type	_ZN7rocprim17ROCPRIM_400000_NS6detail17trampoline_kernelINS0_14default_configENS1_25partition_config_selectorILNS1_17partition_subalgoE9EllbEEZZNS1_14partition_implILS5_9ELb0ES3_jPlS8_PNS0_10empty_typeENS0_5tupleIJS8_S9_EEENSB_IJS8_SA_EEENS0_18inequality_wrapperIZN2at6native12_GLOBAL__N_124unique_dim_cuda_templateItEESt5tupleIJNSF_6TensorESK_SK_EERKSK_lbbbEUlllE0_EEPmJS9_EEE10hipError_tPvRmT3_T4_T5_T6_T7_T9_mT8_P12ihipStream_tbDpT10_ENKUlT_T0_E_clISt17integral_constantIbLb1EES1A_EEDaS15_S16_EUlS15_E_NS1_11comp_targetILNS1_3genE10ELNS1_11target_archE1200ELNS1_3gpuE4ELNS1_3repE0EEENS1_30default_config_static_selectorELNS0_4arch9wavefront6targetE1EEEvT1_,@function
_ZN7rocprim17ROCPRIM_400000_NS6detail17trampoline_kernelINS0_14default_configENS1_25partition_config_selectorILNS1_17partition_subalgoE9EllbEEZZNS1_14partition_implILS5_9ELb0ES3_jPlS8_PNS0_10empty_typeENS0_5tupleIJS8_S9_EEENSB_IJS8_SA_EEENS0_18inequality_wrapperIZN2at6native12_GLOBAL__N_124unique_dim_cuda_templateItEESt5tupleIJNSF_6TensorESK_SK_EERKSK_lbbbEUlllE0_EEPmJS9_EEE10hipError_tPvRmT3_T4_T5_T6_T7_T9_mT8_P12ihipStream_tbDpT10_ENKUlT_T0_E_clISt17integral_constantIbLb1EES1A_EEDaS15_S16_EUlS15_E_NS1_11comp_targetILNS1_3genE10ELNS1_11target_archE1200ELNS1_3gpuE4ELNS1_3repE0EEENS1_30default_config_static_selectorELNS0_4arch9wavefront6targetE1EEEvT1_: ; @_ZN7rocprim17ROCPRIM_400000_NS6detail17trampoline_kernelINS0_14default_configENS1_25partition_config_selectorILNS1_17partition_subalgoE9EllbEEZZNS1_14partition_implILS5_9ELb0ES3_jPlS8_PNS0_10empty_typeENS0_5tupleIJS8_S9_EEENSB_IJS8_SA_EEENS0_18inequality_wrapperIZN2at6native12_GLOBAL__N_124unique_dim_cuda_templateItEESt5tupleIJNSF_6TensorESK_SK_EERKSK_lbbbEUlllE0_EEPmJS9_EEE10hipError_tPvRmT3_T4_T5_T6_T7_T9_mT8_P12ihipStream_tbDpT10_ENKUlT_T0_E_clISt17integral_constantIbLb1EES1A_EEDaS15_S16_EUlS15_E_NS1_11comp_targetILNS1_3genE10ELNS1_11target_archE1200ELNS1_3gpuE4ELNS1_3repE0EEENS1_30default_config_static_selectorELNS0_4arch9wavefront6targetE1EEEvT1_
; %bb.0:
	.section	.rodata,"a",@progbits
	.p2align	6, 0x0
	.amdhsa_kernel _ZN7rocprim17ROCPRIM_400000_NS6detail17trampoline_kernelINS0_14default_configENS1_25partition_config_selectorILNS1_17partition_subalgoE9EllbEEZZNS1_14partition_implILS5_9ELb0ES3_jPlS8_PNS0_10empty_typeENS0_5tupleIJS8_S9_EEENSB_IJS8_SA_EEENS0_18inequality_wrapperIZN2at6native12_GLOBAL__N_124unique_dim_cuda_templateItEESt5tupleIJNSF_6TensorESK_SK_EERKSK_lbbbEUlllE0_EEPmJS9_EEE10hipError_tPvRmT3_T4_T5_T6_T7_T9_mT8_P12ihipStream_tbDpT10_ENKUlT_T0_E_clISt17integral_constantIbLb1EES1A_EEDaS15_S16_EUlS15_E_NS1_11comp_targetILNS1_3genE10ELNS1_11target_archE1200ELNS1_3gpuE4ELNS1_3repE0EEENS1_30default_config_static_selectorELNS0_4arch9wavefront6targetE1EEEvT1_
		.amdhsa_group_segment_fixed_size 0
		.amdhsa_private_segment_fixed_size 0
		.amdhsa_kernarg_size 136
		.amdhsa_user_sgpr_count 2
		.amdhsa_user_sgpr_dispatch_ptr 0
		.amdhsa_user_sgpr_queue_ptr 0
		.amdhsa_user_sgpr_kernarg_segment_ptr 1
		.amdhsa_user_sgpr_dispatch_id 0
		.amdhsa_user_sgpr_kernarg_preload_length 0
		.amdhsa_user_sgpr_kernarg_preload_offset 0
		.amdhsa_user_sgpr_private_segment_size 0
		.amdhsa_uses_dynamic_stack 0
		.amdhsa_enable_private_segment 0
		.amdhsa_system_sgpr_workgroup_id_x 1
		.amdhsa_system_sgpr_workgroup_id_y 0
		.amdhsa_system_sgpr_workgroup_id_z 0
		.amdhsa_system_sgpr_workgroup_info 0
		.amdhsa_system_vgpr_workitem_id 0
		.amdhsa_next_free_vgpr 1
		.amdhsa_next_free_sgpr 0
		.amdhsa_accum_offset 4
		.amdhsa_reserve_vcc 0
		.amdhsa_float_round_mode_32 0
		.amdhsa_float_round_mode_16_64 0
		.amdhsa_float_denorm_mode_32 3
		.amdhsa_float_denorm_mode_16_64 3
		.amdhsa_dx10_clamp 1
		.amdhsa_ieee_mode 1
		.amdhsa_fp16_overflow 0
		.amdhsa_tg_split 0
		.amdhsa_exception_fp_ieee_invalid_op 0
		.amdhsa_exception_fp_denorm_src 0
		.amdhsa_exception_fp_ieee_div_zero 0
		.amdhsa_exception_fp_ieee_overflow 0
		.amdhsa_exception_fp_ieee_underflow 0
		.amdhsa_exception_fp_ieee_inexact 0
		.amdhsa_exception_int_div_zero 0
	.end_amdhsa_kernel
	.section	.text._ZN7rocprim17ROCPRIM_400000_NS6detail17trampoline_kernelINS0_14default_configENS1_25partition_config_selectorILNS1_17partition_subalgoE9EllbEEZZNS1_14partition_implILS5_9ELb0ES3_jPlS8_PNS0_10empty_typeENS0_5tupleIJS8_S9_EEENSB_IJS8_SA_EEENS0_18inequality_wrapperIZN2at6native12_GLOBAL__N_124unique_dim_cuda_templateItEESt5tupleIJNSF_6TensorESK_SK_EERKSK_lbbbEUlllE0_EEPmJS9_EEE10hipError_tPvRmT3_T4_T5_T6_T7_T9_mT8_P12ihipStream_tbDpT10_ENKUlT_T0_E_clISt17integral_constantIbLb1EES1A_EEDaS15_S16_EUlS15_E_NS1_11comp_targetILNS1_3genE10ELNS1_11target_archE1200ELNS1_3gpuE4ELNS1_3repE0EEENS1_30default_config_static_selectorELNS0_4arch9wavefront6targetE1EEEvT1_,"axG",@progbits,_ZN7rocprim17ROCPRIM_400000_NS6detail17trampoline_kernelINS0_14default_configENS1_25partition_config_selectorILNS1_17partition_subalgoE9EllbEEZZNS1_14partition_implILS5_9ELb0ES3_jPlS8_PNS0_10empty_typeENS0_5tupleIJS8_S9_EEENSB_IJS8_SA_EEENS0_18inequality_wrapperIZN2at6native12_GLOBAL__N_124unique_dim_cuda_templateItEESt5tupleIJNSF_6TensorESK_SK_EERKSK_lbbbEUlllE0_EEPmJS9_EEE10hipError_tPvRmT3_T4_T5_T6_T7_T9_mT8_P12ihipStream_tbDpT10_ENKUlT_T0_E_clISt17integral_constantIbLb1EES1A_EEDaS15_S16_EUlS15_E_NS1_11comp_targetILNS1_3genE10ELNS1_11target_archE1200ELNS1_3gpuE4ELNS1_3repE0EEENS1_30default_config_static_selectorELNS0_4arch9wavefront6targetE1EEEvT1_,comdat
.Lfunc_end1473:
	.size	_ZN7rocprim17ROCPRIM_400000_NS6detail17trampoline_kernelINS0_14default_configENS1_25partition_config_selectorILNS1_17partition_subalgoE9EllbEEZZNS1_14partition_implILS5_9ELb0ES3_jPlS8_PNS0_10empty_typeENS0_5tupleIJS8_S9_EEENSB_IJS8_SA_EEENS0_18inequality_wrapperIZN2at6native12_GLOBAL__N_124unique_dim_cuda_templateItEESt5tupleIJNSF_6TensorESK_SK_EERKSK_lbbbEUlllE0_EEPmJS9_EEE10hipError_tPvRmT3_T4_T5_T6_T7_T9_mT8_P12ihipStream_tbDpT10_ENKUlT_T0_E_clISt17integral_constantIbLb1EES1A_EEDaS15_S16_EUlS15_E_NS1_11comp_targetILNS1_3genE10ELNS1_11target_archE1200ELNS1_3gpuE4ELNS1_3repE0EEENS1_30default_config_static_selectorELNS0_4arch9wavefront6targetE1EEEvT1_, .Lfunc_end1473-_ZN7rocprim17ROCPRIM_400000_NS6detail17trampoline_kernelINS0_14default_configENS1_25partition_config_selectorILNS1_17partition_subalgoE9EllbEEZZNS1_14partition_implILS5_9ELb0ES3_jPlS8_PNS0_10empty_typeENS0_5tupleIJS8_S9_EEENSB_IJS8_SA_EEENS0_18inequality_wrapperIZN2at6native12_GLOBAL__N_124unique_dim_cuda_templateItEESt5tupleIJNSF_6TensorESK_SK_EERKSK_lbbbEUlllE0_EEPmJS9_EEE10hipError_tPvRmT3_T4_T5_T6_T7_T9_mT8_P12ihipStream_tbDpT10_ENKUlT_T0_E_clISt17integral_constantIbLb1EES1A_EEDaS15_S16_EUlS15_E_NS1_11comp_targetILNS1_3genE10ELNS1_11target_archE1200ELNS1_3gpuE4ELNS1_3repE0EEENS1_30default_config_static_selectorELNS0_4arch9wavefront6targetE1EEEvT1_
                                        ; -- End function
	.section	.AMDGPU.csdata,"",@progbits
; Kernel info:
; codeLenInByte = 0
; NumSgprs: 6
; NumVgprs: 0
; NumAgprs: 0
; TotalNumVgprs: 0
; ScratchSize: 0
; MemoryBound: 0
; FloatMode: 240
; IeeeMode: 1
; LDSByteSize: 0 bytes/workgroup (compile time only)
; SGPRBlocks: 0
; VGPRBlocks: 0
; NumSGPRsForWavesPerEU: 6
; NumVGPRsForWavesPerEU: 1
; AccumOffset: 4
; Occupancy: 8
; WaveLimiterHint : 0
; COMPUTE_PGM_RSRC2:SCRATCH_EN: 0
; COMPUTE_PGM_RSRC2:USER_SGPR: 2
; COMPUTE_PGM_RSRC2:TRAP_HANDLER: 0
; COMPUTE_PGM_RSRC2:TGID_X_EN: 1
; COMPUTE_PGM_RSRC2:TGID_Y_EN: 0
; COMPUTE_PGM_RSRC2:TGID_Z_EN: 0
; COMPUTE_PGM_RSRC2:TIDIG_COMP_CNT: 0
; COMPUTE_PGM_RSRC3_GFX90A:ACCUM_OFFSET: 0
; COMPUTE_PGM_RSRC3_GFX90A:TG_SPLIT: 0
	.section	.text._ZN7rocprim17ROCPRIM_400000_NS6detail17trampoline_kernelINS0_14default_configENS1_25partition_config_selectorILNS1_17partition_subalgoE9EllbEEZZNS1_14partition_implILS5_9ELb0ES3_jPlS8_PNS0_10empty_typeENS0_5tupleIJS8_S9_EEENSB_IJS8_SA_EEENS0_18inequality_wrapperIZN2at6native12_GLOBAL__N_124unique_dim_cuda_templateItEESt5tupleIJNSF_6TensorESK_SK_EERKSK_lbbbEUlllE0_EEPmJS9_EEE10hipError_tPvRmT3_T4_T5_T6_T7_T9_mT8_P12ihipStream_tbDpT10_ENKUlT_T0_E_clISt17integral_constantIbLb1EES1A_EEDaS15_S16_EUlS15_E_NS1_11comp_targetILNS1_3genE9ELNS1_11target_archE1100ELNS1_3gpuE3ELNS1_3repE0EEENS1_30default_config_static_selectorELNS0_4arch9wavefront6targetE1EEEvT1_,"axG",@progbits,_ZN7rocprim17ROCPRIM_400000_NS6detail17trampoline_kernelINS0_14default_configENS1_25partition_config_selectorILNS1_17partition_subalgoE9EllbEEZZNS1_14partition_implILS5_9ELb0ES3_jPlS8_PNS0_10empty_typeENS0_5tupleIJS8_S9_EEENSB_IJS8_SA_EEENS0_18inequality_wrapperIZN2at6native12_GLOBAL__N_124unique_dim_cuda_templateItEESt5tupleIJNSF_6TensorESK_SK_EERKSK_lbbbEUlllE0_EEPmJS9_EEE10hipError_tPvRmT3_T4_T5_T6_T7_T9_mT8_P12ihipStream_tbDpT10_ENKUlT_T0_E_clISt17integral_constantIbLb1EES1A_EEDaS15_S16_EUlS15_E_NS1_11comp_targetILNS1_3genE9ELNS1_11target_archE1100ELNS1_3gpuE3ELNS1_3repE0EEENS1_30default_config_static_selectorELNS0_4arch9wavefront6targetE1EEEvT1_,comdat
	.globl	_ZN7rocprim17ROCPRIM_400000_NS6detail17trampoline_kernelINS0_14default_configENS1_25partition_config_selectorILNS1_17partition_subalgoE9EllbEEZZNS1_14partition_implILS5_9ELb0ES3_jPlS8_PNS0_10empty_typeENS0_5tupleIJS8_S9_EEENSB_IJS8_SA_EEENS0_18inequality_wrapperIZN2at6native12_GLOBAL__N_124unique_dim_cuda_templateItEESt5tupleIJNSF_6TensorESK_SK_EERKSK_lbbbEUlllE0_EEPmJS9_EEE10hipError_tPvRmT3_T4_T5_T6_T7_T9_mT8_P12ihipStream_tbDpT10_ENKUlT_T0_E_clISt17integral_constantIbLb1EES1A_EEDaS15_S16_EUlS15_E_NS1_11comp_targetILNS1_3genE9ELNS1_11target_archE1100ELNS1_3gpuE3ELNS1_3repE0EEENS1_30default_config_static_selectorELNS0_4arch9wavefront6targetE1EEEvT1_ ; -- Begin function _ZN7rocprim17ROCPRIM_400000_NS6detail17trampoline_kernelINS0_14default_configENS1_25partition_config_selectorILNS1_17partition_subalgoE9EllbEEZZNS1_14partition_implILS5_9ELb0ES3_jPlS8_PNS0_10empty_typeENS0_5tupleIJS8_S9_EEENSB_IJS8_SA_EEENS0_18inequality_wrapperIZN2at6native12_GLOBAL__N_124unique_dim_cuda_templateItEESt5tupleIJNSF_6TensorESK_SK_EERKSK_lbbbEUlllE0_EEPmJS9_EEE10hipError_tPvRmT3_T4_T5_T6_T7_T9_mT8_P12ihipStream_tbDpT10_ENKUlT_T0_E_clISt17integral_constantIbLb1EES1A_EEDaS15_S16_EUlS15_E_NS1_11comp_targetILNS1_3genE9ELNS1_11target_archE1100ELNS1_3gpuE3ELNS1_3repE0EEENS1_30default_config_static_selectorELNS0_4arch9wavefront6targetE1EEEvT1_
	.p2align	8
	.type	_ZN7rocprim17ROCPRIM_400000_NS6detail17trampoline_kernelINS0_14default_configENS1_25partition_config_selectorILNS1_17partition_subalgoE9EllbEEZZNS1_14partition_implILS5_9ELb0ES3_jPlS8_PNS0_10empty_typeENS0_5tupleIJS8_S9_EEENSB_IJS8_SA_EEENS0_18inequality_wrapperIZN2at6native12_GLOBAL__N_124unique_dim_cuda_templateItEESt5tupleIJNSF_6TensorESK_SK_EERKSK_lbbbEUlllE0_EEPmJS9_EEE10hipError_tPvRmT3_T4_T5_T6_T7_T9_mT8_P12ihipStream_tbDpT10_ENKUlT_T0_E_clISt17integral_constantIbLb1EES1A_EEDaS15_S16_EUlS15_E_NS1_11comp_targetILNS1_3genE9ELNS1_11target_archE1100ELNS1_3gpuE3ELNS1_3repE0EEENS1_30default_config_static_selectorELNS0_4arch9wavefront6targetE1EEEvT1_,@function
_ZN7rocprim17ROCPRIM_400000_NS6detail17trampoline_kernelINS0_14default_configENS1_25partition_config_selectorILNS1_17partition_subalgoE9EllbEEZZNS1_14partition_implILS5_9ELb0ES3_jPlS8_PNS0_10empty_typeENS0_5tupleIJS8_S9_EEENSB_IJS8_SA_EEENS0_18inequality_wrapperIZN2at6native12_GLOBAL__N_124unique_dim_cuda_templateItEESt5tupleIJNSF_6TensorESK_SK_EERKSK_lbbbEUlllE0_EEPmJS9_EEE10hipError_tPvRmT3_T4_T5_T6_T7_T9_mT8_P12ihipStream_tbDpT10_ENKUlT_T0_E_clISt17integral_constantIbLb1EES1A_EEDaS15_S16_EUlS15_E_NS1_11comp_targetILNS1_3genE9ELNS1_11target_archE1100ELNS1_3gpuE3ELNS1_3repE0EEENS1_30default_config_static_selectorELNS0_4arch9wavefront6targetE1EEEvT1_: ; @_ZN7rocprim17ROCPRIM_400000_NS6detail17trampoline_kernelINS0_14default_configENS1_25partition_config_selectorILNS1_17partition_subalgoE9EllbEEZZNS1_14partition_implILS5_9ELb0ES3_jPlS8_PNS0_10empty_typeENS0_5tupleIJS8_S9_EEENSB_IJS8_SA_EEENS0_18inequality_wrapperIZN2at6native12_GLOBAL__N_124unique_dim_cuda_templateItEESt5tupleIJNSF_6TensorESK_SK_EERKSK_lbbbEUlllE0_EEPmJS9_EEE10hipError_tPvRmT3_T4_T5_T6_T7_T9_mT8_P12ihipStream_tbDpT10_ENKUlT_T0_E_clISt17integral_constantIbLb1EES1A_EEDaS15_S16_EUlS15_E_NS1_11comp_targetILNS1_3genE9ELNS1_11target_archE1100ELNS1_3gpuE3ELNS1_3repE0EEENS1_30default_config_static_selectorELNS0_4arch9wavefront6targetE1EEEvT1_
; %bb.0:
	.section	.rodata,"a",@progbits
	.p2align	6, 0x0
	.amdhsa_kernel _ZN7rocprim17ROCPRIM_400000_NS6detail17trampoline_kernelINS0_14default_configENS1_25partition_config_selectorILNS1_17partition_subalgoE9EllbEEZZNS1_14partition_implILS5_9ELb0ES3_jPlS8_PNS0_10empty_typeENS0_5tupleIJS8_S9_EEENSB_IJS8_SA_EEENS0_18inequality_wrapperIZN2at6native12_GLOBAL__N_124unique_dim_cuda_templateItEESt5tupleIJNSF_6TensorESK_SK_EERKSK_lbbbEUlllE0_EEPmJS9_EEE10hipError_tPvRmT3_T4_T5_T6_T7_T9_mT8_P12ihipStream_tbDpT10_ENKUlT_T0_E_clISt17integral_constantIbLb1EES1A_EEDaS15_S16_EUlS15_E_NS1_11comp_targetILNS1_3genE9ELNS1_11target_archE1100ELNS1_3gpuE3ELNS1_3repE0EEENS1_30default_config_static_selectorELNS0_4arch9wavefront6targetE1EEEvT1_
		.amdhsa_group_segment_fixed_size 0
		.amdhsa_private_segment_fixed_size 0
		.amdhsa_kernarg_size 136
		.amdhsa_user_sgpr_count 2
		.amdhsa_user_sgpr_dispatch_ptr 0
		.amdhsa_user_sgpr_queue_ptr 0
		.amdhsa_user_sgpr_kernarg_segment_ptr 1
		.amdhsa_user_sgpr_dispatch_id 0
		.amdhsa_user_sgpr_kernarg_preload_length 0
		.amdhsa_user_sgpr_kernarg_preload_offset 0
		.amdhsa_user_sgpr_private_segment_size 0
		.amdhsa_uses_dynamic_stack 0
		.amdhsa_enable_private_segment 0
		.amdhsa_system_sgpr_workgroup_id_x 1
		.amdhsa_system_sgpr_workgroup_id_y 0
		.amdhsa_system_sgpr_workgroup_id_z 0
		.amdhsa_system_sgpr_workgroup_info 0
		.amdhsa_system_vgpr_workitem_id 0
		.amdhsa_next_free_vgpr 1
		.amdhsa_next_free_sgpr 0
		.amdhsa_accum_offset 4
		.amdhsa_reserve_vcc 0
		.amdhsa_float_round_mode_32 0
		.amdhsa_float_round_mode_16_64 0
		.amdhsa_float_denorm_mode_32 3
		.amdhsa_float_denorm_mode_16_64 3
		.amdhsa_dx10_clamp 1
		.amdhsa_ieee_mode 1
		.amdhsa_fp16_overflow 0
		.amdhsa_tg_split 0
		.amdhsa_exception_fp_ieee_invalid_op 0
		.amdhsa_exception_fp_denorm_src 0
		.amdhsa_exception_fp_ieee_div_zero 0
		.amdhsa_exception_fp_ieee_overflow 0
		.amdhsa_exception_fp_ieee_underflow 0
		.amdhsa_exception_fp_ieee_inexact 0
		.amdhsa_exception_int_div_zero 0
	.end_amdhsa_kernel
	.section	.text._ZN7rocprim17ROCPRIM_400000_NS6detail17trampoline_kernelINS0_14default_configENS1_25partition_config_selectorILNS1_17partition_subalgoE9EllbEEZZNS1_14partition_implILS5_9ELb0ES3_jPlS8_PNS0_10empty_typeENS0_5tupleIJS8_S9_EEENSB_IJS8_SA_EEENS0_18inequality_wrapperIZN2at6native12_GLOBAL__N_124unique_dim_cuda_templateItEESt5tupleIJNSF_6TensorESK_SK_EERKSK_lbbbEUlllE0_EEPmJS9_EEE10hipError_tPvRmT3_T4_T5_T6_T7_T9_mT8_P12ihipStream_tbDpT10_ENKUlT_T0_E_clISt17integral_constantIbLb1EES1A_EEDaS15_S16_EUlS15_E_NS1_11comp_targetILNS1_3genE9ELNS1_11target_archE1100ELNS1_3gpuE3ELNS1_3repE0EEENS1_30default_config_static_selectorELNS0_4arch9wavefront6targetE1EEEvT1_,"axG",@progbits,_ZN7rocprim17ROCPRIM_400000_NS6detail17trampoline_kernelINS0_14default_configENS1_25partition_config_selectorILNS1_17partition_subalgoE9EllbEEZZNS1_14partition_implILS5_9ELb0ES3_jPlS8_PNS0_10empty_typeENS0_5tupleIJS8_S9_EEENSB_IJS8_SA_EEENS0_18inequality_wrapperIZN2at6native12_GLOBAL__N_124unique_dim_cuda_templateItEESt5tupleIJNSF_6TensorESK_SK_EERKSK_lbbbEUlllE0_EEPmJS9_EEE10hipError_tPvRmT3_T4_T5_T6_T7_T9_mT8_P12ihipStream_tbDpT10_ENKUlT_T0_E_clISt17integral_constantIbLb1EES1A_EEDaS15_S16_EUlS15_E_NS1_11comp_targetILNS1_3genE9ELNS1_11target_archE1100ELNS1_3gpuE3ELNS1_3repE0EEENS1_30default_config_static_selectorELNS0_4arch9wavefront6targetE1EEEvT1_,comdat
.Lfunc_end1474:
	.size	_ZN7rocprim17ROCPRIM_400000_NS6detail17trampoline_kernelINS0_14default_configENS1_25partition_config_selectorILNS1_17partition_subalgoE9EllbEEZZNS1_14partition_implILS5_9ELb0ES3_jPlS8_PNS0_10empty_typeENS0_5tupleIJS8_S9_EEENSB_IJS8_SA_EEENS0_18inequality_wrapperIZN2at6native12_GLOBAL__N_124unique_dim_cuda_templateItEESt5tupleIJNSF_6TensorESK_SK_EERKSK_lbbbEUlllE0_EEPmJS9_EEE10hipError_tPvRmT3_T4_T5_T6_T7_T9_mT8_P12ihipStream_tbDpT10_ENKUlT_T0_E_clISt17integral_constantIbLb1EES1A_EEDaS15_S16_EUlS15_E_NS1_11comp_targetILNS1_3genE9ELNS1_11target_archE1100ELNS1_3gpuE3ELNS1_3repE0EEENS1_30default_config_static_selectorELNS0_4arch9wavefront6targetE1EEEvT1_, .Lfunc_end1474-_ZN7rocprim17ROCPRIM_400000_NS6detail17trampoline_kernelINS0_14default_configENS1_25partition_config_selectorILNS1_17partition_subalgoE9EllbEEZZNS1_14partition_implILS5_9ELb0ES3_jPlS8_PNS0_10empty_typeENS0_5tupleIJS8_S9_EEENSB_IJS8_SA_EEENS0_18inequality_wrapperIZN2at6native12_GLOBAL__N_124unique_dim_cuda_templateItEESt5tupleIJNSF_6TensorESK_SK_EERKSK_lbbbEUlllE0_EEPmJS9_EEE10hipError_tPvRmT3_T4_T5_T6_T7_T9_mT8_P12ihipStream_tbDpT10_ENKUlT_T0_E_clISt17integral_constantIbLb1EES1A_EEDaS15_S16_EUlS15_E_NS1_11comp_targetILNS1_3genE9ELNS1_11target_archE1100ELNS1_3gpuE3ELNS1_3repE0EEENS1_30default_config_static_selectorELNS0_4arch9wavefront6targetE1EEEvT1_
                                        ; -- End function
	.section	.AMDGPU.csdata,"",@progbits
; Kernel info:
; codeLenInByte = 0
; NumSgprs: 6
; NumVgprs: 0
; NumAgprs: 0
; TotalNumVgprs: 0
; ScratchSize: 0
; MemoryBound: 0
; FloatMode: 240
; IeeeMode: 1
; LDSByteSize: 0 bytes/workgroup (compile time only)
; SGPRBlocks: 0
; VGPRBlocks: 0
; NumSGPRsForWavesPerEU: 6
; NumVGPRsForWavesPerEU: 1
; AccumOffset: 4
; Occupancy: 8
; WaveLimiterHint : 0
; COMPUTE_PGM_RSRC2:SCRATCH_EN: 0
; COMPUTE_PGM_RSRC2:USER_SGPR: 2
; COMPUTE_PGM_RSRC2:TRAP_HANDLER: 0
; COMPUTE_PGM_RSRC2:TGID_X_EN: 1
; COMPUTE_PGM_RSRC2:TGID_Y_EN: 0
; COMPUTE_PGM_RSRC2:TGID_Z_EN: 0
; COMPUTE_PGM_RSRC2:TIDIG_COMP_CNT: 0
; COMPUTE_PGM_RSRC3_GFX90A:ACCUM_OFFSET: 0
; COMPUTE_PGM_RSRC3_GFX90A:TG_SPLIT: 0
	.section	.text._ZN7rocprim17ROCPRIM_400000_NS6detail17trampoline_kernelINS0_14default_configENS1_25partition_config_selectorILNS1_17partition_subalgoE9EllbEEZZNS1_14partition_implILS5_9ELb0ES3_jPlS8_PNS0_10empty_typeENS0_5tupleIJS8_S9_EEENSB_IJS8_SA_EEENS0_18inequality_wrapperIZN2at6native12_GLOBAL__N_124unique_dim_cuda_templateItEESt5tupleIJNSF_6TensorESK_SK_EERKSK_lbbbEUlllE0_EEPmJS9_EEE10hipError_tPvRmT3_T4_T5_T6_T7_T9_mT8_P12ihipStream_tbDpT10_ENKUlT_T0_E_clISt17integral_constantIbLb1EES1A_EEDaS15_S16_EUlS15_E_NS1_11comp_targetILNS1_3genE8ELNS1_11target_archE1030ELNS1_3gpuE2ELNS1_3repE0EEENS1_30default_config_static_selectorELNS0_4arch9wavefront6targetE1EEEvT1_,"axG",@progbits,_ZN7rocprim17ROCPRIM_400000_NS6detail17trampoline_kernelINS0_14default_configENS1_25partition_config_selectorILNS1_17partition_subalgoE9EllbEEZZNS1_14partition_implILS5_9ELb0ES3_jPlS8_PNS0_10empty_typeENS0_5tupleIJS8_S9_EEENSB_IJS8_SA_EEENS0_18inequality_wrapperIZN2at6native12_GLOBAL__N_124unique_dim_cuda_templateItEESt5tupleIJNSF_6TensorESK_SK_EERKSK_lbbbEUlllE0_EEPmJS9_EEE10hipError_tPvRmT3_T4_T5_T6_T7_T9_mT8_P12ihipStream_tbDpT10_ENKUlT_T0_E_clISt17integral_constantIbLb1EES1A_EEDaS15_S16_EUlS15_E_NS1_11comp_targetILNS1_3genE8ELNS1_11target_archE1030ELNS1_3gpuE2ELNS1_3repE0EEENS1_30default_config_static_selectorELNS0_4arch9wavefront6targetE1EEEvT1_,comdat
	.globl	_ZN7rocprim17ROCPRIM_400000_NS6detail17trampoline_kernelINS0_14default_configENS1_25partition_config_selectorILNS1_17partition_subalgoE9EllbEEZZNS1_14partition_implILS5_9ELb0ES3_jPlS8_PNS0_10empty_typeENS0_5tupleIJS8_S9_EEENSB_IJS8_SA_EEENS0_18inequality_wrapperIZN2at6native12_GLOBAL__N_124unique_dim_cuda_templateItEESt5tupleIJNSF_6TensorESK_SK_EERKSK_lbbbEUlllE0_EEPmJS9_EEE10hipError_tPvRmT3_T4_T5_T6_T7_T9_mT8_P12ihipStream_tbDpT10_ENKUlT_T0_E_clISt17integral_constantIbLb1EES1A_EEDaS15_S16_EUlS15_E_NS1_11comp_targetILNS1_3genE8ELNS1_11target_archE1030ELNS1_3gpuE2ELNS1_3repE0EEENS1_30default_config_static_selectorELNS0_4arch9wavefront6targetE1EEEvT1_ ; -- Begin function _ZN7rocprim17ROCPRIM_400000_NS6detail17trampoline_kernelINS0_14default_configENS1_25partition_config_selectorILNS1_17partition_subalgoE9EllbEEZZNS1_14partition_implILS5_9ELb0ES3_jPlS8_PNS0_10empty_typeENS0_5tupleIJS8_S9_EEENSB_IJS8_SA_EEENS0_18inequality_wrapperIZN2at6native12_GLOBAL__N_124unique_dim_cuda_templateItEESt5tupleIJNSF_6TensorESK_SK_EERKSK_lbbbEUlllE0_EEPmJS9_EEE10hipError_tPvRmT3_T4_T5_T6_T7_T9_mT8_P12ihipStream_tbDpT10_ENKUlT_T0_E_clISt17integral_constantIbLb1EES1A_EEDaS15_S16_EUlS15_E_NS1_11comp_targetILNS1_3genE8ELNS1_11target_archE1030ELNS1_3gpuE2ELNS1_3repE0EEENS1_30default_config_static_selectorELNS0_4arch9wavefront6targetE1EEEvT1_
	.p2align	8
	.type	_ZN7rocprim17ROCPRIM_400000_NS6detail17trampoline_kernelINS0_14default_configENS1_25partition_config_selectorILNS1_17partition_subalgoE9EllbEEZZNS1_14partition_implILS5_9ELb0ES3_jPlS8_PNS0_10empty_typeENS0_5tupleIJS8_S9_EEENSB_IJS8_SA_EEENS0_18inequality_wrapperIZN2at6native12_GLOBAL__N_124unique_dim_cuda_templateItEESt5tupleIJNSF_6TensorESK_SK_EERKSK_lbbbEUlllE0_EEPmJS9_EEE10hipError_tPvRmT3_T4_T5_T6_T7_T9_mT8_P12ihipStream_tbDpT10_ENKUlT_T0_E_clISt17integral_constantIbLb1EES1A_EEDaS15_S16_EUlS15_E_NS1_11comp_targetILNS1_3genE8ELNS1_11target_archE1030ELNS1_3gpuE2ELNS1_3repE0EEENS1_30default_config_static_selectorELNS0_4arch9wavefront6targetE1EEEvT1_,@function
_ZN7rocprim17ROCPRIM_400000_NS6detail17trampoline_kernelINS0_14default_configENS1_25partition_config_selectorILNS1_17partition_subalgoE9EllbEEZZNS1_14partition_implILS5_9ELb0ES3_jPlS8_PNS0_10empty_typeENS0_5tupleIJS8_S9_EEENSB_IJS8_SA_EEENS0_18inequality_wrapperIZN2at6native12_GLOBAL__N_124unique_dim_cuda_templateItEESt5tupleIJNSF_6TensorESK_SK_EERKSK_lbbbEUlllE0_EEPmJS9_EEE10hipError_tPvRmT3_T4_T5_T6_T7_T9_mT8_P12ihipStream_tbDpT10_ENKUlT_T0_E_clISt17integral_constantIbLb1EES1A_EEDaS15_S16_EUlS15_E_NS1_11comp_targetILNS1_3genE8ELNS1_11target_archE1030ELNS1_3gpuE2ELNS1_3repE0EEENS1_30default_config_static_selectorELNS0_4arch9wavefront6targetE1EEEvT1_: ; @_ZN7rocprim17ROCPRIM_400000_NS6detail17trampoline_kernelINS0_14default_configENS1_25partition_config_selectorILNS1_17partition_subalgoE9EllbEEZZNS1_14partition_implILS5_9ELb0ES3_jPlS8_PNS0_10empty_typeENS0_5tupleIJS8_S9_EEENSB_IJS8_SA_EEENS0_18inequality_wrapperIZN2at6native12_GLOBAL__N_124unique_dim_cuda_templateItEESt5tupleIJNSF_6TensorESK_SK_EERKSK_lbbbEUlllE0_EEPmJS9_EEE10hipError_tPvRmT3_T4_T5_T6_T7_T9_mT8_P12ihipStream_tbDpT10_ENKUlT_T0_E_clISt17integral_constantIbLb1EES1A_EEDaS15_S16_EUlS15_E_NS1_11comp_targetILNS1_3genE8ELNS1_11target_archE1030ELNS1_3gpuE2ELNS1_3repE0EEENS1_30default_config_static_selectorELNS0_4arch9wavefront6targetE1EEEvT1_
; %bb.0:
	.section	.rodata,"a",@progbits
	.p2align	6, 0x0
	.amdhsa_kernel _ZN7rocprim17ROCPRIM_400000_NS6detail17trampoline_kernelINS0_14default_configENS1_25partition_config_selectorILNS1_17partition_subalgoE9EllbEEZZNS1_14partition_implILS5_9ELb0ES3_jPlS8_PNS0_10empty_typeENS0_5tupleIJS8_S9_EEENSB_IJS8_SA_EEENS0_18inequality_wrapperIZN2at6native12_GLOBAL__N_124unique_dim_cuda_templateItEESt5tupleIJNSF_6TensorESK_SK_EERKSK_lbbbEUlllE0_EEPmJS9_EEE10hipError_tPvRmT3_T4_T5_T6_T7_T9_mT8_P12ihipStream_tbDpT10_ENKUlT_T0_E_clISt17integral_constantIbLb1EES1A_EEDaS15_S16_EUlS15_E_NS1_11comp_targetILNS1_3genE8ELNS1_11target_archE1030ELNS1_3gpuE2ELNS1_3repE0EEENS1_30default_config_static_selectorELNS0_4arch9wavefront6targetE1EEEvT1_
		.amdhsa_group_segment_fixed_size 0
		.amdhsa_private_segment_fixed_size 0
		.amdhsa_kernarg_size 136
		.amdhsa_user_sgpr_count 2
		.amdhsa_user_sgpr_dispatch_ptr 0
		.amdhsa_user_sgpr_queue_ptr 0
		.amdhsa_user_sgpr_kernarg_segment_ptr 1
		.amdhsa_user_sgpr_dispatch_id 0
		.amdhsa_user_sgpr_kernarg_preload_length 0
		.amdhsa_user_sgpr_kernarg_preload_offset 0
		.amdhsa_user_sgpr_private_segment_size 0
		.amdhsa_uses_dynamic_stack 0
		.amdhsa_enable_private_segment 0
		.amdhsa_system_sgpr_workgroup_id_x 1
		.amdhsa_system_sgpr_workgroup_id_y 0
		.amdhsa_system_sgpr_workgroup_id_z 0
		.amdhsa_system_sgpr_workgroup_info 0
		.amdhsa_system_vgpr_workitem_id 0
		.amdhsa_next_free_vgpr 1
		.amdhsa_next_free_sgpr 0
		.amdhsa_accum_offset 4
		.amdhsa_reserve_vcc 0
		.amdhsa_float_round_mode_32 0
		.amdhsa_float_round_mode_16_64 0
		.amdhsa_float_denorm_mode_32 3
		.amdhsa_float_denorm_mode_16_64 3
		.amdhsa_dx10_clamp 1
		.amdhsa_ieee_mode 1
		.amdhsa_fp16_overflow 0
		.amdhsa_tg_split 0
		.amdhsa_exception_fp_ieee_invalid_op 0
		.amdhsa_exception_fp_denorm_src 0
		.amdhsa_exception_fp_ieee_div_zero 0
		.amdhsa_exception_fp_ieee_overflow 0
		.amdhsa_exception_fp_ieee_underflow 0
		.amdhsa_exception_fp_ieee_inexact 0
		.amdhsa_exception_int_div_zero 0
	.end_amdhsa_kernel
	.section	.text._ZN7rocprim17ROCPRIM_400000_NS6detail17trampoline_kernelINS0_14default_configENS1_25partition_config_selectorILNS1_17partition_subalgoE9EllbEEZZNS1_14partition_implILS5_9ELb0ES3_jPlS8_PNS0_10empty_typeENS0_5tupleIJS8_S9_EEENSB_IJS8_SA_EEENS0_18inequality_wrapperIZN2at6native12_GLOBAL__N_124unique_dim_cuda_templateItEESt5tupleIJNSF_6TensorESK_SK_EERKSK_lbbbEUlllE0_EEPmJS9_EEE10hipError_tPvRmT3_T4_T5_T6_T7_T9_mT8_P12ihipStream_tbDpT10_ENKUlT_T0_E_clISt17integral_constantIbLb1EES1A_EEDaS15_S16_EUlS15_E_NS1_11comp_targetILNS1_3genE8ELNS1_11target_archE1030ELNS1_3gpuE2ELNS1_3repE0EEENS1_30default_config_static_selectorELNS0_4arch9wavefront6targetE1EEEvT1_,"axG",@progbits,_ZN7rocprim17ROCPRIM_400000_NS6detail17trampoline_kernelINS0_14default_configENS1_25partition_config_selectorILNS1_17partition_subalgoE9EllbEEZZNS1_14partition_implILS5_9ELb0ES3_jPlS8_PNS0_10empty_typeENS0_5tupleIJS8_S9_EEENSB_IJS8_SA_EEENS0_18inequality_wrapperIZN2at6native12_GLOBAL__N_124unique_dim_cuda_templateItEESt5tupleIJNSF_6TensorESK_SK_EERKSK_lbbbEUlllE0_EEPmJS9_EEE10hipError_tPvRmT3_T4_T5_T6_T7_T9_mT8_P12ihipStream_tbDpT10_ENKUlT_T0_E_clISt17integral_constantIbLb1EES1A_EEDaS15_S16_EUlS15_E_NS1_11comp_targetILNS1_3genE8ELNS1_11target_archE1030ELNS1_3gpuE2ELNS1_3repE0EEENS1_30default_config_static_selectorELNS0_4arch9wavefront6targetE1EEEvT1_,comdat
.Lfunc_end1475:
	.size	_ZN7rocprim17ROCPRIM_400000_NS6detail17trampoline_kernelINS0_14default_configENS1_25partition_config_selectorILNS1_17partition_subalgoE9EllbEEZZNS1_14partition_implILS5_9ELb0ES3_jPlS8_PNS0_10empty_typeENS0_5tupleIJS8_S9_EEENSB_IJS8_SA_EEENS0_18inequality_wrapperIZN2at6native12_GLOBAL__N_124unique_dim_cuda_templateItEESt5tupleIJNSF_6TensorESK_SK_EERKSK_lbbbEUlllE0_EEPmJS9_EEE10hipError_tPvRmT3_T4_T5_T6_T7_T9_mT8_P12ihipStream_tbDpT10_ENKUlT_T0_E_clISt17integral_constantIbLb1EES1A_EEDaS15_S16_EUlS15_E_NS1_11comp_targetILNS1_3genE8ELNS1_11target_archE1030ELNS1_3gpuE2ELNS1_3repE0EEENS1_30default_config_static_selectorELNS0_4arch9wavefront6targetE1EEEvT1_, .Lfunc_end1475-_ZN7rocprim17ROCPRIM_400000_NS6detail17trampoline_kernelINS0_14default_configENS1_25partition_config_selectorILNS1_17partition_subalgoE9EllbEEZZNS1_14partition_implILS5_9ELb0ES3_jPlS8_PNS0_10empty_typeENS0_5tupleIJS8_S9_EEENSB_IJS8_SA_EEENS0_18inequality_wrapperIZN2at6native12_GLOBAL__N_124unique_dim_cuda_templateItEESt5tupleIJNSF_6TensorESK_SK_EERKSK_lbbbEUlllE0_EEPmJS9_EEE10hipError_tPvRmT3_T4_T5_T6_T7_T9_mT8_P12ihipStream_tbDpT10_ENKUlT_T0_E_clISt17integral_constantIbLb1EES1A_EEDaS15_S16_EUlS15_E_NS1_11comp_targetILNS1_3genE8ELNS1_11target_archE1030ELNS1_3gpuE2ELNS1_3repE0EEENS1_30default_config_static_selectorELNS0_4arch9wavefront6targetE1EEEvT1_
                                        ; -- End function
	.section	.AMDGPU.csdata,"",@progbits
; Kernel info:
; codeLenInByte = 0
; NumSgprs: 6
; NumVgprs: 0
; NumAgprs: 0
; TotalNumVgprs: 0
; ScratchSize: 0
; MemoryBound: 0
; FloatMode: 240
; IeeeMode: 1
; LDSByteSize: 0 bytes/workgroup (compile time only)
; SGPRBlocks: 0
; VGPRBlocks: 0
; NumSGPRsForWavesPerEU: 6
; NumVGPRsForWavesPerEU: 1
; AccumOffset: 4
; Occupancy: 8
; WaveLimiterHint : 0
; COMPUTE_PGM_RSRC2:SCRATCH_EN: 0
; COMPUTE_PGM_RSRC2:USER_SGPR: 2
; COMPUTE_PGM_RSRC2:TRAP_HANDLER: 0
; COMPUTE_PGM_RSRC2:TGID_X_EN: 1
; COMPUTE_PGM_RSRC2:TGID_Y_EN: 0
; COMPUTE_PGM_RSRC2:TGID_Z_EN: 0
; COMPUTE_PGM_RSRC2:TIDIG_COMP_CNT: 0
; COMPUTE_PGM_RSRC3_GFX90A:ACCUM_OFFSET: 0
; COMPUTE_PGM_RSRC3_GFX90A:TG_SPLIT: 0
	.section	.text._ZN7rocprim17ROCPRIM_400000_NS6detail17trampoline_kernelINS0_14default_configENS1_25partition_config_selectorILNS1_17partition_subalgoE9EllbEEZZNS1_14partition_implILS5_9ELb0ES3_jPlS8_PNS0_10empty_typeENS0_5tupleIJS8_S9_EEENSB_IJS8_SA_EEENS0_18inequality_wrapperIZN2at6native12_GLOBAL__N_124unique_dim_cuda_templateItEESt5tupleIJNSF_6TensorESK_SK_EERKSK_lbbbEUlllE0_EEPmJS9_EEE10hipError_tPvRmT3_T4_T5_T6_T7_T9_mT8_P12ihipStream_tbDpT10_ENKUlT_T0_E_clISt17integral_constantIbLb1EES19_IbLb0EEEEDaS15_S16_EUlS15_E_NS1_11comp_targetILNS1_3genE0ELNS1_11target_archE4294967295ELNS1_3gpuE0ELNS1_3repE0EEENS1_30default_config_static_selectorELNS0_4arch9wavefront6targetE1EEEvT1_,"axG",@progbits,_ZN7rocprim17ROCPRIM_400000_NS6detail17trampoline_kernelINS0_14default_configENS1_25partition_config_selectorILNS1_17partition_subalgoE9EllbEEZZNS1_14partition_implILS5_9ELb0ES3_jPlS8_PNS0_10empty_typeENS0_5tupleIJS8_S9_EEENSB_IJS8_SA_EEENS0_18inequality_wrapperIZN2at6native12_GLOBAL__N_124unique_dim_cuda_templateItEESt5tupleIJNSF_6TensorESK_SK_EERKSK_lbbbEUlllE0_EEPmJS9_EEE10hipError_tPvRmT3_T4_T5_T6_T7_T9_mT8_P12ihipStream_tbDpT10_ENKUlT_T0_E_clISt17integral_constantIbLb1EES19_IbLb0EEEEDaS15_S16_EUlS15_E_NS1_11comp_targetILNS1_3genE0ELNS1_11target_archE4294967295ELNS1_3gpuE0ELNS1_3repE0EEENS1_30default_config_static_selectorELNS0_4arch9wavefront6targetE1EEEvT1_,comdat
	.globl	_ZN7rocprim17ROCPRIM_400000_NS6detail17trampoline_kernelINS0_14default_configENS1_25partition_config_selectorILNS1_17partition_subalgoE9EllbEEZZNS1_14partition_implILS5_9ELb0ES3_jPlS8_PNS0_10empty_typeENS0_5tupleIJS8_S9_EEENSB_IJS8_SA_EEENS0_18inequality_wrapperIZN2at6native12_GLOBAL__N_124unique_dim_cuda_templateItEESt5tupleIJNSF_6TensorESK_SK_EERKSK_lbbbEUlllE0_EEPmJS9_EEE10hipError_tPvRmT3_T4_T5_T6_T7_T9_mT8_P12ihipStream_tbDpT10_ENKUlT_T0_E_clISt17integral_constantIbLb1EES19_IbLb0EEEEDaS15_S16_EUlS15_E_NS1_11comp_targetILNS1_3genE0ELNS1_11target_archE4294967295ELNS1_3gpuE0ELNS1_3repE0EEENS1_30default_config_static_selectorELNS0_4arch9wavefront6targetE1EEEvT1_ ; -- Begin function _ZN7rocprim17ROCPRIM_400000_NS6detail17trampoline_kernelINS0_14default_configENS1_25partition_config_selectorILNS1_17partition_subalgoE9EllbEEZZNS1_14partition_implILS5_9ELb0ES3_jPlS8_PNS0_10empty_typeENS0_5tupleIJS8_S9_EEENSB_IJS8_SA_EEENS0_18inequality_wrapperIZN2at6native12_GLOBAL__N_124unique_dim_cuda_templateItEESt5tupleIJNSF_6TensorESK_SK_EERKSK_lbbbEUlllE0_EEPmJS9_EEE10hipError_tPvRmT3_T4_T5_T6_T7_T9_mT8_P12ihipStream_tbDpT10_ENKUlT_T0_E_clISt17integral_constantIbLb1EES19_IbLb0EEEEDaS15_S16_EUlS15_E_NS1_11comp_targetILNS1_3genE0ELNS1_11target_archE4294967295ELNS1_3gpuE0ELNS1_3repE0EEENS1_30default_config_static_selectorELNS0_4arch9wavefront6targetE1EEEvT1_
	.p2align	8
	.type	_ZN7rocprim17ROCPRIM_400000_NS6detail17trampoline_kernelINS0_14default_configENS1_25partition_config_selectorILNS1_17partition_subalgoE9EllbEEZZNS1_14partition_implILS5_9ELb0ES3_jPlS8_PNS0_10empty_typeENS0_5tupleIJS8_S9_EEENSB_IJS8_SA_EEENS0_18inequality_wrapperIZN2at6native12_GLOBAL__N_124unique_dim_cuda_templateItEESt5tupleIJNSF_6TensorESK_SK_EERKSK_lbbbEUlllE0_EEPmJS9_EEE10hipError_tPvRmT3_T4_T5_T6_T7_T9_mT8_P12ihipStream_tbDpT10_ENKUlT_T0_E_clISt17integral_constantIbLb1EES19_IbLb0EEEEDaS15_S16_EUlS15_E_NS1_11comp_targetILNS1_3genE0ELNS1_11target_archE4294967295ELNS1_3gpuE0ELNS1_3repE0EEENS1_30default_config_static_selectorELNS0_4arch9wavefront6targetE1EEEvT1_,@function
_ZN7rocprim17ROCPRIM_400000_NS6detail17trampoline_kernelINS0_14default_configENS1_25partition_config_selectorILNS1_17partition_subalgoE9EllbEEZZNS1_14partition_implILS5_9ELb0ES3_jPlS8_PNS0_10empty_typeENS0_5tupleIJS8_S9_EEENSB_IJS8_SA_EEENS0_18inequality_wrapperIZN2at6native12_GLOBAL__N_124unique_dim_cuda_templateItEESt5tupleIJNSF_6TensorESK_SK_EERKSK_lbbbEUlllE0_EEPmJS9_EEE10hipError_tPvRmT3_T4_T5_T6_T7_T9_mT8_P12ihipStream_tbDpT10_ENKUlT_T0_E_clISt17integral_constantIbLb1EES19_IbLb0EEEEDaS15_S16_EUlS15_E_NS1_11comp_targetILNS1_3genE0ELNS1_11target_archE4294967295ELNS1_3gpuE0ELNS1_3repE0EEENS1_30default_config_static_selectorELNS0_4arch9wavefront6targetE1EEEvT1_: ; @_ZN7rocprim17ROCPRIM_400000_NS6detail17trampoline_kernelINS0_14default_configENS1_25partition_config_selectorILNS1_17partition_subalgoE9EllbEEZZNS1_14partition_implILS5_9ELb0ES3_jPlS8_PNS0_10empty_typeENS0_5tupleIJS8_S9_EEENSB_IJS8_SA_EEENS0_18inequality_wrapperIZN2at6native12_GLOBAL__N_124unique_dim_cuda_templateItEESt5tupleIJNSF_6TensorESK_SK_EERKSK_lbbbEUlllE0_EEPmJS9_EEE10hipError_tPvRmT3_T4_T5_T6_T7_T9_mT8_P12ihipStream_tbDpT10_ENKUlT_T0_E_clISt17integral_constantIbLb1EES19_IbLb0EEEEDaS15_S16_EUlS15_E_NS1_11comp_targetILNS1_3genE0ELNS1_11target_archE4294967295ELNS1_3gpuE0ELNS1_3repE0EEENS1_30default_config_static_selectorELNS0_4arch9wavefront6targetE1EEEvT1_
; %bb.0:
	.section	.rodata,"a",@progbits
	.p2align	6, 0x0
	.amdhsa_kernel _ZN7rocprim17ROCPRIM_400000_NS6detail17trampoline_kernelINS0_14default_configENS1_25partition_config_selectorILNS1_17partition_subalgoE9EllbEEZZNS1_14partition_implILS5_9ELb0ES3_jPlS8_PNS0_10empty_typeENS0_5tupleIJS8_S9_EEENSB_IJS8_SA_EEENS0_18inequality_wrapperIZN2at6native12_GLOBAL__N_124unique_dim_cuda_templateItEESt5tupleIJNSF_6TensorESK_SK_EERKSK_lbbbEUlllE0_EEPmJS9_EEE10hipError_tPvRmT3_T4_T5_T6_T7_T9_mT8_P12ihipStream_tbDpT10_ENKUlT_T0_E_clISt17integral_constantIbLb1EES19_IbLb0EEEEDaS15_S16_EUlS15_E_NS1_11comp_targetILNS1_3genE0ELNS1_11target_archE4294967295ELNS1_3gpuE0ELNS1_3repE0EEENS1_30default_config_static_selectorELNS0_4arch9wavefront6targetE1EEEvT1_
		.amdhsa_group_segment_fixed_size 0
		.amdhsa_private_segment_fixed_size 0
		.amdhsa_kernarg_size 120
		.amdhsa_user_sgpr_count 2
		.amdhsa_user_sgpr_dispatch_ptr 0
		.amdhsa_user_sgpr_queue_ptr 0
		.amdhsa_user_sgpr_kernarg_segment_ptr 1
		.amdhsa_user_sgpr_dispatch_id 0
		.amdhsa_user_sgpr_kernarg_preload_length 0
		.amdhsa_user_sgpr_kernarg_preload_offset 0
		.amdhsa_user_sgpr_private_segment_size 0
		.amdhsa_uses_dynamic_stack 0
		.amdhsa_enable_private_segment 0
		.amdhsa_system_sgpr_workgroup_id_x 1
		.amdhsa_system_sgpr_workgroup_id_y 0
		.amdhsa_system_sgpr_workgroup_id_z 0
		.amdhsa_system_sgpr_workgroup_info 0
		.amdhsa_system_vgpr_workitem_id 0
		.amdhsa_next_free_vgpr 1
		.amdhsa_next_free_sgpr 0
		.amdhsa_accum_offset 4
		.amdhsa_reserve_vcc 0
		.amdhsa_float_round_mode_32 0
		.amdhsa_float_round_mode_16_64 0
		.amdhsa_float_denorm_mode_32 3
		.amdhsa_float_denorm_mode_16_64 3
		.amdhsa_dx10_clamp 1
		.amdhsa_ieee_mode 1
		.amdhsa_fp16_overflow 0
		.amdhsa_tg_split 0
		.amdhsa_exception_fp_ieee_invalid_op 0
		.amdhsa_exception_fp_denorm_src 0
		.amdhsa_exception_fp_ieee_div_zero 0
		.amdhsa_exception_fp_ieee_overflow 0
		.amdhsa_exception_fp_ieee_underflow 0
		.amdhsa_exception_fp_ieee_inexact 0
		.amdhsa_exception_int_div_zero 0
	.end_amdhsa_kernel
	.section	.text._ZN7rocprim17ROCPRIM_400000_NS6detail17trampoline_kernelINS0_14default_configENS1_25partition_config_selectorILNS1_17partition_subalgoE9EllbEEZZNS1_14partition_implILS5_9ELb0ES3_jPlS8_PNS0_10empty_typeENS0_5tupleIJS8_S9_EEENSB_IJS8_SA_EEENS0_18inequality_wrapperIZN2at6native12_GLOBAL__N_124unique_dim_cuda_templateItEESt5tupleIJNSF_6TensorESK_SK_EERKSK_lbbbEUlllE0_EEPmJS9_EEE10hipError_tPvRmT3_T4_T5_T6_T7_T9_mT8_P12ihipStream_tbDpT10_ENKUlT_T0_E_clISt17integral_constantIbLb1EES19_IbLb0EEEEDaS15_S16_EUlS15_E_NS1_11comp_targetILNS1_3genE0ELNS1_11target_archE4294967295ELNS1_3gpuE0ELNS1_3repE0EEENS1_30default_config_static_selectorELNS0_4arch9wavefront6targetE1EEEvT1_,"axG",@progbits,_ZN7rocprim17ROCPRIM_400000_NS6detail17trampoline_kernelINS0_14default_configENS1_25partition_config_selectorILNS1_17partition_subalgoE9EllbEEZZNS1_14partition_implILS5_9ELb0ES3_jPlS8_PNS0_10empty_typeENS0_5tupleIJS8_S9_EEENSB_IJS8_SA_EEENS0_18inequality_wrapperIZN2at6native12_GLOBAL__N_124unique_dim_cuda_templateItEESt5tupleIJNSF_6TensorESK_SK_EERKSK_lbbbEUlllE0_EEPmJS9_EEE10hipError_tPvRmT3_T4_T5_T6_T7_T9_mT8_P12ihipStream_tbDpT10_ENKUlT_T0_E_clISt17integral_constantIbLb1EES19_IbLb0EEEEDaS15_S16_EUlS15_E_NS1_11comp_targetILNS1_3genE0ELNS1_11target_archE4294967295ELNS1_3gpuE0ELNS1_3repE0EEENS1_30default_config_static_selectorELNS0_4arch9wavefront6targetE1EEEvT1_,comdat
.Lfunc_end1476:
	.size	_ZN7rocprim17ROCPRIM_400000_NS6detail17trampoline_kernelINS0_14default_configENS1_25partition_config_selectorILNS1_17partition_subalgoE9EllbEEZZNS1_14partition_implILS5_9ELb0ES3_jPlS8_PNS0_10empty_typeENS0_5tupleIJS8_S9_EEENSB_IJS8_SA_EEENS0_18inequality_wrapperIZN2at6native12_GLOBAL__N_124unique_dim_cuda_templateItEESt5tupleIJNSF_6TensorESK_SK_EERKSK_lbbbEUlllE0_EEPmJS9_EEE10hipError_tPvRmT3_T4_T5_T6_T7_T9_mT8_P12ihipStream_tbDpT10_ENKUlT_T0_E_clISt17integral_constantIbLb1EES19_IbLb0EEEEDaS15_S16_EUlS15_E_NS1_11comp_targetILNS1_3genE0ELNS1_11target_archE4294967295ELNS1_3gpuE0ELNS1_3repE0EEENS1_30default_config_static_selectorELNS0_4arch9wavefront6targetE1EEEvT1_, .Lfunc_end1476-_ZN7rocprim17ROCPRIM_400000_NS6detail17trampoline_kernelINS0_14default_configENS1_25partition_config_selectorILNS1_17partition_subalgoE9EllbEEZZNS1_14partition_implILS5_9ELb0ES3_jPlS8_PNS0_10empty_typeENS0_5tupleIJS8_S9_EEENSB_IJS8_SA_EEENS0_18inequality_wrapperIZN2at6native12_GLOBAL__N_124unique_dim_cuda_templateItEESt5tupleIJNSF_6TensorESK_SK_EERKSK_lbbbEUlllE0_EEPmJS9_EEE10hipError_tPvRmT3_T4_T5_T6_T7_T9_mT8_P12ihipStream_tbDpT10_ENKUlT_T0_E_clISt17integral_constantIbLb1EES19_IbLb0EEEEDaS15_S16_EUlS15_E_NS1_11comp_targetILNS1_3genE0ELNS1_11target_archE4294967295ELNS1_3gpuE0ELNS1_3repE0EEENS1_30default_config_static_selectorELNS0_4arch9wavefront6targetE1EEEvT1_
                                        ; -- End function
	.section	.AMDGPU.csdata,"",@progbits
; Kernel info:
; codeLenInByte = 0
; NumSgprs: 6
; NumVgprs: 0
; NumAgprs: 0
; TotalNumVgprs: 0
; ScratchSize: 0
; MemoryBound: 0
; FloatMode: 240
; IeeeMode: 1
; LDSByteSize: 0 bytes/workgroup (compile time only)
; SGPRBlocks: 0
; VGPRBlocks: 0
; NumSGPRsForWavesPerEU: 6
; NumVGPRsForWavesPerEU: 1
; AccumOffset: 4
; Occupancy: 8
; WaveLimiterHint : 0
; COMPUTE_PGM_RSRC2:SCRATCH_EN: 0
; COMPUTE_PGM_RSRC2:USER_SGPR: 2
; COMPUTE_PGM_RSRC2:TRAP_HANDLER: 0
; COMPUTE_PGM_RSRC2:TGID_X_EN: 1
; COMPUTE_PGM_RSRC2:TGID_Y_EN: 0
; COMPUTE_PGM_RSRC2:TGID_Z_EN: 0
; COMPUTE_PGM_RSRC2:TIDIG_COMP_CNT: 0
; COMPUTE_PGM_RSRC3_GFX90A:ACCUM_OFFSET: 0
; COMPUTE_PGM_RSRC3_GFX90A:TG_SPLIT: 0
	.section	.text._ZN7rocprim17ROCPRIM_400000_NS6detail17trampoline_kernelINS0_14default_configENS1_25partition_config_selectorILNS1_17partition_subalgoE9EllbEEZZNS1_14partition_implILS5_9ELb0ES3_jPlS8_PNS0_10empty_typeENS0_5tupleIJS8_S9_EEENSB_IJS8_SA_EEENS0_18inequality_wrapperIZN2at6native12_GLOBAL__N_124unique_dim_cuda_templateItEESt5tupleIJNSF_6TensorESK_SK_EERKSK_lbbbEUlllE0_EEPmJS9_EEE10hipError_tPvRmT3_T4_T5_T6_T7_T9_mT8_P12ihipStream_tbDpT10_ENKUlT_T0_E_clISt17integral_constantIbLb1EES19_IbLb0EEEEDaS15_S16_EUlS15_E_NS1_11comp_targetILNS1_3genE5ELNS1_11target_archE942ELNS1_3gpuE9ELNS1_3repE0EEENS1_30default_config_static_selectorELNS0_4arch9wavefront6targetE1EEEvT1_,"axG",@progbits,_ZN7rocprim17ROCPRIM_400000_NS6detail17trampoline_kernelINS0_14default_configENS1_25partition_config_selectorILNS1_17partition_subalgoE9EllbEEZZNS1_14partition_implILS5_9ELb0ES3_jPlS8_PNS0_10empty_typeENS0_5tupleIJS8_S9_EEENSB_IJS8_SA_EEENS0_18inequality_wrapperIZN2at6native12_GLOBAL__N_124unique_dim_cuda_templateItEESt5tupleIJNSF_6TensorESK_SK_EERKSK_lbbbEUlllE0_EEPmJS9_EEE10hipError_tPvRmT3_T4_T5_T6_T7_T9_mT8_P12ihipStream_tbDpT10_ENKUlT_T0_E_clISt17integral_constantIbLb1EES19_IbLb0EEEEDaS15_S16_EUlS15_E_NS1_11comp_targetILNS1_3genE5ELNS1_11target_archE942ELNS1_3gpuE9ELNS1_3repE0EEENS1_30default_config_static_selectorELNS0_4arch9wavefront6targetE1EEEvT1_,comdat
	.globl	_ZN7rocprim17ROCPRIM_400000_NS6detail17trampoline_kernelINS0_14default_configENS1_25partition_config_selectorILNS1_17partition_subalgoE9EllbEEZZNS1_14partition_implILS5_9ELb0ES3_jPlS8_PNS0_10empty_typeENS0_5tupleIJS8_S9_EEENSB_IJS8_SA_EEENS0_18inequality_wrapperIZN2at6native12_GLOBAL__N_124unique_dim_cuda_templateItEESt5tupleIJNSF_6TensorESK_SK_EERKSK_lbbbEUlllE0_EEPmJS9_EEE10hipError_tPvRmT3_T4_T5_T6_T7_T9_mT8_P12ihipStream_tbDpT10_ENKUlT_T0_E_clISt17integral_constantIbLb1EES19_IbLb0EEEEDaS15_S16_EUlS15_E_NS1_11comp_targetILNS1_3genE5ELNS1_11target_archE942ELNS1_3gpuE9ELNS1_3repE0EEENS1_30default_config_static_selectorELNS0_4arch9wavefront6targetE1EEEvT1_ ; -- Begin function _ZN7rocprim17ROCPRIM_400000_NS6detail17trampoline_kernelINS0_14default_configENS1_25partition_config_selectorILNS1_17partition_subalgoE9EllbEEZZNS1_14partition_implILS5_9ELb0ES3_jPlS8_PNS0_10empty_typeENS0_5tupleIJS8_S9_EEENSB_IJS8_SA_EEENS0_18inequality_wrapperIZN2at6native12_GLOBAL__N_124unique_dim_cuda_templateItEESt5tupleIJNSF_6TensorESK_SK_EERKSK_lbbbEUlllE0_EEPmJS9_EEE10hipError_tPvRmT3_T4_T5_T6_T7_T9_mT8_P12ihipStream_tbDpT10_ENKUlT_T0_E_clISt17integral_constantIbLb1EES19_IbLb0EEEEDaS15_S16_EUlS15_E_NS1_11comp_targetILNS1_3genE5ELNS1_11target_archE942ELNS1_3gpuE9ELNS1_3repE0EEENS1_30default_config_static_selectorELNS0_4arch9wavefront6targetE1EEEvT1_
	.p2align	8
	.type	_ZN7rocprim17ROCPRIM_400000_NS6detail17trampoline_kernelINS0_14default_configENS1_25partition_config_selectorILNS1_17partition_subalgoE9EllbEEZZNS1_14partition_implILS5_9ELb0ES3_jPlS8_PNS0_10empty_typeENS0_5tupleIJS8_S9_EEENSB_IJS8_SA_EEENS0_18inequality_wrapperIZN2at6native12_GLOBAL__N_124unique_dim_cuda_templateItEESt5tupleIJNSF_6TensorESK_SK_EERKSK_lbbbEUlllE0_EEPmJS9_EEE10hipError_tPvRmT3_T4_T5_T6_T7_T9_mT8_P12ihipStream_tbDpT10_ENKUlT_T0_E_clISt17integral_constantIbLb1EES19_IbLb0EEEEDaS15_S16_EUlS15_E_NS1_11comp_targetILNS1_3genE5ELNS1_11target_archE942ELNS1_3gpuE9ELNS1_3repE0EEENS1_30default_config_static_selectorELNS0_4arch9wavefront6targetE1EEEvT1_,@function
_ZN7rocprim17ROCPRIM_400000_NS6detail17trampoline_kernelINS0_14default_configENS1_25partition_config_selectorILNS1_17partition_subalgoE9EllbEEZZNS1_14partition_implILS5_9ELb0ES3_jPlS8_PNS0_10empty_typeENS0_5tupleIJS8_S9_EEENSB_IJS8_SA_EEENS0_18inequality_wrapperIZN2at6native12_GLOBAL__N_124unique_dim_cuda_templateItEESt5tupleIJNSF_6TensorESK_SK_EERKSK_lbbbEUlllE0_EEPmJS9_EEE10hipError_tPvRmT3_T4_T5_T6_T7_T9_mT8_P12ihipStream_tbDpT10_ENKUlT_T0_E_clISt17integral_constantIbLb1EES19_IbLb0EEEEDaS15_S16_EUlS15_E_NS1_11comp_targetILNS1_3genE5ELNS1_11target_archE942ELNS1_3gpuE9ELNS1_3repE0EEENS1_30default_config_static_selectorELNS0_4arch9wavefront6targetE1EEEvT1_: ; @_ZN7rocprim17ROCPRIM_400000_NS6detail17trampoline_kernelINS0_14default_configENS1_25partition_config_selectorILNS1_17partition_subalgoE9EllbEEZZNS1_14partition_implILS5_9ELb0ES3_jPlS8_PNS0_10empty_typeENS0_5tupleIJS8_S9_EEENSB_IJS8_SA_EEENS0_18inequality_wrapperIZN2at6native12_GLOBAL__N_124unique_dim_cuda_templateItEESt5tupleIJNSF_6TensorESK_SK_EERKSK_lbbbEUlllE0_EEPmJS9_EEE10hipError_tPvRmT3_T4_T5_T6_T7_T9_mT8_P12ihipStream_tbDpT10_ENKUlT_T0_E_clISt17integral_constantIbLb1EES19_IbLb0EEEEDaS15_S16_EUlS15_E_NS1_11comp_targetILNS1_3genE5ELNS1_11target_archE942ELNS1_3gpuE9ELNS1_3repE0EEENS1_30default_config_static_selectorELNS0_4arch9wavefront6targetE1EEEvT1_
; %bb.0:
	s_load_dwordx8 s[20:27], s[0:1], 0x40
	s_load_dwordx4 s[4:7], s[0:1], 0x8
	s_load_dwordx2 s[10:11], s[0:1], 0x18
	s_load_dword s3, s[0:1], 0x70
	s_mul_i32 s12, s2, 0xe00
	s_waitcnt lgkmcnt(0)
	v_mov_b32_e32 v2, s24
	s_lshl_b64 s[14:15], s[6:7], 3
	s_add_u32 s18, s4, s14
	s_mul_i32 s4, s3, 0xe00
	s_addc_u32 s19, s5, s15
	s_add_i32 s8, s3, -1
	s_add_i32 s3, s4, s6
	s_sub_i32 s3, s24, s3
	s_addk_i32 s3, 0xe00
	s_add_u32 s4, s6, s4
	s_addc_u32 s5, s7, 0
	v_mov_b32_e32 v3, s25
	s_cmp_eq_u32 s2, s8
	s_load_dwordx2 s[22:23], s[22:23], 0x0
	v_cmp_ge_u64_e32 vcc, s[4:5], v[2:3]
	s_cselect_b64 s[24:25], -1, 0
	s_mov_b32 s13, 0
	s_and_b64 s[8:9], s[24:25], vcc
	s_xor_b64 s[34:35], s[8:9], -1
	s_lshl_b64 s[16:17], s[12:13], 3
	s_add_u32 s12, s18, s16
	s_mov_b64 s[4:5], -1
	s_addc_u32 s13, s19, s17
	s_and_b64 vcc, exec, s[34:35]
	s_cbranch_vccz .LBB1477_2
; %bb.1:
	v_lshlrev_b32_e32 v2, 3, v0
	v_mov_b32_e32 v3, 0
	v_lshl_add_u64 v[4:5], s[12:13], 0, v[2:3]
	v_add_co_u32_e32 v8, vcc, 0x1000, v4
	global_load_dwordx2 v[6:7], v2, s[12:13]
	s_nop 0
	v_addc_co_u32_e32 v9, vcc, 0, v5, vcc
	v_add_co_u32_e32 v10, vcc, 0x2000, v4
	s_mov_b64 s[4:5], 0
	s_nop 0
	v_addc_co_u32_e32 v11, vcc, 0, v5, vcc
	v_add_co_u32_e32 v12, vcc, 0x3000, v4
	s_nop 1
	v_addc_co_u32_e32 v13, vcc, 0, v5, vcc
	v_add_co_u32_e32 v14, vcc, 0x4000, v4
	s_nop 1
	v_addc_co_u32_e32 v15, vcc, 0, v5, vcc
	global_load_dwordx2 v[16:17], v[8:9], off
	global_load_dwordx2 v[18:19], v[10:11], off
	;; [unrolled: 1-line block ×4, first 2 shown]
	v_add_co_u32_e32 v8, vcc, 0x5000, v4
	s_nop 1
	v_addc_co_u32_e32 v9, vcc, 0, v5, vcc
	v_add_co_u32_e32 v4, vcc, 0x6000, v4
	global_load_dwordx2 v[8:9], v[8:9], off
	s_nop 0
	v_addc_co_u32_e32 v5, vcc, 0, v5, vcc
	global_load_dwordx2 v[4:5], v[4:5], off
	s_waitcnt vmcnt(5)
	ds_write2st64_b64 v2, v[6:7], v[16:17] offset1:8
	s_waitcnt vmcnt(3)
	ds_write2st64_b64 v2, v[18:19], v[20:21] offset0:16 offset1:24
	s_waitcnt vmcnt(1)
	ds_write2st64_b64 v2, v[22:23], v[8:9] offset0:32 offset1:40
	s_waitcnt vmcnt(0)
	ds_write_b64 v2, v[4:5] offset:24576
	s_waitcnt lgkmcnt(0)
	s_barrier
.LBB1477_2:
	s_load_dwordx4 s[28:31], s[0:1], 0x60
	s_andn2_b64 vcc, exec, s[4:5]
	v_cmp_gt_u32_e64 s[4:5], s3, v0
	s_cbranch_vccnz .LBB1477_18
; %bb.3:
                                        ; implicit-def: $vgpr2_vgpr3_vgpr4_vgpr5_vgpr6_vgpr7_vgpr8_vgpr9_vgpr10_vgpr11_vgpr12_vgpr13_vgpr14_vgpr15_vgpr16_vgpr17
	s_and_saveexec_b64 s[18:19], s[4:5]
	s_cbranch_execz .LBB1477_5
; %bb.4:
	v_lshlrev_b32_e32 v1, 3, v0
	global_load_dwordx2 v[2:3], v1, s[12:13]
.LBB1477_5:
	s_or_b64 exec, exec, s[18:19]
	v_or_b32_e32 v1, 0x200, v0
	v_cmp_gt_u32_e32 vcc, s3, v1
	s_and_saveexec_b64 s[4:5], vcc
	s_cbranch_execz .LBB1477_7
; %bb.6:
	v_lshlrev_b32_e32 v1, 3, v1
	global_load_dwordx2 v[4:5], v1, s[12:13]
.LBB1477_7:
	s_or_b64 exec, exec, s[4:5]
	v_or_b32_e32 v1, 0x400, v0
	v_cmp_gt_u32_e32 vcc, s3, v1
	s_and_saveexec_b64 s[4:5], vcc
	;; [unrolled: 9-line block ×6, first 2 shown]
	s_cbranch_execz .LBB1477_17
; %bb.16:
	v_lshlrev_b32_e32 v1, 3, v1
	global_load_dwordx2 v[14:15], v1, s[12:13]
.LBB1477_17:
	s_or_b64 exec, exec, s[4:5]
	v_lshlrev_b32_e32 v1, 3, v0
	s_waitcnt vmcnt(0)
	ds_write2st64_b64 v1, v[2:3], v[4:5] offset1:8
	ds_write2st64_b64 v1, v[6:7], v[8:9] offset0:16 offset1:24
	ds_write2st64_b64 v1, v[10:11], v[12:13] offset0:32 offset1:40
	ds_write_b64 v1, v[14:15] offset:24576
	s_waitcnt lgkmcnt(0)
	s_barrier
.LBB1477_18:
	v_mul_u32_u24_e32 v1, 7, v0
	v_lshlrev_b32_e32 v44, 3, v1
	s_waitcnt lgkmcnt(0)
	ds_read2_b64 v[22:25], v44 offset1:1
	ds_read2_b64 v[18:21], v44 offset0:2 offset1:3
	ds_read2_b64 v[14:17], v44 offset0:4 offset1:5
	ds_read_b64 v[28:29], v44 offset:48
	s_add_u32 s4, s10, s14
	s_addc_u32 s5, s11, s15
	s_add_u32 s4, s4, s16
	s_addc_u32 s5, s5, s17
	s_mov_b64 s[10:11], -1
	s_and_b64 vcc, exec, s[34:35]
	s_waitcnt lgkmcnt(0)
	s_barrier
	s_cbranch_vccz .LBB1477_20
; %bb.19:
	v_lshlrev_b32_e32 v2, 3, v0
	v_mov_b32_e32 v3, 0
	v_lshl_add_u64 v[4:5], s[4:5], 0, v[2:3]
	v_add_co_u32_e32 v8, vcc, 0x1000, v4
	global_load_dwordx2 v[6:7], v2, s[4:5]
	s_nop 0
	v_addc_co_u32_e32 v9, vcc, 0, v5, vcc
	v_add_co_u32_e32 v10, vcc, 0x2000, v4
	s_mov_b64 s[10:11], 0
	s_nop 0
	v_addc_co_u32_e32 v11, vcc, 0, v5, vcc
	v_add_co_u32_e32 v12, vcc, 0x3000, v4
	s_nop 1
	v_addc_co_u32_e32 v13, vcc, 0, v5, vcc
	v_add_co_u32_e32 v26, vcc, 0x4000, v4
	s_nop 1
	v_addc_co_u32_e32 v27, vcc, 0, v5, vcc
	global_load_dwordx2 v[30:31], v[8:9], off
	global_load_dwordx2 v[32:33], v[10:11], off
	;; [unrolled: 1-line block ×4, first 2 shown]
	v_add_co_u32_e32 v8, vcc, 0x5000, v4
	s_nop 1
	v_addc_co_u32_e32 v9, vcc, 0, v5, vcc
	v_add_co_u32_e32 v4, vcc, 0x6000, v4
	global_load_dwordx2 v[8:9], v[8:9], off
	s_nop 0
	v_addc_co_u32_e32 v5, vcc, 0, v5, vcc
	global_load_dwordx2 v[4:5], v[4:5], off
	s_waitcnt vmcnt(5)
	ds_write2st64_b64 v2, v[6:7], v[30:31] offset1:8
	s_waitcnt vmcnt(3)
	ds_write2st64_b64 v2, v[32:33], v[34:35] offset0:16 offset1:24
	s_waitcnt vmcnt(1)
	ds_write2st64_b64 v2, v[36:37], v[8:9] offset0:32 offset1:40
	s_waitcnt vmcnt(0)
	ds_write_b64 v2, v[4:5] offset:24576
	s_waitcnt lgkmcnt(0)
	s_barrier
.LBB1477_20:
	s_andn2_b64 vcc, exec, s[10:11]
	s_cbranch_vccnz .LBB1477_36
; %bb.21:
	v_cmp_gt_u32_e32 vcc, s3, v0
                                        ; implicit-def: $vgpr2_vgpr3
	s_and_saveexec_b64 s[10:11], vcc
	s_cbranch_execz .LBB1477_23
; %bb.22:
	v_lshlrev_b32_e32 v2, 3, v0
	global_load_dwordx2 v[2:3], v2, s[4:5]
.LBB1477_23:
	s_or_b64 exec, exec, s[10:11]
	v_or_b32_e32 v6, 0x200, v0
	v_cmp_gt_u32_e32 vcc, s3, v6
                                        ; implicit-def: $vgpr4_vgpr5
	s_and_saveexec_b64 s[10:11], vcc
	s_cbranch_execz .LBB1477_25
; %bb.24:
	v_lshlrev_b32_e32 v4, 3, v6
	global_load_dwordx2 v[4:5], v4, s[4:5]
.LBB1477_25:
	s_or_b64 exec, exec, s[10:11]
	v_or_b32_e32 v8, 0x400, v0
	v_cmp_gt_u32_e32 vcc, s3, v8
                                        ; implicit-def: $vgpr6_vgpr7
	s_and_saveexec_b64 s[10:11], vcc
	s_cbranch_execz .LBB1477_27
; %bb.26:
	v_lshlrev_b32_e32 v6, 3, v8
	global_load_dwordx2 v[6:7], v6, s[4:5]
.LBB1477_27:
	s_or_b64 exec, exec, s[10:11]
	v_or_b32_e32 v10, 0x600, v0
	v_cmp_gt_u32_e32 vcc, s3, v10
                                        ; implicit-def: $vgpr8_vgpr9
	s_and_saveexec_b64 s[10:11], vcc
	s_cbranch_execz .LBB1477_29
; %bb.28:
	v_lshlrev_b32_e32 v8, 3, v10
	global_load_dwordx2 v[8:9], v8, s[4:5]
.LBB1477_29:
	s_or_b64 exec, exec, s[10:11]
	v_or_b32_e32 v12, 0x800, v0
	v_cmp_gt_u32_e32 vcc, s3, v12
                                        ; implicit-def: $vgpr10_vgpr11
	s_and_saveexec_b64 s[10:11], vcc
	s_cbranch_execz .LBB1477_31
; %bb.30:
	v_lshlrev_b32_e32 v10, 3, v12
	global_load_dwordx2 v[10:11], v10, s[4:5]
.LBB1477_31:
	s_or_b64 exec, exec, s[10:11]
	v_or_b32_e32 v26, 0xa00, v0
	v_cmp_gt_u32_e32 vcc, s3, v26
                                        ; implicit-def: $vgpr12_vgpr13
	s_and_saveexec_b64 s[10:11], vcc
	s_cbranch_execz .LBB1477_33
; %bb.32:
	v_lshlrev_b32_e32 v12, 3, v26
	global_load_dwordx2 v[12:13], v12, s[4:5]
.LBB1477_33:
	s_or_b64 exec, exec, s[10:11]
	v_or_b32_e32 v30, 0xc00, v0
	v_cmp_gt_u32_e32 vcc, s3, v30
                                        ; implicit-def: $vgpr26_vgpr27
	s_and_saveexec_b64 s[10:11], vcc
	s_cbranch_execz .LBB1477_35
; %bb.34:
	v_lshlrev_b32_e32 v26, 3, v30
	global_load_dwordx2 v[26:27], v26, s[4:5]
.LBB1477_35:
	s_or_b64 exec, exec, s[10:11]
	s_movk_i32 s4, 0xffd0
	v_mad_i32_i24 v30, v0, s4, v44
	s_waitcnt vmcnt(0)
	ds_write2st64_b64 v30, v[2:3], v[4:5] offset1:8
	ds_write2st64_b64 v30, v[6:7], v[8:9] offset0:16 offset1:24
	ds_write2st64_b64 v30, v[10:11], v[12:13] offset0:32 offset1:40
	ds_write_b64 v30, v[26:27] offset:24576
	s_waitcnt lgkmcnt(0)
	s_barrier
.LBB1477_36:
	ds_read2_b64 v[10:13], v44 offset1:1
	ds_read2_b64 v[6:9], v44 offset0:2 offset1:3
	ds_read2_b64 v[2:5], v44 offset0:4 offset1:5
	ds_read_b64 v[26:27], v44 offset:48
	s_cmp_lg_u32 s2, 0
	s_cselect_b64 s[16:17], -1, 0
	s_cmp_lg_u64 s[6:7], 0
	s_cselect_b64 s[4:5], -1, 0
	s_or_b64 s[4:5], s[16:17], s[4:5]
	v_add_u32_e32 v41, 1, v1
	v_add_u32_e32 v38, 2, v1
	;; [unrolled: 1-line block ×6, first 2 shown]
	s_mov_b64 s[10:11], 0
	s_and_b64 vcc, exec, s[4:5]
	v_cmp_gt_i64_e64 s[4:5], s[26:27], 0
	s_waitcnt lgkmcnt(0)
	s_barrier
	s_cbranch_vccz .LBB1477_45
; %bb.37:
	s_add_u32 s6, s12, -8
	s_addc_u32 s7, s13, -1
	s_load_dwordx2 s[6:7], s[6:7], 0x0
	v_cndmask_b32_e64 v30, 0, 1, s[4:5]
	v_lshlrev_b32_e32 v45, 3, v0
	s_and_b64 vcc, exec, s[34:35]
	v_cmp_ne_u32_e64 s[4:5], 1, v30
	ds_write_b64 v45, v[28:29]
	s_cbranch_vccz .LBB1477_47
; %bb.38:
	v_mul_lo_u32 v32, v17, s26
	v_mul_lo_u32 v33, v16, s27
	v_mad_u64_u32 v[30:31], s[12:13], v16, s26, 0
	v_add3_u32 v31, v31, v33, v32
	s_and_b64 vcc, exec, s[4:5]
	v_lshl_add_u64 v[30:31], v[30:31], 1, s[28:29]
	s_cbranch_vccnz .LBB1477_50
; %bb.39:
	v_mul_lo_u32 v34, v29, s26
	v_mul_lo_u32 v35, v28, s27
	v_mad_u64_u32 v[32:33], s[10:11], v28, s26, 0
	v_add3_u32 v33, v33, v35, v34
	v_lshl_add_u64 v[32:33], v[32:33], 1, s[28:29]
	global_load_ushort v34, v[30:31], off
	global_load_ushort v35, v[32:33], off
	s_mov_b64 s[10:11], -1
	s_waitcnt vmcnt(0)
	v_cmp_eq_u16_e32 vcc, v34, v35
	s_and_saveexec_b64 s[12:13], vcc
	s_cbranch_execz .LBB1477_49
; %bb.40:
	s_add_u32 s10, s26, -1
	v_lshl_add_u64 v[32:33], v[32:33], 0, 2
	v_lshl_add_u64 v[34:35], v[30:31], 0, 2
	s_addc_u32 s11, s27, -1
	s_mov_b64 s[14:15], 0
	s_mov_b64 s[36:37], 0
                                        ; implicit-def: $sgpr18_sgpr19
	s_branch .LBB1477_43
.LBB1477_41:                            ;   in Loop: Header=BB1477_43 Depth=1
	global_load_ushort v36, v[34:35], off
	global_load_ushort v37, v[32:33], off
	s_add_u32 s36, s36, 1
	s_addc_u32 s37, s37, 0
	s_andn2_b64 s[18:19], s[18:19], exec
	v_lshl_add_u64 v[32:33], v[32:33], 0, 2
	v_lshl_add_u64 v[34:35], v[34:35], 0, 2
	s_waitcnt vmcnt(0)
	v_cmp_ne_u16_e32 vcc, v36, v37
	s_and_b64 s[38:39], vcc, exec
	s_or_b64 s[18:19], s[18:19], s[38:39]
.LBB1477_42:                            ;   in Loop: Header=BB1477_43 Depth=1
	s_and_b64 s[38:39], exec, s[18:19]
	s_or_b64 s[14:15], s[38:39], s[14:15]
	v_mov_b64_e32 v[36:37], s[36:37]
	s_andn2_b64 exec, exec, s[14:15]
	s_cbranch_execz .LBB1477_48
.LBB1477_43:                            ; =>This Inner Loop Header: Depth=1
	s_or_b64 s[18:19], s[18:19], exec
	s_cmp_eq_u64 s[10:11], s[36:37]
	s_cbranch_scc0 .LBB1477_41
; %bb.44:                               ;   in Loop: Header=BB1477_43 Depth=1
                                        ; implicit-def: $vgpr32_vgpr33
                                        ; implicit-def: $vgpr34_vgpr35
	s_mov_b64 s[36:37], s[26:27]
	s_branch .LBB1477_42
.LBB1477_45:
                                        ; implicit-def: $sgpr18_sgpr19
                                        ; implicit-def: $vgpr48
                                        ; implicit-def: $vgpr47
                                        ; implicit-def: $vgpr46
                                        ; implicit-def: $vgpr34
	s_branch .LBB1477_188
.LBB1477_46:
                                        ; implicit-def: $vgpr30_vgpr31
	s_branch .LBB1477_336
.LBB1477_47:
                                        ; implicit-def: $sgpr18_sgpr19
                                        ; implicit-def: $vgpr48
                                        ; implicit-def: $vgpr47
                                        ; implicit-def: $vgpr46
                                        ; implicit-def: $vgpr34
	s_cbranch_execnz .LBB1477_107
	s_branch .LBB1477_187
.LBB1477_48:
	s_or_b64 exec, exec, s[14:15]
	v_cmp_gt_i64_e32 vcc, s[26:27], v[36:37]
	s_orn2_b64 s[10:11], vcc, exec
.LBB1477_49:
	s_or_b64 exec, exec, s[12:13]
.LBB1477_50:
	v_mul_lo_u32 v34, v15, s26
	v_mul_lo_u32 v35, v14, s27
	v_mad_u64_u32 v[32:33], s[12:13], v14, s26, 0
	v_add3_u32 v33, v33, v35, v34
	s_mov_b64 s[12:13], 0
	s_and_b64 vcc, exec, s[4:5]
	v_lshl_add_u64 v[32:33], v[32:33], 1, s[28:29]
	s_mov_b64 s[14:15], 0
	s_cbranch_vccnz .LBB1477_59
; %bb.51:
	global_load_ushort v34, v[32:33], off
	global_load_ushort v35, v[30:31], off
	s_mov_b64 s[14:15], -1
	s_waitcnt vmcnt(0)
	v_cmp_eq_u16_e32 vcc, v34, v35
	s_and_saveexec_b64 s[18:19], vcc
	s_cbranch_execz .LBB1477_58
; %bb.52:
	s_add_u32 s14, s26, -1
	v_lshl_add_u64 v[30:31], v[30:31], 0, 2
	v_lshl_add_u64 v[34:35], v[32:33], 0, 2
	s_addc_u32 s15, s27, -1
	s_mov_b64 s[36:37], 0
	s_mov_b64 s[40:41], 0
                                        ; implicit-def: $sgpr38_sgpr39
	s_branch .LBB1477_55
.LBB1477_53:                            ;   in Loop: Header=BB1477_55 Depth=1
	global_load_ushort v36, v[34:35], off
	global_load_ushort v37, v[30:31], off
	s_add_u32 s40, s40, 1
	s_addc_u32 s41, s41, 0
	s_andn2_b64 s[38:39], s[38:39], exec
	v_lshl_add_u64 v[30:31], v[30:31], 0, 2
	v_lshl_add_u64 v[34:35], v[34:35], 0, 2
	s_waitcnt vmcnt(0)
	v_cmp_ne_u16_e32 vcc, v36, v37
	s_and_b64 s[42:43], vcc, exec
	s_or_b64 s[38:39], s[38:39], s[42:43]
.LBB1477_54:                            ;   in Loop: Header=BB1477_55 Depth=1
	s_and_b64 s[42:43], exec, s[38:39]
	s_or_b64 s[36:37], s[42:43], s[36:37]
	v_mov_b64_e32 v[36:37], s[40:41]
	s_andn2_b64 exec, exec, s[36:37]
	s_cbranch_execz .LBB1477_57
.LBB1477_55:                            ; =>This Inner Loop Header: Depth=1
	s_or_b64 s[38:39], s[38:39], exec
	s_cmp_eq_u64 s[14:15], s[40:41]
	s_cbranch_scc0 .LBB1477_53
; %bb.56:                               ;   in Loop: Header=BB1477_55 Depth=1
                                        ; implicit-def: $vgpr30_vgpr31
                                        ; implicit-def: $vgpr34_vgpr35
	s_mov_b64 s[40:41], s[26:27]
	s_branch .LBB1477_54
.LBB1477_57:
	s_or_b64 exec, exec, s[36:37]
	v_cmp_gt_i64_e32 vcc, s[26:27], v[36:37]
	s_orn2_b64 s[14:15], vcc, exec
.LBB1477_58:
	s_or_b64 exec, exec, s[18:19]
.LBB1477_59:
	v_mul_lo_u32 v34, v21, s26
	v_mul_lo_u32 v35, v20, s27
	v_mad_u64_u32 v[30:31], s[18:19], v20, s26, 0
	v_add3_u32 v31, v31, v35, v34
	s_and_b64 vcc, exec, s[4:5]
	v_lshl_add_u64 v[30:31], v[30:31], 1, s[28:29]
	s_cbranch_vccnz .LBB1477_68
; %bb.60:
	global_load_ushort v34, v[30:31], off
	global_load_ushort v35, v[32:33], off
	s_mov_b64 s[12:13], -1
	s_waitcnt vmcnt(0)
	v_cmp_eq_u16_e32 vcc, v34, v35
	s_and_saveexec_b64 s[18:19], vcc
	s_cbranch_execz .LBB1477_67
; %bb.61:
	s_add_u32 s12, s26, -1
	v_lshl_add_u64 v[32:33], v[32:33], 0, 2
	v_lshl_add_u64 v[34:35], v[30:31], 0, 2
	s_addc_u32 s13, s27, -1
	s_mov_b64 s[36:37], 0
	s_mov_b64 s[40:41], 0
                                        ; implicit-def: $sgpr38_sgpr39
	s_branch .LBB1477_64
.LBB1477_62:                            ;   in Loop: Header=BB1477_64 Depth=1
	global_load_ushort v36, v[34:35], off
	global_load_ushort v37, v[32:33], off
	s_add_u32 s40, s40, 1
	s_addc_u32 s41, s41, 0
	s_andn2_b64 s[38:39], s[38:39], exec
	v_lshl_add_u64 v[32:33], v[32:33], 0, 2
	v_lshl_add_u64 v[34:35], v[34:35], 0, 2
	s_waitcnt vmcnt(0)
	v_cmp_ne_u16_e32 vcc, v36, v37
	s_and_b64 s[42:43], vcc, exec
	s_or_b64 s[38:39], s[38:39], s[42:43]
.LBB1477_63:                            ;   in Loop: Header=BB1477_64 Depth=1
	s_and_b64 s[42:43], exec, s[38:39]
	s_or_b64 s[36:37], s[42:43], s[36:37]
	v_mov_b64_e32 v[36:37], s[40:41]
	s_andn2_b64 exec, exec, s[36:37]
	s_cbranch_execz .LBB1477_66
.LBB1477_64:                            ; =>This Inner Loop Header: Depth=1
	s_or_b64 s[38:39], s[38:39], exec
	s_cmp_eq_u64 s[12:13], s[40:41]
	s_cbranch_scc0 .LBB1477_62
; %bb.65:                               ;   in Loop: Header=BB1477_64 Depth=1
                                        ; implicit-def: $vgpr32_vgpr33
                                        ; implicit-def: $vgpr34_vgpr35
	s_mov_b64 s[40:41], s[26:27]
	s_branch .LBB1477_63
.LBB1477_66:
	s_or_b64 exec, exec, s[36:37]
	v_cmp_gt_i64_e32 vcc, s[26:27], v[36:37]
	s_orn2_b64 s[12:13], vcc, exec
.LBB1477_67:
	s_or_b64 exec, exec, s[18:19]
.LBB1477_68:
	v_mul_lo_u32 v34, v19, s26
	v_mul_lo_u32 v35, v18, s27
	v_mad_u64_u32 v[32:33], s[18:19], v18, s26, 0
	v_add3_u32 v33, v33, v35, v34
	s_mov_b64 s[18:19], 0
	s_and_b64 vcc, exec, s[4:5]
	v_lshl_add_u64 v[34:35], v[32:33], 1, s[28:29]
	s_mov_b64 s[36:37], 0
	s_cbranch_vccnz .LBB1477_77
; %bb.69:
	global_load_ushort v32, v[34:35], off
	global_load_ushort v33, v[30:31], off
	s_mov_b64 s[36:37], -1
	s_waitcnt vmcnt(0)
	v_cmp_eq_u16_e32 vcc, v32, v33
	s_and_saveexec_b64 s[38:39], vcc
	s_cbranch_execz .LBB1477_76
; %bb.70:
	s_add_u32 s36, s26, -1
	v_lshl_add_u64 v[30:31], v[30:31], 0, 2
	v_lshl_add_u64 v[32:33], v[34:35], 0, 2
	s_addc_u32 s37, s27, -1
	s_mov_b64 s[40:41], 0
	s_mov_b64 s[44:45], 0
                                        ; implicit-def: $sgpr42_sgpr43
	s_branch .LBB1477_73
.LBB1477_71:                            ;   in Loop: Header=BB1477_73 Depth=1
	global_load_ushort v36, v[32:33], off
	global_load_ushort v37, v[30:31], off
	s_add_u32 s44, s44, 1
	s_addc_u32 s45, s45, 0
	s_andn2_b64 s[42:43], s[42:43], exec
	v_lshl_add_u64 v[30:31], v[30:31], 0, 2
	v_lshl_add_u64 v[32:33], v[32:33], 0, 2
	s_waitcnt vmcnt(0)
	v_cmp_ne_u16_e32 vcc, v36, v37
	s_and_b64 s[46:47], vcc, exec
	s_or_b64 s[42:43], s[42:43], s[46:47]
.LBB1477_72:                            ;   in Loop: Header=BB1477_73 Depth=1
	s_and_b64 s[46:47], exec, s[42:43]
	s_or_b64 s[40:41], s[46:47], s[40:41]
	v_mov_b64_e32 v[36:37], s[44:45]
	s_andn2_b64 exec, exec, s[40:41]
	s_cbranch_execz .LBB1477_75
.LBB1477_73:                            ; =>This Inner Loop Header: Depth=1
	s_or_b64 s[42:43], s[42:43], exec
	s_cmp_eq_u64 s[36:37], s[44:45]
	s_cbranch_scc0 .LBB1477_71
; %bb.74:                               ;   in Loop: Header=BB1477_73 Depth=1
                                        ; implicit-def: $vgpr30_vgpr31
                                        ; implicit-def: $vgpr32_vgpr33
	s_mov_b64 s[44:45], s[26:27]
	s_branch .LBB1477_72
.LBB1477_75:
	s_or_b64 exec, exec, s[40:41]
	v_cmp_gt_i64_e32 vcc, s[26:27], v[36:37]
	s_orn2_b64 s[36:37], vcc, exec
.LBB1477_76:
	s_or_b64 exec, exec, s[38:39]
.LBB1477_77:
	v_mul_lo_u32 v32, v25, s26
	v_mul_lo_u32 v33, v24, s27
	v_mad_u64_u32 v[30:31], s[38:39], v24, s26, 0
	v_add3_u32 v31, v31, v33, v32
	s_and_b64 vcc, exec, s[4:5]
	v_lshl_add_u64 v[32:33], v[30:31], 1, s[28:29]
	s_cbranch_vccnz .LBB1477_86
; %bb.78:
	global_load_ushort v30, v[32:33], off
	global_load_ushort v31, v[34:35], off
	s_mov_b64 s[18:19], -1
	s_waitcnt vmcnt(0)
	v_cmp_eq_u16_e32 vcc, v30, v31
	s_and_saveexec_b64 s[38:39], vcc
	s_cbranch_execz .LBB1477_85
; %bb.79:
	s_add_u32 s18, s26, -1
	v_lshl_add_u64 v[30:31], v[34:35], 0, 2
	v_lshl_add_u64 v[34:35], v[32:33], 0, 2
	s_addc_u32 s19, s27, -1
	s_mov_b64 s[40:41], 0
	s_mov_b64 s[44:45], 0
                                        ; implicit-def: $sgpr42_sgpr43
	s_branch .LBB1477_82
.LBB1477_80:                            ;   in Loop: Header=BB1477_82 Depth=1
	global_load_ushort v36, v[34:35], off
	global_load_ushort v37, v[30:31], off
	s_add_u32 s44, s44, 1
	s_addc_u32 s45, s45, 0
	s_andn2_b64 s[42:43], s[42:43], exec
	v_lshl_add_u64 v[30:31], v[30:31], 0, 2
	v_lshl_add_u64 v[34:35], v[34:35], 0, 2
	s_waitcnt vmcnt(0)
	v_cmp_ne_u16_e32 vcc, v36, v37
	s_and_b64 s[46:47], vcc, exec
	s_or_b64 s[42:43], s[42:43], s[46:47]
.LBB1477_81:                            ;   in Loop: Header=BB1477_82 Depth=1
	s_and_b64 s[46:47], exec, s[42:43]
	s_or_b64 s[40:41], s[46:47], s[40:41]
	v_mov_b64_e32 v[36:37], s[44:45]
	s_andn2_b64 exec, exec, s[40:41]
	s_cbranch_execz .LBB1477_84
.LBB1477_82:                            ; =>This Inner Loop Header: Depth=1
	s_or_b64 s[42:43], s[42:43], exec
	s_cmp_eq_u64 s[18:19], s[44:45]
	s_cbranch_scc0 .LBB1477_80
; %bb.83:                               ;   in Loop: Header=BB1477_82 Depth=1
                                        ; implicit-def: $vgpr30_vgpr31
                                        ; implicit-def: $vgpr34_vgpr35
	s_mov_b64 s[44:45], s[26:27]
	s_branch .LBB1477_81
.LBB1477_84:
	s_or_b64 exec, exec, s[40:41]
	v_cmp_gt_i64_e32 vcc, s[26:27], v[36:37]
	s_orn2_b64 s[18:19], vcc, exec
.LBB1477_85:
	s_or_b64 exec, exec, s[38:39]
.LBB1477_86:
	v_mul_lo_u32 v34, v23, s26
	v_mul_lo_u32 v35, v22, s27
	v_mad_u64_u32 v[30:31], s[38:39], v22, s26, 0
	v_add3_u32 v31, v31, v35, v34
	s_mov_b64 s[40:41], 0
	s_and_b64 vcc, exec, s[4:5]
	v_lshl_add_u64 v[30:31], v[30:31], 1, s[28:29]
	s_cbranch_vccnz .LBB1477_95
; %bb.87:
	global_load_ushort v34, v[30:31], off
	global_load_ushort v35, v[32:33], off
	s_mov_b64 s[40:41], -1
	s_waitcnt vmcnt(0)
	v_cmp_eq_u16_e32 vcc, v34, v35
	s_and_saveexec_b64 s[38:39], vcc
	s_cbranch_execz .LBB1477_94
; %bb.88:
	s_add_u32 s40, s26, -1
	v_lshl_add_u64 v[32:33], v[32:33], 0, 2
	v_lshl_add_u64 v[34:35], v[30:31], 0, 2
	s_addc_u32 s41, s27, -1
	s_mov_b64 s[42:43], 0
	s_mov_b64 s[46:47], 0
                                        ; implicit-def: $sgpr44_sgpr45
	s_branch .LBB1477_91
.LBB1477_89:                            ;   in Loop: Header=BB1477_91 Depth=1
	global_load_ushort v36, v[34:35], off
	global_load_ushort v37, v[32:33], off
	s_add_u32 s46, s46, 1
	s_addc_u32 s47, s47, 0
	s_andn2_b64 s[44:45], s[44:45], exec
	v_lshl_add_u64 v[32:33], v[32:33], 0, 2
	v_lshl_add_u64 v[34:35], v[34:35], 0, 2
	s_waitcnt vmcnt(0)
	v_cmp_ne_u16_e32 vcc, v36, v37
	s_and_b64 s[48:49], vcc, exec
	s_or_b64 s[44:45], s[44:45], s[48:49]
.LBB1477_90:                            ;   in Loop: Header=BB1477_91 Depth=1
	s_and_b64 s[48:49], exec, s[44:45]
	s_or_b64 s[42:43], s[48:49], s[42:43]
	v_mov_b64_e32 v[36:37], s[46:47]
	s_andn2_b64 exec, exec, s[42:43]
	s_cbranch_execz .LBB1477_93
.LBB1477_91:                            ; =>This Inner Loop Header: Depth=1
	s_or_b64 s[44:45], s[44:45], exec
	s_cmp_eq_u64 s[40:41], s[46:47]
	s_cbranch_scc0 .LBB1477_89
; %bb.92:                               ;   in Loop: Header=BB1477_91 Depth=1
                                        ; implicit-def: $vgpr32_vgpr33
                                        ; implicit-def: $vgpr34_vgpr35
	s_mov_b64 s[46:47], s[26:27]
	s_branch .LBB1477_90
.LBB1477_93:
	s_or_b64 exec, exec, s[42:43]
	v_cmp_gt_i64_e32 vcc, s[26:27], v[36:37]
	s_orn2_b64 s[40:41], vcc, exec
.LBB1477_94:
	s_or_b64 exec, exec, s[38:39]
.LBB1477_95:
	v_cmp_ne_u32_e32 vcc, 0, v0
	s_waitcnt lgkmcnt(0)
	v_mov_b64_e32 v[32:33], s[6:7]
	s_barrier
	s_and_saveexec_b64 s[38:39], vcc
	s_cbranch_execz .LBB1477_97
; %bb.96:
	v_add_u32_e32 v32, -8, v45
	ds_read_b64 v[32:33], v32
.LBB1477_97:
	s_or_b64 exec, exec, s[38:39]
	v_cndmask_b32_e64 v35, 0, 1, s[36:37]
	v_cndmask_b32_e64 v34, 0, 1, s[18:19]
	;; [unrolled: 1-line block ×3, first 2 shown]
	v_lshlrev_b16_e32 v35, 8, v35
	v_lshlrev_b16_e32 v36, 8, v36
	v_or_b32_sdwa v37, v34, v35 dst_sel:WORD_1 dst_unused:UNUSED_PAD src0_sel:DWORD src1_sel:DWORD
	s_mov_b64 s[36:37], 0
	s_and_b64 vcc, exec, s[4:5]
	s_mov_b64 s[18:19], 0
	s_cbranch_vccnz .LBB1477_106
; %bb.98:
	s_waitcnt lgkmcnt(0)
	v_mul_lo_u32 v34, v33, s26
	v_mul_lo_u32 v35, v32, s27
	v_mad_u64_u32 v[32:33], s[18:19], v32, s26, 0
	v_add3_u32 v33, v33, v35, v34
	v_lshl_add_u64 v[32:33], v[32:33], 1, s[28:29]
	global_load_ushort v34, v[32:33], off
	global_load_ushort v35, v[30:31], off
	s_mov_b64 s[18:19], -1
	s_waitcnt vmcnt(0)
	v_cmp_eq_u16_e32 vcc, v34, v35
	s_and_saveexec_b64 s[38:39], vcc
	s_cbranch_execz .LBB1477_105
; %bb.99:
	s_add_u32 s18, s26, -1
	v_lshl_add_u64 v[30:31], v[30:31], 0, 2
	v_lshl_add_u64 v[32:33], v[32:33], 0, 2
	s_addc_u32 s19, s27, -1
	s_mov_b64 s[40:41], 0
	s_mov_b64 s[44:45], 0
                                        ; implicit-def: $sgpr42_sgpr43
	s_branch .LBB1477_102
.LBB1477_100:                           ;   in Loop: Header=BB1477_102 Depth=1
	global_load_ushort v34, v[32:33], off
	global_load_ushort v35, v[30:31], off
	s_add_u32 s44, s44, 1
	s_addc_u32 s45, s45, 0
	s_andn2_b64 s[42:43], s[42:43], exec
	v_lshl_add_u64 v[30:31], v[30:31], 0, 2
	v_lshl_add_u64 v[32:33], v[32:33], 0, 2
	s_waitcnt vmcnt(0)
	v_cmp_ne_u16_e32 vcc, v34, v35
	s_and_b64 s[46:47], vcc, exec
	s_or_b64 s[42:43], s[42:43], s[46:47]
.LBB1477_101:                           ;   in Loop: Header=BB1477_102 Depth=1
	s_and_b64 s[46:47], exec, s[42:43]
	s_or_b64 s[40:41], s[46:47], s[40:41]
	v_mov_b64_e32 v[34:35], s[44:45]
	s_andn2_b64 exec, exec, s[40:41]
	s_cbranch_execz .LBB1477_104
.LBB1477_102:                           ; =>This Inner Loop Header: Depth=1
	s_or_b64 s[42:43], s[42:43], exec
	s_cmp_eq_u64 s[18:19], s[44:45]
	s_cbranch_scc0 .LBB1477_100
; %bb.103:                              ;   in Loop: Header=BB1477_102 Depth=1
                                        ; implicit-def: $vgpr30_vgpr31
                                        ; implicit-def: $vgpr32_vgpr33
	s_mov_b64 s[44:45], s[26:27]
	s_branch .LBB1477_101
.LBB1477_104:
	s_or_b64 exec, exec, s[40:41]
	v_cmp_gt_i64_e32 vcc, s[26:27], v[34:35]
	s_orn2_b64 s[18:19], vcc, exec
.LBB1477_105:
	s_or_b64 exec, exec, s[38:39]
.LBB1477_106:
	v_cndmask_b32_e64 v46, 0, 1, s[12:13]
	v_cndmask_b32_e64 v47, 0, 1, s[14:15]
	;; [unrolled: 1-line block ×3, first 2 shown]
	v_or_b32_e32 v34, v36, v37
	s_and_b64 vcc, exec, s[36:37]
	s_cbranch_vccz .LBB1477_187
.LBB1477_107:
	v_cmp_gt_u32_e32 vcc, s3, v40
	s_mov_b64 s[12:13], 0
	s_mov_b64 s[10:11], 0
	s_and_saveexec_b64 s[14:15], vcc
	s_cbranch_execz .LBB1477_118
; %bb.108:
	s_and_b64 vcc, exec, s[4:5]
	s_mov_b64 s[18:19], 0
	s_cbranch_vccnz .LBB1477_117
; %bb.109:
	s_waitcnt lgkmcnt(0)
	v_mul_lo_u32 v32, v17, s26
	v_mul_lo_u32 v33, v16, s27
	v_mad_u64_u32 v[30:31], s[10:11], v16, s26, 0
	v_add3_u32 v31, v31, v33, v32
	v_mul_lo_u32 v32, v29, s26
	v_mul_lo_u32 v33, v28, s27
	v_mad_u64_u32 v[34:35], s[10:11], v28, s26, 0
	v_add3_u32 v35, v35, v33, v32
	v_lshl_add_u64 v[32:33], v[30:31], 1, s[28:29]
	v_lshl_add_u64 v[30:31], v[34:35], 1, s[28:29]
	global_load_ushort v34, v[32:33], off
	global_load_ushort v35, v[30:31], off
	s_mov_b64 s[18:19], -1
	s_waitcnt vmcnt(0)
	v_cmp_eq_u16_e32 vcc, v34, v35
	s_and_saveexec_b64 s[10:11], vcc
	s_cbranch_execz .LBB1477_116
; %bb.110:
	s_add_u32 s18, s26, -1
	v_lshl_add_u64 v[30:31], v[30:31], 0, 2
	v_lshl_add_u64 v[32:33], v[32:33], 0, 2
	s_addc_u32 s19, s27, -1
	s_mov_b64 s[36:37], 0
	s_mov_b64 s[40:41], 0
                                        ; implicit-def: $sgpr38_sgpr39
	s_branch .LBB1477_113
.LBB1477_111:                           ;   in Loop: Header=BB1477_113 Depth=1
	global_load_ushort v34, v[32:33], off
	global_load_ushort v35, v[30:31], off
	s_add_u32 s40, s40, 1
	s_addc_u32 s41, s41, 0
	s_andn2_b64 s[38:39], s[38:39], exec
	v_lshl_add_u64 v[30:31], v[30:31], 0, 2
	v_lshl_add_u64 v[32:33], v[32:33], 0, 2
	s_waitcnt vmcnt(0)
	v_cmp_ne_u16_e32 vcc, v34, v35
	s_and_b64 s[42:43], vcc, exec
	s_or_b64 s[38:39], s[38:39], s[42:43]
.LBB1477_112:                           ;   in Loop: Header=BB1477_113 Depth=1
	s_and_b64 s[42:43], exec, s[38:39]
	s_or_b64 s[36:37], s[42:43], s[36:37]
	v_mov_b64_e32 v[34:35], s[40:41]
	s_andn2_b64 exec, exec, s[36:37]
	s_cbranch_execz .LBB1477_115
.LBB1477_113:                           ; =>This Inner Loop Header: Depth=1
	s_or_b64 s[38:39], s[38:39], exec
	s_cmp_eq_u64 s[18:19], s[40:41]
	s_cbranch_scc0 .LBB1477_111
; %bb.114:                              ;   in Loop: Header=BB1477_113 Depth=1
                                        ; implicit-def: $vgpr30_vgpr31
                                        ; implicit-def: $vgpr32_vgpr33
	s_mov_b64 s[40:41], s[26:27]
	s_branch .LBB1477_112
.LBB1477_115:
	s_or_b64 exec, exec, s[36:37]
	v_cmp_gt_i64_e32 vcc, s[26:27], v[34:35]
	s_orn2_b64 s[18:19], vcc, exec
.LBB1477_116:
	s_or_b64 exec, exec, s[10:11]
.LBB1477_117:
	s_and_b64 s[10:11], s[18:19], exec
.LBB1477_118:
	s_or_b64 exec, exec, s[14:15]
	v_cmp_gt_u32_e32 vcc, s3, v43
	s_and_saveexec_b64 s[14:15], vcc
	s_cbranch_execz .LBB1477_129
; %bb.119:
	s_and_b64 vcc, exec, s[4:5]
	s_mov_b64 s[18:19], 0
	s_cbranch_vccnz .LBB1477_128
; %bb.120:
	s_waitcnt lgkmcnt(0)
	v_mul_lo_u32 v32, v15, s26
	v_mul_lo_u32 v33, v14, s27
	v_mad_u64_u32 v[30:31], s[12:13], v14, s26, 0
	v_add3_u32 v31, v31, v33, v32
	v_mul_lo_u32 v32, v17, s26
	v_mul_lo_u32 v33, v16, s27
	v_mad_u64_u32 v[34:35], s[12:13], v16, s26, 0
	v_add3_u32 v35, v35, v33, v32
	v_lshl_add_u64 v[32:33], v[30:31], 1, s[28:29]
	v_lshl_add_u64 v[30:31], v[34:35], 1, s[28:29]
	global_load_ushort v34, v[32:33], off
	global_load_ushort v35, v[30:31], off
	s_mov_b64 s[18:19], -1
	s_waitcnt vmcnt(0)
	v_cmp_eq_u16_e32 vcc, v34, v35
	s_and_saveexec_b64 s[12:13], vcc
	s_cbranch_execz .LBB1477_127
; %bb.121:
	s_add_u32 s18, s26, -1
	v_lshl_add_u64 v[30:31], v[30:31], 0, 2
	v_lshl_add_u64 v[32:33], v[32:33], 0, 2
	s_addc_u32 s19, s27, -1
	s_mov_b64 s[36:37], 0
	s_mov_b64 s[40:41], 0
                                        ; implicit-def: $sgpr38_sgpr39
	s_branch .LBB1477_124
.LBB1477_122:                           ;   in Loop: Header=BB1477_124 Depth=1
	global_load_ushort v34, v[32:33], off
	global_load_ushort v35, v[30:31], off
	s_add_u32 s40, s40, 1
	s_addc_u32 s41, s41, 0
	s_andn2_b64 s[38:39], s[38:39], exec
	v_lshl_add_u64 v[30:31], v[30:31], 0, 2
	v_lshl_add_u64 v[32:33], v[32:33], 0, 2
	s_waitcnt vmcnt(0)
	v_cmp_ne_u16_e32 vcc, v34, v35
	s_and_b64 s[42:43], vcc, exec
	s_or_b64 s[38:39], s[38:39], s[42:43]
.LBB1477_123:                           ;   in Loop: Header=BB1477_124 Depth=1
	s_and_b64 s[42:43], exec, s[38:39]
	s_or_b64 s[36:37], s[42:43], s[36:37]
	v_mov_b64_e32 v[34:35], s[40:41]
	s_andn2_b64 exec, exec, s[36:37]
	s_cbranch_execz .LBB1477_126
.LBB1477_124:                           ; =>This Inner Loop Header: Depth=1
	s_or_b64 s[38:39], s[38:39], exec
	s_cmp_eq_u64 s[18:19], s[40:41]
	s_cbranch_scc0 .LBB1477_122
; %bb.125:                              ;   in Loop: Header=BB1477_124 Depth=1
                                        ; implicit-def: $vgpr30_vgpr31
                                        ; implicit-def: $vgpr32_vgpr33
	s_mov_b64 s[40:41], s[26:27]
	s_branch .LBB1477_123
.LBB1477_126:
	s_or_b64 exec, exec, s[36:37]
	v_cmp_gt_i64_e32 vcc, s[26:27], v[34:35]
	s_orn2_b64 s[18:19], vcc, exec
.LBB1477_127:
	s_or_b64 exec, exec, s[12:13]
.LBB1477_128:
	s_and_b64 s[12:13], s[18:19], exec
.LBB1477_129:
	s_or_b64 exec, exec, s[14:15]
	v_cmp_gt_u32_e32 vcc, s3, v39
	s_mov_b64 s[18:19], 0
	s_mov_b64 s[14:15], 0
	s_and_saveexec_b64 s[36:37], vcc
	s_cbranch_execz .LBB1477_140
; %bb.130:
	s_and_b64 vcc, exec, s[4:5]
	s_mov_b64 s[38:39], 0
	s_cbranch_vccnz .LBB1477_139
; %bb.131:
	s_waitcnt lgkmcnt(0)
	v_mul_lo_u32 v32, v21, s26
	v_mul_lo_u32 v33, v20, s27
	v_mad_u64_u32 v[30:31], s[14:15], v20, s26, 0
	v_add3_u32 v31, v31, v33, v32
	v_mul_lo_u32 v32, v15, s26
	v_mul_lo_u32 v33, v14, s27
	v_mad_u64_u32 v[34:35], s[14:15], v14, s26, 0
	v_add3_u32 v35, v35, v33, v32
	v_lshl_add_u64 v[32:33], v[30:31], 1, s[28:29]
	v_lshl_add_u64 v[30:31], v[34:35], 1, s[28:29]
	global_load_ushort v34, v[32:33], off
	global_load_ushort v35, v[30:31], off
	s_mov_b64 s[38:39], -1
	s_waitcnt vmcnt(0)
	v_cmp_eq_u16_e32 vcc, v34, v35
	s_and_saveexec_b64 s[14:15], vcc
	s_cbranch_execz .LBB1477_138
; %bb.132:
	s_add_u32 s38, s26, -1
	v_lshl_add_u64 v[30:31], v[30:31], 0, 2
	v_lshl_add_u64 v[32:33], v[32:33], 0, 2
	s_addc_u32 s39, s27, -1
	s_mov_b64 s[40:41], 0
	s_mov_b64 s[44:45], 0
                                        ; implicit-def: $sgpr42_sgpr43
	s_branch .LBB1477_135
.LBB1477_133:                           ;   in Loop: Header=BB1477_135 Depth=1
	global_load_ushort v34, v[32:33], off
	global_load_ushort v35, v[30:31], off
	s_add_u32 s44, s44, 1
	s_addc_u32 s45, s45, 0
	s_andn2_b64 s[42:43], s[42:43], exec
	v_lshl_add_u64 v[30:31], v[30:31], 0, 2
	v_lshl_add_u64 v[32:33], v[32:33], 0, 2
	s_waitcnt vmcnt(0)
	v_cmp_ne_u16_e32 vcc, v34, v35
	s_and_b64 s[46:47], vcc, exec
	s_or_b64 s[42:43], s[42:43], s[46:47]
.LBB1477_134:                           ;   in Loop: Header=BB1477_135 Depth=1
	s_and_b64 s[46:47], exec, s[42:43]
	s_or_b64 s[40:41], s[46:47], s[40:41]
	v_mov_b64_e32 v[34:35], s[44:45]
	s_andn2_b64 exec, exec, s[40:41]
	s_cbranch_execz .LBB1477_137
.LBB1477_135:                           ; =>This Inner Loop Header: Depth=1
	s_or_b64 s[42:43], s[42:43], exec
	s_cmp_eq_u64 s[38:39], s[44:45]
	s_cbranch_scc0 .LBB1477_133
; %bb.136:                              ;   in Loop: Header=BB1477_135 Depth=1
                                        ; implicit-def: $vgpr30_vgpr31
                                        ; implicit-def: $vgpr32_vgpr33
	s_mov_b64 s[44:45], s[26:27]
	s_branch .LBB1477_134
.LBB1477_137:
	s_or_b64 exec, exec, s[40:41]
	v_cmp_gt_i64_e32 vcc, s[26:27], v[34:35]
	s_orn2_b64 s[38:39], vcc, exec
.LBB1477_138:
	s_or_b64 exec, exec, s[14:15]
.LBB1477_139:
	s_and_b64 s[14:15], s[38:39], exec
.LBB1477_140:
	s_or_b64 exec, exec, s[36:37]
	v_cmp_gt_u32_e32 vcc, s3, v42
	s_and_saveexec_b64 s[36:37], vcc
	s_cbranch_execz .LBB1477_151
; %bb.141:
	s_and_b64 vcc, exec, s[4:5]
	s_mov_b64 s[38:39], 0
	s_cbranch_vccnz .LBB1477_150
; %bb.142:
	s_waitcnt lgkmcnt(0)
	v_mul_lo_u32 v32, v19, s26
	v_mul_lo_u32 v33, v18, s27
	v_mad_u64_u32 v[30:31], s[18:19], v18, s26, 0
	v_add3_u32 v31, v31, v33, v32
	v_mul_lo_u32 v32, v21, s26
	v_mul_lo_u32 v33, v20, s27
	v_mad_u64_u32 v[34:35], s[18:19], v20, s26, 0
	v_add3_u32 v35, v35, v33, v32
	v_lshl_add_u64 v[32:33], v[30:31], 1, s[28:29]
	v_lshl_add_u64 v[30:31], v[34:35], 1, s[28:29]
	global_load_ushort v34, v[32:33], off
	global_load_ushort v35, v[30:31], off
	s_mov_b64 s[38:39], -1
	s_waitcnt vmcnt(0)
	v_cmp_eq_u16_e32 vcc, v34, v35
	s_and_saveexec_b64 s[18:19], vcc
	s_cbranch_execz .LBB1477_149
; %bb.143:
	s_add_u32 s38, s26, -1
	v_lshl_add_u64 v[30:31], v[30:31], 0, 2
	v_lshl_add_u64 v[32:33], v[32:33], 0, 2
	s_addc_u32 s39, s27, -1
	s_mov_b64 s[40:41], 0
	s_mov_b64 s[44:45], 0
                                        ; implicit-def: $sgpr42_sgpr43
	s_branch .LBB1477_146
.LBB1477_144:                           ;   in Loop: Header=BB1477_146 Depth=1
	global_load_ushort v34, v[32:33], off
	global_load_ushort v35, v[30:31], off
	s_add_u32 s44, s44, 1
	s_addc_u32 s45, s45, 0
	s_andn2_b64 s[42:43], s[42:43], exec
	v_lshl_add_u64 v[30:31], v[30:31], 0, 2
	v_lshl_add_u64 v[32:33], v[32:33], 0, 2
	s_waitcnt vmcnt(0)
	v_cmp_ne_u16_e32 vcc, v34, v35
	s_and_b64 s[46:47], vcc, exec
	s_or_b64 s[42:43], s[42:43], s[46:47]
.LBB1477_145:                           ;   in Loop: Header=BB1477_146 Depth=1
	s_and_b64 s[46:47], exec, s[42:43]
	s_or_b64 s[40:41], s[46:47], s[40:41]
	v_mov_b64_e32 v[34:35], s[44:45]
	s_andn2_b64 exec, exec, s[40:41]
	s_cbranch_execz .LBB1477_148
.LBB1477_146:                           ; =>This Inner Loop Header: Depth=1
	s_or_b64 s[42:43], s[42:43], exec
	s_cmp_eq_u64 s[38:39], s[44:45]
	s_cbranch_scc0 .LBB1477_144
; %bb.147:                              ;   in Loop: Header=BB1477_146 Depth=1
                                        ; implicit-def: $vgpr30_vgpr31
                                        ; implicit-def: $vgpr32_vgpr33
	s_mov_b64 s[44:45], s[26:27]
	s_branch .LBB1477_145
.LBB1477_148:
	s_or_b64 exec, exec, s[40:41]
	v_cmp_gt_i64_e32 vcc, s[26:27], v[34:35]
	s_orn2_b64 s[38:39], vcc, exec
.LBB1477_149:
	s_or_b64 exec, exec, s[18:19]
.LBB1477_150:
	s_and_b64 s[18:19], s[38:39], exec
.LBB1477_151:
	s_or_b64 exec, exec, s[36:37]
	v_cmp_gt_u32_e32 vcc, s3, v38
	s_mov_b64 s[36:37], 0
	s_mov_b64 s[38:39], 0
	s_and_saveexec_b64 s[40:41], vcc
	s_cbranch_execz .LBB1477_162
; %bb.152:
	s_and_b64 vcc, exec, s[4:5]
	s_mov_b64 s[42:43], 0
	s_cbranch_vccnz .LBB1477_161
; %bb.153:
	s_waitcnt lgkmcnt(0)
	v_mul_lo_u32 v32, v25, s26
	v_mul_lo_u32 v33, v24, s27
	v_mad_u64_u32 v[30:31], s[38:39], v24, s26, 0
	v_add3_u32 v31, v31, v33, v32
	v_mul_lo_u32 v32, v19, s26
	v_mul_lo_u32 v33, v18, s27
	v_mad_u64_u32 v[34:35], s[38:39], v18, s26, 0
	v_add3_u32 v35, v35, v33, v32
	v_lshl_add_u64 v[32:33], v[30:31], 1, s[28:29]
	v_lshl_add_u64 v[30:31], v[34:35], 1, s[28:29]
	global_load_ushort v34, v[32:33], off
	global_load_ushort v35, v[30:31], off
	s_mov_b64 s[42:43], -1
	s_waitcnt vmcnt(0)
	v_cmp_eq_u16_e32 vcc, v34, v35
	s_and_saveexec_b64 s[38:39], vcc
	s_cbranch_execz .LBB1477_160
; %bb.154:
	s_add_u32 s42, s26, -1
	v_lshl_add_u64 v[30:31], v[30:31], 0, 2
	v_lshl_add_u64 v[32:33], v[32:33], 0, 2
	s_addc_u32 s43, s27, -1
	s_mov_b64 s[44:45], 0
	s_mov_b64 s[48:49], 0
                                        ; implicit-def: $sgpr46_sgpr47
	s_branch .LBB1477_157
.LBB1477_155:                           ;   in Loop: Header=BB1477_157 Depth=1
	global_load_ushort v34, v[32:33], off
	global_load_ushort v35, v[30:31], off
	s_add_u32 s48, s48, 1
	s_addc_u32 s49, s49, 0
	s_andn2_b64 s[46:47], s[46:47], exec
	v_lshl_add_u64 v[30:31], v[30:31], 0, 2
	v_lshl_add_u64 v[32:33], v[32:33], 0, 2
	s_waitcnt vmcnt(0)
	v_cmp_ne_u16_e32 vcc, v34, v35
	s_and_b64 s[50:51], vcc, exec
	s_or_b64 s[46:47], s[46:47], s[50:51]
.LBB1477_156:                           ;   in Loop: Header=BB1477_157 Depth=1
	s_and_b64 s[50:51], exec, s[46:47]
	s_or_b64 s[44:45], s[50:51], s[44:45]
	v_mov_b64_e32 v[34:35], s[48:49]
	s_andn2_b64 exec, exec, s[44:45]
	s_cbranch_execz .LBB1477_159
.LBB1477_157:                           ; =>This Inner Loop Header: Depth=1
	s_or_b64 s[46:47], s[46:47], exec
	s_cmp_eq_u64 s[42:43], s[48:49]
	s_cbranch_scc0 .LBB1477_155
; %bb.158:                              ;   in Loop: Header=BB1477_157 Depth=1
                                        ; implicit-def: $vgpr30_vgpr31
                                        ; implicit-def: $vgpr32_vgpr33
	s_mov_b64 s[48:49], s[26:27]
	s_branch .LBB1477_156
.LBB1477_159:
	s_or_b64 exec, exec, s[44:45]
	v_cmp_gt_i64_e32 vcc, s[26:27], v[34:35]
	s_orn2_b64 s[42:43], vcc, exec
.LBB1477_160:
	s_or_b64 exec, exec, s[38:39]
.LBB1477_161:
	s_and_b64 s[38:39], s[42:43], exec
.LBB1477_162:
	s_or_b64 exec, exec, s[40:41]
	v_cmp_gt_u32_e32 vcc, s3, v41
	s_and_saveexec_b64 s[40:41], vcc
	s_cbranch_execz .LBB1477_173
; %bb.163:
	s_and_b64 vcc, exec, s[4:5]
	s_mov_b64 s[42:43], 0
	s_cbranch_vccnz .LBB1477_172
; %bb.164:
	s_waitcnt lgkmcnt(0)
	v_mul_lo_u32 v32, v23, s26
	v_mul_lo_u32 v33, v22, s27
	v_mad_u64_u32 v[30:31], s[36:37], v22, s26, 0
	v_add3_u32 v31, v31, v33, v32
	v_mul_lo_u32 v32, v25, s26
	v_mul_lo_u32 v33, v24, s27
	v_mad_u64_u32 v[34:35], s[36:37], v24, s26, 0
	v_add3_u32 v35, v35, v33, v32
	v_lshl_add_u64 v[32:33], v[30:31], 1, s[28:29]
	v_lshl_add_u64 v[30:31], v[34:35], 1, s[28:29]
	global_load_ushort v34, v[32:33], off
	global_load_ushort v35, v[30:31], off
	s_mov_b64 s[42:43], -1
	s_waitcnt vmcnt(0)
	v_cmp_eq_u16_e32 vcc, v34, v35
	s_and_saveexec_b64 s[36:37], vcc
	s_cbranch_execz .LBB1477_171
; %bb.165:
	s_add_u32 s42, s26, -1
	v_lshl_add_u64 v[30:31], v[30:31], 0, 2
	v_lshl_add_u64 v[32:33], v[32:33], 0, 2
	s_addc_u32 s43, s27, -1
	s_mov_b64 s[44:45], 0
	s_mov_b64 s[48:49], 0
                                        ; implicit-def: $sgpr46_sgpr47
	s_branch .LBB1477_168
.LBB1477_166:                           ;   in Loop: Header=BB1477_168 Depth=1
	global_load_ushort v34, v[32:33], off
	global_load_ushort v35, v[30:31], off
	s_add_u32 s48, s48, 1
	s_addc_u32 s49, s49, 0
	s_andn2_b64 s[46:47], s[46:47], exec
	v_lshl_add_u64 v[30:31], v[30:31], 0, 2
	v_lshl_add_u64 v[32:33], v[32:33], 0, 2
	s_waitcnt vmcnt(0)
	v_cmp_ne_u16_e32 vcc, v34, v35
	s_and_b64 s[50:51], vcc, exec
	s_or_b64 s[46:47], s[46:47], s[50:51]
.LBB1477_167:                           ;   in Loop: Header=BB1477_168 Depth=1
	s_and_b64 s[50:51], exec, s[46:47]
	s_or_b64 s[44:45], s[50:51], s[44:45]
	v_mov_b64_e32 v[34:35], s[48:49]
	s_andn2_b64 exec, exec, s[44:45]
	s_cbranch_execz .LBB1477_170
.LBB1477_168:                           ; =>This Inner Loop Header: Depth=1
	s_or_b64 s[46:47], s[46:47], exec
	s_cmp_eq_u64 s[42:43], s[48:49]
	s_cbranch_scc0 .LBB1477_166
; %bb.169:                              ;   in Loop: Header=BB1477_168 Depth=1
                                        ; implicit-def: $vgpr30_vgpr31
                                        ; implicit-def: $vgpr32_vgpr33
	s_mov_b64 s[48:49], s[26:27]
	s_branch .LBB1477_167
.LBB1477_170:
	s_or_b64 exec, exec, s[44:45]
	v_cmp_gt_i64_e32 vcc, s[26:27], v[34:35]
	s_orn2_b64 s[42:43], vcc, exec
.LBB1477_171:
	s_or_b64 exec, exec, s[36:37]
.LBB1477_172:
	s_and_b64 s[36:37], s[42:43], exec
.LBB1477_173:
	s_or_b64 exec, exec, s[40:41]
	v_cmp_ne_u32_e32 vcc, 0, v0
	s_waitcnt lgkmcnt(0)
	v_mov_b64_e32 v[30:31], s[6:7]
	s_barrier
	s_and_saveexec_b64 s[6:7], vcc
	s_cbranch_execz .LBB1477_175
; %bb.174:
	v_add_u32_e32 v30, -8, v45
	ds_read_b64 v[30:31], v30
.LBB1477_175:
	s_or_b64 exec, exec, s[6:7]
	v_cndmask_b32_e64 v33, 0, 1, s[18:19]
	v_cndmask_b32_e64 v32, 0, 1, s[38:39]
	;; [unrolled: 1-line block ×3, first 2 shown]
	v_lshlrev_b16_e32 v33, 8, v33
	v_cmp_gt_u32_e32 vcc, s3, v1
	v_lshlrev_b16_e32 v36, 8, v34
	v_or_b32_sdwa v37, v32, v33 dst_sel:WORD_1 dst_unused:UNUSED_PAD src0_sel:DWORD src1_sel:DWORD
	s_mov_b64 s[18:19], 0
	s_and_saveexec_b64 s[6:7], vcc
	s_cbranch_execz .LBB1477_186
; %bb.176:
	s_and_b64 vcc, exec, s[4:5]
	s_cbranch_vccnz .LBB1477_185
; %bb.177:
	s_waitcnt lgkmcnt(0)
	v_mul_lo_u32 v32, v31, s26
	v_mul_lo_u32 v33, v30, s27
	v_mad_u64_u32 v[30:31], s[4:5], v30, s26, 0
	v_add3_u32 v31, v31, v33, v32
	v_mul_lo_u32 v32, v23, s26
	v_mul_lo_u32 v33, v22, s27
	v_mad_u64_u32 v[34:35], s[4:5], v22, s26, 0
	v_add3_u32 v35, v35, v33, v32
	v_lshl_add_u64 v[32:33], v[30:31], 1, s[28:29]
	v_lshl_add_u64 v[30:31], v[34:35], 1, s[28:29]
	global_load_ushort v34, v[32:33], off
	global_load_ushort v35, v[30:31], off
	s_mov_b64 s[18:19], -1
	s_waitcnt vmcnt(0)
	v_cmp_eq_u16_e32 vcc, v34, v35
	s_and_saveexec_b64 s[4:5], vcc
	s_cbranch_execz .LBB1477_184
; %bb.178:
	s_add_u32 s18, s26, -1
	v_lshl_add_u64 v[30:31], v[30:31], 0, 2
	v_lshl_add_u64 v[32:33], v[32:33], 0, 2
	s_addc_u32 s19, s27, -1
	s_mov_b64 s[36:37], 0
	s_mov_b64 s[40:41], 0
                                        ; implicit-def: $sgpr38_sgpr39
	s_branch .LBB1477_181
.LBB1477_179:                           ;   in Loop: Header=BB1477_181 Depth=1
	global_load_ushort v34, v[32:33], off
	global_load_ushort v35, v[30:31], off
	s_add_u32 s40, s40, 1
	s_addc_u32 s41, s41, 0
	s_andn2_b64 s[38:39], s[38:39], exec
	v_lshl_add_u64 v[30:31], v[30:31], 0, 2
	v_lshl_add_u64 v[32:33], v[32:33], 0, 2
	s_waitcnt vmcnt(0)
	v_cmp_ne_u16_e32 vcc, v34, v35
	s_and_b64 s[42:43], vcc, exec
	s_or_b64 s[38:39], s[38:39], s[42:43]
.LBB1477_180:                           ;   in Loop: Header=BB1477_181 Depth=1
	s_and_b64 s[42:43], exec, s[38:39]
	s_or_b64 s[36:37], s[42:43], s[36:37]
	v_mov_b64_e32 v[34:35], s[40:41]
	s_andn2_b64 exec, exec, s[36:37]
	s_cbranch_execz .LBB1477_183
.LBB1477_181:                           ; =>This Inner Loop Header: Depth=1
	s_or_b64 s[38:39], s[38:39], exec
	s_cmp_eq_u64 s[18:19], s[40:41]
	s_cbranch_scc0 .LBB1477_179
; %bb.182:                              ;   in Loop: Header=BB1477_181 Depth=1
                                        ; implicit-def: $vgpr30_vgpr31
                                        ; implicit-def: $vgpr32_vgpr33
	s_mov_b64 s[40:41], s[26:27]
	s_branch .LBB1477_180
.LBB1477_183:
	s_or_b64 exec, exec, s[36:37]
	v_cmp_gt_i64_e32 vcc, s[26:27], v[34:35]
	s_orn2_b64 s[18:19], vcc, exec
.LBB1477_184:
	s_or_b64 exec, exec, s[4:5]
.LBB1477_185:
	s_and_b64 s[18:19], s[18:19], exec
.LBB1477_186:
	s_or_b64 exec, exec, s[6:7]
	v_cndmask_b32_e64 v46, 0, 1, s[14:15]
	v_cndmask_b32_e64 v47, 0, 1, s[12:13]
	v_cndmask_b32_e64 v48, 0, 1, s[10:11]
	v_or_b32_e32 v34, v36, v37
.LBB1477_187:
	s_mov_b64 s[10:11], -1
	s_cbranch_execnz .LBB1477_46
.LBB1477_188:
	s_movk_i32 s4, 0xffd0
	v_mad_i32_i24 v44, v0, s4, v44
	s_mov_b64 s[12:13], 0
	s_waitcnt lgkmcnt(0)
	v_cmp_gt_i64_e64 s[6:7], s[26:27], 0
	s_and_b64 vcc, exec, s[34:35]
	ds_write_b64 v44, v[28:29]
	s_cbranch_vccz .LBB1477_196
; %bb.189:
	v_mul_lo_u32 v32, v17, s26
	v_mul_lo_u32 v33, v16, s27
	v_mad_u64_u32 v[30:31], s[4:5], v16, s26, 0
	v_add3_u32 v31, v31, v33, v32
	v_cndmask_b32_e64 v32, 0, 1, s[6:7]
	v_cmp_ne_u32_e64 s[4:5], 1, v32
	s_andn2_b64 vcc, exec, s[6:7]
	v_lshl_add_u64 v[30:31], v[30:31], 1, s[28:29]
	s_cbranch_vccnz .LBB1477_199
; %bb.190:
	v_mul_lo_u32 v34, v29, s26
	v_mul_lo_u32 v35, v28, s27
	v_mad_u64_u32 v[32:33], s[12:13], v28, s26, 0
	v_add3_u32 v33, v33, v35, v34
	v_lshl_add_u64 v[32:33], v[32:33], 1, s[28:29]
	global_load_ushort v34, v[30:31], off
	global_load_ushort v35, v[32:33], off
	s_mov_b64 s[12:13], -1
	s_waitcnt vmcnt(0)
	v_cmp_eq_u16_e32 vcc, v34, v35
	s_and_saveexec_b64 s[14:15], vcc
	s_cbranch_execz .LBB1477_198
; %bb.191:
	s_add_u32 s12, s26, -1
	v_lshl_add_u64 v[32:33], v[32:33], 0, 2
	v_lshl_add_u64 v[34:35], v[30:31], 0, 2
	s_addc_u32 s13, s27, -1
	s_mov_b64 s[18:19], 0
	s_mov_b64 s[38:39], 0
                                        ; implicit-def: $sgpr36_sgpr37
	s_branch .LBB1477_194
.LBB1477_192:                           ;   in Loop: Header=BB1477_194 Depth=1
	global_load_ushort v36, v[34:35], off
	global_load_ushort v37, v[32:33], off
	s_add_u32 s38, s38, 1
	s_addc_u32 s39, s39, 0
	s_andn2_b64 s[36:37], s[36:37], exec
	v_lshl_add_u64 v[32:33], v[32:33], 0, 2
	v_lshl_add_u64 v[34:35], v[34:35], 0, 2
	s_waitcnt vmcnt(0)
	v_cmp_ne_u16_e32 vcc, v36, v37
	s_and_b64 s[40:41], vcc, exec
	s_or_b64 s[36:37], s[36:37], s[40:41]
.LBB1477_193:                           ;   in Loop: Header=BB1477_194 Depth=1
	s_and_b64 s[40:41], exec, s[36:37]
	s_or_b64 s[18:19], s[40:41], s[18:19]
	v_mov_b64_e32 v[36:37], s[38:39]
	s_andn2_b64 exec, exec, s[18:19]
	s_cbranch_execz .LBB1477_197
.LBB1477_194:                           ; =>This Inner Loop Header: Depth=1
	s_or_b64 s[36:37], s[36:37], exec
	s_cmp_eq_u64 s[12:13], s[38:39]
	s_cbranch_scc0 .LBB1477_192
; %bb.195:                              ;   in Loop: Header=BB1477_194 Depth=1
                                        ; implicit-def: $vgpr32_vgpr33
                                        ; implicit-def: $vgpr34_vgpr35
	s_mov_b64 s[38:39], s[26:27]
	s_branch .LBB1477_193
.LBB1477_196:
                                        ; implicit-def: $sgpr18_sgpr19
                                        ; implicit-def: $vgpr48
                                        ; implicit-def: $vgpr47
                                        ; implicit-def: $vgpr46
                                        ; implicit-def: $vgpr34
                                        ; implicit-def: $vgpr30_vgpr31
	s_cbranch_execnz .LBB1477_256
	s_branch .LBB1477_336
.LBB1477_197:
	s_or_b64 exec, exec, s[18:19]
	v_cmp_gt_i64_e32 vcc, s[26:27], v[36:37]
	s_orn2_b64 s[12:13], vcc, exec
.LBB1477_198:
	s_or_b64 exec, exec, s[14:15]
.LBB1477_199:
	v_mul_lo_u32 v34, v15, s26
	v_mul_lo_u32 v35, v14, s27
	v_mad_u64_u32 v[32:33], s[14:15], v14, s26, 0
	v_add3_u32 v33, v33, v35, v34
	s_mov_b64 s[14:15], 0
	s_and_b64 vcc, exec, s[4:5]
	v_lshl_add_u64 v[32:33], v[32:33], 1, s[28:29]
	s_mov_b64 s[18:19], 0
	s_cbranch_vccnz .LBB1477_208
; %bb.200:
	global_load_ushort v34, v[32:33], off
	global_load_ushort v35, v[30:31], off
	s_mov_b64 s[18:19], -1
	s_waitcnt vmcnt(0)
	v_cmp_eq_u16_e32 vcc, v34, v35
	s_and_saveexec_b64 s[36:37], vcc
	s_cbranch_execz .LBB1477_207
; %bb.201:
	s_add_u32 s18, s26, -1
	v_lshl_add_u64 v[30:31], v[30:31], 0, 2
	v_lshl_add_u64 v[34:35], v[32:33], 0, 2
	s_addc_u32 s19, s27, -1
	s_mov_b64 s[38:39], 0
	s_mov_b64 s[42:43], 0
                                        ; implicit-def: $sgpr40_sgpr41
	s_branch .LBB1477_204
.LBB1477_202:                           ;   in Loop: Header=BB1477_204 Depth=1
	global_load_ushort v36, v[34:35], off
	global_load_ushort v37, v[30:31], off
	s_add_u32 s42, s42, 1
	s_addc_u32 s43, s43, 0
	s_andn2_b64 s[40:41], s[40:41], exec
	v_lshl_add_u64 v[30:31], v[30:31], 0, 2
	v_lshl_add_u64 v[34:35], v[34:35], 0, 2
	s_waitcnt vmcnt(0)
	v_cmp_ne_u16_e32 vcc, v36, v37
	s_and_b64 s[44:45], vcc, exec
	s_or_b64 s[40:41], s[40:41], s[44:45]
.LBB1477_203:                           ;   in Loop: Header=BB1477_204 Depth=1
	s_and_b64 s[44:45], exec, s[40:41]
	s_or_b64 s[38:39], s[44:45], s[38:39]
	v_mov_b64_e32 v[36:37], s[42:43]
	s_andn2_b64 exec, exec, s[38:39]
	s_cbranch_execz .LBB1477_206
.LBB1477_204:                           ; =>This Inner Loop Header: Depth=1
	s_or_b64 s[40:41], s[40:41], exec
	s_cmp_eq_u64 s[18:19], s[42:43]
	s_cbranch_scc0 .LBB1477_202
; %bb.205:                              ;   in Loop: Header=BB1477_204 Depth=1
                                        ; implicit-def: $vgpr30_vgpr31
                                        ; implicit-def: $vgpr34_vgpr35
	s_mov_b64 s[42:43], s[26:27]
	s_branch .LBB1477_203
.LBB1477_206:
	s_or_b64 exec, exec, s[38:39]
	v_cmp_gt_i64_e32 vcc, s[26:27], v[36:37]
	s_orn2_b64 s[18:19], vcc, exec
.LBB1477_207:
	s_or_b64 exec, exec, s[36:37]
.LBB1477_208:
	v_mul_lo_u32 v34, v21, s26
	v_mul_lo_u32 v35, v20, s27
	v_mad_u64_u32 v[30:31], s[36:37], v20, s26, 0
	v_add3_u32 v31, v31, v35, v34
	s_and_b64 vcc, exec, s[4:5]
	v_lshl_add_u64 v[30:31], v[30:31], 1, s[28:29]
	s_cbranch_vccnz .LBB1477_217
; %bb.209:
	global_load_ushort v34, v[30:31], off
	global_load_ushort v35, v[32:33], off
	s_mov_b64 s[14:15], -1
	s_waitcnt vmcnt(0)
	v_cmp_eq_u16_e32 vcc, v34, v35
	s_and_saveexec_b64 s[36:37], vcc
	s_cbranch_execz .LBB1477_216
; %bb.210:
	s_add_u32 s14, s26, -1
	v_lshl_add_u64 v[32:33], v[32:33], 0, 2
	v_lshl_add_u64 v[34:35], v[30:31], 0, 2
	s_addc_u32 s15, s27, -1
	s_mov_b64 s[38:39], 0
	s_mov_b64 s[42:43], 0
                                        ; implicit-def: $sgpr40_sgpr41
	s_branch .LBB1477_213
.LBB1477_211:                           ;   in Loop: Header=BB1477_213 Depth=1
	global_load_ushort v36, v[34:35], off
	global_load_ushort v37, v[32:33], off
	s_add_u32 s42, s42, 1
	s_addc_u32 s43, s43, 0
	s_andn2_b64 s[40:41], s[40:41], exec
	v_lshl_add_u64 v[32:33], v[32:33], 0, 2
	v_lshl_add_u64 v[34:35], v[34:35], 0, 2
	s_waitcnt vmcnt(0)
	v_cmp_ne_u16_e32 vcc, v36, v37
	s_and_b64 s[44:45], vcc, exec
	s_or_b64 s[40:41], s[40:41], s[44:45]
.LBB1477_212:                           ;   in Loop: Header=BB1477_213 Depth=1
	s_and_b64 s[44:45], exec, s[40:41]
	s_or_b64 s[38:39], s[44:45], s[38:39]
	v_mov_b64_e32 v[36:37], s[42:43]
	s_andn2_b64 exec, exec, s[38:39]
	s_cbranch_execz .LBB1477_215
.LBB1477_213:                           ; =>This Inner Loop Header: Depth=1
	s_or_b64 s[40:41], s[40:41], exec
	s_cmp_eq_u64 s[14:15], s[42:43]
	s_cbranch_scc0 .LBB1477_211
; %bb.214:                              ;   in Loop: Header=BB1477_213 Depth=1
                                        ; implicit-def: $vgpr32_vgpr33
                                        ; implicit-def: $vgpr34_vgpr35
	s_mov_b64 s[42:43], s[26:27]
	s_branch .LBB1477_212
.LBB1477_215:
	s_or_b64 exec, exec, s[38:39]
	v_cmp_gt_i64_e32 vcc, s[26:27], v[36:37]
	s_orn2_b64 s[14:15], vcc, exec
.LBB1477_216:
	s_or_b64 exec, exec, s[36:37]
.LBB1477_217:
	v_mul_lo_u32 v34, v19, s26
	v_mul_lo_u32 v35, v18, s27
	v_mad_u64_u32 v[32:33], s[36:37], v18, s26, 0
	v_add3_u32 v33, v33, v35, v34
	s_mov_b64 s[36:37], 0
	s_and_b64 vcc, exec, s[4:5]
	v_lshl_add_u64 v[32:33], v[32:33], 1, s[28:29]
	s_mov_b64 s[38:39], 0
	s_cbranch_vccnz .LBB1477_226
; %bb.218:
	global_load_ushort v34, v[32:33], off
	global_load_ushort v35, v[30:31], off
	s_mov_b64 s[38:39], -1
	s_waitcnt vmcnt(0)
	v_cmp_eq_u16_e32 vcc, v34, v35
	s_and_saveexec_b64 s[40:41], vcc
	s_cbranch_execz .LBB1477_225
; %bb.219:
	s_add_u32 s38, s26, -1
	v_lshl_add_u64 v[30:31], v[30:31], 0, 2
	v_lshl_add_u64 v[34:35], v[32:33], 0, 2
	s_addc_u32 s39, s27, -1
	s_mov_b64 s[42:43], 0
	s_mov_b64 s[46:47], 0
                                        ; implicit-def: $sgpr44_sgpr45
	s_branch .LBB1477_222
.LBB1477_220:                           ;   in Loop: Header=BB1477_222 Depth=1
	global_load_ushort v36, v[34:35], off
	global_load_ushort v37, v[30:31], off
	s_add_u32 s46, s46, 1
	s_addc_u32 s47, s47, 0
	s_andn2_b64 s[44:45], s[44:45], exec
	v_lshl_add_u64 v[30:31], v[30:31], 0, 2
	v_lshl_add_u64 v[34:35], v[34:35], 0, 2
	s_waitcnt vmcnt(0)
	v_cmp_ne_u16_e32 vcc, v36, v37
	s_and_b64 s[48:49], vcc, exec
	s_or_b64 s[44:45], s[44:45], s[48:49]
.LBB1477_221:                           ;   in Loop: Header=BB1477_222 Depth=1
	s_and_b64 s[48:49], exec, s[44:45]
	s_or_b64 s[42:43], s[48:49], s[42:43]
	v_mov_b64_e32 v[36:37], s[46:47]
	s_andn2_b64 exec, exec, s[42:43]
	s_cbranch_execz .LBB1477_224
.LBB1477_222:                           ; =>This Inner Loop Header: Depth=1
	s_or_b64 s[44:45], s[44:45], exec
	s_cmp_eq_u64 s[38:39], s[46:47]
	s_cbranch_scc0 .LBB1477_220
; %bb.223:                              ;   in Loop: Header=BB1477_222 Depth=1
                                        ; implicit-def: $vgpr30_vgpr31
                                        ; implicit-def: $vgpr34_vgpr35
	s_mov_b64 s[46:47], s[26:27]
	s_branch .LBB1477_221
.LBB1477_224:
	s_or_b64 exec, exec, s[42:43]
	v_cmp_gt_i64_e32 vcc, s[26:27], v[36:37]
	s_orn2_b64 s[38:39], vcc, exec
.LBB1477_225:
	s_or_b64 exec, exec, s[40:41]
.LBB1477_226:
	v_mul_lo_u32 v34, v25, s26
	v_mul_lo_u32 v35, v24, s27
	v_mad_u64_u32 v[30:31], s[40:41], v24, s26, 0
	v_add3_u32 v31, v31, v35, v34
	s_and_b64 vcc, exec, s[4:5]
	v_lshl_add_u64 v[30:31], v[30:31], 1, s[28:29]
	s_cbranch_vccnz .LBB1477_235
; %bb.227:
	global_load_ushort v34, v[30:31], off
	global_load_ushort v35, v[32:33], off
	s_mov_b64 s[36:37], -1
	s_waitcnt vmcnt(0)
	v_cmp_eq_u16_e32 vcc, v34, v35
	s_and_saveexec_b64 s[40:41], vcc
	s_cbranch_execz .LBB1477_234
; %bb.228:
	s_add_u32 s36, s26, -1
	v_lshl_add_u64 v[32:33], v[32:33], 0, 2
	v_lshl_add_u64 v[34:35], v[30:31], 0, 2
	s_addc_u32 s37, s27, -1
	s_mov_b64 s[42:43], 0
	s_mov_b64 s[46:47], 0
                                        ; implicit-def: $sgpr44_sgpr45
	s_branch .LBB1477_231
.LBB1477_229:                           ;   in Loop: Header=BB1477_231 Depth=1
	global_load_ushort v36, v[34:35], off
	global_load_ushort v37, v[32:33], off
	s_add_u32 s46, s46, 1
	s_addc_u32 s47, s47, 0
	s_andn2_b64 s[44:45], s[44:45], exec
	v_lshl_add_u64 v[32:33], v[32:33], 0, 2
	v_lshl_add_u64 v[34:35], v[34:35], 0, 2
	s_waitcnt vmcnt(0)
	v_cmp_ne_u16_e32 vcc, v36, v37
	s_and_b64 s[48:49], vcc, exec
	s_or_b64 s[44:45], s[44:45], s[48:49]
.LBB1477_230:                           ;   in Loop: Header=BB1477_231 Depth=1
	s_and_b64 s[48:49], exec, s[44:45]
	s_or_b64 s[42:43], s[48:49], s[42:43]
	v_mov_b64_e32 v[36:37], s[46:47]
	s_andn2_b64 exec, exec, s[42:43]
	s_cbranch_execz .LBB1477_233
.LBB1477_231:                           ; =>This Inner Loop Header: Depth=1
	s_or_b64 s[44:45], s[44:45], exec
	s_cmp_eq_u64 s[36:37], s[46:47]
	s_cbranch_scc0 .LBB1477_229
; %bb.232:                              ;   in Loop: Header=BB1477_231 Depth=1
                                        ; implicit-def: $vgpr32_vgpr33
                                        ; implicit-def: $vgpr34_vgpr35
	s_mov_b64 s[46:47], s[26:27]
	s_branch .LBB1477_230
.LBB1477_233:
	s_or_b64 exec, exec, s[42:43]
	v_cmp_gt_i64_e32 vcc, s[26:27], v[36:37]
	s_orn2_b64 s[36:37], vcc, exec
.LBB1477_234:
	s_or_b64 exec, exec, s[40:41]
.LBB1477_235:
	v_mul_lo_u32 v34, v23, s26
	v_mul_lo_u32 v35, v22, s27
	v_mad_u64_u32 v[32:33], s[40:41], v22, s26, 0
	v_add3_u32 v33, v33, v35, v34
	s_and_b64 vcc, exec, s[4:5]
	s_mov_b64 s[42:43], 0
	s_cbranch_vccnz .LBB1477_244
; %bb.236:
	v_lshl_add_u64 v[34:35], v[32:33], 1, s[28:29]
	global_load_ushort v36, v[34:35], off
	global_load_ushort v37, v[30:31], off
	s_mov_b64 s[42:43], -1
	s_waitcnt vmcnt(0)
	v_cmp_eq_u16_e32 vcc, v36, v37
	s_and_saveexec_b64 s[40:41], vcc
	s_cbranch_execz .LBB1477_243
; %bb.237:
	s_add_u32 s42, s26, -1
	v_lshl_add_u64 v[30:31], v[30:31], 0, 2
	v_lshl_add_u64 v[34:35], v[34:35], 0, 2
	s_addc_u32 s43, s27, -1
	s_mov_b64 s[44:45], 0
	s_mov_b64 s[48:49], 0
                                        ; implicit-def: $sgpr46_sgpr47
	s_branch .LBB1477_240
.LBB1477_238:                           ;   in Loop: Header=BB1477_240 Depth=1
	global_load_ushort v36, v[34:35], off
	global_load_ushort v37, v[30:31], off
	s_add_u32 s48, s48, 1
	s_addc_u32 s49, s49, 0
	s_andn2_b64 s[46:47], s[46:47], exec
	v_lshl_add_u64 v[30:31], v[30:31], 0, 2
	v_lshl_add_u64 v[34:35], v[34:35], 0, 2
	s_waitcnt vmcnt(0)
	v_cmp_ne_u16_e32 vcc, v36, v37
	s_and_b64 s[50:51], vcc, exec
	s_or_b64 s[46:47], s[46:47], s[50:51]
.LBB1477_239:                           ;   in Loop: Header=BB1477_240 Depth=1
	s_and_b64 s[50:51], exec, s[46:47]
	s_or_b64 s[44:45], s[50:51], s[44:45]
	v_mov_b64_e32 v[36:37], s[48:49]
	s_andn2_b64 exec, exec, s[44:45]
	s_cbranch_execz .LBB1477_242
.LBB1477_240:                           ; =>This Inner Loop Header: Depth=1
	s_or_b64 s[46:47], s[46:47], exec
	s_cmp_eq_u64 s[42:43], s[48:49]
	s_cbranch_scc0 .LBB1477_238
; %bb.241:                              ;   in Loop: Header=BB1477_240 Depth=1
                                        ; implicit-def: $vgpr30_vgpr31
                                        ; implicit-def: $vgpr34_vgpr35
	s_mov_b64 s[48:49], s[26:27]
	s_branch .LBB1477_239
.LBB1477_242:
	s_or_b64 exec, exec, s[44:45]
	v_cmp_gt_i64_e32 vcc, s[26:27], v[36:37]
	s_orn2_b64 s[42:43], vcc, exec
.LBB1477_243:
	s_or_b64 exec, exec, s[40:41]
.LBB1477_244:
	v_cndmask_b32_e64 v31, 0, 1, s[38:39]
	v_cndmask_b32_e64 v30, 0, 1, s[36:37]
	;; [unrolled: 1-line block ×3, first 2 shown]
	v_lshlrev_b16_e32 v31, 8, v31
	v_cndmask_b32_e64 v46, 0, 1, s[14:15]
	v_cndmask_b32_e64 v34, 0, 1, s[42:43]
	v_or_b32_sdwa v30, v30, v31 dst_sel:WORD_1 dst_unused:UNUSED_PAD src0_sel:DWORD src1_sel:DWORD
	v_lshlrev_b16_e32 v31, 8, v47
	v_lshlrev_b16_e32 v34, 8, v34
	v_or_b32_e32 v31, v46, v31
	v_or_b32_e32 v34, 1, v34
	v_and_b32_e32 v31, 0xffff, v31
	v_cndmask_b32_e64 v48, 0, 1, s[12:13]
	v_or_b32_sdwa v30, v34, v30 dst_sel:DWORD dst_unused:UNUSED_PAD src0_sel:WORD_0 src1_sel:DWORD
	v_lshl_or_b32 v31, v48, 16, v31
	v_cmp_ne_u32_e32 vcc, 0, v0
	s_waitcnt lgkmcnt(0)
	s_barrier
	s_waitcnt lgkmcnt(0)
                                        ; implicit-def: $sgpr18_sgpr19
                                        ; implicit-def: $vgpr34
	s_and_saveexec_b64 s[12:13], vcc
	s_xor_b64 s[12:13], exec, s[12:13]
	s_cbranch_execz .LBB1477_255
; %bb.245:
	s_mov_b32 s33, 0x3020104
	s_and_b64 vcc, exec, s[4:5]
	s_mov_b64 s[14:15], 0
	s_cbranch_vccnz .LBB1477_254
; %bb.246:
	v_add_u32_e32 v31, -8, v44
	ds_read_b64 v[34:35], v31
	v_lshl_add_u64 v[32:33], v[32:33], 1, s[28:29]
	s_mov_b64 s[14:15], -1
	s_waitcnt lgkmcnt(0)
	v_mul_lo_u32 v31, v35, s26
	v_mul_lo_u32 v36, v34, s27
	v_mad_u64_u32 v[34:35], s[4:5], v34, s26, 0
	v_add3_u32 v35, v35, v36, v31
	v_lshl_add_u64 v[34:35], v[34:35], 1, s[28:29]
	global_load_ushort v31, v[34:35], off
	global_load_ushort v36, v[32:33], off
	s_waitcnt vmcnt(0)
	v_cmp_eq_u16_e32 vcc, v31, v36
	s_and_saveexec_b64 s[4:5], vcc
	s_cbranch_execz .LBB1477_253
; %bb.247:
	s_add_u32 s14, s26, -1
	v_lshl_add_u64 v[32:33], v[32:33], 0, 2
	v_lshl_add_u64 v[34:35], v[34:35], 0, 2
	s_addc_u32 s15, s27, -1
	s_mov_b64 s[18:19], 0
	s_mov_b64 s[38:39], 0
                                        ; implicit-def: $sgpr36_sgpr37
	s_branch .LBB1477_250
.LBB1477_248:                           ;   in Loop: Header=BB1477_250 Depth=1
	global_load_ushort v31, v[34:35], off
	global_load_ushort v36, v[32:33], off
	s_add_u32 s38, s38, 1
	s_addc_u32 s39, s39, 0
	s_andn2_b64 s[36:37], s[36:37], exec
	v_lshl_add_u64 v[32:33], v[32:33], 0, 2
	v_lshl_add_u64 v[34:35], v[34:35], 0, 2
	s_waitcnt vmcnt(0)
	v_cmp_ne_u16_e32 vcc, v31, v36
	s_and_b64 s[40:41], vcc, exec
	s_or_b64 s[36:37], s[36:37], s[40:41]
.LBB1477_249:                           ;   in Loop: Header=BB1477_250 Depth=1
	s_and_b64 s[40:41], exec, s[36:37]
	s_or_b64 s[18:19], s[40:41], s[18:19]
	v_mov_b64_e32 v[36:37], s[38:39]
	s_andn2_b64 exec, exec, s[18:19]
	s_cbranch_execz .LBB1477_252
.LBB1477_250:                           ; =>This Inner Loop Header: Depth=1
	s_or_b64 s[36:37], s[36:37], exec
	s_cmp_eq_u64 s[14:15], s[38:39]
	s_cbranch_scc0 .LBB1477_248
; %bb.251:                              ;   in Loop: Header=BB1477_250 Depth=1
                                        ; implicit-def: $vgpr32_vgpr33
                                        ; implicit-def: $vgpr34_vgpr35
	s_mov_b64 s[38:39], s[26:27]
	s_branch .LBB1477_249
.LBB1477_252:
	s_or_b64 exec, exec, s[18:19]
	v_cmp_gt_i64_e32 vcc, s[26:27], v[36:37]
	s_orn2_b64 s[14:15], vcc, exec
.LBB1477_253:
	s_or_b64 exec, exec, s[4:5]
.LBB1477_254:
	v_perm_b32 v34, v30, v30, s33
	s_and_b64 s[18:19], s[14:15], exec
	s_or_b64 s[10:11], s[10:11], exec
                                        ; implicit-def: $vgpr30_vgpr31
.LBB1477_255:
	s_or_b64 exec, exec, s[12:13]
	s_branch .LBB1477_336
.LBB1477_256:
	v_cmp_gt_u32_e32 vcc, s3, v40
	s_mov_b64 s[12:13], 0
	s_mov_b64 s[4:5], 0
	s_and_saveexec_b64 s[14:15], vcc
	s_cbranch_execz .LBB1477_267
; %bb.257:
	s_andn2_b64 vcc, exec, s[6:7]
	s_mov_b64 s[18:19], 0
	s_cbranch_vccnz .LBB1477_266
; %bb.258:
	v_mul_lo_u32 v32, v17, s26
	v_mul_lo_u32 v33, v16, s27
	v_mad_u64_u32 v[30:31], s[4:5], v16, s26, 0
	v_add3_u32 v31, v31, v33, v32
	v_mul_lo_u32 v32, v29, s26
	v_mul_lo_u32 v33, v28, s27
	v_mad_u64_u32 v[34:35], s[4:5], v28, s26, 0
	v_add3_u32 v35, v35, v33, v32
	v_lshl_add_u64 v[32:33], v[30:31], 1, s[28:29]
	v_lshl_add_u64 v[30:31], v[34:35], 1, s[28:29]
	global_load_ushort v34, v[32:33], off
	global_load_ushort v35, v[30:31], off
	s_mov_b64 s[18:19], -1
	s_waitcnt vmcnt(0)
	v_cmp_eq_u16_e32 vcc, v34, v35
	s_and_saveexec_b64 s[4:5], vcc
	s_cbranch_execz .LBB1477_265
; %bb.259:
	s_add_u32 s18, s26, -1
	v_lshl_add_u64 v[30:31], v[30:31], 0, 2
	v_lshl_add_u64 v[32:33], v[32:33], 0, 2
	s_addc_u32 s19, s27, -1
	s_mov_b64 s[36:37], 0
	s_mov_b64 s[40:41], 0
                                        ; implicit-def: $sgpr38_sgpr39
	s_branch .LBB1477_262
.LBB1477_260:                           ;   in Loop: Header=BB1477_262 Depth=1
	global_load_ushort v34, v[32:33], off
	global_load_ushort v35, v[30:31], off
	s_add_u32 s40, s40, 1
	s_addc_u32 s41, s41, 0
	s_andn2_b64 s[38:39], s[38:39], exec
	v_lshl_add_u64 v[30:31], v[30:31], 0, 2
	v_lshl_add_u64 v[32:33], v[32:33], 0, 2
	s_waitcnt vmcnt(0)
	v_cmp_ne_u16_e32 vcc, v34, v35
	s_and_b64 s[42:43], vcc, exec
	s_or_b64 s[38:39], s[38:39], s[42:43]
.LBB1477_261:                           ;   in Loop: Header=BB1477_262 Depth=1
	s_and_b64 s[42:43], exec, s[38:39]
	s_or_b64 s[36:37], s[42:43], s[36:37]
	v_mov_b64_e32 v[34:35], s[40:41]
	s_andn2_b64 exec, exec, s[36:37]
	s_cbranch_execz .LBB1477_264
.LBB1477_262:                           ; =>This Inner Loop Header: Depth=1
	s_or_b64 s[38:39], s[38:39], exec
	s_cmp_eq_u64 s[18:19], s[40:41]
	s_cbranch_scc0 .LBB1477_260
; %bb.263:                              ;   in Loop: Header=BB1477_262 Depth=1
                                        ; implicit-def: $vgpr30_vgpr31
                                        ; implicit-def: $vgpr32_vgpr33
	s_mov_b64 s[40:41], s[26:27]
	s_branch .LBB1477_261
.LBB1477_264:
	s_or_b64 exec, exec, s[36:37]
	v_cmp_gt_i64_e32 vcc, s[26:27], v[34:35]
	s_orn2_b64 s[18:19], vcc, exec
.LBB1477_265:
	s_or_b64 exec, exec, s[4:5]
.LBB1477_266:
	s_and_b64 s[4:5], s[18:19], exec
.LBB1477_267:
	s_or_b64 exec, exec, s[14:15]
	v_cmp_gt_u32_e32 vcc, s3, v43
	s_and_saveexec_b64 s[14:15], vcc
	s_cbranch_execz .LBB1477_278
; %bb.268:
	s_andn2_b64 vcc, exec, s[6:7]
	s_mov_b64 s[18:19], 0
	s_cbranch_vccnz .LBB1477_277
; %bb.269:
	v_mul_lo_u32 v32, v15, s26
	v_mul_lo_u32 v33, v14, s27
	v_mad_u64_u32 v[30:31], s[12:13], v14, s26, 0
	v_add3_u32 v31, v31, v33, v32
	v_mul_lo_u32 v32, v17, s26
	v_mul_lo_u32 v33, v16, s27
	v_mad_u64_u32 v[34:35], s[12:13], v16, s26, 0
	v_add3_u32 v35, v35, v33, v32
	v_lshl_add_u64 v[32:33], v[30:31], 1, s[28:29]
	v_lshl_add_u64 v[30:31], v[34:35], 1, s[28:29]
	global_load_ushort v34, v[32:33], off
	global_load_ushort v35, v[30:31], off
	s_mov_b64 s[18:19], -1
	s_waitcnt vmcnt(0)
	v_cmp_eq_u16_e32 vcc, v34, v35
	s_and_saveexec_b64 s[12:13], vcc
	s_cbranch_execz .LBB1477_276
; %bb.270:
	s_add_u32 s18, s26, -1
	v_lshl_add_u64 v[30:31], v[30:31], 0, 2
	v_lshl_add_u64 v[32:33], v[32:33], 0, 2
	s_addc_u32 s19, s27, -1
	s_mov_b64 s[36:37], 0
	s_mov_b64 s[40:41], 0
                                        ; implicit-def: $sgpr38_sgpr39
	s_branch .LBB1477_273
.LBB1477_271:                           ;   in Loop: Header=BB1477_273 Depth=1
	global_load_ushort v34, v[32:33], off
	global_load_ushort v35, v[30:31], off
	s_add_u32 s40, s40, 1
	s_addc_u32 s41, s41, 0
	s_andn2_b64 s[38:39], s[38:39], exec
	v_lshl_add_u64 v[30:31], v[30:31], 0, 2
	v_lshl_add_u64 v[32:33], v[32:33], 0, 2
	s_waitcnt vmcnt(0)
	v_cmp_ne_u16_e32 vcc, v34, v35
	s_and_b64 s[42:43], vcc, exec
	s_or_b64 s[38:39], s[38:39], s[42:43]
.LBB1477_272:                           ;   in Loop: Header=BB1477_273 Depth=1
	s_and_b64 s[42:43], exec, s[38:39]
	s_or_b64 s[36:37], s[42:43], s[36:37]
	v_mov_b64_e32 v[34:35], s[40:41]
	s_andn2_b64 exec, exec, s[36:37]
	s_cbranch_execz .LBB1477_275
.LBB1477_273:                           ; =>This Inner Loop Header: Depth=1
	s_or_b64 s[38:39], s[38:39], exec
	s_cmp_eq_u64 s[18:19], s[40:41]
	s_cbranch_scc0 .LBB1477_271
; %bb.274:                              ;   in Loop: Header=BB1477_273 Depth=1
                                        ; implicit-def: $vgpr30_vgpr31
                                        ; implicit-def: $vgpr32_vgpr33
	s_mov_b64 s[40:41], s[26:27]
	s_branch .LBB1477_272
.LBB1477_275:
	s_or_b64 exec, exec, s[36:37]
	v_cmp_gt_i64_e32 vcc, s[26:27], v[34:35]
	s_orn2_b64 s[18:19], vcc, exec
.LBB1477_276:
	s_or_b64 exec, exec, s[12:13]
.LBB1477_277:
	s_and_b64 s[12:13], s[18:19], exec
.LBB1477_278:
	s_or_b64 exec, exec, s[14:15]
	v_cmp_gt_u32_e32 vcc, s3, v39
	s_mov_b64 s[18:19], 0
	s_mov_b64 s[14:15], 0
	s_and_saveexec_b64 s[36:37], vcc
	s_cbranch_execz .LBB1477_289
; %bb.279:
	s_andn2_b64 vcc, exec, s[6:7]
	s_mov_b64 s[38:39], 0
	s_cbranch_vccnz .LBB1477_288
; %bb.280:
	v_mul_lo_u32 v32, v21, s26
	v_mul_lo_u32 v33, v20, s27
	v_mad_u64_u32 v[30:31], s[14:15], v20, s26, 0
	v_add3_u32 v31, v31, v33, v32
	v_mul_lo_u32 v32, v15, s26
	v_mul_lo_u32 v33, v14, s27
	v_mad_u64_u32 v[34:35], s[14:15], v14, s26, 0
	v_add3_u32 v35, v35, v33, v32
	v_lshl_add_u64 v[32:33], v[30:31], 1, s[28:29]
	v_lshl_add_u64 v[30:31], v[34:35], 1, s[28:29]
	global_load_ushort v34, v[32:33], off
	global_load_ushort v35, v[30:31], off
	s_mov_b64 s[38:39], -1
	s_waitcnt vmcnt(0)
	v_cmp_eq_u16_e32 vcc, v34, v35
	s_and_saveexec_b64 s[14:15], vcc
	s_cbranch_execz .LBB1477_287
; %bb.281:
	s_add_u32 s38, s26, -1
	v_lshl_add_u64 v[30:31], v[30:31], 0, 2
	v_lshl_add_u64 v[32:33], v[32:33], 0, 2
	s_addc_u32 s39, s27, -1
	s_mov_b64 s[40:41], 0
	s_mov_b64 s[44:45], 0
                                        ; implicit-def: $sgpr42_sgpr43
	s_branch .LBB1477_284
.LBB1477_282:                           ;   in Loop: Header=BB1477_284 Depth=1
	global_load_ushort v34, v[32:33], off
	global_load_ushort v35, v[30:31], off
	s_add_u32 s44, s44, 1
	s_addc_u32 s45, s45, 0
	s_andn2_b64 s[42:43], s[42:43], exec
	v_lshl_add_u64 v[30:31], v[30:31], 0, 2
	v_lshl_add_u64 v[32:33], v[32:33], 0, 2
	s_waitcnt vmcnt(0)
	v_cmp_ne_u16_e32 vcc, v34, v35
	s_and_b64 s[46:47], vcc, exec
	s_or_b64 s[42:43], s[42:43], s[46:47]
.LBB1477_283:                           ;   in Loop: Header=BB1477_284 Depth=1
	s_and_b64 s[46:47], exec, s[42:43]
	s_or_b64 s[40:41], s[46:47], s[40:41]
	v_mov_b64_e32 v[34:35], s[44:45]
	s_andn2_b64 exec, exec, s[40:41]
	s_cbranch_execz .LBB1477_286
.LBB1477_284:                           ; =>This Inner Loop Header: Depth=1
	s_or_b64 s[42:43], s[42:43], exec
	s_cmp_eq_u64 s[38:39], s[44:45]
	s_cbranch_scc0 .LBB1477_282
; %bb.285:                              ;   in Loop: Header=BB1477_284 Depth=1
                                        ; implicit-def: $vgpr30_vgpr31
                                        ; implicit-def: $vgpr32_vgpr33
	s_mov_b64 s[44:45], s[26:27]
	s_branch .LBB1477_283
.LBB1477_286:
	s_or_b64 exec, exec, s[40:41]
	v_cmp_gt_i64_e32 vcc, s[26:27], v[34:35]
	s_orn2_b64 s[38:39], vcc, exec
.LBB1477_287:
	s_or_b64 exec, exec, s[14:15]
.LBB1477_288:
	s_and_b64 s[14:15], s[38:39], exec
.LBB1477_289:
	s_or_b64 exec, exec, s[36:37]
	v_cmp_gt_u32_e32 vcc, s3, v42
	s_and_saveexec_b64 s[36:37], vcc
	s_cbranch_execz .LBB1477_300
; %bb.290:
	s_andn2_b64 vcc, exec, s[6:7]
	s_mov_b64 s[38:39], 0
	s_cbranch_vccnz .LBB1477_299
; %bb.291:
	v_mul_lo_u32 v32, v19, s26
	v_mul_lo_u32 v33, v18, s27
	v_mad_u64_u32 v[30:31], s[18:19], v18, s26, 0
	v_add3_u32 v31, v31, v33, v32
	v_mul_lo_u32 v32, v21, s26
	v_mul_lo_u32 v33, v20, s27
	v_mad_u64_u32 v[34:35], s[18:19], v20, s26, 0
	v_add3_u32 v35, v35, v33, v32
	v_lshl_add_u64 v[32:33], v[30:31], 1, s[28:29]
	v_lshl_add_u64 v[30:31], v[34:35], 1, s[28:29]
	global_load_ushort v34, v[32:33], off
	global_load_ushort v35, v[30:31], off
	s_mov_b64 s[38:39], -1
	s_waitcnt vmcnt(0)
	v_cmp_eq_u16_e32 vcc, v34, v35
	s_and_saveexec_b64 s[18:19], vcc
	s_cbranch_execz .LBB1477_298
; %bb.292:
	s_add_u32 s38, s26, -1
	v_lshl_add_u64 v[30:31], v[30:31], 0, 2
	v_lshl_add_u64 v[32:33], v[32:33], 0, 2
	s_addc_u32 s39, s27, -1
	s_mov_b64 s[40:41], 0
	s_mov_b64 s[44:45], 0
                                        ; implicit-def: $sgpr42_sgpr43
	s_branch .LBB1477_295
.LBB1477_293:                           ;   in Loop: Header=BB1477_295 Depth=1
	global_load_ushort v34, v[32:33], off
	global_load_ushort v35, v[30:31], off
	s_add_u32 s44, s44, 1
	s_addc_u32 s45, s45, 0
	s_andn2_b64 s[42:43], s[42:43], exec
	v_lshl_add_u64 v[30:31], v[30:31], 0, 2
	v_lshl_add_u64 v[32:33], v[32:33], 0, 2
	s_waitcnt vmcnt(0)
	v_cmp_ne_u16_e32 vcc, v34, v35
	s_and_b64 s[46:47], vcc, exec
	s_or_b64 s[42:43], s[42:43], s[46:47]
.LBB1477_294:                           ;   in Loop: Header=BB1477_295 Depth=1
	s_and_b64 s[46:47], exec, s[42:43]
	s_or_b64 s[40:41], s[46:47], s[40:41]
	v_mov_b64_e32 v[34:35], s[44:45]
	s_andn2_b64 exec, exec, s[40:41]
	s_cbranch_execz .LBB1477_297
.LBB1477_295:                           ; =>This Inner Loop Header: Depth=1
	s_or_b64 s[42:43], s[42:43], exec
	s_cmp_eq_u64 s[38:39], s[44:45]
	s_cbranch_scc0 .LBB1477_293
; %bb.296:                              ;   in Loop: Header=BB1477_295 Depth=1
                                        ; implicit-def: $vgpr30_vgpr31
                                        ; implicit-def: $vgpr32_vgpr33
	s_mov_b64 s[44:45], s[26:27]
	s_branch .LBB1477_294
.LBB1477_297:
	s_or_b64 exec, exec, s[40:41]
	v_cmp_gt_i64_e32 vcc, s[26:27], v[34:35]
	s_orn2_b64 s[38:39], vcc, exec
.LBB1477_298:
	s_or_b64 exec, exec, s[18:19]
.LBB1477_299:
	s_and_b64 s[18:19], s[38:39], exec
.LBB1477_300:
	s_or_b64 exec, exec, s[36:37]
	v_cmp_gt_u32_e32 vcc, s3, v38
	s_mov_b64 s[36:37], 0
	s_mov_b64 s[38:39], 0
	s_and_saveexec_b64 s[40:41], vcc
	s_cbranch_execz .LBB1477_311
; %bb.301:
	s_andn2_b64 vcc, exec, s[6:7]
	s_mov_b64 s[42:43], 0
	s_cbranch_vccnz .LBB1477_310
; %bb.302:
	v_mul_lo_u32 v32, v25, s26
	v_mul_lo_u32 v33, v24, s27
	v_mad_u64_u32 v[30:31], s[38:39], v24, s26, 0
	v_add3_u32 v31, v31, v33, v32
	v_mul_lo_u32 v32, v19, s26
	v_mul_lo_u32 v33, v18, s27
	v_mad_u64_u32 v[34:35], s[38:39], v18, s26, 0
	v_add3_u32 v35, v35, v33, v32
	v_lshl_add_u64 v[32:33], v[30:31], 1, s[28:29]
	v_lshl_add_u64 v[30:31], v[34:35], 1, s[28:29]
	global_load_ushort v34, v[32:33], off
	global_load_ushort v35, v[30:31], off
	s_mov_b64 s[42:43], -1
	s_waitcnt vmcnt(0)
	v_cmp_eq_u16_e32 vcc, v34, v35
	s_and_saveexec_b64 s[38:39], vcc
	s_cbranch_execz .LBB1477_309
; %bb.303:
	s_add_u32 s42, s26, -1
	v_lshl_add_u64 v[30:31], v[30:31], 0, 2
	v_lshl_add_u64 v[32:33], v[32:33], 0, 2
	s_addc_u32 s43, s27, -1
	s_mov_b64 s[44:45], 0
	s_mov_b64 s[48:49], 0
                                        ; implicit-def: $sgpr46_sgpr47
	s_branch .LBB1477_306
.LBB1477_304:                           ;   in Loop: Header=BB1477_306 Depth=1
	global_load_ushort v34, v[32:33], off
	global_load_ushort v35, v[30:31], off
	s_add_u32 s48, s48, 1
	s_addc_u32 s49, s49, 0
	s_andn2_b64 s[46:47], s[46:47], exec
	v_lshl_add_u64 v[30:31], v[30:31], 0, 2
	v_lshl_add_u64 v[32:33], v[32:33], 0, 2
	s_waitcnt vmcnt(0)
	v_cmp_ne_u16_e32 vcc, v34, v35
	s_and_b64 s[50:51], vcc, exec
	s_or_b64 s[46:47], s[46:47], s[50:51]
.LBB1477_305:                           ;   in Loop: Header=BB1477_306 Depth=1
	s_and_b64 s[50:51], exec, s[46:47]
	s_or_b64 s[44:45], s[50:51], s[44:45]
	v_mov_b64_e32 v[34:35], s[48:49]
	s_andn2_b64 exec, exec, s[44:45]
	s_cbranch_execz .LBB1477_308
.LBB1477_306:                           ; =>This Inner Loop Header: Depth=1
	s_or_b64 s[46:47], s[46:47], exec
	s_cmp_eq_u64 s[42:43], s[48:49]
	s_cbranch_scc0 .LBB1477_304
; %bb.307:                              ;   in Loop: Header=BB1477_306 Depth=1
                                        ; implicit-def: $vgpr30_vgpr31
                                        ; implicit-def: $vgpr32_vgpr33
	s_mov_b64 s[48:49], s[26:27]
	s_branch .LBB1477_305
.LBB1477_308:
	s_or_b64 exec, exec, s[44:45]
	v_cmp_gt_i64_e32 vcc, s[26:27], v[34:35]
	s_orn2_b64 s[42:43], vcc, exec
.LBB1477_309:
	s_or_b64 exec, exec, s[38:39]
.LBB1477_310:
	s_and_b64 s[38:39], s[42:43], exec
.LBB1477_311:
	s_or_b64 exec, exec, s[40:41]
	v_cmp_gt_u32_e32 vcc, s3, v41
	s_and_saveexec_b64 s[40:41], vcc
	s_cbranch_execz .LBB1477_322
; %bb.312:
	s_andn2_b64 vcc, exec, s[6:7]
	s_mov_b64 s[42:43], 0
	s_cbranch_vccnz .LBB1477_321
; %bb.313:
	v_mul_lo_u32 v32, v23, s26
	v_mul_lo_u32 v33, v22, s27
	v_mad_u64_u32 v[30:31], s[36:37], v22, s26, 0
	v_add3_u32 v31, v31, v33, v32
	v_mul_lo_u32 v32, v25, s26
	v_mul_lo_u32 v33, v24, s27
	v_mad_u64_u32 v[34:35], s[36:37], v24, s26, 0
	v_add3_u32 v35, v35, v33, v32
	v_lshl_add_u64 v[32:33], v[30:31], 1, s[28:29]
	v_lshl_add_u64 v[30:31], v[34:35], 1, s[28:29]
	global_load_ushort v34, v[32:33], off
	global_load_ushort v35, v[30:31], off
	s_mov_b64 s[42:43], -1
	s_waitcnt vmcnt(0)
	v_cmp_eq_u16_e32 vcc, v34, v35
	s_and_saveexec_b64 s[36:37], vcc
	s_cbranch_execz .LBB1477_320
; %bb.314:
	s_add_u32 s42, s26, -1
	v_lshl_add_u64 v[30:31], v[30:31], 0, 2
	v_lshl_add_u64 v[32:33], v[32:33], 0, 2
	s_addc_u32 s43, s27, -1
	s_mov_b64 s[44:45], 0
	s_mov_b64 s[48:49], 0
                                        ; implicit-def: $sgpr46_sgpr47
	s_branch .LBB1477_317
.LBB1477_315:                           ;   in Loop: Header=BB1477_317 Depth=1
	global_load_ushort v34, v[32:33], off
	global_load_ushort v35, v[30:31], off
	s_add_u32 s48, s48, 1
	s_addc_u32 s49, s49, 0
	s_andn2_b64 s[46:47], s[46:47], exec
	v_lshl_add_u64 v[30:31], v[30:31], 0, 2
	v_lshl_add_u64 v[32:33], v[32:33], 0, 2
	s_waitcnt vmcnt(0)
	v_cmp_ne_u16_e32 vcc, v34, v35
	s_and_b64 s[50:51], vcc, exec
	s_or_b64 s[46:47], s[46:47], s[50:51]
.LBB1477_316:                           ;   in Loop: Header=BB1477_317 Depth=1
	s_and_b64 s[50:51], exec, s[46:47]
	s_or_b64 s[44:45], s[50:51], s[44:45]
	v_mov_b64_e32 v[34:35], s[48:49]
	s_andn2_b64 exec, exec, s[44:45]
	s_cbranch_execz .LBB1477_319
.LBB1477_317:                           ; =>This Inner Loop Header: Depth=1
	s_or_b64 s[46:47], s[46:47], exec
	s_cmp_eq_u64 s[42:43], s[48:49]
	s_cbranch_scc0 .LBB1477_315
; %bb.318:                              ;   in Loop: Header=BB1477_317 Depth=1
                                        ; implicit-def: $vgpr30_vgpr31
                                        ; implicit-def: $vgpr32_vgpr33
	s_mov_b64 s[48:49], s[26:27]
	s_branch .LBB1477_316
.LBB1477_319:
	s_or_b64 exec, exec, s[44:45]
	v_cmp_gt_i64_e32 vcc, s[26:27], v[34:35]
	s_orn2_b64 s[42:43], vcc, exec
.LBB1477_320:
	s_or_b64 exec, exec, s[36:37]
.LBB1477_321:
	s_and_b64 s[36:37], s[42:43], exec
.LBB1477_322:
	s_or_b64 exec, exec, s[40:41]
	v_cndmask_b32_e64 v31, 0, 1, s[18:19]
	v_cndmask_b32_e64 v30, 0, 1, s[38:39]
	;; [unrolled: 1-line block ×3, first 2 shown]
	v_lshlrev_b16_e32 v31, 8, v31
	v_cndmask_b32_e64 v46, 0, 1, s[14:15]
	v_cndmask_b32_e64 v32, 0, 1, s[36:37]
	v_or_b32_sdwa v30, v30, v31 dst_sel:WORD_1 dst_unused:UNUSED_PAD src0_sel:DWORD src1_sel:DWORD
	v_lshlrev_b16_e32 v31, 8, v47
	v_lshlrev_b16_e32 v32, 8, v32
	v_or_b32_e32 v31, v46, v31
	v_or_b32_e32 v32, 1, v32
	v_and_b32_e32 v31, 0xffff, v31
	v_cndmask_b32_e64 v48, 0, 1, s[4:5]
	v_or_b32_sdwa v30, v32, v30 dst_sel:DWORD dst_unused:UNUSED_PAD src0_sel:WORD_0 src1_sel:DWORD
	v_lshl_or_b32 v31, v48, 16, v31
	v_cmp_ne_u32_e32 vcc, 0, v0
	s_waitcnt lgkmcnt(0)
	s_barrier
	s_waitcnt lgkmcnt(0)
                                        ; implicit-def: $sgpr18_sgpr19
                                        ; implicit-def: $vgpr34
	s_and_saveexec_b64 s[4:5], vcc
	s_cbranch_execz .LBB1477_335
; %bb.323:
	v_cmp_gt_u32_e32 vcc, s3, v1
	s_mov_b32 s33, 0x3020104
	s_mov_b64 s[14:15], 0
	s_and_saveexec_b64 s[12:13], vcc
	s_cbranch_execz .LBB1477_334
; %bb.324:
	s_andn2_b64 vcc, exec, s[6:7]
	s_cbranch_vccnz .LBB1477_333
; %bb.325:
	v_add_u32_e32 v31, -8, v44
	ds_read_b64 v[32:33], v31
	v_mul_lo_u32 v31, v23, s26
	v_mad_u64_u32 v[36:37], s[6:7], v22, s26, 0
	s_mov_b64 s[14:15], -1
	s_waitcnt lgkmcnt(0)
	v_mul_lo_u32 v34, v33, s26
	v_mul_lo_u32 v35, v32, s27
	v_mad_u64_u32 v[32:33], s[6:7], v32, s26, 0
	v_add3_u32 v33, v33, v35, v34
	v_mul_lo_u32 v34, v22, s27
	v_add3_u32 v37, v37, v34, v31
	v_lshl_add_u64 v[34:35], v[32:33], 1, s[28:29]
	v_lshl_add_u64 v[32:33], v[36:37], 1, s[28:29]
	global_load_ushort v31, v[34:35], off
	global_load_ushort v36, v[32:33], off
	s_waitcnt vmcnt(0)
	v_cmp_eq_u16_e32 vcc, v31, v36
	s_and_saveexec_b64 s[6:7], vcc
	s_cbranch_execz .LBB1477_332
; %bb.326:
	s_add_u32 s14, s26, -1
	v_lshl_add_u64 v[32:33], v[32:33], 0, 2
	v_lshl_add_u64 v[34:35], v[34:35], 0, 2
	s_addc_u32 s15, s27, -1
	s_mov_b64 s[18:19], 0
	s_mov_b64 s[36:37], 0
                                        ; implicit-def: $sgpr28_sgpr29
	s_branch .LBB1477_329
.LBB1477_327:                           ;   in Loop: Header=BB1477_329 Depth=1
	global_load_ushort v31, v[34:35], off
	global_load_ushort v36, v[32:33], off
	s_add_u32 s36, s36, 1
	s_addc_u32 s37, s37, 0
	s_andn2_b64 s[28:29], s[28:29], exec
	v_lshl_add_u64 v[32:33], v[32:33], 0, 2
	v_lshl_add_u64 v[34:35], v[34:35], 0, 2
	s_waitcnt vmcnt(0)
	v_cmp_ne_u16_e32 vcc, v31, v36
	s_and_b64 s[38:39], vcc, exec
	s_or_b64 s[28:29], s[28:29], s[38:39]
.LBB1477_328:                           ;   in Loop: Header=BB1477_329 Depth=1
	s_and_b64 s[38:39], exec, s[28:29]
	s_or_b64 s[18:19], s[38:39], s[18:19]
	v_mov_b64_e32 v[36:37], s[36:37]
	s_andn2_b64 exec, exec, s[18:19]
	s_cbranch_execz .LBB1477_331
.LBB1477_329:                           ; =>This Inner Loop Header: Depth=1
	s_or_b64 s[28:29], s[28:29], exec
	s_cmp_eq_u64 s[14:15], s[36:37]
	s_cbranch_scc0 .LBB1477_327
; %bb.330:                              ;   in Loop: Header=BB1477_329 Depth=1
                                        ; implicit-def: $vgpr32_vgpr33
                                        ; implicit-def: $vgpr34_vgpr35
	s_mov_b64 s[36:37], s[26:27]
	s_branch .LBB1477_328
.LBB1477_331:
	s_or_b64 exec, exec, s[18:19]
	v_cmp_gt_i64_e32 vcc, s[26:27], v[36:37]
	s_orn2_b64 s[14:15], vcc, exec
.LBB1477_332:
	s_or_b64 exec, exec, s[6:7]
.LBB1477_333:
	s_and_b64 s[14:15], s[14:15], exec
.LBB1477_334:
	s_or_b64 exec, exec, s[12:13]
	v_perm_b32 v34, v30, v30, s33
	s_and_b64 s[18:19], s[14:15], exec
	s_or_b64 s[10:11], s[10:11], exec
                                        ; implicit-def: $vgpr30_vgpr31
.LBB1477_335:
	s_or_b64 exec, exec, s[4:5]
.LBB1477_336:
	s_and_saveexec_b64 s[4:5], s[10:11]
	s_cbranch_execz .LBB1477_338
; %bb.337:
	s_waitcnt lgkmcnt(0)
	v_lshlrev_b16_e32 v31, 8, v47
	v_and_b32_e32 v32, 0xff, v48
	v_or_b32_sdwa v31, v46, v31 dst_sel:DWORD dst_unused:UNUSED_PAD src0_sel:BYTE_0 src1_sel:DWORD
	v_lshlrev_b32_e32 v32, 16, v32
	s_movk_i32 s6, 0xff
	v_or_b32_sdwa v31, v31, v32 dst_sel:DWORD dst_unused:UNUSED_PAD src0_sel:WORD_0 src1_sel:DWORD
	v_lshrrev_b32_e32 v32, 24, v34
	v_lshlrev_b16_e32 v32, 8, v32
	v_and_b32_sdwa v33, v34, s6 dst_sel:DWORD dst_unused:UNUSED_PAD src0_sel:WORD_1 src1_sel:DWORD
	v_or_b32_sdwa v32, v33, v32 dst_sel:WORD_1 dst_unused:UNUSED_PAD src0_sel:DWORD src1_sel:DWORD
	v_mov_b32_e32 v33, 8
	v_cndmask_b32_e64 v30, 0, 1, s[18:19]
	v_lshrrev_b32_sdwa v33, v33, v34 dst_sel:BYTE_1 dst_unused:UNUSED_PAD src0_sel:DWORD src1_sel:DWORD
	s_nop 0
	v_or_b32_e32 v30, v30, v33
	v_or_b32_sdwa v30, v30, v32 dst_sel:DWORD dst_unused:UNUSED_PAD src0_sel:WORD_0 src1_sel:DWORD
.LBB1477_338:
	s_or_b64 exec, exec, s[4:5]
	s_andn2_b64 vcc, exec, s[8:9]
	s_cbranch_vccnz .LBB1477_340
; %bb.339:
	s_waitcnt lgkmcnt(0)
	v_and_b32_e32 v32, 0xffff0000, v30
	v_cmp_gt_u32_e32 vcc, s3, v1
	s_mov_b32 s4, 0x40c0100
	s_nop 0
	v_cndmask_b32_e32 v1, v32, v30, vcc
	v_and_b32_e32 v1, 0xffff00ff, v1
	v_cmp_gt_u32_e32 vcc, s3, v41
	s_nop 1
	v_cndmask_b32_e32 v1, v1, v30, vcc
	v_lshrrev_b32_e32 v32, 24, v1
	v_perm_b32 v1, v32, v1, s4
	v_cmp_gt_u32_e32 vcc, s3, v38
	v_and_b32_e32 v32, 0xffffff00, v31
	s_nop 0
	v_cndmask_b32_e32 v1, v1, v30, vcc
	v_and_b32_e32 v1, 0xffffff, v1
	v_cmp_gt_u32_e32 vcc, s3, v42
	s_nop 1
	v_cndmask_b32_e32 v1, v1, v30, vcc
	v_cmp_gt_u32_e32 vcc, s3, v39
	s_nop 1
	v_cndmask_b32_e32 v32, v32, v31, vcc
	v_and_b32_e32 v32, 0xffff00ff, v32
	v_cndmask_b32_e32 v1, v1, v30, vcc
	v_cmp_gt_u32_e32 vcc, s3, v43
	s_nop 1
	v_cndmask_b32_e32 v32, v32, v31, vcc
	v_lshrrev_b32_e32 v33, 24, v32
	v_cndmask_b32_e32 v1, v1, v30, vcc
	v_perm_b32 v32, v33, v32, s4
	v_cmp_gt_u32_e32 vcc, s3, v40
	s_mov_b32 s3, 0x3020104
	s_nop 0
	v_cndmask_b32_e32 v1, v1, v30, vcc
	v_cndmask_b32_e32 v30, v32, v31, vcc
	v_mov_b32_e32 v31, 8
	v_lshrrev_b32_sdwa v31, v31, v30 dst_sel:BYTE_1 dst_unused:UNUSED_PAD src0_sel:DWORD src1_sel:DWORD
	s_nop 0
	v_or_b32_sdwa v31, v30, v31 dst_sel:DWORD dst_unused:UNUSED_PAD src0_sel:BYTE_0 src1_sel:DWORD
	v_and_b32_e32 v31, 0xffff, v31
	v_bfe_u32 v30, v30, 16, 8
	v_lshl_or_b32 v31, v30, 16, v31
	v_perm_b32 v30, v1, v1, s3
.LBB1477_340:
	s_waitcnt lgkmcnt(0)
	v_and_b32_e32 v1, 0xff, v30
	v_bfe_u32 v43, v30, 8, 8
	v_bfe_u32 v45, v30, 16, 8
	v_alignbit_b32 v32, v31, v30, 24
	v_and_b32_e32 v47, 0xff, v32
	v_and_b32_e32 v48, 0xff, v31
	v_add3_u32 v33, v43, v1, v45
	v_bfe_u32 v49, v31, 8, 8
	v_bfe_u32 v32, v31, 16, 8
	v_add3_u32 v33, v33, v47, v48
	v_add3_u32 v52, v33, v49, v32
	v_mbcnt_lo_u32_b32 v32, -1, 0
	v_mbcnt_hi_u32_b32 v50, -1, v32
	v_and_b32_e32 v32, 15, v50
	v_cmp_eq_u32_e64 s[14:15], 0, v32
	v_cmp_lt_u32_e64 s[12:13], 1, v32
	v_cmp_lt_u32_e64 s[10:11], 3, v32
	;; [unrolled: 1-line block ×3, first 2 shown]
	v_and_b32_e32 v32, 16, v50
	v_cmp_eq_u32_e64 s[6:7], 0, v32
	v_or_b32_e32 v32, 63, v0
	v_cmp_lt_u32_e64 s[18:19], 31, v50
	v_lshrrev_b32_e32 v51, 6, v0
	v_cmp_eq_u32_e64 s[4:5], v32, v0
	s_and_b64 vcc, exec, s[16:17]
	s_barrier
	s_cbranch_vccz .LBB1477_371
; %bb.341:
	v_mov_b32_dpp v32, v52 row_shr:1 row_mask:0xf bank_mask:0xf
	v_cndmask_b32_e64 v32, v32, 0, s[14:15]
	v_add_u32_e32 v32, v32, v52
	s_nop 1
	v_mov_b32_dpp v33, v32 row_shr:2 row_mask:0xf bank_mask:0xf
	v_cndmask_b32_e64 v33, 0, v33, s[12:13]
	v_add_u32_e32 v32, v32, v33
	s_nop 1
	;; [unrolled: 4-line block ×4, first 2 shown]
	v_mov_b32_dpp v33, v32 row_bcast:15 row_mask:0xf bank_mask:0xf
	v_cndmask_b32_e64 v33, v33, 0, s[6:7]
	v_add_u32_e32 v32, v32, v33
	s_nop 1
	v_mov_b32_dpp v33, v32 row_bcast:31 row_mask:0xf bank_mask:0xf
	v_cndmask_b32_e64 v33, 0, v33, s[18:19]
	v_add_u32_e32 v32, v32, v33
	s_and_saveexec_b64 s[16:17], s[4:5]
	s_cbranch_execz .LBB1477_343
; %bb.342:
	v_lshlrev_b32_e32 v33, 2, v51
	ds_write_b32 v33, v32
.LBB1477_343:
	s_or_b64 exec, exec, s[16:17]
	v_cmp_gt_u32_e32 vcc, 8, v0
	s_waitcnt lgkmcnt(0)
	s_barrier
	s_and_saveexec_b64 s[16:17], vcc
	s_cbranch_execz .LBB1477_345
; %bb.344:
	v_lshlrev_b32_e32 v33, 2, v0
	ds_read_b32 v34, v33
	v_and_b32_e32 v35, 7, v50
	v_cmp_ne_u32_e32 vcc, 0, v35
	s_waitcnt lgkmcnt(0)
	v_mov_b32_dpp v36, v34 row_shr:1 row_mask:0xf bank_mask:0xf
	v_cndmask_b32_e32 v36, 0, v36, vcc
	v_add_u32_e32 v34, v36, v34
	v_cmp_lt_u32_e32 vcc, 1, v35
	s_nop 0
	v_mov_b32_dpp v36, v34 row_shr:2 row_mask:0xf bank_mask:0xf
	v_cndmask_b32_e32 v36, 0, v36, vcc
	v_add_u32_e32 v34, v34, v36
	v_cmp_lt_u32_e32 vcc, 3, v35
	s_nop 0
	v_mov_b32_dpp v36, v34 row_shr:4 row_mask:0xf bank_mask:0xf
	v_cndmask_b32_e32 v35, 0, v36, vcc
	v_add_u32_e32 v34, v34, v35
	ds_write_b32 v33, v34
.LBB1477_345:
	s_or_b64 exec, exec, s[16:17]
	v_cmp_gt_u32_e32 vcc, 64, v0
	v_cmp_lt_u32_e64 s[16:17], 63, v0
	s_waitcnt lgkmcnt(0)
	s_barrier
	s_waitcnt lgkmcnt(0)
                                        ; implicit-def: $vgpr42
	s_and_saveexec_b64 s[26:27], s[16:17]
	s_cbranch_execz .LBB1477_347
; %bb.346:
	v_lshl_add_u32 v33, v51, 2, -4
	ds_read_b32 v42, v33
	s_waitcnt lgkmcnt(0)
	v_add_u32_e32 v32, v42, v32
.LBB1477_347:
	s_or_b64 exec, exec, s[26:27]
	v_add_u32_e32 v33, -1, v50
	v_and_b32_e32 v34, 64, v50
	v_cmp_lt_i32_e64 s[16:17], v33, v34
	s_nop 1
	v_cndmask_b32_e64 v33, v33, v50, s[16:17]
	v_lshlrev_b32_e32 v33, 2, v33
	ds_bpermute_b32 v44, v33, v32
	v_cmp_eq_u32_e64 s[16:17], 0, v50
	s_and_saveexec_b64 s[26:27], vcc
	s_cbranch_execz .LBB1477_370
; %bb.348:
	v_mov_b32_e32 v41, 0
	ds_read_b32 v32, v41 offset:28
	s_and_saveexec_b64 s[28:29], s[16:17]
	s_cbranch_execz .LBB1477_350
; %bb.349:
	s_add_i32 s36, s2, 64
	s_mov_b32 s37, 0
	s_lshl_b64 s[36:37], s[36:37], 3
	s_add_u32 s36, s30, s36
	v_mov_b32_e32 v33, 1
	s_addc_u32 s37, s31, s37
	s_waitcnt lgkmcnt(0)
	global_store_dwordx2 v41, v[32:33], s[36:37] sc1
.LBB1477_350:
	s_or_b64 exec, exec, s[28:29]
	v_xad_u32 v34, v50, -1, s2
	v_add_u32_e32 v40, 64, v34
	v_lshl_add_u64 v[36:37], v[40:41], 3, s[30:31]
	global_load_dwordx2 v[38:39], v[36:37], off sc1
	s_waitcnt vmcnt(0)
	v_cmp_eq_u16_sdwa s[36:37], v39, v41 src0_sel:BYTE_0 src1_sel:DWORD
	s_and_saveexec_b64 s[28:29], s[36:37]
	s_cbranch_execz .LBB1477_356
; %bb.351:
	s_mov_b32 s3, 1
	s_mov_b64 s[36:37], 0
	v_mov_b32_e32 v33, 0
.LBB1477_352:                           ; =>This Loop Header: Depth=1
                                        ;     Child Loop BB1477_353 Depth 2
	s_max_u32 s33, s3, 1
.LBB1477_353:                           ;   Parent Loop BB1477_352 Depth=1
                                        ; =>  This Inner Loop Header: Depth=2
	s_add_i32 s33, s33, -1
	s_cmp_eq_u32 s33, 0
	s_sleep 1
	s_cbranch_scc0 .LBB1477_353
; %bb.354:                              ;   in Loop: Header=BB1477_352 Depth=1
	global_load_dwordx2 v[38:39], v[36:37], off sc1
	s_cmp_lt_u32 s3, 32
	s_cselect_b64 s[38:39], -1, 0
	s_cmp_lg_u64 s[38:39], 0
	s_addc_u32 s3, s3, 0
	s_waitcnt vmcnt(0)
	v_cmp_ne_u16_sdwa s[38:39], v39, v33 src0_sel:BYTE_0 src1_sel:DWORD
	s_or_b64 s[36:37], s[38:39], s[36:37]
	s_andn2_b64 exec, exec, s[36:37]
	s_cbranch_execnz .LBB1477_352
; %bb.355:
	s_or_b64 exec, exec, s[36:37]
.LBB1477_356:
	s_or_b64 exec, exec, s[28:29]
	v_and_b32_e32 v46, 63, v50
	v_mov_b32_e32 v33, 2
	v_cmp_ne_u32_e32 vcc, 63, v46
	v_cmp_eq_u16_sdwa s[28:29], v39, v33 src0_sel:BYTE_0 src1_sel:DWORD
	v_lshlrev_b64 v[36:37], v50, -1
	v_addc_co_u32_e32 v41, vcc, 0, v50, vcc
	v_and_b32_e32 v35, s29, v37
	v_lshlrev_b32_e32 v53, 2, v41
	v_or_b32_e32 v35, 0x80000000, v35
	ds_bpermute_b32 v41, v53, v38
	v_and_b32_e32 v40, s28, v36
	v_ffbl_b32_e32 v35, v35
	v_add_u32_e32 v35, 32, v35
	v_ffbl_b32_e32 v40, v40
	v_min_u32_e32 v35, v40, v35
	v_cmp_lt_u32_e32 vcc, v46, v35
	v_add_u32_e32 v55, 2, v46
	v_add_u32_e32 v57, 4, v46
	s_waitcnt lgkmcnt(0)
	v_cndmask_b32_e32 v40, 0, v41, vcc
	v_cmp_gt_u32_e32 vcc, 62, v46
	v_add_u32_e32 v38, v40, v38
	v_add_u32_e32 v59, 8, v46
	v_cndmask_b32_e64 v40, 0, 1, vcc
	v_lshlrev_b32_e32 v40, 1, v40
	v_add_lshl_u32 v54, v40, v50, 2
	ds_bpermute_b32 v40, v54, v38
	v_cmp_le_u32_e32 vcc, v55, v35
	v_add_u32_e32 v62, 16, v46
	v_add_u32_e32 v64, 32, v46
	s_waitcnt lgkmcnt(0)
	v_cndmask_b32_e32 v40, 0, v40, vcc
	v_cmp_gt_u32_e32 vcc, 60, v46
	v_add_u32_e32 v38, v38, v40
	s_nop 0
	v_cndmask_b32_e64 v40, 0, 1, vcc
	v_lshlrev_b32_e32 v40, 2, v40
	v_add_lshl_u32 v56, v40, v50, 2
	ds_bpermute_b32 v40, v56, v38
	v_cmp_le_u32_e32 vcc, v57, v35
	s_waitcnt lgkmcnt(0)
	s_nop 0
	v_cndmask_b32_e32 v40, 0, v40, vcc
	v_cmp_gt_u32_e32 vcc, 56, v46
	v_add_u32_e32 v38, v38, v40
	s_nop 0
	v_cndmask_b32_e64 v40, 0, 1, vcc
	v_lshlrev_b32_e32 v40, 3, v40
	v_add_lshl_u32 v58, v40, v50, 2
	ds_bpermute_b32 v40, v58, v38
	v_cmp_le_u32_e32 vcc, v59, v35
	s_waitcnt lgkmcnt(0)
	s_nop 0
	;; [unrolled: 11-line block ×4, first 2 shown]
	v_cndmask_b32_e32 v35, 0, v40, vcc
	v_add_u32_e32 v38, v38, v35
	v_mov_b32_e32 v35, 0
	s_branch .LBB1477_358
.LBB1477_357:                           ;   in Loop: Header=BB1477_358 Depth=1
	s_or_b64 exec, exec, s[28:29]
	v_cmp_eq_u16_sdwa s[28:29], v39, v33 src0_sel:BYTE_0 src1_sel:DWORD
	ds_bpermute_b32 v65, v53, v38
	v_subrev_u32_e32 v34, 64, v34
	v_and_b32_e32 v40, s29, v37
	v_or_b32_e32 v40, 0x80000000, v40
	v_and_b32_e32 v41, s28, v36
	v_ffbl_b32_e32 v40, v40
	v_add_u32_e32 v40, 32, v40
	v_ffbl_b32_e32 v41, v41
	v_min_u32_e32 v40, v41, v40
	v_cmp_lt_u32_e32 vcc, v46, v40
	s_waitcnt lgkmcnt(0)
	s_nop 0
	v_cndmask_b32_e32 v41, 0, v65, vcc
	v_add_u32_e32 v38, v41, v38
	ds_bpermute_b32 v41, v54, v38
	v_cmp_le_u32_e32 vcc, v55, v40
	s_waitcnt lgkmcnt(0)
	s_nop 0
	v_cndmask_b32_e32 v41, 0, v41, vcc
	v_add_u32_e32 v38, v38, v41
	ds_bpermute_b32 v41, v56, v38
	v_cmp_le_u32_e32 vcc, v57, v40
	;; [unrolled: 6-line block ×5, first 2 shown]
	s_waitcnt lgkmcnt(0)
	s_nop 0
	v_cndmask_b32_e32 v40, 0, v41, vcc
	v_add3_u32 v38, v40, v60, v38
.LBB1477_358:                           ; =>This Loop Header: Depth=1
                                        ;     Child Loop BB1477_361 Depth 2
                                        ;       Child Loop BB1477_362 Depth 3
	v_cmp_ne_u16_sdwa s[28:29], v39, v33 src0_sel:BYTE_0 src1_sel:DWORD
	v_mov_b32_e32 v60, v38
	s_nop 0
	v_cndmask_b32_e64 v39, 0, 1, s[28:29]
	;;#ASMSTART
	;;#ASMEND
	s_nop 0
	v_cmp_ne_u32_e32 vcc, 0, v39
	s_cmp_lg_u64 vcc, exec
	s_cbranch_scc1 .LBB1477_365
; %bb.359:                              ;   in Loop: Header=BB1477_358 Depth=1
	v_lshl_add_u64 v[40:41], v[34:35], 3, s[30:31]
	global_load_dwordx2 v[38:39], v[40:41], off sc1
	s_waitcnt vmcnt(0)
	v_cmp_eq_u16_sdwa s[36:37], v39, v35 src0_sel:BYTE_0 src1_sel:DWORD
	s_and_saveexec_b64 s[28:29], s[36:37]
	s_cbranch_execz .LBB1477_357
; %bb.360:                              ;   in Loop: Header=BB1477_358 Depth=1
	s_mov_b32 s3, 1
	s_mov_b64 s[36:37], 0
.LBB1477_361:                           ;   Parent Loop BB1477_358 Depth=1
                                        ; =>  This Loop Header: Depth=2
                                        ;       Child Loop BB1477_362 Depth 3
	s_max_u32 s33, s3, 1
.LBB1477_362:                           ;   Parent Loop BB1477_358 Depth=1
                                        ;     Parent Loop BB1477_361 Depth=2
                                        ; =>    This Inner Loop Header: Depth=3
	s_add_i32 s33, s33, -1
	s_cmp_eq_u32 s33, 0
	s_sleep 1
	s_cbranch_scc0 .LBB1477_362
; %bb.363:                              ;   in Loop: Header=BB1477_361 Depth=2
	global_load_dwordx2 v[38:39], v[40:41], off sc1
	s_cmp_lt_u32 s3, 32
	s_cselect_b64 s[38:39], -1, 0
	s_cmp_lg_u64 s[38:39], 0
	s_addc_u32 s3, s3, 0
	s_waitcnt vmcnt(0)
	v_cmp_ne_u16_sdwa s[38:39], v39, v35 src0_sel:BYTE_0 src1_sel:DWORD
	s_or_b64 s[36:37], s[38:39], s[36:37]
	s_andn2_b64 exec, exec, s[36:37]
	s_cbranch_execnz .LBB1477_361
; %bb.364:                              ;   in Loop: Header=BB1477_358 Depth=1
	s_or_b64 exec, exec, s[36:37]
	s_branch .LBB1477_357
.LBB1477_365:                           ;   in Loop: Header=BB1477_358 Depth=1
                                        ; implicit-def: $vgpr38
                                        ; implicit-def: $vgpr39
	s_cbranch_execz .LBB1477_358
; %bb.366:
	s_and_saveexec_b64 s[28:29], s[16:17]
	s_cbranch_execz .LBB1477_368
; %bb.367:
	s_add_i32 s2, s2, 64
	s_mov_b32 s3, 0
	s_lshl_b64 s[2:3], s[2:3], 3
	s_add_u32 s2, s30, s2
	v_add_u32_e32 v34, v60, v32
	v_mov_b32_e32 v35, 2
	s_addc_u32 s3, s31, s3
	v_mov_b32_e32 v33, 0
	global_store_dwordx2 v33, v[34:35], s[2:3] sc1
	s_movk_i32 s2, 0x7000
	v_add_u32_e64 v33, s2, 0
	ds_write2_b32 v33, v32, v60 offset1:2
.LBB1477_368:
	s_or_b64 exec, exec, s[28:29]
	v_cmp_eq_u32_e32 vcc, 0, v0
	s_and_b64 exec, exec, vcc
	s_cbranch_execz .LBB1477_370
; %bb.369:
	v_mov_b32_e32 v32, 0
	ds_write_b32 v32, v60 offset:28
.LBB1477_370:
	s_or_b64 exec, exec, s[26:27]
	v_mov_b32_e32 v32, 0
	s_waitcnt lgkmcnt(0)
	s_barrier
	ds_read_b32 v32, v32 offset:28
	v_cndmask_b32_e64 v33, v44, v42, s[16:17]
	v_cmp_ne_u32_e32 vcc, 0, v0
	s_movk_i32 s2, 0x7000
	s_waitcnt lgkmcnt(0)
	v_cndmask_b32_e32 v33, 0, v33, vcc
	v_add_u32_e32 v46, v32, v33
	v_add_u32_e64 v32, s2, 0
	v_add_u32_e32 v44, v46, v1
	s_barrier
	ds_read2_b32 v[32:33], v32 offset1:2
	v_add_u32_e32 v42, v44, v43
	v_add_u32_e32 v40, v42, v45
	;; [unrolled: 1-line block ×5, first 2 shown]
	s_waitcnt lgkmcnt(0)
	v_readfirstlane_b32 s26, v32
	v_readfirstlane_b32 s16, v33
	v_lshrrev_b64 v[32:33], 24, v[30:31]
	s_branch .LBB1477_381
.LBB1477_371:
                                        ; implicit-def: $vgpr34
                                        ; implicit-def: $vgpr36
                                        ; implicit-def: $vgpr38
                                        ; implicit-def: $vgpr40
                                        ; implicit-def: $vgpr42
                                        ; implicit-def: $vgpr44
                                        ; implicit-def: $vgpr46
                                        ; implicit-def: $sgpr16
                                        ; implicit-def: $sgpr26
	v_lshrrev_b64 v[32:33], 24, v[30:31]
	s_cbranch_execz .LBB1477_381
; %bb.372:
	s_nop 0
	v_mov_b32_dpp v33, v52 row_shr:1 row_mask:0xf bank_mask:0xf
	v_cndmask_b32_e64 v33, v33, 0, s[14:15]
	v_add_u32_e32 v33, v33, v52
	s_nop 1
	v_mov_b32_dpp v34, v33 row_shr:2 row_mask:0xf bank_mask:0xf
	v_cndmask_b32_e64 v34, 0, v34, s[12:13]
	v_add_u32_e32 v33, v33, v34
	;; [unrolled: 4-line block ×4, first 2 shown]
	s_nop 1
	v_mov_b32_dpp v34, v33 row_bcast:15 row_mask:0xf bank_mask:0xf
	v_cndmask_b32_e64 v34, v34, 0, s[6:7]
	v_add_u32_e32 v33, v33, v34
	s_nop 1
	v_mov_b32_dpp v34, v33 row_bcast:31 row_mask:0xf bank_mask:0xf
	v_cndmask_b32_e64 v34, 0, v34, s[18:19]
	v_add_u32_e32 v33, v33, v34
	s_and_saveexec_b64 s[2:3], s[4:5]
	s_cbranch_execz .LBB1477_374
; %bb.373:
	v_lshlrev_b32_e32 v34, 2, v51
	ds_write_b32 v34, v33
.LBB1477_374:
	s_or_b64 exec, exec, s[2:3]
	v_cmp_gt_u32_e32 vcc, 8, v0
	s_waitcnt lgkmcnt(0)
	s_barrier
	s_and_saveexec_b64 s[2:3], vcc
	s_cbranch_execz .LBB1477_376
; %bb.375:
	v_lshlrev_b32_e32 v34, 2, v0
	ds_read_b32 v35, v34
	v_and_b32_e32 v36, 7, v50
	v_cmp_ne_u32_e32 vcc, 0, v36
	s_waitcnt lgkmcnt(0)
	v_mov_b32_dpp v37, v35 row_shr:1 row_mask:0xf bank_mask:0xf
	v_cndmask_b32_e32 v37, 0, v37, vcc
	v_add_u32_e32 v35, v37, v35
	v_cmp_lt_u32_e32 vcc, 1, v36
	s_nop 0
	v_mov_b32_dpp v37, v35 row_shr:2 row_mask:0xf bank_mask:0xf
	v_cndmask_b32_e32 v37, 0, v37, vcc
	v_add_u32_e32 v35, v35, v37
	v_cmp_lt_u32_e32 vcc, 3, v36
	s_nop 0
	v_mov_b32_dpp v37, v35 row_shr:4 row_mask:0xf bank_mask:0xf
	v_cndmask_b32_e32 v36, 0, v37, vcc
	v_add_u32_e32 v35, v35, v36
	ds_write_b32 v34, v35
.LBB1477_376:
	s_or_b64 exec, exec, s[2:3]
	v_cmp_lt_u32_e32 vcc, 63, v0
	v_mov_b32_e32 v35, 0
	v_mov_b32_e32 v34, 0
	s_waitcnt lgkmcnt(0)
	s_barrier
	s_and_saveexec_b64 s[2:3], vcc
	s_cbranch_execz .LBB1477_378
; %bb.377:
	v_lshl_add_u32 v34, v51, 2, -4
	ds_read_b32 v34, v34
.LBB1477_378:
	s_or_b64 exec, exec, s[2:3]
	v_add_u32_e32 v36, -1, v50
	v_and_b32_e32 v37, 64, v50
	v_cmp_lt_i32_e32 vcc, v36, v37
	s_waitcnt lgkmcnt(0)
	v_add_u32_e32 v33, v34, v33
	ds_read_b32 v35, v35 offset:28
	v_cndmask_b32_e32 v36, v36, v50, vcc
	v_lshlrev_b32_e32 v36, 2, v36
	ds_bpermute_b32 v33, v36, v33
	s_mov_b32 s16, 0
	v_cmp_eq_u32_e32 vcc, 0, v0
	s_waitcnt lgkmcnt(1)
	v_readfirstlane_b32 s26, v35
	s_and_saveexec_b64 s[2:3], vcc
	s_cbranch_execz .LBB1477_380
; %bb.379:
	v_mov_b32_e32 v35, 0
	v_mov_b32_e32 v36, s26
	;; [unrolled: 1-line block ×3, first 2 shown]
	global_store_dwordx2 v35, v[36:37], s[30:31] offset:512 sc1
.LBB1477_380:
	s_or_b64 exec, exec, s[2:3]
	v_cmp_eq_u32_e64 s[2:3], 0, v50
	s_waitcnt lgkmcnt(0)
	s_barrier
	v_cndmask_b32_e64 v33, v33, v34, s[2:3]
	v_cndmask_b32_e64 v46, v33, 0, vcc
	v_add_u32_e32 v44, v46, v1
	v_add_u32_e32 v42, v44, v43
	v_add_u32_e32 v40, v42, v45
	v_add_u32_e32 v38, v40, v47
	v_add_u32_e32 v36, v38, v48
	v_add_u32_e32 v34, v36, v49
.LBB1477_381:
	s_load_dwordx4 s[4:7], s[0:1], 0x28
	s_cmpk_lt_u32 s26, 0x201
	s_cselect_b64 s[2:3], -1, 0
	v_lshrrev_b32_e32 v33, 8, v30
	v_lshrrev_b32_e32 v1, 8, v31
	s_mov_b64 s[0:1], -1
	s_and_b64 vcc, exec, s[2:3]
	s_cbranch_vccz .LBB1477_404
; %bb.382:
	s_add_i32 s8, s16, s26
	v_cmp_gt_u32_e32 vcc, s8, v46
	s_or_b64 s[10:11], s[34:35], vcc
	s_and_saveexec_b64 s[0:1], s[10:11]
	s_cbranch_execz .LBB1477_385
; %bb.383:
	v_and_b32_e32 v35, 1, v30
	v_cmp_eq_u32_e32 vcc, 1, v35
	s_and_b64 exec, exec, vcc
	s_cbranch_execz .LBB1477_385
; %bb.384:
	s_lshl_b64 s[10:11], s[22:23], 3
	s_waitcnt lgkmcnt(0)
	s_add_u32 s10, s4, s10
	s_addc_u32 s11, s5, s11
	v_mov_b32_e32 v47, 0
	v_lshl_add_u64 v[48:49], v[46:47], 3, s[10:11]
	global_store_dwordx2 v[48:49], v[22:23], off
.LBB1477_385:
	s_or_b64 exec, exec, s[0:1]
	v_cmp_gt_u32_e32 vcc, s8, v44
	s_or_b64 s[10:11], s[34:35], vcc
	s_and_saveexec_b64 s[0:1], s[10:11]
	s_cbranch_execz .LBB1477_388
; %bb.386:
	v_and_b32_e32 v35, 1, v33
	v_cmp_eq_u32_e32 vcc, 1, v35
	s_and_b64 exec, exec, vcc
	s_cbranch_execz .LBB1477_388
; %bb.387:
	s_lshl_b64 s[10:11], s[22:23], 3
	s_waitcnt lgkmcnt(0)
	s_add_u32 s10, s4, s10
	s_addc_u32 s11, s5, s11
	v_mov_b32_e32 v45, 0
	v_lshl_add_u64 v[48:49], v[44:45], 3, s[10:11]
	global_store_dwordx2 v[48:49], v[24:25], off
.LBB1477_388:
	s_or_b64 exec, exec, s[0:1]
	v_cmp_gt_u32_e32 vcc, s8, v42
	s_or_b64 s[10:11], s[34:35], vcc
	s_and_saveexec_b64 s[0:1], s[10:11]
	s_cbranch_execz .LBB1477_391
; %bb.389:
	v_mov_b32_e32 v35, 1
	v_and_b32_sdwa v35, v35, v30 dst_sel:DWORD dst_unused:UNUSED_PAD src0_sel:DWORD src1_sel:WORD_1
	v_cmp_eq_u32_e32 vcc, 1, v35
	s_and_b64 exec, exec, vcc
	s_cbranch_execz .LBB1477_391
; %bb.390:
	s_lshl_b64 s[10:11], s[22:23], 3
	s_waitcnt lgkmcnt(0)
	s_add_u32 s10, s4, s10
	s_addc_u32 s11, s5, s11
	v_mov_b32_e32 v43, 0
	v_lshl_add_u64 v[48:49], v[42:43], 3, s[10:11]
	global_store_dwordx2 v[48:49], v[18:19], off
.LBB1477_391:
	s_or_b64 exec, exec, s[0:1]
	v_cmp_gt_u32_e32 vcc, s8, v40
	s_or_b64 s[10:11], s[34:35], vcc
	s_and_saveexec_b64 s[0:1], s[10:11]
	s_cbranch_execz .LBB1477_394
; %bb.392:
	v_and_b32_e32 v35, 1, v32
	v_cmp_eq_u32_e32 vcc, 1, v35
	s_and_b64 exec, exec, vcc
	s_cbranch_execz .LBB1477_394
; %bb.393:
	s_lshl_b64 s[10:11], s[22:23], 3
	s_waitcnt lgkmcnt(0)
	s_add_u32 s10, s4, s10
	s_addc_u32 s11, s5, s11
	v_mov_b32_e32 v41, 0
	v_lshl_add_u64 v[48:49], v[40:41], 3, s[10:11]
	global_store_dwordx2 v[48:49], v[20:21], off
.LBB1477_394:
	s_or_b64 exec, exec, s[0:1]
	v_cmp_gt_u32_e32 vcc, s8, v38
	s_or_b64 s[10:11], s[34:35], vcc
	s_and_saveexec_b64 s[0:1], s[10:11]
	s_cbranch_execz .LBB1477_397
; %bb.395:
	v_and_b32_e32 v35, 1, v31
	v_cmp_eq_u32_e32 vcc, 1, v35
	s_and_b64 exec, exec, vcc
	s_cbranch_execz .LBB1477_397
; %bb.396:
	s_lshl_b64 s[10:11], s[22:23], 3
	s_waitcnt lgkmcnt(0)
	s_add_u32 s10, s4, s10
	s_addc_u32 s11, s5, s11
	v_mov_b32_e32 v39, 0
	v_lshl_add_u64 v[48:49], v[38:39], 3, s[10:11]
	global_store_dwordx2 v[48:49], v[14:15], off
.LBB1477_397:
	;; [unrolled: 19-line block ×3, first 2 shown]
	s_or_b64 exec, exec, s[0:1]
	v_cmp_gt_u32_e32 vcc, s8, v34
	s_or_b64 s[8:9], s[34:35], vcc
	s_and_saveexec_b64 s[0:1], s[8:9]
	s_cbranch_execz .LBB1477_403
; %bb.401:
	v_mov_b32_e32 v35, 1
	v_and_b32_sdwa v35, v35, v31 dst_sel:DWORD dst_unused:UNUSED_PAD src0_sel:DWORD src1_sel:WORD_1
	v_cmp_eq_u32_e32 vcc, 1, v35
	s_and_b64 exec, exec, vcc
	s_cbranch_execz .LBB1477_403
; %bb.402:
	s_lshl_b64 s[8:9], s[22:23], 3
	s_waitcnt lgkmcnt(0)
	s_add_u32 s8, s4, s8
	s_addc_u32 s9, s5, s9
	v_mov_b32_e32 v35, 0
	v_lshl_add_u64 v[48:49], v[34:35], 3, s[8:9]
	global_store_dwordx2 v[48:49], v[28:29], off
.LBB1477_403:
	s_or_b64 exec, exec, s[0:1]
	s_mov_b64 s[0:1], 0
.LBB1477_404:
	v_and_b32_e32 v48, 1, v30
	s_and_b64 vcc, exec, s[0:1]
	v_cmp_eq_u32_e64 s[0:1], 1, v48
	s_cbranch_vccz .LBB1477_423
; %bb.405:
	s_and_saveexec_b64 s[8:9], s[0:1]
	s_cbranch_execz .LBB1477_407
; %bb.406:
	v_subrev_u32_e32 v35, s16, v46
	v_lshlrev_b32_e32 v35, 3, v35
	ds_write_b64 v35, v[22:23]
.LBB1477_407:
	s_or_b64 exec, exec, s[8:9]
	v_and_b32_e32 v22, 1, v33
	v_cmp_eq_u32_e32 vcc, 1, v22
	s_and_saveexec_b64 s[0:1], vcc
	s_cbranch_execz .LBB1477_409
; %bb.408:
	v_subrev_u32_e32 v22, s16, v44
	v_lshlrev_b32_e32 v22, 3, v22
	ds_write_b64 v22, v[24:25]
.LBB1477_409:
	s_or_b64 exec, exec, s[0:1]
	v_mov_b32_e32 v22, 1
	v_and_b32_sdwa v22, v22, v30 dst_sel:DWORD dst_unused:UNUSED_PAD src0_sel:DWORD src1_sel:WORD_1
	v_cmp_eq_u32_e32 vcc, 1, v22
	s_and_saveexec_b64 s[0:1], vcc
	s_cbranch_execz .LBB1477_411
; %bb.410:
	v_subrev_u32_e32 v22, s16, v42
	v_lshlrev_b32_e32 v22, 3, v22
	ds_write_b64 v22, v[18:19]
.LBB1477_411:
	s_or_b64 exec, exec, s[0:1]
	v_and_b32_e32 v18, 1, v32
	v_cmp_eq_u32_e32 vcc, 1, v18
	s_and_saveexec_b64 s[0:1], vcc
	s_cbranch_execz .LBB1477_413
; %bb.412:
	v_subrev_u32_e32 v18, s16, v40
	v_lshlrev_b32_e32 v18, 3, v18
	ds_write_b64 v18, v[20:21]
.LBB1477_413:
	s_or_b64 exec, exec, s[0:1]
	v_and_b32_e32 v18, 1, v31
	v_cmp_eq_u32_e32 vcc, 1, v18
	s_and_saveexec_b64 s[0:1], vcc
	s_cbranch_execz .LBB1477_415
; %bb.414:
	v_subrev_u32_e32 v18, s16, v38
	v_lshlrev_b32_e32 v18, 3, v18
	ds_write_b64 v18, v[14:15]
.LBB1477_415:
	s_or_b64 exec, exec, s[0:1]
	v_and_b32_e32 v14, 1, v1
	v_cmp_eq_u32_e32 vcc, 1, v14
	s_and_saveexec_b64 s[0:1], vcc
	s_cbranch_execz .LBB1477_417
; %bb.416:
	v_subrev_u32_e32 v14, s16, v36
	v_lshlrev_b32_e32 v14, 3, v14
	ds_write_b64 v14, v[16:17]
.LBB1477_417:
	s_or_b64 exec, exec, s[0:1]
	v_mov_b32_e32 v14, 1
	v_and_b32_sdwa v14, v14, v31 dst_sel:DWORD dst_unused:UNUSED_PAD src0_sel:DWORD src1_sel:WORD_1
	v_cmp_eq_u32_e32 vcc, 1, v14
	s_and_saveexec_b64 s[0:1], vcc
	s_cbranch_execz .LBB1477_419
; %bb.418:
	v_subrev_u32_e32 v14, s16, v34
	v_lshlrev_b32_e32 v14, 3, v14
	ds_write_b64 v14, v[28:29]
.LBB1477_419:
	s_or_b64 exec, exec, s[0:1]
	v_cmp_gt_u32_e32 vcc, s26, v0
	s_waitcnt lgkmcnt(0)
	s_barrier
	s_and_saveexec_b64 s[0:1], vcc
	s_cbranch_execz .LBB1477_422
; %bb.420:
	s_mov_b32 s17, 0
	s_lshl_b64 s[8:9], s[22:23], 3
	s_lshl_b64 s[10:11], s[16:17], 3
	s_add_u32 s8, s8, s10
	s_addc_u32 s9, s9, s11
	s_add_u32 s4, s4, s8
	v_lshlrev_b32_e32 v14, 3, v0
	v_mov_b32_e32 v15, 0
	s_addc_u32 s5, s5, s9
	v_lshl_add_u64 v[16:17], s[4:5], 0, v[14:15]
	s_mov_b64 s[4:5], 0
	s_mov_b64 s[8:9], 0x1000
	v_mov_b32_e32 v15, v0
.LBB1477_421:                           ; =>This Inner Loop Header: Depth=1
	ds_read_b64 v[18:19], v14
	v_add_u32_e32 v15, 0x200, v15
	v_cmp_le_u32_e32 vcc, s26, v15
	v_add_u32_e32 v14, 0x1000, v14
	s_or_b64 s[4:5], vcc, s[4:5]
	s_waitcnt lgkmcnt(0)
	global_store_dwordx2 v[16:17], v[18:19], off
	v_lshl_add_u64 v[16:17], v[16:17], 0, s[8:9]
	s_andn2_b64 exec, exec, s[4:5]
	s_cbranch_execnz .LBB1477_421
.LBB1477_422:
	s_or_b64 exec, exec, s[0:1]
.LBB1477_423:
	s_mov_b64 s[0:1], -1
	s_and_b64 vcc, exec, s[2:3]
	s_waitcnt lgkmcnt(0)
	s_barrier
	s_cbranch_vccnz .LBB1477_427
; %bb.424:
	s_and_b64 vcc, exec, s[0:1]
	s_cbranch_vccnz .LBB1477_449
.LBB1477_425:
	v_cmp_eq_u32_e32 vcc, 0, v0
	s_and_b64 s[0:1], vcc, s[24:25]
	s_and_saveexec_b64 s[2:3], s[0:1]
	s_cbranch_execnz .LBB1477_467
.LBB1477_426:
	s_endpgm
.LBB1477_427:
	s_add_i32 s2, s16, s26
	v_cmp_gt_u32_e32 vcc, s2, v46
	s_or_b64 s[4:5], s[34:35], vcc
	s_and_saveexec_b64 s[0:1], s[4:5]
	s_cbranch_execz .LBB1477_430
; %bb.428:
	v_cmp_eq_u32_e32 vcc, 1, v48
	s_and_b64 exec, exec, vcc
	s_cbranch_execz .LBB1477_430
; %bb.429:
	s_lshl_b64 s[4:5], s[22:23], 3
	s_add_u32 s4, s6, s4
	s_addc_u32 s5, s7, s5
	v_mov_b32_e32 v47, 0
	v_lshl_add_u64 v[14:15], v[46:47], 3, s[4:5]
	global_store_dwordx2 v[14:15], v[10:11], off
.LBB1477_430:
	s_or_b64 exec, exec, s[0:1]
	v_cmp_gt_u32_e32 vcc, s2, v44
	s_or_b64 s[4:5], s[34:35], vcc
	s_and_saveexec_b64 s[0:1], s[4:5]
	s_cbranch_execz .LBB1477_433
; %bb.431:
	v_and_b32_e32 v14, 1, v33
	v_cmp_eq_u32_e32 vcc, 1, v14
	s_and_b64 exec, exec, vcc
	s_cbranch_execz .LBB1477_433
; %bb.432:
	s_lshl_b64 s[4:5], s[22:23], 3
	s_add_u32 s4, s6, s4
	s_addc_u32 s5, s7, s5
	v_mov_b32_e32 v45, 0
	v_lshl_add_u64 v[14:15], v[44:45], 3, s[4:5]
	global_store_dwordx2 v[14:15], v[12:13], off
.LBB1477_433:
	s_or_b64 exec, exec, s[0:1]
	v_cmp_gt_u32_e32 vcc, s2, v42
	s_or_b64 s[4:5], s[34:35], vcc
	s_and_saveexec_b64 s[0:1], s[4:5]
	s_cbranch_execz .LBB1477_436
; %bb.434:
	v_mov_b32_e32 v14, 1
	v_and_b32_sdwa v14, v14, v30 dst_sel:DWORD dst_unused:UNUSED_PAD src0_sel:DWORD src1_sel:WORD_1
	v_cmp_eq_u32_e32 vcc, 1, v14
	s_and_b64 exec, exec, vcc
	s_cbranch_execz .LBB1477_436
; %bb.435:
	s_lshl_b64 s[4:5], s[22:23], 3
	s_add_u32 s4, s6, s4
	s_addc_u32 s5, s7, s5
	v_mov_b32_e32 v43, 0
	v_lshl_add_u64 v[14:15], v[42:43], 3, s[4:5]
	global_store_dwordx2 v[14:15], v[6:7], off
.LBB1477_436:
	s_or_b64 exec, exec, s[0:1]
	v_cmp_gt_u32_e32 vcc, s2, v40
	s_or_b64 s[4:5], s[34:35], vcc
	s_and_saveexec_b64 s[0:1], s[4:5]
	s_cbranch_execz .LBB1477_439
; %bb.437:
	v_and_b32_e32 v14, 1, v32
	v_cmp_eq_u32_e32 vcc, 1, v14
	s_and_b64 exec, exec, vcc
	s_cbranch_execz .LBB1477_439
; %bb.438:
	s_lshl_b64 s[4:5], s[22:23], 3
	s_add_u32 s4, s6, s4
	s_addc_u32 s5, s7, s5
	v_mov_b32_e32 v41, 0
	v_lshl_add_u64 v[14:15], v[40:41], 3, s[4:5]
	global_store_dwordx2 v[14:15], v[8:9], off
.LBB1477_439:
	s_or_b64 exec, exec, s[0:1]
	v_cmp_gt_u32_e32 vcc, s2, v38
	s_or_b64 s[4:5], s[34:35], vcc
	s_and_saveexec_b64 s[0:1], s[4:5]
	s_cbranch_execz .LBB1477_442
; %bb.440:
	v_and_b32_e32 v14, 1, v31
	v_cmp_eq_u32_e32 vcc, 1, v14
	s_and_b64 exec, exec, vcc
	s_cbranch_execz .LBB1477_442
; %bb.441:
	s_lshl_b64 s[4:5], s[22:23], 3
	s_add_u32 s4, s6, s4
	s_addc_u32 s5, s7, s5
	v_mov_b32_e32 v39, 0
	v_lshl_add_u64 v[14:15], v[38:39], 3, s[4:5]
	global_store_dwordx2 v[14:15], v[2:3], off
.LBB1477_442:
	;; [unrolled: 18-line block ×3, first 2 shown]
	s_or_b64 exec, exec, s[0:1]
	v_cmp_gt_u32_e32 vcc, s2, v34
	s_or_b64 s[2:3], s[34:35], vcc
	s_and_saveexec_b64 s[0:1], s[2:3]
	s_cbranch_execz .LBB1477_448
; %bb.446:
	v_mov_b32_e32 v14, 1
	v_and_b32_sdwa v14, v14, v31 dst_sel:DWORD dst_unused:UNUSED_PAD src0_sel:DWORD src1_sel:WORD_1
	v_cmp_eq_u32_e32 vcc, 1, v14
	s_and_b64 exec, exec, vcc
	s_cbranch_execz .LBB1477_448
; %bb.447:
	s_lshl_b64 s[2:3], s[22:23], 3
	s_add_u32 s2, s6, s2
	s_addc_u32 s3, s7, s3
	v_mov_b32_e32 v35, 0
	v_lshl_add_u64 v[14:15], v[34:35], 3, s[2:3]
	global_store_dwordx2 v[14:15], v[26:27], off
.LBB1477_448:
	s_or_b64 exec, exec, s[0:1]
	s_branch .LBB1477_425
.LBB1477_449:
	v_cmp_eq_u32_e32 vcc, 1, v48
	s_and_saveexec_b64 s[0:1], vcc
	s_cbranch_execz .LBB1477_451
; %bb.450:
	v_subrev_u32_e32 v14, s16, v46
	v_lshlrev_b32_e32 v14, 3, v14
	ds_write_b64 v14, v[10:11]
.LBB1477_451:
	s_or_b64 exec, exec, s[0:1]
	v_and_b32_e32 v10, 1, v33
	v_cmp_eq_u32_e32 vcc, 1, v10
	s_and_saveexec_b64 s[0:1], vcc
	s_cbranch_execz .LBB1477_453
; %bb.452:
	v_subrev_u32_e32 v10, s16, v44
	v_lshlrev_b32_e32 v10, 3, v10
	ds_write_b64 v10, v[12:13]
.LBB1477_453:
	s_or_b64 exec, exec, s[0:1]
	v_mov_b32_e32 v10, 1
	v_and_b32_sdwa v10, v10, v30 dst_sel:DWORD dst_unused:UNUSED_PAD src0_sel:DWORD src1_sel:WORD_1
	v_cmp_eq_u32_e32 vcc, 1, v10
	s_and_saveexec_b64 s[0:1], vcc
	s_cbranch_execz .LBB1477_455
; %bb.454:
	v_subrev_u32_e32 v10, s16, v42
	v_lshlrev_b32_e32 v10, 3, v10
	ds_write_b64 v10, v[6:7]
.LBB1477_455:
	s_or_b64 exec, exec, s[0:1]
	v_and_b32_e32 v6, 1, v32
	v_cmp_eq_u32_e32 vcc, 1, v6
	s_and_saveexec_b64 s[0:1], vcc
	s_cbranch_execz .LBB1477_457
; %bb.456:
	v_subrev_u32_e32 v6, s16, v40
	v_lshlrev_b32_e32 v6, 3, v6
	ds_write_b64 v6, v[8:9]
.LBB1477_457:
	s_or_b64 exec, exec, s[0:1]
	v_and_b32_e32 v6, 1, v31
	;; [unrolled: 10-line block ×3, first 2 shown]
	v_cmp_eq_u32_e32 vcc, 1, v1
	s_and_saveexec_b64 s[0:1], vcc
	s_cbranch_execz .LBB1477_461
; %bb.460:
	v_subrev_u32_e32 v1, s16, v36
	v_lshlrev_b32_e32 v1, 3, v1
	ds_write_b64 v1, v[4:5]
.LBB1477_461:
	s_or_b64 exec, exec, s[0:1]
	v_mov_b32_e32 v1, 1
	v_and_b32_sdwa v1, v1, v31 dst_sel:DWORD dst_unused:UNUSED_PAD src0_sel:DWORD src1_sel:WORD_1
	v_cmp_eq_u32_e32 vcc, 1, v1
	s_and_saveexec_b64 s[0:1], vcc
	s_cbranch_execz .LBB1477_463
; %bb.462:
	v_subrev_u32_e32 v1, s16, v34
	v_lshlrev_b32_e32 v1, 3, v1
	ds_write_b64 v1, v[26:27]
.LBB1477_463:
	s_or_b64 exec, exec, s[0:1]
	v_cmp_gt_u32_e32 vcc, s26, v0
	s_waitcnt lgkmcnt(0)
	s_barrier
	s_and_saveexec_b64 s[0:1], vcc
	s_cbranch_execz .LBB1477_466
; %bb.464:
	s_mov_b32 s17, 0
	s_lshl_b64 s[2:3], s[22:23], 3
	s_lshl_b64 s[4:5], s[16:17], 3
	s_add_u32 s2, s2, s4
	s_addc_u32 s3, s3, s5
	s_add_u32 s2, s6, s2
	v_lshlrev_b32_e32 v2, 3, v0
	v_mov_b32_e32 v3, 0
	s_addc_u32 s3, s7, s3
	v_lshl_add_u64 v[4:5], s[2:3], 0, v[2:3]
	s_mov_b64 s[2:3], 0
	s_mov_b64 s[4:5], 0x1000
	v_mov_b32_e32 v1, v0
.LBB1477_465:                           ; =>This Inner Loop Header: Depth=1
	ds_read_b64 v[6:7], v2
	v_add_u32_e32 v1, 0x200, v1
	v_cmp_le_u32_e32 vcc, s26, v1
	v_add_u32_e32 v2, 0x1000, v2
	s_or_b64 s[2:3], vcc, s[2:3]
	s_waitcnt lgkmcnt(0)
	global_store_dwordx2 v[4:5], v[6:7], off
	v_lshl_add_u64 v[4:5], v[4:5], 0, s[4:5]
	s_andn2_b64 exec, exec, s[2:3]
	s_cbranch_execnz .LBB1477_465
.LBB1477_466:
	s_or_b64 exec, exec, s[0:1]
	v_cmp_eq_u32_e32 vcc, 0, v0
	s_and_b64 s[0:1], vcc, s[24:25]
	s_and_saveexec_b64 s[2:3], s[0:1]
	s_cbranch_execz .LBB1477_426
.LBB1477_467:
	s_add_u32 s0, s22, s26
	s_addc_u32 s1, s23, 0
	s_add_u32 s0, s0, s16
	s_addc_u32 s1, s1, 0
	v_mov_b32_e32 v2, 0
	v_mov_b64_e32 v[0:1], s[0:1]
	global_store_dwordx2 v2, v[0:1], s[20:21]
	s_endpgm
	.section	.rodata,"a",@progbits
	.p2align	6, 0x0
	.amdhsa_kernel _ZN7rocprim17ROCPRIM_400000_NS6detail17trampoline_kernelINS0_14default_configENS1_25partition_config_selectorILNS1_17partition_subalgoE9EllbEEZZNS1_14partition_implILS5_9ELb0ES3_jPlS8_PNS0_10empty_typeENS0_5tupleIJS8_S9_EEENSB_IJS8_SA_EEENS0_18inequality_wrapperIZN2at6native12_GLOBAL__N_124unique_dim_cuda_templateItEESt5tupleIJNSF_6TensorESK_SK_EERKSK_lbbbEUlllE0_EEPmJS9_EEE10hipError_tPvRmT3_T4_T5_T6_T7_T9_mT8_P12ihipStream_tbDpT10_ENKUlT_T0_E_clISt17integral_constantIbLb1EES19_IbLb0EEEEDaS15_S16_EUlS15_E_NS1_11comp_targetILNS1_3genE5ELNS1_11target_archE942ELNS1_3gpuE9ELNS1_3repE0EEENS1_30default_config_static_selectorELNS0_4arch9wavefront6targetE1EEEvT1_
		.amdhsa_group_segment_fixed_size 28684
		.amdhsa_private_segment_fixed_size 0
		.amdhsa_kernarg_size 120
		.amdhsa_user_sgpr_count 2
		.amdhsa_user_sgpr_dispatch_ptr 0
		.amdhsa_user_sgpr_queue_ptr 0
		.amdhsa_user_sgpr_kernarg_segment_ptr 1
		.amdhsa_user_sgpr_dispatch_id 0
		.amdhsa_user_sgpr_kernarg_preload_length 0
		.amdhsa_user_sgpr_kernarg_preload_offset 0
		.amdhsa_user_sgpr_private_segment_size 0
		.amdhsa_uses_dynamic_stack 0
		.amdhsa_enable_private_segment 0
		.amdhsa_system_sgpr_workgroup_id_x 1
		.amdhsa_system_sgpr_workgroup_id_y 0
		.amdhsa_system_sgpr_workgroup_id_z 0
		.amdhsa_system_sgpr_workgroup_info 0
		.amdhsa_system_vgpr_workitem_id 0
		.amdhsa_next_free_vgpr 66
		.amdhsa_next_free_sgpr 52
		.amdhsa_accum_offset 68
		.amdhsa_reserve_vcc 1
		.amdhsa_float_round_mode_32 0
		.amdhsa_float_round_mode_16_64 0
		.amdhsa_float_denorm_mode_32 3
		.amdhsa_float_denorm_mode_16_64 3
		.amdhsa_dx10_clamp 1
		.amdhsa_ieee_mode 1
		.amdhsa_fp16_overflow 0
		.amdhsa_tg_split 0
		.amdhsa_exception_fp_ieee_invalid_op 0
		.amdhsa_exception_fp_denorm_src 0
		.amdhsa_exception_fp_ieee_div_zero 0
		.amdhsa_exception_fp_ieee_overflow 0
		.amdhsa_exception_fp_ieee_underflow 0
		.amdhsa_exception_fp_ieee_inexact 0
		.amdhsa_exception_int_div_zero 0
	.end_amdhsa_kernel
	.section	.text._ZN7rocprim17ROCPRIM_400000_NS6detail17trampoline_kernelINS0_14default_configENS1_25partition_config_selectorILNS1_17partition_subalgoE9EllbEEZZNS1_14partition_implILS5_9ELb0ES3_jPlS8_PNS0_10empty_typeENS0_5tupleIJS8_S9_EEENSB_IJS8_SA_EEENS0_18inequality_wrapperIZN2at6native12_GLOBAL__N_124unique_dim_cuda_templateItEESt5tupleIJNSF_6TensorESK_SK_EERKSK_lbbbEUlllE0_EEPmJS9_EEE10hipError_tPvRmT3_T4_T5_T6_T7_T9_mT8_P12ihipStream_tbDpT10_ENKUlT_T0_E_clISt17integral_constantIbLb1EES19_IbLb0EEEEDaS15_S16_EUlS15_E_NS1_11comp_targetILNS1_3genE5ELNS1_11target_archE942ELNS1_3gpuE9ELNS1_3repE0EEENS1_30default_config_static_selectorELNS0_4arch9wavefront6targetE1EEEvT1_,"axG",@progbits,_ZN7rocprim17ROCPRIM_400000_NS6detail17trampoline_kernelINS0_14default_configENS1_25partition_config_selectorILNS1_17partition_subalgoE9EllbEEZZNS1_14partition_implILS5_9ELb0ES3_jPlS8_PNS0_10empty_typeENS0_5tupleIJS8_S9_EEENSB_IJS8_SA_EEENS0_18inequality_wrapperIZN2at6native12_GLOBAL__N_124unique_dim_cuda_templateItEESt5tupleIJNSF_6TensorESK_SK_EERKSK_lbbbEUlllE0_EEPmJS9_EEE10hipError_tPvRmT3_T4_T5_T6_T7_T9_mT8_P12ihipStream_tbDpT10_ENKUlT_T0_E_clISt17integral_constantIbLb1EES19_IbLb0EEEEDaS15_S16_EUlS15_E_NS1_11comp_targetILNS1_3genE5ELNS1_11target_archE942ELNS1_3gpuE9ELNS1_3repE0EEENS1_30default_config_static_selectorELNS0_4arch9wavefront6targetE1EEEvT1_,comdat
.Lfunc_end1477:
	.size	_ZN7rocprim17ROCPRIM_400000_NS6detail17trampoline_kernelINS0_14default_configENS1_25partition_config_selectorILNS1_17partition_subalgoE9EllbEEZZNS1_14partition_implILS5_9ELb0ES3_jPlS8_PNS0_10empty_typeENS0_5tupleIJS8_S9_EEENSB_IJS8_SA_EEENS0_18inequality_wrapperIZN2at6native12_GLOBAL__N_124unique_dim_cuda_templateItEESt5tupleIJNSF_6TensorESK_SK_EERKSK_lbbbEUlllE0_EEPmJS9_EEE10hipError_tPvRmT3_T4_T5_T6_T7_T9_mT8_P12ihipStream_tbDpT10_ENKUlT_T0_E_clISt17integral_constantIbLb1EES19_IbLb0EEEEDaS15_S16_EUlS15_E_NS1_11comp_targetILNS1_3genE5ELNS1_11target_archE942ELNS1_3gpuE9ELNS1_3repE0EEENS1_30default_config_static_selectorELNS0_4arch9wavefront6targetE1EEEvT1_, .Lfunc_end1477-_ZN7rocprim17ROCPRIM_400000_NS6detail17trampoline_kernelINS0_14default_configENS1_25partition_config_selectorILNS1_17partition_subalgoE9EllbEEZZNS1_14partition_implILS5_9ELb0ES3_jPlS8_PNS0_10empty_typeENS0_5tupleIJS8_S9_EEENSB_IJS8_SA_EEENS0_18inequality_wrapperIZN2at6native12_GLOBAL__N_124unique_dim_cuda_templateItEESt5tupleIJNSF_6TensorESK_SK_EERKSK_lbbbEUlllE0_EEPmJS9_EEE10hipError_tPvRmT3_T4_T5_T6_T7_T9_mT8_P12ihipStream_tbDpT10_ENKUlT_T0_E_clISt17integral_constantIbLb1EES19_IbLb0EEEEDaS15_S16_EUlS15_E_NS1_11comp_targetILNS1_3genE5ELNS1_11target_archE942ELNS1_3gpuE9ELNS1_3repE0EEENS1_30default_config_static_selectorELNS0_4arch9wavefront6targetE1EEEvT1_
                                        ; -- End function
	.section	.AMDGPU.csdata,"",@progbits
; Kernel info:
; codeLenInByte = 14472
; NumSgprs: 58
; NumVgprs: 66
; NumAgprs: 0
; TotalNumVgprs: 66
; ScratchSize: 0
; MemoryBound: 0
; FloatMode: 240
; IeeeMode: 1
; LDSByteSize: 28684 bytes/workgroup (compile time only)
; SGPRBlocks: 7
; VGPRBlocks: 8
; NumSGPRsForWavesPerEU: 58
; NumVGPRsForWavesPerEU: 66
; AccumOffset: 68
; Occupancy: 4
; WaveLimiterHint : 1
; COMPUTE_PGM_RSRC2:SCRATCH_EN: 0
; COMPUTE_PGM_RSRC2:USER_SGPR: 2
; COMPUTE_PGM_RSRC2:TRAP_HANDLER: 0
; COMPUTE_PGM_RSRC2:TGID_X_EN: 1
; COMPUTE_PGM_RSRC2:TGID_Y_EN: 0
; COMPUTE_PGM_RSRC2:TGID_Z_EN: 0
; COMPUTE_PGM_RSRC2:TIDIG_COMP_CNT: 0
; COMPUTE_PGM_RSRC3_GFX90A:ACCUM_OFFSET: 16
; COMPUTE_PGM_RSRC3_GFX90A:TG_SPLIT: 0
	.section	.text._ZN7rocprim17ROCPRIM_400000_NS6detail17trampoline_kernelINS0_14default_configENS1_25partition_config_selectorILNS1_17partition_subalgoE9EllbEEZZNS1_14partition_implILS5_9ELb0ES3_jPlS8_PNS0_10empty_typeENS0_5tupleIJS8_S9_EEENSB_IJS8_SA_EEENS0_18inequality_wrapperIZN2at6native12_GLOBAL__N_124unique_dim_cuda_templateItEESt5tupleIJNSF_6TensorESK_SK_EERKSK_lbbbEUlllE0_EEPmJS9_EEE10hipError_tPvRmT3_T4_T5_T6_T7_T9_mT8_P12ihipStream_tbDpT10_ENKUlT_T0_E_clISt17integral_constantIbLb1EES19_IbLb0EEEEDaS15_S16_EUlS15_E_NS1_11comp_targetILNS1_3genE4ELNS1_11target_archE910ELNS1_3gpuE8ELNS1_3repE0EEENS1_30default_config_static_selectorELNS0_4arch9wavefront6targetE1EEEvT1_,"axG",@progbits,_ZN7rocprim17ROCPRIM_400000_NS6detail17trampoline_kernelINS0_14default_configENS1_25partition_config_selectorILNS1_17partition_subalgoE9EllbEEZZNS1_14partition_implILS5_9ELb0ES3_jPlS8_PNS0_10empty_typeENS0_5tupleIJS8_S9_EEENSB_IJS8_SA_EEENS0_18inequality_wrapperIZN2at6native12_GLOBAL__N_124unique_dim_cuda_templateItEESt5tupleIJNSF_6TensorESK_SK_EERKSK_lbbbEUlllE0_EEPmJS9_EEE10hipError_tPvRmT3_T4_T5_T6_T7_T9_mT8_P12ihipStream_tbDpT10_ENKUlT_T0_E_clISt17integral_constantIbLb1EES19_IbLb0EEEEDaS15_S16_EUlS15_E_NS1_11comp_targetILNS1_3genE4ELNS1_11target_archE910ELNS1_3gpuE8ELNS1_3repE0EEENS1_30default_config_static_selectorELNS0_4arch9wavefront6targetE1EEEvT1_,comdat
	.globl	_ZN7rocprim17ROCPRIM_400000_NS6detail17trampoline_kernelINS0_14default_configENS1_25partition_config_selectorILNS1_17partition_subalgoE9EllbEEZZNS1_14partition_implILS5_9ELb0ES3_jPlS8_PNS0_10empty_typeENS0_5tupleIJS8_S9_EEENSB_IJS8_SA_EEENS0_18inequality_wrapperIZN2at6native12_GLOBAL__N_124unique_dim_cuda_templateItEESt5tupleIJNSF_6TensorESK_SK_EERKSK_lbbbEUlllE0_EEPmJS9_EEE10hipError_tPvRmT3_T4_T5_T6_T7_T9_mT8_P12ihipStream_tbDpT10_ENKUlT_T0_E_clISt17integral_constantIbLb1EES19_IbLb0EEEEDaS15_S16_EUlS15_E_NS1_11comp_targetILNS1_3genE4ELNS1_11target_archE910ELNS1_3gpuE8ELNS1_3repE0EEENS1_30default_config_static_selectorELNS0_4arch9wavefront6targetE1EEEvT1_ ; -- Begin function _ZN7rocprim17ROCPRIM_400000_NS6detail17trampoline_kernelINS0_14default_configENS1_25partition_config_selectorILNS1_17partition_subalgoE9EllbEEZZNS1_14partition_implILS5_9ELb0ES3_jPlS8_PNS0_10empty_typeENS0_5tupleIJS8_S9_EEENSB_IJS8_SA_EEENS0_18inequality_wrapperIZN2at6native12_GLOBAL__N_124unique_dim_cuda_templateItEESt5tupleIJNSF_6TensorESK_SK_EERKSK_lbbbEUlllE0_EEPmJS9_EEE10hipError_tPvRmT3_T4_T5_T6_T7_T9_mT8_P12ihipStream_tbDpT10_ENKUlT_T0_E_clISt17integral_constantIbLb1EES19_IbLb0EEEEDaS15_S16_EUlS15_E_NS1_11comp_targetILNS1_3genE4ELNS1_11target_archE910ELNS1_3gpuE8ELNS1_3repE0EEENS1_30default_config_static_selectorELNS0_4arch9wavefront6targetE1EEEvT1_
	.p2align	8
	.type	_ZN7rocprim17ROCPRIM_400000_NS6detail17trampoline_kernelINS0_14default_configENS1_25partition_config_selectorILNS1_17partition_subalgoE9EllbEEZZNS1_14partition_implILS5_9ELb0ES3_jPlS8_PNS0_10empty_typeENS0_5tupleIJS8_S9_EEENSB_IJS8_SA_EEENS0_18inequality_wrapperIZN2at6native12_GLOBAL__N_124unique_dim_cuda_templateItEESt5tupleIJNSF_6TensorESK_SK_EERKSK_lbbbEUlllE0_EEPmJS9_EEE10hipError_tPvRmT3_T4_T5_T6_T7_T9_mT8_P12ihipStream_tbDpT10_ENKUlT_T0_E_clISt17integral_constantIbLb1EES19_IbLb0EEEEDaS15_S16_EUlS15_E_NS1_11comp_targetILNS1_3genE4ELNS1_11target_archE910ELNS1_3gpuE8ELNS1_3repE0EEENS1_30default_config_static_selectorELNS0_4arch9wavefront6targetE1EEEvT1_,@function
_ZN7rocprim17ROCPRIM_400000_NS6detail17trampoline_kernelINS0_14default_configENS1_25partition_config_selectorILNS1_17partition_subalgoE9EllbEEZZNS1_14partition_implILS5_9ELb0ES3_jPlS8_PNS0_10empty_typeENS0_5tupleIJS8_S9_EEENSB_IJS8_SA_EEENS0_18inequality_wrapperIZN2at6native12_GLOBAL__N_124unique_dim_cuda_templateItEESt5tupleIJNSF_6TensorESK_SK_EERKSK_lbbbEUlllE0_EEPmJS9_EEE10hipError_tPvRmT3_T4_T5_T6_T7_T9_mT8_P12ihipStream_tbDpT10_ENKUlT_T0_E_clISt17integral_constantIbLb1EES19_IbLb0EEEEDaS15_S16_EUlS15_E_NS1_11comp_targetILNS1_3genE4ELNS1_11target_archE910ELNS1_3gpuE8ELNS1_3repE0EEENS1_30default_config_static_selectorELNS0_4arch9wavefront6targetE1EEEvT1_: ; @_ZN7rocprim17ROCPRIM_400000_NS6detail17trampoline_kernelINS0_14default_configENS1_25partition_config_selectorILNS1_17partition_subalgoE9EllbEEZZNS1_14partition_implILS5_9ELb0ES3_jPlS8_PNS0_10empty_typeENS0_5tupleIJS8_S9_EEENSB_IJS8_SA_EEENS0_18inequality_wrapperIZN2at6native12_GLOBAL__N_124unique_dim_cuda_templateItEESt5tupleIJNSF_6TensorESK_SK_EERKSK_lbbbEUlllE0_EEPmJS9_EEE10hipError_tPvRmT3_T4_T5_T6_T7_T9_mT8_P12ihipStream_tbDpT10_ENKUlT_T0_E_clISt17integral_constantIbLb1EES19_IbLb0EEEEDaS15_S16_EUlS15_E_NS1_11comp_targetILNS1_3genE4ELNS1_11target_archE910ELNS1_3gpuE8ELNS1_3repE0EEENS1_30default_config_static_selectorELNS0_4arch9wavefront6targetE1EEEvT1_
; %bb.0:
	.section	.rodata,"a",@progbits
	.p2align	6, 0x0
	.amdhsa_kernel _ZN7rocprim17ROCPRIM_400000_NS6detail17trampoline_kernelINS0_14default_configENS1_25partition_config_selectorILNS1_17partition_subalgoE9EllbEEZZNS1_14partition_implILS5_9ELb0ES3_jPlS8_PNS0_10empty_typeENS0_5tupleIJS8_S9_EEENSB_IJS8_SA_EEENS0_18inequality_wrapperIZN2at6native12_GLOBAL__N_124unique_dim_cuda_templateItEESt5tupleIJNSF_6TensorESK_SK_EERKSK_lbbbEUlllE0_EEPmJS9_EEE10hipError_tPvRmT3_T4_T5_T6_T7_T9_mT8_P12ihipStream_tbDpT10_ENKUlT_T0_E_clISt17integral_constantIbLb1EES19_IbLb0EEEEDaS15_S16_EUlS15_E_NS1_11comp_targetILNS1_3genE4ELNS1_11target_archE910ELNS1_3gpuE8ELNS1_3repE0EEENS1_30default_config_static_selectorELNS0_4arch9wavefront6targetE1EEEvT1_
		.amdhsa_group_segment_fixed_size 0
		.amdhsa_private_segment_fixed_size 0
		.amdhsa_kernarg_size 120
		.amdhsa_user_sgpr_count 2
		.amdhsa_user_sgpr_dispatch_ptr 0
		.amdhsa_user_sgpr_queue_ptr 0
		.amdhsa_user_sgpr_kernarg_segment_ptr 1
		.amdhsa_user_sgpr_dispatch_id 0
		.amdhsa_user_sgpr_kernarg_preload_length 0
		.amdhsa_user_sgpr_kernarg_preload_offset 0
		.amdhsa_user_sgpr_private_segment_size 0
		.amdhsa_uses_dynamic_stack 0
		.amdhsa_enable_private_segment 0
		.amdhsa_system_sgpr_workgroup_id_x 1
		.amdhsa_system_sgpr_workgroup_id_y 0
		.amdhsa_system_sgpr_workgroup_id_z 0
		.amdhsa_system_sgpr_workgroup_info 0
		.amdhsa_system_vgpr_workitem_id 0
		.amdhsa_next_free_vgpr 1
		.amdhsa_next_free_sgpr 0
		.amdhsa_accum_offset 4
		.amdhsa_reserve_vcc 0
		.amdhsa_float_round_mode_32 0
		.amdhsa_float_round_mode_16_64 0
		.amdhsa_float_denorm_mode_32 3
		.amdhsa_float_denorm_mode_16_64 3
		.amdhsa_dx10_clamp 1
		.amdhsa_ieee_mode 1
		.amdhsa_fp16_overflow 0
		.amdhsa_tg_split 0
		.amdhsa_exception_fp_ieee_invalid_op 0
		.amdhsa_exception_fp_denorm_src 0
		.amdhsa_exception_fp_ieee_div_zero 0
		.amdhsa_exception_fp_ieee_overflow 0
		.amdhsa_exception_fp_ieee_underflow 0
		.amdhsa_exception_fp_ieee_inexact 0
		.amdhsa_exception_int_div_zero 0
	.end_amdhsa_kernel
	.section	.text._ZN7rocprim17ROCPRIM_400000_NS6detail17trampoline_kernelINS0_14default_configENS1_25partition_config_selectorILNS1_17partition_subalgoE9EllbEEZZNS1_14partition_implILS5_9ELb0ES3_jPlS8_PNS0_10empty_typeENS0_5tupleIJS8_S9_EEENSB_IJS8_SA_EEENS0_18inequality_wrapperIZN2at6native12_GLOBAL__N_124unique_dim_cuda_templateItEESt5tupleIJNSF_6TensorESK_SK_EERKSK_lbbbEUlllE0_EEPmJS9_EEE10hipError_tPvRmT3_T4_T5_T6_T7_T9_mT8_P12ihipStream_tbDpT10_ENKUlT_T0_E_clISt17integral_constantIbLb1EES19_IbLb0EEEEDaS15_S16_EUlS15_E_NS1_11comp_targetILNS1_3genE4ELNS1_11target_archE910ELNS1_3gpuE8ELNS1_3repE0EEENS1_30default_config_static_selectorELNS0_4arch9wavefront6targetE1EEEvT1_,"axG",@progbits,_ZN7rocprim17ROCPRIM_400000_NS6detail17trampoline_kernelINS0_14default_configENS1_25partition_config_selectorILNS1_17partition_subalgoE9EllbEEZZNS1_14partition_implILS5_9ELb0ES3_jPlS8_PNS0_10empty_typeENS0_5tupleIJS8_S9_EEENSB_IJS8_SA_EEENS0_18inequality_wrapperIZN2at6native12_GLOBAL__N_124unique_dim_cuda_templateItEESt5tupleIJNSF_6TensorESK_SK_EERKSK_lbbbEUlllE0_EEPmJS9_EEE10hipError_tPvRmT3_T4_T5_T6_T7_T9_mT8_P12ihipStream_tbDpT10_ENKUlT_T0_E_clISt17integral_constantIbLb1EES19_IbLb0EEEEDaS15_S16_EUlS15_E_NS1_11comp_targetILNS1_3genE4ELNS1_11target_archE910ELNS1_3gpuE8ELNS1_3repE0EEENS1_30default_config_static_selectorELNS0_4arch9wavefront6targetE1EEEvT1_,comdat
.Lfunc_end1478:
	.size	_ZN7rocprim17ROCPRIM_400000_NS6detail17trampoline_kernelINS0_14default_configENS1_25partition_config_selectorILNS1_17partition_subalgoE9EllbEEZZNS1_14partition_implILS5_9ELb0ES3_jPlS8_PNS0_10empty_typeENS0_5tupleIJS8_S9_EEENSB_IJS8_SA_EEENS0_18inequality_wrapperIZN2at6native12_GLOBAL__N_124unique_dim_cuda_templateItEESt5tupleIJNSF_6TensorESK_SK_EERKSK_lbbbEUlllE0_EEPmJS9_EEE10hipError_tPvRmT3_T4_T5_T6_T7_T9_mT8_P12ihipStream_tbDpT10_ENKUlT_T0_E_clISt17integral_constantIbLb1EES19_IbLb0EEEEDaS15_S16_EUlS15_E_NS1_11comp_targetILNS1_3genE4ELNS1_11target_archE910ELNS1_3gpuE8ELNS1_3repE0EEENS1_30default_config_static_selectorELNS0_4arch9wavefront6targetE1EEEvT1_, .Lfunc_end1478-_ZN7rocprim17ROCPRIM_400000_NS6detail17trampoline_kernelINS0_14default_configENS1_25partition_config_selectorILNS1_17partition_subalgoE9EllbEEZZNS1_14partition_implILS5_9ELb0ES3_jPlS8_PNS0_10empty_typeENS0_5tupleIJS8_S9_EEENSB_IJS8_SA_EEENS0_18inequality_wrapperIZN2at6native12_GLOBAL__N_124unique_dim_cuda_templateItEESt5tupleIJNSF_6TensorESK_SK_EERKSK_lbbbEUlllE0_EEPmJS9_EEE10hipError_tPvRmT3_T4_T5_T6_T7_T9_mT8_P12ihipStream_tbDpT10_ENKUlT_T0_E_clISt17integral_constantIbLb1EES19_IbLb0EEEEDaS15_S16_EUlS15_E_NS1_11comp_targetILNS1_3genE4ELNS1_11target_archE910ELNS1_3gpuE8ELNS1_3repE0EEENS1_30default_config_static_selectorELNS0_4arch9wavefront6targetE1EEEvT1_
                                        ; -- End function
	.section	.AMDGPU.csdata,"",@progbits
; Kernel info:
; codeLenInByte = 0
; NumSgprs: 6
; NumVgprs: 0
; NumAgprs: 0
; TotalNumVgprs: 0
; ScratchSize: 0
; MemoryBound: 0
; FloatMode: 240
; IeeeMode: 1
; LDSByteSize: 0 bytes/workgroup (compile time only)
; SGPRBlocks: 0
; VGPRBlocks: 0
; NumSGPRsForWavesPerEU: 6
; NumVGPRsForWavesPerEU: 1
; AccumOffset: 4
; Occupancy: 8
; WaveLimiterHint : 0
; COMPUTE_PGM_RSRC2:SCRATCH_EN: 0
; COMPUTE_PGM_RSRC2:USER_SGPR: 2
; COMPUTE_PGM_RSRC2:TRAP_HANDLER: 0
; COMPUTE_PGM_RSRC2:TGID_X_EN: 1
; COMPUTE_PGM_RSRC2:TGID_Y_EN: 0
; COMPUTE_PGM_RSRC2:TGID_Z_EN: 0
; COMPUTE_PGM_RSRC2:TIDIG_COMP_CNT: 0
; COMPUTE_PGM_RSRC3_GFX90A:ACCUM_OFFSET: 0
; COMPUTE_PGM_RSRC3_GFX90A:TG_SPLIT: 0
	.section	.text._ZN7rocprim17ROCPRIM_400000_NS6detail17trampoline_kernelINS0_14default_configENS1_25partition_config_selectorILNS1_17partition_subalgoE9EllbEEZZNS1_14partition_implILS5_9ELb0ES3_jPlS8_PNS0_10empty_typeENS0_5tupleIJS8_S9_EEENSB_IJS8_SA_EEENS0_18inequality_wrapperIZN2at6native12_GLOBAL__N_124unique_dim_cuda_templateItEESt5tupleIJNSF_6TensorESK_SK_EERKSK_lbbbEUlllE0_EEPmJS9_EEE10hipError_tPvRmT3_T4_T5_T6_T7_T9_mT8_P12ihipStream_tbDpT10_ENKUlT_T0_E_clISt17integral_constantIbLb1EES19_IbLb0EEEEDaS15_S16_EUlS15_E_NS1_11comp_targetILNS1_3genE3ELNS1_11target_archE908ELNS1_3gpuE7ELNS1_3repE0EEENS1_30default_config_static_selectorELNS0_4arch9wavefront6targetE1EEEvT1_,"axG",@progbits,_ZN7rocprim17ROCPRIM_400000_NS6detail17trampoline_kernelINS0_14default_configENS1_25partition_config_selectorILNS1_17partition_subalgoE9EllbEEZZNS1_14partition_implILS5_9ELb0ES3_jPlS8_PNS0_10empty_typeENS0_5tupleIJS8_S9_EEENSB_IJS8_SA_EEENS0_18inequality_wrapperIZN2at6native12_GLOBAL__N_124unique_dim_cuda_templateItEESt5tupleIJNSF_6TensorESK_SK_EERKSK_lbbbEUlllE0_EEPmJS9_EEE10hipError_tPvRmT3_T4_T5_T6_T7_T9_mT8_P12ihipStream_tbDpT10_ENKUlT_T0_E_clISt17integral_constantIbLb1EES19_IbLb0EEEEDaS15_S16_EUlS15_E_NS1_11comp_targetILNS1_3genE3ELNS1_11target_archE908ELNS1_3gpuE7ELNS1_3repE0EEENS1_30default_config_static_selectorELNS0_4arch9wavefront6targetE1EEEvT1_,comdat
	.globl	_ZN7rocprim17ROCPRIM_400000_NS6detail17trampoline_kernelINS0_14default_configENS1_25partition_config_selectorILNS1_17partition_subalgoE9EllbEEZZNS1_14partition_implILS5_9ELb0ES3_jPlS8_PNS0_10empty_typeENS0_5tupleIJS8_S9_EEENSB_IJS8_SA_EEENS0_18inequality_wrapperIZN2at6native12_GLOBAL__N_124unique_dim_cuda_templateItEESt5tupleIJNSF_6TensorESK_SK_EERKSK_lbbbEUlllE0_EEPmJS9_EEE10hipError_tPvRmT3_T4_T5_T6_T7_T9_mT8_P12ihipStream_tbDpT10_ENKUlT_T0_E_clISt17integral_constantIbLb1EES19_IbLb0EEEEDaS15_S16_EUlS15_E_NS1_11comp_targetILNS1_3genE3ELNS1_11target_archE908ELNS1_3gpuE7ELNS1_3repE0EEENS1_30default_config_static_selectorELNS0_4arch9wavefront6targetE1EEEvT1_ ; -- Begin function _ZN7rocprim17ROCPRIM_400000_NS6detail17trampoline_kernelINS0_14default_configENS1_25partition_config_selectorILNS1_17partition_subalgoE9EllbEEZZNS1_14partition_implILS5_9ELb0ES3_jPlS8_PNS0_10empty_typeENS0_5tupleIJS8_S9_EEENSB_IJS8_SA_EEENS0_18inequality_wrapperIZN2at6native12_GLOBAL__N_124unique_dim_cuda_templateItEESt5tupleIJNSF_6TensorESK_SK_EERKSK_lbbbEUlllE0_EEPmJS9_EEE10hipError_tPvRmT3_T4_T5_T6_T7_T9_mT8_P12ihipStream_tbDpT10_ENKUlT_T0_E_clISt17integral_constantIbLb1EES19_IbLb0EEEEDaS15_S16_EUlS15_E_NS1_11comp_targetILNS1_3genE3ELNS1_11target_archE908ELNS1_3gpuE7ELNS1_3repE0EEENS1_30default_config_static_selectorELNS0_4arch9wavefront6targetE1EEEvT1_
	.p2align	8
	.type	_ZN7rocprim17ROCPRIM_400000_NS6detail17trampoline_kernelINS0_14default_configENS1_25partition_config_selectorILNS1_17partition_subalgoE9EllbEEZZNS1_14partition_implILS5_9ELb0ES3_jPlS8_PNS0_10empty_typeENS0_5tupleIJS8_S9_EEENSB_IJS8_SA_EEENS0_18inequality_wrapperIZN2at6native12_GLOBAL__N_124unique_dim_cuda_templateItEESt5tupleIJNSF_6TensorESK_SK_EERKSK_lbbbEUlllE0_EEPmJS9_EEE10hipError_tPvRmT3_T4_T5_T6_T7_T9_mT8_P12ihipStream_tbDpT10_ENKUlT_T0_E_clISt17integral_constantIbLb1EES19_IbLb0EEEEDaS15_S16_EUlS15_E_NS1_11comp_targetILNS1_3genE3ELNS1_11target_archE908ELNS1_3gpuE7ELNS1_3repE0EEENS1_30default_config_static_selectorELNS0_4arch9wavefront6targetE1EEEvT1_,@function
_ZN7rocprim17ROCPRIM_400000_NS6detail17trampoline_kernelINS0_14default_configENS1_25partition_config_selectorILNS1_17partition_subalgoE9EllbEEZZNS1_14partition_implILS5_9ELb0ES3_jPlS8_PNS0_10empty_typeENS0_5tupleIJS8_S9_EEENSB_IJS8_SA_EEENS0_18inequality_wrapperIZN2at6native12_GLOBAL__N_124unique_dim_cuda_templateItEESt5tupleIJNSF_6TensorESK_SK_EERKSK_lbbbEUlllE0_EEPmJS9_EEE10hipError_tPvRmT3_T4_T5_T6_T7_T9_mT8_P12ihipStream_tbDpT10_ENKUlT_T0_E_clISt17integral_constantIbLb1EES19_IbLb0EEEEDaS15_S16_EUlS15_E_NS1_11comp_targetILNS1_3genE3ELNS1_11target_archE908ELNS1_3gpuE7ELNS1_3repE0EEENS1_30default_config_static_selectorELNS0_4arch9wavefront6targetE1EEEvT1_: ; @_ZN7rocprim17ROCPRIM_400000_NS6detail17trampoline_kernelINS0_14default_configENS1_25partition_config_selectorILNS1_17partition_subalgoE9EllbEEZZNS1_14partition_implILS5_9ELb0ES3_jPlS8_PNS0_10empty_typeENS0_5tupleIJS8_S9_EEENSB_IJS8_SA_EEENS0_18inequality_wrapperIZN2at6native12_GLOBAL__N_124unique_dim_cuda_templateItEESt5tupleIJNSF_6TensorESK_SK_EERKSK_lbbbEUlllE0_EEPmJS9_EEE10hipError_tPvRmT3_T4_T5_T6_T7_T9_mT8_P12ihipStream_tbDpT10_ENKUlT_T0_E_clISt17integral_constantIbLb1EES19_IbLb0EEEEDaS15_S16_EUlS15_E_NS1_11comp_targetILNS1_3genE3ELNS1_11target_archE908ELNS1_3gpuE7ELNS1_3repE0EEENS1_30default_config_static_selectorELNS0_4arch9wavefront6targetE1EEEvT1_
; %bb.0:
	.section	.rodata,"a",@progbits
	.p2align	6, 0x0
	.amdhsa_kernel _ZN7rocprim17ROCPRIM_400000_NS6detail17trampoline_kernelINS0_14default_configENS1_25partition_config_selectorILNS1_17partition_subalgoE9EllbEEZZNS1_14partition_implILS5_9ELb0ES3_jPlS8_PNS0_10empty_typeENS0_5tupleIJS8_S9_EEENSB_IJS8_SA_EEENS0_18inequality_wrapperIZN2at6native12_GLOBAL__N_124unique_dim_cuda_templateItEESt5tupleIJNSF_6TensorESK_SK_EERKSK_lbbbEUlllE0_EEPmJS9_EEE10hipError_tPvRmT3_T4_T5_T6_T7_T9_mT8_P12ihipStream_tbDpT10_ENKUlT_T0_E_clISt17integral_constantIbLb1EES19_IbLb0EEEEDaS15_S16_EUlS15_E_NS1_11comp_targetILNS1_3genE3ELNS1_11target_archE908ELNS1_3gpuE7ELNS1_3repE0EEENS1_30default_config_static_selectorELNS0_4arch9wavefront6targetE1EEEvT1_
		.amdhsa_group_segment_fixed_size 0
		.amdhsa_private_segment_fixed_size 0
		.amdhsa_kernarg_size 120
		.amdhsa_user_sgpr_count 2
		.amdhsa_user_sgpr_dispatch_ptr 0
		.amdhsa_user_sgpr_queue_ptr 0
		.amdhsa_user_sgpr_kernarg_segment_ptr 1
		.amdhsa_user_sgpr_dispatch_id 0
		.amdhsa_user_sgpr_kernarg_preload_length 0
		.amdhsa_user_sgpr_kernarg_preload_offset 0
		.amdhsa_user_sgpr_private_segment_size 0
		.amdhsa_uses_dynamic_stack 0
		.amdhsa_enable_private_segment 0
		.amdhsa_system_sgpr_workgroup_id_x 1
		.amdhsa_system_sgpr_workgroup_id_y 0
		.amdhsa_system_sgpr_workgroup_id_z 0
		.amdhsa_system_sgpr_workgroup_info 0
		.amdhsa_system_vgpr_workitem_id 0
		.amdhsa_next_free_vgpr 1
		.amdhsa_next_free_sgpr 0
		.amdhsa_accum_offset 4
		.amdhsa_reserve_vcc 0
		.amdhsa_float_round_mode_32 0
		.amdhsa_float_round_mode_16_64 0
		.amdhsa_float_denorm_mode_32 3
		.amdhsa_float_denorm_mode_16_64 3
		.amdhsa_dx10_clamp 1
		.amdhsa_ieee_mode 1
		.amdhsa_fp16_overflow 0
		.amdhsa_tg_split 0
		.amdhsa_exception_fp_ieee_invalid_op 0
		.amdhsa_exception_fp_denorm_src 0
		.amdhsa_exception_fp_ieee_div_zero 0
		.amdhsa_exception_fp_ieee_overflow 0
		.amdhsa_exception_fp_ieee_underflow 0
		.amdhsa_exception_fp_ieee_inexact 0
		.amdhsa_exception_int_div_zero 0
	.end_amdhsa_kernel
	.section	.text._ZN7rocprim17ROCPRIM_400000_NS6detail17trampoline_kernelINS0_14default_configENS1_25partition_config_selectorILNS1_17partition_subalgoE9EllbEEZZNS1_14partition_implILS5_9ELb0ES3_jPlS8_PNS0_10empty_typeENS0_5tupleIJS8_S9_EEENSB_IJS8_SA_EEENS0_18inequality_wrapperIZN2at6native12_GLOBAL__N_124unique_dim_cuda_templateItEESt5tupleIJNSF_6TensorESK_SK_EERKSK_lbbbEUlllE0_EEPmJS9_EEE10hipError_tPvRmT3_T4_T5_T6_T7_T9_mT8_P12ihipStream_tbDpT10_ENKUlT_T0_E_clISt17integral_constantIbLb1EES19_IbLb0EEEEDaS15_S16_EUlS15_E_NS1_11comp_targetILNS1_3genE3ELNS1_11target_archE908ELNS1_3gpuE7ELNS1_3repE0EEENS1_30default_config_static_selectorELNS0_4arch9wavefront6targetE1EEEvT1_,"axG",@progbits,_ZN7rocprim17ROCPRIM_400000_NS6detail17trampoline_kernelINS0_14default_configENS1_25partition_config_selectorILNS1_17partition_subalgoE9EllbEEZZNS1_14partition_implILS5_9ELb0ES3_jPlS8_PNS0_10empty_typeENS0_5tupleIJS8_S9_EEENSB_IJS8_SA_EEENS0_18inequality_wrapperIZN2at6native12_GLOBAL__N_124unique_dim_cuda_templateItEESt5tupleIJNSF_6TensorESK_SK_EERKSK_lbbbEUlllE0_EEPmJS9_EEE10hipError_tPvRmT3_T4_T5_T6_T7_T9_mT8_P12ihipStream_tbDpT10_ENKUlT_T0_E_clISt17integral_constantIbLb1EES19_IbLb0EEEEDaS15_S16_EUlS15_E_NS1_11comp_targetILNS1_3genE3ELNS1_11target_archE908ELNS1_3gpuE7ELNS1_3repE0EEENS1_30default_config_static_selectorELNS0_4arch9wavefront6targetE1EEEvT1_,comdat
.Lfunc_end1479:
	.size	_ZN7rocprim17ROCPRIM_400000_NS6detail17trampoline_kernelINS0_14default_configENS1_25partition_config_selectorILNS1_17partition_subalgoE9EllbEEZZNS1_14partition_implILS5_9ELb0ES3_jPlS8_PNS0_10empty_typeENS0_5tupleIJS8_S9_EEENSB_IJS8_SA_EEENS0_18inequality_wrapperIZN2at6native12_GLOBAL__N_124unique_dim_cuda_templateItEESt5tupleIJNSF_6TensorESK_SK_EERKSK_lbbbEUlllE0_EEPmJS9_EEE10hipError_tPvRmT3_T4_T5_T6_T7_T9_mT8_P12ihipStream_tbDpT10_ENKUlT_T0_E_clISt17integral_constantIbLb1EES19_IbLb0EEEEDaS15_S16_EUlS15_E_NS1_11comp_targetILNS1_3genE3ELNS1_11target_archE908ELNS1_3gpuE7ELNS1_3repE0EEENS1_30default_config_static_selectorELNS0_4arch9wavefront6targetE1EEEvT1_, .Lfunc_end1479-_ZN7rocprim17ROCPRIM_400000_NS6detail17trampoline_kernelINS0_14default_configENS1_25partition_config_selectorILNS1_17partition_subalgoE9EllbEEZZNS1_14partition_implILS5_9ELb0ES3_jPlS8_PNS0_10empty_typeENS0_5tupleIJS8_S9_EEENSB_IJS8_SA_EEENS0_18inequality_wrapperIZN2at6native12_GLOBAL__N_124unique_dim_cuda_templateItEESt5tupleIJNSF_6TensorESK_SK_EERKSK_lbbbEUlllE0_EEPmJS9_EEE10hipError_tPvRmT3_T4_T5_T6_T7_T9_mT8_P12ihipStream_tbDpT10_ENKUlT_T0_E_clISt17integral_constantIbLb1EES19_IbLb0EEEEDaS15_S16_EUlS15_E_NS1_11comp_targetILNS1_3genE3ELNS1_11target_archE908ELNS1_3gpuE7ELNS1_3repE0EEENS1_30default_config_static_selectorELNS0_4arch9wavefront6targetE1EEEvT1_
                                        ; -- End function
	.section	.AMDGPU.csdata,"",@progbits
; Kernel info:
; codeLenInByte = 0
; NumSgprs: 6
; NumVgprs: 0
; NumAgprs: 0
; TotalNumVgprs: 0
; ScratchSize: 0
; MemoryBound: 0
; FloatMode: 240
; IeeeMode: 1
; LDSByteSize: 0 bytes/workgroup (compile time only)
; SGPRBlocks: 0
; VGPRBlocks: 0
; NumSGPRsForWavesPerEU: 6
; NumVGPRsForWavesPerEU: 1
; AccumOffset: 4
; Occupancy: 8
; WaveLimiterHint : 0
; COMPUTE_PGM_RSRC2:SCRATCH_EN: 0
; COMPUTE_PGM_RSRC2:USER_SGPR: 2
; COMPUTE_PGM_RSRC2:TRAP_HANDLER: 0
; COMPUTE_PGM_RSRC2:TGID_X_EN: 1
; COMPUTE_PGM_RSRC2:TGID_Y_EN: 0
; COMPUTE_PGM_RSRC2:TGID_Z_EN: 0
; COMPUTE_PGM_RSRC2:TIDIG_COMP_CNT: 0
; COMPUTE_PGM_RSRC3_GFX90A:ACCUM_OFFSET: 0
; COMPUTE_PGM_RSRC3_GFX90A:TG_SPLIT: 0
	.section	.text._ZN7rocprim17ROCPRIM_400000_NS6detail17trampoline_kernelINS0_14default_configENS1_25partition_config_selectorILNS1_17partition_subalgoE9EllbEEZZNS1_14partition_implILS5_9ELb0ES3_jPlS8_PNS0_10empty_typeENS0_5tupleIJS8_S9_EEENSB_IJS8_SA_EEENS0_18inequality_wrapperIZN2at6native12_GLOBAL__N_124unique_dim_cuda_templateItEESt5tupleIJNSF_6TensorESK_SK_EERKSK_lbbbEUlllE0_EEPmJS9_EEE10hipError_tPvRmT3_T4_T5_T6_T7_T9_mT8_P12ihipStream_tbDpT10_ENKUlT_T0_E_clISt17integral_constantIbLb1EES19_IbLb0EEEEDaS15_S16_EUlS15_E_NS1_11comp_targetILNS1_3genE2ELNS1_11target_archE906ELNS1_3gpuE6ELNS1_3repE0EEENS1_30default_config_static_selectorELNS0_4arch9wavefront6targetE1EEEvT1_,"axG",@progbits,_ZN7rocprim17ROCPRIM_400000_NS6detail17trampoline_kernelINS0_14default_configENS1_25partition_config_selectorILNS1_17partition_subalgoE9EllbEEZZNS1_14partition_implILS5_9ELb0ES3_jPlS8_PNS0_10empty_typeENS0_5tupleIJS8_S9_EEENSB_IJS8_SA_EEENS0_18inequality_wrapperIZN2at6native12_GLOBAL__N_124unique_dim_cuda_templateItEESt5tupleIJNSF_6TensorESK_SK_EERKSK_lbbbEUlllE0_EEPmJS9_EEE10hipError_tPvRmT3_T4_T5_T6_T7_T9_mT8_P12ihipStream_tbDpT10_ENKUlT_T0_E_clISt17integral_constantIbLb1EES19_IbLb0EEEEDaS15_S16_EUlS15_E_NS1_11comp_targetILNS1_3genE2ELNS1_11target_archE906ELNS1_3gpuE6ELNS1_3repE0EEENS1_30default_config_static_selectorELNS0_4arch9wavefront6targetE1EEEvT1_,comdat
	.globl	_ZN7rocprim17ROCPRIM_400000_NS6detail17trampoline_kernelINS0_14default_configENS1_25partition_config_selectorILNS1_17partition_subalgoE9EllbEEZZNS1_14partition_implILS5_9ELb0ES3_jPlS8_PNS0_10empty_typeENS0_5tupleIJS8_S9_EEENSB_IJS8_SA_EEENS0_18inequality_wrapperIZN2at6native12_GLOBAL__N_124unique_dim_cuda_templateItEESt5tupleIJNSF_6TensorESK_SK_EERKSK_lbbbEUlllE0_EEPmJS9_EEE10hipError_tPvRmT3_T4_T5_T6_T7_T9_mT8_P12ihipStream_tbDpT10_ENKUlT_T0_E_clISt17integral_constantIbLb1EES19_IbLb0EEEEDaS15_S16_EUlS15_E_NS1_11comp_targetILNS1_3genE2ELNS1_11target_archE906ELNS1_3gpuE6ELNS1_3repE0EEENS1_30default_config_static_selectorELNS0_4arch9wavefront6targetE1EEEvT1_ ; -- Begin function _ZN7rocprim17ROCPRIM_400000_NS6detail17trampoline_kernelINS0_14default_configENS1_25partition_config_selectorILNS1_17partition_subalgoE9EllbEEZZNS1_14partition_implILS5_9ELb0ES3_jPlS8_PNS0_10empty_typeENS0_5tupleIJS8_S9_EEENSB_IJS8_SA_EEENS0_18inequality_wrapperIZN2at6native12_GLOBAL__N_124unique_dim_cuda_templateItEESt5tupleIJNSF_6TensorESK_SK_EERKSK_lbbbEUlllE0_EEPmJS9_EEE10hipError_tPvRmT3_T4_T5_T6_T7_T9_mT8_P12ihipStream_tbDpT10_ENKUlT_T0_E_clISt17integral_constantIbLb1EES19_IbLb0EEEEDaS15_S16_EUlS15_E_NS1_11comp_targetILNS1_3genE2ELNS1_11target_archE906ELNS1_3gpuE6ELNS1_3repE0EEENS1_30default_config_static_selectorELNS0_4arch9wavefront6targetE1EEEvT1_
	.p2align	8
	.type	_ZN7rocprim17ROCPRIM_400000_NS6detail17trampoline_kernelINS0_14default_configENS1_25partition_config_selectorILNS1_17partition_subalgoE9EllbEEZZNS1_14partition_implILS5_9ELb0ES3_jPlS8_PNS0_10empty_typeENS0_5tupleIJS8_S9_EEENSB_IJS8_SA_EEENS0_18inequality_wrapperIZN2at6native12_GLOBAL__N_124unique_dim_cuda_templateItEESt5tupleIJNSF_6TensorESK_SK_EERKSK_lbbbEUlllE0_EEPmJS9_EEE10hipError_tPvRmT3_T4_T5_T6_T7_T9_mT8_P12ihipStream_tbDpT10_ENKUlT_T0_E_clISt17integral_constantIbLb1EES19_IbLb0EEEEDaS15_S16_EUlS15_E_NS1_11comp_targetILNS1_3genE2ELNS1_11target_archE906ELNS1_3gpuE6ELNS1_3repE0EEENS1_30default_config_static_selectorELNS0_4arch9wavefront6targetE1EEEvT1_,@function
_ZN7rocprim17ROCPRIM_400000_NS6detail17trampoline_kernelINS0_14default_configENS1_25partition_config_selectorILNS1_17partition_subalgoE9EllbEEZZNS1_14partition_implILS5_9ELb0ES3_jPlS8_PNS0_10empty_typeENS0_5tupleIJS8_S9_EEENSB_IJS8_SA_EEENS0_18inequality_wrapperIZN2at6native12_GLOBAL__N_124unique_dim_cuda_templateItEESt5tupleIJNSF_6TensorESK_SK_EERKSK_lbbbEUlllE0_EEPmJS9_EEE10hipError_tPvRmT3_T4_T5_T6_T7_T9_mT8_P12ihipStream_tbDpT10_ENKUlT_T0_E_clISt17integral_constantIbLb1EES19_IbLb0EEEEDaS15_S16_EUlS15_E_NS1_11comp_targetILNS1_3genE2ELNS1_11target_archE906ELNS1_3gpuE6ELNS1_3repE0EEENS1_30default_config_static_selectorELNS0_4arch9wavefront6targetE1EEEvT1_: ; @_ZN7rocprim17ROCPRIM_400000_NS6detail17trampoline_kernelINS0_14default_configENS1_25partition_config_selectorILNS1_17partition_subalgoE9EllbEEZZNS1_14partition_implILS5_9ELb0ES3_jPlS8_PNS0_10empty_typeENS0_5tupleIJS8_S9_EEENSB_IJS8_SA_EEENS0_18inequality_wrapperIZN2at6native12_GLOBAL__N_124unique_dim_cuda_templateItEESt5tupleIJNSF_6TensorESK_SK_EERKSK_lbbbEUlllE0_EEPmJS9_EEE10hipError_tPvRmT3_T4_T5_T6_T7_T9_mT8_P12ihipStream_tbDpT10_ENKUlT_T0_E_clISt17integral_constantIbLb1EES19_IbLb0EEEEDaS15_S16_EUlS15_E_NS1_11comp_targetILNS1_3genE2ELNS1_11target_archE906ELNS1_3gpuE6ELNS1_3repE0EEENS1_30default_config_static_selectorELNS0_4arch9wavefront6targetE1EEEvT1_
; %bb.0:
	.section	.rodata,"a",@progbits
	.p2align	6, 0x0
	.amdhsa_kernel _ZN7rocprim17ROCPRIM_400000_NS6detail17trampoline_kernelINS0_14default_configENS1_25partition_config_selectorILNS1_17partition_subalgoE9EllbEEZZNS1_14partition_implILS5_9ELb0ES3_jPlS8_PNS0_10empty_typeENS0_5tupleIJS8_S9_EEENSB_IJS8_SA_EEENS0_18inequality_wrapperIZN2at6native12_GLOBAL__N_124unique_dim_cuda_templateItEESt5tupleIJNSF_6TensorESK_SK_EERKSK_lbbbEUlllE0_EEPmJS9_EEE10hipError_tPvRmT3_T4_T5_T6_T7_T9_mT8_P12ihipStream_tbDpT10_ENKUlT_T0_E_clISt17integral_constantIbLb1EES19_IbLb0EEEEDaS15_S16_EUlS15_E_NS1_11comp_targetILNS1_3genE2ELNS1_11target_archE906ELNS1_3gpuE6ELNS1_3repE0EEENS1_30default_config_static_selectorELNS0_4arch9wavefront6targetE1EEEvT1_
		.amdhsa_group_segment_fixed_size 0
		.amdhsa_private_segment_fixed_size 0
		.amdhsa_kernarg_size 120
		.amdhsa_user_sgpr_count 2
		.amdhsa_user_sgpr_dispatch_ptr 0
		.amdhsa_user_sgpr_queue_ptr 0
		.amdhsa_user_sgpr_kernarg_segment_ptr 1
		.amdhsa_user_sgpr_dispatch_id 0
		.amdhsa_user_sgpr_kernarg_preload_length 0
		.amdhsa_user_sgpr_kernarg_preload_offset 0
		.amdhsa_user_sgpr_private_segment_size 0
		.amdhsa_uses_dynamic_stack 0
		.amdhsa_enable_private_segment 0
		.amdhsa_system_sgpr_workgroup_id_x 1
		.amdhsa_system_sgpr_workgroup_id_y 0
		.amdhsa_system_sgpr_workgroup_id_z 0
		.amdhsa_system_sgpr_workgroup_info 0
		.amdhsa_system_vgpr_workitem_id 0
		.amdhsa_next_free_vgpr 1
		.amdhsa_next_free_sgpr 0
		.amdhsa_accum_offset 4
		.amdhsa_reserve_vcc 0
		.amdhsa_float_round_mode_32 0
		.amdhsa_float_round_mode_16_64 0
		.amdhsa_float_denorm_mode_32 3
		.amdhsa_float_denorm_mode_16_64 3
		.amdhsa_dx10_clamp 1
		.amdhsa_ieee_mode 1
		.amdhsa_fp16_overflow 0
		.amdhsa_tg_split 0
		.amdhsa_exception_fp_ieee_invalid_op 0
		.amdhsa_exception_fp_denorm_src 0
		.amdhsa_exception_fp_ieee_div_zero 0
		.amdhsa_exception_fp_ieee_overflow 0
		.amdhsa_exception_fp_ieee_underflow 0
		.amdhsa_exception_fp_ieee_inexact 0
		.amdhsa_exception_int_div_zero 0
	.end_amdhsa_kernel
	.section	.text._ZN7rocprim17ROCPRIM_400000_NS6detail17trampoline_kernelINS0_14default_configENS1_25partition_config_selectorILNS1_17partition_subalgoE9EllbEEZZNS1_14partition_implILS5_9ELb0ES3_jPlS8_PNS0_10empty_typeENS0_5tupleIJS8_S9_EEENSB_IJS8_SA_EEENS0_18inequality_wrapperIZN2at6native12_GLOBAL__N_124unique_dim_cuda_templateItEESt5tupleIJNSF_6TensorESK_SK_EERKSK_lbbbEUlllE0_EEPmJS9_EEE10hipError_tPvRmT3_T4_T5_T6_T7_T9_mT8_P12ihipStream_tbDpT10_ENKUlT_T0_E_clISt17integral_constantIbLb1EES19_IbLb0EEEEDaS15_S16_EUlS15_E_NS1_11comp_targetILNS1_3genE2ELNS1_11target_archE906ELNS1_3gpuE6ELNS1_3repE0EEENS1_30default_config_static_selectorELNS0_4arch9wavefront6targetE1EEEvT1_,"axG",@progbits,_ZN7rocprim17ROCPRIM_400000_NS6detail17trampoline_kernelINS0_14default_configENS1_25partition_config_selectorILNS1_17partition_subalgoE9EllbEEZZNS1_14partition_implILS5_9ELb0ES3_jPlS8_PNS0_10empty_typeENS0_5tupleIJS8_S9_EEENSB_IJS8_SA_EEENS0_18inequality_wrapperIZN2at6native12_GLOBAL__N_124unique_dim_cuda_templateItEESt5tupleIJNSF_6TensorESK_SK_EERKSK_lbbbEUlllE0_EEPmJS9_EEE10hipError_tPvRmT3_T4_T5_T6_T7_T9_mT8_P12ihipStream_tbDpT10_ENKUlT_T0_E_clISt17integral_constantIbLb1EES19_IbLb0EEEEDaS15_S16_EUlS15_E_NS1_11comp_targetILNS1_3genE2ELNS1_11target_archE906ELNS1_3gpuE6ELNS1_3repE0EEENS1_30default_config_static_selectorELNS0_4arch9wavefront6targetE1EEEvT1_,comdat
.Lfunc_end1480:
	.size	_ZN7rocprim17ROCPRIM_400000_NS6detail17trampoline_kernelINS0_14default_configENS1_25partition_config_selectorILNS1_17partition_subalgoE9EllbEEZZNS1_14partition_implILS5_9ELb0ES3_jPlS8_PNS0_10empty_typeENS0_5tupleIJS8_S9_EEENSB_IJS8_SA_EEENS0_18inequality_wrapperIZN2at6native12_GLOBAL__N_124unique_dim_cuda_templateItEESt5tupleIJNSF_6TensorESK_SK_EERKSK_lbbbEUlllE0_EEPmJS9_EEE10hipError_tPvRmT3_T4_T5_T6_T7_T9_mT8_P12ihipStream_tbDpT10_ENKUlT_T0_E_clISt17integral_constantIbLb1EES19_IbLb0EEEEDaS15_S16_EUlS15_E_NS1_11comp_targetILNS1_3genE2ELNS1_11target_archE906ELNS1_3gpuE6ELNS1_3repE0EEENS1_30default_config_static_selectorELNS0_4arch9wavefront6targetE1EEEvT1_, .Lfunc_end1480-_ZN7rocprim17ROCPRIM_400000_NS6detail17trampoline_kernelINS0_14default_configENS1_25partition_config_selectorILNS1_17partition_subalgoE9EllbEEZZNS1_14partition_implILS5_9ELb0ES3_jPlS8_PNS0_10empty_typeENS0_5tupleIJS8_S9_EEENSB_IJS8_SA_EEENS0_18inequality_wrapperIZN2at6native12_GLOBAL__N_124unique_dim_cuda_templateItEESt5tupleIJNSF_6TensorESK_SK_EERKSK_lbbbEUlllE0_EEPmJS9_EEE10hipError_tPvRmT3_T4_T5_T6_T7_T9_mT8_P12ihipStream_tbDpT10_ENKUlT_T0_E_clISt17integral_constantIbLb1EES19_IbLb0EEEEDaS15_S16_EUlS15_E_NS1_11comp_targetILNS1_3genE2ELNS1_11target_archE906ELNS1_3gpuE6ELNS1_3repE0EEENS1_30default_config_static_selectorELNS0_4arch9wavefront6targetE1EEEvT1_
                                        ; -- End function
	.section	.AMDGPU.csdata,"",@progbits
; Kernel info:
; codeLenInByte = 0
; NumSgprs: 6
; NumVgprs: 0
; NumAgprs: 0
; TotalNumVgprs: 0
; ScratchSize: 0
; MemoryBound: 0
; FloatMode: 240
; IeeeMode: 1
; LDSByteSize: 0 bytes/workgroup (compile time only)
; SGPRBlocks: 0
; VGPRBlocks: 0
; NumSGPRsForWavesPerEU: 6
; NumVGPRsForWavesPerEU: 1
; AccumOffset: 4
; Occupancy: 8
; WaveLimiterHint : 0
; COMPUTE_PGM_RSRC2:SCRATCH_EN: 0
; COMPUTE_PGM_RSRC2:USER_SGPR: 2
; COMPUTE_PGM_RSRC2:TRAP_HANDLER: 0
; COMPUTE_PGM_RSRC2:TGID_X_EN: 1
; COMPUTE_PGM_RSRC2:TGID_Y_EN: 0
; COMPUTE_PGM_RSRC2:TGID_Z_EN: 0
; COMPUTE_PGM_RSRC2:TIDIG_COMP_CNT: 0
; COMPUTE_PGM_RSRC3_GFX90A:ACCUM_OFFSET: 0
; COMPUTE_PGM_RSRC3_GFX90A:TG_SPLIT: 0
	.section	.text._ZN7rocprim17ROCPRIM_400000_NS6detail17trampoline_kernelINS0_14default_configENS1_25partition_config_selectorILNS1_17partition_subalgoE9EllbEEZZNS1_14partition_implILS5_9ELb0ES3_jPlS8_PNS0_10empty_typeENS0_5tupleIJS8_S9_EEENSB_IJS8_SA_EEENS0_18inequality_wrapperIZN2at6native12_GLOBAL__N_124unique_dim_cuda_templateItEESt5tupleIJNSF_6TensorESK_SK_EERKSK_lbbbEUlllE0_EEPmJS9_EEE10hipError_tPvRmT3_T4_T5_T6_T7_T9_mT8_P12ihipStream_tbDpT10_ENKUlT_T0_E_clISt17integral_constantIbLb1EES19_IbLb0EEEEDaS15_S16_EUlS15_E_NS1_11comp_targetILNS1_3genE10ELNS1_11target_archE1200ELNS1_3gpuE4ELNS1_3repE0EEENS1_30default_config_static_selectorELNS0_4arch9wavefront6targetE1EEEvT1_,"axG",@progbits,_ZN7rocprim17ROCPRIM_400000_NS6detail17trampoline_kernelINS0_14default_configENS1_25partition_config_selectorILNS1_17partition_subalgoE9EllbEEZZNS1_14partition_implILS5_9ELb0ES3_jPlS8_PNS0_10empty_typeENS0_5tupleIJS8_S9_EEENSB_IJS8_SA_EEENS0_18inequality_wrapperIZN2at6native12_GLOBAL__N_124unique_dim_cuda_templateItEESt5tupleIJNSF_6TensorESK_SK_EERKSK_lbbbEUlllE0_EEPmJS9_EEE10hipError_tPvRmT3_T4_T5_T6_T7_T9_mT8_P12ihipStream_tbDpT10_ENKUlT_T0_E_clISt17integral_constantIbLb1EES19_IbLb0EEEEDaS15_S16_EUlS15_E_NS1_11comp_targetILNS1_3genE10ELNS1_11target_archE1200ELNS1_3gpuE4ELNS1_3repE0EEENS1_30default_config_static_selectorELNS0_4arch9wavefront6targetE1EEEvT1_,comdat
	.globl	_ZN7rocprim17ROCPRIM_400000_NS6detail17trampoline_kernelINS0_14default_configENS1_25partition_config_selectorILNS1_17partition_subalgoE9EllbEEZZNS1_14partition_implILS5_9ELb0ES3_jPlS8_PNS0_10empty_typeENS0_5tupleIJS8_S9_EEENSB_IJS8_SA_EEENS0_18inequality_wrapperIZN2at6native12_GLOBAL__N_124unique_dim_cuda_templateItEESt5tupleIJNSF_6TensorESK_SK_EERKSK_lbbbEUlllE0_EEPmJS9_EEE10hipError_tPvRmT3_T4_T5_T6_T7_T9_mT8_P12ihipStream_tbDpT10_ENKUlT_T0_E_clISt17integral_constantIbLb1EES19_IbLb0EEEEDaS15_S16_EUlS15_E_NS1_11comp_targetILNS1_3genE10ELNS1_11target_archE1200ELNS1_3gpuE4ELNS1_3repE0EEENS1_30default_config_static_selectorELNS0_4arch9wavefront6targetE1EEEvT1_ ; -- Begin function _ZN7rocprim17ROCPRIM_400000_NS6detail17trampoline_kernelINS0_14default_configENS1_25partition_config_selectorILNS1_17partition_subalgoE9EllbEEZZNS1_14partition_implILS5_9ELb0ES3_jPlS8_PNS0_10empty_typeENS0_5tupleIJS8_S9_EEENSB_IJS8_SA_EEENS0_18inequality_wrapperIZN2at6native12_GLOBAL__N_124unique_dim_cuda_templateItEESt5tupleIJNSF_6TensorESK_SK_EERKSK_lbbbEUlllE0_EEPmJS9_EEE10hipError_tPvRmT3_T4_T5_T6_T7_T9_mT8_P12ihipStream_tbDpT10_ENKUlT_T0_E_clISt17integral_constantIbLb1EES19_IbLb0EEEEDaS15_S16_EUlS15_E_NS1_11comp_targetILNS1_3genE10ELNS1_11target_archE1200ELNS1_3gpuE4ELNS1_3repE0EEENS1_30default_config_static_selectorELNS0_4arch9wavefront6targetE1EEEvT1_
	.p2align	8
	.type	_ZN7rocprim17ROCPRIM_400000_NS6detail17trampoline_kernelINS0_14default_configENS1_25partition_config_selectorILNS1_17partition_subalgoE9EllbEEZZNS1_14partition_implILS5_9ELb0ES3_jPlS8_PNS0_10empty_typeENS0_5tupleIJS8_S9_EEENSB_IJS8_SA_EEENS0_18inequality_wrapperIZN2at6native12_GLOBAL__N_124unique_dim_cuda_templateItEESt5tupleIJNSF_6TensorESK_SK_EERKSK_lbbbEUlllE0_EEPmJS9_EEE10hipError_tPvRmT3_T4_T5_T6_T7_T9_mT8_P12ihipStream_tbDpT10_ENKUlT_T0_E_clISt17integral_constantIbLb1EES19_IbLb0EEEEDaS15_S16_EUlS15_E_NS1_11comp_targetILNS1_3genE10ELNS1_11target_archE1200ELNS1_3gpuE4ELNS1_3repE0EEENS1_30default_config_static_selectorELNS0_4arch9wavefront6targetE1EEEvT1_,@function
_ZN7rocprim17ROCPRIM_400000_NS6detail17trampoline_kernelINS0_14default_configENS1_25partition_config_selectorILNS1_17partition_subalgoE9EllbEEZZNS1_14partition_implILS5_9ELb0ES3_jPlS8_PNS0_10empty_typeENS0_5tupleIJS8_S9_EEENSB_IJS8_SA_EEENS0_18inequality_wrapperIZN2at6native12_GLOBAL__N_124unique_dim_cuda_templateItEESt5tupleIJNSF_6TensorESK_SK_EERKSK_lbbbEUlllE0_EEPmJS9_EEE10hipError_tPvRmT3_T4_T5_T6_T7_T9_mT8_P12ihipStream_tbDpT10_ENKUlT_T0_E_clISt17integral_constantIbLb1EES19_IbLb0EEEEDaS15_S16_EUlS15_E_NS1_11comp_targetILNS1_3genE10ELNS1_11target_archE1200ELNS1_3gpuE4ELNS1_3repE0EEENS1_30default_config_static_selectorELNS0_4arch9wavefront6targetE1EEEvT1_: ; @_ZN7rocprim17ROCPRIM_400000_NS6detail17trampoline_kernelINS0_14default_configENS1_25partition_config_selectorILNS1_17partition_subalgoE9EllbEEZZNS1_14partition_implILS5_9ELb0ES3_jPlS8_PNS0_10empty_typeENS0_5tupleIJS8_S9_EEENSB_IJS8_SA_EEENS0_18inequality_wrapperIZN2at6native12_GLOBAL__N_124unique_dim_cuda_templateItEESt5tupleIJNSF_6TensorESK_SK_EERKSK_lbbbEUlllE0_EEPmJS9_EEE10hipError_tPvRmT3_T4_T5_T6_T7_T9_mT8_P12ihipStream_tbDpT10_ENKUlT_T0_E_clISt17integral_constantIbLb1EES19_IbLb0EEEEDaS15_S16_EUlS15_E_NS1_11comp_targetILNS1_3genE10ELNS1_11target_archE1200ELNS1_3gpuE4ELNS1_3repE0EEENS1_30default_config_static_selectorELNS0_4arch9wavefront6targetE1EEEvT1_
; %bb.0:
	.section	.rodata,"a",@progbits
	.p2align	6, 0x0
	.amdhsa_kernel _ZN7rocprim17ROCPRIM_400000_NS6detail17trampoline_kernelINS0_14default_configENS1_25partition_config_selectorILNS1_17partition_subalgoE9EllbEEZZNS1_14partition_implILS5_9ELb0ES3_jPlS8_PNS0_10empty_typeENS0_5tupleIJS8_S9_EEENSB_IJS8_SA_EEENS0_18inequality_wrapperIZN2at6native12_GLOBAL__N_124unique_dim_cuda_templateItEESt5tupleIJNSF_6TensorESK_SK_EERKSK_lbbbEUlllE0_EEPmJS9_EEE10hipError_tPvRmT3_T4_T5_T6_T7_T9_mT8_P12ihipStream_tbDpT10_ENKUlT_T0_E_clISt17integral_constantIbLb1EES19_IbLb0EEEEDaS15_S16_EUlS15_E_NS1_11comp_targetILNS1_3genE10ELNS1_11target_archE1200ELNS1_3gpuE4ELNS1_3repE0EEENS1_30default_config_static_selectorELNS0_4arch9wavefront6targetE1EEEvT1_
		.amdhsa_group_segment_fixed_size 0
		.amdhsa_private_segment_fixed_size 0
		.amdhsa_kernarg_size 120
		.amdhsa_user_sgpr_count 2
		.amdhsa_user_sgpr_dispatch_ptr 0
		.amdhsa_user_sgpr_queue_ptr 0
		.amdhsa_user_sgpr_kernarg_segment_ptr 1
		.amdhsa_user_sgpr_dispatch_id 0
		.amdhsa_user_sgpr_kernarg_preload_length 0
		.amdhsa_user_sgpr_kernarg_preload_offset 0
		.amdhsa_user_sgpr_private_segment_size 0
		.amdhsa_uses_dynamic_stack 0
		.amdhsa_enable_private_segment 0
		.amdhsa_system_sgpr_workgroup_id_x 1
		.amdhsa_system_sgpr_workgroup_id_y 0
		.amdhsa_system_sgpr_workgroup_id_z 0
		.amdhsa_system_sgpr_workgroup_info 0
		.amdhsa_system_vgpr_workitem_id 0
		.amdhsa_next_free_vgpr 1
		.amdhsa_next_free_sgpr 0
		.amdhsa_accum_offset 4
		.amdhsa_reserve_vcc 0
		.amdhsa_float_round_mode_32 0
		.amdhsa_float_round_mode_16_64 0
		.amdhsa_float_denorm_mode_32 3
		.amdhsa_float_denorm_mode_16_64 3
		.amdhsa_dx10_clamp 1
		.amdhsa_ieee_mode 1
		.amdhsa_fp16_overflow 0
		.amdhsa_tg_split 0
		.amdhsa_exception_fp_ieee_invalid_op 0
		.amdhsa_exception_fp_denorm_src 0
		.amdhsa_exception_fp_ieee_div_zero 0
		.amdhsa_exception_fp_ieee_overflow 0
		.amdhsa_exception_fp_ieee_underflow 0
		.amdhsa_exception_fp_ieee_inexact 0
		.amdhsa_exception_int_div_zero 0
	.end_amdhsa_kernel
	.section	.text._ZN7rocprim17ROCPRIM_400000_NS6detail17trampoline_kernelINS0_14default_configENS1_25partition_config_selectorILNS1_17partition_subalgoE9EllbEEZZNS1_14partition_implILS5_9ELb0ES3_jPlS8_PNS0_10empty_typeENS0_5tupleIJS8_S9_EEENSB_IJS8_SA_EEENS0_18inequality_wrapperIZN2at6native12_GLOBAL__N_124unique_dim_cuda_templateItEESt5tupleIJNSF_6TensorESK_SK_EERKSK_lbbbEUlllE0_EEPmJS9_EEE10hipError_tPvRmT3_T4_T5_T6_T7_T9_mT8_P12ihipStream_tbDpT10_ENKUlT_T0_E_clISt17integral_constantIbLb1EES19_IbLb0EEEEDaS15_S16_EUlS15_E_NS1_11comp_targetILNS1_3genE10ELNS1_11target_archE1200ELNS1_3gpuE4ELNS1_3repE0EEENS1_30default_config_static_selectorELNS0_4arch9wavefront6targetE1EEEvT1_,"axG",@progbits,_ZN7rocprim17ROCPRIM_400000_NS6detail17trampoline_kernelINS0_14default_configENS1_25partition_config_selectorILNS1_17partition_subalgoE9EllbEEZZNS1_14partition_implILS5_9ELb0ES3_jPlS8_PNS0_10empty_typeENS0_5tupleIJS8_S9_EEENSB_IJS8_SA_EEENS0_18inequality_wrapperIZN2at6native12_GLOBAL__N_124unique_dim_cuda_templateItEESt5tupleIJNSF_6TensorESK_SK_EERKSK_lbbbEUlllE0_EEPmJS9_EEE10hipError_tPvRmT3_T4_T5_T6_T7_T9_mT8_P12ihipStream_tbDpT10_ENKUlT_T0_E_clISt17integral_constantIbLb1EES19_IbLb0EEEEDaS15_S16_EUlS15_E_NS1_11comp_targetILNS1_3genE10ELNS1_11target_archE1200ELNS1_3gpuE4ELNS1_3repE0EEENS1_30default_config_static_selectorELNS0_4arch9wavefront6targetE1EEEvT1_,comdat
.Lfunc_end1481:
	.size	_ZN7rocprim17ROCPRIM_400000_NS6detail17trampoline_kernelINS0_14default_configENS1_25partition_config_selectorILNS1_17partition_subalgoE9EllbEEZZNS1_14partition_implILS5_9ELb0ES3_jPlS8_PNS0_10empty_typeENS0_5tupleIJS8_S9_EEENSB_IJS8_SA_EEENS0_18inequality_wrapperIZN2at6native12_GLOBAL__N_124unique_dim_cuda_templateItEESt5tupleIJNSF_6TensorESK_SK_EERKSK_lbbbEUlllE0_EEPmJS9_EEE10hipError_tPvRmT3_T4_T5_T6_T7_T9_mT8_P12ihipStream_tbDpT10_ENKUlT_T0_E_clISt17integral_constantIbLb1EES19_IbLb0EEEEDaS15_S16_EUlS15_E_NS1_11comp_targetILNS1_3genE10ELNS1_11target_archE1200ELNS1_3gpuE4ELNS1_3repE0EEENS1_30default_config_static_selectorELNS0_4arch9wavefront6targetE1EEEvT1_, .Lfunc_end1481-_ZN7rocprim17ROCPRIM_400000_NS6detail17trampoline_kernelINS0_14default_configENS1_25partition_config_selectorILNS1_17partition_subalgoE9EllbEEZZNS1_14partition_implILS5_9ELb0ES3_jPlS8_PNS0_10empty_typeENS0_5tupleIJS8_S9_EEENSB_IJS8_SA_EEENS0_18inequality_wrapperIZN2at6native12_GLOBAL__N_124unique_dim_cuda_templateItEESt5tupleIJNSF_6TensorESK_SK_EERKSK_lbbbEUlllE0_EEPmJS9_EEE10hipError_tPvRmT3_T4_T5_T6_T7_T9_mT8_P12ihipStream_tbDpT10_ENKUlT_T0_E_clISt17integral_constantIbLb1EES19_IbLb0EEEEDaS15_S16_EUlS15_E_NS1_11comp_targetILNS1_3genE10ELNS1_11target_archE1200ELNS1_3gpuE4ELNS1_3repE0EEENS1_30default_config_static_selectorELNS0_4arch9wavefront6targetE1EEEvT1_
                                        ; -- End function
	.section	.AMDGPU.csdata,"",@progbits
; Kernel info:
; codeLenInByte = 0
; NumSgprs: 6
; NumVgprs: 0
; NumAgprs: 0
; TotalNumVgprs: 0
; ScratchSize: 0
; MemoryBound: 0
; FloatMode: 240
; IeeeMode: 1
; LDSByteSize: 0 bytes/workgroup (compile time only)
; SGPRBlocks: 0
; VGPRBlocks: 0
; NumSGPRsForWavesPerEU: 6
; NumVGPRsForWavesPerEU: 1
; AccumOffset: 4
; Occupancy: 8
; WaveLimiterHint : 0
; COMPUTE_PGM_RSRC2:SCRATCH_EN: 0
; COMPUTE_PGM_RSRC2:USER_SGPR: 2
; COMPUTE_PGM_RSRC2:TRAP_HANDLER: 0
; COMPUTE_PGM_RSRC2:TGID_X_EN: 1
; COMPUTE_PGM_RSRC2:TGID_Y_EN: 0
; COMPUTE_PGM_RSRC2:TGID_Z_EN: 0
; COMPUTE_PGM_RSRC2:TIDIG_COMP_CNT: 0
; COMPUTE_PGM_RSRC3_GFX90A:ACCUM_OFFSET: 0
; COMPUTE_PGM_RSRC3_GFX90A:TG_SPLIT: 0
	.section	.text._ZN7rocprim17ROCPRIM_400000_NS6detail17trampoline_kernelINS0_14default_configENS1_25partition_config_selectorILNS1_17partition_subalgoE9EllbEEZZNS1_14partition_implILS5_9ELb0ES3_jPlS8_PNS0_10empty_typeENS0_5tupleIJS8_S9_EEENSB_IJS8_SA_EEENS0_18inequality_wrapperIZN2at6native12_GLOBAL__N_124unique_dim_cuda_templateItEESt5tupleIJNSF_6TensorESK_SK_EERKSK_lbbbEUlllE0_EEPmJS9_EEE10hipError_tPvRmT3_T4_T5_T6_T7_T9_mT8_P12ihipStream_tbDpT10_ENKUlT_T0_E_clISt17integral_constantIbLb1EES19_IbLb0EEEEDaS15_S16_EUlS15_E_NS1_11comp_targetILNS1_3genE9ELNS1_11target_archE1100ELNS1_3gpuE3ELNS1_3repE0EEENS1_30default_config_static_selectorELNS0_4arch9wavefront6targetE1EEEvT1_,"axG",@progbits,_ZN7rocprim17ROCPRIM_400000_NS6detail17trampoline_kernelINS0_14default_configENS1_25partition_config_selectorILNS1_17partition_subalgoE9EllbEEZZNS1_14partition_implILS5_9ELb0ES3_jPlS8_PNS0_10empty_typeENS0_5tupleIJS8_S9_EEENSB_IJS8_SA_EEENS0_18inequality_wrapperIZN2at6native12_GLOBAL__N_124unique_dim_cuda_templateItEESt5tupleIJNSF_6TensorESK_SK_EERKSK_lbbbEUlllE0_EEPmJS9_EEE10hipError_tPvRmT3_T4_T5_T6_T7_T9_mT8_P12ihipStream_tbDpT10_ENKUlT_T0_E_clISt17integral_constantIbLb1EES19_IbLb0EEEEDaS15_S16_EUlS15_E_NS1_11comp_targetILNS1_3genE9ELNS1_11target_archE1100ELNS1_3gpuE3ELNS1_3repE0EEENS1_30default_config_static_selectorELNS0_4arch9wavefront6targetE1EEEvT1_,comdat
	.globl	_ZN7rocprim17ROCPRIM_400000_NS6detail17trampoline_kernelINS0_14default_configENS1_25partition_config_selectorILNS1_17partition_subalgoE9EllbEEZZNS1_14partition_implILS5_9ELb0ES3_jPlS8_PNS0_10empty_typeENS0_5tupleIJS8_S9_EEENSB_IJS8_SA_EEENS0_18inequality_wrapperIZN2at6native12_GLOBAL__N_124unique_dim_cuda_templateItEESt5tupleIJNSF_6TensorESK_SK_EERKSK_lbbbEUlllE0_EEPmJS9_EEE10hipError_tPvRmT3_T4_T5_T6_T7_T9_mT8_P12ihipStream_tbDpT10_ENKUlT_T0_E_clISt17integral_constantIbLb1EES19_IbLb0EEEEDaS15_S16_EUlS15_E_NS1_11comp_targetILNS1_3genE9ELNS1_11target_archE1100ELNS1_3gpuE3ELNS1_3repE0EEENS1_30default_config_static_selectorELNS0_4arch9wavefront6targetE1EEEvT1_ ; -- Begin function _ZN7rocprim17ROCPRIM_400000_NS6detail17trampoline_kernelINS0_14default_configENS1_25partition_config_selectorILNS1_17partition_subalgoE9EllbEEZZNS1_14partition_implILS5_9ELb0ES3_jPlS8_PNS0_10empty_typeENS0_5tupleIJS8_S9_EEENSB_IJS8_SA_EEENS0_18inequality_wrapperIZN2at6native12_GLOBAL__N_124unique_dim_cuda_templateItEESt5tupleIJNSF_6TensorESK_SK_EERKSK_lbbbEUlllE0_EEPmJS9_EEE10hipError_tPvRmT3_T4_T5_T6_T7_T9_mT8_P12ihipStream_tbDpT10_ENKUlT_T0_E_clISt17integral_constantIbLb1EES19_IbLb0EEEEDaS15_S16_EUlS15_E_NS1_11comp_targetILNS1_3genE9ELNS1_11target_archE1100ELNS1_3gpuE3ELNS1_3repE0EEENS1_30default_config_static_selectorELNS0_4arch9wavefront6targetE1EEEvT1_
	.p2align	8
	.type	_ZN7rocprim17ROCPRIM_400000_NS6detail17trampoline_kernelINS0_14default_configENS1_25partition_config_selectorILNS1_17partition_subalgoE9EllbEEZZNS1_14partition_implILS5_9ELb0ES3_jPlS8_PNS0_10empty_typeENS0_5tupleIJS8_S9_EEENSB_IJS8_SA_EEENS0_18inequality_wrapperIZN2at6native12_GLOBAL__N_124unique_dim_cuda_templateItEESt5tupleIJNSF_6TensorESK_SK_EERKSK_lbbbEUlllE0_EEPmJS9_EEE10hipError_tPvRmT3_T4_T5_T6_T7_T9_mT8_P12ihipStream_tbDpT10_ENKUlT_T0_E_clISt17integral_constantIbLb1EES19_IbLb0EEEEDaS15_S16_EUlS15_E_NS1_11comp_targetILNS1_3genE9ELNS1_11target_archE1100ELNS1_3gpuE3ELNS1_3repE0EEENS1_30default_config_static_selectorELNS0_4arch9wavefront6targetE1EEEvT1_,@function
_ZN7rocprim17ROCPRIM_400000_NS6detail17trampoline_kernelINS0_14default_configENS1_25partition_config_selectorILNS1_17partition_subalgoE9EllbEEZZNS1_14partition_implILS5_9ELb0ES3_jPlS8_PNS0_10empty_typeENS0_5tupleIJS8_S9_EEENSB_IJS8_SA_EEENS0_18inequality_wrapperIZN2at6native12_GLOBAL__N_124unique_dim_cuda_templateItEESt5tupleIJNSF_6TensorESK_SK_EERKSK_lbbbEUlllE0_EEPmJS9_EEE10hipError_tPvRmT3_T4_T5_T6_T7_T9_mT8_P12ihipStream_tbDpT10_ENKUlT_T0_E_clISt17integral_constantIbLb1EES19_IbLb0EEEEDaS15_S16_EUlS15_E_NS1_11comp_targetILNS1_3genE9ELNS1_11target_archE1100ELNS1_3gpuE3ELNS1_3repE0EEENS1_30default_config_static_selectorELNS0_4arch9wavefront6targetE1EEEvT1_: ; @_ZN7rocprim17ROCPRIM_400000_NS6detail17trampoline_kernelINS0_14default_configENS1_25partition_config_selectorILNS1_17partition_subalgoE9EllbEEZZNS1_14partition_implILS5_9ELb0ES3_jPlS8_PNS0_10empty_typeENS0_5tupleIJS8_S9_EEENSB_IJS8_SA_EEENS0_18inequality_wrapperIZN2at6native12_GLOBAL__N_124unique_dim_cuda_templateItEESt5tupleIJNSF_6TensorESK_SK_EERKSK_lbbbEUlllE0_EEPmJS9_EEE10hipError_tPvRmT3_T4_T5_T6_T7_T9_mT8_P12ihipStream_tbDpT10_ENKUlT_T0_E_clISt17integral_constantIbLb1EES19_IbLb0EEEEDaS15_S16_EUlS15_E_NS1_11comp_targetILNS1_3genE9ELNS1_11target_archE1100ELNS1_3gpuE3ELNS1_3repE0EEENS1_30default_config_static_selectorELNS0_4arch9wavefront6targetE1EEEvT1_
; %bb.0:
	.section	.rodata,"a",@progbits
	.p2align	6, 0x0
	.amdhsa_kernel _ZN7rocprim17ROCPRIM_400000_NS6detail17trampoline_kernelINS0_14default_configENS1_25partition_config_selectorILNS1_17partition_subalgoE9EllbEEZZNS1_14partition_implILS5_9ELb0ES3_jPlS8_PNS0_10empty_typeENS0_5tupleIJS8_S9_EEENSB_IJS8_SA_EEENS0_18inequality_wrapperIZN2at6native12_GLOBAL__N_124unique_dim_cuda_templateItEESt5tupleIJNSF_6TensorESK_SK_EERKSK_lbbbEUlllE0_EEPmJS9_EEE10hipError_tPvRmT3_T4_T5_T6_T7_T9_mT8_P12ihipStream_tbDpT10_ENKUlT_T0_E_clISt17integral_constantIbLb1EES19_IbLb0EEEEDaS15_S16_EUlS15_E_NS1_11comp_targetILNS1_3genE9ELNS1_11target_archE1100ELNS1_3gpuE3ELNS1_3repE0EEENS1_30default_config_static_selectorELNS0_4arch9wavefront6targetE1EEEvT1_
		.amdhsa_group_segment_fixed_size 0
		.amdhsa_private_segment_fixed_size 0
		.amdhsa_kernarg_size 120
		.amdhsa_user_sgpr_count 2
		.amdhsa_user_sgpr_dispatch_ptr 0
		.amdhsa_user_sgpr_queue_ptr 0
		.amdhsa_user_sgpr_kernarg_segment_ptr 1
		.amdhsa_user_sgpr_dispatch_id 0
		.amdhsa_user_sgpr_kernarg_preload_length 0
		.amdhsa_user_sgpr_kernarg_preload_offset 0
		.amdhsa_user_sgpr_private_segment_size 0
		.amdhsa_uses_dynamic_stack 0
		.amdhsa_enable_private_segment 0
		.amdhsa_system_sgpr_workgroup_id_x 1
		.amdhsa_system_sgpr_workgroup_id_y 0
		.amdhsa_system_sgpr_workgroup_id_z 0
		.amdhsa_system_sgpr_workgroup_info 0
		.amdhsa_system_vgpr_workitem_id 0
		.amdhsa_next_free_vgpr 1
		.amdhsa_next_free_sgpr 0
		.amdhsa_accum_offset 4
		.amdhsa_reserve_vcc 0
		.amdhsa_float_round_mode_32 0
		.amdhsa_float_round_mode_16_64 0
		.amdhsa_float_denorm_mode_32 3
		.amdhsa_float_denorm_mode_16_64 3
		.amdhsa_dx10_clamp 1
		.amdhsa_ieee_mode 1
		.amdhsa_fp16_overflow 0
		.amdhsa_tg_split 0
		.amdhsa_exception_fp_ieee_invalid_op 0
		.amdhsa_exception_fp_denorm_src 0
		.amdhsa_exception_fp_ieee_div_zero 0
		.amdhsa_exception_fp_ieee_overflow 0
		.amdhsa_exception_fp_ieee_underflow 0
		.amdhsa_exception_fp_ieee_inexact 0
		.amdhsa_exception_int_div_zero 0
	.end_amdhsa_kernel
	.section	.text._ZN7rocprim17ROCPRIM_400000_NS6detail17trampoline_kernelINS0_14default_configENS1_25partition_config_selectorILNS1_17partition_subalgoE9EllbEEZZNS1_14partition_implILS5_9ELb0ES3_jPlS8_PNS0_10empty_typeENS0_5tupleIJS8_S9_EEENSB_IJS8_SA_EEENS0_18inequality_wrapperIZN2at6native12_GLOBAL__N_124unique_dim_cuda_templateItEESt5tupleIJNSF_6TensorESK_SK_EERKSK_lbbbEUlllE0_EEPmJS9_EEE10hipError_tPvRmT3_T4_T5_T6_T7_T9_mT8_P12ihipStream_tbDpT10_ENKUlT_T0_E_clISt17integral_constantIbLb1EES19_IbLb0EEEEDaS15_S16_EUlS15_E_NS1_11comp_targetILNS1_3genE9ELNS1_11target_archE1100ELNS1_3gpuE3ELNS1_3repE0EEENS1_30default_config_static_selectorELNS0_4arch9wavefront6targetE1EEEvT1_,"axG",@progbits,_ZN7rocprim17ROCPRIM_400000_NS6detail17trampoline_kernelINS0_14default_configENS1_25partition_config_selectorILNS1_17partition_subalgoE9EllbEEZZNS1_14partition_implILS5_9ELb0ES3_jPlS8_PNS0_10empty_typeENS0_5tupleIJS8_S9_EEENSB_IJS8_SA_EEENS0_18inequality_wrapperIZN2at6native12_GLOBAL__N_124unique_dim_cuda_templateItEESt5tupleIJNSF_6TensorESK_SK_EERKSK_lbbbEUlllE0_EEPmJS9_EEE10hipError_tPvRmT3_T4_T5_T6_T7_T9_mT8_P12ihipStream_tbDpT10_ENKUlT_T0_E_clISt17integral_constantIbLb1EES19_IbLb0EEEEDaS15_S16_EUlS15_E_NS1_11comp_targetILNS1_3genE9ELNS1_11target_archE1100ELNS1_3gpuE3ELNS1_3repE0EEENS1_30default_config_static_selectorELNS0_4arch9wavefront6targetE1EEEvT1_,comdat
.Lfunc_end1482:
	.size	_ZN7rocprim17ROCPRIM_400000_NS6detail17trampoline_kernelINS0_14default_configENS1_25partition_config_selectorILNS1_17partition_subalgoE9EllbEEZZNS1_14partition_implILS5_9ELb0ES3_jPlS8_PNS0_10empty_typeENS0_5tupleIJS8_S9_EEENSB_IJS8_SA_EEENS0_18inequality_wrapperIZN2at6native12_GLOBAL__N_124unique_dim_cuda_templateItEESt5tupleIJNSF_6TensorESK_SK_EERKSK_lbbbEUlllE0_EEPmJS9_EEE10hipError_tPvRmT3_T4_T5_T6_T7_T9_mT8_P12ihipStream_tbDpT10_ENKUlT_T0_E_clISt17integral_constantIbLb1EES19_IbLb0EEEEDaS15_S16_EUlS15_E_NS1_11comp_targetILNS1_3genE9ELNS1_11target_archE1100ELNS1_3gpuE3ELNS1_3repE0EEENS1_30default_config_static_selectorELNS0_4arch9wavefront6targetE1EEEvT1_, .Lfunc_end1482-_ZN7rocprim17ROCPRIM_400000_NS6detail17trampoline_kernelINS0_14default_configENS1_25partition_config_selectorILNS1_17partition_subalgoE9EllbEEZZNS1_14partition_implILS5_9ELb0ES3_jPlS8_PNS0_10empty_typeENS0_5tupleIJS8_S9_EEENSB_IJS8_SA_EEENS0_18inequality_wrapperIZN2at6native12_GLOBAL__N_124unique_dim_cuda_templateItEESt5tupleIJNSF_6TensorESK_SK_EERKSK_lbbbEUlllE0_EEPmJS9_EEE10hipError_tPvRmT3_T4_T5_T6_T7_T9_mT8_P12ihipStream_tbDpT10_ENKUlT_T0_E_clISt17integral_constantIbLb1EES19_IbLb0EEEEDaS15_S16_EUlS15_E_NS1_11comp_targetILNS1_3genE9ELNS1_11target_archE1100ELNS1_3gpuE3ELNS1_3repE0EEENS1_30default_config_static_selectorELNS0_4arch9wavefront6targetE1EEEvT1_
                                        ; -- End function
	.section	.AMDGPU.csdata,"",@progbits
; Kernel info:
; codeLenInByte = 0
; NumSgprs: 6
; NumVgprs: 0
; NumAgprs: 0
; TotalNumVgprs: 0
; ScratchSize: 0
; MemoryBound: 0
; FloatMode: 240
; IeeeMode: 1
; LDSByteSize: 0 bytes/workgroup (compile time only)
; SGPRBlocks: 0
; VGPRBlocks: 0
; NumSGPRsForWavesPerEU: 6
; NumVGPRsForWavesPerEU: 1
; AccumOffset: 4
; Occupancy: 8
; WaveLimiterHint : 0
; COMPUTE_PGM_RSRC2:SCRATCH_EN: 0
; COMPUTE_PGM_RSRC2:USER_SGPR: 2
; COMPUTE_PGM_RSRC2:TRAP_HANDLER: 0
; COMPUTE_PGM_RSRC2:TGID_X_EN: 1
; COMPUTE_PGM_RSRC2:TGID_Y_EN: 0
; COMPUTE_PGM_RSRC2:TGID_Z_EN: 0
; COMPUTE_PGM_RSRC2:TIDIG_COMP_CNT: 0
; COMPUTE_PGM_RSRC3_GFX90A:ACCUM_OFFSET: 0
; COMPUTE_PGM_RSRC3_GFX90A:TG_SPLIT: 0
	.section	.text._ZN7rocprim17ROCPRIM_400000_NS6detail17trampoline_kernelINS0_14default_configENS1_25partition_config_selectorILNS1_17partition_subalgoE9EllbEEZZNS1_14partition_implILS5_9ELb0ES3_jPlS8_PNS0_10empty_typeENS0_5tupleIJS8_S9_EEENSB_IJS8_SA_EEENS0_18inequality_wrapperIZN2at6native12_GLOBAL__N_124unique_dim_cuda_templateItEESt5tupleIJNSF_6TensorESK_SK_EERKSK_lbbbEUlllE0_EEPmJS9_EEE10hipError_tPvRmT3_T4_T5_T6_T7_T9_mT8_P12ihipStream_tbDpT10_ENKUlT_T0_E_clISt17integral_constantIbLb1EES19_IbLb0EEEEDaS15_S16_EUlS15_E_NS1_11comp_targetILNS1_3genE8ELNS1_11target_archE1030ELNS1_3gpuE2ELNS1_3repE0EEENS1_30default_config_static_selectorELNS0_4arch9wavefront6targetE1EEEvT1_,"axG",@progbits,_ZN7rocprim17ROCPRIM_400000_NS6detail17trampoline_kernelINS0_14default_configENS1_25partition_config_selectorILNS1_17partition_subalgoE9EllbEEZZNS1_14partition_implILS5_9ELb0ES3_jPlS8_PNS0_10empty_typeENS0_5tupleIJS8_S9_EEENSB_IJS8_SA_EEENS0_18inequality_wrapperIZN2at6native12_GLOBAL__N_124unique_dim_cuda_templateItEESt5tupleIJNSF_6TensorESK_SK_EERKSK_lbbbEUlllE0_EEPmJS9_EEE10hipError_tPvRmT3_T4_T5_T6_T7_T9_mT8_P12ihipStream_tbDpT10_ENKUlT_T0_E_clISt17integral_constantIbLb1EES19_IbLb0EEEEDaS15_S16_EUlS15_E_NS1_11comp_targetILNS1_3genE8ELNS1_11target_archE1030ELNS1_3gpuE2ELNS1_3repE0EEENS1_30default_config_static_selectorELNS0_4arch9wavefront6targetE1EEEvT1_,comdat
	.globl	_ZN7rocprim17ROCPRIM_400000_NS6detail17trampoline_kernelINS0_14default_configENS1_25partition_config_selectorILNS1_17partition_subalgoE9EllbEEZZNS1_14partition_implILS5_9ELb0ES3_jPlS8_PNS0_10empty_typeENS0_5tupleIJS8_S9_EEENSB_IJS8_SA_EEENS0_18inequality_wrapperIZN2at6native12_GLOBAL__N_124unique_dim_cuda_templateItEESt5tupleIJNSF_6TensorESK_SK_EERKSK_lbbbEUlllE0_EEPmJS9_EEE10hipError_tPvRmT3_T4_T5_T6_T7_T9_mT8_P12ihipStream_tbDpT10_ENKUlT_T0_E_clISt17integral_constantIbLb1EES19_IbLb0EEEEDaS15_S16_EUlS15_E_NS1_11comp_targetILNS1_3genE8ELNS1_11target_archE1030ELNS1_3gpuE2ELNS1_3repE0EEENS1_30default_config_static_selectorELNS0_4arch9wavefront6targetE1EEEvT1_ ; -- Begin function _ZN7rocprim17ROCPRIM_400000_NS6detail17trampoline_kernelINS0_14default_configENS1_25partition_config_selectorILNS1_17partition_subalgoE9EllbEEZZNS1_14partition_implILS5_9ELb0ES3_jPlS8_PNS0_10empty_typeENS0_5tupleIJS8_S9_EEENSB_IJS8_SA_EEENS0_18inequality_wrapperIZN2at6native12_GLOBAL__N_124unique_dim_cuda_templateItEESt5tupleIJNSF_6TensorESK_SK_EERKSK_lbbbEUlllE0_EEPmJS9_EEE10hipError_tPvRmT3_T4_T5_T6_T7_T9_mT8_P12ihipStream_tbDpT10_ENKUlT_T0_E_clISt17integral_constantIbLb1EES19_IbLb0EEEEDaS15_S16_EUlS15_E_NS1_11comp_targetILNS1_3genE8ELNS1_11target_archE1030ELNS1_3gpuE2ELNS1_3repE0EEENS1_30default_config_static_selectorELNS0_4arch9wavefront6targetE1EEEvT1_
	.p2align	8
	.type	_ZN7rocprim17ROCPRIM_400000_NS6detail17trampoline_kernelINS0_14default_configENS1_25partition_config_selectorILNS1_17partition_subalgoE9EllbEEZZNS1_14partition_implILS5_9ELb0ES3_jPlS8_PNS0_10empty_typeENS0_5tupleIJS8_S9_EEENSB_IJS8_SA_EEENS0_18inequality_wrapperIZN2at6native12_GLOBAL__N_124unique_dim_cuda_templateItEESt5tupleIJNSF_6TensorESK_SK_EERKSK_lbbbEUlllE0_EEPmJS9_EEE10hipError_tPvRmT3_T4_T5_T6_T7_T9_mT8_P12ihipStream_tbDpT10_ENKUlT_T0_E_clISt17integral_constantIbLb1EES19_IbLb0EEEEDaS15_S16_EUlS15_E_NS1_11comp_targetILNS1_3genE8ELNS1_11target_archE1030ELNS1_3gpuE2ELNS1_3repE0EEENS1_30default_config_static_selectorELNS0_4arch9wavefront6targetE1EEEvT1_,@function
_ZN7rocprim17ROCPRIM_400000_NS6detail17trampoline_kernelINS0_14default_configENS1_25partition_config_selectorILNS1_17partition_subalgoE9EllbEEZZNS1_14partition_implILS5_9ELb0ES3_jPlS8_PNS0_10empty_typeENS0_5tupleIJS8_S9_EEENSB_IJS8_SA_EEENS0_18inequality_wrapperIZN2at6native12_GLOBAL__N_124unique_dim_cuda_templateItEESt5tupleIJNSF_6TensorESK_SK_EERKSK_lbbbEUlllE0_EEPmJS9_EEE10hipError_tPvRmT3_T4_T5_T6_T7_T9_mT8_P12ihipStream_tbDpT10_ENKUlT_T0_E_clISt17integral_constantIbLb1EES19_IbLb0EEEEDaS15_S16_EUlS15_E_NS1_11comp_targetILNS1_3genE8ELNS1_11target_archE1030ELNS1_3gpuE2ELNS1_3repE0EEENS1_30default_config_static_selectorELNS0_4arch9wavefront6targetE1EEEvT1_: ; @_ZN7rocprim17ROCPRIM_400000_NS6detail17trampoline_kernelINS0_14default_configENS1_25partition_config_selectorILNS1_17partition_subalgoE9EllbEEZZNS1_14partition_implILS5_9ELb0ES3_jPlS8_PNS0_10empty_typeENS0_5tupleIJS8_S9_EEENSB_IJS8_SA_EEENS0_18inequality_wrapperIZN2at6native12_GLOBAL__N_124unique_dim_cuda_templateItEESt5tupleIJNSF_6TensorESK_SK_EERKSK_lbbbEUlllE0_EEPmJS9_EEE10hipError_tPvRmT3_T4_T5_T6_T7_T9_mT8_P12ihipStream_tbDpT10_ENKUlT_T0_E_clISt17integral_constantIbLb1EES19_IbLb0EEEEDaS15_S16_EUlS15_E_NS1_11comp_targetILNS1_3genE8ELNS1_11target_archE1030ELNS1_3gpuE2ELNS1_3repE0EEENS1_30default_config_static_selectorELNS0_4arch9wavefront6targetE1EEEvT1_
; %bb.0:
	.section	.rodata,"a",@progbits
	.p2align	6, 0x0
	.amdhsa_kernel _ZN7rocprim17ROCPRIM_400000_NS6detail17trampoline_kernelINS0_14default_configENS1_25partition_config_selectorILNS1_17partition_subalgoE9EllbEEZZNS1_14partition_implILS5_9ELb0ES3_jPlS8_PNS0_10empty_typeENS0_5tupleIJS8_S9_EEENSB_IJS8_SA_EEENS0_18inequality_wrapperIZN2at6native12_GLOBAL__N_124unique_dim_cuda_templateItEESt5tupleIJNSF_6TensorESK_SK_EERKSK_lbbbEUlllE0_EEPmJS9_EEE10hipError_tPvRmT3_T4_T5_T6_T7_T9_mT8_P12ihipStream_tbDpT10_ENKUlT_T0_E_clISt17integral_constantIbLb1EES19_IbLb0EEEEDaS15_S16_EUlS15_E_NS1_11comp_targetILNS1_3genE8ELNS1_11target_archE1030ELNS1_3gpuE2ELNS1_3repE0EEENS1_30default_config_static_selectorELNS0_4arch9wavefront6targetE1EEEvT1_
		.amdhsa_group_segment_fixed_size 0
		.amdhsa_private_segment_fixed_size 0
		.amdhsa_kernarg_size 120
		.amdhsa_user_sgpr_count 2
		.amdhsa_user_sgpr_dispatch_ptr 0
		.amdhsa_user_sgpr_queue_ptr 0
		.amdhsa_user_sgpr_kernarg_segment_ptr 1
		.amdhsa_user_sgpr_dispatch_id 0
		.amdhsa_user_sgpr_kernarg_preload_length 0
		.amdhsa_user_sgpr_kernarg_preload_offset 0
		.amdhsa_user_sgpr_private_segment_size 0
		.amdhsa_uses_dynamic_stack 0
		.amdhsa_enable_private_segment 0
		.amdhsa_system_sgpr_workgroup_id_x 1
		.amdhsa_system_sgpr_workgroup_id_y 0
		.amdhsa_system_sgpr_workgroup_id_z 0
		.amdhsa_system_sgpr_workgroup_info 0
		.amdhsa_system_vgpr_workitem_id 0
		.amdhsa_next_free_vgpr 1
		.amdhsa_next_free_sgpr 0
		.amdhsa_accum_offset 4
		.amdhsa_reserve_vcc 0
		.amdhsa_float_round_mode_32 0
		.amdhsa_float_round_mode_16_64 0
		.amdhsa_float_denorm_mode_32 3
		.amdhsa_float_denorm_mode_16_64 3
		.amdhsa_dx10_clamp 1
		.amdhsa_ieee_mode 1
		.amdhsa_fp16_overflow 0
		.amdhsa_tg_split 0
		.amdhsa_exception_fp_ieee_invalid_op 0
		.amdhsa_exception_fp_denorm_src 0
		.amdhsa_exception_fp_ieee_div_zero 0
		.amdhsa_exception_fp_ieee_overflow 0
		.amdhsa_exception_fp_ieee_underflow 0
		.amdhsa_exception_fp_ieee_inexact 0
		.amdhsa_exception_int_div_zero 0
	.end_amdhsa_kernel
	.section	.text._ZN7rocprim17ROCPRIM_400000_NS6detail17trampoline_kernelINS0_14default_configENS1_25partition_config_selectorILNS1_17partition_subalgoE9EllbEEZZNS1_14partition_implILS5_9ELb0ES3_jPlS8_PNS0_10empty_typeENS0_5tupleIJS8_S9_EEENSB_IJS8_SA_EEENS0_18inequality_wrapperIZN2at6native12_GLOBAL__N_124unique_dim_cuda_templateItEESt5tupleIJNSF_6TensorESK_SK_EERKSK_lbbbEUlllE0_EEPmJS9_EEE10hipError_tPvRmT3_T4_T5_T6_T7_T9_mT8_P12ihipStream_tbDpT10_ENKUlT_T0_E_clISt17integral_constantIbLb1EES19_IbLb0EEEEDaS15_S16_EUlS15_E_NS1_11comp_targetILNS1_3genE8ELNS1_11target_archE1030ELNS1_3gpuE2ELNS1_3repE0EEENS1_30default_config_static_selectorELNS0_4arch9wavefront6targetE1EEEvT1_,"axG",@progbits,_ZN7rocprim17ROCPRIM_400000_NS6detail17trampoline_kernelINS0_14default_configENS1_25partition_config_selectorILNS1_17partition_subalgoE9EllbEEZZNS1_14partition_implILS5_9ELb0ES3_jPlS8_PNS0_10empty_typeENS0_5tupleIJS8_S9_EEENSB_IJS8_SA_EEENS0_18inequality_wrapperIZN2at6native12_GLOBAL__N_124unique_dim_cuda_templateItEESt5tupleIJNSF_6TensorESK_SK_EERKSK_lbbbEUlllE0_EEPmJS9_EEE10hipError_tPvRmT3_T4_T5_T6_T7_T9_mT8_P12ihipStream_tbDpT10_ENKUlT_T0_E_clISt17integral_constantIbLb1EES19_IbLb0EEEEDaS15_S16_EUlS15_E_NS1_11comp_targetILNS1_3genE8ELNS1_11target_archE1030ELNS1_3gpuE2ELNS1_3repE0EEENS1_30default_config_static_selectorELNS0_4arch9wavefront6targetE1EEEvT1_,comdat
.Lfunc_end1483:
	.size	_ZN7rocprim17ROCPRIM_400000_NS6detail17trampoline_kernelINS0_14default_configENS1_25partition_config_selectorILNS1_17partition_subalgoE9EllbEEZZNS1_14partition_implILS5_9ELb0ES3_jPlS8_PNS0_10empty_typeENS0_5tupleIJS8_S9_EEENSB_IJS8_SA_EEENS0_18inequality_wrapperIZN2at6native12_GLOBAL__N_124unique_dim_cuda_templateItEESt5tupleIJNSF_6TensorESK_SK_EERKSK_lbbbEUlllE0_EEPmJS9_EEE10hipError_tPvRmT3_T4_T5_T6_T7_T9_mT8_P12ihipStream_tbDpT10_ENKUlT_T0_E_clISt17integral_constantIbLb1EES19_IbLb0EEEEDaS15_S16_EUlS15_E_NS1_11comp_targetILNS1_3genE8ELNS1_11target_archE1030ELNS1_3gpuE2ELNS1_3repE0EEENS1_30default_config_static_selectorELNS0_4arch9wavefront6targetE1EEEvT1_, .Lfunc_end1483-_ZN7rocprim17ROCPRIM_400000_NS6detail17trampoline_kernelINS0_14default_configENS1_25partition_config_selectorILNS1_17partition_subalgoE9EllbEEZZNS1_14partition_implILS5_9ELb0ES3_jPlS8_PNS0_10empty_typeENS0_5tupleIJS8_S9_EEENSB_IJS8_SA_EEENS0_18inequality_wrapperIZN2at6native12_GLOBAL__N_124unique_dim_cuda_templateItEESt5tupleIJNSF_6TensorESK_SK_EERKSK_lbbbEUlllE0_EEPmJS9_EEE10hipError_tPvRmT3_T4_T5_T6_T7_T9_mT8_P12ihipStream_tbDpT10_ENKUlT_T0_E_clISt17integral_constantIbLb1EES19_IbLb0EEEEDaS15_S16_EUlS15_E_NS1_11comp_targetILNS1_3genE8ELNS1_11target_archE1030ELNS1_3gpuE2ELNS1_3repE0EEENS1_30default_config_static_selectorELNS0_4arch9wavefront6targetE1EEEvT1_
                                        ; -- End function
	.section	.AMDGPU.csdata,"",@progbits
; Kernel info:
; codeLenInByte = 0
; NumSgprs: 6
; NumVgprs: 0
; NumAgprs: 0
; TotalNumVgprs: 0
; ScratchSize: 0
; MemoryBound: 0
; FloatMode: 240
; IeeeMode: 1
; LDSByteSize: 0 bytes/workgroup (compile time only)
; SGPRBlocks: 0
; VGPRBlocks: 0
; NumSGPRsForWavesPerEU: 6
; NumVGPRsForWavesPerEU: 1
; AccumOffset: 4
; Occupancy: 8
; WaveLimiterHint : 0
; COMPUTE_PGM_RSRC2:SCRATCH_EN: 0
; COMPUTE_PGM_RSRC2:USER_SGPR: 2
; COMPUTE_PGM_RSRC2:TRAP_HANDLER: 0
; COMPUTE_PGM_RSRC2:TGID_X_EN: 1
; COMPUTE_PGM_RSRC2:TGID_Y_EN: 0
; COMPUTE_PGM_RSRC2:TGID_Z_EN: 0
; COMPUTE_PGM_RSRC2:TIDIG_COMP_CNT: 0
; COMPUTE_PGM_RSRC3_GFX90A:ACCUM_OFFSET: 0
; COMPUTE_PGM_RSRC3_GFX90A:TG_SPLIT: 0
	.section	.text._ZN7rocprim17ROCPRIM_400000_NS6detail17trampoline_kernelINS0_14default_configENS1_25partition_config_selectorILNS1_17partition_subalgoE9EllbEEZZNS1_14partition_implILS5_9ELb0ES3_jPlS8_PNS0_10empty_typeENS0_5tupleIJS8_S9_EEENSB_IJS8_SA_EEENS0_18inequality_wrapperIZN2at6native12_GLOBAL__N_124unique_dim_cuda_templateItEESt5tupleIJNSF_6TensorESK_SK_EERKSK_lbbbEUlllE0_EEPmJS9_EEE10hipError_tPvRmT3_T4_T5_T6_T7_T9_mT8_P12ihipStream_tbDpT10_ENKUlT_T0_E_clISt17integral_constantIbLb0EES19_IbLb1EEEEDaS15_S16_EUlS15_E_NS1_11comp_targetILNS1_3genE0ELNS1_11target_archE4294967295ELNS1_3gpuE0ELNS1_3repE0EEENS1_30default_config_static_selectorELNS0_4arch9wavefront6targetE1EEEvT1_,"axG",@progbits,_ZN7rocprim17ROCPRIM_400000_NS6detail17trampoline_kernelINS0_14default_configENS1_25partition_config_selectorILNS1_17partition_subalgoE9EllbEEZZNS1_14partition_implILS5_9ELb0ES3_jPlS8_PNS0_10empty_typeENS0_5tupleIJS8_S9_EEENSB_IJS8_SA_EEENS0_18inequality_wrapperIZN2at6native12_GLOBAL__N_124unique_dim_cuda_templateItEESt5tupleIJNSF_6TensorESK_SK_EERKSK_lbbbEUlllE0_EEPmJS9_EEE10hipError_tPvRmT3_T4_T5_T6_T7_T9_mT8_P12ihipStream_tbDpT10_ENKUlT_T0_E_clISt17integral_constantIbLb0EES19_IbLb1EEEEDaS15_S16_EUlS15_E_NS1_11comp_targetILNS1_3genE0ELNS1_11target_archE4294967295ELNS1_3gpuE0ELNS1_3repE0EEENS1_30default_config_static_selectorELNS0_4arch9wavefront6targetE1EEEvT1_,comdat
	.globl	_ZN7rocprim17ROCPRIM_400000_NS6detail17trampoline_kernelINS0_14default_configENS1_25partition_config_selectorILNS1_17partition_subalgoE9EllbEEZZNS1_14partition_implILS5_9ELb0ES3_jPlS8_PNS0_10empty_typeENS0_5tupleIJS8_S9_EEENSB_IJS8_SA_EEENS0_18inequality_wrapperIZN2at6native12_GLOBAL__N_124unique_dim_cuda_templateItEESt5tupleIJNSF_6TensorESK_SK_EERKSK_lbbbEUlllE0_EEPmJS9_EEE10hipError_tPvRmT3_T4_T5_T6_T7_T9_mT8_P12ihipStream_tbDpT10_ENKUlT_T0_E_clISt17integral_constantIbLb0EES19_IbLb1EEEEDaS15_S16_EUlS15_E_NS1_11comp_targetILNS1_3genE0ELNS1_11target_archE4294967295ELNS1_3gpuE0ELNS1_3repE0EEENS1_30default_config_static_selectorELNS0_4arch9wavefront6targetE1EEEvT1_ ; -- Begin function _ZN7rocprim17ROCPRIM_400000_NS6detail17trampoline_kernelINS0_14default_configENS1_25partition_config_selectorILNS1_17partition_subalgoE9EllbEEZZNS1_14partition_implILS5_9ELb0ES3_jPlS8_PNS0_10empty_typeENS0_5tupleIJS8_S9_EEENSB_IJS8_SA_EEENS0_18inequality_wrapperIZN2at6native12_GLOBAL__N_124unique_dim_cuda_templateItEESt5tupleIJNSF_6TensorESK_SK_EERKSK_lbbbEUlllE0_EEPmJS9_EEE10hipError_tPvRmT3_T4_T5_T6_T7_T9_mT8_P12ihipStream_tbDpT10_ENKUlT_T0_E_clISt17integral_constantIbLb0EES19_IbLb1EEEEDaS15_S16_EUlS15_E_NS1_11comp_targetILNS1_3genE0ELNS1_11target_archE4294967295ELNS1_3gpuE0ELNS1_3repE0EEENS1_30default_config_static_selectorELNS0_4arch9wavefront6targetE1EEEvT1_
	.p2align	8
	.type	_ZN7rocprim17ROCPRIM_400000_NS6detail17trampoline_kernelINS0_14default_configENS1_25partition_config_selectorILNS1_17partition_subalgoE9EllbEEZZNS1_14partition_implILS5_9ELb0ES3_jPlS8_PNS0_10empty_typeENS0_5tupleIJS8_S9_EEENSB_IJS8_SA_EEENS0_18inequality_wrapperIZN2at6native12_GLOBAL__N_124unique_dim_cuda_templateItEESt5tupleIJNSF_6TensorESK_SK_EERKSK_lbbbEUlllE0_EEPmJS9_EEE10hipError_tPvRmT3_T4_T5_T6_T7_T9_mT8_P12ihipStream_tbDpT10_ENKUlT_T0_E_clISt17integral_constantIbLb0EES19_IbLb1EEEEDaS15_S16_EUlS15_E_NS1_11comp_targetILNS1_3genE0ELNS1_11target_archE4294967295ELNS1_3gpuE0ELNS1_3repE0EEENS1_30default_config_static_selectorELNS0_4arch9wavefront6targetE1EEEvT1_,@function
_ZN7rocprim17ROCPRIM_400000_NS6detail17trampoline_kernelINS0_14default_configENS1_25partition_config_selectorILNS1_17partition_subalgoE9EllbEEZZNS1_14partition_implILS5_9ELb0ES3_jPlS8_PNS0_10empty_typeENS0_5tupleIJS8_S9_EEENSB_IJS8_SA_EEENS0_18inequality_wrapperIZN2at6native12_GLOBAL__N_124unique_dim_cuda_templateItEESt5tupleIJNSF_6TensorESK_SK_EERKSK_lbbbEUlllE0_EEPmJS9_EEE10hipError_tPvRmT3_T4_T5_T6_T7_T9_mT8_P12ihipStream_tbDpT10_ENKUlT_T0_E_clISt17integral_constantIbLb0EES19_IbLb1EEEEDaS15_S16_EUlS15_E_NS1_11comp_targetILNS1_3genE0ELNS1_11target_archE4294967295ELNS1_3gpuE0ELNS1_3repE0EEENS1_30default_config_static_selectorELNS0_4arch9wavefront6targetE1EEEvT1_: ; @_ZN7rocprim17ROCPRIM_400000_NS6detail17trampoline_kernelINS0_14default_configENS1_25partition_config_selectorILNS1_17partition_subalgoE9EllbEEZZNS1_14partition_implILS5_9ELb0ES3_jPlS8_PNS0_10empty_typeENS0_5tupleIJS8_S9_EEENSB_IJS8_SA_EEENS0_18inequality_wrapperIZN2at6native12_GLOBAL__N_124unique_dim_cuda_templateItEESt5tupleIJNSF_6TensorESK_SK_EERKSK_lbbbEUlllE0_EEPmJS9_EEE10hipError_tPvRmT3_T4_T5_T6_T7_T9_mT8_P12ihipStream_tbDpT10_ENKUlT_T0_E_clISt17integral_constantIbLb0EES19_IbLb1EEEEDaS15_S16_EUlS15_E_NS1_11comp_targetILNS1_3genE0ELNS1_11target_archE4294967295ELNS1_3gpuE0ELNS1_3repE0EEENS1_30default_config_static_selectorELNS0_4arch9wavefront6targetE1EEEvT1_
; %bb.0:
	.section	.rodata,"a",@progbits
	.p2align	6, 0x0
	.amdhsa_kernel _ZN7rocprim17ROCPRIM_400000_NS6detail17trampoline_kernelINS0_14default_configENS1_25partition_config_selectorILNS1_17partition_subalgoE9EllbEEZZNS1_14partition_implILS5_9ELb0ES3_jPlS8_PNS0_10empty_typeENS0_5tupleIJS8_S9_EEENSB_IJS8_SA_EEENS0_18inequality_wrapperIZN2at6native12_GLOBAL__N_124unique_dim_cuda_templateItEESt5tupleIJNSF_6TensorESK_SK_EERKSK_lbbbEUlllE0_EEPmJS9_EEE10hipError_tPvRmT3_T4_T5_T6_T7_T9_mT8_P12ihipStream_tbDpT10_ENKUlT_T0_E_clISt17integral_constantIbLb0EES19_IbLb1EEEEDaS15_S16_EUlS15_E_NS1_11comp_targetILNS1_3genE0ELNS1_11target_archE4294967295ELNS1_3gpuE0ELNS1_3repE0EEENS1_30default_config_static_selectorELNS0_4arch9wavefront6targetE1EEEvT1_
		.amdhsa_group_segment_fixed_size 0
		.amdhsa_private_segment_fixed_size 0
		.amdhsa_kernarg_size 136
		.amdhsa_user_sgpr_count 2
		.amdhsa_user_sgpr_dispatch_ptr 0
		.amdhsa_user_sgpr_queue_ptr 0
		.amdhsa_user_sgpr_kernarg_segment_ptr 1
		.amdhsa_user_sgpr_dispatch_id 0
		.amdhsa_user_sgpr_kernarg_preload_length 0
		.amdhsa_user_sgpr_kernarg_preload_offset 0
		.amdhsa_user_sgpr_private_segment_size 0
		.amdhsa_uses_dynamic_stack 0
		.amdhsa_enable_private_segment 0
		.amdhsa_system_sgpr_workgroup_id_x 1
		.amdhsa_system_sgpr_workgroup_id_y 0
		.amdhsa_system_sgpr_workgroup_id_z 0
		.amdhsa_system_sgpr_workgroup_info 0
		.amdhsa_system_vgpr_workitem_id 0
		.amdhsa_next_free_vgpr 1
		.amdhsa_next_free_sgpr 0
		.amdhsa_accum_offset 4
		.amdhsa_reserve_vcc 0
		.amdhsa_float_round_mode_32 0
		.amdhsa_float_round_mode_16_64 0
		.amdhsa_float_denorm_mode_32 3
		.amdhsa_float_denorm_mode_16_64 3
		.amdhsa_dx10_clamp 1
		.amdhsa_ieee_mode 1
		.amdhsa_fp16_overflow 0
		.amdhsa_tg_split 0
		.amdhsa_exception_fp_ieee_invalid_op 0
		.amdhsa_exception_fp_denorm_src 0
		.amdhsa_exception_fp_ieee_div_zero 0
		.amdhsa_exception_fp_ieee_overflow 0
		.amdhsa_exception_fp_ieee_underflow 0
		.amdhsa_exception_fp_ieee_inexact 0
		.amdhsa_exception_int_div_zero 0
	.end_amdhsa_kernel
	.section	.text._ZN7rocprim17ROCPRIM_400000_NS6detail17trampoline_kernelINS0_14default_configENS1_25partition_config_selectorILNS1_17partition_subalgoE9EllbEEZZNS1_14partition_implILS5_9ELb0ES3_jPlS8_PNS0_10empty_typeENS0_5tupleIJS8_S9_EEENSB_IJS8_SA_EEENS0_18inequality_wrapperIZN2at6native12_GLOBAL__N_124unique_dim_cuda_templateItEESt5tupleIJNSF_6TensorESK_SK_EERKSK_lbbbEUlllE0_EEPmJS9_EEE10hipError_tPvRmT3_T4_T5_T6_T7_T9_mT8_P12ihipStream_tbDpT10_ENKUlT_T0_E_clISt17integral_constantIbLb0EES19_IbLb1EEEEDaS15_S16_EUlS15_E_NS1_11comp_targetILNS1_3genE0ELNS1_11target_archE4294967295ELNS1_3gpuE0ELNS1_3repE0EEENS1_30default_config_static_selectorELNS0_4arch9wavefront6targetE1EEEvT1_,"axG",@progbits,_ZN7rocprim17ROCPRIM_400000_NS6detail17trampoline_kernelINS0_14default_configENS1_25partition_config_selectorILNS1_17partition_subalgoE9EllbEEZZNS1_14partition_implILS5_9ELb0ES3_jPlS8_PNS0_10empty_typeENS0_5tupleIJS8_S9_EEENSB_IJS8_SA_EEENS0_18inequality_wrapperIZN2at6native12_GLOBAL__N_124unique_dim_cuda_templateItEESt5tupleIJNSF_6TensorESK_SK_EERKSK_lbbbEUlllE0_EEPmJS9_EEE10hipError_tPvRmT3_T4_T5_T6_T7_T9_mT8_P12ihipStream_tbDpT10_ENKUlT_T0_E_clISt17integral_constantIbLb0EES19_IbLb1EEEEDaS15_S16_EUlS15_E_NS1_11comp_targetILNS1_3genE0ELNS1_11target_archE4294967295ELNS1_3gpuE0ELNS1_3repE0EEENS1_30default_config_static_selectorELNS0_4arch9wavefront6targetE1EEEvT1_,comdat
.Lfunc_end1484:
	.size	_ZN7rocprim17ROCPRIM_400000_NS6detail17trampoline_kernelINS0_14default_configENS1_25partition_config_selectorILNS1_17partition_subalgoE9EllbEEZZNS1_14partition_implILS5_9ELb0ES3_jPlS8_PNS0_10empty_typeENS0_5tupleIJS8_S9_EEENSB_IJS8_SA_EEENS0_18inequality_wrapperIZN2at6native12_GLOBAL__N_124unique_dim_cuda_templateItEESt5tupleIJNSF_6TensorESK_SK_EERKSK_lbbbEUlllE0_EEPmJS9_EEE10hipError_tPvRmT3_T4_T5_T6_T7_T9_mT8_P12ihipStream_tbDpT10_ENKUlT_T0_E_clISt17integral_constantIbLb0EES19_IbLb1EEEEDaS15_S16_EUlS15_E_NS1_11comp_targetILNS1_3genE0ELNS1_11target_archE4294967295ELNS1_3gpuE0ELNS1_3repE0EEENS1_30default_config_static_selectorELNS0_4arch9wavefront6targetE1EEEvT1_, .Lfunc_end1484-_ZN7rocprim17ROCPRIM_400000_NS6detail17trampoline_kernelINS0_14default_configENS1_25partition_config_selectorILNS1_17partition_subalgoE9EllbEEZZNS1_14partition_implILS5_9ELb0ES3_jPlS8_PNS0_10empty_typeENS0_5tupleIJS8_S9_EEENSB_IJS8_SA_EEENS0_18inequality_wrapperIZN2at6native12_GLOBAL__N_124unique_dim_cuda_templateItEESt5tupleIJNSF_6TensorESK_SK_EERKSK_lbbbEUlllE0_EEPmJS9_EEE10hipError_tPvRmT3_T4_T5_T6_T7_T9_mT8_P12ihipStream_tbDpT10_ENKUlT_T0_E_clISt17integral_constantIbLb0EES19_IbLb1EEEEDaS15_S16_EUlS15_E_NS1_11comp_targetILNS1_3genE0ELNS1_11target_archE4294967295ELNS1_3gpuE0ELNS1_3repE0EEENS1_30default_config_static_selectorELNS0_4arch9wavefront6targetE1EEEvT1_
                                        ; -- End function
	.section	.AMDGPU.csdata,"",@progbits
; Kernel info:
; codeLenInByte = 0
; NumSgprs: 6
; NumVgprs: 0
; NumAgprs: 0
; TotalNumVgprs: 0
; ScratchSize: 0
; MemoryBound: 0
; FloatMode: 240
; IeeeMode: 1
; LDSByteSize: 0 bytes/workgroup (compile time only)
; SGPRBlocks: 0
; VGPRBlocks: 0
; NumSGPRsForWavesPerEU: 6
; NumVGPRsForWavesPerEU: 1
; AccumOffset: 4
; Occupancy: 8
; WaveLimiterHint : 0
; COMPUTE_PGM_RSRC2:SCRATCH_EN: 0
; COMPUTE_PGM_RSRC2:USER_SGPR: 2
; COMPUTE_PGM_RSRC2:TRAP_HANDLER: 0
; COMPUTE_PGM_RSRC2:TGID_X_EN: 1
; COMPUTE_PGM_RSRC2:TGID_Y_EN: 0
; COMPUTE_PGM_RSRC2:TGID_Z_EN: 0
; COMPUTE_PGM_RSRC2:TIDIG_COMP_CNT: 0
; COMPUTE_PGM_RSRC3_GFX90A:ACCUM_OFFSET: 0
; COMPUTE_PGM_RSRC3_GFX90A:TG_SPLIT: 0
	.section	.text._ZN7rocprim17ROCPRIM_400000_NS6detail17trampoline_kernelINS0_14default_configENS1_25partition_config_selectorILNS1_17partition_subalgoE9EllbEEZZNS1_14partition_implILS5_9ELb0ES3_jPlS8_PNS0_10empty_typeENS0_5tupleIJS8_S9_EEENSB_IJS8_SA_EEENS0_18inequality_wrapperIZN2at6native12_GLOBAL__N_124unique_dim_cuda_templateItEESt5tupleIJNSF_6TensorESK_SK_EERKSK_lbbbEUlllE0_EEPmJS9_EEE10hipError_tPvRmT3_T4_T5_T6_T7_T9_mT8_P12ihipStream_tbDpT10_ENKUlT_T0_E_clISt17integral_constantIbLb0EES19_IbLb1EEEEDaS15_S16_EUlS15_E_NS1_11comp_targetILNS1_3genE5ELNS1_11target_archE942ELNS1_3gpuE9ELNS1_3repE0EEENS1_30default_config_static_selectorELNS0_4arch9wavefront6targetE1EEEvT1_,"axG",@progbits,_ZN7rocprim17ROCPRIM_400000_NS6detail17trampoline_kernelINS0_14default_configENS1_25partition_config_selectorILNS1_17partition_subalgoE9EllbEEZZNS1_14partition_implILS5_9ELb0ES3_jPlS8_PNS0_10empty_typeENS0_5tupleIJS8_S9_EEENSB_IJS8_SA_EEENS0_18inequality_wrapperIZN2at6native12_GLOBAL__N_124unique_dim_cuda_templateItEESt5tupleIJNSF_6TensorESK_SK_EERKSK_lbbbEUlllE0_EEPmJS9_EEE10hipError_tPvRmT3_T4_T5_T6_T7_T9_mT8_P12ihipStream_tbDpT10_ENKUlT_T0_E_clISt17integral_constantIbLb0EES19_IbLb1EEEEDaS15_S16_EUlS15_E_NS1_11comp_targetILNS1_3genE5ELNS1_11target_archE942ELNS1_3gpuE9ELNS1_3repE0EEENS1_30default_config_static_selectorELNS0_4arch9wavefront6targetE1EEEvT1_,comdat
	.globl	_ZN7rocprim17ROCPRIM_400000_NS6detail17trampoline_kernelINS0_14default_configENS1_25partition_config_selectorILNS1_17partition_subalgoE9EllbEEZZNS1_14partition_implILS5_9ELb0ES3_jPlS8_PNS0_10empty_typeENS0_5tupleIJS8_S9_EEENSB_IJS8_SA_EEENS0_18inequality_wrapperIZN2at6native12_GLOBAL__N_124unique_dim_cuda_templateItEESt5tupleIJNSF_6TensorESK_SK_EERKSK_lbbbEUlllE0_EEPmJS9_EEE10hipError_tPvRmT3_T4_T5_T6_T7_T9_mT8_P12ihipStream_tbDpT10_ENKUlT_T0_E_clISt17integral_constantIbLb0EES19_IbLb1EEEEDaS15_S16_EUlS15_E_NS1_11comp_targetILNS1_3genE5ELNS1_11target_archE942ELNS1_3gpuE9ELNS1_3repE0EEENS1_30default_config_static_selectorELNS0_4arch9wavefront6targetE1EEEvT1_ ; -- Begin function _ZN7rocprim17ROCPRIM_400000_NS6detail17trampoline_kernelINS0_14default_configENS1_25partition_config_selectorILNS1_17partition_subalgoE9EllbEEZZNS1_14partition_implILS5_9ELb0ES3_jPlS8_PNS0_10empty_typeENS0_5tupleIJS8_S9_EEENSB_IJS8_SA_EEENS0_18inequality_wrapperIZN2at6native12_GLOBAL__N_124unique_dim_cuda_templateItEESt5tupleIJNSF_6TensorESK_SK_EERKSK_lbbbEUlllE0_EEPmJS9_EEE10hipError_tPvRmT3_T4_T5_T6_T7_T9_mT8_P12ihipStream_tbDpT10_ENKUlT_T0_E_clISt17integral_constantIbLb0EES19_IbLb1EEEEDaS15_S16_EUlS15_E_NS1_11comp_targetILNS1_3genE5ELNS1_11target_archE942ELNS1_3gpuE9ELNS1_3repE0EEENS1_30default_config_static_selectorELNS0_4arch9wavefront6targetE1EEEvT1_
	.p2align	8
	.type	_ZN7rocprim17ROCPRIM_400000_NS6detail17trampoline_kernelINS0_14default_configENS1_25partition_config_selectorILNS1_17partition_subalgoE9EllbEEZZNS1_14partition_implILS5_9ELb0ES3_jPlS8_PNS0_10empty_typeENS0_5tupleIJS8_S9_EEENSB_IJS8_SA_EEENS0_18inequality_wrapperIZN2at6native12_GLOBAL__N_124unique_dim_cuda_templateItEESt5tupleIJNSF_6TensorESK_SK_EERKSK_lbbbEUlllE0_EEPmJS9_EEE10hipError_tPvRmT3_T4_T5_T6_T7_T9_mT8_P12ihipStream_tbDpT10_ENKUlT_T0_E_clISt17integral_constantIbLb0EES19_IbLb1EEEEDaS15_S16_EUlS15_E_NS1_11comp_targetILNS1_3genE5ELNS1_11target_archE942ELNS1_3gpuE9ELNS1_3repE0EEENS1_30default_config_static_selectorELNS0_4arch9wavefront6targetE1EEEvT1_,@function
_ZN7rocprim17ROCPRIM_400000_NS6detail17trampoline_kernelINS0_14default_configENS1_25partition_config_selectorILNS1_17partition_subalgoE9EllbEEZZNS1_14partition_implILS5_9ELb0ES3_jPlS8_PNS0_10empty_typeENS0_5tupleIJS8_S9_EEENSB_IJS8_SA_EEENS0_18inequality_wrapperIZN2at6native12_GLOBAL__N_124unique_dim_cuda_templateItEESt5tupleIJNSF_6TensorESK_SK_EERKSK_lbbbEUlllE0_EEPmJS9_EEE10hipError_tPvRmT3_T4_T5_T6_T7_T9_mT8_P12ihipStream_tbDpT10_ENKUlT_T0_E_clISt17integral_constantIbLb0EES19_IbLb1EEEEDaS15_S16_EUlS15_E_NS1_11comp_targetILNS1_3genE5ELNS1_11target_archE942ELNS1_3gpuE9ELNS1_3repE0EEENS1_30default_config_static_selectorELNS0_4arch9wavefront6targetE1EEEvT1_: ; @_ZN7rocprim17ROCPRIM_400000_NS6detail17trampoline_kernelINS0_14default_configENS1_25partition_config_selectorILNS1_17partition_subalgoE9EllbEEZZNS1_14partition_implILS5_9ELb0ES3_jPlS8_PNS0_10empty_typeENS0_5tupleIJS8_S9_EEENSB_IJS8_SA_EEENS0_18inequality_wrapperIZN2at6native12_GLOBAL__N_124unique_dim_cuda_templateItEESt5tupleIJNSF_6TensorESK_SK_EERKSK_lbbbEUlllE0_EEPmJS9_EEE10hipError_tPvRmT3_T4_T5_T6_T7_T9_mT8_P12ihipStream_tbDpT10_ENKUlT_T0_E_clISt17integral_constantIbLb0EES19_IbLb1EEEEDaS15_S16_EUlS15_E_NS1_11comp_targetILNS1_3genE5ELNS1_11target_archE942ELNS1_3gpuE9ELNS1_3repE0EEENS1_30default_config_static_selectorELNS0_4arch9wavefront6targetE1EEEvT1_
; %bb.0:
	s_load_dwordx4 s[4:7], s[0:1], 0x8
	s_load_dwordx2 s[10:11], s[0:1], 0x18
	s_load_dwordx8 s[20:27], s[0:1], 0x40
	s_load_dwordx4 s[36:39], s[0:1], 0x60
	v_cmp_ne_u32_e64 s[2:3], 0, v0
	v_cmp_eq_u32_e64 s[18:19], 0, v0
	s_and_saveexec_b64 s[8:9], s[18:19]
	s_cbranch_execz .LBB1485_4
; %bb.1:
	s_mov_b64 s[14:15], exec
	v_mbcnt_lo_u32_b32 v1, s14, 0
	v_mbcnt_hi_u32_b32 v1, s15, v1
	v_cmp_eq_u32_e32 vcc, 0, v1
                                        ; implicit-def: $vgpr2
	s_and_saveexec_b64 s[12:13], vcc
	s_cbranch_execz .LBB1485_3
; %bb.2:
	s_load_dwordx2 s[16:17], s[0:1], 0x78
	s_bcnt1_i32_b64 s14, s[14:15]
	v_mov_b32_e32 v2, 0
	v_mov_b32_e32 v3, s14
	s_waitcnt lgkmcnt(0)
	global_atomic_add v2, v2, v3, s[16:17] sc0
.LBB1485_3:
	s_or_b64 exec, exec, s[12:13]
	s_waitcnt vmcnt(0)
	v_readfirstlane_b32 s12, v2
	v_mov_b32_e32 v2, 0
	s_nop 0
	v_add_u32_e32 v1, s12, v1
	ds_write_b32 v2, v1
.LBB1485_4:
	s_or_b64 exec, exec, s[8:9]
	v_mov_b32_e32 v3, 0
	s_load_dwordx4 s[28:31], s[0:1], 0x28
	s_load_dword s8, s[0:1], 0x70
	s_waitcnt lgkmcnt(0)
	s_barrier
	ds_read_b32 v1, v3
	s_waitcnt lgkmcnt(0)
	s_barrier
	global_load_dwordx2 v[4:5], v3, s[22:23]
	s_lshl_b64 s[12:13], s[6:7], 3
	s_mul_i32 s14, s8, 0xe00
	s_add_u32 s16, s4, s12
	s_addc_u32 s17, s5, s13
	s_add_i32 s4, s14, s6
	s_sub_i32 s54, s24, s4
	s_add_i32 s15, s8, -1
	s_addk_i32 s54, 0xe00
	s_add_u32 s4, s6, s14
	v_readfirstlane_b32 s33, v1
	s_addc_u32 s5, s7, 0
	v_mov_b32_e32 v6, s24
	v_mov_b32_e32 v7, s25
	s_cmp_eq_u32 s33, s15
	s_mov_b32 s9, 0
	s_mul_i32 s8, s33, 0xe00
	v_cmp_ge_u64_e32 vcc, s[4:5], v[6:7]
	s_cselect_b64 s[24:25], -1, 0
	s_lshl_b64 s[14:15], s[8:9], 3
	s_and_b64 s[8:9], vcc, s[24:25]
	s_xor_b64 s[34:35], s[8:9], -1
	s_add_u32 s4, s16, s14
	s_mov_b64 s[0:1], -1
	s_addc_u32 s5, s17, s15
	s_and_b64 vcc, exec, s[34:35]
	s_waitcnt vmcnt(0)
	v_readfirstlane_b32 s22, v4
	v_readfirstlane_b32 s23, v5
	s_cbranch_vccz .LBB1485_6
; %bb.5:
	v_lshlrev_b32_e32 v2, 3, v0
	v_lshl_add_u64 v[4:5], s[4:5], 0, v[2:3]
	v_add_co_u32_e32 v8, vcc, 0x1000, v4
	global_load_dwordx2 v[6:7], v2, s[4:5]
	s_nop 0
	v_addc_co_u32_e32 v9, vcc, 0, v5, vcc
	v_add_co_u32_e32 v10, vcc, 0x2000, v4
	s_mov_b64 s[0:1], 0
	s_nop 0
	v_addc_co_u32_e32 v11, vcc, 0, v5, vcc
	v_add_co_u32_e32 v12, vcc, 0x3000, v4
	s_nop 1
	v_addc_co_u32_e32 v13, vcc, 0, v5, vcc
	v_add_co_u32_e32 v14, vcc, 0x4000, v4
	s_nop 1
	v_addc_co_u32_e32 v15, vcc, 0, v5, vcc
	global_load_dwordx2 v[16:17], v[8:9], off
	global_load_dwordx2 v[18:19], v[10:11], off
	;; [unrolled: 1-line block ×4, first 2 shown]
	v_add_co_u32_e32 v8, vcc, 0x5000, v4
	s_nop 1
	v_addc_co_u32_e32 v9, vcc, 0, v5, vcc
	v_add_co_u32_e32 v4, vcc, 0x6000, v4
	global_load_dwordx2 v[8:9], v[8:9], off
	s_nop 0
	v_addc_co_u32_e32 v5, vcc, 0, v5, vcc
	global_load_dwordx2 v[4:5], v[4:5], off
	s_waitcnt vmcnt(5)
	ds_write2st64_b64 v2, v[6:7], v[16:17] offset1:8
	s_waitcnt vmcnt(3)
	ds_write2st64_b64 v2, v[18:19], v[20:21] offset0:16 offset1:24
	s_waitcnt vmcnt(1)
	ds_write2st64_b64 v2, v[22:23], v[8:9] offset0:32 offset1:40
	s_waitcnt vmcnt(0)
	ds_write_b64 v2, v[4:5] offset:24576
	s_waitcnt lgkmcnt(0)
	s_barrier
.LBB1485_6:
	s_andn2_b64 vcc, exec, s[0:1]
	v_cmp_gt_u32_e64 s[0:1], s54, v0
	s_cbranch_vccnz .LBB1485_22
; %bb.7:
                                        ; implicit-def: $vgpr2_vgpr3_vgpr4_vgpr5_vgpr6_vgpr7_vgpr8_vgpr9_vgpr10_vgpr11_vgpr12_vgpr13_vgpr14_vgpr15_vgpr16_vgpr17
	s_and_saveexec_b64 s[16:17], s[0:1]
	s_cbranch_execz .LBB1485_9
; %bb.8:
	v_lshlrev_b32_e32 v1, 3, v0
	global_load_dwordx2 v[2:3], v1, s[4:5]
.LBB1485_9:
	s_or_b64 exec, exec, s[16:17]
	v_or_b32_e32 v1, 0x200, v0
	v_cmp_gt_u32_e32 vcc, s54, v1
	s_and_saveexec_b64 s[0:1], vcc
	s_cbranch_execz .LBB1485_11
; %bb.10:
	v_lshlrev_b32_e32 v1, 3, v1
	global_load_dwordx2 v[4:5], v1, s[4:5]
.LBB1485_11:
	s_or_b64 exec, exec, s[0:1]
	v_or_b32_e32 v1, 0x400, v0
	v_cmp_gt_u32_e32 vcc, s54, v1
	s_and_saveexec_b64 s[0:1], vcc
	;; [unrolled: 9-line block ×6, first 2 shown]
	s_cbranch_execz .LBB1485_21
; %bb.20:
	v_lshlrev_b32_e32 v1, 3, v1
	global_load_dwordx2 v[14:15], v1, s[4:5]
.LBB1485_21:
	s_or_b64 exec, exec, s[0:1]
	v_lshlrev_b32_e32 v1, 3, v0
	s_waitcnt vmcnt(0)
	ds_write2st64_b64 v1, v[2:3], v[4:5] offset1:8
	ds_write2st64_b64 v1, v[6:7], v[8:9] offset0:16 offset1:24
	ds_write2st64_b64 v1, v[10:11], v[12:13] offset0:32 offset1:40
	ds_write_b64 v1, v[14:15] offset:24576
	s_waitcnt lgkmcnt(0)
	s_barrier
.LBB1485_22:
	v_mul_u32_u24_e32 v1, 7, v0
	v_lshlrev_b32_e32 v46, 3, v1
	ds_read2_b64 v[22:25], v46 offset1:1
	ds_read2_b64 v[18:21], v46 offset0:2 offset1:3
	ds_read2_b64 v[14:17], v46 offset0:4 offset1:5
	ds_read_b64 v[28:29], v46 offset:48
	s_add_u32 s0, s10, s12
	s_addc_u32 s1, s11, s13
	s_add_u32 s0, s0, s14
	s_addc_u32 s1, s1, s15
	s_mov_b64 s[10:11], -1
	s_and_b64 vcc, exec, s[34:35]
	s_waitcnt lgkmcnt(0)
	s_barrier
	s_cbranch_vccz .LBB1485_24
; %bb.23:
	v_lshlrev_b32_e32 v2, 3, v0
	v_mov_b32_e32 v3, 0
	v_lshl_add_u64 v[4:5], s[0:1], 0, v[2:3]
	v_add_co_u32_e32 v8, vcc, 0x1000, v4
	global_load_dwordx2 v[6:7], v2, s[0:1]
	s_nop 0
	v_addc_co_u32_e32 v9, vcc, 0, v5, vcc
	v_add_co_u32_e32 v10, vcc, 0x2000, v4
	s_mov_b64 s[10:11], 0
	s_nop 0
	v_addc_co_u32_e32 v11, vcc, 0, v5, vcc
	v_add_co_u32_e32 v12, vcc, 0x3000, v4
	s_nop 1
	v_addc_co_u32_e32 v13, vcc, 0, v5, vcc
	v_add_co_u32_e32 v26, vcc, 0x4000, v4
	s_nop 1
	v_addc_co_u32_e32 v27, vcc, 0, v5, vcc
	global_load_dwordx2 v[30:31], v[8:9], off
	global_load_dwordx2 v[32:33], v[10:11], off
	;; [unrolled: 1-line block ×4, first 2 shown]
	v_add_co_u32_e32 v8, vcc, 0x5000, v4
	s_nop 1
	v_addc_co_u32_e32 v9, vcc, 0, v5, vcc
	v_add_co_u32_e32 v4, vcc, 0x6000, v4
	global_load_dwordx2 v[8:9], v[8:9], off
	s_nop 0
	v_addc_co_u32_e32 v5, vcc, 0, v5, vcc
	global_load_dwordx2 v[4:5], v[4:5], off
	s_waitcnt vmcnt(5)
	ds_write2st64_b64 v2, v[6:7], v[30:31] offset1:8
	s_waitcnt vmcnt(3)
	ds_write2st64_b64 v2, v[32:33], v[34:35] offset0:16 offset1:24
	s_waitcnt vmcnt(1)
	ds_write2st64_b64 v2, v[36:37], v[8:9] offset0:32 offset1:40
	s_waitcnt vmcnt(0)
	ds_write_b64 v2, v[4:5] offset:24576
	s_waitcnt lgkmcnt(0)
	s_barrier
.LBB1485_24:
	s_andn2_b64 vcc, exec, s[10:11]
	s_cbranch_vccnz .LBB1485_40
; %bb.25:
	v_cmp_gt_u32_e32 vcc, s54, v0
                                        ; implicit-def: $vgpr2_vgpr3
	s_and_saveexec_b64 s[10:11], vcc
	s_cbranch_execz .LBB1485_27
; %bb.26:
	v_lshlrev_b32_e32 v2, 3, v0
	global_load_dwordx2 v[2:3], v2, s[0:1]
.LBB1485_27:
	s_or_b64 exec, exec, s[10:11]
	v_or_b32_e32 v6, 0x200, v0
	v_cmp_gt_u32_e32 vcc, s54, v6
                                        ; implicit-def: $vgpr4_vgpr5
	s_and_saveexec_b64 s[10:11], vcc
	s_cbranch_execz .LBB1485_29
; %bb.28:
	v_lshlrev_b32_e32 v4, 3, v6
	global_load_dwordx2 v[4:5], v4, s[0:1]
.LBB1485_29:
	s_or_b64 exec, exec, s[10:11]
	v_or_b32_e32 v8, 0x400, v0
	v_cmp_gt_u32_e32 vcc, s54, v8
                                        ; implicit-def: $vgpr6_vgpr7
	s_and_saveexec_b64 s[10:11], vcc
	s_cbranch_execz .LBB1485_31
; %bb.30:
	v_lshlrev_b32_e32 v6, 3, v8
	global_load_dwordx2 v[6:7], v6, s[0:1]
.LBB1485_31:
	s_or_b64 exec, exec, s[10:11]
	v_or_b32_e32 v10, 0x600, v0
	v_cmp_gt_u32_e32 vcc, s54, v10
                                        ; implicit-def: $vgpr8_vgpr9
	s_and_saveexec_b64 s[10:11], vcc
	s_cbranch_execz .LBB1485_33
; %bb.32:
	v_lshlrev_b32_e32 v8, 3, v10
	global_load_dwordx2 v[8:9], v8, s[0:1]
.LBB1485_33:
	s_or_b64 exec, exec, s[10:11]
	v_or_b32_e32 v12, 0x800, v0
	v_cmp_gt_u32_e32 vcc, s54, v12
                                        ; implicit-def: $vgpr10_vgpr11
	s_and_saveexec_b64 s[10:11], vcc
	s_cbranch_execz .LBB1485_35
; %bb.34:
	v_lshlrev_b32_e32 v10, 3, v12
	global_load_dwordx2 v[10:11], v10, s[0:1]
.LBB1485_35:
	s_or_b64 exec, exec, s[10:11]
	v_or_b32_e32 v26, 0xa00, v0
	v_cmp_gt_u32_e32 vcc, s54, v26
                                        ; implicit-def: $vgpr12_vgpr13
	s_and_saveexec_b64 s[10:11], vcc
	s_cbranch_execz .LBB1485_37
; %bb.36:
	v_lshlrev_b32_e32 v12, 3, v26
	global_load_dwordx2 v[12:13], v12, s[0:1]
.LBB1485_37:
	s_or_b64 exec, exec, s[10:11]
	v_or_b32_e32 v30, 0xc00, v0
	v_cmp_gt_u32_e32 vcc, s54, v30
                                        ; implicit-def: $vgpr26_vgpr27
	s_and_saveexec_b64 s[10:11], vcc
	s_cbranch_execz .LBB1485_39
; %bb.38:
	v_lshlrev_b32_e32 v26, 3, v30
	global_load_dwordx2 v[26:27], v26, s[0:1]
.LBB1485_39:
	s_or_b64 exec, exec, s[10:11]
	s_movk_i32 s0, 0xffd0
	v_mad_i32_i24 v30, v0, s0, v46
	s_waitcnt vmcnt(0)
	ds_write2st64_b64 v30, v[2:3], v[4:5] offset1:8
	ds_write2st64_b64 v30, v[6:7], v[8:9] offset0:16 offset1:24
	ds_write2st64_b64 v30, v[10:11], v[12:13] offset0:32 offset1:40
	ds_write_b64 v30, v[26:27] offset:24576
	s_waitcnt lgkmcnt(0)
	s_barrier
.LBB1485_40:
	ds_read2_b64 v[10:13], v46 offset1:1
	ds_read2_b64 v[6:9], v46 offset0:2 offset1:3
	ds_read2_b64 v[2:5], v46 offset0:4 offset1:5
	ds_read_b64 v[26:27], v46 offset:48
	s_cmp_lg_u32 s33, 0
	s_cselect_b64 s[0:1], -1, 0
	s_cmp_lg_u64 s[6:7], 0
	s_cselect_b64 s[6:7], -1, 0
	s_or_b64 s[6:7], s[6:7], s[0:1]
	v_add_u32_e32 v43, 1, v1
	v_add_u32_e32 v40, 2, v1
	;; [unrolled: 1-line block ×6, first 2 shown]
	s_mov_b64 s[10:11], 0
	s_and_b64 vcc, exec, s[6:7]
	v_cmp_gt_i64_e64 s[12:13], s[26:27], 0
	s_waitcnt lgkmcnt(0)
	s_barrier
	s_cbranch_vccz .LBB1485_49
; %bb.41:
	v_mov_b32_e32 v30, 0
	global_load_dwordx2 v[30:31], v30, s[4:5] offset:-8
	v_cndmask_b32_e64 v32, 0, 1, s[12:13]
	v_lshlrev_b32_e32 v47, 3, v0
	s_mov_b64 s[6:7], 0
	s_and_b64 vcc, exec, s[34:35]
	v_cmp_ne_u32_e64 s[4:5], 1, v32
	ds_write_b64 v47, v[28:29]
	s_cbranch_vccz .LBB1485_51
; %bb.42:
	v_mul_lo_u32 v34, v17, s26
	v_mul_lo_u32 v35, v16, s27
	v_mad_u64_u32 v[32:33], s[10:11], v16, s26, 0
	v_add3_u32 v33, v33, v35, v34
	s_and_b64 vcc, exec, s[4:5]
	v_lshl_add_u64 v[32:33], v[32:33], 1, s[36:37]
	s_cbranch_vccnz .LBB1485_54
; %bb.43:
	v_mul_lo_u32 v36, v29, s26
	v_mul_lo_u32 v37, v28, s27
	v_mad_u64_u32 v[34:35], s[6:7], v28, s26, 0
	v_add3_u32 v35, v35, v37, v36
	v_lshl_add_u64 v[34:35], v[34:35], 1, s[36:37]
	global_load_ushort v36, v[32:33], off
	global_load_ushort v37, v[34:35], off
	s_mov_b64 s[6:7], -1
	s_waitcnt vmcnt(0)
	v_cmp_eq_u16_e32 vcc, v36, v37
	s_and_saveexec_b64 s[10:11], vcc
	s_cbranch_execz .LBB1485_53
; %bb.44:
	s_add_u32 s6, s26, -1
	v_lshl_add_u64 v[34:35], v[34:35], 0, 2
	v_lshl_add_u64 v[36:37], v[32:33], 0, 2
	s_addc_u32 s7, s27, -1
	s_mov_b64 s[12:13], 0
	s_mov_b64 s[16:17], 0
                                        ; implicit-def: $sgpr14_sgpr15
	s_branch .LBB1485_47
.LBB1485_45:                            ;   in Loop: Header=BB1485_47 Depth=1
	global_load_ushort v38, v[36:37], off
	global_load_ushort v39, v[34:35], off
	s_add_u32 s16, s16, 1
	s_addc_u32 s17, s17, 0
	s_andn2_b64 s[14:15], s[14:15], exec
	v_lshl_add_u64 v[34:35], v[34:35], 0, 2
	v_lshl_add_u64 v[36:37], v[36:37], 0, 2
	s_waitcnt vmcnt(0)
	v_cmp_ne_u16_e32 vcc, v38, v39
	s_and_b64 s[40:41], vcc, exec
	s_or_b64 s[14:15], s[14:15], s[40:41]
.LBB1485_46:                            ;   in Loop: Header=BB1485_47 Depth=1
	s_and_b64 s[40:41], exec, s[14:15]
	s_or_b64 s[12:13], s[40:41], s[12:13]
	v_mov_b64_e32 v[38:39], s[16:17]
	s_andn2_b64 exec, exec, s[12:13]
	s_cbranch_execz .LBB1485_52
.LBB1485_47:                            ; =>This Inner Loop Header: Depth=1
	s_or_b64 s[14:15], s[14:15], exec
	s_cmp_eq_u64 s[6:7], s[16:17]
	s_cbranch_scc0 .LBB1485_45
; %bb.48:                               ;   in Loop: Header=BB1485_47 Depth=1
                                        ; implicit-def: $vgpr34_vgpr35
                                        ; implicit-def: $vgpr36_vgpr37
	s_mov_b64 s[16:17], s[26:27]
	s_branch .LBB1485_46
.LBB1485_49:
                                        ; implicit-def: $sgpr14_sgpr15
                                        ; implicit-def: $vgpr49
                                        ; implicit-def: $vgpr48
                                        ; implicit-def: $vgpr39
                                        ; implicit-def: $vgpr34
	s_branch .LBB1485_192
.LBB1485_50:
                                        ; implicit-def: $vgpr30_vgpr31
	s_branch .LBB1485_340
.LBB1485_51:
                                        ; implicit-def: $sgpr14_sgpr15
                                        ; implicit-def: $vgpr49
                                        ; implicit-def: $vgpr48
                                        ; implicit-def: $vgpr39
                                        ; implicit-def: $vgpr34
	s_cbranch_execnz .LBB1485_111
	s_branch .LBB1485_191
.LBB1485_52:
	s_or_b64 exec, exec, s[12:13]
	v_cmp_gt_i64_e32 vcc, s[26:27], v[38:39]
	s_orn2_b64 s[6:7], vcc, exec
.LBB1485_53:
	s_or_b64 exec, exec, s[10:11]
.LBB1485_54:
	v_mul_lo_u32 v36, v15, s26
	v_mul_lo_u32 v37, v14, s27
	v_mad_u64_u32 v[34:35], s[10:11], v14, s26, 0
	v_add3_u32 v35, v35, v37, v36
	s_mov_b64 s[10:11], 0
	s_and_b64 vcc, exec, s[4:5]
	v_lshl_add_u64 v[34:35], v[34:35], 1, s[36:37]
	s_mov_b64 s[12:13], 0
	s_cbranch_vccnz .LBB1485_63
; %bb.55:
	global_load_ushort v36, v[34:35], off
	global_load_ushort v37, v[32:33], off
	s_mov_b64 s[12:13], -1
	s_waitcnt vmcnt(0)
	v_cmp_eq_u16_e32 vcc, v36, v37
	s_and_saveexec_b64 s[14:15], vcc
	s_cbranch_execz .LBB1485_62
; %bb.56:
	s_add_u32 s12, s26, -1
	v_lshl_add_u64 v[32:33], v[32:33], 0, 2
	v_lshl_add_u64 v[36:37], v[34:35], 0, 2
	s_addc_u32 s13, s27, -1
	s_mov_b64 s[16:17], 0
	s_mov_b64 s[42:43], 0
                                        ; implicit-def: $sgpr40_sgpr41
	s_branch .LBB1485_59
.LBB1485_57:                            ;   in Loop: Header=BB1485_59 Depth=1
	global_load_ushort v38, v[36:37], off
	global_load_ushort v39, v[32:33], off
	s_add_u32 s42, s42, 1
	s_addc_u32 s43, s43, 0
	s_andn2_b64 s[40:41], s[40:41], exec
	v_lshl_add_u64 v[32:33], v[32:33], 0, 2
	v_lshl_add_u64 v[36:37], v[36:37], 0, 2
	s_waitcnt vmcnt(0)
	v_cmp_ne_u16_e32 vcc, v38, v39
	s_and_b64 s[44:45], vcc, exec
	s_or_b64 s[40:41], s[40:41], s[44:45]
.LBB1485_58:                            ;   in Loop: Header=BB1485_59 Depth=1
	s_and_b64 s[44:45], exec, s[40:41]
	s_or_b64 s[16:17], s[44:45], s[16:17]
	v_mov_b64_e32 v[38:39], s[42:43]
	s_andn2_b64 exec, exec, s[16:17]
	s_cbranch_execz .LBB1485_61
.LBB1485_59:                            ; =>This Inner Loop Header: Depth=1
	s_or_b64 s[40:41], s[40:41], exec
	s_cmp_eq_u64 s[12:13], s[42:43]
	s_cbranch_scc0 .LBB1485_57
; %bb.60:                               ;   in Loop: Header=BB1485_59 Depth=1
                                        ; implicit-def: $vgpr32_vgpr33
                                        ; implicit-def: $vgpr36_vgpr37
	s_mov_b64 s[42:43], s[26:27]
	s_branch .LBB1485_58
.LBB1485_61:
	s_or_b64 exec, exec, s[16:17]
	v_cmp_gt_i64_e32 vcc, s[26:27], v[38:39]
	s_orn2_b64 s[12:13], vcc, exec
.LBB1485_62:
	s_or_b64 exec, exec, s[14:15]
.LBB1485_63:
	v_mul_lo_u32 v36, v21, s26
	v_mul_lo_u32 v37, v20, s27
	v_mad_u64_u32 v[32:33], s[14:15], v20, s26, 0
	v_add3_u32 v33, v33, v37, v36
	s_and_b64 vcc, exec, s[4:5]
	v_lshl_add_u64 v[32:33], v[32:33], 1, s[36:37]
	s_cbranch_vccnz .LBB1485_72
; %bb.64:
	global_load_ushort v36, v[32:33], off
	global_load_ushort v37, v[34:35], off
	s_mov_b64 s[10:11], -1
	s_waitcnt vmcnt(0)
	v_cmp_eq_u16_e32 vcc, v36, v37
	s_and_saveexec_b64 s[14:15], vcc
	s_cbranch_execz .LBB1485_71
; %bb.65:
	s_add_u32 s10, s26, -1
	v_lshl_add_u64 v[34:35], v[34:35], 0, 2
	v_lshl_add_u64 v[36:37], v[32:33], 0, 2
	s_addc_u32 s11, s27, -1
	s_mov_b64 s[16:17], 0
	s_mov_b64 s[42:43], 0
                                        ; implicit-def: $sgpr40_sgpr41
	s_branch .LBB1485_68
.LBB1485_66:                            ;   in Loop: Header=BB1485_68 Depth=1
	global_load_ushort v38, v[36:37], off
	global_load_ushort v39, v[34:35], off
	s_add_u32 s42, s42, 1
	s_addc_u32 s43, s43, 0
	s_andn2_b64 s[40:41], s[40:41], exec
	v_lshl_add_u64 v[34:35], v[34:35], 0, 2
	v_lshl_add_u64 v[36:37], v[36:37], 0, 2
	s_waitcnt vmcnt(0)
	v_cmp_ne_u16_e32 vcc, v38, v39
	s_and_b64 s[44:45], vcc, exec
	s_or_b64 s[40:41], s[40:41], s[44:45]
.LBB1485_67:                            ;   in Loop: Header=BB1485_68 Depth=1
	s_and_b64 s[44:45], exec, s[40:41]
	s_or_b64 s[16:17], s[44:45], s[16:17]
	v_mov_b64_e32 v[38:39], s[42:43]
	s_andn2_b64 exec, exec, s[16:17]
	s_cbranch_execz .LBB1485_70
.LBB1485_68:                            ; =>This Inner Loop Header: Depth=1
	s_or_b64 s[40:41], s[40:41], exec
	s_cmp_eq_u64 s[10:11], s[42:43]
	s_cbranch_scc0 .LBB1485_66
; %bb.69:                               ;   in Loop: Header=BB1485_68 Depth=1
                                        ; implicit-def: $vgpr34_vgpr35
                                        ; implicit-def: $vgpr36_vgpr37
	s_mov_b64 s[42:43], s[26:27]
	s_branch .LBB1485_67
.LBB1485_70:
	s_or_b64 exec, exec, s[16:17]
	v_cmp_gt_i64_e32 vcc, s[26:27], v[38:39]
	s_orn2_b64 s[10:11], vcc, exec
.LBB1485_71:
	s_or_b64 exec, exec, s[14:15]
.LBB1485_72:
	v_mul_lo_u32 v36, v19, s26
	v_mul_lo_u32 v37, v18, s27
	v_mad_u64_u32 v[34:35], s[14:15], v18, s26, 0
	v_add3_u32 v35, v35, v37, v36
	s_mov_b64 s[14:15], 0
	s_and_b64 vcc, exec, s[4:5]
	v_lshl_add_u64 v[36:37], v[34:35], 1, s[36:37]
	s_mov_b64 s[16:17], 0
	s_cbranch_vccnz .LBB1485_81
; %bb.73:
	global_load_ushort v34, v[36:37], off
	global_load_ushort v35, v[32:33], off
	s_mov_b64 s[16:17], -1
	s_waitcnt vmcnt(0)
	v_cmp_eq_u16_e32 vcc, v34, v35
	s_and_saveexec_b64 s[40:41], vcc
	s_cbranch_execz .LBB1485_80
; %bb.74:
	s_add_u32 s16, s26, -1
	v_lshl_add_u64 v[32:33], v[32:33], 0, 2
	v_lshl_add_u64 v[34:35], v[36:37], 0, 2
	s_addc_u32 s17, s27, -1
	s_mov_b64 s[42:43], 0
	s_mov_b64 s[46:47], 0
                                        ; implicit-def: $sgpr44_sgpr45
	s_branch .LBB1485_77
.LBB1485_75:                            ;   in Loop: Header=BB1485_77 Depth=1
	global_load_ushort v38, v[34:35], off
	global_load_ushort v39, v[32:33], off
	s_add_u32 s46, s46, 1
	s_addc_u32 s47, s47, 0
	s_andn2_b64 s[44:45], s[44:45], exec
	v_lshl_add_u64 v[32:33], v[32:33], 0, 2
	v_lshl_add_u64 v[34:35], v[34:35], 0, 2
	s_waitcnt vmcnt(0)
	v_cmp_ne_u16_e32 vcc, v38, v39
	s_and_b64 s[48:49], vcc, exec
	s_or_b64 s[44:45], s[44:45], s[48:49]
.LBB1485_76:                            ;   in Loop: Header=BB1485_77 Depth=1
	s_and_b64 s[48:49], exec, s[44:45]
	s_or_b64 s[42:43], s[48:49], s[42:43]
	v_mov_b64_e32 v[38:39], s[46:47]
	s_andn2_b64 exec, exec, s[42:43]
	s_cbranch_execz .LBB1485_79
.LBB1485_77:                            ; =>This Inner Loop Header: Depth=1
	s_or_b64 s[44:45], s[44:45], exec
	s_cmp_eq_u64 s[16:17], s[46:47]
	s_cbranch_scc0 .LBB1485_75
; %bb.78:                               ;   in Loop: Header=BB1485_77 Depth=1
                                        ; implicit-def: $vgpr32_vgpr33
                                        ; implicit-def: $vgpr34_vgpr35
	s_mov_b64 s[46:47], s[26:27]
	s_branch .LBB1485_76
.LBB1485_79:
	s_or_b64 exec, exec, s[42:43]
	v_cmp_gt_i64_e32 vcc, s[26:27], v[38:39]
	s_orn2_b64 s[16:17], vcc, exec
.LBB1485_80:
	s_or_b64 exec, exec, s[40:41]
.LBB1485_81:
	v_mul_lo_u32 v34, v25, s26
	v_mul_lo_u32 v35, v24, s27
	v_mad_u64_u32 v[32:33], s[40:41], v24, s26, 0
	v_add3_u32 v33, v33, v35, v34
	s_and_b64 vcc, exec, s[4:5]
	v_lshl_add_u64 v[34:35], v[32:33], 1, s[36:37]
	s_cbranch_vccnz .LBB1485_90
; %bb.82:
	global_load_ushort v32, v[34:35], off
	global_load_ushort v33, v[36:37], off
	s_mov_b64 s[14:15], -1
	s_waitcnt vmcnt(0)
	v_cmp_eq_u16_e32 vcc, v32, v33
	s_and_saveexec_b64 s[40:41], vcc
	s_cbranch_execz .LBB1485_89
; %bb.83:
	s_add_u32 s14, s26, -1
	v_lshl_add_u64 v[32:33], v[36:37], 0, 2
	v_lshl_add_u64 v[36:37], v[34:35], 0, 2
	s_addc_u32 s15, s27, -1
	s_mov_b64 s[42:43], 0
	s_mov_b64 s[46:47], 0
                                        ; implicit-def: $sgpr44_sgpr45
	s_branch .LBB1485_86
.LBB1485_84:                            ;   in Loop: Header=BB1485_86 Depth=1
	global_load_ushort v38, v[36:37], off
	global_load_ushort v39, v[32:33], off
	s_add_u32 s46, s46, 1
	s_addc_u32 s47, s47, 0
	s_andn2_b64 s[44:45], s[44:45], exec
	v_lshl_add_u64 v[32:33], v[32:33], 0, 2
	v_lshl_add_u64 v[36:37], v[36:37], 0, 2
	s_waitcnt vmcnt(0)
	v_cmp_ne_u16_e32 vcc, v38, v39
	s_and_b64 s[48:49], vcc, exec
	s_or_b64 s[44:45], s[44:45], s[48:49]
.LBB1485_85:                            ;   in Loop: Header=BB1485_86 Depth=1
	s_and_b64 s[48:49], exec, s[44:45]
	s_or_b64 s[42:43], s[48:49], s[42:43]
	v_mov_b64_e32 v[38:39], s[46:47]
	s_andn2_b64 exec, exec, s[42:43]
	s_cbranch_execz .LBB1485_88
.LBB1485_86:                            ; =>This Inner Loop Header: Depth=1
	s_or_b64 s[44:45], s[44:45], exec
	s_cmp_eq_u64 s[14:15], s[46:47]
	s_cbranch_scc0 .LBB1485_84
; %bb.87:                               ;   in Loop: Header=BB1485_86 Depth=1
                                        ; implicit-def: $vgpr32_vgpr33
                                        ; implicit-def: $vgpr36_vgpr37
	s_mov_b64 s[46:47], s[26:27]
	s_branch .LBB1485_85
.LBB1485_88:
	s_or_b64 exec, exec, s[42:43]
	v_cmp_gt_i64_e32 vcc, s[26:27], v[38:39]
	s_orn2_b64 s[14:15], vcc, exec
.LBB1485_89:
	s_or_b64 exec, exec, s[40:41]
.LBB1485_90:
	v_mul_lo_u32 v36, v23, s26
	v_mul_lo_u32 v37, v22, s27
	v_mad_u64_u32 v[32:33], s[40:41], v22, s26, 0
	v_add3_u32 v33, v33, v37, v36
	s_mov_b64 s[42:43], 0
	s_and_b64 vcc, exec, s[4:5]
	v_lshl_add_u64 v[32:33], v[32:33], 1, s[36:37]
	s_cbranch_vccnz .LBB1485_99
; %bb.91:
	global_load_ushort v36, v[32:33], off
	global_load_ushort v37, v[34:35], off
	s_mov_b64 s[42:43], -1
	s_waitcnt vmcnt(0)
	v_cmp_eq_u16_e32 vcc, v36, v37
	s_and_saveexec_b64 s[40:41], vcc
	s_cbranch_execz .LBB1485_98
; %bb.92:
	s_add_u32 s42, s26, -1
	v_lshl_add_u64 v[34:35], v[34:35], 0, 2
	v_lshl_add_u64 v[36:37], v[32:33], 0, 2
	s_addc_u32 s43, s27, -1
	s_mov_b64 s[44:45], 0
	s_mov_b64 s[48:49], 0
                                        ; implicit-def: $sgpr46_sgpr47
	s_branch .LBB1485_95
.LBB1485_93:                            ;   in Loop: Header=BB1485_95 Depth=1
	global_load_ushort v38, v[36:37], off
	global_load_ushort v39, v[34:35], off
	s_add_u32 s48, s48, 1
	s_addc_u32 s49, s49, 0
	s_andn2_b64 s[46:47], s[46:47], exec
	v_lshl_add_u64 v[34:35], v[34:35], 0, 2
	v_lshl_add_u64 v[36:37], v[36:37], 0, 2
	s_waitcnt vmcnt(0)
	v_cmp_ne_u16_e32 vcc, v38, v39
	s_and_b64 s[50:51], vcc, exec
	s_or_b64 s[46:47], s[46:47], s[50:51]
.LBB1485_94:                            ;   in Loop: Header=BB1485_95 Depth=1
	s_and_b64 s[50:51], exec, s[46:47]
	s_or_b64 s[44:45], s[50:51], s[44:45]
	v_mov_b64_e32 v[38:39], s[48:49]
	s_andn2_b64 exec, exec, s[44:45]
	s_cbranch_execz .LBB1485_97
.LBB1485_95:                            ; =>This Inner Loop Header: Depth=1
	s_or_b64 s[46:47], s[46:47], exec
	s_cmp_eq_u64 s[42:43], s[48:49]
	s_cbranch_scc0 .LBB1485_93
; %bb.96:                               ;   in Loop: Header=BB1485_95 Depth=1
                                        ; implicit-def: $vgpr34_vgpr35
                                        ; implicit-def: $vgpr36_vgpr37
	s_mov_b64 s[48:49], s[26:27]
	s_branch .LBB1485_94
.LBB1485_97:
	s_or_b64 exec, exec, s[44:45]
	v_cmp_gt_i64_e32 vcc, s[26:27], v[38:39]
	s_orn2_b64 s[42:43], vcc, exec
.LBB1485_98:
	s_or_b64 exec, exec, s[40:41]
.LBB1485_99:
	s_waitcnt vmcnt(0)
	v_mov_b64_e32 v[34:35], v[30:31]
	s_waitcnt lgkmcnt(0)
	s_barrier
	s_and_saveexec_b64 s[40:41], s[2:3]
	s_cbranch_execz .LBB1485_101
; %bb.100:
	v_add_u32_e32 v34, -8, v47
	ds_read_b64 v[34:35], v34
.LBB1485_101:
	s_or_b64 exec, exec, s[40:41]
	v_cndmask_b32_e64 v37, 0, 1, s[16:17]
	v_cndmask_b32_e64 v36, 0, 1, s[14:15]
	;; [unrolled: 1-line block ×3, first 2 shown]
	v_lshlrev_b16_e32 v37, 8, v37
	v_lshlrev_b16_e32 v38, 8, v38
	v_or_b32_sdwa v50, v36, v37 dst_sel:WORD_1 dst_unused:UNUSED_PAD src0_sel:DWORD src1_sel:DWORD
	s_mov_b64 s[16:17], 0
	s_and_b64 vcc, exec, s[4:5]
	s_mov_b64 s[14:15], 0
	s_cbranch_vccnz .LBB1485_110
; %bb.102:
	s_waitcnt lgkmcnt(0)
	v_mul_lo_u32 v36, v35, s26
	v_mul_lo_u32 v37, v34, s27
	v_mad_u64_u32 v[34:35], s[14:15], v34, s26, 0
	v_add3_u32 v35, v35, v37, v36
	v_lshl_add_u64 v[34:35], v[34:35], 1, s[36:37]
	global_load_ushort v36, v[34:35], off
	global_load_ushort v37, v[32:33], off
	s_mov_b64 s[14:15], -1
	s_waitcnt vmcnt(0)
	v_cmp_eq_u16_e32 vcc, v36, v37
	s_and_saveexec_b64 s[40:41], vcc
	s_cbranch_execz .LBB1485_109
; %bb.103:
	s_add_u32 s14, s26, -1
	v_lshl_add_u64 v[32:33], v[32:33], 0, 2
	v_lshl_add_u64 v[34:35], v[34:35], 0, 2
	s_addc_u32 s15, s27, -1
	s_mov_b64 s[42:43], 0
	s_mov_b64 s[46:47], 0
                                        ; implicit-def: $sgpr44_sgpr45
	s_branch .LBB1485_106
.LBB1485_104:                           ;   in Loop: Header=BB1485_106 Depth=1
	global_load_ushort v36, v[34:35], off
	global_load_ushort v37, v[32:33], off
	s_add_u32 s46, s46, 1
	s_addc_u32 s47, s47, 0
	s_andn2_b64 s[44:45], s[44:45], exec
	v_lshl_add_u64 v[32:33], v[32:33], 0, 2
	v_lshl_add_u64 v[34:35], v[34:35], 0, 2
	s_waitcnt vmcnt(0)
	v_cmp_ne_u16_e32 vcc, v36, v37
	s_and_b64 s[48:49], vcc, exec
	s_or_b64 s[44:45], s[44:45], s[48:49]
.LBB1485_105:                           ;   in Loop: Header=BB1485_106 Depth=1
	s_and_b64 s[48:49], exec, s[44:45]
	s_or_b64 s[42:43], s[48:49], s[42:43]
	v_mov_b64_e32 v[36:37], s[46:47]
	s_andn2_b64 exec, exec, s[42:43]
	s_cbranch_execz .LBB1485_108
.LBB1485_106:                           ; =>This Inner Loop Header: Depth=1
	s_or_b64 s[44:45], s[44:45], exec
	s_cmp_eq_u64 s[14:15], s[46:47]
	s_cbranch_scc0 .LBB1485_104
; %bb.107:                              ;   in Loop: Header=BB1485_106 Depth=1
                                        ; implicit-def: $vgpr32_vgpr33
                                        ; implicit-def: $vgpr34_vgpr35
	s_mov_b64 s[46:47], s[26:27]
	s_branch .LBB1485_105
.LBB1485_108:
	s_or_b64 exec, exec, s[42:43]
	v_cmp_gt_i64_e32 vcc, s[26:27], v[36:37]
	s_orn2_b64 s[14:15], vcc, exec
.LBB1485_109:
	s_or_b64 exec, exec, s[40:41]
.LBB1485_110:
	v_cndmask_b32_e64 v39, 0, 1, s[10:11]
	v_cndmask_b32_e64 v48, 0, 1, s[12:13]
	;; [unrolled: 1-line block ×3, first 2 shown]
	s_waitcnt lgkmcnt(0)
	v_or_b32_e32 v34, v38, v50
	s_and_b64 vcc, exec, s[16:17]
	s_cbranch_vccz .LBB1485_191
.LBB1485_111:
	v_cmp_gt_u32_e32 vcc, s54, v42
	s_mov_b64 s[10:11], 0
	s_mov_b64 s[6:7], 0
	s_and_saveexec_b64 s[12:13], vcc
	s_cbranch_execz .LBB1485_122
; %bb.112:
	s_and_b64 vcc, exec, s[4:5]
	s_mov_b64 s[14:15], 0
	s_cbranch_vccnz .LBB1485_121
; %bb.113:
	v_mul_lo_u32 v34, v17, s26
	v_mul_lo_u32 v35, v16, s27
	v_mad_u64_u32 v[32:33], s[6:7], v16, s26, 0
	v_add3_u32 v33, v33, v35, v34
	v_mul_lo_u32 v34, v29, s26
	v_mul_lo_u32 v35, v28, s27
	v_mad_u64_u32 v[36:37], s[6:7], v28, s26, 0
	v_add3_u32 v37, v37, v35, v34
	v_lshl_add_u64 v[34:35], v[32:33], 1, s[36:37]
	v_lshl_add_u64 v[32:33], v[36:37], 1, s[36:37]
	global_load_ushort v36, v[34:35], off
	global_load_ushort v37, v[32:33], off
	s_mov_b64 s[14:15], -1
	s_waitcnt vmcnt(0)
	v_cmp_eq_u16_e32 vcc, v36, v37
	s_and_saveexec_b64 s[6:7], vcc
	s_cbranch_execz .LBB1485_120
; %bb.114:
	s_add_u32 s14, s26, -1
	v_lshl_add_u64 v[32:33], v[32:33], 0, 2
	v_lshl_add_u64 v[34:35], v[34:35], 0, 2
	s_addc_u32 s15, s27, -1
	s_mov_b64 s[16:17], 0
	s_mov_b64 s[42:43], 0
                                        ; implicit-def: $sgpr40_sgpr41
	s_branch .LBB1485_117
.LBB1485_115:                           ;   in Loop: Header=BB1485_117 Depth=1
	global_load_ushort v36, v[34:35], off
	global_load_ushort v37, v[32:33], off
	s_add_u32 s42, s42, 1
	s_addc_u32 s43, s43, 0
	s_andn2_b64 s[40:41], s[40:41], exec
	v_lshl_add_u64 v[32:33], v[32:33], 0, 2
	v_lshl_add_u64 v[34:35], v[34:35], 0, 2
	s_waitcnt vmcnt(0)
	v_cmp_ne_u16_e32 vcc, v36, v37
	s_and_b64 s[44:45], vcc, exec
	s_or_b64 s[40:41], s[40:41], s[44:45]
.LBB1485_116:                           ;   in Loop: Header=BB1485_117 Depth=1
	s_and_b64 s[44:45], exec, s[40:41]
	s_or_b64 s[16:17], s[44:45], s[16:17]
	v_mov_b64_e32 v[36:37], s[42:43]
	s_andn2_b64 exec, exec, s[16:17]
	s_cbranch_execz .LBB1485_119
.LBB1485_117:                           ; =>This Inner Loop Header: Depth=1
	s_or_b64 s[40:41], s[40:41], exec
	s_cmp_eq_u64 s[14:15], s[42:43]
	s_cbranch_scc0 .LBB1485_115
; %bb.118:                              ;   in Loop: Header=BB1485_117 Depth=1
                                        ; implicit-def: $vgpr32_vgpr33
                                        ; implicit-def: $vgpr34_vgpr35
	s_mov_b64 s[42:43], s[26:27]
	s_branch .LBB1485_116
.LBB1485_119:
	s_or_b64 exec, exec, s[16:17]
	v_cmp_gt_i64_e32 vcc, s[26:27], v[36:37]
	s_orn2_b64 s[14:15], vcc, exec
.LBB1485_120:
	s_or_b64 exec, exec, s[6:7]
.LBB1485_121:
	s_and_b64 s[6:7], s[14:15], exec
.LBB1485_122:
	s_or_b64 exec, exec, s[12:13]
	v_cmp_gt_u32_e32 vcc, s54, v45
	s_and_saveexec_b64 s[12:13], vcc
	s_cbranch_execz .LBB1485_133
; %bb.123:
	s_and_b64 vcc, exec, s[4:5]
	s_mov_b64 s[14:15], 0
	s_cbranch_vccnz .LBB1485_132
; %bb.124:
	v_mul_lo_u32 v34, v15, s26
	v_mul_lo_u32 v35, v14, s27
	v_mad_u64_u32 v[32:33], s[10:11], v14, s26, 0
	v_add3_u32 v33, v33, v35, v34
	v_mul_lo_u32 v34, v17, s26
	v_mul_lo_u32 v35, v16, s27
	v_mad_u64_u32 v[36:37], s[10:11], v16, s26, 0
	v_add3_u32 v37, v37, v35, v34
	v_lshl_add_u64 v[34:35], v[32:33], 1, s[36:37]
	v_lshl_add_u64 v[32:33], v[36:37], 1, s[36:37]
	global_load_ushort v36, v[34:35], off
	global_load_ushort v37, v[32:33], off
	s_mov_b64 s[14:15], -1
	s_waitcnt vmcnt(0)
	v_cmp_eq_u16_e32 vcc, v36, v37
	s_and_saveexec_b64 s[10:11], vcc
	s_cbranch_execz .LBB1485_131
; %bb.125:
	s_add_u32 s14, s26, -1
	v_lshl_add_u64 v[32:33], v[32:33], 0, 2
	v_lshl_add_u64 v[34:35], v[34:35], 0, 2
	s_addc_u32 s15, s27, -1
	s_mov_b64 s[16:17], 0
	s_mov_b64 s[42:43], 0
                                        ; implicit-def: $sgpr40_sgpr41
	s_branch .LBB1485_128
.LBB1485_126:                           ;   in Loop: Header=BB1485_128 Depth=1
	global_load_ushort v36, v[34:35], off
	global_load_ushort v37, v[32:33], off
	s_add_u32 s42, s42, 1
	s_addc_u32 s43, s43, 0
	s_andn2_b64 s[40:41], s[40:41], exec
	v_lshl_add_u64 v[32:33], v[32:33], 0, 2
	v_lshl_add_u64 v[34:35], v[34:35], 0, 2
	s_waitcnt vmcnt(0)
	v_cmp_ne_u16_e32 vcc, v36, v37
	s_and_b64 s[44:45], vcc, exec
	s_or_b64 s[40:41], s[40:41], s[44:45]
.LBB1485_127:                           ;   in Loop: Header=BB1485_128 Depth=1
	s_and_b64 s[44:45], exec, s[40:41]
	s_or_b64 s[16:17], s[44:45], s[16:17]
	v_mov_b64_e32 v[36:37], s[42:43]
	s_andn2_b64 exec, exec, s[16:17]
	s_cbranch_execz .LBB1485_130
.LBB1485_128:                           ; =>This Inner Loop Header: Depth=1
	s_or_b64 s[40:41], s[40:41], exec
	s_cmp_eq_u64 s[14:15], s[42:43]
	s_cbranch_scc0 .LBB1485_126
; %bb.129:                              ;   in Loop: Header=BB1485_128 Depth=1
                                        ; implicit-def: $vgpr32_vgpr33
                                        ; implicit-def: $vgpr34_vgpr35
	s_mov_b64 s[42:43], s[26:27]
	s_branch .LBB1485_127
.LBB1485_130:
	s_or_b64 exec, exec, s[16:17]
	v_cmp_gt_i64_e32 vcc, s[26:27], v[36:37]
	s_orn2_b64 s[14:15], vcc, exec
.LBB1485_131:
	s_or_b64 exec, exec, s[10:11]
.LBB1485_132:
	s_and_b64 s[10:11], s[14:15], exec
.LBB1485_133:
	s_or_b64 exec, exec, s[12:13]
	v_cmp_gt_u32_e32 vcc, s54, v41
	s_mov_b64 s[14:15], 0
	s_mov_b64 s[12:13], 0
	s_and_saveexec_b64 s[16:17], vcc
	s_cbranch_execz .LBB1485_144
; %bb.134:
	s_and_b64 vcc, exec, s[4:5]
	s_mov_b64 s[40:41], 0
	s_cbranch_vccnz .LBB1485_143
; %bb.135:
	v_mul_lo_u32 v34, v21, s26
	v_mul_lo_u32 v35, v20, s27
	v_mad_u64_u32 v[32:33], s[12:13], v20, s26, 0
	v_add3_u32 v33, v33, v35, v34
	v_mul_lo_u32 v34, v15, s26
	v_mul_lo_u32 v35, v14, s27
	v_mad_u64_u32 v[36:37], s[12:13], v14, s26, 0
	v_add3_u32 v37, v37, v35, v34
	v_lshl_add_u64 v[34:35], v[32:33], 1, s[36:37]
	v_lshl_add_u64 v[32:33], v[36:37], 1, s[36:37]
	global_load_ushort v36, v[34:35], off
	global_load_ushort v37, v[32:33], off
	s_mov_b64 s[40:41], -1
	s_waitcnt vmcnt(0)
	v_cmp_eq_u16_e32 vcc, v36, v37
	s_and_saveexec_b64 s[12:13], vcc
	s_cbranch_execz .LBB1485_142
; %bb.136:
	s_add_u32 s40, s26, -1
	v_lshl_add_u64 v[32:33], v[32:33], 0, 2
	v_lshl_add_u64 v[34:35], v[34:35], 0, 2
	s_addc_u32 s41, s27, -1
	s_mov_b64 s[42:43], 0
	s_mov_b64 s[46:47], 0
                                        ; implicit-def: $sgpr44_sgpr45
	s_branch .LBB1485_139
.LBB1485_137:                           ;   in Loop: Header=BB1485_139 Depth=1
	global_load_ushort v36, v[34:35], off
	global_load_ushort v37, v[32:33], off
	s_add_u32 s46, s46, 1
	s_addc_u32 s47, s47, 0
	s_andn2_b64 s[44:45], s[44:45], exec
	v_lshl_add_u64 v[32:33], v[32:33], 0, 2
	v_lshl_add_u64 v[34:35], v[34:35], 0, 2
	s_waitcnt vmcnt(0)
	v_cmp_ne_u16_e32 vcc, v36, v37
	s_and_b64 s[48:49], vcc, exec
	s_or_b64 s[44:45], s[44:45], s[48:49]
.LBB1485_138:                           ;   in Loop: Header=BB1485_139 Depth=1
	s_and_b64 s[48:49], exec, s[44:45]
	s_or_b64 s[42:43], s[48:49], s[42:43]
	v_mov_b64_e32 v[36:37], s[46:47]
	s_andn2_b64 exec, exec, s[42:43]
	s_cbranch_execz .LBB1485_141
.LBB1485_139:                           ; =>This Inner Loop Header: Depth=1
	s_or_b64 s[44:45], s[44:45], exec
	s_cmp_eq_u64 s[40:41], s[46:47]
	s_cbranch_scc0 .LBB1485_137
; %bb.140:                              ;   in Loop: Header=BB1485_139 Depth=1
                                        ; implicit-def: $vgpr32_vgpr33
                                        ; implicit-def: $vgpr34_vgpr35
	s_mov_b64 s[46:47], s[26:27]
	s_branch .LBB1485_138
.LBB1485_141:
	s_or_b64 exec, exec, s[42:43]
	v_cmp_gt_i64_e32 vcc, s[26:27], v[36:37]
	s_orn2_b64 s[40:41], vcc, exec
.LBB1485_142:
	s_or_b64 exec, exec, s[12:13]
.LBB1485_143:
	s_and_b64 s[12:13], s[40:41], exec
.LBB1485_144:
	s_or_b64 exec, exec, s[16:17]
	v_cmp_gt_u32_e32 vcc, s54, v44
	s_and_saveexec_b64 s[16:17], vcc
	s_cbranch_execz .LBB1485_155
; %bb.145:
	s_and_b64 vcc, exec, s[4:5]
	s_mov_b64 s[40:41], 0
	s_cbranch_vccnz .LBB1485_154
; %bb.146:
	v_mul_lo_u32 v34, v19, s26
	v_mul_lo_u32 v35, v18, s27
	v_mad_u64_u32 v[32:33], s[14:15], v18, s26, 0
	v_add3_u32 v33, v33, v35, v34
	v_mul_lo_u32 v34, v21, s26
	v_mul_lo_u32 v35, v20, s27
	v_mad_u64_u32 v[36:37], s[14:15], v20, s26, 0
	v_add3_u32 v37, v37, v35, v34
	v_lshl_add_u64 v[34:35], v[32:33], 1, s[36:37]
	v_lshl_add_u64 v[32:33], v[36:37], 1, s[36:37]
	global_load_ushort v36, v[34:35], off
	global_load_ushort v37, v[32:33], off
	s_mov_b64 s[40:41], -1
	s_waitcnt vmcnt(0)
	v_cmp_eq_u16_e32 vcc, v36, v37
	s_and_saveexec_b64 s[14:15], vcc
	s_cbranch_execz .LBB1485_153
; %bb.147:
	s_add_u32 s40, s26, -1
	v_lshl_add_u64 v[32:33], v[32:33], 0, 2
	v_lshl_add_u64 v[34:35], v[34:35], 0, 2
	s_addc_u32 s41, s27, -1
	s_mov_b64 s[42:43], 0
	s_mov_b64 s[46:47], 0
                                        ; implicit-def: $sgpr44_sgpr45
	s_branch .LBB1485_150
.LBB1485_148:                           ;   in Loop: Header=BB1485_150 Depth=1
	global_load_ushort v36, v[34:35], off
	global_load_ushort v37, v[32:33], off
	s_add_u32 s46, s46, 1
	s_addc_u32 s47, s47, 0
	s_andn2_b64 s[44:45], s[44:45], exec
	v_lshl_add_u64 v[32:33], v[32:33], 0, 2
	v_lshl_add_u64 v[34:35], v[34:35], 0, 2
	s_waitcnt vmcnt(0)
	v_cmp_ne_u16_e32 vcc, v36, v37
	s_and_b64 s[48:49], vcc, exec
	s_or_b64 s[44:45], s[44:45], s[48:49]
.LBB1485_149:                           ;   in Loop: Header=BB1485_150 Depth=1
	s_and_b64 s[48:49], exec, s[44:45]
	s_or_b64 s[42:43], s[48:49], s[42:43]
	v_mov_b64_e32 v[36:37], s[46:47]
	s_andn2_b64 exec, exec, s[42:43]
	s_cbranch_execz .LBB1485_152
.LBB1485_150:                           ; =>This Inner Loop Header: Depth=1
	s_or_b64 s[44:45], s[44:45], exec
	s_cmp_eq_u64 s[40:41], s[46:47]
	s_cbranch_scc0 .LBB1485_148
; %bb.151:                              ;   in Loop: Header=BB1485_150 Depth=1
                                        ; implicit-def: $vgpr32_vgpr33
                                        ; implicit-def: $vgpr34_vgpr35
	s_mov_b64 s[46:47], s[26:27]
	s_branch .LBB1485_149
.LBB1485_152:
	s_or_b64 exec, exec, s[42:43]
	v_cmp_gt_i64_e32 vcc, s[26:27], v[36:37]
	s_orn2_b64 s[40:41], vcc, exec
.LBB1485_153:
	s_or_b64 exec, exec, s[14:15]
.LBB1485_154:
	s_and_b64 s[14:15], s[40:41], exec
.LBB1485_155:
	s_or_b64 exec, exec, s[16:17]
	v_cmp_gt_u32_e32 vcc, s54, v40
	s_mov_b64 s[16:17], 0
	s_mov_b64 s[40:41], 0
	s_and_saveexec_b64 s[42:43], vcc
	s_cbranch_execz .LBB1485_166
; %bb.156:
	s_and_b64 vcc, exec, s[4:5]
	s_mov_b64 s[44:45], 0
	s_cbranch_vccnz .LBB1485_165
; %bb.157:
	v_mul_lo_u32 v34, v25, s26
	v_mul_lo_u32 v35, v24, s27
	v_mad_u64_u32 v[32:33], s[40:41], v24, s26, 0
	v_add3_u32 v33, v33, v35, v34
	v_mul_lo_u32 v34, v19, s26
	v_mul_lo_u32 v35, v18, s27
	v_mad_u64_u32 v[36:37], s[40:41], v18, s26, 0
	v_add3_u32 v37, v37, v35, v34
	v_lshl_add_u64 v[34:35], v[32:33], 1, s[36:37]
	v_lshl_add_u64 v[32:33], v[36:37], 1, s[36:37]
	global_load_ushort v36, v[34:35], off
	global_load_ushort v37, v[32:33], off
	s_mov_b64 s[44:45], -1
	s_waitcnt vmcnt(0)
	v_cmp_eq_u16_e32 vcc, v36, v37
	s_and_saveexec_b64 s[40:41], vcc
	s_cbranch_execz .LBB1485_164
; %bb.158:
	s_add_u32 s44, s26, -1
	v_lshl_add_u64 v[32:33], v[32:33], 0, 2
	v_lshl_add_u64 v[34:35], v[34:35], 0, 2
	s_addc_u32 s45, s27, -1
	s_mov_b64 s[46:47], 0
	s_mov_b64 s[50:51], 0
                                        ; implicit-def: $sgpr48_sgpr49
	s_branch .LBB1485_161
.LBB1485_159:                           ;   in Loop: Header=BB1485_161 Depth=1
	global_load_ushort v36, v[34:35], off
	global_load_ushort v37, v[32:33], off
	s_add_u32 s50, s50, 1
	s_addc_u32 s51, s51, 0
	s_andn2_b64 s[48:49], s[48:49], exec
	v_lshl_add_u64 v[32:33], v[32:33], 0, 2
	v_lshl_add_u64 v[34:35], v[34:35], 0, 2
	s_waitcnt vmcnt(0)
	v_cmp_ne_u16_e32 vcc, v36, v37
	s_and_b64 s[52:53], vcc, exec
	s_or_b64 s[48:49], s[48:49], s[52:53]
.LBB1485_160:                           ;   in Loop: Header=BB1485_161 Depth=1
	s_and_b64 s[52:53], exec, s[48:49]
	s_or_b64 s[46:47], s[52:53], s[46:47]
	v_mov_b64_e32 v[36:37], s[50:51]
	s_andn2_b64 exec, exec, s[46:47]
	s_cbranch_execz .LBB1485_163
.LBB1485_161:                           ; =>This Inner Loop Header: Depth=1
	s_or_b64 s[48:49], s[48:49], exec
	s_cmp_eq_u64 s[44:45], s[50:51]
	s_cbranch_scc0 .LBB1485_159
; %bb.162:                              ;   in Loop: Header=BB1485_161 Depth=1
                                        ; implicit-def: $vgpr32_vgpr33
                                        ; implicit-def: $vgpr34_vgpr35
	s_mov_b64 s[50:51], s[26:27]
	s_branch .LBB1485_160
.LBB1485_163:
	s_or_b64 exec, exec, s[46:47]
	v_cmp_gt_i64_e32 vcc, s[26:27], v[36:37]
	s_orn2_b64 s[44:45], vcc, exec
.LBB1485_164:
	s_or_b64 exec, exec, s[40:41]
.LBB1485_165:
	s_and_b64 s[40:41], s[44:45], exec
.LBB1485_166:
	s_or_b64 exec, exec, s[42:43]
	v_cmp_gt_u32_e32 vcc, s54, v43
	s_and_saveexec_b64 s[42:43], vcc
	s_cbranch_execz .LBB1485_177
; %bb.167:
	s_and_b64 vcc, exec, s[4:5]
	s_mov_b64 s[44:45], 0
	s_cbranch_vccnz .LBB1485_176
; %bb.168:
	v_mul_lo_u32 v34, v23, s26
	v_mul_lo_u32 v35, v22, s27
	v_mad_u64_u32 v[32:33], s[16:17], v22, s26, 0
	v_add3_u32 v33, v33, v35, v34
	v_mul_lo_u32 v34, v25, s26
	v_mul_lo_u32 v35, v24, s27
	v_mad_u64_u32 v[36:37], s[16:17], v24, s26, 0
	v_add3_u32 v37, v37, v35, v34
	v_lshl_add_u64 v[34:35], v[32:33], 1, s[36:37]
	v_lshl_add_u64 v[32:33], v[36:37], 1, s[36:37]
	global_load_ushort v36, v[34:35], off
	global_load_ushort v37, v[32:33], off
	s_mov_b64 s[44:45], -1
	s_waitcnt vmcnt(0)
	v_cmp_eq_u16_e32 vcc, v36, v37
	s_and_saveexec_b64 s[16:17], vcc
	s_cbranch_execz .LBB1485_175
; %bb.169:
	s_add_u32 s44, s26, -1
	v_lshl_add_u64 v[32:33], v[32:33], 0, 2
	v_lshl_add_u64 v[34:35], v[34:35], 0, 2
	s_addc_u32 s45, s27, -1
	s_mov_b64 s[46:47], 0
	s_mov_b64 s[50:51], 0
                                        ; implicit-def: $sgpr48_sgpr49
	s_branch .LBB1485_172
.LBB1485_170:                           ;   in Loop: Header=BB1485_172 Depth=1
	global_load_ushort v36, v[34:35], off
	global_load_ushort v37, v[32:33], off
	s_add_u32 s50, s50, 1
	s_addc_u32 s51, s51, 0
	s_andn2_b64 s[48:49], s[48:49], exec
	v_lshl_add_u64 v[32:33], v[32:33], 0, 2
	v_lshl_add_u64 v[34:35], v[34:35], 0, 2
	s_waitcnt vmcnt(0)
	v_cmp_ne_u16_e32 vcc, v36, v37
	s_and_b64 s[52:53], vcc, exec
	s_or_b64 s[48:49], s[48:49], s[52:53]
.LBB1485_171:                           ;   in Loop: Header=BB1485_172 Depth=1
	s_and_b64 s[52:53], exec, s[48:49]
	s_or_b64 s[46:47], s[52:53], s[46:47]
	v_mov_b64_e32 v[36:37], s[50:51]
	s_andn2_b64 exec, exec, s[46:47]
	s_cbranch_execz .LBB1485_174
.LBB1485_172:                           ; =>This Inner Loop Header: Depth=1
	s_or_b64 s[48:49], s[48:49], exec
	s_cmp_eq_u64 s[44:45], s[50:51]
	s_cbranch_scc0 .LBB1485_170
; %bb.173:                              ;   in Loop: Header=BB1485_172 Depth=1
                                        ; implicit-def: $vgpr32_vgpr33
                                        ; implicit-def: $vgpr34_vgpr35
	s_mov_b64 s[50:51], s[26:27]
	s_branch .LBB1485_171
.LBB1485_174:
	s_or_b64 exec, exec, s[46:47]
	v_cmp_gt_i64_e32 vcc, s[26:27], v[36:37]
	s_orn2_b64 s[44:45], vcc, exec
.LBB1485_175:
	s_or_b64 exec, exec, s[16:17]
.LBB1485_176:
	s_and_b64 s[16:17], s[44:45], exec
.LBB1485_177:
	s_or_b64 exec, exec, s[42:43]
	s_waitcnt lgkmcnt(0)
	s_barrier
	s_and_saveexec_b64 s[42:43], s[2:3]
	s_cbranch_execz .LBB1485_179
; %bb.178:
	s_waitcnt vmcnt(0)
	v_add_u32_e32 v30, -8, v47
	ds_read_b64 v[30:31], v30
.LBB1485_179:
	s_or_b64 exec, exec, s[42:43]
	v_cndmask_b32_e64 v33, 0, 1, s[14:15]
	v_cndmask_b32_e64 v32, 0, 1, s[40:41]
	;; [unrolled: 1-line block ×3, first 2 shown]
	v_lshlrev_b16_e32 v33, 8, v33
	v_cmp_gt_u32_e32 vcc, s54, v1
	v_lshlrev_b16_e32 v36, 8, v34
	v_or_b32_sdwa v37, v32, v33 dst_sel:WORD_1 dst_unused:UNUSED_PAD src0_sel:DWORD src1_sel:DWORD
	s_mov_b64 s[14:15], 0
	s_and_saveexec_b64 s[16:17], vcc
	s_cbranch_execz .LBB1485_190
; %bb.180:
	s_and_b64 vcc, exec, s[4:5]
	s_cbranch_vccnz .LBB1485_189
; %bb.181:
	s_waitcnt vmcnt(0) lgkmcnt(0)
	v_mul_lo_u32 v32, v31, s26
	v_mul_lo_u32 v33, v30, s27
	v_mad_u64_u32 v[30:31], s[4:5], v30, s26, 0
	v_add3_u32 v31, v31, v33, v32
	v_mul_lo_u32 v32, v23, s26
	v_mul_lo_u32 v33, v22, s27
	v_mad_u64_u32 v[34:35], s[4:5], v22, s26, 0
	v_add3_u32 v35, v35, v33, v32
	v_lshl_add_u64 v[32:33], v[30:31], 1, s[36:37]
	v_lshl_add_u64 v[30:31], v[34:35], 1, s[36:37]
	global_load_ushort v34, v[32:33], off
	global_load_ushort v35, v[30:31], off
	s_mov_b64 s[14:15], -1
	s_waitcnt vmcnt(0)
	v_cmp_eq_u16_e32 vcc, v34, v35
	s_and_saveexec_b64 s[4:5], vcc
	s_cbranch_execz .LBB1485_188
; %bb.182:
	s_add_u32 s14, s26, -1
	v_lshl_add_u64 v[30:31], v[30:31], 0, 2
	v_lshl_add_u64 v[32:33], v[32:33], 0, 2
	s_addc_u32 s15, s27, -1
	s_mov_b64 s[40:41], 0
	s_mov_b64 s[44:45], 0
                                        ; implicit-def: $sgpr42_sgpr43
	s_branch .LBB1485_185
.LBB1485_183:                           ;   in Loop: Header=BB1485_185 Depth=1
	global_load_ushort v34, v[32:33], off
	global_load_ushort v35, v[30:31], off
	s_add_u32 s44, s44, 1
	s_addc_u32 s45, s45, 0
	s_andn2_b64 s[42:43], s[42:43], exec
	v_lshl_add_u64 v[30:31], v[30:31], 0, 2
	v_lshl_add_u64 v[32:33], v[32:33], 0, 2
	s_waitcnt vmcnt(0)
	v_cmp_ne_u16_e32 vcc, v34, v35
	s_and_b64 s[46:47], vcc, exec
	s_or_b64 s[42:43], s[42:43], s[46:47]
.LBB1485_184:                           ;   in Loop: Header=BB1485_185 Depth=1
	s_and_b64 s[46:47], exec, s[42:43]
	s_or_b64 s[40:41], s[46:47], s[40:41]
	v_mov_b64_e32 v[34:35], s[44:45]
	s_andn2_b64 exec, exec, s[40:41]
	s_cbranch_execz .LBB1485_187
.LBB1485_185:                           ; =>This Inner Loop Header: Depth=1
	s_or_b64 s[42:43], s[42:43], exec
	s_cmp_eq_u64 s[14:15], s[44:45]
	s_cbranch_scc0 .LBB1485_183
; %bb.186:                              ;   in Loop: Header=BB1485_185 Depth=1
                                        ; implicit-def: $vgpr30_vgpr31
                                        ; implicit-def: $vgpr32_vgpr33
	s_mov_b64 s[44:45], s[26:27]
	s_branch .LBB1485_184
.LBB1485_187:
	s_or_b64 exec, exec, s[40:41]
	v_cmp_gt_i64_e32 vcc, s[26:27], v[34:35]
	s_orn2_b64 s[14:15], vcc, exec
.LBB1485_188:
	s_or_b64 exec, exec, s[4:5]
.LBB1485_189:
	s_and_b64 s[14:15], s[14:15], exec
.LBB1485_190:
	s_or_b64 exec, exec, s[16:17]
	v_cndmask_b32_e64 v39, 0, 1, s[12:13]
	v_cndmask_b32_e64 v48, 0, 1, s[10:11]
	;; [unrolled: 1-line block ×3, first 2 shown]
	v_or_b32_e32 v34, v36, v37
.LBB1485_191:
	s_mov_b64 s[10:11], -1
	s_cbranch_execnz .LBB1485_50
.LBB1485_192:
	s_movk_i32 s4, 0xffd0
	v_mad_i32_i24 v38, v0, s4, v46
	s_mov_b64 s[12:13], 0
	v_cmp_gt_i64_e64 s[6:7], s[26:27], 0
	s_and_b64 vcc, exec, s[34:35]
	ds_write_b64 v38, v[28:29]
	s_cbranch_vccz .LBB1485_200
; %bb.193:
	v_mul_lo_u32 v32, v17, s26
	v_mul_lo_u32 v33, v16, s27
	s_waitcnt vmcnt(0) lgkmcnt(1)
	v_mad_u64_u32 v[30:31], s[4:5], v16, s26, 0
	v_add3_u32 v31, v31, v33, v32
	v_cndmask_b32_e64 v32, 0, 1, s[6:7]
	v_cmp_ne_u32_e64 s[4:5], 1, v32
	s_andn2_b64 vcc, exec, s[6:7]
	v_lshl_add_u64 v[30:31], v[30:31], 1, s[36:37]
	s_cbranch_vccnz .LBB1485_203
; %bb.194:
	v_mul_lo_u32 v34, v29, s26
	v_mul_lo_u32 v35, v28, s27
	v_mad_u64_u32 v[32:33], s[12:13], v28, s26, 0
	v_add3_u32 v33, v33, v35, v34
	v_lshl_add_u64 v[32:33], v[32:33], 1, s[36:37]
	global_load_ushort v34, v[30:31], off
	global_load_ushort v35, v[32:33], off
	s_mov_b64 s[12:13], -1
	s_waitcnt vmcnt(0)
	v_cmp_eq_u16_e32 vcc, v34, v35
	s_and_saveexec_b64 s[14:15], vcc
	s_cbranch_execz .LBB1485_202
; %bb.195:
	s_add_u32 s12, s26, -1
	v_lshl_add_u64 v[32:33], v[32:33], 0, 2
	v_lshl_add_u64 v[34:35], v[30:31], 0, 2
	s_addc_u32 s13, s27, -1
	s_mov_b64 s[16:17], 0
	s_mov_b64 s[42:43], 0
                                        ; implicit-def: $sgpr40_sgpr41
	s_branch .LBB1485_198
.LBB1485_196:                           ;   in Loop: Header=BB1485_198 Depth=1
	global_load_ushort v36, v[34:35], off
	global_load_ushort v37, v[32:33], off
	s_add_u32 s42, s42, 1
	s_addc_u32 s43, s43, 0
	s_andn2_b64 s[40:41], s[40:41], exec
	v_lshl_add_u64 v[32:33], v[32:33], 0, 2
	v_lshl_add_u64 v[34:35], v[34:35], 0, 2
	s_waitcnt vmcnt(0)
	v_cmp_ne_u16_e32 vcc, v36, v37
	s_and_b64 s[44:45], vcc, exec
	s_or_b64 s[40:41], s[40:41], s[44:45]
.LBB1485_197:                           ;   in Loop: Header=BB1485_198 Depth=1
	s_and_b64 s[44:45], exec, s[40:41]
	s_or_b64 s[16:17], s[44:45], s[16:17]
	v_mov_b64_e32 v[36:37], s[42:43]
	s_andn2_b64 exec, exec, s[16:17]
	s_cbranch_execz .LBB1485_201
.LBB1485_198:                           ; =>This Inner Loop Header: Depth=1
	s_or_b64 s[40:41], s[40:41], exec
	s_cmp_eq_u64 s[12:13], s[42:43]
	s_cbranch_scc0 .LBB1485_196
; %bb.199:                              ;   in Loop: Header=BB1485_198 Depth=1
                                        ; implicit-def: $vgpr32_vgpr33
                                        ; implicit-def: $vgpr34_vgpr35
	s_mov_b64 s[42:43], s[26:27]
	s_branch .LBB1485_197
.LBB1485_200:
                                        ; implicit-def: $sgpr14_sgpr15
                                        ; implicit-def: $vgpr49
                                        ; implicit-def: $vgpr48
                                        ; implicit-def: $vgpr39
                                        ; implicit-def: $vgpr34
                                        ; implicit-def: $vgpr30_vgpr31
	s_cbranch_execnz .LBB1485_260
	s_branch .LBB1485_340
.LBB1485_201:
	s_or_b64 exec, exec, s[16:17]
	v_cmp_gt_i64_e32 vcc, s[26:27], v[36:37]
	s_orn2_b64 s[12:13], vcc, exec
.LBB1485_202:
	s_or_b64 exec, exec, s[14:15]
.LBB1485_203:
	v_mul_lo_u32 v34, v15, s26
	v_mul_lo_u32 v35, v14, s27
	v_mad_u64_u32 v[32:33], s[14:15], v14, s26, 0
	v_add3_u32 v33, v33, v35, v34
	s_mov_b64 s[14:15], 0
	s_and_b64 vcc, exec, s[4:5]
	v_lshl_add_u64 v[32:33], v[32:33], 1, s[36:37]
	s_mov_b64 s[16:17], 0
	s_cbranch_vccnz .LBB1485_212
; %bb.204:
	global_load_ushort v34, v[32:33], off
	global_load_ushort v35, v[30:31], off
	s_mov_b64 s[16:17], -1
	s_waitcnt vmcnt(0)
	v_cmp_eq_u16_e32 vcc, v34, v35
	s_and_saveexec_b64 s[40:41], vcc
	s_cbranch_execz .LBB1485_211
; %bb.205:
	s_add_u32 s16, s26, -1
	v_lshl_add_u64 v[30:31], v[30:31], 0, 2
	v_lshl_add_u64 v[34:35], v[32:33], 0, 2
	s_addc_u32 s17, s27, -1
	s_mov_b64 s[42:43], 0
	s_mov_b64 s[46:47], 0
                                        ; implicit-def: $sgpr44_sgpr45
	s_branch .LBB1485_208
.LBB1485_206:                           ;   in Loop: Header=BB1485_208 Depth=1
	global_load_ushort v36, v[34:35], off
	global_load_ushort v37, v[30:31], off
	s_add_u32 s46, s46, 1
	s_addc_u32 s47, s47, 0
	s_andn2_b64 s[44:45], s[44:45], exec
	v_lshl_add_u64 v[30:31], v[30:31], 0, 2
	v_lshl_add_u64 v[34:35], v[34:35], 0, 2
	s_waitcnt vmcnt(0)
	v_cmp_ne_u16_e32 vcc, v36, v37
	s_and_b64 s[48:49], vcc, exec
	s_or_b64 s[44:45], s[44:45], s[48:49]
.LBB1485_207:                           ;   in Loop: Header=BB1485_208 Depth=1
	s_and_b64 s[48:49], exec, s[44:45]
	s_or_b64 s[42:43], s[48:49], s[42:43]
	v_mov_b64_e32 v[36:37], s[46:47]
	s_andn2_b64 exec, exec, s[42:43]
	s_cbranch_execz .LBB1485_210
.LBB1485_208:                           ; =>This Inner Loop Header: Depth=1
	s_or_b64 s[44:45], s[44:45], exec
	s_cmp_eq_u64 s[16:17], s[46:47]
	s_cbranch_scc0 .LBB1485_206
; %bb.209:                              ;   in Loop: Header=BB1485_208 Depth=1
                                        ; implicit-def: $vgpr30_vgpr31
                                        ; implicit-def: $vgpr34_vgpr35
	s_mov_b64 s[46:47], s[26:27]
	s_branch .LBB1485_207
.LBB1485_210:
	s_or_b64 exec, exec, s[42:43]
	v_cmp_gt_i64_e32 vcc, s[26:27], v[36:37]
	s_orn2_b64 s[16:17], vcc, exec
.LBB1485_211:
	s_or_b64 exec, exec, s[40:41]
.LBB1485_212:
	v_mul_lo_u32 v34, v21, s26
	v_mul_lo_u32 v35, v20, s27
	v_mad_u64_u32 v[30:31], s[40:41], v20, s26, 0
	v_add3_u32 v31, v31, v35, v34
	s_and_b64 vcc, exec, s[4:5]
	v_lshl_add_u64 v[30:31], v[30:31], 1, s[36:37]
	s_cbranch_vccnz .LBB1485_221
; %bb.213:
	global_load_ushort v34, v[30:31], off
	global_load_ushort v35, v[32:33], off
	s_mov_b64 s[14:15], -1
	s_waitcnt vmcnt(0)
	v_cmp_eq_u16_e32 vcc, v34, v35
	s_and_saveexec_b64 s[40:41], vcc
	s_cbranch_execz .LBB1485_220
; %bb.214:
	s_add_u32 s14, s26, -1
	v_lshl_add_u64 v[32:33], v[32:33], 0, 2
	v_lshl_add_u64 v[34:35], v[30:31], 0, 2
	s_addc_u32 s15, s27, -1
	s_mov_b64 s[42:43], 0
	s_mov_b64 s[46:47], 0
                                        ; implicit-def: $sgpr44_sgpr45
	s_branch .LBB1485_217
.LBB1485_215:                           ;   in Loop: Header=BB1485_217 Depth=1
	global_load_ushort v36, v[34:35], off
	global_load_ushort v37, v[32:33], off
	s_add_u32 s46, s46, 1
	s_addc_u32 s47, s47, 0
	s_andn2_b64 s[44:45], s[44:45], exec
	v_lshl_add_u64 v[32:33], v[32:33], 0, 2
	v_lshl_add_u64 v[34:35], v[34:35], 0, 2
	s_waitcnt vmcnt(0)
	v_cmp_ne_u16_e32 vcc, v36, v37
	s_and_b64 s[48:49], vcc, exec
	s_or_b64 s[44:45], s[44:45], s[48:49]
.LBB1485_216:                           ;   in Loop: Header=BB1485_217 Depth=1
	s_and_b64 s[48:49], exec, s[44:45]
	s_or_b64 s[42:43], s[48:49], s[42:43]
	v_mov_b64_e32 v[36:37], s[46:47]
	s_andn2_b64 exec, exec, s[42:43]
	s_cbranch_execz .LBB1485_219
.LBB1485_217:                           ; =>This Inner Loop Header: Depth=1
	s_or_b64 s[44:45], s[44:45], exec
	s_cmp_eq_u64 s[14:15], s[46:47]
	s_cbranch_scc0 .LBB1485_215
; %bb.218:                              ;   in Loop: Header=BB1485_217 Depth=1
                                        ; implicit-def: $vgpr32_vgpr33
                                        ; implicit-def: $vgpr34_vgpr35
	s_mov_b64 s[46:47], s[26:27]
	s_branch .LBB1485_216
.LBB1485_219:
	s_or_b64 exec, exec, s[42:43]
	v_cmp_gt_i64_e32 vcc, s[26:27], v[36:37]
	s_orn2_b64 s[14:15], vcc, exec
.LBB1485_220:
	s_or_b64 exec, exec, s[40:41]
.LBB1485_221:
	v_mul_lo_u32 v34, v19, s26
	v_mul_lo_u32 v35, v18, s27
	v_mad_u64_u32 v[32:33], s[40:41], v18, s26, 0
	v_add3_u32 v33, v33, v35, v34
	s_mov_b64 s[40:41], 0
	s_and_b64 vcc, exec, s[4:5]
	v_lshl_add_u64 v[32:33], v[32:33], 1, s[36:37]
	s_mov_b64 s[42:43], 0
	s_cbranch_vccnz .LBB1485_230
; %bb.222:
	global_load_ushort v34, v[32:33], off
	global_load_ushort v35, v[30:31], off
	s_mov_b64 s[42:43], -1
	s_waitcnt vmcnt(0)
	v_cmp_eq_u16_e32 vcc, v34, v35
	s_and_saveexec_b64 s[44:45], vcc
	s_cbranch_execz .LBB1485_229
; %bb.223:
	s_add_u32 s42, s26, -1
	v_lshl_add_u64 v[30:31], v[30:31], 0, 2
	v_lshl_add_u64 v[34:35], v[32:33], 0, 2
	s_addc_u32 s43, s27, -1
	s_mov_b64 s[46:47], 0
	s_mov_b64 s[50:51], 0
                                        ; implicit-def: $sgpr48_sgpr49
	s_branch .LBB1485_226
.LBB1485_224:                           ;   in Loop: Header=BB1485_226 Depth=1
	global_load_ushort v36, v[34:35], off
	global_load_ushort v37, v[30:31], off
	s_add_u32 s50, s50, 1
	s_addc_u32 s51, s51, 0
	s_andn2_b64 s[48:49], s[48:49], exec
	v_lshl_add_u64 v[30:31], v[30:31], 0, 2
	v_lshl_add_u64 v[34:35], v[34:35], 0, 2
	s_waitcnt vmcnt(0)
	v_cmp_ne_u16_e32 vcc, v36, v37
	s_and_b64 s[52:53], vcc, exec
	s_or_b64 s[48:49], s[48:49], s[52:53]
.LBB1485_225:                           ;   in Loop: Header=BB1485_226 Depth=1
	s_and_b64 s[52:53], exec, s[48:49]
	s_or_b64 s[46:47], s[52:53], s[46:47]
	v_mov_b64_e32 v[36:37], s[50:51]
	s_andn2_b64 exec, exec, s[46:47]
	s_cbranch_execz .LBB1485_228
.LBB1485_226:                           ; =>This Inner Loop Header: Depth=1
	s_or_b64 s[48:49], s[48:49], exec
	s_cmp_eq_u64 s[42:43], s[50:51]
	s_cbranch_scc0 .LBB1485_224
; %bb.227:                              ;   in Loop: Header=BB1485_226 Depth=1
                                        ; implicit-def: $vgpr30_vgpr31
                                        ; implicit-def: $vgpr34_vgpr35
	s_mov_b64 s[50:51], s[26:27]
	s_branch .LBB1485_225
.LBB1485_228:
	s_or_b64 exec, exec, s[46:47]
	v_cmp_gt_i64_e32 vcc, s[26:27], v[36:37]
	s_orn2_b64 s[42:43], vcc, exec
.LBB1485_229:
	s_or_b64 exec, exec, s[44:45]
.LBB1485_230:
	v_mul_lo_u32 v34, v25, s26
	v_mul_lo_u32 v35, v24, s27
	v_mad_u64_u32 v[30:31], s[44:45], v24, s26, 0
	v_add3_u32 v31, v31, v35, v34
	s_and_b64 vcc, exec, s[4:5]
	v_lshl_add_u64 v[30:31], v[30:31], 1, s[36:37]
	s_cbranch_vccnz .LBB1485_239
; %bb.231:
	global_load_ushort v34, v[30:31], off
	global_load_ushort v35, v[32:33], off
	s_mov_b64 s[40:41], -1
	s_waitcnt vmcnt(0)
	v_cmp_eq_u16_e32 vcc, v34, v35
	s_and_saveexec_b64 s[44:45], vcc
	s_cbranch_execz .LBB1485_238
; %bb.232:
	s_add_u32 s40, s26, -1
	v_lshl_add_u64 v[32:33], v[32:33], 0, 2
	v_lshl_add_u64 v[34:35], v[30:31], 0, 2
	s_addc_u32 s41, s27, -1
	s_mov_b64 s[46:47], 0
	s_mov_b64 s[50:51], 0
                                        ; implicit-def: $sgpr48_sgpr49
	s_branch .LBB1485_235
.LBB1485_233:                           ;   in Loop: Header=BB1485_235 Depth=1
	global_load_ushort v36, v[34:35], off
	global_load_ushort v37, v[32:33], off
	s_add_u32 s50, s50, 1
	s_addc_u32 s51, s51, 0
	s_andn2_b64 s[48:49], s[48:49], exec
	v_lshl_add_u64 v[32:33], v[32:33], 0, 2
	v_lshl_add_u64 v[34:35], v[34:35], 0, 2
	s_waitcnt vmcnt(0)
	v_cmp_ne_u16_e32 vcc, v36, v37
	s_and_b64 s[52:53], vcc, exec
	s_or_b64 s[48:49], s[48:49], s[52:53]
.LBB1485_234:                           ;   in Loop: Header=BB1485_235 Depth=1
	s_and_b64 s[52:53], exec, s[48:49]
	s_or_b64 s[46:47], s[52:53], s[46:47]
	v_mov_b64_e32 v[36:37], s[50:51]
	s_andn2_b64 exec, exec, s[46:47]
	s_cbranch_execz .LBB1485_237
.LBB1485_235:                           ; =>This Inner Loop Header: Depth=1
	s_or_b64 s[48:49], s[48:49], exec
	s_cmp_eq_u64 s[40:41], s[50:51]
	s_cbranch_scc0 .LBB1485_233
; %bb.236:                              ;   in Loop: Header=BB1485_235 Depth=1
                                        ; implicit-def: $vgpr32_vgpr33
                                        ; implicit-def: $vgpr34_vgpr35
	s_mov_b64 s[50:51], s[26:27]
	s_branch .LBB1485_234
.LBB1485_237:
	s_or_b64 exec, exec, s[46:47]
	v_cmp_gt_i64_e32 vcc, s[26:27], v[36:37]
	s_orn2_b64 s[40:41], vcc, exec
.LBB1485_238:
	s_or_b64 exec, exec, s[44:45]
.LBB1485_239:
	v_mul_lo_u32 v34, v23, s26
	v_mul_lo_u32 v35, v22, s27
	v_mad_u64_u32 v[32:33], s[44:45], v22, s26, 0
	v_add3_u32 v33, v33, v35, v34
	s_and_b64 vcc, exec, s[4:5]
	s_mov_b64 s[46:47], 0
	s_cbranch_vccnz .LBB1485_248
; %bb.240:
	v_lshl_add_u64 v[34:35], v[32:33], 1, s[36:37]
	global_load_ushort v36, v[34:35], off
	global_load_ushort v37, v[30:31], off
	s_mov_b64 s[46:47], -1
	s_waitcnt vmcnt(0)
	v_cmp_eq_u16_e32 vcc, v36, v37
	s_and_saveexec_b64 s[44:45], vcc
	s_cbranch_execz .LBB1485_247
; %bb.241:
	s_add_u32 s46, s26, -1
	v_lshl_add_u64 v[30:31], v[30:31], 0, 2
	v_lshl_add_u64 v[34:35], v[34:35], 0, 2
	s_addc_u32 s47, s27, -1
	s_mov_b64 s[48:49], 0
	s_mov_b64 s[52:53], 0
                                        ; implicit-def: $sgpr50_sgpr51
	s_branch .LBB1485_244
.LBB1485_242:                           ;   in Loop: Header=BB1485_244 Depth=1
	global_load_ushort v36, v[34:35], off
	global_load_ushort v37, v[30:31], off
	s_add_u32 s52, s52, 1
	s_addc_u32 s53, s53, 0
	s_andn2_b64 s[50:51], s[50:51], exec
	v_lshl_add_u64 v[30:31], v[30:31], 0, 2
	v_lshl_add_u64 v[34:35], v[34:35], 0, 2
	s_waitcnt vmcnt(0)
	v_cmp_ne_u16_e32 vcc, v36, v37
	s_and_b64 s[56:57], vcc, exec
	s_or_b64 s[50:51], s[50:51], s[56:57]
.LBB1485_243:                           ;   in Loop: Header=BB1485_244 Depth=1
	s_and_b64 s[56:57], exec, s[50:51]
	s_or_b64 s[48:49], s[56:57], s[48:49]
	v_mov_b64_e32 v[36:37], s[52:53]
	s_andn2_b64 exec, exec, s[48:49]
	s_cbranch_execz .LBB1485_246
.LBB1485_244:                           ; =>This Inner Loop Header: Depth=1
	s_or_b64 s[50:51], s[50:51], exec
	s_cmp_eq_u64 s[46:47], s[52:53]
	s_cbranch_scc0 .LBB1485_242
; %bb.245:                              ;   in Loop: Header=BB1485_244 Depth=1
                                        ; implicit-def: $vgpr30_vgpr31
                                        ; implicit-def: $vgpr34_vgpr35
	s_mov_b64 s[52:53], s[26:27]
	s_branch .LBB1485_243
.LBB1485_246:
	s_or_b64 exec, exec, s[48:49]
	v_cmp_gt_i64_e32 vcc, s[26:27], v[36:37]
	s_orn2_b64 s[46:47], vcc, exec
.LBB1485_247:
	s_or_b64 exec, exec, s[44:45]
.LBB1485_248:
	v_cndmask_b32_e64 v31, 0, 1, s[42:43]
	v_cndmask_b32_e64 v30, 0, 1, s[40:41]
	;; [unrolled: 1-line block ×3, first 2 shown]
	v_lshlrev_b16_e32 v31, 8, v31
	v_cndmask_b32_e64 v39, 0, 1, s[14:15]
	v_cndmask_b32_e64 v34, 0, 1, s[46:47]
	v_or_b32_sdwa v30, v30, v31 dst_sel:WORD_1 dst_unused:UNUSED_PAD src0_sel:DWORD src1_sel:DWORD
	v_lshlrev_b16_e32 v31, 8, v48
	v_lshlrev_b16_e32 v34, 8, v34
	v_or_b32_e32 v31, v39, v31
	v_or_b32_e32 v34, 1, v34
	v_and_b32_e32 v31, 0xffff, v31
	v_cndmask_b32_e64 v49, 0, 1, s[12:13]
	v_or_b32_sdwa v30, v34, v30 dst_sel:DWORD dst_unused:UNUSED_PAD src0_sel:WORD_0 src1_sel:DWORD
	v_lshl_or_b32 v31, v49, 16, v31
	s_waitcnt lgkmcnt(0)
	s_barrier
	s_waitcnt lgkmcnt(0)
                                        ; implicit-def: $sgpr14_sgpr15
                                        ; implicit-def: $vgpr34
	s_and_saveexec_b64 s[12:13], s[2:3]
	s_xor_b64 s[12:13], exec, s[12:13]
	s_cbranch_execz .LBB1485_259
; %bb.249:
	s_mov_b32 s44, 0x3020104
	s_and_b64 vcc, exec, s[4:5]
	s_mov_b64 s[14:15], 0
	s_cbranch_vccnz .LBB1485_258
; %bb.250:
	v_add_u32_e32 v31, -8, v38
	ds_read_b64 v[34:35], v31
	v_lshl_add_u64 v[32:33], v[32:33], 1, s[36:37]
	s_mov_b64 s[14:15], -1
	s_waitcnt lgkmcnt(0)
	v_mul_lo_u32 v31, v35, s26
	v_mul_lo_u32 v36, v34, s27
	v_mad_u64_u32 v[34:35], s[4:5], v34, s26, 0
	v_add3_u32 v35, v35, v36, v31
	v_lshl_add_u64 v[34:35], v[34:35], 1, s[36:37]
	global_load_ushort v31, v[34:35], off
	global_load_ushort v36, v[32:33], off
	s_waitcnt vmcnt(0)
	v_cmp_eq_u16_e32 vcc, v31, v36
	s_and_saveexec_b64 s[4:5], vcc
	s_cbranch_execz .LBB1485_257
; %bb.251:
	s_add_u32 s14, s26, -1
	v_lshl_add_u64 v[32:33], v[32:33], 0, 2
	v_lshl_add_u64 v[34:35], v[34:35], 0, 2
	s_addc_u32 s15, s27, -1
	s_mov_b64 s[16:17], 0
	s_mov_b64 s[42:43], 0
                                        ; implicit-def: $sgpr40_sgpr41
	s_branch .LBB1485_254
.LBB1485_252:                           ;   in Loop: Header=BB1485_254 Depth=1
	global_load_ushort v31, v[34:35], off
	global_load_ushort v36, v[32:33], off
	s_add_u32 s42, s42, 1
	s_addc_u32 s43, s43, 0
	s_andn2_b64 s[40:41], s[40:41], exec
	v_lshl_add_u64 v[32:33], v[32:33], 0, 2
	v_lshl_add_u64 v[34:35], v[34:35], 0, 2
	s_waitcnt vmcnt(0)
	v_cmp_ne_u16_e32 vcc, v31, v36
	s_and_b64 s[46:47], vcc, exec
	s_or_b64 s[40:41], s[40:41], s[46:47]
.LBB1485_253:                           ;   in Loop: Header=BB1485_254 Depth=1
	s_and_b64 s[46:47], exec, s[40:41]
	s_or_b64 s[16:17], s[46:47], s[16:17]
	v_mov_b64_e32 v[36:37], s[42:43]
	s_andn2_b64 exec, exec, s[16:17]
	s_cbranch_execz .LBB1485_256
.LBB1485_254:                           ; =>This Inner Loop Header: Depth=1
	s_or_b64 s[40:41], s[40:41], exec
	s_cmp_eq_u64 s[14:15], s[42:43]
	s_cbranch_scc0 .LBB1485_252
; %bb.255:                              ;   in Loop: Header=BB1485_254 Depth=1
                                        ; implicit-def: $vgpr32_vgpr33
                                        ; implicit-def: $vgpr34_vgpr35
	s_mov_b64 s[42:43], s[26:27]
	s_branch .LBB1485_253
.LBB1485_256:
	s_or_b64 exec, exec, s[16:17]
	v_cmp_gt_i64_e32 vcc, s[26:27], v[36:37]
	s_orn2_b64 s[14:15], vcc, exec
.LBB1485_257:
	s_or_b64 exec, exec, s[4:5]
.LBB1485_258:
	v_perm_b32 v34, v30, v30, s44
	s_and_b64 s[14:15], s[14:15], exec
	s_or_b64 s[10:11], s[10:11], exec
                                        ; implicit-def: $vgpr30_vgpr31
.LBB1485_259:
	s_or_b64 exec, exec, s[12:13]
	s_branch .LBB1485_340
.LBB1485_260:
	v_cmp_gt_u32_e32 vcc, s54, v42
	s_mov_b64 s[12:13], 0
	s_mov_b64 s[4:5], 0
	s_and_saveexec_b64 s[14:15], vcc
	s_cbranch_execz .LBB1485_271
; %bb.261:
	s_andn2_b64 vcc, exec, s[6:7]
	s_mov_b64 s[16:17], 0
	s_cbranch_vccnz .LBB1485_270
; %bb.262:
	v_mul_lo_u32 v32, v17, s26
	v_mul_lo_u32 v33, v16, s27
	s_waitcnt vmcnt(0) lgkmcnt(1)
	v_mad_u64_u32 v[30:31], s[4:5], v16, s26, 0
	v_add3_u32 v31, v31, v33, v32
	v_mul_lo_u32 v32, v29, s26
	v_mul_lo_u32 v33, v28, s27
	v_mad_u64_u32 v[34:35], s[4:5], v28, s26, 0
	v_add3_u32 v35, v35, v33, v32
	v_lshl_add_u64 v[32:33], v[30:31], 1, s[36:37]
	v_lshl_add_u64 v[30:31], v[34:35], 1, s[36:37]
	global_load_ushort v34, v[32:33], off
	global_load_ushort v35, v[30:31], off
	s_mov_b64 s[16:17], -1
	s_waitcnt vmcnt(0)
	v_cmp_eq_u16_e32 vcc, v34, v35
	s_and_saveexec_b64 s[4:5], vcc
	s_cbranch_execz .LBB1485_269
; %bb.263:
	s_add_u32 s16, s26, -1
	v_lshl_add_u64 v[30:31], v[30:31], 0, 2
	v_lshl_add_u64 v[32:33], v[32:33], 0, 2
	s_addc_u32 s17, s27, -1
	s_mov_b64 s[40:41], 0
	s_mov_b64 s[44:45], 0
                                        ; implicit-def: $sgpr42_sgpr43
	s_branch .LBB1485_266
.LBB1485_264:                           ;   in Loop: Header=BB1485_266 Depth=1
	global_load_ushort v34, v[32:33], off
	global_load_ushort v35, v[30:31], off
	s_add_u32 s44, s44, 1
	s_addc_u32 s45, s45, 0
	s_andn2_b64 s[42:43], s[42:43], exec
	v_lshl_add_u64 v[30:31], v[30:31], 0, 2
	v_lshl_add_u64 v[32:33], v[32:33], 0, 2
	s_waitcnt vmcnt(0)
	v_cmp_ne_u16_e32 vcc, v34, v35
	s_and_b64 s[46:47], vcc, exec
	s_or_b64 s[42:43], s[42:43], s[46:47]
.LBB1485_265:                           ;   in Loop: Header=BB1485_266 Depth=1
	s_and_b64 s[46:47], exec, s[42:43]
	s_or_b64 s[40:41], s[46:47], s[40:41]
	v_mov_b64_e32 v[34:35], s[44:45]
	s_andn2_b64 exec, exec, s[40:41]
	s_cbranch_execz .LBB1485_268
.LBB1485_266:                           ; =>This Inner Loop Header: Depth=1
	s_or_b64 s[42:43], s[42:43], exec
	s_cmp_eq_u64 s[16:17], s[44:45]
	s_cbranch_scc0 .LBB1485_264
; %bb.267:                              ;   in Loop: Header=BB1485_266 Depth=1
                                        ; implicit-def: $vgpr30_vgpr31
                                        ; implicit-def: $vgpr32_vgpr33
	s_mov_b64 s[44:45], s[26:27]
	s_branch .LBB1485_265
.LBB1485_268:
	s_or_b64 exec, exec, s[40:41]
	v_cmp_gt_i64_e32 vcc, s[26:27], v[34:35]
	s_orn2_b64 s[16:17], vcc, exec
.LBB1485_269:
	s_or_b64 exec, exec, s[4:5]
.LBB1485_270:
	s_and_b64 s[4:5], s[16:17], exec
.LBB1485_271:
	s_or_b64 exec, exec, s[14:15]
	v_cmp_gt_u32_e32 vcc, s54, v45
	s_and_saveexec_b64 s[14:15], vcc
	s_cbranch_execz .LBB1485_282
; %bb.272:
	s_andn2_b64 vcc, exec, s[6:7]
	s_mov_b64 s[16:17], 0
	s_cbranch_vccnz .LBB1485_281
; %bb.273:
	v_mul_lo_u32 v32, v15, s26
	v_mul_lo_u32 v33, v14, s27
	s_waitcnt vmcnt(0) lgkmcnt(1)
	v_mad_u64_u32 v[30:31], s[12:13], v14, s26, 0
	v_add3_u32 v31, v31, v33, v32
	v_mul_lo_u32 v32, v17, s26
	v_mul_lo_u32 v33, v16, s27
	v_mad_u64_u32 v[34:35], s[12:13], v16, s26, 0
	v_add3_u32 v35, v35, v33, v32
	v_lshl_add_u64 v[32:33], v[30:31], 1, s[36:37]
	v_lshl_add_u64 v[30:31], v[34:35], 1, s[36:37]
	global_load_ushort v34, v[32:33], off
	global_load_ushort v35, v[30:31], off
	s_mov_b64 s[16:17], -1
	s_waitcnt vmcnt(0)
	v_cmp_eq_u16_e32 vcc, v34, v35
	s_and_saveexec_b64 s[12:13], vcc
	s_cbranch_execz .LBB1485_280
; %bb.274:
	s_add_u32 s16, s26, -1
	v_lshl_add_u64 v[30:31], v[30:31], 0, 2
	v_lshl_add_u64 v[32:33], v[32:33], 0, 2
	s_addc_u32 s17, s27, -1
	s_mov_b64 s[40:41], 0
	s_mov_b64 s[44:45], 0
                                        ; implicit-def: $sgpr42_sgpr43
	s_branch .LBB1485_277
.LBB1485_275:                           ;   in Loop: Header=BB1485_277 Depth=1
	global_load_ushort v34, v[32:33], off
	global_load_ushort v35, v[30:31], off
	s_add_u32 s44, s44, 1
	s_addc_u32 s45, s45, 0
	s_andn2_b64 s[42:43], s[42:43], exec
	v_lshl_add_u64 v[30:31], v[30:31], 0, 2
	v_lshl_add_u64 v[32:33], v[32:33], 0, 2
	s_waitcnt vmcnt(0)
	v_cmp_ne_u16_e32 vcc, v34, v35
	s_and_b64 s[46:47], vcc, exec
	s_or_b64 s[42:43], s[42:43], s[46:47]
.LBB1485_276:                           ;   in Loop: Header=BB1485_277 Depth=1
	s_and_b64 s[46:47], exec, s[42:43]
	s_or_b64 s[40:41], s[46:47], s[40:41]
	v_mov_b64_e32 v[34:35], s[44:45]
	s_andn2_b64 exec, exec, s[40:41]
	s_cbranch_execz .LBB1485_279
.LBB1485_277:                           ; =>This Inner Loop Header: Depth=1
	s_or_b64 s[42:43], s[42:43], exec
	s_cmp_eq_u64 s[16:17], s[44:45]
	s_cbranch_scc0 .LBB1485_275
; %bb.278:                              ;   in Loop: Header=BB1485_277 Depth=1
                                        ; implicit-def: $vgpr30_vgpr31
                                        ; implicit-def: $vgpr32_vgpr33
	s_mov_b64 s[44:45], s[26:27]
	s_branch .LBB1485_276
.LBB1485_279:
	s_or_b64 exec, exec, s[40:41]
	v_cmp_gt_i64_e32 vcc, s[26:27], v[34:35]
	s_orn2_b64 s[16:17], vcc, exec
.LBB1485_280:
	s_or_b64 exec, exec, s[12:13]
.LBB1485_281:
	s_and_b64 s[12:13], s[16:17], exec
.LBB1485_282:
	s_or_b64 exec, exec, s[14:15]
	v_cmp_gt_u32_e32 vcc, s54, v41
	s_mov_b64 s[16:17], 0
	s_mov_b64 s[14:15], 0
	s_and_saveexec_b64 s[40:41], vcc
	s_cbranch_execz .LBB1485_293
; %bb.283:
	s_andn2_b64 vcc, exec, s[6:7]
	s_mov_b64 s[42:43], 0
	s_cbranch_vccnz .LBB1485_292
; %bb.284:
	v_mul_lo_u32 v32, v21, s26
	v_mul_lo_u32 v33, v20, s27
	s_waitcnt vmcnt(0) lgkmcnt(1)
	v_mad_u64_u32 v[30:31], s[14:15], v20, s26, 0
	v_add3_u32 v31, v31, v33, v32
	v_mul_lo_u32 v32, v15, s26
	v_mul_lo_u32 v33, v14, s27
	v_mad_u64_u32 v[34:35], s[14:15], v14, s26, 0
	v_add3_u32 v35, v35, v33, v32
	v_lshl_add_u64 v[32:33], v[30:31], 1, s[36:37]
	v_lshl_add_u64 v[30:31], v[34:35], 1, s[36:37]
	global_load_ushort v34, v[32:33], off
	global_load_ushort v35, v[30:31], off
	s_mov_b64 s[42:43], -1
	s_waitcnt vmcnt(0)
	v_cmp_eq_u16_e32 vcc, v34, v35
	s_and_saveexec_b64 s[14:15], vcc
	s_cbranch_execz .LBB1485_291
; %bb.285:
	s_add_u32 s42, s26, -1
	v_lshl_add_u64 v[30:31], v[30:31], 0, 2
	v_lshl_add_u64 v[32:33], v[32:33], 0, 2
	s_addc_u32 s43, s27, -1
	s_mov_b64 s[44:45], 0
	s_mov_b64 s[48:49], 0
                                        ; implicit-def: $sgpr46_sgpr47
	s_branch .LBB1485_288
.LBB1485_286:                           ;   in Loop: Header=BB1485_288 Depth=1
	global_load_ushort v34, v[32:33], off
	global_load_ushort v35, v[30:31], off
	s_add_u32 s48, s48, 1
	s_addc_u32 s49, s49, 0
	s_andn2_b64 s[46:47], s[46:47], exec
	v_lshl_add_u64 v[30:31], v[30:31], 0, 2
	v_lshl_add_u64 v[32:33], v[32:33], 0, 2
	s_waitcnt vmcnt(0)
	v_cmp_ne_u16_e32 vcc, v34, v35
	s_and_b64 s[50:51], vcc, exec
	s_or_b64 s[46:47], s[46:47], s[50:51]
.LBB1485_287:                           ;   in Loop: Header=BB1485_288 Depth=1
	s_and_b64 s[50:51], exec, s[46:47]
	s_or_b64 s[44:45], s[50:51], s[44:45]
	v_mov_b64_e32 v[34:35], s[48:49]
	s_andn2_b64 exec, exec, s[44:45]
	s_cbranch_execz .LBB1485_290
.LBB1485_288:                           ; =>This Inner Loop Header: Depth=1
	s_or_b64 s[46:47], s[46:47], exec
	s_cmp_eq_u64 s[42:43], s[48:49]
	s_cbranch_scc0 .LBB1485_286
; %bb.289:                              ;   in Loop: Header=BB1485_288 Depth=1
                                        ; implicit-def: $vgpr30_vgpr31
                                        ; implicit-def: $vgpr32_vgpr33
	s_mov_b64 s[48:49], s[26:27]
	s_branch .LBB1485_287
.LBB1485_290:
	s_or_b64 exec, exec, s[44:45]
	v_cmp_gt_i64_e32 vcc, s[26:27], v[34:35]
	s_orn2_b64 s[42:43], vcc, exec
.LBB1485_291:
	s_or_b64 exec, exec, s[14:15]
.LBB1485_292:
	s_and_b64 s[14:15], s[42:43], exec
.LBB1485_293:
	s_or_b64 exec, exec, s[40:41]
	v_cmp_gt_u32_e32 vcc, s54, v44
	s_and_saveexec_b64 s[40:41], vcc
	s_cbranch_execz .LBB1485_304
; %bb.294:
	s_andn2_b64 vcc, exec, s[6:7]
	s_mov_b64 s[42:43], 0
	s_cbranch_vccnz .LBB1485_303
; %bb.295:
	v_mul_lo_u32 v32, v19, s26
	v_mul_lo_u32 v33, v18, s27
	s_waitcnt vmcnt(0) lgkmcnt(1)
	v_mad_u64_u32 v[30:31], s[16:17], v18, s26, 0
	v_add3_u32 v31, v31, v33, v32
	v_mul_lo_u32 v32, v21, s26
	v_mul_lo_u32 v33, v20, s27
	v_mad_u64_u32 v[34:35], s[16:17], v20, s26, 0
	v_add3_u32 v35, v35, v33, v32
	v_lshl_add_u64 v[32:33], v[30:31], 1, s[36:37]
	v_lshl_add_u64 v[30:31], v[34:35], 1, s[36:37]
	global_load_ushort v34, v[32:33], off
	global_load_ushort v35, v[30:31], off
	s_mov_b64 s[42:43], -1
	s_waitcnt vmcnt(0)
	v_cmp_eq_u16_e32 vcc, v34, v35
	s_and_saveexec_b64 s[16:17], vcc
	s_cbranch_execz .LBB1485_302
; %bb.296:
	s_add_u32 s42, s26, -1
	v_lshl_add_u64 v[30:31], v[30:31], 0, 2
	v_lshl_add_u64 v[32:33], v[32:33], 0, 2
	s_addc_u32 s43, s27, -1
	s_mov_b64 s[44:45], 0
	s_mov_b64 s[48:49], 0
                                        ; implicit-def: $sgpr46_sgpr47
	s_branch .LBB1485_299
.LBB1485_297:                           ;   in Loop: Header=BB1485_299 Depth=1
	global_load_ushort v34, v[32:33], off
	global_load_ushort v35, v[30:31], off
	s_add_u32 s48, s48, 1
	s_addc_u32 s49, s49, 0
	s_andn2_b64 s[46:47], s[46:47], exec
	v_lshl_add_u64 v[30:31], v[30:31], 0, 2
	v_lshl_add_u64 v[32:33], v[32:33], 0, 2
	s_waitcnt vmcnt(0)
	v_cmp_ne_u16_e32 vcc, v34, v35
	s_and_b64 s[50:51], vcc, exec
	s_or_b64 s[46:47], s[46:47], s[50:51]
.LBB1485_298:                           ;   in Loop: Header=BB1485_299 Depth=1
	s_and_b64 s[50:51], exec, s[46:47]
	s_or_b64 s[44:45], s[50:51], s[44:45]
	v_mov_b64_e32 v[34:35], s[48:49]
	s_andn2_b64 exec, exec, s[44:45]
	s_cbranch_execz .LBB1485_301
.LBB1485_299:                           ; =>This Inner Loop Header: Depth=1
	s_or_b64 s[46:47], s[46:47], exec
	s_cmp_eq_u64 s[42:43], s[48:49]
	s_cbranch_scc0 .LBB1485_297
; %bb.300:                              ;   in Loop: Header=BB1485_299 Depth=1
                                        ; implicit-def: $vgpr30_vgpr31
                                        ; implicit-def: $vgpr32_vgpr33
	s_mov_b64 s[48:49], s[26:27]
	s_branch .LBB1485_298
.LBB1485_301:
	s_or_b64 exec, exec, s[44:45]
	v_cmp_gt_i64_e32 vcc, s[26:27], v[34:35]
	s_orn2_b64 s[42:43], vcc, exec
.LBB1485_302:
	s_or_b64 exec, exec, s[16:17]
.LBB1485_303:
	s_and_b64 s[16:17], s[42:43], exec
.LBB1485_304:
	s_or_b64 exec, exec, s[40:41]
	v_cmp_gt_u32_e32 vcc, s54, v40
	s_mov_b64 s[40:41], 0
	s_mov_b64 s[42:43], 0
	s_and_saveexec_b64 s[44:45], vcc
	s_cbranch_execz .LBB1485_315
; %bb.305:
	s_andn2_b64 vcc, exec, s[6:7]
	s_mov_b64 s[46:47], 0
	s_cbranch_vccnz .LBB1485_314
; %bb.306:
	v_mul_lo_u32 v32, v25, s26
	v_mul_lo_u32 v33, v24, s27
	s_waitcnt vmcnt(0) lgkmcnt(1)
	v_mad_u64_u32 v[30:31], s[42:43], v24, s26, 0
	v_add3_u32 v31, v31, v33, v32
	v_mul_lo_u32 v32, v19, s26
	v_mul_lo_u32 v33, v18, s27
	v_mad_u64_u32 v[34:35], s[42:43], v18, s26, 0
	v_add3_u32 v35, v35, v33, v32
	v_lshl_add_u64 v[32:33], v[30:31], 1, s[36:37]
	v_lshl_add_u64 v[30:31], v[34:35], 1, s[36:37]
	global_load_ushort v34, v[32:33], off
	global_load_ushort v35, v[30:31], off
	s_mov_b64 s[46:47], -1
	s_waitcnt vmcnt(0)
	v_cmp_eq_u16_e32 vcc, v34, v35
	s_and_saveexec_b64 s[42:43], vcc
	s_cbranch_execz .LBB1485_313
; %bb.307:
	s_add_u32 s46, s26, -1
	v_lshl_add_u64 v[30:31], v[30:31], 0, 2
	v_lshl_add_u64 v[32:33], v[32:33], 0, 2
	s_addc_u32 s47, s27, -1
	s_mov_b64 s[48:49], 0
	s_mov_b64 s[52:53], 0
                                        ; implicit-def: $sgpr50_sgpr51
	s_branch .LBB1485_310
.LBB1485_308:                           ;   in Loop: Header=BB1485_310 Depth=1
	global_load_ushort v34, v[32:33], off
	global_load_ushort v35, v[30:31], off
	s_add_u32 s52, s52, 1
	s_addc_u32 s53, s53, 0
	s_andn2_b64 s[50:51], s[50:51], exec
	v_lshl_add_u64 v[30:31], v[30:31], 0, 2
	v_lshl_add_u64 v[32:33], v[32:33], 0, 2
	s_waitcnt vmcnt(0)
	v_cmp_ne_u16_e32 vcc, v34, v35
	s_and_b64 s[56:57], vcc, exec
	s_or_b64 s[50:51], s[50:51], s[56:57]
.LBB1485_309:                           ;   in Loop: Header=BB1485_310 Depth=1
	s_and_b64 s[56:57], exec, s[50:51]
	s_or_b64 s[48:49], s[56:57], s[48:49]
	v_mov_b64_e32 v[34:35], s[52:53]
	s_andn2_b64 exec, exec, s[48:49]
	s_cbranch_execz .LBB1485_312
.LBB1485_310:                           ; =>This Inner Loop Header: Depth=1
	s_or_b64 s[50:51], s[50:51], exec
	s_cmp_eq_u64 s[46:47], s[52:53]
	s_cbranch_scc0 .LBB1485_308
; %bb.311:                              ;   in Loop: Header=BB1485_310 Depth=1
                                        ; implicit-def: $vgpr30_vgpr31
                                        ; implicit-def: $vgpr32_vgpr33
	s_mov_b64 s[52:53], s[26:27]
	s_branch .LBB1485_309
.LBB1485_312:
	s_or_b64 exec, exec, s[48:49]
	v_cmp_gt_i64_e32 vcc, s[26:27], v[34:35]
	s_orn2_b64 s[46:47], vcc, exec
.LBB1485_313:
	s_or_b64 exec, exec, s[42:43]
.LBB1485_314:
	s_and_b64 s[42:43], s[46:47], exec
.LBB1485_315:
	s_or_b64 exec, exec, s[44:45]
	v_cmp_gt_u32_e32 vcc, s54, v43
	s_and_saveexec_b64 s[44:45], vcc
	s_cbranch_execz .LBB1485_326
; %bb.316:
	s_andn2_b64 vcc, exec, s[6:7]
	s_mov_b64 s[46:47], 0
	s_cbranch_vccnz .LBB1485_325
; %bb.317:
	v_mul_lo_u32 v32, v23, s26
	v_mul_lo_u32 v33, v22, s27
	s_waitcnt vmcnt(0) lgkmcnt(1)
	v_mad_u64_u32 v[30:31], s[40:41], v22, s26, 0
	v_add3_u32 v31, v31, v33, v32
	v_mul_lo_u32 v32, v25, s26
	v_mul_lo_u32 v33, v24, s27
	v_mad_u64_u32 v[34:35], s[40:41], v24, s26, 0
	v_add3_u32 v35, v35, v33, v32
	v_lshl_add_u64 v[32:33], v[30:31], 1, s[36:37]
	v_lshl_add_u64 v[30:31], v[34:35], 1, s[36:37]
	global_load_ushort v34, v[32:33], off
	global_load_ushort v35, v[30:31], off
	s_mov_b64 s[46:47], -1
	s_waitcnt vmcnt(0)
	v_cmp_eq_u16_e32 vcc, v34, v35
	s_and_saveexec_b64 s[40:41], vcc
	s_cbranch_execz .LBB1485_324
; %bb.318:
	s_add_u32 s46, s26, -1
	v_lshl_add_u64 v[30:31], v[30:31], 0, 2
	v_lshl_add_u64 v[32:33], v[32:33], 0, 2
	s_addc_u32 s47, s27, -1
	s_mov_b64 s[48:49], 0
	s_mov_b64 s[52:53], 0
                                        ; implicit-def: $sgpr50_sgpr51
	s_branch .LBB1485_321
.LBB1485_319:                           ;   in Loop: Header=BB1485_321 Depth=1
	global_load_ushort v34, v[32:33], off
	global_load_ushort v35, v[30:31], off
	s_add_u32 s52, s52, 1
	s_addc_u32 s53, s53, 0
	s_andn2_b64 s[50:51], s[50:51], exec
	v_lshl_add_u64 v[30:31], v[30:31], 0, 2
	v_lshl_add_u64 v[32:33], v[32:33], 0, 2
	s_waitcnt vmcnt(0)
	v_cmp_ne_u16_e32 vcc, v34, v35
	s_and_b64 s[56:57], vcc, exec
	s_or_b64 s[50:51], s[50:51], s[56:57]
.LBB1485_320:                           ;   in Loop: Header=BB1485_321 Depth=1
	s_and_b64 s[56:57], exec, s[50:51]
	s_or_b64 s[48:49], s[56:57], s[48:49]
	v_mov_b64_e32 v[34:35], s[52:53]
	s_andn2_b64 exec, exec, s[48:49]
	s_cbranch_execz .LBB1485_323
.LBB1485_321:                           ; =>This Inner Loop Header: Depth=1
	s_or_b64 s[50:51], s[50:51], exec
	s_cmp_eq_u64 s[46:47], s[52:53]
	s_cbranch_scc0 .LBB1485_319
; %bb.322:                              ;   in Loop: Header=BB1485_321 Depth=1
                                        ; implicit-def: $vgpr30_vgpr31
                                        ; implicit-def: $vgpr32_vgpr33
	s_mov_b64 s[52:53], s[26:27]
	s_branch .LBB1485_320
.LBB1485_323:
	s_or_b64 exec, exec, s[48:49]
	v_cmp_gt_i64_e32 vcc, s[26:27], v[34:35]
	s_orn2_b64 s[46:47], vcc, exec
.LBB1485_324:
	s_or_b64 exec, exec, s[40:41]
.LBB1485_325:
	s_and_b64 s[40:41], s[46:47], exec
.LBB1485_326:
	s_or_b64 exec, exec, s[44:45]
	s_waitcnt vmcnt(0) lgkmcnt(1)
	v_cndmask_b32_e64 v31, 0, 1, s[16:17]
	v_cndmask_b32_e64 v30, 0, 1, s[42:43]
	;; [unrolled: 1-line block ×3, first 2 shown]
	v_lshlrev_b16_e32 v31, 8, v31
	v_cndmask_b32_e64 v39, 0, 1, s[14:15]
	v_cndmask_b32_e64 v32, 0, 1, s[40:41]
	v_or_b32_sdwa v30, v30, v31 dst_sel:WORD_1 dst_unused:UNUSED_PAD src0_sel:DWORD src1_sel:DWORD
	v_lshlrev_b16_e32 v31, 8, v48
	v_lshlrev_b16_e32 v32, 8, v32
	v_or_b32_e32 v31, v39, v31
	v_or_b32_e32 v32, 1, v32
	v_and_b32_e32 v31, 0xffff, v31
	v_cndmask_b32_e64 v49, 0, 1, s[4:5]
	v_or_b32_sdwa v30, v32, v30 dst_sel:DWORD dst_unused:UNUSED_PAD src0_sel:WORD_0 src1_sel:DWORD
	v_lshl_or_b32 v31, v49, 16, v31
	s_waitcnt lgkmcnt(0)
	s_barrier
	s_waitcnt lgkmcnt(0)
                                        ; implicit-def: $sgpr14_sgpr15
                                        ; implicit-def: $vgpr34
	s_and_saveexec_b64 s[4:5], s[2:3]
	s_cbranch_execz .LBB1485_339
; %bb.327:
	v_cmp_gt_u32_e32 vcc, s54, v1
	s_mov_b32 s40, 0x3020104
	s_mov_b64 s[12:13], 0
	s_and_saveexec_b64 s[2:3], vcc
	s_cbranch_execz .LBB1485_338
; %bb.328:
	s_andn2_b64 vcc, exec, s[6:7]
	s_cbranch_vccnz .LBB1485_337
; %bb.329:
	v_add_u32_e32 v31, -8, v38
	ds_read_b64 v[32:33], v31
	v_mul_lo_u32 v31, v23, s26
	v_mad_u64_u32 v[36:37], s[6:7], v22, s26, 0
	s_mov_b64 s[12:13], -1
	s_waitcnt lgkmcnt(0)
	v_mul_lo_u32 v34, v33, s26
	v_mul_lo_u32 v35, v32, s27
	v_mad_u64_u32 v[32:33], s[6:7], v32, s26, 0
	v_add3_u32 v33, v33, v35, v34
	v_mul_lo_u32 v34, v22, s27
	v_add3_u32 v37, v37, v34, v31
	v_lshl_add_u64 v[34:35], v[32:33], 1, s[36:37]
	v_lshl_add_u64 v[32:33], v[36:37], 1, s[36:37]
	global_load_ushort v31, v[34:35], off
	global_load_ushort v36, v[32:33], off
	s_waitcnt vmcnt(0)
	v_cmp_eq_u16_e32 vcc, v31, v36
	s_and_saveexec_b64 s[6:7], vcc
	s_cbranch_execz .LBB1485_336
; %bb.330:
	s_add_u32 s12, s26, -1
	v_lshl_add_u64 v[32:33], v[32:33], 0, 2
	v_lshl_add_u64 v[34:35], v[34:35], 0, 2
	s_addc_u32 s13, s27, -1
	s_mov_b64 s[14:15], 0
	s_mov_b64 s[36:37], 0
                                        ; implicit-def: $sgpr16_sgpr17
	s_branch .LBB1485_333
.LBB1485_331:                           ;   in Loop: Header=BB1485_333 Depth=1
	global_load_ushort v31, v[34:35], off
	global_load_ushort v36, v[32:33], off
	s_add_u32 s36, s36, 1
	s_addc_u32 s37, s37, 0
	s_andn2_b64 s[16:17], s[16:17], exec
	v_lshl_add_u64 v[32:33], v[32:33], 0, 2
	v_lshl_add_u64 v[34:35], v[34:35], 0, 2
	s_waitcnt vmcnt(0)
	v_cmp_ne_u16_e32 vcc, v31, v36
	s_and_b64 s[42:43], vcc, exec
	s_or_b64 s[16:17], s[16:17], s[42:43]
.LBB1485_332:                           ;   in Loop: Header=BB1485_333 Depth=1
	s_and_b64 s[42:43], exec, s[16:17]
	s_or_b64 s[14:15], s[42:43], s[14:15]
	v_mov_b64_e32 v[36:37], s[36:37]
	s_andn2_b64 exec, exec, s[14:15]
	s_cbranch_execz .LBB1485_335
.LBB1485_333:                           ; =>This Inner Loop Header: Depth=1
	s_or_b64 s[16:17], s[16:17], exec
	s_cmp_eq_u64 s[12:13], s[36:37]
	s_cbranch_scc0 .LBB1485_331
; %bb.334:                              ;   in Loop: Header=BB1485_333 Depth=1
                                        ; implicit-def: $vgpr32_vgpr33
                                        ; implicit-def: $vgpr34_vgpr35
	s_mov_b64 s[36:37], s[26:27]
	s_branch .LBB1485_332
.LBB1485_335:
	s_or_b64 exec, exec, s[14:15]
	v_cmp_gt_i64_e32 vcc, s[26:27], v[36:37]
	s_orn2_b64 s[12:13], vcc, exec
.LBB1485_336:
	s_or_b64 exec, exec, s[6:7]
.LBB1485_337:
	s_and_b64 s[12:13], s[12:13], exec
.LBB1485_338:
	s_or_b64 exec, exec, s[2:3]
	v_perm_b32 v34, v30, v30, s40
	s_and_b64 s[14:15], s[12:13], exec
	s_or_b64 s[10:11], s[10:11], exec
                                        ; implicit-def: $vgpr30_vgpr31
.LBB1485_339:
	s_or_b64 exec, exec, s[4:5]
.LBB1485_340:
	s_and_saveexec_b64 s[2:3], s[10:11]
	s_cbranch_execz .LBB1485_342
; %bb.341:
	s_waitcnt vmcnt(0) lgkmcnt(0)
	v_lshlrev_b16_e32 v31, 8, v48
	v_and_b32_e32 v32, 0xff, v49
	v_or_b32_sdwa v31, v39, v31 dst_sel:DWORD dst_unused:UNUSED_PAD src0_sel:BYTE_0 src1_sel:DWORD
	v_lshlrev_b32_e32 v32, 16, v32
	s_movk_i32 s4, 0xff
	v_or_b32_sdwa v31, v31, v32 dst_sel:DWORD dst_unused:UNUSED_PAD src0_sel:WORD_0 src1_sel:DWORD
	v_lshrrev_b32_e32 v32, 24, v34
	v_lshlrev_b16_e32 v32, 8, v32
	v_and_b32_sdwa v33, v34, s4 dst_sel:DWORD dst_unused:UNUSED_PAD src0_sel:WORD_1 src1_sel:DWORD
	v_or_b32_sdwa v32, v33, v32 dst_sel:WORD_1 dst_unused:UNUSED_PAD src0_sel:DWORD src1_sel:DWORD
	v_mov_b32_e32 v33, 8
	v_cndmask_b32_e64 v30, 0, 1, s[14:15]
	v_lshrrev_b32_sdwa v33, v33, v34 dst_sel:BYTE_1 dst_unused:UNUSED_PAD src0_sel:DWORD src1_sel:DWORD
	s_nop 0
	v_or_b32_e32 v30, v30, v33
	v_or_b32_sdwa v30, v30, v32 dst_sel:DWORD dst_unused:UNUSED_PAD src0_sel:WORD_0 src1_sel:DWORD
.LBB1485_342:
	s_or_b64 exec, exec, s[2:3]
	s_andn2_b64 vcc, exec, s[8:9]
	s_cbranch_vccnz .LBB1485_344
; %bb.343:
	s_waitcnt vmcnt(0) lgkmcnt(0)
	v_and_b32_e32 v32, 0xffff0000, v30
	v_cmp_gt_u32_e32 vcc, s54, v1
	s_mov_b32 s2, 0x40c0100
	s_nop 0
	v_cndmask_b32_e32 v1, v32, v30, vcc
	v_and_b32_e32 v1, 0xffff00ff, v1
	v_cmp_gt_u32_e32 vcc, s54, v43
	s_nop 1
	v_cndmask_b32_e32 v1, v1, v30, vcc
	v_lshrrev_b32_e32 v32, 24, v1
	v_perm_b32 v1, v32, v1, s2
	v_cmp_gt_u32_e32 vcc, s54, v40
	v_and_b32_e32 v32, 0xffffff00, v31
	s_nop 0
	v_cndmask_b32_e32 v1, v1, v30, vcc
	v_and_b32_e32 v1, 0xffffff, v1
	v_cmp_gt_u32_e32 vcc, s54, v44
	s_nop 1
	v_cndmask_b32_e32 v1, v1, v30, vcc
	v_cmp_gt_u32_e32 vcc, s54, v41
	s_nop 1
	v_cndmask_b32_e32 v32, v32, v31, vcc
	v_and_b32_e32 v32, 0xffff00ff, v32
	v_cndmask_b32_e32 v1, v1, v30, vcc
	v_cmp_gt_u32_e32 vcc, s54, v45
	s_nop 1
	v_cndmask_b32_e32 v32, v32, v31, vcc
	v_lshrrev_b32_e32 v33, 24, v32
	v_cndmask_b32_e32 v1, v1, v30, vcc
	v_perm_b32 v32, v33, v32, s2
	v_cmp_gt_u32_e32 vcc, s54, v42
	s_mov_b32 s2, 0x3020104
	s_nop 0
	v_cndmask_b32_e32 v1, v1, v30, vcc
	v_cndmask_b32_e32 v30, v32, v31, vcc
	v_mov_b32_e32 v31, 8
	v_lshrrev_b32_sdwa v31, v31, v30 dst_sel:BYTE_1 dst_unused:UNUSED_PAD src0_sel:DWORD src1_sel:DWORD
	s_nop 0
	v_or_b32_sdwa v31, v30, v31 dst_sel:DWORD dst_unused:UNUSED_PAD src0_sel:BYTE_0 src1_sel:DWORD
	v_and_b32_e32 v31, 0xffff, v31
	v_bfe_u32 v30, v30, 16, 8
	v_lshl_or_b32 v31, v30, 16, v31
	v_perm_b32 v30, v1, v1, s2
.LBB1485_344:
	s_waitcnt vmcnt(0) lgkmcnt(0)
	v_and_b32_e32 v1, 0xff, v30
	v_bfe_u32 v43, v30, 8, 8
	v_bfe_u32 v45, v30, 16, 8
	v_alignbit_b32 v32, v31, v30, 24
	v_and_b32_e32 v47, 0xff, v32
	v_and_b32_e32 v48, 0xff, v31
	v_add3_u32 v33, v43, v1, v45
	v_bfe_u32 v49, v31, 8, 8
	v_bfe_u32 v32, v31, 16, 8
	v_add3_u32 v33, v33, v47, v48
	v_add3_u32 v52, v33, v49, v32
	v_mbcnt_lo_u32_b32 v32, -1, 0
	v_mbcnt_hi_u32_b32 v50, -1, v32
	v_and_b32_e32 v32, 15, v50
	v_cmp_eq_u32_e64 s[14:15], 0, v32
	v_cmp_lt_u32_e64 s[12:13], 1, v32
	v_cmp_lt_u32_e64 s[10:11], 3, v32
	;; [unrolled: 1-line block ×3, first 2 shown]
	v_and_b32_e32 v32, 16, v50
	v_cmp_eq_u32_e64 s[6:7], 0, v32
	v_or_b32_e32 v32, 63, v0
	v_cmp_lt_u32_e64 s[2:3], 31, v50
	v_lshrrev_b32_e32 v51, 6, v0
	v_cmp_eq_u32_e64 s[4:5], v32, v0
	s_and_b64 vcc, exec, s[0:1]
	s_barrier
	s_cbranch_vccz .LBB1485_371
; %bb.345:
	v_mov_b32_dpp v32, v52 row_shr:1 row_mask:0xf bank_mask:0xf
	v_cndmask_b32_e64 v32, v32, 0, s[14:15]
	v_add_u32_e32 v32, v32, v52
	s_nop 1
	v_mov_b32_dpp v33, v32 row_shr:2 row_mask:0xf bank_mask:0xf
	v_cndmask_b32_e64 v33, 0, v33, s[12:13]
	v_add_u32_e32 v32, v32, v33
	s_nop 1
	;; [unrolled: 4-line block ×4, first 2 shown]
	v_mov_b32_dpp v33, v32 row_bcast:15 row_mask:0xf bank_mask:0xf
	v_cndmask_b32_e64 v33, v33, 0, s[6:7]
	v_add_u32_e32 v32, v32, v33
	s_nop 1
	v_mov_b32_dpp v33, v32 row_bcast:31 row_mask:0xf bank_mask:0xf
	v_cndmask_b32_e64 v33, 0, v33, s[2:3]
	v_add_u32_e32 v32, v32, v33
	s_and_saveexec_b64 s[0:1], s[4:5]
	s_cbranch_execz .LBB1485_347
; %bb.346:
	v_lshlrev_b32_e32 v33, 2, v51
	ds_write_b32 v33, v32
.LBB1485_347:
	s_or_b64 exec, exec, s[0:1]
	v_cmp_gt_u32_e32 vcc, 8, v0
	s_waitcnt lgkmcnt(0)
	s_barrier
	s_and_saveexec_b64 s[0:1], vcc
	s_cbranch_execz .LBB1485_349
; %bb.348:
	v_lshlrev_b32_e32 v33, 2, v0
	ds_read_b32 v34, v33
	v_and_b32_e32 v35, 7, v50
	v_cmp_ne_u32_e32 vcc, 0, v35
	s_waitcnt lgkmcnt(0)
	v_mov_b32_dpp v36, v34 row_shr:1 row_mask:0xf bank_mask:0xf
	v_cndmask_b32_e32 v36, 0, v36, vcc
	v_add_u32_e32 v34, v36, v34
	v_cmp_lt_u32_e32 vcc, 1, v35
	s_nop 0
	v_mov_b32_dpp v36, v34 row_shr:2 row_mask:0xf bank_mask:0xf
	v_cndmask_b32_e32 v36, 0, v36, vcc
	v_add_u32_e32 v34, v34, v36
	v_cmp_lt_u32_e32 vcc, 3, v35
	s_nop 0
	v_mov_b32_dpp v36, v34 row_shr:4 row_mask:0xf bank_mask:0xf
	v_cndmask_b32_e32 v35, 0, v36, vcc
	v_add_u32_e32 v34, v34, v35
	ds_write_b32 v33, v34
.LBB1485_349:
	s_or_b64 exec, exec, s[0:1]
	v_cmp_gt_u32_e32 vcc, 64, v0
	v_cmp_lt_u32_e64 s[0:1], 63, v0
	s_waitcnt lgkmcnt(0)
	s_barrier
	s_waitcnt lgkmcnt(0)
                                        ; implicit-def: $vgpr42
	s_and_saveexec_b64 s[16:17], s[0:1]
	s_cbranch_execz .LBB1485_351
; %bb.350:
	v_lshl_add_u32 v33, v51, 2, -4
	ds_read_b32 v42, v33
	s_waitcnt lgkmcnt(0)
	v_add_u32_e32 v32, v42, v32
.LBB1485_351:
	s_or_b64 exec, exec, s[16:17]
	v_add_u32_e32 v33, -1, v50
	v_and_b32_e32 v34, 64, v50
	v_cmp_lt_i32_e64 s[0:1], v33, v34
	v_cmp_eq_u32_e64 s[16:17], 0, v50
	s_nop 0
	v_cndmask_b32_e64 v33, v33, v50, s[0:1]
	v_lshlrev_b32_e32 v33, 2, v33
	ds_bpermute_b32 v44, v33, v32
	s_and_saveexec_b64 s[0:1], vcc
	s_cbranch_execz .LBB1485_370
; %bb.352:
	v_mov_b32_e32 v39, 0
	ds_read_b32 v32, v39 offset:28
	s_and_saveexec_b64 s[26:27], s[16:17]
	s_cbranch_execz .LBB1485_354
; %bb.353:
	s_add_i32 s36, s33, 64
	s_mov_b32 s37, 0
	s_lshl_b64 s[36:37], s[36:37], 3
	s_add_u32 s36, s38, s36
	v_mov_b32_e32 v33, 1
	s_addc_u32 s37, s39, s37
	s_waitcnt lgkmcnt(0)
	global_store_dwordx2 v39, v[32:33], s[36:37] sc1
.LBB1485_354:
	s_or_b64 exec, exec, s[26:27]
	v_xad_u32 v34, v50, -1, s33
	v_add_u32_e32 v38, 64, v34
	v_lshl_add_u64 v[40:41], v[38:39], 3, s[38:39]
	global_load_dwordx2 v[36:37], v[40:41], off sc1
	s_waitcnt vmcnt(0)
	v_cmp_eq_u16_sdwa s[36:37], v37, v39 src0_sel:BYTE_0 src1_sel:DWORD
	s_and_saveexec_b64 s[26:27], s[36:37]
	s_cbranch_execz .LBB1485_358
; %bb.355:
	s_mov_b64 s[36:37], 0
	v_mov_b32_e32 v33, 0
.LBB1485_356:                           ; =>This Inner Loop Header: Depth=1
	global_load_dwordx2 v[36:37], v[40:41], off sc1
	s_waitcnt vmcnt(0)
	v_cmp_ne_u16_sdwa s[40:41], v37, v33 src0_sel:BYTE_0 src1_sel:DWORD
	s_or_b64 s[36:37], s[40:41], s[36:37]
	s_andn2_b64 exec, exec, s[36:37]
	s_cbranch_execnz .LBB1485_356
; %bb.357:
	s_or_b64 exec, exec, s[36:37]
.LBB1485_358:
	s_or_b64 exec, exec, s[26:27]
	v_and_b32_e32 v46, 63, v50
	v_mov_b32_e32 v33, 2
	v_cmp_ne_u32_e32 vcc, 63, v46
	v_cmp_eq_u16_sdwa s[26:27], v37, v33 src0_sel:BYTE_0 src1_sel:DWORD
	v_lshlrev_b64 v[38:39], v50, -1
	v_addc_co_u32_e32 v41, vcc, 0, v50, vcc
	v_and_b32_e32 v35, s27, v39
	v_lshlrev_b32_e32 v53, 2, v41
	v_or_b32_e32 v35, 0x80000000, v35
	ds_bpermute_b32 v41, v53, v36
	v_and_b32_e32 v40, s26, v38
	v_ffbl_b32_e32 v35, v35
	v_add_u32_e32 v35, 32, v35
	v_ffbl_b32_e32 v40, v40
	v_min_u32_e32 v35, v40, v35
	v_cmp_lt_u32_e32 vcc, v46, v35
	v_add_u32_e32 v55, 2, v46
	v_add_u32_e32 v57, 4, v46
	s_waitcnt lgkmcnt(0)
	v_cndmask_b32_e32 v40, 0, v41, vcc
	v_cmp_gt_u32_e32 vcc, 62, v46
	v_add_u32_e32 v36, v40, v36
	v_add_u32_e32 v59, 8, v46
	v_cndmask_b32_e64 v40, 0, 1, vcc
	v_lshlrev_b32_e32 v40, 1, v40
	v_add_lshl_u32 v54, v40, v50, 2
	ds_bpermute_b32 v40, v54, v36
	v_cmp_le_u32_e32 vcc, v55, v35
	v_add_u32_e32 v62, 16, v46
	v_add_u32_e32 v64, 32, v46
	s_waitcnt lgkmcnt(0)
	v_cndmask_b32_e32 v40, 0, v40, vcc
	v_cmp_gt_u32_e32 vcc, 60, v46
	v_add_u32_e32 v36, v36, v40
	s_nop 0
	v_cndmask_b32_e64 v40, 0, 1, vcc
	v_lshlrev_b32_e32 v40, 2, v40
	v_add_lshl_u32 v56, v40, v50, 2
	ds_bpermute_b32 v40, v56, v36
	v_cmp_le_u32_e32 vcc, v57, v35
	s_waitcnt lgkmcnt(0)
	s_nop 0
	v_cndmask_b32_e32 v40, 0, v40, vcc
	v_cmp_gt_u32_e32 vcc, 56, v46
	v_add_u32_e32 v36, v36, v40
	s_nop 0
	v_cndmask_b32_e64 v40, 0, 1, vcc
	v_lshlrev_b32_e32 v40, 3, v40
	v_add_lshl_u32 v58, v40, v50, 2
	ds_bpermute_b32 v40, v58, v36
	v_cmp_le_u32_e32 vcc, v59, v35
	s_waitcnt lgkmcnt(0)
	s_nop 0
	;; [unrolled: 11-line block ×4, first 2 shown]
	v_cndmask_b32_e32 v35, 0, v40, vcc
	v_add_u32_e32 v36, v36, v35
	v_mov_b32_e32 v35, 0
	s_branch .LBB1485_360
.LBB1485_359:                           ;   in Loop: Header=BB1485_360 Depth=1
	s_or_b64 exec, exec, s[26:27]
	v_cmp_eq_u16_sdwa s[26:27], v37, v33 src0_sel:BYTE_0 src1_sel:DWORD
	ds_bpermute_b32 v65, v53, v36
	v_subrev_u32_e32 v34, 64, v34
	v_and_b32_e32 v40, s27, v39
	v_or_b32_e32 v40, 0x80000000, v40
	v_and_b32_e32 v41, s26, v38
	v_ffbl_b32_e32 v40, v40
	v_add_u32_e32 v40, 32, v40
	v_ffbl_b32_e32 v41, v41
	v_min_u32_e32 v40, v41, v40
	v_cmp_lt_u32_e32 vcc, v46, v40
	s_waitcnt lgkmcnt(0)
	s_nop 0
	v_cndmask_b32_e32 v41, 0, v65, vcc
	v_add_u32_e32 v36, v41, v36
	ds_bpermute_b32 v41, v54, v36
	v_cmp_le_u32_e32 vcc, v55, v40
	s_waitcnt lgkmcnt(0)
	s_nop 0
	v_cndmask_b32_e32 v41, 0, v41, vcc
	v_add_u32_e32 v36, v36, v41
	ds_bpermute_b32 v41, v56, v36
	v_cmp_le_u32_e32 vcc, v57, v40
	;; [unrolled: 6-line block ×5, first 2 shown]
	s_waitcnt lgkmcnt(0)
	s_nop 0
	v_cndmask_b32_e32 v40, 0, v41, vcc
	v_add3_u32 v36, v40, v60, v36
.LBB1485_360:                           ; =>This Loop Header: Depth=1
                                        ;     Child Loop BB1485_363 Depth 2
	v_cmp_ne_u16_sdwa s[26:27], v37, v33 src0_sel:BYTE_0 src1_sel:DWORD
	v_mov_b32_e32 v60, v36
	s_nop 0
	v_cndmask_b32_e64 v37, 0, 1, s[26:27]
	;;#ASMSTART
	;;#ASMEND
	s_nop 0
	v_cmp_ne_u32_e32 vcc, 0, v37
	s_cmp_lg_u64 vcc, exec
	s_cbranch_scc1 .LBB1485_365
; %bb.361:                              ;   in Loop: Header=BB1485_360 Depth=1
	v_lshl_add_u64 v[40:41], v[34:35], 3, s[38:39]
	global_load_dwordx2 v[36:37], v[40:41], off sc1
	s_waitcnt vmcnt(0)
	v_cmp_eq_u16_sdwa s[36:37], v37, v35 src0_sel:BYTE_0 src1_sel:DWORD
	s_and_saveexec_b64 s[26:27], s[36:37]
	s_cbranch_execz .LBB1485_359
; %bb.362:                              ;   in Loop: Header=BB1485_360 Depth=1
	s_mov_b64 s[36:37], 0
.LBB1485_363:                           ;   Parent Loop BB1485_360 Depth=1
                                        ; =>  This Inner Loop Header: Depth=2
	global_load_dwordx2 v[36:37], v[40:41], off sc1
	s_waitcnt vmcnt(0)
	v_cmp_ne_u16_sdwa s[40:41], v37, v35 src0_sel:BYTE_0 src1_sel:DWORD
	s_or_b64 s[36:37], s[40:41], s[36:37]
	s_andn2_b64 exec, exec, s[36:37]
	s_cbranch_execnz .LBB1485_363
; %bb.364:                              ;   in Loop: Header=BB1485_360 Depth=1
	s_or_b64 exec, exec, s[36:37]
	s_branch .LBB1485_359
.LBB1485_365:                           ;   in Loop: Header=BB1485_360 Depth=1
                                        ; implicit-def: $vgpr36
                                        ; implicit-def: $vgpr37
	s_cbranch_execz .LBB1485_360
; %bb.366:
	s_and_saveexec_b64 s[26:27], s[16:17]
	s_cbranch_execz .LBB1485_368
; %bb.367:
	s_add_i32 s36, s33, 64
	s_mov_b32 s37, 0
	s_lshl_b64 s[36:37], s[36:37], 3
	s_add_u32 s36, s38, s36
	v_add_u32_e32 v34, v60, v32
	v_mov_b32_e32 v35, 2
	s_addc_u32 s37, s39, s37
	v_mov_b32_e32 v33, 0
	s_movk_i32 s33, 0x7000
	global_store_dwordx2 v33, v[34:35], s[36:37] sc1
	v_add_u32_e64 v33, s33, 0
	ds_write2_b32 v33, v32, v60 offset1:2
.LBB1485_368:
	s_or_b64 exec, exec, s[26:27]
	s_and_b64 exec, exec, s[18:19]
	s_cbranch_execz .LBB1485_370
; %bb.369:
	v_mov_b32_e32 v32, 0
	ds_write_b32 v32, v60 offset:28
.LBB1485_370:
	s_or_b64 exec, exec, s[0:1]
	v_mov_b32_e32 v32, 0
	s_waitcnt lgkmcnt(0)
	s_barrier
	ds_read_b32 v32, v32 offset:28
	v_cndmask_b32_e64 v33, v44, v42, s[16:17]
	v_cndmask_b32_e64 v33, v33, 0, s[18:19]
	s_movk_i32 s0, 0x7000
	s_waitcnt lgkmcnt(0)
	v_add_u32_e32 v46, v32, v33
	v_add_u32_e64 v32, s0, 0
	v_add_u32_e32 v44, v46, v1
	s_barrier
	ds_read2_b32 v[32:33], v32 offset1:2
	v_add_u32_e32 v42, v44, v43
	v_add_u32_e32 v40, v42, v45
	;; [unrolled: 1-line block ×5, first 2 shown]
	s_waitcnt lgkmcnt(0)
	v_readfirstlane_b32 s26, v32
	v_readfirstlane_b32 s16, v33
	v_lshrrev_b64 v[32:33], 24, v[30:31]
	s_branch .LBB1485_381
.LBB1485_371:
                                        ; implicit-def: $vgpr34
                                        ; implicit-def: $vgpr36
                                        ; implicit-def: $vgpr38
                                        ; implicit-def: $vgpr40
                                        ; implicit-def: $vgpr42
                                        ; implicit-def: $vgpr44
                                        ; implicit-def: $vgpr46
                                        ; implicit-def: $sgpr16
                                        ; implicit-def: $sgpr26
	v_lshrrev_b64 v[32:33], 24, v[30:31]
	s_cbranch_execz .LBB1485_381
; %bb.372:
	s_nop 0
	v_mov_b32_dpp v33, v52 row_shr:1 row_mask:0xf bank_mask:0xf
	v_cndmask_b32_e64 v33, v33, 0, s[14:15]
	v_add_u32_e32 v33, v33, v52
	s_nop 1
	v_mov_b32_dpp v34, v33 row_shr:2 row_mask:0xf bank_mask:0xf
	v_cndmask_b32_e64 v34, 0, v34, s[12:13]
	v_add_u32_e32 v33, v33, v34
	;; [unrolled: 4-line block ×4, first 2 shown]
	s_nop 1
	v_mov_b32_dpp v34, v33 row_bcast:15 row_mask:0xf bank_mask:0xf
	v_cndmask_b32_e64 v34, v34, 0, s[6:7]
	v_add_u32_e32 v33, v33, v34
	s_nop 1
	v_mov_b32_dpp v34, v33 row_bcast:31 row_mask:0xf bank_mask:0xf
	v_cndmask_b32_e64 v34, 0, v34, s[2:3]
	v_add_u32_e32 v33, v33, v34
	s_and_saveexec_b64 s[0:1], s[4:5]
	s_cbranch_execz .LBB1485_374
; %bb.373:
	v_lshlrev_b32_e32 v34, 2, v51
	ds_write_b32 v34, v33
.LBB1485_374:
	s_or_b64 exec, exec, s[0:1]
	v_cmp_gt_u32_e32 vcc, 8, v0
	s_waitcnt lgkmcnt(0)
	s_barrier
	s_and_saveexec_b64 s[0:1], vcc
	s_cbranch_execz .LBB1485_376
; %bb.375:
	v_lshlrev_b32_e32 v34, 2, v0
	ds_read_b32 v35, v34
	v_and_b32_e32 v36, 7, v50
	v_cmp_ne_u32_e32 vcc, 0, v36
	s_waitcnt lgkmcnt(0)
	v_mov_b32_dpp v37, v35 row_shr:1 row_mask:0xf bank_mask:0xf
	v_cndmask_b32_e32 v37, 0, v37, vcc
	v_add_u32_e32 v35, v37, v35
	v_cmp_lt_u32_e32 vcc, 1, v36
	s_nop 0
	v_mov_b32_dpp v37, v35 row_shr:2 row_mask:0xf bank_mask:0xf
	v_cndmask_b32_e32 v37, 0, v37, vcc
	v_add_u32_e32 v35, v35, v37
	v_cmp_lt_u32_e32 vcc, 3, v36
	s_nop 0
	v_mov_b32_dpp v37, v35 row_shr:4 row_mask:0xf bank_mask:0xf
	v_cndmask_b32_e32 v36, 0, v37, vcc
	v_add_u32_e32 v35, v35, v36
	ds_write_b32 v34, v35
.LBB1485_376:
	s_or_b64 exec, exec, s[0:1]
	v_cmp_lt_u32_e32 vcc, 63, v0
	v_mov_b32_e32 v35, 0
	v_mov_b32_e32 v34, 0
	s_waitcnt lgkmcnt(0)
	s_barrier
	s_and_saveexec_b64 s[0:1], vcc
	s_cbranch_execz .LBB1485_378
; %bb.377:
	v_lshl_add_u32 v34, v51, 2, -4
	ds_read_b32 v34, v34
.LBB1485_378:
	s_or_b64 exec, exec, s[0:1]
	v_add_u32_e32 v36, -1, v50
	v_and_b32_e32 v37, 64, v50
	v_cmp_lt_i32_e32 vcc, v36, v37
	s_waitcnt lgkmcnt(0)
	v_add_u32_e32 v33, v34, v33
	ds_read_b32 v35, v35 offset:28
	v_cndmask_b32_e32 v36, v36, v50, vcc
	v_lshlrev_b32_e32 v36, 2, v36
	ds_bpermute_b32 v33, v36, v33
	s_waitcnt lgkmcnt(1)
	v_readfirstlane_b32 s26, v35
	s_and_saveexec_b64 s[0:1], s[18:19]
	s_cbranch_execz .LBB1485_380
; %bb.379:
	v_mov_b32_e32 v35, 0
	v_mov_b32_e32 v36, s26
	;; [unrolled: 1-line block ×3, first 2 shown]
	global_store_dwordx2 v35, v[36:37], s[38:39] offset:512 sc1
.LBB1485_380:
	s_or_b64 exec, exec, s[0:1]
	v_cmp_eq_u32_e32 vcc, 0, v50
	s_mov_b32 s16, 0
	s_waitcnt lgkmcnt(0)
	v_cndmask_b32_e32 v33, v33, v34, vcc
	v_cndmask_b32_e64 v46, v33, 0, s[18:19]
	v_add_u32_e32 v44, v46, v1
	v_add_u32_e32 v42, v44, v43
	;; [unrolled: 1-line block ×6, first 2 shown]
	s_barrier
.LBB1485_381:
	s_cmpk_lt_u32 s26, 0x201
	s_cselect_b64 s[2:3], -1, 0
	v_lshrrev_b32_e32 v33, 8, v30
	v_lshrrev_b32_e32 v1, 8, v31
	s_mov_b64 s[0:1], -1
	s_and_b64 vcc, exec, s[2:3]
	s_cbranch_vccz .LBB1485_404
; %bb.382:
	s_add_i32 s4, s16, s26
	v_cmp_gt_u32_e32 vcc, s4, v46
	s_or_b64 s[6:7], s[34:35], vcc
	s_and_saveexec_b64 s[0:1], s[6:7]
	s_cbranch_execz .LBB1485_385
; %bb.383:
	v_and_b32_e32 v35, 1, v30
	v_cmp_eq_u32_e32 vcc, 1, v35
	s_and_b64 exec, exec, vcc
	s_cbranch_execz .LBB1485_385
; %bb.384:
	s_lshl_b64 s[6:7], s[22:23], 3
	s_add_u32 s6, s28, s6
	s_addc_u32 s7, s29, s7
	v_mov_b32_e32 v47, 0
	v_lshl_add_u64 v[48:49], v[46:47], 3, s[6:7]
	global_store_dwordx2 v[48:49], v[22:23], off
.LBB1485_385:
	s_or_b64 exec, exec, s[0:1]
	v_cmp_gt_u32_e32 vcc, s4, v44
	s_or_b64 s[6:7], s[34:35], vcc
	s_and_saveexec_b64 s[0:1], s[6:7]
	s_cbranch_execz .LBB1485_388
; %bb.386:
	v_and_b32_e32 v35, 1, v33
	v_cmp_eq_u32_e32 vcc, 1, v35
	s_and_b64 exec, exec, vcc
	s_cbranch_execz .LBB1485_388
; %bb.387:
	s_lshl_b64 s[6:7], s[22:23], 3
	s_add_u32 s6, s28, s6
	s_addc_u32 s7, s29, s7
	v_mov_b32_e32 v45, 0
	v_lshl_add_u64 v[48:49], v[44:45], 3, s[6:7]
	global_store_dwordx2 v[48:49], v[24:25], off
.LBB1485_388:
	s_or_b64 exec, exec, s[0:1]
	v_cmp_gt_u32_e32 vcc, s4, v42
	s_or_b64 s[6:7], s[34:35], vcc
	s_and_saveexec_b64 s[0:1], s[6:7]
	s_cbranch_execz .LBB1485_391
; %bb.389:
	v_mov_b32_e32 v35, 1
	v_and_b32_sdwa v35, v35, v30 dst_sel:DWORD dst_unused:UNUSED_PAD src0_sel:DWORD src1_sel:WORD_1
	v_cmp_eq_u32_e32 vcc, 1, v35
	s_and_b64 exec, exec, vcc
	s_cbranch_execz .LBB1485_391
; %bb.390:
	s_lshl_b64 s[6:7], s[22:23], 3
	s_add_u32 s6, s28, s6
	s_addc_u32 s7, s29, s7
	v_mov_b32_e32 v43, 0
	v_lshl_add_u64 v[48:49], v[42:43], 3, s[6:7]
	global_store_dwordx2 v[48:49], v[18:19], off
.LBB1485_391:
	s_or_b64 exec, exec, s[0:1]
	v_cmp_gt_u32_e32 vcc, s4, v40
	s_or_b64 s[6:7], s[34:35], vcc
	s_and_saveexec_b64 s[0:1], s[6:7]
	s_cbranch_execz .LBB1485_394
; %bb.392:
	v_and_b32_e32 v35, 1, v32
	v_cmp_eq_u32_e32 vcc, 1, v35
	s_and_b64 exec, exec, vcc
	s_cbranch_execz .LBB1485_394
; %bb.393:
	s_lshl_b64 s[6:7], s[22:23], 3
	s_add_u32 s6, s28, s6
	s_addc_u32 s7, s29, s7
	v_mov_b32_e32 v41, 0
	v_lshl_add_u64 v[48:49], v[40:41], 3, s[6:7]
	global_store_dwordx2 v[48:49], v[20:21], off
.LBB1485_394:
	s_or_b64 exec, exec, s[0:1]
	v_cmp_gt_u32_e32 vcc, s4, v38
	s_or_b64 s[6:7], s[34:35], vcc
	s_and_saveexec_b64 s[0:1], s[6:7]
	s_cbranch_execz .LBB1485_397
; %bb.395:
	v_and_b32_e32 v35, 1, v31
	v_cmp_eq_u32_e32 vcc, 1, v35
	s_and_b64 exec, exec, vcc
	s_cbranch_execz .LBB1485_397
; %bb.396:
	s_lshl_b64 s[6:7], s[22:23], 3
	s_add_u32 s6, s28, s6
	s_addc_u32 s7, s29, s7
	v_mov_b32_e32 v39, 0
	v_lshl_add_u64 v[48:49], v[38:39], 3, s[6:7]
	global_store_dwordx2 v[48:49], v[14:15], off
.LBB1485_397:
	;; [unrolled: 18-line block ×3, first 2 shown]
	s_or_b64 exec, exec, s[0:1]
	v_cmp_gt_u32_e32 vcc, s4, v34
	s_or_b64 s[4:5], s[34:35], vcc
	s_and_saveexec_b64 s[0:1], s[4:5]
	s_cbranch_execz .LBB1485_403
; %bb.401:
	v_mov_b32_e32 v35, 1
	v_and_b32_sdwa v35, v35, v31 dst_sel:DWORD dst_unused:UNUSED_PAD src0_sel:DWORD src1_sel:WORD_1
	v_cmp_eq_u32_e32 vcc, 1, v35
	s_and_b64 exec, exec, vcc
	s_cbranch_execz .LBB1485_403
; %bb.402:
	s_lshl_b64 s[4:5], s[22:23], 3
	s_add_u32 s4, s28, s4
	s_addc_u32 s5, s29, s5
	v_mov_b32_e32 v35, 0
	v_lshl_add_u64 v[48:49], v[34:35], 3, s[4:5]
	global_store_dwordx2 v[48:49], v[28:29], off
.LBB1485_403:
	s_or_b64 exec, exec, s[0:1]
	s_mov_b64 s[0:1], 0
.LBB1485_404:
	v_and_b32_e32 v48, 1, v30
	s_and_b64 vcc, exec, s[0:1]
	v_cmp_eq_u32_e64 s[0:1], 1, v48
	s_cbranch_vccz .LBB1485_423
; %bb.405:
	s_and_saveexec_b64 s[4:5], s[0:1]
	s_cbranch_execz .LBB1485_407
; %bb.406:
	v_subrev_u32_e32 v35, s16, v46
	v_lshlrev_b32_e32 v35, 3, v35
	ds_write_b64 v35, v[22:23]
.LBB1485_407:
	s_or_b64 exec, exec, s[4:5]
	v_and_b32_e32 v22, 1, v33
	v_cmp_eq_u32_e32 vcc, 1, v22
	s_and_saveexec_b64 s[0:1], vcc
	s_cbranch_execz .LBB1485_409
; %bb.408:
	v_subrev_u32_e32 v22, s16, v44
	v_lshlrev_b32_e32 v22, 3, v22
	ds_write_b64 v22, v[24:25]
.LBB1485_409:
	s_or_b64 exec, exec, s[0:1]
	v_mov_b32_e32 v22, 1
	v_and_b32_sdwa v22, v22, v30 dst_sel:DWORD dst_unused:UNUSED_PAD src0_sel:DWORD src1_sel:WORD_1
	v_cmp_eq_u32_e32 vcc, 1, v22
	s_and_saveexec_b64 s[0:1], vcc
	s_cbranch_execz .LBB1485_411
; %bb.410:
	v_subrev_u32_e32 v22, s16, v42
	v_lshlrev_b32_e32 v22, 3, v22
	ds_write_b64 v22, v[18:19]
.LBB1485_411:
	s_or_b64 exec, exec, s[0:1]
	v_and_b32_e32 v18, 1, v32
	v_cmp_eq_u32_e32 vcc, 1, v18
	s_and_saveexec_b64 s[0:1], vcc
	s_cbranch_execz .LBB1485_413
; %bb.412:
	v_subrev_u32_e32 v18, s16, v40
	v_lshlrev_b32_e32 v18, 3, v18
	ds_write_b64 v18, v[20:21]
.LBB1485_413:
	s_or_b64 exec, exec, s[0:1]
	v_and_b32_e32 v18, 1, v31
	;; [unrolled: 10-line block ×3, first 2 shown]
	v_cmp_eq_u32_e32 vcc, 1, v14
	s_and_saveexec_b64 s[0:1], vcc
	s_cbranch_execz .LBB1485_417
; %bb.416:
	v_subrev_u32_e32 v14, s16, v36
	v_lshlrev_b32_e32 v14, 3, v14
	ds_write_b64 v14, v[16:17]
.LBB1485_417:
	s_or_b64 exec, exec, s[0:1]
	v_mov_b32_e32 v14, 1
	v_and_b32_sdwa v14, v14, v31 dst_sel:DWORD dst_unused:UNUSED_PAD src0_sel:DWORD src1_sel:WORD_1
	v_cmp_eq_u32_e32 vcc, 1, v14
	s_and_saveexec_b64 s[0:1], vcc
	s_cbranch_execz .LBB1485_419
; %bb.418:
	v_subrev_u32_e32 v14, s16, v34
	v_lshlrev_b32_e32 v14, 3, v14
	ds_write_b64 v14, v[28:29]
.LBB1485_419:
	s_or_b64 exec, exec, s[0:1]
	v_cmp_gt_u32_e32 vcc, s26, v0
	s_waitcnt lgkmcnt(0)
	s_barrier
	s_and_saveexec_b64 s[0:1], vcc
	s_cbranch_execz .LBB1485_422
; %bb.420:
	s_mov_b32 s17, 0
	s_lshl_b64 s[4:5], s[22:23], 3
	s_lshl_b64 s[6:7], s[16:17], 3
	s_add_u32 s4, s4, s6
	s_addc_u32 s5, s5, s7
	s_add_u32 s4, s28, s4
	v_lshlrev_b32_e32 v14, 3, v0
	v_mov_b32_e32 v15, 0
	s_addc_u32 s5, s29, s5
	v_lshl_add_u64 v[16:17], s[4:5], 0, v[14:15]
	s_mov_b64 s[4:5], 0
	s_mov_b64 s[6:7], 0x1000
	v_mov_b32_e32 v15, v0
.LBB1485_421:                           ; =>This Inner Loop Header: Depth=1
	ds_read_b64 v[18:19], v14
	v_add_u32_e32 v15, 0x200, v15
	v_cmp_le_u32_e32 vcc, s26, v15
	v_add_u32_e32 v14, 0x1000, v14
	s_or_b64 s[4:5], vcc, s[4:5]
	s_waitcnt lgkmcnt(0)
	global_store_dwordx2 v[16:17], v[18:19], off
	v_lshl_add_u64 v[16:17], v[16:17], 0, s[6:7]
	s_andn2_b64 exec, exec, s[4:5]
	s_cbranch_execnz .LBB1485_421
.LBB1485_422:
	s_or_b64 exec, exec, s[0:1]
.LBB1485_423:
	s_mov_b64 s[0:1], -1
	s_and_b64 vcc, exec, s[2:3]
	s_barrier
	s_cbranch_vccnz .LBB1485_427
; %bb.424:
	s_and_b64 vcc, exec, s[0:1]
	s_cbranch_vccnz .LBB1485_449
.LBB1485_425:
	s_and_b64 s[0:1], s[18:19], s[24:25]
	s_and_saveexec_b64 s[2:3], s[0:1]
	s_cbranch_execnz .LBB1485_467
.LBB1485_426:
	s_endpgm
.LBB1485_427:
	s_add_i32 s2, s16, s26
	v_cmp_gt_u32_e32 vcc, s2, v46
	s_or_b64 s[4:5], s[34:35], vcc
	s_and_saveexec_b64 s[0:1], s[4:5]
	s_cbranch_execz .LBB1485_430
; %bb.428:
	v_cmp_eq_u32_e32 vcc, 1, v48
	s_and_b64 exec, exec, vcc
	s_cbranch_execz .LBB1485_430
; %bb.429:
	s_lshl_b64 s[4:5], s[22:23], 3
	s_add_u32 s4, s30, s4
	s_addc_u32 s5, s31, s5
	v_mov_b32_e32 v47, 0
	v_lshl_add_u64 v[14:15], v[46:47], 3, s[4:5]
	global_store_dwordx2 v[14:15], v[10:11], off
.LBB1485_430:
	s_or_b64 exec, exec, s[0:1]
	v_cmp_gt_u32_e32 vcc, s2, v44
	s_or_b64 s[4:5], s[34:35], vcc
	s_and_saveexec_b64 s[0:1], s[4:5]
	s_cbranch_execz .LBB1485_433
; %bb.431:
	v_and_b32_e32 v14, 1, v33
	v_cmp_eq_u32_e32 vcc, 1, v14
	s_and_b64 exec, exec, vcc
	s_cbranch_execz .LBB1485_433
; %bb.432:
	s_lshl_b64 s[4:5], s[22:23], 3
	s_add_u32 s4, s30, s4
	s_addc_u32 s5, s31, s5
	v_mov_b32_e32 v45, 0
	v_lshl_add_u64 v[14:15], v[44:45], 3, s[4:5]
	global_store_dwordx2 v[14:15], v[12:13], off
.LBB1485_433:
	s_or_b64 exec, exec, s[0:1]
	v_cmp_gt_u32_e32 vcc, s2, v42
	s_or_b64 s[4:5], s[34:35], vcc
	s_and_saveexec_b64 s[0:1], s[4:5]
	s_cbranch_execz .LBB1485_436
; %bb.434:
	v_mov_b32_e32 v14, 1
	v_and_b32_sdwa v14, v14, v30 dst_sel:DWORD dst_unused:UNUSED_PAD src0_sel:DWORD src1_sel:WORD_1
	v_cmp_eq_u32_e32 vcc, 1, v14
	s_and_b64 exec, exec, vcc
	s_cbranch_execz .LBB1485_436
; %bb.435:
	s_lshl_b64 s[4:5], s[22:23], 3
	s_add_u32 s4, s30, s4
	s_addc_u32 s5, s31, s5
	v_mov_b32_e32 v43, 0
	v_lshl_add_u64 v[14:15], v[42:43], 3, s[4:5]
	global_store_dwordx2 v[14:15], v[6:7], off
.LBB1485_436:
	s_or_b64 exec, exec, s[0:1]
	v_cmp_gt_u32_e32 vcc, s2, v40
	s_or_b64 s[4:5], s[34:35], vcc
	s_and_saveexec_b64 s[0:1], s[4:5]
	s_cbranch_execz .LBB1485_439
; %bb.437:
	v_and_b32_e32 v14, 1, v32
	v_cmp_eq_u32_e32 vcc, 1, v14
	s_and_b64 exec, exec, vcc
	s_cbranch_execz .LBB1485_439
; %bb.438:
	s_lshl_b64 s[4:5], s[22:23], 3
	s_add_u32 s4, s30, s4
	s_addc_u32 s5, s31, s5
	v_mov_b32_e32 v41, 0
	v_lshl_add_u64 v[14:15], v[40:41], 3, s[4:5]
	global_store_dwordx2 v[14:15], v[8:9], off
.LBB1485_439:
	s_or_b64 exec, exec, s[0:1]
	v_cmp_gt_u32_e32 vcc, s2, v38
	s_or_b64 s[4:5], s[34:35], vcc
	s_and_saveexec_b64 s[0:1], s[4:5]
	s_cbranch_execz .LBB1485_442
; %bb.440:
	v_and_b32_e32 v14, 1, v31
	v_cmp_eq_u32_e32 vcc, 1, v14
	s_and_b64 exec, exec, vcc
	s_cbranch_execz .LBB1485_442
; %bb.441:
	s_lshl_b64 s[4:5], s[22:23], 3
	s_add_u32 s4, s30, s4
	s_addc_u32 s5, s31, s5
	v_mov_b32_e32 v39, 0
	v_lshl_add_u64 v[14:15], v[38:39], 3, s[4:5]
	global_store_dwordx2 v[14:15], v[2:3], off
.LBB1485_442:
	;; [unrolled: 18-line block ×3, first 2 shown]
	s_or_b64 exec, exec, s[0:1]
	v_cmp_gt_u32_e32 vcc, s2, v34
	s_or_b64 s[2:3], s[34:35], vcc
	s_and_saveexec_b64 s[0:1], s[2:3]
	s_cbranch_execz .LBB1485_448
; %bb.446:
	v_mov_b32_e32 v14, 1
	v_and_b32_sdwa v14, v14, v31 dst_sel:DWORD dst_unused:UNUSED_PAD src0_sel:DWORD src1_sel:WORD_1
	v_cmp_eq_u32_e32 vcc, 1, v14
	s_and_b64 exec, exec, vcc
	s_cbranch_execz .LBB1485_448
; %bb.447:
	s_lshl_b64 s[2:3], s[22:23], 3
	s_add_u32 s2, s30, s2
	s_addc_u32 s3, s31, s3
	v_mov_b32_e32 v35, 0
	v_lshl_add_u64 v[14:15], v[34:35], 3, s[2:3]
	global_store_dwordx2 v[14:15], v[26:27], off
.LBB1485_448:
	s_or_b64 exec, exec, s[0:1]
	s_branch .LBB1485_425
.LBB1485_449:
	v_cmp_eq_u32_e32 vcc, 1, v48
	s_and_saveexec_b64 s[0:1], vcc
	s_cbranch_execz .LBB1485_451
; %bb.450:
	v_subrev_u32_e32 v14, s16, v46
	v_lshlrev_b32_e32 v14, 3, v14
	ds_write_b64 v14, v[10:11]
.LBB1485_451:
	s_or_b64 exec, exec, s[0:1]
	v_and_b32_e32 v10, 1, v33
	v_cmp_eq_u32_e32 vcc, 1, v10
	s_and_saveexec_b64 s[0:1], vcc
	s_cbranch_execz .LBB1485_453
; %bb.452:
	v_subrev_u32_e32 v10, s16, v44
	v_lshlrev_b32_e32 v10, 3, v10
	ds_write_b64 v10, v[12:13]
.LBB1485_453:
	s_or_b64 exec, exec, s[0:1]
	v_mov_b32_e32 v10, 1
	v_and_b32_sdwa v10, v10, v30 dst_sel:DWORD dst_unused:UNUSED_PAD src0_sel:DWORD src1_sel:WORD_1
	v_cmp_eq_u32_e32 vcc, 1, v10
	s_and_saveexec_b64 s[0:1], vcc
	s_cbranch_execz .LBB1485_455
; %bb.454:
	v_subrev_u32_e32 v10, s16, v42
	v_lshlrev_b32_e32 v10, 3, v10
	ds_write_b64 v10, v[6:7]
.LBB1485_455:
	s_or_b64 exec, exec, s[0:1]
	v_and_b32_e32 v6, 1, v32
	v_cmp_eq_u32_e32 vcc, 1, v6
	s_and_saveexec_b64 s[0:1], vcc
	s_cbranch_execz .LBB1485_457
; %bb.456:
	v_subrev_u32_e32 v6, s16, v40
	v_lshlrev_b32_e32 v6, 3, v6
	ds_write_b64 v6, v[8:9]
.LBB1485_457:
	s_or_b64 exec, exec, s[0:1]
	v_and_b32_e32 v6, 1, v31
	;; [unrolled: 10-line block ×3, first 2 shown]
	v_cmp_eq_u32_e32 vcc, 1, v1
	s_and_saveexec_b64 s[0:1], vcc
	s_cbranch_execz .LBB1485_461
; %bb.460:
	v_subrev_u32_e32 v1, s16, v36
	v_lshlrev_b32_e32 v1, 3, v1
	ds_write_b64 v1, v[4:5]
.LBB1485_461:
	s_or_b64 exec, exec, s[0:1]
	v_mov_b32_e32 v1, 1
	v_and_b32_sdwa v1, v1, v31 dst_sel:DWORD dst_unused:UNUSED_PAD src0_sel:DWORD src1_sel:WORD_1
	v_cmp_eq_u32_e32 vcc, 1, v1
	s_and_saveexec_b64 s[0:1], vcc
	s_cbranch_execz .LBB1485_463
; %bb.462:
	v_subrev_u32_e32 v1, s16, v34
	v_lshlrev_b32_e32 v1, 3, v1
	ds_write_b64 v1, v[26:27]
.LBB1485_463:
	s_or_b64 exec, exec, s[0:1]
	v_cmp_gt_u32_e32 vcc, s26, v0
	s_waitcnt lgkmcnt(0)
	s_barrier
	s_and_saveexec_b64 s[0:1], vcc
	s_cbranch_execz .LBB1485_466
; %bb.464:
	s_mov_b32 s17, 0
	s_lshl_b64 s[2:3], s[22:23], 3
	s_lshl_b64 s[4:5], s[16:17], 3
	s_add_u32 s2, s2, s4
	s_addc_u32 s3, s3, s5
	s_add_u32 s2, s30, s2
	v_lshlrev_b32_e32 v2, 3, v0
	v_mov_b32_e32 v3, 0
	s_addc_u32 s3, s31, s3
	v_lshl_add_u64 v[4:5], s[2:3], 0, v[2:3]
	s_mov_b64 s[2:3], 0
	s_mov_b64 s[4:5], 0x1000
.LBB1485_465:                           ; =>This Inner Loop Header: Depth=1
	ds_read_b64 v[6:7], v2
	v_add_u32_e32 v0, 0x200, v0
	v_cmp_le_u32_e32 vcc, s26, v0
	v_add_u32_e32 v2, 0x1000, v2
	s_or_b64 s[2:3], vcc, s[2:3]
	s_waitcnt lgkmcnt(0)
	global_store_dwordx2 v[4:5], v[6:7], off
	v_lshl_add_u64 v[4:5], v[4:5], 0, s[4:5]
	s_andn2_b64 exec, exec, s[2:3]
	s_cbranch_execnz .LBB1485_465
.LBB1485_466:
	s_or_b64 exec, exec, s[0:1]
	s_and_b64 s[0:1], s[18:19], s[24:25]
	s_and_saveexec_b64 s[2:3], s[0:1]
	s_cbranch_execz .LBB1485_426
.LBB1485_467:
	s_add_u32 s0, s22, s26
	s_addc_u32 s1, s23, 0
	s_add_u32 s0, s0, s16
	s_addc_u32 s1, s1, 0
	v_mov_b32_e32 v2, 0
	v_mov_b64_e32 v[0:1], s[0:1]
	global_store_dwordx2 v2, v[0:1], s[20:21]
	s_endpgm
	.section	.rodata,"a",@progbits
	.p2align	6, 0x0
	.amdhsa_kernel _ZN7rocprim17ROCPRIM_400000_NS6detail17trampoline_kernelINS0_14default_configENS1_25partition_config_selectorILNS1_17partition_subalgoE9EllbEEZZNS1_14partition_implILS5_9ELb0ES3_jPlS8_PNS0_10empty_typeENS0_5tupleIJS8_S9_EEENSB_IJS8_SA_EEENS0_18inequality_wrapperIZN2at6native12_GLOBAL__N_124unique_dim_cuda_templateItEESt5tupleIJNSF_6TensorESK_SK_EERKSK_lbbbEUlllE0_EEPmJS9_EEE10hipError_tPvRmT3_T4_T5_T6_T7_T9_mT8_P12ihipStream_tbDpT10_ENKUlT_T0_E_clISt17integral_constantIbLb0EES19_IbLb1EEEEDaS15_S16_EUlS15_E_NS1_11comp_targetILNS1_3genE5ELNS1_11target_archE942ELNS1_3gpuE9ELNS1_3repE0EEENS1_30default_config_static_selectorELNS0_4arch9wavefront6targetE1EEEvT1_
		.amdhsa_group_segment_fixed_size 28684
		.amdhsa_private_segment_fixed_size 0
		.amdhsa_kernarg_size 136
		.amdhsa_user_sgpr_count 2
		.amdhsa_user_sgpr_dispatch_ptr 0
		.amdhsa_user_sgpr_queue_ptr 0
		.amdhsa_user_sgpr_kernarg_segment_ptr 1
		.amdhsa_user_sgpr_dispatch_id 0
		.amdhsa_user_sgpr_kernarg_preload_length 0
		.amdhsa_user_sgpr_kernarg_preload_offset 0
		.amdhsa_user_sgpr_private_segment_size 0
		.amdhsa_uses_dynamic_stack 0
		.amdhsa_enable_private_segment 0
		.amdhsa_system_sgpr_workgroup_id_x 1
		.amdhsa_system_sgpr_workgroup_id_y 0
		.amdhsa_system_sgpr_workgroup_id_z 0
		.amdhsa_system_sgpr_workgroup_info 0
		.amdhsa_system_vgpr_workitem_id 0
		.amdhsa_next_free_vgpr 66
		.amdhsa_next_free_sgpr 58
		.amdhsa_accum_offset 68
		.amdhsa_reserve_vcc 1
		.amdhsa_float_round_mode_32 0
		.amdhsa_float_round_mode_16_64 0
		.amdhsa_float_denorm_mode_32 3
		.amdhsa_float_denorm_mode_16_64 3
		.amdhsa_dx10_clamp 1
		.amdhsa_ieee_mode 1
		.amdhsa_fp16_overflow 0
		.amdhsa_tg_split 0
		.amdhsa_exception_fp_ieee_invalid_op 0
		.amdhsa_exception_fp_denorm_src 0
		.amdhsa_exception_fp_ieee_div_zero 0
		.amdhsa_exception_fp_ieee_overflow 0
		.amdhsa_exception_fp_ieee_underflow 0
		.amdhsa_exception_fp_ieee_inexact 0
		.amdhsa_exception_int_div_zero 0
	.end_amdhsa_kernel
	.section	.text._ZN7rocprim17ROCPRIM_400000_NS6detail17trampoline_kernelINS0_14default_configENS1_25partition_config_selectorILNS1_17partition_subalgoE9EllbEEZZNS1_14partition_implILS5_9ELb0ES3_jPlS8_PNS0_10empty_typeENS0_5tupleIJS8_S9_EEENSB_IJS8_SA_EEENS0_18inequality_wrapperIZN2at6native12_GLOBAL__N_124unique_dim_cuda_templateItEESt5tupleIJNSF_6TensorESK_SK_EERKSK_lbbbEUlllE0_EEPmJS9_EEE10hipError_tPvRmT3_T4_T5_T6_T7_T9_mT8_P12ihipStream_tbDpT10_ENKUlT_T0_E_clISt17integral_constantIbLb0EES19_IbLb1EEEEDaS15_S16_EUlS15_E_NS1_11comp_targetILNS1_3genE5ELNS1_11target_archE942ELNS1_3gpuE9ELNS1_3repE0EEENS1_30default_config_static_selectorELNS0_4arch9wavefront6targetE1EEEvT1_,"axG",@progbits,_ZN7rocprim17ROCPRIM_400000_NS6detail17trampoline_kernelINS0_14default_configENS1_25partition_config_selectorILNS1_17partition_subalgoE9EllbEEZZNS1_14partition_implILS5_9ELb0ES3_jPlS8_PNS0_10empty_typeENS0_5tupleIJS8_S9_EEENSB_IJS8_SA_EEENS0_18inequality_wrapperIZN2at6native12_GLOBAL__N_124unique_dim_cuda_templateItEESt5tupleIJNSF_6TensorESK_SK_EERKSK_lbbbEUlllE0_EEPmJS9_EEE10hipError_tPvRmT3_T4_T5_T6_T7_T9_mT8_P12ihipStream_tbDpT10_ENKUlT_T0_E_clISt17integral_constantIbLb0EES19_IbLb1EEEEDaS15_S16_EUlS15_E_NS1_11comp_targetILNS1_3genE5ELNS1_11target_archE942ELNS1_3gpuE9ELNS1_3repE0EEENS1_30default_config_static_selectorELNS0_4arch9wavefront6targetE1EEEvT1_,comdat
.Lfunc_end1485:
	.size	_ZN7rocprim17ROCPRIM_400000_NS6detail17trampoline_kernelINS0_14default_configENS1_25partition_config_selectorILNS1_17partition_subalgoE9EllbEEZZNS1_14partition_implILS5_9ELb0ES3_jPlS8_PNS0_10empty_typeENS0_5tupleIJS8_S9_EEENSB_IJS8_SA_EEENS0_18inequality_wrapperIZN2at6native12_GLOBAL__N_124unique_dim_cuda_templateItEESt5tupleIJNSF_6TensorESK_SK_EERKSK_lbbbEUlllE0_EEPmJS9_EEE10hipError_tPvRmT3_T4_T5_T6_T7_T9_mT8_P12ihipStream_tbDpT10_ENKUlT_T0_E_clISt17integral_constantIbLb0EES19_IbLb1EEEEDaS15_S16_EUlS15_E_NS1_11comp_targetILNS1_3genE5ELNS1_11target_archE942ELNS1_3gpuE9ELNS1_3repE0EEENS1_30default_config_static_selectorELNS0_4arch9wavefront6targetE1EEEvT1_, .Lfunc_end1485-_ZN7rocprim17ROCPRIM_400000_NS6detail17trampoline_kernelINS0_14default_configENS1_25partition_config_selectorILNS1_17partition_subalgoE9EllbEEZZNS1_14partition_implILS5_9ELb0ES3_jPlS8_PNS0_10empty_typeENS0_5tupleIJS8_S9_EEENSB_IJS8_SA_EEENS0_18inequality_wrapperIZN2at6native12_GLOBAL__N_124unique_dim_cuda_templateItEESt5tupleIJNSF_6TensorESK_SK_EERKSK_lbbbEUlllE0_EEPmJS9_EEE10hipError_tPvRmT3_T4_T5_T6_T7_T9_mT8_P12ihipStream_tbDpT10_ENKUlT_T0_E_clISt17integral_constantIbLb0EES19_IbLb1EEEEDaS15_S16_EUlS15_E_NS1_11comp_targetILNS1_3genE5ELNS1_11target_archE942ELNS1_3gpuE9ELNS1_3repE0EEENS1_30default_config_static_selectorELNS0_4arch9wavefront6targetE1EEEvT1_
                                        ; -- End function
	.section	.AMDGPU.csdata,"",@progbits
; Kernel info:
; codeLenInByte = 14484
; NumSgprs: 64
; NumVgprs: 66
; NumAgprs: 0
; TotalNumVgprs: 66
; ScratchSize: 0
; MemoryBound: 0
; FloatMode: 240
; IeeeMode: 1
; LDSByteSize: 28684 bytes/workgroup (compile time only)
; SGPRBlocks: 7
; VGPRBlocks: 8
; NumSGPRsForWavesPerEU: 64
; NumVGPRsForWavesPerEU: 66
; AccumOffset: 68
; Occupancy: 4
; WaveLimiterHint : 1
; COMPUTE_PGM_RSRC2:SCRATCH_EN: 0
; COMPUTE_PGM_RSRC2:USER_SGPR: 2
; COMPUTE_PGM_RSRC2:TRAP_HANDLER: 0
; COMPUTE_PGM_RSRC2:TGID_X_EN: 1
; COMPUTE_PGM_RSRC2:TGID_Y_EN: 0
; COMPUTE_PGM_RSRC2:TGID_Z_EN: 0
; COMPUTE_PGM_RSRC2:TIDIG_COMP_CNT: 0
; COMPUTE_PGM_RSRC3_GFX90A:ACCUM_OFFSET: 16
; COMPUTE_PGM_RSRC3_GFX90A:TG_SPLIT: 0
	.section	.text._ZN7rocprim17ROCPRIM_400000_NS6detail17trampoline_kernelINS0_14default_configENS1_25partition_config_selectorILNS1_17partition_subalgoE9EllbEEZZNS1_14partition_implILS5_9ELb0ES3_jPlS8_PNS0_10empty_typeENS0_5tupleIJS8_S9_EEENSB_IJS8_SA_EEENS0_18inequality_wrapperIZN2at6native12_GLOBAL__N_124unique_dim_cuda_templateItEESt5tupleIJNSF_6TensorESK_SK_EERKSK_lbbbEUlllE0_EEPmJS9_EEE10hipError_tPvRmT3_T4_T5_T6_T7_T9_mT8_P12ihipStream_tbDpT10_ENKUlT_T0_E_clISt17integral_constantIbLb0EES19_IbLb1EEEEDaS15_S16_EUlS15_E_NS1_11comp_targetILNS1_3genE4ELNS1_11target_archE910ELNS1_3gpuE8ELNS1_3repE0EEENS1_30default_config_static_selectorELNS0_4arch9wavefront6targetE1EEEvT1_,"axG",@progbits,_ZN7rocprim17ROCPRIM_400000_NS6detail17trampoline_kernelINS0_14default_configENS1_25partition_config_selectorILNS1_17partition_subalgoE9EllbEEZZNS1_14partition_implILS5_9ELb0ES3_jPlS8_PNS0_10empty_typeENS0_5tupleIJS8_S9_EEENSB_IJS8_SA_EEENS0_18inequality_wrapperIZN2at6native12_GLOBAL__N_124unique_dim_cuda_templateItEESt5tupleIJNSF_6TensorESK_SK_EERKSK_lbbbEUlllE0_EEPmJS9_EEE10hipError_tPvRmT3_T4_T5_T6_T7_T9_mT8_P12ihipStream_tbDpT10_ENKUlT_T0_E_clISt17integral_constantIbLb0EES19_IbLb1EEEEDaS15_S16_EUlS15_E_NS1_11comp_targetILNS1_3genE4ELNS1_11target_archE910ELNS1_3gpuE8ELNS1_3repE0EEENS1_30default_config_static_selectorELNS0_4arch9wavefront6targetE1EEEvT1_,comdat
	.globl	_ZN7rocprim17ROCPRIM_400000_NS6detail17trampoline_kernelINS0_14default_configENS1_25partition_config_selectorILNS1_17partition_subalgoE9EllbEEZZNS1_14partition_implILS5_9ELb0ES3_jPlS8_PNS0_10empty_typeENS0_5tupleIJS8_S9_EEENSB_IJS8_SA_EEENS0_18inequality_wrapperIZN2at6native12_GLOBAL__N_124unique_dim_cuda_templateItEESt5tupleIJNSF_6TensorESK_SK_EERKSK_lbbbEUlllE0_EEPmJS9_EEE10hipError_tPvRmT3_T4_T5_T6_T7_T9_mT8_P12ihipStream_tbDpT10_ENKUlT_T0_E_clISt17integral_constantIbLb0EES19_IbLb1EEEEDaS15_S16_EUlS15_E_NS1_11comp_targetILNS1_3genE4ELNS1_11target_archE910ELNS1_3gpuE8ELNS1_3repE0EEENS1_30default_config_static_selectorELNS0_4arch9wavefront6targetE1EEEvT1_ ; -- Begin function _ZN7rocprim17ROCPRIM_400000_NS6detail17trampoline_kernelINS0_14default_configENS1_25partition_config_selectorILNS1_17partition_subalgoE9EllbEEZZNS1_14partition_implILS5_9ELb0ES3_jPlS8_PNS0_10empty_typeENS0_5tupleIJS8_S9_EEENSB_IJS8_SA_EEENS0_18inequality_wrapperIZN2at6native12_GLOBAL__N_124unique_dim_cuda_templateItEESt5tupleIJNSF_6TensorESK_SK_EERKSK_lbbbEUlllE0_EEPmJS9_EEE10hipError_tPvRmT3_T4_T5_T6_T7_T9_mT8_P12ihipStream_tbDpT10_ENKUlT_T0_E_clISt17integral_constantIbLb0EES19_IbLb1EEEEDaS15_S16_EUlS15_E_NS1_11comp_targetILNS1_3genE4ELNS1_11target_archE910ELNS1_3gpuE8ELNS1_3repE0EEENS1_30default_config_static_selectorELNS0_4arch9wavefront6targetE1EEEvT1_
	.p2align	8
	.type	_ZN7rocprim17ROCPRIM_400000_NS6detail17trampoline_kernelINS0_14default_configENS1_25partition_config_selectorILNS1_17partition_subalgoE9EllbEEZZNS1_14partition_implILS5_9ELb0ES3_jPlS8_PNS0_10empty_typeENS0_5tupleIJS8_S9_EEENSB_IJS8_SA_EEENS0_18inequality_wrapperIZN2at6native12_GLOBAL__N_124unique_dim_cuda_templateItEESt5tupleIJNSF_6TensorESK_SK_EERKSK_lbbbEUlllE0_EEPmJS9_EEE10hipError_tPvRmT3_T4_T5_T6_T7_T9_mT8_P12ihipStream_tbDpT10_ENKUlT_T0_E_clISt17integral_constantIbLb0EES19_IbLb1EEEEDaS15_S16_EUlS15_E_NS1_11comp_targetILNS1_3genE4ELNS1_11target_archE910ELNS1_3gpuE8ELNS1_3repE0EEENS1_30default_config_static_selectorELNS0_4arch9wavefront6targetE1EEEvT1_,@function
_ZN7rocprim17ROCPRIM_400000_NS6detail17trampoline_kernelINS0_14default_configENS1_25partition_config_selectorILNS1_17partition_subalgoE9EllbEEZZNS1_14partition_implILS5_9ELb0ES3_jPlS8_PNS0_10empty_typeENS0_5tupleIJS8_S9_EEENSB_IJS8_SA_EEENS0_18inequality_wrapperIZN2at6native12_GLOBAL__N_124unique_dim_cuda_templateItEESt5tupleIJNSF_6TensorESK_SK_EERKSK_lbbbEUlllE0_EEPmJS9_EEE10hipError_tPvRmT3_T4_T5_T6_T7_T9_mT8_P12ihipStream_tbDpT10_ENKUlT_T0_E_clISt17integral_constantIbLb0EES19_IbLb1EEEEDaS15_S16_EUlS15_E_NS1_11comp_targetILNS1_3genE4ELNS1_11target_archE910ELNS1_3gpuE8ELNS1_3repE0EEENS1_30default_config_static_selectorELNS0_4arch9wavefront6targetE1EEEvT1_: ; @_ZN7rocprim17ROCPRIM_400000_NS6detail17trampoline_kernelINS0_14default_configENS1_25partition_config_selectorILNS1_17partition_subalgoE9EllbEEZZNS1_14partition_implILS5_9ELb0ES3_jPlS8_PNS0_10empty_typeENS0_5tupleIJS8_S9_EEENSB_IJS8_SA_EEENS0_18inequality_wrapperIZN2at6native12_GLOBAL__N_124unique_dim_cuda_templateItEESt5tupleIJNSF_6TensorESK_SK_EERKSK_lbbbEUlllE0_EEPmJS9_EEE10hipError_tPvRmT3_T4_T5_T6_T7_T9_mT8_P12ihipStream_tbDpT10_ENKUlT_T0_E_clISt17integral_constantIbLb0EES19_IbLb1EEEEDaS15_S16_EUlS15_E_NS1_11comp_targetILNS1_3genE4ELNS1_11target_archE910ELNS1_3gpuE8ELNS1_3repE0EEENS1_30default_config_static_selectorELNS0_4arch9wavefront6targetE1EEEvT1_
; %bb.0:
	.section	.rodata,"a",@progbits
	.p2align	6, 0x0
	.amdhsa_kernel _ZN7rocprim17ROCPRIM_400000_NS6detail17trampoline_kernelINS0_14default_configENS1_25partition_config_selectorILNS1_17partition_subalgoE9EllbEEZZNS1_14partition_implILS5_9ELb0ES3_jPlS8_PNS0_10empty_typeENS0_5tupleIJS8_S9_EEENSB_IJS8_SA_EEENS0_18inequality_wrapperIZN2at6native12_GLOBAL__N_124unique_dim_cuda_templateItEESt5tupleIJNSF_6TensorESK_SK_EERKSK_lbbbEUlllE0_EEPmJS9_EEE10hipError_tPvRmT3_T4_T5_T6_T7_T9_mT8_P12ihipStream_tbDpT10_ENKUlT_T0_E_clISt17integral_constantIbLb0EES19_IbLb1EEEEDaS15_S16_EUlS15_E_NS1_11comp_targetILNS1_3genE4ELNS1_11target_archE910ELNS1_3gpuE8ELNS1_3repE0EEENS1_30default_config_static_selectorELNS0_4arch9wavefront6targetE1EEEvT1_
		.amdhsa_group_segment_fixed_size 0
		.amdhsa_private_segment_fixed_size 0
		.amdhsa_kernarg_size 136
		.amdhsa_user_sgpr_count 2
		.amdhsa_user_sgpr_dispatch_ptr 0
		.amdhsa_user_sgpr_queue_ptr 0
		.amdhsa_user_sgpr_kernarg_segment_ptr 1
		.amdhsa_user_sgpr_dispatch_id 0
		.amdhsa_user_sgpr_kernarg_preload_length 0
		.amdhsa_user_sgpr_kernarg_preload_offset 0
		.amdhsa_user_sgpr_private_segment_size 0
		.amdhsa_uses_dynamic_stack 0
		.amdhsa_enable_private_segment 0
		.amdhsa_system_sgpr_workgroup_id_x 1
		.amdhsa_system_sgpr_workgroup_id_y 0
		.amdhsa_system_sgpr_workgroup_id_z 0
		.amdhsa_system_sgpr_workgroup_info 0
		.amdhsa_system_vgpr_workitem_id 0
		.amdhsa_next_free_vgpr 1
		.amdhsa_next_free_sgpr 0
		.amdhsa_accum_offset 4
		.amdhsa_reserve_vcc 0
		.amdhsa_float_round_mode_32 0
		.amdhsa_float_round_mode_16_64 0
		.amdhsa_float_denorm_mode_32 3
		.amdhsa_float_denorm_mode_16_64 3
		.amdhsa_dx10_clamp 1
		.amdhsa_ieee_mode 1
		.amdhsa_fp16_overflow 0
		.amdhsa_tg_split 0
		.amdhsa_exception_fp_ieee_invalid_op 0
		.amdhsa_exception_fp_denorm_src 0
		.amdhsa_exception_fp_ieee_div_zero 0
		.amdhsa_exception_fp_ieee_overflow 0
		.amdhsa_exception_fp_ieee_underflow 0
		.amdhsa_exception_fp_ieee_inexact 0
		.amdhsa_exception_int_div_zero 0
	.end_amdhsa_kernel
	.section	.text._ZN7rocprim17ROCPRIM_400000_NS6detail17trampoline_kernelINS0_14default_configENS1_25partition_config_selectorILNS1_17partition_subalgoE9EllbEEZZNS1_14partition_implILS5_9ELb0ES3_jPlS8_PNS0_10empty_typeENS0_5tupleIJS8_S9_EEENSB_IJS8_SA_EEENS0_18inequality_wrapperIZN2at6native12_GLOBAL__N_124unique_dim_cuda_templateItEESt5tupleIJNSF_6TensorESK_SK_EERKSK_lbbbEUlllE0_EEPmJS9_EEE10hipError_tPvRmT3_T4_T5_T6_T7_T9_mT8_P12ihipStream_tbDpT10_ENKUlT_T0_E_clISt17integral_constantIbLb0EES19_IbLb1EEEEDaS15_S16_EUlS15_E_NS1_11comp_targetILNS1_3genE4ELNS1_11target_archE910ELNS1_3gpuE8ELNS1_3repE0EEENS1_30default_config_static_selectorELNS0_4arch9wavefront6targetE1EEEvT1_,"axG",@progbits,_ZN7rocprim17ROCPRIM_400000_NS6detail17trampoline_kernelINS0_14default_configENS1_25partition_config_selectorILNS1_17partition_subalgoE9EllbEEZZNS1_14partition_implILS5_9ELb0ES3_jPlS8_PNS0_10empty_typeENS0_5tupleIJS8_S9_EEENSB_IJS8_SA_EEENS0_18inequality_wrapperIZN2at6native12_GLOBAL__N_124unique_dim_cuda_templateItEESt5tupleIJNSF_6TensorESK_SK_EERKSK_lbbbEUlllE0_EEPmJS9_EEE10hipError_tPvRmT3_T4_T5_T6_T7_T9_mT8_P12ihipStream_tbDpT10_ENKUlT_T0_E_clISt17integral_constantIbLb0EES19_IbLb1EEEEDaS15_S16_EUlS15_E_NS1_11comp_targetILNS1_3genE4ELNS1_11target_archE910ELNS1_3gpuE8ELNS1_3repE0EEENS1_30default_config_static_selectorELNS0_4arch9wavefront6targetE1EEEvT1_,comdat
.Lfunc_end1486:
	.size	_ZN7rocprim17ROCPRIM_400000_NS6detail17trampoline_kernelINS0_14default_configENS1_25partition_config_selectorILNS1_17partition_subalgoE9EllbEEZZNS1_14partition_implILS5_9ELb0ES3_jPlS8_PNS0_10empty_typeENS0_5tupleIJS8_S9_EEENSB_IJS8_SA_EEENS0_18inequality_wrapperIZN2at6native12_GLOBAL__N_124unique_dim_cuda_templateItEESt5tupleIJNSF_6TensorESK_SK_EERKSK_lbbbEUlllE0_EEPmJS9_EEE10hipError_tPvRmT3_T4_T5_T6_T7_T9_mT8_P12ihipStream_tbDpT10_ENKUlT_T0_E_clISt17integral_constantIbLb0EES19_IbLb1EEEEDaS15_S16_EUlS15_E_NS1_11comp_targetILNS1_3genE4ELNS1_11target_archE910ELNS1_3gpuE8ELNS1_3repE0EEENS1_30default_config_static_selectorELNS0_4arch9wavefront6targetE1EEEvT1_, .Lfunc_end1486-_ZN7rocprim17ROCPRIM_400000_NS6detail17trampoline_kernelINS0_14default_configENS1_25partition_config_selectorILNS1_17partition_subalgoE9EllbEEZZNS1_14partition_implILS5_9ELb0ES3_jPlS8_PNS0_10empty_typeENS0_5tupleIJS8_S9_EEENSB_IJS8_SA_EEENS0_18inequality_wrapperIZN2at6native12_GLOBAL__N_124unique_dim_cuda_templateItEESt5tupleIJNSF_6TensorESK_SK_EERKSK_lbbbEUlllE0_EEPmJS9_EEE10hipError_tPvRmT3_T4_T5_T6_T7_T9_mT8_P12ihipStream_tbDpT10_ENKUlT_T0_E_clISt17integral_constantIbLb0EES19_IbLb1EEEEDaS15_S16_EUlS15_E_NS1_11comp_targetILNS1_3genE4ELNS1_11target_archE910ELNS1_3gpuE8ELNS1_3repE0EEENS1_30default_config_static_selectorELNS0_4arch9wavefront6targetE1EEEvT1_
                                        ; -- End function
	.section	.AMDGPU.csdata,"",@progbits
; Kernel info:
; codeLenInByte = 0
; NumSgprs: 6
; NumVgprs: 0
; NumAgprs: 0
; TotalNumVgprs: 0
; ScratchSize: 0
; MemoryBound: 0
; FloatMode: 240
; IeeeMode: 1
; LDSByteSize: 0 bytes/workgroup (compile time only)
; SGPRBlocks: 0
; VGPRBlocks: 0
; NumSGPRsForWavesPerEU: 6
; NumVGPRsForWavesPerEU: 1
; AccumOffset: 4
; Occupancy: 8
; WaveLimiterHint : 0
; COMPUTE_PGM_RSRC2:SCRATCH_EN: 0
; COMPUTE_PGM_RSRC2:USER_SGPR: 2
; COMPUTE_PGM_RSRC2:TRAP_HANDLER: 0
; COMPUTE_PGM_RSRC2:TGID_X_EN: 1
; COMPUTE_PGM_RSRC2:TGID_Y_EN: 0
; COMPUTE_PGM_RSRC2:TGID_Z_EN: 0
; COMPUTE_PGM_RSRC2:TIDIG_COMP_CNT: 0
; COMPUTE_PGM_RSRC3_GFX90A:ACCUM_OFFSET: 0
; COMPUTE_PGM_RSRC3_GFX90A:TG_SPLIT: 0
	.section	.text._ZN7rocprim17ROCPRIM_400000_NS6detail17trampoline_kernelINS0_14default_configENS1_25partition_config_selectorILNS1_17partition_subalgoE9EllbEEZZNS1_14partition_implILS5_9ELb0ES3_jPlS8_PNS0_10empty_typeENS0_5tupleIJS8_S9_EEENSB_IJS8_SA_EEENS0_18inequality_wrapperIZN2at6native12_GLOBAL__N_124unique_dim_cuda_templateItEESt5tupleIJNSF_6TensorESK_SK_EERKSK_lbbbEUlllE0_EEPmJS9_EEE10hipError_tPvRmT3_T4_T5_T6_T7_T9_mT8_P12ihipStream_tbDpT10_ENKUlT_T0_E_clISt17integral_constantIbLb0EES19_IbLb1EEEEDaS15_S16_EUlS15_E_NS1_11comp_targetILNS1_3genE3ELNS1_11target_archE908ELNS1_3gpuE7ELNS1_3repE0EEENS1_30default_config_static_selectorELNS0_4arch9wavefront6targetE1EEEvT1_,"axG",@progbits,_ZN7rocprim17ROCPRIM_400000_NS6detail17trampoline_kernelINS0_14default_configENS1_25partition_config_selectorILNS1_17partition_subalgoE9EllbEEZZNS1_14partition_implILS5_9ELb0ES3_jPlS8_PNS0_10empty_typeENS0_5tupleIJS8_S9_EEENSB_IJS8_SA_EEENS0_18inequality_wrapperIZN2at6native12_GLOBAL__N_124unique_dim_cuda_templateItEESt5tupleIJNSF_6TensorESK_SK_EERKSK_lbbbEUlllE0_EEPmJS9_EEE10hipError_tPvRmT3_T4_T5_T6_T7_T9_mT8_P12ihipStream_tbDpT10_ENKUlT_T0_E_clISt17integral_constantIbLb0EES19_IbLb1EEEEDaS15_S16_EUlS15_E_NS1_11comp_targetILNS1_3genE3ELNS1_11target_archE908ELNS1_3gpuE7ELNS1_3repE0EEENS1_30default_config_static_selectorELNS0_4arch9wavefront6targetE1EEEvT1_,comdat
	.globl	_ZN7rocprim17ROCPRIM_400000_NS6detail17trampoline_kernelINS0_14default_configENS1_25partition_config_selectorILNS1_17partition_subalgoE9EllbEEZZNS1_14partition_implILS5_9ELb0ES3_jPlS8_PNS0_10empty_typeENS0_5tupleIJS8_S9_EEENSB_IJS8_SA_EEENS0_18inequality_wrapperIZN2at6native12_GLOBAL__N_124unique_dim_cuda_templateItEESt5tupleIJNSF_6TensorESK_SK_EERKSK_lbbbEUlllE0_EEPmJS9_EEE10hipError_tPvRmT3_T4_T5_T6_T7_T9_mT8_P12ihipStream_tbDpT10_ENKUlT_T0_E_clISt17integral_constantIbLb0EES19_IbLb1EEEEDaS15_S16_EUlS15_E_NS1_11comp_targetILNS1_3genE3ELNS1_11target_archE908ELNS1_3gpuE7ELNS1_3repE0EEENS1_30default_config_static_selectorELNS0_4arch9wavefront6targetE1EEEvT1_ ; -- Begin function _ZN7rocprim17ROCPRIM_400000_NS6detail17trampoline_kernelINS0_14default_configENS1_25partition_config_selectorILNS1_17partition_subalgoE9EllbEEZZNS1_14partition_implILS5_9ELb0ES3_jPlS8_PNS0_10empty_typeENS0_5tupleIJS8_S9_EEENSB_IJS8_SA_EEENS0_18inequality_wrapperIZN2at6native12_GLOBAL__N_124unique_dim_cuda_templateItEESt5tupleIJNSF_6TensorESK_SK_EERKSK_lbbbEUlllE0_EEPmJS9_EEE10hipError_tPvRmT3_T4_T5_T6_T7_T9_mT8_P12ihipStream_tbDpT10_ENKUlT_T0_E_clISt17integral_constantIbLb0EES19_IbLb1EEEEDaS15_S16_EUlS15_E_NS1_11comp_targetILNS1_3genE3ELNS1_11target_archE908ELNS1_3gpuE7ELNS1_3repE0EEENS1_30default_config_static_selectorELNS0_4arch9wavefront6targetE1EEEvT1_
	.p2align	8
	.type	_ZN7rocprim17ROCPRIM_400000_NS6detail17trampoline_kernelINS0_14default_configENS1_25partition_config_selectorILNS1_17partition_subalgoE9EllbEEZZNS1_14partition_implILS5_9ELb0ES3_jPlS8_PNS0_10empty_typeENS0_5tupleIJS8_S9_EEENSB_IJS8_SA_EEENS0_18inequality_wrapperIZN2at6native12_GLOBAL__N_124unique_dim_cuda_templateItEESt5tupleIJNSF_6TensorESK_SK_EERKSK_lbbbEUlllE0_EEPmJS9_EEE10hipError_tPvRmT3_T4_T5_T6_T7_T9_mT8_P12ihipStream_tbDpT10_ENKUlT_T0_E_clISt17integral_constantIbLb0EES19_IbLb1EEEEDaS15_S16_EUlS15_E_NS1_11comp_targetILNS1_3genE3ELNS1_11target_archE908ELNS1_3gpuE7ELNS1_3repE0EEENS1_30default_config_static_selectorELNS0_4arch9wavefront6targetE1EEEvT1_,@function
_ZN7rocprim17ROCPRIM_400000_NS6detail17trampoline_kernelINS0_14default_configENS1_25partition_config_selectorILNS1_17partition_subalgoE9EllbEEZZNS1_14partition_implILS5_9ELb0ES3_jPlS8_PNS0_10empty_typeENS0_5tupleIJS8_S9_EEENSB_IJS8_SA_EEENS0_18inequality_wrapperIZN2at6native12_GLOBAL__N_124unique_dim_cuda_templateItEESt5tupleIJNSF_6TensorESK_SK_EERKSK_lbbbEUlllE0_EEPmJS9_EEE10hipError_tPvRmT3_T4_T5_T6_T7_T9_mT8_P12ihipStream_tbDpT10_ENKUlT_T0_E_clISt17integral_constantIbLb0EES19_IbLb1EEEEDaS15_S16_EUlS15_E_NS1_11comp_targetILNS1_3genE3ELNS1_11target_archE908ELNS1_3gpuE7ELNS1_3repE0EEENS1_30default_config_static_selectorELNS0_4arch9wavefront6targetE1EEEvT1_: ; @_ZN7rocprim17ROCPRIM_400000_NS6detail17trampoline_kernelINS0_14default_configENS1_25partition_config_selectorILNS1_17partition_subalgoE9EllbEEZZNS1_14partition_implILS5_9ELb0ES3_jPlS8_PNS0_10empty_typeENS0_5tupleIJS8_S9_EEENSB_IJS8_SA_EEENS0_18inequality_wrapperIZN2at6native12_GLOBAL__N_124unique_dim_cuda_templateItEESt5tupleIJNSF_6TensorESK_SK_EERKSK_lbbbEUlllE0_EEPmJS9_EEE10hipError_tPvRmT3_T4_T5_T6_T7_T9_mT8_P12ihipStream_tbDpT10_ENKUlT_T0_E_clISt17integral_constantIbLb0EES19_IbLb1EEEEDaS15_S16_EUlS15_E_NS1_11comp_targetILNS1_3genE3ELNS1_11target_archE908ELNS1_3gpuE7ELNS1_3repE0EEENS1_30default_config_static_selectorELNS0_4arch9wavefront6targetE1EEEvT1_
; %bb.0:
	.section	.rodata,"a",@progbits
	.p2align	6, 0x0
	.amdhsa_kernel _ZN7rocprim17ROCPRIM_400000_NS6detail17trampoline_kernelINS0_14default_configENS1_25partition_config_selectorILNS1_17partition_subalgoE9EllbEEZZNS1_14partition_implILS5_9ELb0ES3_jPlS8_PNS0_10empty_typeENS0_5tupleIJS8_S9_EEENSB_IJS8_SA_EEENS0_18inequality_wrapperIZN2at6native12_GLOBAL__N_124unique_dim_cuda_templateItEESt5tupleIJNSF_6TensorESK_SK_EERKSK_lbbbEUlllE0_EEPmJS9_EEE10hipError_tPvRmT3_T4_T5_T6_T7_T9_mT8_P12ihipStream_tbDpT10_ENKUlT_T0_E_clISt17integral_constantIbLb0EES19_IbLb1EEEEDaS15_S16_EUlS15_E_NS1_11comp_targetILNS1_3genE3ELNS1_11target_archE908ELNS1_3gpuE7ELNS1_3repE0EEENS1_30default_config_static_selectorELNS0_4arch9wavefront6targetE1EEEvT1_
		.amdhsa_group_segment_fixed_size 0
		.amdhsa_private_segment_fixed_size 0
		.amdhsa_kernarg_size 136
		.amdhsa_user_sgpr_count 2
		.amdhsa_user_sgpr_dispatch_ptr 0
		.amdhsa_user_sgpr_queue_ptr 0
		.amdhsa_user_sgpr_kernarg_segment_ptr 1
		.amdhsa_user_sgpr_dispatch_id 0
		.amdhsa_user_sgpr_kernarg_preload_length 0
		.amdhsa_user_sgpr_kernarg_preload_offset 0
		.amdhsa_user_sgpr_private_segment_size 0
		.amdhsa_uses_dynamic_stack 0
		.amdhsa_enable_private_segment 0
		.amdhsa_system_sgpr_workgroup_id_x 1
		.amdhsa_system_sgpr_workgroup_id_y 0
		.amdhsa_system_sgpr_workgroup_id_z 0
		.amdhsa_system_sgpr_workgroup_info 0
		.amdhsa_system_vgpr_workitem_id 0
		.amdhsa_next_free_vgpr 1
		.amdhsa_next_free_sgpr 0
		.amdhsa_accum_offset 4
		.amdhsa_reserve_vcc 0
		.amdhsa_float_round_mode_32 0
		.amdhsa_float_round_mode_16_64 0
		.amdhsa_float_denorm_mode_32 3
		.amdhsa_float_denorm_mode_16_64 3
		.amdhsa_dx10_clamp 1
		.amdhsa_ieee_mode 1
		.amdhsa_fp16_overflow 0
		.amdhsa_tg_split 0
		.amdhsa_exception_fp_ieee_invalid_op 0
		.amdhsa_exception_fp_denorm_src 0
		.amdhsa_exception_fp_ieee_div_zero 0
		.amdhsa_exception_fp_ieee_overflow 0
		.amdhsa_exception_fp_ieee_underflow 0
		.amdhsa_exception_fp_ieee_inexact 0
		.amdhsa_exception_int_div_zero 0
	.end_amdhsa_kernel
	.section	.text._ZN7rocprim17ROCPRIM_400000_NS6detail17trampoline_kernelINS0_14default_configENS1_25partition_config_selectorILNS1_17partition_subalgoE9EllbEEZZNS1_14partition_implILS5_9ELb0ES3_jPlS8_PNS0_10empty_typeENS0_5tupleIJS8_S9_EEENSB_IJS8_SA_EEENS0_18inequality_wrapperIZN2at6native12_GLOBAL__N_124unique_dim_cuda_templateItEESt5tupleIJNSF_6TensorESK_SK_EERKSK_lbbbEUlllE0_EEPmJS9_EEE10hipError_tPvRmT3_T4_T5_T6_T7_T9_mT8_P12ihipStream_tbDpT10_ENKUlT_T0_E_clISt17integral_constantIbLb0EES19_IbLb1EEEEDaS15_S16_EUlS15_E_NS1_11comp_targetILNS1_3genE3ELNS1_11target_archE908ELNS1_3gpuE7ELNS1_3repE0EEENS1_30default_config_static_selectorELNS0_4arch9wavefront6targetE1EEEvT1_,"axG",@progbits,_ZN7rocprim17ROCPRIM_400000_NS6detail17trampoline_kernelINS0_14default_configENS1_25partition_config_selectorILNS1_17partition_subalgoE9EllbEEZZNS1_14partition_implILS5_9ELb0ES3_jPlS8_PNS0_10empty_typeENS0_5tupleIJS8_S9_EEENSB_IJS8_SA_EEENS0_18inequality_wrapperIZN2at6native12_GLOBAL__N_124unique_dim_cuda_templateItEESt5tupleIJNSF_6TensorESK_SK_EERKSK_lbbbEUlllE0_EEPmJS9_EEE10hipError_tPvRmT3_T4_T5_T6_T7_T9_mT8_P12ihipStream_tbDpT10_ENKUlT_T0_E_clISt17integral_constantIbLb0EES19_IbLb1EEEEDaS15_S16_EUlS15_E_NS1_11comp_targetILNS1_3genE3ELNS1_11target_archE908ELNS1_3gpuE7ELNS1_3repE0EEENS1_30default_config_static_selectorELNS0_4arch9wavefront6targetE1EEEvT1_,comdat
.Lfunc_end1487:
	.size	_ZN7rocprim17ROCPRIM_400000_NS6detail17trampoline_kernelINS0_14default_configENS1_25partition_config_selectorILNS1_17partition_subalgoE9EllbEEZZNS1_14partition_implILS5_9ELb0ES3_jPlS8_PNS0_10empty_typeENS0_5tupleIJS8_S9_EEENSB_IJS8_SA_EEENS0_18inequality_wrapperIZN2at6native12_GLOBAL__N_124unique_dim_cuda_templateItEESt5tupleIJNSF_6TensorESK_SK_EERKSK_lbbbEUlllE0_EEPmJS9_EEE10hipError_tPvRmT3_T4_T5_T6_T7_T9_mT8_P12ihipStream_tbDpT10_ENKUlT_T0_E_clISt17integral_constantIbLb0EES19_IbLb1EEEEDaS15_S16_EUlS15_E_NS1_11comp_targetILNS1_3genE3ELNS1_11target_archE908ELNS1_3gpuE7ELNS1_3repE0EEENS1_30default_config_static_selectorELNS0_4arch9wavefront6targetE1EEEvT1_, .Lfunc_end1487-_ZN7rocprim17ROCPRIM_400000_NS6detail17trampoline_kernelINS0_14default_configENS1_25partition_config_selectorILNS1_17partition_subalgoE9EllbEEZZNS1_14partition_implILS5_9ELb0ES3_jPlS8_PNS0_10empty_typeENS0_5tupleIJS8_S9_EEENSB_IJS8_SA_EEENS0_18inequality_wrapperIZN2at6native12_GLOBAL__N_124unique_dim_cuda_templateItEESt5tupleIJNSF_6TensorESK_SK_EERKSK_lbbbEUlllE0_EEPmJS9_EEE10hipError_tPvRmT3_T4_T5_T6_T7_T9_mT8_P12ihipStream_tbDpT10_ENKUlT_T0_E_clISt17integral_constantIbLb0EES19_IbLb1EEEEDaS15_S16_EUlS15_E_NS1_11comp_targetILNS1_3genE3ELNS1_11target_archE908ELNS1_3gpuE7ELNS1_3repE0EEENS1_30default_config_static_selectorELNS0_4arch9wavefront6targetE1EEEvT1_
                                        ; -- End function
	.section	.AMDGPU.csdata,"",@progbits
; Kernel info:
; codeLenInByte = 0
; NumSgprs: 6
; NumVgprs: 0
; NumAgprs: 0
; TotalNumVgprs: 0
; ScratchSize: 0
; MemoryBound: 0
; FloatMode: 240
; IeeeMode: 1
; LDSByteSize: 0 bytes/workgroup (compile time only)
; SGPRBlocks: 0
; VGPRBlocks: 0
; NumSGPRsForWavesPerEU: 6
; NumVGPRsForWavesPerEU: 1
; AccumOffset: 4
; Occupancy: 8
; WaveLimiterHint : 0
; COMPUTE_PGM_RSRC2:SCRATCH_EN: 0
; COMPUTE_PGM_RSRC2:USER_SGPR: 2
; COMPUTE_PGM_RSRC2:TRAP_HANDLER: 0
; COMPUTE_PGM_RSRC2:TGID_X_EN: 1
; COMPUTE_PGM_RSRC2:TGID_Y_EN: 0
; COMPUTE_PGM_RSRC2:TGID_Z_EN: 0
; COMPUTE_PGM_RSRC2:TIDIG_COMP_CNT: 0
; COMPUTE_PGM_RSRC3_GFX90A:ACCUM_OFFSET: 0
; COMPUTE_PGM_RSRC3_GFX90A:TG_SPLIT: 0
	.section	.text._ZN7rocprim17ROCPRIM_400000_NS6detail17trampoline_kernelINS0_14default_configENS1_25partition_config_selectorILNS1_17partition_subalgoE9EllbEEZZNS1_14partition_implILS5_9ELb0ES3_jPlS8_PNS0_10empty_typeENS0_5tupleIJS8_S9_EEENSB_IJS8_SA_EEENS0_18inequality_wrapperIZN2at6native12_GLOBAL__N_124unique_dim_cuda_templateItEESt5tupleIJNSF_6TensorESK_SK_EERKSK_lbbbEUlllE0_EEPmJS9_EEE10hipError_tPvRmT3_T4_T5_T6_T7_T9_mT8_P12ihipStream_tbDpT10_ENKUlT_T0_E_clISt17integral_constantIbLb0EES19_IbLb1EEEEDaS15_S16_EUlS15_E_NS1_11comp_targetILNS1_3genE2ELNS1_11target_archE906ELNS1_3gpuE6ELNS1_3repE0EEENS1_30default_config_static_selectorELNS0_4arch9wavefront6targetE1EEEvT1_,"axG",@progbits,_ZN7rocprim17ROCPRIM_400000_NS6detail17trampoline_kernelINS0_14default_configENS1_25partition_config_selectorILNS1_17partition_subalgoE9EllbEEZZNS1_14partition_implILS5_9ELb0ES3_jPlS8_PNS0_10empty_typeENS0_5tupleIJS8_S9_EEENSB_IJS8_SA_EEENS0_18inequality_wrapperIZN2at6native12_GLOBAL__N_124unique_dim_cuda_templateItEESt5tupleIJNSF_6TensorESK_SK_EERKSK_lbbbEUlllE0_EEPmJS9_EEE10hipError_tPvRmT3_T4_T5_T6_T7_T9_mT8_P12ihipStream_tbDpT10_ENKUlT_T0_E_clISt17integral_constantIbLb0EES19_IbLb1EEEEDaS15_S16_EUlS15_E_NS1_11comp_targetILNS1_3genE2ELNS1_11target_archE906ELNS1_3gpuE6ELNS1_3repE0EEENS1_30default_config_static_selectorELNS0_4arch9wavefront6targetE1EEEvT1_,comdat
	.globl	_ZN7rocprim17ROCPRIM_400000_NS6detail17trampoline_kernelINS0_14default_configENS1_25partition_config_selectorILNS1_17partition_subalgoE9EllbEEZZNS1_14partition_implILS5_9ELb0ES3_jPlS8_PNS0_10empty_typeENS0_5tupleIJS8_S9_EEENSB_IJS8_SA_EEENS0_18inequality_wrapperIZN2at6native12_GLOBAL__N_124unique_dim_cuda_templateItEESt5tupleIJNSF_6TensorESK_SK_EERKSK_lbbbEUlllE0_EEPmJS9_EEE10hipError_tPvRmT3_T4_T5_T6_T7_T9_mT8_P12ihipStream_tbDpT10_ENKUlT_T0_E_clISt17integral_constantIbLb0EES19_IbLb1EEEEDaS15_S16_EUlS15_E_NS1_11comp_targetILNS1_3genE2ELNS1_11target_archE906ELNS1_3gpuE6ELNS1_3repE0EEENS1_30default_config_static_selectorELNS0_4arch9wavefront6targetE1EEEvT1_ ; -- Begin function _ZN7rocprim17ROCPRIM_400000_NS6detail17trampoline_kernelINS0_14default_configENS1_25partition_config_selectorILNS1_17partition_subalgoE9EllbEEZZNS1_14partition_implILS5_9ELb0ES3_jPlS8_PNS0_10empty_typeENS0_5tupleIJS8_S9_EEENSB_IJS8_SA_EEENS0_18inequality_wrapperIZN2at6native12_GLOBAL__N_124unique_dim_cuda_templateItEESt5tupleIJNSF_6TensorESK_SK_EERKSK_lbbbEUlllE0_EEPmJS9_EEE10hipError_tPvRmT3_T4_T5_T6_T7_T9_mT8_P12ihipStream_tbDpT10_ENKUlT_T0_E_clISt17integral_constantIbLb0EES19_IbLb1EEEEDaS15_S16_EUlS15_E_NS1_11comp_targetILNS1_3genE2ELNS1_11target_archE906ELNS1_3gpuE6ELNS1_3repE0EEENS1_30default_config_static_selectorELNS0_4arch9wavefront6targetE1EEEvT1_
	.p2align	8
	.type	_ZN7rocprim17ROCPRIM_400000_NS6detail17trampoline_kernelINS0_14default_configENS1_25partition_config_selectorILNS1_17partition_subalgoE9EllbEEZZNS1_14partition_implILS5_9ELb0ES3_jPlS8_PNS0_10empty_typeENS0_5tupleIJS8_S9_EEENSB_IJS8_SA_EEENS0_18inequality_wrapperIZN2at6native12_GLOBAL__N_124unique_dim_cuda_templateItEESt5tupleIJNSF_6TensorESK_SK_EERKSK_lbbbEUlllE0_EEPmJS9_EEE10hipError_tPvRmT3_T4_T5_T6_T7_T9_mT8_P12ihipStream_tbDpT10_ENKUlT_T0_E_clISt17integral_constantIbLb0EES19_IbLb1EEEEDaS15_S16_EUlS15_E_NS1_11comp_targetILNS1_3genE2ELNS1_11target_archE906ELNS1_3gpuE6ELNS1_3repE0EEENS1_30default_config_static_selectorELNS0_4arch9wavefront6targetE1EEEvT1_,@function
_ZN7rocprim17ROCPRIM_400000_NS6detail17trampoline_kernelINS0_14default_configENS1_25partition_config_selectorILNS1_17partition_subalgoE9EllbEEZZNS1_14partition_implILS5_9ELb0ES3_jPlS8_PNS0_10empty_typeENS0_5tupleIJS8_S9_EEENSB_IJS8_SA_EEENS0_18inequality_wrapperIZN2at6native12_GLOBAL__N_124unique_dim_cuda_templateItEESt5tupleIJNSF_6TensorESK_SK_EERKSK_lbbbEUlllE0_EEPmJS9_EEE10hipError_tPvRmT3_T4_T5_T6_T7_T9_mT8_P12ihipStream_tbDpT10_ENKUlT_T0_E_clISt17integral_constantIbLb0EES19_IbLb1EEEEDaS15_S16_EUlS15_E_NS1_11comp_targetILNS1_3genE2ELNS1_11target_archE906ELNS1_3gpuE6ELNS1_3repE0EEENS1_30default_config_static_selectorELNS0_4arch9wavefront6targetE1EEEvT1_: ; @_ZN7rocprim17ROCPRIM_400000_NS6detail17trampoline_kernelINS0_14default_configENS1_25partition_config_selectorILNS1_17partition_subalgoE9EllbEEZZNS1_14partition_implILS5_9ELb0ES3_jPlS8_PNS0_10empty_typeENS0_5tupleIJS8_S9_EEENSB_IJS8_SA_EEENS0_18inequality_wrapperIZN2at6native12_GLOBAL__N_124unique_dim_cuda_templateItEESt5tupleIJNSF_6TensorESK_SK_EERKSK_lbbbEUlllE0_EEPmJS9_EEE10hipError_tPvRmT3_T4_T5_T6_T7_T9_mT8_P12ihipStream_tbDpT10_ENKUlT_T0_E_clISt17integral_constantIbLb0EES19_IbLb1EEEEDaS15_S16_EUlS15_E_NS1_11comp_targetILNS1_3genE2ELNS1_11target_archE906ELNS1_3gpuE6ELNS1_3repE0EEENS1_30default_config_static_selectorELNS0_4arch9wavefront6targetE1EEEvT1_
; %bb.0:
	.section	.rodata,"a",@progbits
	.p2align	6, 0x0
	.amdhsa_kernel _ZN7rocprim17ROCPRIM_400000_NS6detail17trampoline_kernelINS0_14default_configENS1_25partition_config_selectorILNS1_17partition_subalgoE9EllbEEZZNS1_14partition_implILS5_9ELb0ES3_jPlS8_PNS0_10empty_typeENS0_5tupleIJS8_S9_EEENSB_IJS8_SA_EEENS0_18inequality_wrapperIZN2at6native12_GLOBAL__N_124unique_dim_cuda_templateItEESt5tupleIJNSF_6TensorESK_SK_EERKSK_lbbbEUlllE0_EEPmJS9_EEE10hipError_tPvRmT3_T4_T5_T6_T7_T9_mT8_P12ihipStream_tbDpT10_ENKUlT_T0_E_clISt17integral_constantIbLb0EES19_IbLb1EEEEDaS15_S16_EUlS15_E_NS1_11comp_targetILNS1_3genE2ELNS1_11target_archE906ELNS1_3gpuE6ELNS1_3repE0EEENS1_30default_config_static_selectorELNS0_4arch9wavefront6targetE1EEEvT1_
		.amdhsa_group_segment_fixed_size 0
		.amdhsa_private_segment_fixed_size 0
		.amdhsa_kernarg_size 136
		.amdhsa_user_sgpr_count 2
		.amdhsa_user_sgpr_dispatch_ptr 0
		.amdhsa_user_sgpr_queue_ptr 0
		.amdhsa_user_sgpr_kernarg_segment_ptr 1
		.amdhsa_user_sgpr_dispatch_id 0
		.amdhsa_user_sgpr_kernarg_preload_length 0
		.amdhsa_user_sgpr_kernarg_preload_offset 0
		.amdhsa_user_sgpr_private_segment_size 0
		.amdhsa_uses_dynamic_stack 0
		.amdhsa_enable_private_segment 0
		.amdhsa_system_sgpr_workgroup_id_x 1
		.amdhsa_system_sgpr_workgroup_id_y 0
		.amdhsa_system_sgpr_workgroup_id_z 0
		.amdhsa_system_sgpr_workgroup_info 0
		.amdhsa_system_vgpr_workitem_id 0
		.amdhsa_next_free_vgpr 1
		.amdhsa_next_free_sgpr 0
		.amdhsa_accum_offset 4
		.amdhsa_reserve_vcc 0
		.amdhsa_float_round_mode_32 0
		.amdhsa_float_round_mode_16_64 0
		.amdhsa_float_denorm_mode_32 3
		.amdhsa_float_denorm_mode_16_64 3
		.amdhsa_dx10_clamp 1
		.amdhsa_ieee_mode 1
		.amdhsa_fp16_overflow 0
		.amdhsa_tg_split 0
		.amdhsa_exception_fp_ieee_invalid_op 0
		.amdhsa_exception_fp_denorm_src 0
		.amdhsa_exception_fp_ieee_div_zero 0
		.amdhsa_exception_fp_ieee_overflow 0
		.amdhsa_exception_fp_ieee_underflow 0
		.amdhsa_exception_fp_ieee_inexact 0
		.amdhsa_exception_int_div_zero 0
	.end_amdhsa_kernel
	.section	.text._ZN7rocprim17ROCPRIM_400000_NS6detail17trampoline_kernelINS0_14default_configENS1_25partition_config_selectorILNS1_17partition_subalgoE9EllbEEZZNS1_14partition_implILS5_9ELb0ES3_jPlS8_PNS0_10empty_typeENS0_5tupleIJS8_S9_EEENSB_IJS8_SA_EEENS0_18inequality_wrapperIZN2at6native12_GLOBAL__N_124unique_dim_cuda_templateItEESt5tupleIJNSF_6TensorESK_SK_EERKSK_lbbbEUlllE0_EEPmJS9_EEE10hipError_tPvRmT3_T4_T5_T6_T7_T9_mT8_P12ihipStream_tbDpT10_ENKUlT_T0_E_clISt17integral_constantIbLb0EES19_IbLb1EEEEDaS15_S16_EUlS15_E_NS1_11comp_targetILNS1_3genE2ELNS1_11target_archE906ELNS1_3gpuE6ELNS1_3repE0EEENS1_30default_config_static_selectorELNS0_4arch9wavefront6targetE1EEEvT1_,"axG",@progbits,_ZN7rocprim17ROCPRIM_400000_NS6detail17trampoline_kernelINS0_14default_configENS1_25partition_config_selectorILNS1_17partition_subalgoE9EllbEEZZNS1_14partition_implILS5_9ELb0ES3_jPlS8_PNS0_10empty_typeENS0_5tupleIJS8_S9_EEENSB_IJS8_SA_EEENS0_18inequality_wrapperIZN2at6native12_GLOBAL__N_124unique_dim_cuda_templateItEESt5tupleIJNSF_6TensorESK_SK_EERKSK_lbbbEUlllE0_EEPmJS9_EEE10hipError_tPvRmT3_T4_T5_T6_T7_T9_mT8_P12ihipStream_tbDpT10_ENKUlT_T0_E_clISt17integral_constantIbLb0EES19_IbLb1EEEEDaS15_S16_EUlS15_E_NS1_11comp_targetILNS1_3genE2ELNS1_11target_archE906ELNS1_3gpuE6ELNS1_3repE0EEENS1_30default_config_static_selectorELNS0_4arch9wavefront6targetE1EEEvT1_,comdat
.Lfunc_end1488:
	.size	_ZN7rocprim17ROCPRIM_400000_NS6detail17trampoline_kernelINS0_14default_configENS1_25partition_config_selectorILNS1_17partition_subalgoE9EllbEEZZNS1_14partition_implILS5_9ELb0ES3_jPlS8_PNS0_10empty_typeENS0_5tupleIJS8_S9_EEENSB_IJS8_SA_EEENS0_18inequality_wrapperIZN2at6native12_GLOBAL__N_124unique_dim_cuda_templateItEESt5tupleIJNSF_6TensorESK_SK_EERKSK_lbbbEUlllE0_EEPmJS9_EEE10hipError_tPvRmT3_T4_T5_T6_T7_T9_mT8_P12ihipStream_tbDpT10_ENKUlT_T0_E_clISt17integral_constantIbLb0EES19_IbLb1EEEEDaS15_S16_EUlS15_E_NS1_11comp_targetILNS1_3genE2ELNS1_11target_archE906ELNS1_3gpuE6ELNS1_3repE0EEENS1_30default_config_static_selectorELNS0_4arch9wavefront6targetE1EEEvT1_, .Lfunc_end1488-_ZN7rocprim17ROCPRIM_400000_NS6detail17trampoline_kernelINS0_14default_configENS1_25partition_config_selectorILNS1_17partition_subalgoE9EllbEEZZNS1_14partition_implILS5_9ELb0ES3_jPlS8_PNS0_10empty_typeENS0_5tupleIJS8_S9_EEENSB_IJS8_SA_EEENS0_18inequality_wrapperIZN2at6native12_GLOBAL__N_124unique_dim_cuda_templateItEESt5tupleIJNSF_6TensorESK_SK_EERKSK_lbbbEUlllE0_EEPmJS9_EEE10hipError_tPvRmT3_T4_T5_T6_T7_T9_mT8_P12ihipStream_tbDpT10_ENKUlT_T0_E_clISt17integral_constantIbLb0EES19_IbLb1EEEEDaS15_S16_EUlS15_E_NS1_11comp_targetILNS1_3genE2ELNS1_11target_archE906ELNS1_3gpuE6ELNS1_3repE0EEENS1_30default_config_static_selectorELNS0_4arch9wavefront6targetE1EEEvT1_
                                        ; -- End function
	.section	.AMDGPU.csdata,"",@progbits
; Kernel info:
; codeLenInByte = 0
; NumSgprs: 6
; NumVgprs: 0
; NumAgprs: 0
; TotalNumVgprs: 0
; ScratchSize: 0
; MemoryBound: 0
; FloatMode: 240
; IeeeMode: 1
; LDSByteSize: 0 bytes/workgroup (compile time only)
; SGPRBlocks: 0
; VGPRBlocks: 0
; NumSGPRsForWavesPerEU: 6
; NumVGPRsForWavesPerEU: 1
; AccumOffset: 4
; Occupancy: 8
; WaveLimiterHint : 0
; COMPUTE_PGM_RSRC2:SCRATCH_EN: 0
; COMPUTE_PGM_RSRC2:USER_SGPR: 2
; COMPUTE_PGM_RSRC2:TRAP_HANDLER: 0
; COMPUTE_PGM_RSRC2:TGID_X_EN: 1
; COMPUTE_PGM_RSRC2:TGID_Y_EN: 0
; COMPUTE_PGM_RSRC2:TGID_Z_EN: 0
; COMPUTE_PGM_RSRC2:TIDIG_COMP_CNT: 0
; COMPUTE_PGM_RSRC3_GFX90A:ACCUM_OFFSET: 0
; COMPUTE_PGM_RSRC3_GFX90A:TG_SPLIT: 0
	.section	.text._ZN7rocprim17ROCPRIM_400000_NS6detail17trampoline_kernelINS0_14default_configENS1_25partition_config_selectorILNS1_17partition_subalgoE9EllbEEZZNS1_14partition_implILS5_9ELb0ES3_jPlS8_PNS0_10empty_typeENS0_5tupleIJS8_S9_EEENSB_IJS8_SA_EEENS0_18inequality_wrapperIZN2at6native12_GLOBAL__N_124unique_dim_cuda_templateItEESt5tupleIJNSF_6TensorESK_SK_EERKSK_lbbbEUlllE0_EEPmJS9_EEE10hipError_tPvRmT3_T4_T5_T6_T7_T9_mT8_P12ihipStream_tbDpT10_ENKUlT_T0_E_clISt17integral_constantIbLb0EES19_IbLb1EEEEDaS15_S16_EUlS15_E_NS1_11comp_targetILNS1_3genE10ELNS1_11target_archE1200ELNS1_3gpuE4ELNS1_3repE0EEENS1_30default_config_static_selectorELNS0_4arch9wavefront6targetE1EEEvT1_,"axG",@progbits,_ZN7rocprim17ROCPRIM_400000_NS6detail17trampoline_kernelINS0_14default_configENS1_25partition_config_selectorILNS1_17partition_subalgoE9EllbEEZZNS1_14partition_implILS5_9ELb0ES3_jPlS8_PNS0_10empty_typeENS0_5tupleIJS8_S9_EEENSB_IJS8_SA_EEENS0_18inequality_wrapperIZN2at6native12_GLOBAL__N_124unique_dim_cuda_templateItEESt5tupleIJNSF_6TensorESK_SK_EERKSK_lbbbEUlllE0_EEPmJS9_EEE10hipError_tPvRmT3_T4_T5_T6_T7_T9_mT8_P12ihipStream_tbDpT10_ENKUlT_T0_E_clISt17integral_constantIbLb0EES19_IbLb1EEEEDaS15_S16_EUlS15_E_NS1_11comp_targetILNS1_3genE10ELNS1_11target_archE1200ELNS1_3gpuE4ELNS1_3repE0EEENS1_30default_config_static_selectorELNS0_4arch9wavefront6targetE1EEEvT1_,comdat
	.globl	_ZN7rocprim17ROCPRIM_400000_NS6detail17trampoline_kernelINS0_14default_configENS1_25partition_config_selectorILNS1_17partition_subalgoE9EllbEEZZNS1_14partition_implILS5_9ELb0ES3_jPlS8_PNS0_10empty_typeENS0_5tupleIJS8_S9_EEENSB_IJS8_SA_EEENS0_18inequality_wrapperIZN2at6native12_GLOBAL__N_124unique_dim_cuda_templateItEESt5tupleIJNSF_6TensorESK_SK_EERKSK_lbbbEUlllE0_EEPmJS9_EEE10hipError_tPvRmT3_T4_T5_T6_T7_T9_mT8_P12ihipStream_tbDpT10_ENKUlT_T0_E_clISt17integral_constantIbLb0EES19_IbLb1EEEEDaS15_S16_EUlS15_E_NS1_11comp_targetILNS1_3genE10ELNS1_11target_archE1200ELNS1_3gpuE4ELNS1_3repE0EEENS1_30default_config_static_selectorELNS0_4arch9wavefront6targetE1EEEvT1_ ; -- Begin function _ZN7rocprim17ROCPRIM_400000_NS6detail17trampoline_kernelINS0_14default_configENS1_25partition_config_selectorILNS1_17partition_subalgoE9EllbEEZZNS1_14partition_implILS5_9ELb0ES3_jPlS8_PNS0_10empty_typeENS0_5tupleIJS8_S9_EEENSB_IJS8_SA_EEENS0_18inequality_wrapperIZN2at6native12_GLOBAL__N_124unique_dim_cuda_templateItEESt5tupleIJNSF_6TensorESK_SK_EERKSK_lbbbEUlllE0_EEPmJS9_EEE10hipError_tPvRmT3_T4_T5_T6_T7_T9_mT8_P12ihipStream_tbDpT10_ENKUlT_T0_E_clISt17integral_constantIbLb0EES19_IbLb1EEEEDaS15_S16_EUlS15_E_NS1_11comp_targetILNS1_3genE10ELNS1_11target_archE1200ELNS1_3gpuE4ELNS1_3repE0EEENS1_30default_config_static_selectorELNS0_4arch9wavefront6targetE1EEEvT1_
	.p2align	8
	.type	_ZN7rocprim17ROCPRIM_400000_NS6detail17trampoline_kernelINS0_14default_configENS1_25partition_config_selectorILNS1_17partition_subalgoE9EllbEEZZNS1_14partition_implILS5_9ELb0ES3_jPlS8_PNS0_10empty_typeENS0_5tupleIJS8_S9_EEENSB_IJS8_SA_EEENS0_18inequality_wrapperIZN2at6native12_GLOBAL__N_124unique_dim_cuda_templateItEESt5tupleIJNSF_6TensorESK_SK_EERKSK_lbbbEUlllE0_EEPmJS9_EEE10hipError_tPvRmT3_T4_T5_T6_T7_T9_mT8_P12ihipStream_tbDpT10_ENKUlT_T0_E_clISt17integral_constantIbLb0EES19_IbLb1EEEEDaS15_S16_EUlS15_E_NS1_11comp_targetILNS1_3genE10ELNS1_11target_archE1200ELNS1_3gpuE4ELNS1_3repE0EEENS1_30default_config_static_selectorELNS0_4arch9wavefront6targetE1EEEvT1_,@function
_ZN7rocprim17ROCPRIM_400000_NS6detail17trampoline_kernelINS0_14default_configENS1_25partition_config_selectorILNS1_17partition_subalgoE9EllbEEZZNS1_14partition_implILS5_9ELb0ES3_jPlS8_PNS0_10empty_typeENS0_5tupleIJS8_S9_EEENSB_IJS8_SA_EEENS0_18inequality_wrapperIZN2at6native12_GLOBAL__N_124unique_dim_cuda_templateItEESt5tupleIJNSF_6TensorESK_SK_EERKSK_lbbbEUlllE0_EEPmJS9_EEE10hipError_tPvRmT3_T4_T5_T6_T7_T9_mT8_P12ihipStream_tbDpT10_ENKUlT_T0_E_clISt17integral_constantIbLb0EES19_IbLb1EEEEDaS15_S16_EUlS15_E_NS1_11comp_targetILNS1_3genE10ELNS1_11target_archE1200ELNS1_3gpuE4ELNS1_3repE0EEENS1_30default_config_static_selectorELNS0_4arch9wavefront6targetE1EEEvT1_: ; @_ZN7rocprim17ROCPRIM_400000_NS6detail17trampoline_kernelINS0_14default_configENS1_25partition_config_selectorILNS1_17partition_subalgoE9EllbEEZZNS1_14partition_implILS5_9ELb0ES3_jPlS8_PNS0_10empty_typeENS0_5tupleIJS8_S9_EEENSB_IJS8_SA_EEENS0_18inequality_wrapperIZN2at6native12_GLOBAL__N_124unique_dim_cuda_templateItEESt5tupleIJNSF_6TensorESK_SK_EERKSK_lbbbEUlllE0_EEPmJS9_EEE10hipError_tPvRmT3_T4_T5_T6_T7_T9_mT8_P12ihipStream_tbDpT10_ENKUlT_T0_E_clISt17integral_constantIbLb0EES19_IbLb1EEEEDaS15_S16_EUlS15_E_NS1_11comp_targetILNS1_3genE10ELNS1_11target_archE1200ELNS1_3gpuE4ELNS1_3repE0EEENS1_30default_config_static_selectorELNS0_4arch9wavefront6targetE1EEEvT1_
; %bb.0:
	.section	.rodata,"a",@progbits
	.p2align	6, 0x0
	.amdhsa_kernel _ZN7rocprim17ROCPRIM_400000_NS6detail17trampoline_kernelINS0_14default_configENS1_25partition_config_selectorILNS1_17partition_subalgoE9EllbEEZZNS1_14partition_implILS5_9ELb0ES3_jPlS8_PNS0_10empty_typeENS0_5tupleIJS8_S9_EEENSB_IJS8_SA_EEENS0_18inequality_wrapperIZN2at6native12_GLOBAL__N_124unique_dim_cuda_templateItEESt5tupleIJNSF_6TensorESK_SK_EERKSK_lbbbEUlllE0_EEPmJS9_EEE10hipError_tPvRmT3_T4_T5_T6_T7_T9_mT8_P12ihipStream_tbDpT10_ENKUlT_T0_E_clISt17integral_constantIbLb0EES19_IbLb1EEEEDaS15_S16_EUlS15_E_NS1_11comp_targetILNS1_3genE10ELNS1_11target_archE1200ELNS1_3gpuE4ELNS1_3repE0EEENS1_30default_config_static_selectorELNS0_4arch9wavefront6targetE1EEEvT1_
		.amdhsa_group_segment_fixed_size 0
		.amdhsa_private_segment_fixed_size 0
		.amdhsa_kernarg_size 136
		.amdhsa_user_sgpr_count 2
		.amdhsa_user_sgpr_dispatch_ptr 0
		.amdhsa_user_sgpr_queue_ptr 0
		.amdhsa_user_sgpr_kernarg_segment_ptr 1
		.amdhsa_user_sgpr_dispatch_id 0
		.amdhsa_user_sgpr_kernarg_preload_length 0
		.amdhsa_user_sgpr_kernarg_preload_offset 0
		.amdhsa_user_sgpr_private_segment_size 0
		.amdhsa_uses_dynamic_stack 0
		.amdhsa_enable_private_segment 0
		.amdhsa_system_sgpr_workgroup_id_x 1
		.amdhsa_system_sgpr_workgroup_id_y 0
		.amdhsa_system_sgpr_workgroup_id_z 0
		.amdhsa_system_sgpr_workgroup_info 0
		.amdhsa_system_vgpr_workitem_id 0
		.amdhsa_next_free_vgpr 1
		.amdhsa_next_free_sgpr 0
		.amdhsa_accum_offset 4
		.amdhsa_reserve_vcc 0
		.amdhsa_float_round_mode_32 0
		.amdhsa_float_round_mode_16_64 0
		.amdhsa_float_denorm_mode_32 3
		.amdhsa_float_denorm_mode_16_64 3
		.amdhsa_dx10_clamp 1
		.amdhsa_ieee_mode 1
		.amdhsa_fp16_overflow 0
		.amdhsa_tg_split 0
		.amdhsa_exception_fp_ieee_invalid_op 0
		.amdhsa_exception_fp_denorm_src 0
		.amdhsa_exception_fp_ieee_div_zero 0
		.amdhsa_exception_fp_ieee_overflow 0
		.amdhsa_exception_fp_ieee_underflow 0
		.amdhsa_exception_fp_ieee_inexact 0
		.amdhsa_exception_int_div_zero 0
	.end_amdhsa_kernel
	.section	.text._ZN7rocprim17ROCPRIM_400000_NS6detail17trampoline_kernelINS0_14default_configENS1_25partition_config_selectorILNS1_17partition_subalgoE9EllbEEZZNS1_14partition_implILS5_9ELb0ES3_jPlS8_PNS0_10empty_typeENS0_5tupleIJS8_S9_EEENSB_IJS8_SA_EEENS0_18inequality_wrapperIZN2at6native12_GLOBAL__N_124unique_dim_cuda_templateItEESt5tupleIJNSF_6TensorESK_SK_EERKSK_lbbbEUlllE0_EEPmJS9_EEE10hipError_tPvRmT3_T4_T5_T6_T7_T9_mT8_P12ihipStream_tbDpT10_ENKUlT_T0_E_clISt17integral_constantIbLb0EES19_IbLb1EEEEDaS15_S16_EUlS15_E_NS1_11comp_targetILNS1_3genE10ELNS1_11target_archE1200ELNS1_3gpuE4ELNS1_3repE0EEENS1_30default_config_static_selectorELNS0_4arch9wavefront6targetE1EEEvT1_,"axG",@progbits,_ZN7rocprim17ROCPRIM_400000_NS6detail17trampoline_kernelINS0_14default_configENS1_25partition_config_selectorILNS1_17partition_subalgoE9EllbEEZZNS1_14partition_implILS5_9ELb0ES3_jPlS8_PNS0_10empty_typeENS0_5tupleIJS8_S9_EEENSB_IJS8_SA_EEENS0_18inequality_wrapperIZN2at6native12_GLOBAL__N_124unique_dim_cuda_templateItEESt5tupleIJNSF_6TensorESK_SK_EERKSK_lbbbEUlllE0_EEPmJS9_EEE10hipError_tPvRmT3_T4_T5_T6_T7_T9_mT8_P12ihipStream_tbDpT10_ENKUlT_T0_E_clISt17integral_constantIbLb0EES19_IbLb1EEEEDaS15_S16_EUlS15_E_NS1_11comp_targetILNS1_3genE10ELNS1_11target_archE1200ELNS1_3gpuE4ELNS1_3repE0EEENS1_30default_config_static_selectorELNS0_4arch9wavefront6targetE1EEEvT1_,comdat
.Lfunc_end1489:
	.size	_ZN7rocprim17ROCPRIM_400000_NS6detail17trampoline_kernelINS0_14default_configENS1_25partition_config_selectorILNS1_17partition_subalgoE9EllbEEZZNS1_14partition_implILS5_9ELb0ES3_jPlS8_PNS0_10empty_typeENS0_5tupleIJS8_S9_EEENSB_IJS8_SA_EEENS0_18inequality_wrapperIZN2at6native12_GLOBAL__N_124unique_dim_cuda_templateItEESt5tupleIJNSF_6TensorESK_SK_EERKSK_lbbbEUlllE0_EEPmJS9_EEE10hipError_tPvRmT3_T4_T5_T6_T7_T9_mT8_P12ihipStream_tbDpT10_ENKUlT_T0_E_clISt17integral_constantIbLb0EES19_IbLb1EEEEDaS15_S16_EUlS15_E_NS1_11comp_targetILNS1_3genE10ELNS1_11target_archE1200ELNS1_3gpuE4ELNS1_3repE0EEENS1_30default_config_static_selectorELNS0_4arch9wavefront6targetE1EEEvT1_, .Lfunc_end1489-_ZN7rocprim17ROCPRIM_400000_NS6detail17trampoline_kernelINS0_14default_configENS1_25partition_config_selectorILNS1_17partition_subalgoE9EllbEEZZNS1_14partition_implILS5_9ELb0ES3_jPlS8_PNS0_10empty_typeENS0_5tupleIJS8_S9_EEENSB_IJS8_SA_EEENS0_18inequality_wrapperIZN2at6native12_GLOBAL__N_124unique_dim_cuda_templateItEESt5tupleIJNSF_6TensorESK_SK_EERKSK_lbbbEUlllE0_EEPmJS9_EEE10hipError_tPvRmT3_T4_T5_T6_T7_T9_mT8_P12ihipStream_tbDpT10_ENKUlT_T0_E_clISt17integral_constantIbLb0EES19_IbLb1EEEEDaS15_S16_EUlS15_E_NS1_11comp_targetILNS1_3genE10ELNS1_11target_archE1200ELNS1_3gpuE4ELNS1_3repE0EEENS1_30default_config_static_selectorELNS0_4arch9wavefront6targetE1EEEvT1_
                                        ; -- End function
	.section	.AMDGPU.csdata,"",@progbits
; Kernel info:
; codeLenInByte = 0
; NumSgprs: 6
; NumVgprs: 0
; NumAgprs: 0
; TotalNumVgprs: 0
; ScratchSize: 0
; MemoryBound: 0
; FloatMode: 240
; IeeeMode: 1
; LDSByteSize: 0 bytes/workgroup (compile time only)
; SGPRBlocks: 0
; VGPRBlocks: 0
; NumSGPRsForWavesPerEU: 6
; NumVGPRsForWavesPerEU: 1
; AccumOffset: 4
; Occupancy: 8
; WaveLimiterHint : 0
; COMPUTE_PGM_RSRC2:SCRATCH_EN: 0
; COMPUTE_PGM_RSRC2:USER_SGPR: 2
; COMPUTE_PGM_RSRC2:TRAP_HANDLER: 0
; COMPUTE_PGM_RSRC2:TGID_X_EN: 1
; COMPUTE_PGM_RSRC2:TGID_Y_EN: 0
; COMPUTE_PGM_RSRC2:TGID_Z_EN: 0
; COMPUTE_PGM_RSRC2:TIDIG_COMP_CNT: 0
; COMPUTE_PGM_RSRC3_GFX90A:ACCUM_OFFSET: 0
; COMPUTE_PGM_RSRC3_GFX90A:TG_SPLIT: 0
	.section	.text._ZN7rocprim17ROCPRIM_400000_NS6detail17trampoline_kernelINS0_14default_configENS1_25partition_config_selectorILNS1_17partition_subalgoE9EllbEEZZNS1_14partition_implILS5_9ELb0ES3_jPlS8_PNS0_10empty_typeENS0_5tupleIJS8_S9_EEENSB_IJS8_SA_EEENS0_18inequality_wrapperIZN2at6native12_GLOBAL__N_124unique_dim_cuda_templateItEESt5tupleIJNSF_6TensorESK_SK_EERKSK_lbbbEUlllE0_EEPmJS9_EEE10hipError_tPvRmT3_T4_T5_T6_T7_T9_mT8_P12ihipStream_tbDpT10_ENKUlT_T0_E_clISt17integral_constantIbLb0EES19_IbLb1EEEEDaS15_S16_EUlS15_E_NS1_11comp_targetILNS1_3genE9ELNS1_11target_archE1100ELNS1_3gpuE3ELNS1_3repE0EEENS1_30default_config_static_selectorELNS0_4arch9wavefront6targetE1EEEvT1_,"axG",@progbits,_ZN7rocprim17ROCPRIM_400000_NS6detail17trampoline_kernelINS0_14default_configENS1_25partition_config_selectorILNS1_17partition_subalgoE9EllbEEZZNS1_14partition_implILS5_9ELb0ES3_jPlS8_PNS0_10empty_typeENS0_5tupleIJS8_S9_EEENSB_IJS8_SA_EEENS0_18inequality_wrapperIZN2at6native12_GLOBAL__N_124unique_dim_cuda_templateItEESt5tupleIJNSF_6TensorESK_SK_EERKSK_lbbbEUlllE0_EEPmJS9_EEE10hipError_tPvRmT3_T4_T5_T6_T7_T9_mT8_P12ihipStream_tbDpT10_ENKUlT_T0_E_clISt17integral_constantIbLb0EES19_IbLb1EEEEDaS15_S16_EUlS15_E_NS1_11comp_targetILNS1_3genE9ELNS1_11target_archE1100ELNS1_3gpuE3ELNS1_3repE0EEENS1_30default_config_static_selectorELNS0_4arch9wavefront6targetE1EEEvT1_,comdat
	.globl	_ZN7rocprim17ROCPRIM_400000_NS6detail17trampoline_kernelINS0_14default_configENS1_25partition_config_selectorILNS1_17partition_subalgoE9EllbEEZZNS1_14partition_implILS5_9ELb0ES3_jPlS8_PNS0_10empty_typeENS0_5tupleIJS8_S9_EEENSB_IJS8_SA_EEENS0_18inequality_wrapperIZN2at6native12_GLOBAL__N_124unique_dim_cuda_templateItEESt5tupleIJNSF_6TensorESK_SK_EERKSK_lbbbEUlllE0_EEPmJS9_EEE10hipError_tPvRmT3_T4_T5_T6_T7_T9_mT8_P12ihipStream_tbDpT10_ENKUlT_T0_E_clISt17integral_constantIbLb0EES19_IbLb1EEEEDaS15_S16_EUlS15_E_NS1_11comp_targetILNS1_3genE9ELNS1_11target_archE1100ELNS1_3gpuE3ELNS1_3repE0EEENS1_30default_config_static_selectorELNS0_4arch9wavefront6targetE1EEEvT1_ ; -- Begin function _ZN7rocprim17ROCPRIM_400000_NS6detail17trampoline_kernelINS0_14default_configENS1_25partition_config_selectorILNS1_17partition_subalgoE9EllbEEZZNS1_14partition_implILS5_9ELb0ES3_jPlS8_PNS0_10empty_typeENS0_5tupleIJS8_S9_EEENSB_IJS8_SA_EEENS0_18inequality_wrapperIZN2at6native12_GLOBAL__N_124unique_dim_cuda_templateItEESt5tupleIJNSF_6TensorESK_SK_EERKSK_lbbbEUlllE0_EEPmJS9_EEE10hipError_tPvRmT3_T4_T5_T6_T7_T9_mT8_P12ihipStream_tbDpT10_ENKUlT_T0_E_clISt17integral_constantIbLb0EES19_IbLb1EEEEDaS15_S16_EUlS15_E_NS1_11comp_targetILNS1_3genE9ELNS1_11target_archE1100ELNS1_3gpuE3ELNS1_3repE0EEENS1_30default_config_static_selectorELNS0_4arch9wavefront6targetE1EEEvT1_
	.p2align	8
	.type	_ZN7rocprim17ROCPRIM_400000_NS6detail17trampoline_kernelINS0_14default_configENS1_25partition_config_selectorILNS1_17partition_subalgoE9EllbEEZZNS1_14partition_implILS5_9ELb0ES3_jPlS8_PNS0_10empty_typeENS0_5tupleIJS8_S9_EEENSB_IJS8_SA_EEENS0_18inequality_wrapperIZN2at6native12_GLOBAL__N_124unique_dim_cuda_templateItEESt5tupleIJNSF_6TensorESK_SK_EERKSK_lbbbEUlllE0_EEPmJS9_EEE10hipError_tPvRmT3_T4_T5_T6_T7_T9_mT8_P12ihipStream_tbDpT10_ENKUlT_T0_E_clISt17integral_constantIbLb0EES19_IbLb1EEEEDaS15_S16_EUlS15_E_NS1_11comp_targetILNS1_3genE9ELNS1_11target_archE1100ELNS1_3gpuE3ELNS1_3repE0EEENS1_30default_config_static_selectorELNS0_4arch9wavefront6targetE1EEEvT1_,@function
_ZN7rocprim17ROCPRIM_400000_NS6detail17trampoline_kernelINS0_14default_configENS1_25partition_config_selectorILNS1_17partition_subalgoE9EllbEEZZNS1_14partition_implILS5_9ELb0ES3_jPlS8_PNS0_10empty_typeENS0_5tupleIJS8_S9_EEENSB_IJS8_SA_EEENS0_18inequality_wrapperIZN2at6native12_GLOBAL__N_124unique_dim_cuda_templateItEESt5tupleIJNSF_6TensorESK_SK_EERKSK_lbbbEUlllE0_EEPmJS9_EEE10hipError_tPvRmT3_T4_T5_T6_T7_T9_mT8_P12ihipStream_tbDpT10_ENKUlT_T0_E_clISt17integral_constantIbLb0EES19_IbLb1EEEEDaS15_S16_EUlS15_E_NS1_11comp_targetILNS1_3genE9ELNS1_11target_archE1100ELNS1_3gpuE3ELNS1_3repE0EEENS1_30default_config_static_selectorELNS0_4arch9wavefront6targetE1EEEvT1_: ; @_ZN7rocprim17ROCPRIM_400000_NS6detail17trampoline_kernelINS0_14default_configENS1_25partition_config_selectorILNS1_17partition_subalgoE9EllbEEZZNS1_14partition_implILS5_9ELb0ES3_jPlS8_PNS0_10empty_typeENS0_5tupleIJS8_S9_EEENSB_IJS8_SA_EEENS0_18inequality_wrapperIZN2at6native12_GLOBAL__N_124unique_dim_cuda_templateItEESt5tupleIJNSF_6TensorESK_SK_EERKSK_lbbbEUlllE0_EEPmJS9_EEE10hipError_tPvRmT3_T4_T5_T6_T7_T9_mT8_P12ihipStream_tbDpT10_ENKUlT_T0_E_clISt17integral_constantIbLb0EES19_IbLb1EEEEDaS15_S16_EUlS15_E_NS1_11comp_targetILNS1_3genE9ELNS1_11target_archE1100ELNS1_3gpuE3ELNS1_3repE0EEENS1_30default_config_static_selectorELNS0_4arch9wavefront6targetE1EEEvT1_
; %bb.0:
	.section	.rodata,"a",@progbits
	.p2align	6, 0x0
	.amdhsa_kernel _ZN7rocprim17ROCPRIM_400000_NS6detail17trampoline_kernelINS0_14default_configENS1_25partition_config_selectorILNS1_17partition_subalgoE9EllbEEZZNS1_14partition_implILS5_9ELb0ES3_jPlS8_PNS0_10empty_typeENS0_5tupleIJS8_S9_EEENSB_IJS8_SA_EEENS0_18inequality_wrapperIZN2at6native12_GLOBAL__N_124unique_dim_cuda_templateItEESt5tupleIJNSF_6TensorESK_SK_EERKSK_lbbbEUlllE0_EEPmJS9_EEE10hipError_tPvRmT3_T4_T5_T6_T7_T9_mT8_P12ihipStream_tbDpT10_ENKUlT_T0_E_clISt17integral_constantIbLb0EES19_IbLb1EEEEDaS15_S16_EUlS15_E_NS1_11comp_targetILNS1_3genE9ELNS1_11target_archE1100ELNS1_3gpuE3ELNS1_3repE0EEENS1_30default_config_static_selectorELNS0_4arch9wavefront6targetE1EEEvT1_
		.amdhsa_group_segment_fixed_size 0
		.amdhsa_private_segment_fixed_size 0
		.amdhsa_kernarg_size 136
		.amdhsa_user_sgpr_count 2
		.amdhsa_user_sgpr_dispatch_ptr 0
		.amdhsa_user_sgpr_queue_ptr 0
		.amdhsa_user_sgpr_kernarg_segment_ptr 1
		.amdhsa_user_sgpr_dispatch_id 0
		.amdhsa_user_sgpr_kernarg_preload_length 0
		.amdhsa_user_sgpr_kernarg_preload_offset 0
		.amdhsa_user_sgpr_private_segment_size 0
		.amdhsa_uses_dynamic_stack 0
		.amdhsa_enable_private_segment 0
		.amdhsa_system_sgpr_workgroup_id_x 1
		.amdhsa_system_sgpr_workgroup_id_y 0
		.amdhsa_system_sgpr_workgroup_id_z 0
		.amdhsa_system_sgpr_workgroup_info 0
		.amdhsa_system_vgpr_workitem_id 0
		.amdhsa_next_free_vgpr 1
		.amdhsa_next_free_sgpr 0
		.amdhsa_accum_offset 4
		.amdhsa_reserve_vcc 0
		.amdhsa_float_round_mode_32 0
		.amdhsa_float_round_mode_16_64 0
		.amdhsa_float_denorm_mode_32 3
		.amdhsa_float_denorm_mode_16_64 3
		.amdhsa_dx10_clamp 1
		.amdhsa_ieee_mode 1
		.amdhsa_fp16_overflow 0
		.amdhsa_tg_split 0
		.amdhsa_exception_fp_ieee_invalid_op 0
		.amdhsa_exception_fp_denorm_src 0
		.amdhsa_exception_fp_ieee_div_zero 0
		.amdhsa_exception_fp_ieee_overflow 0
		.amdhsa_exception_fp_ieee_underflow 0
		.amdhsa_exception_fp_ieee_inexact 0
		.amdhsa_exception_int_div_zero 0
	.end_amdhsa_kernel
	.section	.text._ZN7rocprim17ROCPRIM_400000_NS6detail17trampoline_kernelINS0_14default_configENS1_25partition_config_selectorILNS1_17partition_subalgoE9EllbEEZZNS1_14partition_implILS5_9ELb0ES3_jPlS8_PNS0_10empty_typeENS0_5tupleIJS8_S9_EEENSB_IJS8_SA_EEENS0_18inequality_wrapperIZN2at6native12_GLOBAL__N_124unique_dim_cuda_templateItEESt5tupleIJNSF_6TensorESK_SK_EERKSK_lbbbEUlllE0_EEPmJS9_EEE10hipError_tPvRmT3_T4_T5_T6_T7_T9_mT8_P12ihipStream_tbDpT10_ENKUlT_T0_E_clISt17integral_constantIbLb0EES19_IbLb1EEEEDaS15_S16_EUlS15_E_NS1_11comp_targetILNS1_3genE9ELNS1_11target_archE1100ELNS1_3gpuE3ELNS1_3repE0EEENS1_30default_config_static_selectorELNS0_4arch9wavefront6targetE1EEEvT1_,"axG",@progbits,_ZN7rocprim17ROCPRIM_400000_NS6detail17trampoline_kernelINS0_14default_configENS1_25partition_config_selectorILNS1_17partition_subalgoE9EllbEEZZNS1_14partition_implILS5_9ELb0ES3_jPlS8_PNS0_10empty_typeENS0_5tupleIJS8_S9_EEENSB_IJS8_SA_EEENS0_18inequality_wrapperIZN2at6native12_GLOBAL__N_124unique_dim_cuda_templateItEESt5tupleIJNSF_6TensorESK_SK_EERKSK_lbbbEUlllE0_EEPmJS9_EEE10hipError_tPvRmT3_T4_T5_T6_T7_T9_mT8_P12ihipStream_tbDpT10_ENKUlT_T0_E_clISt17integral_constantIbLb0EES19_IbLb1EEEEDaS15_S16_EUlS15_E_NS1_11comp_targetILNS1_3genE9ELNS1_11target_archE1100ELNS1_3gpuE3ELNS1_3repE0EEENS1_30default_config_static_selectorELNS0_4arch9wavefront6targetE1EEEvT1_,comdat
.Lfunc_end1490:
	.size	_ZN7rocprim17ROCPRIM_400000_NS6detail17trampoline_kernelINS0_14default_configENS1_25partition_config_selectorILNS1_17partition_subalgoE9EllbEEZZNS1_14partition_implILS5_9ELb0ES3_jPlS8_PNS0_10empty_typeENS0_5tupleIJS8_S9_EEENSB_IJS8_SA_EEENS0_18inequality_wrapperIZN2at6native12_GLOBAL__N_124unique_dim_cuda_templateItEESt5tupleIJNSF_6TensorESK_SK_EERKSK_lbbbEUlllE0_EEPmJS9_EEE10hipError_tPvRmT3_T4_T5_T6_T7_T9_mT8_P12ihipStream_tbDpT10_ENKUlT_T0_E_clISt17integral_constantIbLb0EES19_IbLb1EEEEDaS15_S16_EUlS15_E_NS1_11comp_targetILNS1_3genE9ELNS1_11target_archE1100ELNS1_3gpuE3ELNS1_3repE0EEENS1_30default_config_static_selectorELNS0_4arch9wavefront6targetE1EEEvT1_, .Lfunc_end1490-_ZN7rocprim17ROCPRIM_400000_NS6detail17trampoline_kernelINS0_14default_configENS1_25partition_config_selectorILNS1_17partition_subalgoE9EllbEEZZNS1_14partition_implILS5_9ELb0ES3_jPlS8_PNS0_10empty_typeENS0_5tupleIJS8_S9_EEENSB_IJS8_SA_EEENS0_18inequality_wrapperIZN2at6native12_GLOBAL__N_124unique_dim_cuda_templateItEESt5tupleIJNSF_6TensorESK_SK_EERKSK_lbbbEUlllE0_EEPmJS9_EEE10hipError_tPvRmT3_T4_T5_T6_T7_T9_mT8_P12ihipStream_tbDpT10_ENKUlT_T0_E_clISt17integral_constantIbLb0EES19_IbLb1EEEEDaS15_S16_EUlS15_E_NS1_11comp_targetILNS1_3genE9ELNS1_11target_archE1100ELNS1_3gpuE3ELNS1_3repE0EEENS1_30default_config_static_selectorELNS0_4arch9wavefront6targetE1EEEvT1_
                                        ; -- End function
	.section	.AMDGPU.csdata,"",@progbits
; Kernel info:
; codeLenInByte = 0
; NumSgprs: 6
; NumVgprs: 0
; NumAgprs: 0
; TotalNumVgprs: 0
; ScratchSize: 0
; MemoryBound: 0
; FloatMode: 240
; IeeeMode: 1
; LDSByteSize: 0 bytes/workgroup (compile time only)
; SGPRBlocks: 0
; VGPRBlocks: 0
; NumSGPRsForWavesPerEU: 6
; NumVGPRsForWavesPerEU: 1
; AccumOffset: 4
; Occupancy: 8
; WaveLimiterHint : 0
; COMPUTE_PGM_RSRC2:SCRATCH_EN: 0
; COMPUTE_PGM_RSRC2:USER_SGPR: 2
; COMPUTE_PGM_RSRC2:TRAP_HANDLER: 0
; COMPUTE_PGM_RSRC2:TGID_X_EN: 1
; COMPUTE_PGM_RSRC2:TGID_Y_EN: 0
; COMPUTE_PGM_RSRC2:TGID_Z_EN: 0
; COMPUTE_PGM_RSRC2:TIDIG_COMP_CNT: 0
; COMPUTE_PGM_RSRC3_GFX90A:ACCUM_OFFSET: 0
; COMPUTE_PGM_RSRC3_GFX90A:TG_SPLIT: 0
	.section	.text._ZN7rocprim17ROCPRIM_400000_NS6detail17trampoline_kernelINS0_14default_configENS1_25partition_config_selectorILNS1_17partition_subalgoE9EllbEEZZNS1_14partition_implILS5_9ELb0ES3_jPlS8_PNS0_10empty_typeENS0_5tupleIJS8_S9_EEENSB_IJS8_SA_EEENS0_18inequality_wrapperIZN2at6native12_GLOBAL__N_124unique_dim_cuda_templateItEESt5tupleIJNSF_6TensorESK_SK_EERKSK_lbbbEUlllE0_EEPmJS9_EEE10hipError_tPvRmT3_T4_T5_T6_T7_T9_mT8_P12ihipStream_tbDpT10_ENKUlT_T0_E_clISt17integral_constantIbLb0EES19_IbLb1EEEEDaS15_S16_EUlS15_E_NS1_11comp_targetILNS1_3genE8ELNS1_11target_archE1030ELNS1_3gpuE2ELNS1_3repE0EEENS1_30default_config_static_selectorELNS0_4arch9wavefront6targetE1EEEvT1_,"axG",@progbits,_ZN7rocprim17ROCPRIM_400000_NS6detail17trampoline_kernelINS0_14default_configENS1_25partition_config_selectorILNS1_17partition_subalgoE9EllbEEZZNS1_14partition_implILS5_9ELb0ES3_jPlS8_PNS0_10empty_typeENS0_5tupleIJS8_S9_EEENSB_IJS8_SA_EEENS0_18inequality_wrapperIZN2at6native12_GLOBAL__N_124unique_dim_cuda_templateItEESt5tupleIJNSF_6TensorESK_SK_EERKSK_lbbbEUlllE0_EEPmJS9_EEE10hipError_tPvRmT3_T4_T5_T6_T7_T9_mT8_P12ihipStream_tbDpT10_ENKUlT_T0_E_clISt17integral_constantIbLb0EES19_IbLb1EEEEDaS15_S16_EUlS15_E_NS1_11comp_targetILNS1_3genE8ELNS1_11target_archE1030ELNS1_3gpuE2ELNS1_3repE0EEENS1_30default_config_static_selectorELNS0_4arch9wavefront6targetE1EEEvT1_,comdat
	.globl	_ZN7rocprim17ROCPRIM_400000_NS6detail17trampoline_kernelINS0_14default_configENS1_25partition_config_selectorILNS1_17partition_subalgoE9EllbEEZZNS1_14partition_implILS5_9ELb0ES3_jPlS8_PNS0_10empty_typeENS0_5tupleIJS8_S9_EEENSB_IJS8_SA_EEENS0_18inequality_wrapperIZN2at6native12_GLOBAL__N_124unique_dim_cuda_templateItEESt5tupleIJNSF_6TensorESK_SK_EERKSK_lbbbEUlllE0_EEPmJS9_EEE10hipError_tPvRmT3_T4_T5_T6_T7_T9_mT8_P12ihipStream_tbDpT10_ENKUlT_T0_E_clISt17integral_constantIbLb0EES19_IbLb1EEEEDaS15_S16_EUlS15_E_NS1_11comp_targetILNS1_3genE8ELNS1_11target_archE1030ELNS1_3gpuE2ELNS1_3repE0EEENS1_30default_config_static_selectorELNS0_4arch9wavefront6targetE1EEEvT1_ ; -- Begin function _ZN7rocprim17ROCPRIM_400000_NS6detail17trampoline_kernelINS0_14default_configENS1_25partition_config_selectorILNS1_17partition_subalgoE9EllbEEZZNS1_14partition_implILS5_9ELb0ES3_jPlS8_PNS0_10empty_typeENS0_5tupleIJS8_S9_EEENSB_IJS8_SA_EEENS0_18inequality_wrapperIZN2at6native12_GLOBAL__N_124unique_dim_cuda_templateItEESt5tupleIJNSF_6TensorESK_SK_EERKSK_lbbbEUlllE0_EEPmJS9_EEE10hipError_tPvRmT3_T4_T5_T6_T7_T9_mT8_P12ihipStream_tbDpT10_ENKUlT_T0_E_clISt17integral_constantIbLb0EES19_IbLb1EEEEDaS15_S16_EUlS15_E_NS1_11comp_targetILNS1_3genE8ELNS1_11target_archE1030ELNS1_3gpuE2ELNS1_3repE0EEENS1_30default_config_static_selectorELNS0_4arch9wavefront6targetE1EEEvT1_
	.p2align	8
	.type	_ZN7rocprim17ROCPRIM_400000_NS6detail17trampoline_kernelINS0_14default_configENS1_25partition_config_selectorILNS1_17partition_subalgoE9EllbEEZZNS1_14partition_implILS5_9ELb0ES3_jPlS8_PNS0_10empty_typeENS0_5tupleIJS8_S9_EEENSB_IJS8_SA_EEENS0_18inequality_wrapperIZN2at6native12_GLOBAL__N_124unique_dim_cuda_templateItEESt5tupleIJNSF_6TensorESK_SK_EERKSK_lbbbEUlllE0_EEPmJS9_EEE10hipError_tPvRmT3_T4_T5_T6_T7_T9_mT8_P12ihipStream_tbDpT10_ENKUlT_T0_E_clISt17integral_constantIbLb0EES19_IbLb1EEEEDaS15_S16_EUlS15_E_NS1_11comp_targetILNS1_3genE8ELNS1_11target_archE1030ELNS1_3gpuE2ELNS1_3repE0EEENS1_30default_config_static_selectorELNS0_4arch9wavefront6targetE1EEEvT1_,@function
_ZN7rocprim17ROCPRIM_400000_NS6detail17trampoline_kernelINS0_14default_configENS1_25partition_config_selectorILNS1_17partition_subalgoE9EllbEEZZNS1_14partition_implILS5_9ELb0ES3_jPlS8_PNS0_10empty_typeENS0_5tupleIJS8_S9_EEENSB_IJS8_SA_EEENS0_18inequality_wrapperIZN2at6native12_GLOBAL__N_124unique_dim_cuda_templateItEESt5tupleIJNSF_6TensorESK_SK_EERKSK_lbbbEUlllE0_EEPmJS9_EEE10hipError_tPvRmT3_T4_T5_T6_T7_T9_mT8_P12ihipStream_tbDpT10_ENKUlT_T0_E_clISt17integral_constantIbLb0EES19_IbLb1EEEEDaS15_S16_EUlS15_E_NS1_11comp_targetILNS1_3genE8ELNS1_11target_archE1030ELNS1_3gpuE2ELNS1_3repE0EEENS1_30default_config_static_selectorELNS0_4arch9wavefront6targetE1EEEvT1_: ; @_ZN7rocprim17ROCPRIM_400000_NS6detail17trampoline_kernelINS0_14default_configENS1_25partition_config_selectorILNS1_17partition_subalgoE9EllbEEZZNS1_14partition_implILS5_9ELb0ES3_jPlS8_PNS0_10empty_typeENS0_5tupleIJS8_S9_EEENSB_IJS8_SA_EEENS0_18inequality_wrapperIZN2at6native12_GLOBAL__N_124unique_dim_cuda_templateItEESt5tupleIJNSF_6TensorESK_SK_EERKSK_lbbbEUlllE0_EEPmJS9_EEE10hipError_tPvRmT3_T4_T5_T6_T7_T9_mT8_P12ihipStream_tbDpT10_ENKUlT_T0_E_clISt17integral_constantIbLb0EES19_IbLb1EEEEDaS15_S16_EUlS15_E_NS1_11comp_targetILNS1_3genE8ELNS1_11target_archE1030ELNS1_3gpuE2ELNS1_3repE0EEENS1_30default_config_static_selectorELNS0_4arch9wavefront6targetE1EEEvT1_
; %bb.0:
	.section	.rodata,"a",@progbits
	.p2align	6, 0x0
	.amdhsa_kernel _ZN7rocprim17ROCPRIM_400000_NS6detail17trampoline_kernelINS0_14default_configENS1_25partition_config_selectorILNS1_17partition_subalgoE9EllbEEZZNS1_14partition_implILS5_9ELb0ES3_jPlS8_PNS0_10empty_typeENS0_5tupleIJS8_S9_EEENSB_IJS8_SA_EEENS0_18inequality_wrapperIZN2at6native12_GLOBAL__N_124unique_dim_cuda_templateItEESt5tupleIJNSF_6TensorESK_SK_EERKSK_lbbbEUlllE0_EEPmJS9_EEE10hipError_tPvRmT3_T4_T5_T6_T7_T9_mT8_P12ihipStream_tbDpT10_ENKUlT_T0_E_clISt17integral_constantIbLb0EES19_IbLb1EEEEDaS15_S16_EUlS15_E_NS1_11comp_targetILNS1_3genE8ELNS1_11target_archE1030ELNS1_3gpuE2ELNS1_3repE0EEENS1_30default_config_static_selectorELNS0_4arch9wavefront6targetE1EEEvT1_
		.amdhsa_group_segment_fixed_size 0
		.amdhsa_private_segment_fixed_size 0
		.amdhsa_kernarg_size 136
		.amdhsa_user_sgpr_count 2
		.amdhsa_user_sgpr_dispatch_ptr 0
		.amdhsa_user_sgpr_queue_ptr 0
		.amdhsa_user_sgpr_kernarg_segment_ptr 1
		.amdhsa_user_sgpr_dispatch_id 0
		.amdhsa_user_sgpr_kernarg_preload_length 0
		.amdhsa_user_sgpr_kernarg_preload_offset 0
		.amdhsa_user_sgpr_private_segment_size 0
		.amdhsa_uses_dynamic_stack 0
		.amdhsa_enable_private_segment 0
		.amdhsa_system_sgpr_workgroup_id_x 1
		.amdhsa_system_sgpr_workgroup_id_y 0
		.amdhsa_system_sgpr_workgroup_id_z 0
		.amdhsa_system_sgpr_workgroup_info 0
		.amdhsa_system_vgpr_workitem_id 0
		.amdhsa_next_free_vgpr 1
		.amdhsa_next_free_sgpr 0
		.amdhsa_accum_offset 4
		.amdhsa_reserve_vcc 0
		.amdhsa_float_round_mode_32 0
		.amdhsa_float_round_mode_16_64 0
		.amdhsa_float_denorm_mode_32 3
		.amdhsa_float_denorm_mode_16_64 3
		.amdhsa_dx10_clamp 1
		.amdhsa_ieee_mode 1
		.amdhsa_fp16_overflow 0
		.amdhsa_tg_split 0
		.amdhsa_exception_fp_ieee_invalid_op 0
		.amdhsa_exception_fp_denorm_src 0
		.amdhsa_exception_fp_ieee_div_zero 0
		.amdhsa_exception_fp_ieee_overflow 0
		.amdhsa_exception_fp_ieee_underflow 0
		.amdhsa_exception_fp_ieee_inexact 0
		.amdhsa_exception_int_div_zero 0
	.end_amdhsa_kernel
	.section	.text._ZN7rocprim17ROCPRIM_400000_NS6detail17trampoline_kernelINS0_14default_configENS1_25partition_config_selectorILNS1_17partition_subalgoE9EllbEEZZNS1_14partition_implILS5_9ELb0ES3_jPlS8_PNS0_10empty_typeENS0_5tupleIJS8_S9_EEENSB_IJS8_SA_EEENS0_18inequality_wrapperIZN2at6native12_GLOBAL__N_124unique_dim_cuda_templateItEESt5tupleIJNSF_6TensorESK_SK_EERKSK_lbbbEUlllE0_EEPmJS9_EEE10hipError_tPvRmT3_T4_T5_T6_T7_T9_mT8_P12ihipStream_tbDpT10_ENKUlT_T0_E_clISt17integral_constantIbLb0EES19_IbLb1EEEEDaS15_S16_EUlS15_E_NS1_11comp_targetILNS1_3genE8ELNS1_11target_archE1030ELNS1_3gpuE2ELNS1_3repE0EEENS1_30default_config_static_selectorELNS0_4arch9wavefront6targetE1EEEvT1_,"axG",@progbits,_ZN7rocprim17ROCPRIM_400000_NS6detail17trampoline_kernelINS0_14default_configENS1_25partition_config_selectorILNS1_17partition_subalgoE9EllbEEZZNS1_14partition_implILS5_9ELb0ES3_jPlS8_PNS0_10empty_typeENS0_5tupleIJS8_S9_EEENSB_IJS8_SA_EEENS0_18inequality_wrapperIZN2at6native12_GLOBAL__N_124unique_dim_cuda_templateItEESt5tupleIJNSF_6TensorESK_SK_EERKSK_lbbbEUlllE0_EEPmJS9_EEE10hipError_tPvRmT3_T4_T5_T6_T7_T9_mT8_P12ihipStream_tbDpT10_ENKUlT_T0_E_clISt17integral_constantIbLb0EES19_IbLb1EEEEDaS15_S16_EUlS15_E_NS1_11comp_targetILNS1_3genE8ELNS1_11target_archE1030ELNS1_3gpuE2ELNS1_3repE0EEENS1_30default_config_static_selectorELNS0_4arch9wavefront6targetE1EEEvT1_,comdat
.Lfunc_end1491:
	.size	_ZN7rocprim17ROCPRIM_400000_NS6detail17trampoline_kernelINS0_14default_configENS1_25partition_config_selectorILNS1_17partition_subalgoE9EllbEEZZNS1_14partition_implILS5_9ELb0ES3_jPlS8_PNS0_10empty_typeENS0_5tupleIJS8_S9_EEENSB_IJS8_SA_EEENS0_18inequality_wrapperIZN2at6native12_GLOBAL__N_124unique_dim_cuda_templateItEESt5tupleIJNSF_6TensorESK_SK_EERKSK_lbbbEUlllE0_EEPmJS9_EEE10hipError_tPvRmT3_T4_T5_T6_T7_T9_mT8_P12ihipStream_tbDpT10_ENKUlT_T0_E_clISt17integral_constantIbLb0EES19_IbLb1EEEEDaS15_S16_EUlS15_E_NS1_11comp_targetILNS1_3genE8ELNS1_11target_archE1030ELNS1_3gpuE2ELNS1_3repE0EEENS1_30default_config_static_selectorELNS0_4arch9wavefront6targetE1EEEvT1_, .Lfunc_end1491-_ZN7rocprim17ROCPRIM_400000_NS6detail17trampoline_kernelINS0_14default_configENS1_25partition_config_selectorILNS1_17partition_subalgoE9EllbEEZZNS1_14partition_implILS5_9ELb0ES3_jPlS8_PNS0_10empty_typeENS0_5tupleIJS8_S9_EEENSB_IJS8_SA_EEENS0_18inequality_wrapperIZN2at6native12_GLOBAL__N_124unique_dim_cuda_templateItEESt5tupleIJNSF_6TensorESK_SK_EERKSK_lbbbEUlllE0_EEPmJS9_EEE10hipError_tPvRmT3_T4_T5_T6_T7_T9_mT8_P12ihipStream_tbDpT10_ENKUlT_T0_E_clISt17integral_constantIbLb0EES19_IbLb1EEEEDaS15_S16_EUlS15_E_NS1_11comp_targetILNS1_3genE8ELNS1_11target_archE1030ELNS1_3gpuE2ELNS1_3repE0EEENS1_30default_config_static_selectorELNS0_4arch9wavefront6targetE1EEEvT1_
                                        ; -- End function
	.section	.AMDGPU.csdata,"",@progbits
; Kernel info:
; codeLenInByte = 0
; NumSgprs: 6
; NumVgprs: 0
; NumAgprs: 0
; TotalNumVgprs: 0
; ScratchSize: 0
; MemoryBound: 0
; FloatMode: 240
; IeeeMode: 1
; LDSByteSize: 0 bytes/workgroup (compile time only)
; SGPRBlocks: 0
; VGPRBlocks: 0
; NumSGPRsForWavesPerEU: 6
; NumVGPRsForWavesPerEU: 1
; AccumOffset: 4
; Occupancy: 8
; WaveLimiterHint : 0
; COMPUTE_PGM_RSRC2:SCRATCH_EN: 0
; COMPUTE_PGM_RSRC2:USER_SGPR: 2
; COMPUTE_PGM_RSRC2:TRAP_HANDLER: 0
; COMPUTE_PGM_RSRC2:TGID_X_EN: 1
; COMPUTE_PGM_RSRC2:TGID_Y_EN: 0
; COMPUTE_PGM_RSRC2:TGID_Z_EN: 0
; COMPUTE_PGM_RSRC2:TIDIG_COMP_CNT: 0
; COMPUTE_PGM_RSRC3_GFX90A:ACCUM_OFFSET: 0
; COMPUTE_PGM_RSRC3_GFX90A:TG_SPLIT: 0
	.section	.text._ZN7rocprim17ROCPRIM_400000_NS6detail17trampoline_kernelINS0_14default_configENS1_37merge_sort_block_sort_config_selectorIlNS0_10empty_typeEEEZNS1_21merge_sort_block_sortIS3_PlS8_PS5_S9_ZN2at6native12_GLOBAL__N_124unique_dim_cuda_templateIjEESt5tupleIJNSA_6TensorESF_SF_EERKSF_lbbbEUlllE_EE10hipError_tT0_T1_T2_T3_mRjT4_P12ihipStream_tbNS1_7vsmem_tEEUlT_E_NS1_11comp_targetILNS1_3genE0ELNS1_11target_archE4294967295ELNS1_3gpuE0ELNS1_3repE0EEENS1_30default_config_static_selectorELNS0_4arch9wavefront6targetE1EEEvSM_,"axG",@progbits,_ZN7rocprim17ROCPRIM_400000_NS6detail17trampoline_kernelINS0_14default_configENS1_37merge_sort_block_sort_config_selectorIlNS0_10empty_typeEEEZNS1_21merge_sort_block_sortIS3_PlS8_PS5_S9_ZN2at6native12_GLOBAL__N_124unique_dim_cuda_templateIjEESt5tupleIJNSA_6TensorESF_SF_EERKSF_lbbbEUlllE_EE10hipError_tT0_T1_T2_T3_mRjT4_P12ihipStream_tbNS1_7vsmem_tEEUlT_E_NS1_11comp_targetILNS1_3genE0ELNS1_11target_archE4294967295ELNS1_3gpuE0ELNS1_3repE0EEENS1_30default_config_static_selectorELNS0_4arch9wavefront6targetE1EEEvSM_,comdat
	.globl	_ZN7rocprim17ROCPRIM_400000_NS6detail17trampoline_kernelINS0_14default_configENS1_37merge_sort_block_sort_config_selectorIlNS0_10empty_typeEEEZNS1_21merge_sort_block_sortIS3_PlS8_PS5_S9_ZN2at6native12_GLOBAL__N_124unique_dim_cuda_templateIjEESt5tupleIJNSA_6TensorESF_SF_EERKSF_lbbbEUlllE_EE10hipError_tT0_T1_T2_T3_mRjT4_P12ihipStream_tbNS1_7vsmem_tEEUlT_E_NS1_11comp_targetILNS1_3genE0ELNS1_11target_archE4294967295ELNS1_3gpuE0ELNS1_3repE0EEENS1_30default_config_static_selectorELNS0_4arch9wavefront6targetE1EEEvSM_ ; -- Begin function _ZN7rocprim17ROCPRIM_400000_NS6detail17trampoline_kernelINS0_14default_configENS1_37merge_sort_block_sort_config_selectorIlNS0_10empty_typeEEEZNS1_21merge_sort_block_sortIS3_PlS8_PS5_S9_ZN2at6native12_GLOBAL__N_124unique_dim_cuda_templateIjEESt5tupleIJNSA_6TensorESF_SF_EERKSF_lbbbEUlllE_EE10hipError_tT0_T1_T2_T3_mRjT4_P12ihipStream_tbNS1_7vsmem_tEEUlT_E_NS1_11comp_targetILNS1_3genE0ELNS1_11target_archE4294967295ELNS1_3gpuE0ELNS1_3repE0EEENS1_30default_config_static_selectorELNS0_4arch9wavefront6targetE1EEEvSM_
	.p2align	8
	.type	_ZN7rocprim17ROCPRIM_400000_NS6detail17trampoline_kernelINS0_14default_configENS1_37merge_sort_block_sort_config_selectorIlNS0_10empty_typeEEEZNS1_21merge_sort_block_sortIS3_PlS8_PS5_S9_ZN2at6native12_GLOBAL__N_124unique_dim_cuda_templateIjEESt5tupleIJNSA_6TensorESF_SF_EERKSF_lbbbEUlllE_EE10hipError_tT0_T1_T2_T3_mRjT4_P12ihipStream_tbNS1_7vsmem_tEEUlT_E_NS1_11comp_targetILNS1_3genE0ELNS1_11target_archE4294967295ELNS1_3gpuE0ELNS1_3repE0EEENS1_30default_config_static_selectorELNS0_4arch9wavefront6targetE1EEEvSM_,@function
_ZN7rocprim17ROCPRIM_400000_NS6detail17trampoline_kernelINS0_14default_configENS1_37merge_sort_block_sort_config_selectorIlNS0_10empty_typeEEEZNS1_21merge_sort_block_sortIS3_PlS8_PS5_S9_ZN2at6native12_GLOBAL__N_124unique_dim_cuda_templateIjEESt5tupleIJNSA_6TensorESF_SF_EERKSF_lbbbEUlllE_EE10hipError_tT0_T1_T2_T3_mRjT4_P12ihipStream_tbNS1_7vsmem_tEEUlT_E_NS1_11comp_targetILNS1_3genE0ELNS1_11target_archE4294967295ELNS1_3gpuE0ELNS1_3repE0EEENS1_30default_config_static_selectorELNS0_4arch9wavefront6targetE1EEEvSM_: ; @_ZN7rocprim17ROCPRIM_400000_NS6detail17trampoline_kernelINS0_14default_configENS1_37merge_sort_block_sort_config_selectorIlNS0_10empty_typeEEEZNS1_21merge_sort_block_sortIS3_PlS8_PS5_S9_ZN2at6native12_GLOBAL__N_124unique_dim_cuda_templateIjEESt5tupleIJNSA_6TensorESF_SF_EERKSF_lbbbEUlllE_EE10hipError_tT0_T1_T2_T3_mRjT4_P12ihipStream_tbNS1_7vsmem_tEEUlT_E_NS1_11comp_targetILNS1_3genE0ELNS1_11target_archE4294967295ELNS1_3gpuE0ELNS1_3repE0EEENS1_30default_config_static_selectorELNS0_4arch9wavefront6targetE1EEEvSM_
; %bb.0:
	.section	.rodata,"a",@progbits
	.p2align	6, 0x0
	.amdhsa_kernel _ZN7rocprim17ROCPRIM_400000_NS6detail17trampoline_kernelINS0_14default_configENS1_37merge_sort_block_sort_config_selectorIlNS0_10empty_typeEEEZNS1_21merge_sort_block_sortIS3_PlS8_PS5_S9_ZN2at6native12_GLOBAL__N_124unique_dim_cuda_templateIjEESt5tupleIJNSA_6TensorESF_SF_EERKSF_lbbbEUlllE_EE10hipError_tT0_T1_T2_T3_mRjT4_P12ihipStream_tbNS1_7vsmem_tEEUlT_E_NS1_11comp_targetILNS1_3genE0ELNS1_11target_archE4294967295ELNS1_3gpuE0ELNS1_3repE0EEENS1_30default_config_static_selectorELNS0_4arch9wavefront6targetE1EEEvSM_
		.amdhsa_group_segment_fixed_size 0
		.amdhsa_private_segment_fixed_size 0
		.amdhsa_kernarg_size 72
		.amdhsa_user_sgpr_count 2
		.amdhsa_user_sgpr_dispatch_ptr 0
		.amdhsa_user_sgpr_queue_ptr 0
		.amdhsa_user_sgpr_kernarg_segment_ptr 1
		.amdhsa_user_sgpr_dispatch_id 0
		.amdhsa_user_sgpr_kernarg_preload_length 0
		.amdhsa_user_sgpr_kernarg_preload_offset 0
		.amdhsa_user_sgpr_private_segment_size 0
		.amdhsa_uses_dynamic_stack 0
		.amdhsa_enable_private_segment 0
		.amdhsa_system_sgpr_workgroup_id_x 1
		.amdhsa_system_sgpr_workgroup_id_y 0
		.amdhsa_system_sgpr_workgroup_id_z 0
		.amdhsa_system_sgpr_workgroup_info 0
		.amdhsa_system_vgpr_workitem_id 0
		.amdhsa_next_free_vgpr 1
		.amdhsa_next_free_sgpr 0
		.amdhsa_accum_offset 4
		.amdhsa_reserve_vcc 0
		.amdhsa_float_round_mode_32 0
		.amdhsa_float_round_mode_16_64 0
		.amdhsa_float_denorm_mode_32 3
		.amdhsa_float_denorm_mode_16_64 3
		.amdhsa_dx10_clamp 1
		.amdhsa_ieee_mode 1
		.amdhsa_fp16_overflow 0
		.amdhsa_tg_split 0
		.amdhsa_exception_fp_ieee_invalid_op 0
		.amdhsa_exception_fp_denorm_src 0
		.amdhsa_exception_fp_ieee_div_zero 0
		.amdhsa_exception_fp_ieee_overflow 0
		.amdhsa_exception_fp_ieee_underflow 0
		.amdhsa_exception_fp_ieee_inexact 0
		.amdhsa_exception_int_div_zero 0
	.end_amdhsa_kernel
	.section	.text._ZN7rocprim17ROCPRIM_400000_NS6detail17trampoline_kernelINS0_14default_configENS1_37merge_sort_block_sort_config_selectorIlNS0_10empty_typeEEEZNS1_21merge_sort_block_sortIS3_PlS8_PS5_S9_ZN2at6native12_GLOBAL__N_124unique_dim_cuda_templateIjEESt5tupleIJNSA_6TensorESF_SF_EERKSF_lbbbEUlllE_EE10hipError_tT0_T1_T2_T3_mRjT4_P12ihipStream_tbNS1_7vsmem_tEEUlT_E_NS1_11comp_targetILNS1_3genE0ELNS1_11target_archE4294967295ELNS1_3gpuE0ELNS1_3repE0EEENS1_30default_config_static_selectorELNS0_4arch9wavefront6targetE1EEEvSM_,"axG",@progbits,_ZN7rocprim17ROCPRIM_400000_NS6detail17trampoline_kernelINS0_14default_configENS1_37merge_sort_block_sort_config_selectorIlNS0_10empty_typeEEEZNS1_21merge_sort_block_sortIS3_PlS8_PS5_S9_ZN2at6native12_GLOBAL__N_124unique_dim_cuda_templateIjEESt5tupleIJNSA_6TensorESF_SF_EERKSF_lbbbEUlllE_EE10hipError_tT0_T1_T2_T3_mRjT4_P12ihipStream_tbNS1_7vsmem_tEEUlT_E_NS1_11comp_targetILNS1_3genE0ELNS1_11target_archE4294967295ELNS1_3gpuE0ELNS1_3repE0EEENS1_30default_config_static_selectorELNS0_4arch9wavefront6targetE1EEEvSM_,comdat
.Lfunc_end1492:
	.size	_ZN7rocprim17ROCPRIM_400000_NS6detail17trampoline_kernelINS0_14default_configENS1_37merge_sort_block_sort_config_selectorIlNS0_10empty_typeEEEZNS1_21merge_sort_block_sortIS3_PlS8_PS5_S9_ZN2at6native12_GLOBAL__N_124unique_dim_cuda_templateIjEESt5tupleIJNSA_6TensorESF_SF_EERKSF_lbbbEUlllE_EE10hipError_tT0_T1_T2_T3_mRjT4_P12ihipStream_tbNS1_7vsmem_tEEUlT_E_NS1_11comp_targetILNS1_3genE0ELNS1_11target_archE4294967295ELNS1_3gpuE0ELNS1_3repE0EEENS1_30default_config_static_selectorELNS0_4arch9wavefront6targetE1EEEvSM_, .Lfunc_end1492-_ZN7rocprim17ROCPRIM_400000_NS6detail17trampoline_kernelINS0_14default_configENS1_37merge_sort_block_sort_config_selectorIlNS0_10empty_typeEEEZNS1_21merge_sort_block_sortIS3_PlS8_PS5_S9_ZN2at6native12_GLOBAL__N_124unique_dim_cuda_templateIjEESt5tupleIJNSA_6TensorESF_SF_EERKSF_lbbbEUlllE_EE10hipError_tT0_T1_T2_T3_mRjT4_P12ihipStream_tbNS1_7vsmem_tEEUlT_E_NS1_11comp_targetILNS1_3genE0ELNS1_11target_archE4294967295ELNS1_3gpuE0ELNS1_3repE0EEENS1_30default_config_static_selectorELNS0_4arch9wavefront6targetE1EEEvSM_
                                        ; -- End function
	.section	.AMDGPU.csdata,"",@progbits
; Kernel info:
; codeLenInByte = 0
; NumSgprs: 6
; NumVgprs: 0
; NumAgprs: 0
; TotalNumVgprs: 0
; ScratchSize: 0
; MemoryBound: 0
; FloatMode: 240
; IeeeMode: 1
; LDSByteSize: 0 bytes/workgroup (compile time only)
; SGPRBlocks: 0
; VGPRBlocks: 0
; NumSGPRsForWavesPerEU: 6
; NumVGPRsForWavesPerEU: 1
; AccumOffset: 4
; Occupancy: 8
; WaveLimiterHint : 0
; COMPUTE_PGM_RSRC2:SCRATCH_EN: 0
; COMPUTE_PGM_RSRC2:USER_SGPR: 2
; COMPUTE_PGM_RSRC2:TRAP_HANDLER: 0
; COMPUTE_PGM_RSRC2:TGID_X_EN: 1
; COMPUTE_PGM_RSRC2:TGID_Y_EN: 0
; COMPUTE_PGM_RSRC2:TGID_Z_EN: 0
; COMPUTE_PGM_RSRC2:TIDIG_COMP_CNT: 0
; COMPUTE_PGM_RSRC3_GFX90A:ACCUM_OFFSET: 0
; COMPUTE_PGM_RSRC3_GFX90A:TG_SPLIT: 0
	.text
	.p2align	2                               ; -- Begin function _ZN7rocprim17ROCPRIM_400000_NS6detail15block_sort_implIlNS0_10empty_typeELj256ELj8ELNS0_4arch9wavefront6targetE1EvE4sortIPlS9_PS3_SA_ZN2at6native12_GLOBAL__N_124unique_dim_cuda_templateIjEESt5tupleIJNSB_6TensorESG_SG_EERKSG_lbbbEUlllE_EEvjbT_T0_T1_T2_T3_RNS7_12storage_typeE
	.type	_ZN7rocprim17ROCPRIM_400000_NS6detail15block_sort_implIlNS0_10empty_typeELj256ELj8ELNS0_4arch9wavefront6targetE1EvE4sortIPlS9_PS3_SA_ZN2at6native12_GLOBAL__N_124unique_dim_cuda_templateIjEESt5tupleIJNSB_6TensorESG_SG_EERKSG_lbbbEUlllE_EEvjbT_T0_T1_T2_T3_RNS7_12storage_typeE,@function
_ZN7rocprim17ROCPRIM_400000_NS6detail15block_sort_implIlNS0_10empty_typeELj256ELj8ELNS0_4arch9wavefront6targetE1EvE4sortIPlS9_PS3_SA_ZN2at6native12_GLOBAL__N_124unique_dim_cuda_templateIjEESt5tupleIJNSB_6TensorESG_SG_EERKSG_lbbbEUlllE_EEvjbT_T0_T1_T2_T3_RNS7_12storage_typeE: ; @_ZN7rocprim17ROCPRIM_400000_NS6detail15block_sort_implIlNS0_10empty_typeELj256ELj8ELNS0_4arch9wavefront6targetE1EvE4sortIPlS9_PS3_SA_ZN2at6native12_GLOBAL__N_124unique_dim_cuda_templateIjEESt5tupleIJNSB_6TensorESG_SG_EERKSG_lbbbEUlllE_EEvjbT_T0_T1_T2_T3_RNS7_12storage_typeE
; %bb.0:
	s_waitcnt vmcnt(0) expcnt(0) lgkmcnt(0)
	s_or_saveexec_b64 s[0:1], -1
	scratch_store_dword off, v40, s32       ; 4-byte Folded Spill
	s_mov_b64 exec, s[0:1]
	v_writelane_b32 v40, s34, 0
	v_writelane_b32 v40, s35, 1
	;; [unrolled: 1-line block ×36, first 2 shown]
	s_nop 1
	v_writelane_b32 v40, s31, 36
	v_and_b32_e32 v1, 1, v1
	v_cmp_eq_u32_e32 vcc, 1, v1
	v_and_b32_e32 v28, 0x3ff, v31
	s_xor_b64 s[0:1], vcc, -1
	s_mov_b64 s[38:39], 0
	v_bfe_u32 v64, v31, 10, 10
	v_bfe_u32 v65, v31, 20, 10
	v_lshlrev_b32_e32 v30, 3, v28
	v_lshrrev_b32_e32 v32, 5, v28
	v_lshrrev_b32_e32 v1, 2, v28
                                        ; implicit-def: $vgpr12_vgpr13
	s_and_saveexec_b64 s[2:3], s[0:1]
	s_xor_b64 s[6:7], exec, s[2:3]
	s_cbranch_execnz .LBB1493_5
; %bb.1:
	s_andn2_saveexec_b64 s[40:41], s[6:7]
	s_cbranch_execnz .LBB1493_705
.LBB1493_2:
	s_or_b64 exec, exec, s[40:41]
	s_and_saveexec_b64 s[0:1], s[38:39]
	s_cbranch_execz .LBB1493_4
.LBB1493_3:
	s_waitcnt vmcnt(0) lgkmcnt(0)
	v_lshl_add_u64 v[0:1], v[28:29], 3, v[4:5]
	v_add_co_u32_e32 v0, vcc, 0x3000, v0
	s_nop 1
	v_addc_co_u32_e32 v1, vcc, 0, v1, vcc
	flat_store_dwordx2 v[0:1], v[12:13] offset:2048
.LBB1493_4:
	s_or_b64 exec, exec, s[0:1]
	v_readlane_b32 s30, v40, 35
	v_readlane_b32 s31, v40, 36
	;; [unrolled: 1-line block ×37, first 2 shown]
	s_or_saveexec_b64 s[0:1], -1
	scratch_load_dword v40, off, s32        ; 4-byte Folded Reload
	s_mov_b64 exec, s[0:1]
	s_waitcnt vmcnt(0) lgkmcnt(0)
	s_setpc_b64 s[30:31]
.LBB1493_5:
	v_mov_b32_e32 v29, 0
	v_mov_b32_e32 v31, v29
	v_lshl_add_u64 v[2:3], v[2:3], 0, v[30:31]
	v_add_co_u32_e32 v12, vcc, 0x1000, v2
	v_add_u32_e32 v26, 0x200, v28
	s_nop 0
	v_addc_co_u32_e32 v13, vcc, 0, v3, vcc
	flat_load_dwordx2 v[14:15], v[2:3]
	flat_load_dwordx2 v[16:17], v[2:3] offset:2048
	flat_load_dwordx2 v[18:19], v[12:13]
	flat_load_dwordx2 v[20:21], v[12:13] offset:2048
	v_add_co_u32_e32 v12, vcc, 0x2000, v2
	v_add_u32_e32 v27, 0x300, v28
	s_nop 0
	v_addc_co_u32_e32 v13, vcc, 0, v3, vcc
	v_add_co_u32_e32 v2, vcc, 0x3000, v2
	v_or_b32_e32 v31, 0x400, v28
	s_nop 0
	v_addc_co_u32_e32 v3, vcc, 0, v3, vcc
	flat_load_dwordx2 v[22:23], v[12:13]
	flat_load_dwordx2 v[54:55], v[12:13] offset:2048
	flat_load_dwordx2 v[66:67], v[2:3]
	flat_load_dwordx2 v[68:69], v[2:3] offset:2048
	v_add_u32_e32 v3, 0x100, v28
	v_add_u32_e32 v34, 0x500, v28
	;; [unrolled: 1-line block ×4, first 2 shown]
	v_add_lshl_u32 v0, v32, v28, 3
	v_add_lshl_u32 v2, v1, v30, 3
	v_mov_b32_e32 v1, v29
	v_lshrrev_b32_e32 v12, 5, v3
	v_lshrrev_b32_e32 v32, 5, v26
	;; [unrolled: 1-line block ×7, first 2 shown]
	v_mov_b32_e32 v3, v29
	v_mov_b32_e32 v13, v29
	;; [unrolled: 1-line block ×8, first 2 shown]
	v_lshl_add_u64 v[24:25], v[10:11], 0, v[0:1]
	v_add_lshl_u32 v12, v12, v28, 3
	v_add_lshl_u32 v32, v32, v26, 3
	;; [unrolled: 1-line block ×7, first 2 shown]
	v_lshl_add_u64 v[52:53], v[10:11], 0, v[2:3]
	v_lshl_add_u64 v[26:27], v[10:11], 0, v[12:13]
	;; [unrolled: 1-line block ×8, first 2 shown]
	v_cmp_lt_i64_e32 vcc, 0, v[6:7]
	s_waitcnt vmcnt(0) lgkmcnt(0)
	flat_store_dwordx2 v[24:25], v[14:15]
	flat_store_dwordx2 v[26:27], v[16:17] offset:2048
	flat_store_dwordx2 v[34:35], v[18:19]
	flat_store_dwordx2 v[32:33], v[20:21]
	flat_store_dwordx2 v[38:39], v[22:23]
	flat_store_dwordx2 v[36:37], v[54:55]
	flat_store_dwordx2 v[50:51], v[66:67]
	flat_store_dwordx2 v[48:49], v[68:69]
	s_waitcnt lgkmcnt(0)
	s_barrier
	flat_load_dwordx4 v[20:23], v[52:53]
	flat_load_dwordx4 v[16:19], v[52:53] offset:16
	flat_load_dwordx4 v[12:15], v[52:53] offset:32
	;; [unrolled: 1-line block ×3, first 2 shown]
	s_waitcnt lgkmcnt(0)
	s_barrier
	s_load_dwordx2 s[0:1], s[8:9], 0x0
	s_waitcnt lgkmcnt(0)
	s_cmp_lt_u32 s12, s0
	s_cselect_b32 s2, 12, 18
	s_cmp_lt_u32 s13, s1
	s_cselect_b32 s0, 14, 20
	s_add_u32 s0, s8, s0
	s_addc_u32 s1, s9, 0
	s_add_u32 s2, s8, s2
	s_addc_u32 s3, s9, 0
	global_load_ushort v31, v29, s[0:1]
	global_load_ushort v54, v29, s[2:3]
	s_movk_i32 s0, 0x800
	s_waitcnt vmcnt(0)
	v_mad_u32_u24 v31, v65, v31, v64
	v_mul_lo_u32 v31, v31, v54
	v_add_lshl_u32 v31, v31, v28, 3
	v_cmp_gt_u32_e64 s[0:1], s0, v31
	s_and_saveexec_b64 s[10:11], s[0:1]
	s_cbranch_execz .LBB1493_231
; %bb.6:
	s_and_saveexec_b64 s[14:15], vcc
	s_cbranch_execnz .LBB1493_34
; %bb.7:
	s_or_b64 exec, exec, s[14:15]
	s_and_saveexec_b64 s[14:15], vcc
	s_cbranch_execnz .LBB1493_41
.LBB1493_8:
	s_or_b64 exec, exec, s[14:15]
	s_and_saveexec_b64 s[14:15], vcc
	s_cbranch_execnz .LBB1493_48
.LBB1493_9:
	s_or_b64 exec, exec, s[14:15]
	s_and_saveexec_b64 s[14:15], vcc
	s_cbranch_execnz .LBB1493_55
.LBB1493_10:
	s_or_b64 exec, exec, s[14:15]
	s_and_saveexec_b64 s[0:1], vcc
	s_xor_b64 s[14:15], exec, s[0:1]
	s_cbranch_execnz .LBB1493_62
.LBB1493_11:
	s_or_b64 exec, exec, s[14:15]
	s_and_saveexec_b64 s[14:15], vcc
	s_cbranch_execnz .LBB1493_69
.LBB1493_12:
	s_or_b64 exec, exec, s[14:15]
	s_and_saveexec_b64 s[14:15], vcc
	s_cbranch_execnz .LBB1493_76
.LBB1493_13:
	s_or_b64 exec, exec, s[14:15]
	s_and_saveexec_b64 s[14:15], vcc
	s_cbranch_execnz .LBB1493_83
.LBB1493_14:
	s_or_b64 exec, exec, s[14:15]
	s_and_saveexec_b64 s[14:15], vcc
	s_cbranch_execnz .LBB1493_90
.LBB1493_15:
	s_or_b64 exec, exec, s[14:15]
	s_and_saveexec_b64 s[14:15], vcc
	s_cbranch_execnz .LBB1493_97
.LBB1493_16:
	s_or_b64 exec, exec, s[14:15]
	s_and_saveexec_b64 s[14:15], vcc
	s_cbranch_execnz .LBB1493_104
.LBB1493_17:
	s_or_b64 exec, exec, s[14:15]
	s_and_saveexec_b64 s[14:15], vcc
	s_cbranch_execnz .LBB1493_111
.LBB1493_18:
	s_or_b64 exec, exec, s[14:15]
	s_and_saveexec_b64 s[14:15], vcc
	s_cbranch_execnz .LBB1493_118
.LBB1493_19:
	s_or_b64 exec, exec, s[14:15]
	s_and_saveexec_b64 s[14:15], vcc
	s_cbranch_execnz .LBB1493_125
.LBB1493_20:
	s_or_b64 exec, exec, s[14:15]
	s_and_saveexec_b64 s[14:15], vcc
	s_cbranch_execnz .LBB1493_132
.LBB1493_21:
	s_or_b64 exec, exec, s[14:15]
	s_and_saveexec_b64 s[14:15], vcc
	s_cbranch_execnz .LBB1493_139
.LBB1493_22:
	s_or_b64 exec, exec, s[14:15]
	s_and_saveexec_b64 s[14:15], vcc
	s_cbranch_execnz .LBB1493_146
.LBB1493_23:
	s_or_b64 exec, exec, s[14:15]
	s_and_saveexec_b64 s[14:15], vcc
	s_cbranch_execnz .LBB1493_153
.LBB1493_24:
	s_or_b64 exec, exec, s[14:15]
	s_and_saveexec_b64 s[14:15], vcc
	s_cbranch_execnz .LBB1493_160
.LBB1493_25:
	s_or_b64 exec, exec, s[14:15]
	s_and_saveexec_b64 s[14:15], vcc
	s_cbranch_execnz .LBB1493_167
.LBB1493_26:
	s_or_b64 exec, exec, s[14:15]
	s_and_saveexec_b64 s[14:15], vcc
	s_cbranch_execnz .LBB1493_174
.LBB1493_27:
	s_or_b64 exec, exec, s[14:15]
	s_and_saveexec_b64 s[14:15], vcc
	s_cbranch_execnz .LBB1493_181
.LBB1493_28:
	s_or_b64 exec, exec, s[14:15]
	s_and_saveexec_b64 s[14:15], vcc
	s_cbranch_execnz .LBB1493_188
.LBB1493_29:
	s_or_b64 exec, exec, s[14:15]
	s_and_saveexec_b64 s[14:15], vcc
	s_cbranch_execnz .LBB1493_195
.LBB1493_30:
	s_or_b64 exec, exec, s[14:15]
	s_and_saveexec_b64 s[14:15], vcc
	s_cbranch_execnz .LBB1493_202
.LBB1493_31:
	s_or_b64 exec, exec, s[14:15]
	s_and_saveexec_b64 s[14:15], vcc
	s_cbranch_execnz .LBB1493_209
.LBB1493_32:
	s_or_b64 exec, exec, s[14:15]
	s_and_saveexec_b64 s[14:15], vcc
	s_cbranch_execnz .LBB1493_216
.LBB1493_33:
	s_or_b64 exec, exec, s[14:15]
	s_and_saveexec_b64 s[14:15], vcc
	s_cbranch_execnz .LBB1493_223
	s_branch .LBB1493_230
.LBB1493_34:
	v_mul_lo_u32 v64, v21, v6
	v_mul_lo_u32 v65, v20, v7
	v_mad_u64_u32 v[54:55], s[0:1], v20, v6, 0
	v_add3_u32 v55, v55, v65, v64
	v_mul_lo_u32 v66, v23, v6
	v_mul_lo_u32 v67, v22, v7
	v_mad_u64_u32 v[64:65], s[0:1], v22, v6, 0
	v_add3_u32 v65, v65, v67, v66
	v_lshl_add_u64 v[54:55], v[54:55], 2, v[8:9]
	v_lshl_add_u64 v[64:65], v[64:65], 2, v[8:9]
	s_mov_b64 s[18:19], 0
	v_mov_b64_e32 v[66:67], v[6:7]
                                        ; implicit-def: $sgpr16_sgpr17
                                        ; implicit-def: $sgpr20_sgpr21
                                        ; implicit-def: $sgpr24_sgpr25
                                        ; implicit-def: $sgpr22_sgpr23
                                        ; implicit-def: $sgpr26_sgpr27
                                        ; implicit-def: $sgpr28_sgpr29
	s_branch .LBB1493_36
.LBB1493_35:                            ;   in Loop: Header=BB1493_36 Depth=1
	s_or_b64 exec, exec, s[30:31]
	s_and_b64 s[0:1], exec, s[24:25]
	s_or_b64 s[18:19], s[0:1], s[18:19]
	s_andn2_b64 s[0:1], s[28:29], exec
	s_and_b64 s[4:5], s[26:27], exec
	s_or_b64 s[28:29], s[0:1], s[4:5]
	s_andn2_b64 s[0:1], s[20:21], exec
	s_and_b64 s[4:5], s[22:23], exec
	;; [unrolled: 3-line block ×3, first 2 shown]
	s_or_b64 s[16:17], s[0:1], s[2:3]
	s_andn2_b64 exec, exec, s[18:19]
	s_cbranch_execz .LBB1493_38
.LBB1493_36:                            ; =>This Inner Loop Header: Depth=1
	flat_load_dword v68, v[64:65]
	flat_load_dword v69, v[54:55]
	s_andn2_b64 s[26:27], s[26:27], exec
	s_or_b64 s[22:23], s[22:23], exec
	s_or_b64 s[24:25], s[24:25], exec
	s_waitcnt vmcnt(0) lgkmcnt(0)
	v_cmp_le_u32_e64 s[2:3], v68, v69
	v_cmp_lt_u32_e64 s[0:1], v68, v69
	s_and_b64 s[2:3], s[2:3], s[28:29]
	v_cmp_eq_u32_e64 s[4:5], v68, v69
	s_or_b64 s[2:3], s[0:1], s[2:3]
	s_and_saveexec_b64 s[30:31], s[4:5]
	s_cbranch_execz .LBB1493_35
; %bb.37:                               ;   in Loop: Header=BB1493_36 Depth=1
	v_lshl_add_u64 v[66:67], v[66:67], 0, -1
	v_cmp_eq_u64_e64 s[0:1], 0, v[66:67]
	s_andn2_b64 s[4:5], s[26:27], exec
	s_and_b64 s[26:27], s[2:3], exec
	s_or_b64 s[26:27], s[4:5], s[26:27]
	s_andn2_b64 s[4:5], s[24:25], exec
	s_and_b64 s[0:1], s[0:1], exec
	v_lshl_add_u64 v[54:55], v[54:55], 0, 4
	v_lshl_add_u64 v[64:65], v[64:65], 0, 4
	s_andn2_b64 s[22:23], s[22:23], exec
	s_or_b64 s[24:25], s[4:5], s[0:1]
                                        ; implicit-def: $sgpr28_sgpr29
	s_branch .LBB1493_35
.LBB1493_38:
	s_or_b64 exec, exec, s[18:19]
	s_and_saveexec_b64 s[0:1], s[20:21]
	s_xor_b64 s[0:1], exec, s[0:1]
; %bb.39:
	v_cndmask_b32_e64 v55, v23, v21, s[16:17]
	v_cndmask_b32_e64 v54, v22, v20, s[16:17]
	;; [unrolled: 1-line block ×4, first 2 shown]
	v_mov_b64_e32 v[22:23], v[54:55]
; %bb.40:
	s_or_b64 exec, exec, s[0:1]
	s_or_b64 exec, exec, s[14:15]
	s_and_saveexec_b64 s[14:15], vcc
	s_cbranch_execz .LBB1493_8
.LBB1493_41:
	v_mul_lo_u32 v64, v17, v6
	v_mul_lo_u32 v65, v16, v7
	v_mad_u64_u32 v[54:55], s[0:1], v16, v6, 0
	v_add3_u32 v55, v55, v65, v64
	v_mul_lo_u32 v66, v19, v6
	v_mul_lo_u32 v67, v18, v7
	v_mad_u64_u32 v[64:65], s[0:1], v18, v6, 0
	v_add3_u32 v65, v65, v67, v66
	v_lshl_add_u64 v[54:55], v[54:55], 2, v[8:9]
	v_lshl_add_u64 v[64:65], v[64:65], 2, v[8:9]
	s_mov_b64 s[18:19], 0
	v_mov_b64_e32 v[66:67], v[6:7]
                                        ; implicit-def: $sgpr16_sgpr17
                                        ; implicit-def: $sgpr20_sgpr21
                                        ; implicit-def: $sgpr24_sgpr25
                                        ; implicit-def: $sgpr22_sgpr23
                                        ; implicit-def: $sgpr26_sgpr27
                                        ; implicit-def: $sgpr28_sgpr29
	s_branch .LBB1493_43
.LBB1493_42:                            ;   in Loop: Header=BB1493_43 Depth=1
	s_or_b64 exec, exec, s[30:31]
	s_and_b64 s[0:1], exec, s[24:25]
	s_or_b64 s[18:19], s[0:1], s[18:19]
	s_andn2_b64 s[0:1], s[28:29], exec
	s_and_b64 s[4:5], s[26:27], exec
	s_or_b64 s[28:29], s[0:1], s[4:5]
	s_andn2_b64 s[0:1], s[20:21], exec
	s_and_b64 s[4:5], s[22:23], exec
	;; [unrolled: 3-line block ×3, first 2 shown]
	s_or_b64 s[16:17], s[0:1], s[2:3]
	s_andn2_b64 exec, exec, s[18:19]
	s_cbranch_execz .LBB1493_45
.LBB1493_43:                            ; =>This Inner Loop Header: Depth=1
	flat_load_dword v68, v[64:65]
	flat_load_dword v69, v[54:55]
	s_andn2_b64 s[26:27], s[26:27], exec
	s_or_b64 s[22:23], s[22:23], exec
	s_or_b64 s[24:25], s[24:25], exec
	s_waitcnt vmcnt(0) lgkmcnt(0)
	v_cmp_le_u32_e64 s[2:3], v68, v69
	v_cmp_lt_u32_e64 s[0:1], v68, v69
	s_and_b64 s[2:3], s[2:3], s[28:29]
	v_cmp_eq_u32_e64 s[4:5], v68, v69
	s_or_b64 s[2:3], s[0:1], s[2:3]
	s_and_saveexec_b64 s[30:31], s[4:5]
	s_cbranch_execz .LBB1493_42
; %bb.44:                               ;   in Loop: Header=BB1493_43 Depth=1
	v_lshl_add_u64 v[66:67], v[66:67], 0, -1
	v_cmp_eq_u64_e64 s[0:1], 0, v[66:67]
	s_andn2_b64 s[4:5], s[26:27], exec
	s_and_b64 s[26:27], s[2:3], exec
	s_or_b64 s[26:27], s[4:5], s[26:27]
	s_andn2_b64 s[4:5], s[24:25], exec
	s_and_b64 s[0:1], s[0:1], exec
	v_lshl_add_u64 v[54:55], v[54:55], 0, 4
	v_lshl_add_u64 v[64:65], v[64:65], 0, 4
	s_andn2_b64 s[22:23], s[22:23], exec
	s_or_b64 s[24:25], s[4:5], s[0:1]
                                        ; implicit-def: $sgpr28_sgpr29
	s_branch .LBB1493_42
.LBB1493_45:
	s_or_b64 exec, exec, s[18:19]
	s_and_saveexec_b64 s[0:1], s[20:21]
	s_xor_b64 s[0:1], exec, s[0:1]
; %bb.46:
	v_cndmask_b32_e64 v55, v17, v19, s[16:17]
	v_cndmask_b32_e64 v54, v16, v18, s[16:17]
	;; [unrolled: 1-line block ×4, first 2 shown]
	v_mov_b64_e32 v[16:17], v[54:55]
; %bb.47:
	s_or_b64 exec, exec, s[0:1]
	s_or_b64 exec, exec, s[14:15]
	s_and_saveexec_b64 s[14:15], vcc
	s_cbranch_execz .LBB1493_9
.LBB1493_48:
	v_mul_lo_u32 v64, v13, v6
	v_mul_lo_u32 v65, v12, v7
	v_mad_u64_u32 v[54:55], s[0:1], v12, v6, 0
	v_add3_u32 v55, v55, v65, v64
	v_mul_lo_u32 v66, v15, v6
	v_mul_lo_u32 v67, v14, v7
	v_mad_u64_u32 v[64:65], s[0:1], v14, v6, 0
	v_add3_u32 v65, v65, v67, v66
	v_lshl_add_u64 v[54:55], v[54:55], 2, v[8:9]
	v_lshl_add_u64 v[64:65], v[64:65], 2, v[8:9]
	s_mov_b64 s[18:19], 0
	v_mov_b64_e32 v[66:67], v[6:7]
                                        ; implicit-def: $sgpr16_sgpr17
                                        ; implicit-def: $sgpr20_sgpr21
                                        ; implicit-def: $sgpr24_sgpr25
                                        ; implicit-def: $sgpr22_sgpr23
                                        ; implicit-def: $sgpr26_sgpr27
                                        ; implicit-def: $sgpr28_sgpr29
	s_branch .LBB1493_50
.LBB1493_49:                            ;   in Loop: Header=BB1493_50 Depth=1
	s_or_b64 exec, exec, s[30:31]
	s_and_b64 s[0:1], exec, s[24:25]
	s_or_b64 s[18:19], s[0:1], s[18:19]
	s_andn2_b64 s[0:1], s[28:29], exec
	s_and_b64 s[4:5], s[26:27], exec
	s_or_b64 s[28:29], s[0:1], s[4:5]
	s_andn2_b64 s[0:1], s[20:21], exec
	s_and_b64 s[4:5], s[22:23], exec
	;; [unrolled: 3-line block ×3, first 2 shown]
	s_or_b64 s[16:17], s[0:1], s[2:3]
	s_andn2_b64 exec, exec, s[18:19]
	s_cbranch_execz .LBB1493_52
.LBB1493_50:                            ; =>This Inner Loop Header: Depth=1
	flat_load_dword v68, v[64:65]
	flat_load_dword v69, v[54:55]
	s_andn2_b64 s[26:27], s[26:27], exec
	s_or_b64 s[22:23], s[22:23], exec
	s_or_b64 s[24:25], s[24:25], exec
	s_waitcnt vmcnt(0) lgkmcnt(0)
	v_cmp_le_u32_e64 s[2:3], v68, v69
	v_cmp_lt_u32_e64 s[0:1], v68, v69
	s_and_b64 s[2:3], s[2:3], s[28:29]
	v_cmp_eq_u32_e64 s[4:5], v68, v69
	s_or_b64 s[2:3], s[0:1], s[2:3]
	s_and_saveexec_b64 s[30:31], s[4:5]
	s_cbranch_execz .LBB1493_49
; %bb.51:                               ;   in Loop: Header=BB1493_50 Depth=1
	v_lshl_add_u64 v[66:67], v[66:67], 0, -1
	v_cmp_eq_u64_e64 s[0:1], 0, v[66:67]
	s_andn2_b64 s[4:5], s[26:27], exec
	s_and_b64 s[26:27], s[2:3], exec
	s_or_b64 s[26:27], s[4:5], s[26:27]
	s_andn2_b64 s[4:5], s[24:25], exec
	s_and_b64 s[0:1], s[0:1], exec
	v_lshl_add_u64 v[54:55], v[54:55], 0, 4
	v_lshl_add_u64 v[64:65], v[64:65], 0, 4
	s_andn2_b64 s[22:23], s[22:23], exec
	s_or_b64 s[24:25], s[4:5], s[0:1]
                                        ; implicit-def: $sgpr28_sgpr29
	s_branch .LBB1493_49
.LBB1493_52:
	s_or_b64 exec, exec, s[18:19]
	s_and_saveexec_b64 s[0:1], s[20:21]
	s_xor_b64 s[0:1], exec, s[0:1]
; %bb.53:
	v_cndmask_b32_e64 v55, v13, v15, s[16:17]
	v_cndmask_b32_e64 v54, v12, v14, s[16:17]
	;; [unrolled: 1-line block ×4, first 2 shown]
	v_mov_b64_e32 v[12:13], v[54:55]
; %bb.54:
	s_or_b64 exec, exec, s[0:1]
	s_or_b64 exec, exec, s[14:15]
	s_and_saveexec_b64 s[14:15], vcc
	s_cbranch_execz .LBB1493_10
.LBB1493_55:
	v_mul_lo_u32 v64, v1, v6
	v_mul_lo_u32 v65, v0, v7
	v_mad_u64_u32 v[54:55], s[0:1], v0, v6, 0
	v_add3_u32 v55, v55, v65, v64
	v_mul_lo_u32 v66, v3, v6
	v_mul_lo_u32 v67, v2, v7
	v_mad_u64_u32 v[64:65], s[0:1], v2, v6, 0
	v_add3_u32 v65, v65, v67, v66
	v_lshl_add_u64 v[54:55], v[54:55], 2, v[8:9]
	v_lshl_add_u64 v[64:65], v[64:65], 2, v[8:9]
	s_mov_b64 s[18:19], 0
	v_mov_b64_e32 v[66:67], v[6:7]
                                        ; implicit-def: $sgpr16_sgpr17
                                        ; implicit-def: $sgpr20_sgpr21
                                        ; implicit-def: $sgpr24_sgpr25
                                        ; implicit-def: $sgpr22_sgpr23
                                        ; implicit-def: $sgpr26_sgpr27
                                        ; implicit-def: $sgpr28_sgpr29
	s_branch .LBB1493_57
.LBB1493_56:                            ;   in Loop: Header=BB1493_57 Depth=1
	s_or_b64 exec, exec, s[30:31]
	s_and_b64 s[0:1], exec, s[24:25]
	s_or_b64 s[18:19], s[0:1], s[18:19]
	s_andn2_b64 s[0:1], s[28:29], exec
	s_and_b64 s[4:5], s[26:27], exec
	s_or_b64 s[28:29], s[0:1], s[4:5]
	s_andn2_b64 s[0:1], s[20:21], exec
	s_and_b64 s[4:5], s[22:23], exec
	;; [unrolled: 3-line block ×3, first 2 shown]
	s_or_b64 s[16:17], s[0:1], s[2:3]
	s_andn2_b64 exec, exec, s[18:19]
	s_cbranch_execz .LBB1493_59
.LBB1493_57:                            ; =>This Inner Loop Header: Depth=1
	flat_load_dword v68, v[64:65]
	flat_load_dword v69, v[54:55]
	s_andn2_b64 s[26:27], s[26:27], exec
	s_or_b64 s[22:23], s[22:23], exec
	s_or_b64 s[24:25], s[24:25], exec
	s_waitcnt vmcnt(0) lgkmcnt(0)
	v_cmp_le_u32_e64 s[2:3], v68, v69
	v_cmp_lt_u32_e64 s[0:1], v68, v69
	s_and_b64 s[2:3], s[2:3], s[28:29]
	v_cmp_eq_u32_e64 s[4:5], v68, v69
	s_or_b64 s[2:3], s[0:1], s[2:3]
	s_and_saveexec_b64 s[30:31], s[4:5]
	s_cbranch_execz .LBB1493_56
; %bb.58:                               ;   in Loop: Header=BB1493_57 Depth=1
	v_lshl_add_u64 v[66:67], v[66:67], 0, -1
	v_cmp_eq_u64_e64 s[0:1], 0, v[66:67]
	s_andn2_b64 s[4:5], s[26:27], exec
	s_and_b64 s[26:27], s[2:3], exec
	s_or_b64 s[26:27], s[4:5], s[26:27]
	s_andn2_b64 s[4:5], s[24:25], exec
	s_and_b64 s[0:1], s[0:1], exec
	v_lshl_add_u64 v[54:55], v[54:55], 0, 4
	v_lshl_add_u64 v[64:65], v[64:65], 0, 4
	s_andn2_b64 s[22:23], s[22:23], exec
	s_or_b64 s[24:25], s[4:5], s[0:1]
                                        ; implicit-def: $sgpr28_sgpr29
	s_branch .LBB1493_56
.LBB1493_59:
	s_or_b64 exec, exec, s[18:19]
	s_and_saveexec_b64 s[0:1], s[20:21]
	s_xor_b64 s[0:1], exec, s[0:1]
; %bb.60:
	v_cndmask_b32_e64 v55, v1, v3, s[16:17]
	v_cndmask_b32_e64 v54, v0, v2, s[16:17]
	;; [unrolled: 1-line block ×4, first 2 shown]
	v_mov_b64_e32 v[0:1], v[54:55]
; %bb.61:
	s_or_b64 exec, exec, s[0:1]
	s_or_b64 exec, exec, s[14:15]
	s_and_saveexec_b64 s[0:1], vcc
	s_xor_b64 s[14:15], exec, s[0:1]
	s_cbranch_execz .LBB1493_11
.LBB1493_62:
	v_mul_lo_u32 v64, v23, v6
	v_mul_lo_u32 v65, v22, v7
	v_mad_u64_u32 v[54:55], s[0:1], v22, v6, 0
	v_add3_u32 v55, v55, v65, v64
	v_mul_lo_u32 v66, v17, v6
	v_mul_lo_u32 v67, v16, v7
	v_mad_u64_u32 v[64:65], s[0:1], v16, v6, 0
	v_add3_u32 v65, v65, v67, v66
	v_lshl_add_u64 v[54:55], v[54:55], 2, v[8:9]
	v_lshl_add_u64 v[64:65], v[64:65], 2, v[8:9]
	s_mov_b64 s[18:19], 0
	v_mov_b64_e32 v[66:67], v[6:7]
                                        ; implicit-def: $sgpr16_sgpr17
                                        ; implicit-def: $sgpr20_sgpr21
                                        ; implicit-def: $sgpr24_sgpr25
                                        ; implicit-def: $sgpr22_sgpr23
                                        ; implicit-def: $sgpr26_sgpr27
                                        ; implicit-def: $sgpr28_sgpr29
	s_branch .LBB1493_64
.LBB1493_63:                            ;   in Loop: Header=BB1493_64 Depth=1
	s_or_b64 exec, exec, s[30:31]
	s_and_b64 s[0:1], exec, s[24:25]
	s_or_b64 s[18:19], s[0:1], s[18:19]
	s_andn2_b64 s[0:1], s[28:29], exec
	s_and_b64 s[4:5], s[26:27], exec
	s_or_b64 s[28:29], s[0:1], s[4:5]
	s_andn2_b64 s[0:1], s[20:21], exec
	s_and_b64 s[4:5], s[22:23], exec
	s_or_b64 s[20:21], s[0:1], s[4:5]
	s_andn2_b64 s[0:1], s[16:17], exec
	s_and_b64 s[2:3], s[2:3], exec
	s_or_b64 s[16:17], s[0:1], s[2:3]
	s_andn2_b64 exec, exec, s[18:19]
	s_cbranch_execz .LBB1493_66
.LBB1493_64:                            ; =>This Inner Loop Header: Depth=1
	flat_load_dword v68, v[64:65]
	flat_load_dword v69, v[54:55]
	s_andn2_b64 s[26:27], s[26:27], exec
	s_or_b64 s[22:23], s[22:23], exec
	s_or_b64 s[24:25], s[24:25], exec
	s_waitcnt vmcnt(0) lgkmcnt(0)
	v_cmp_le_u32_e64 s[2:3], v68, v69
	v_cmp_lt_u32_e64 s[0:1], v68, v69
	s_and_b64 s[2:3], s[2:3], s[28:29]
	v_cmp_eq_u32_e64 s[4:5], v68, v69
	s_or_b64 s[2:3], s[0:1], s[2:3]
	s_and_saveexec_b64 s[30:31], s[4:5]
	s_cbranch_execz .LBB1493_63
; %bb.65:                               ;   in Loop: Header=BB1493_64 Depth=1
	v_lshl_add_u64 v[66:67], v[66:67], 0, -1
	v_cmp_eq_u64_e64 s[0:1], 0, v[66:67]
	s_andn2_b64 s[4:5], s[26:27], exec
	s_and_b64 s[26:27], s[2:3], exec
	s_or_b64 s[26:27], s[4:5], s[26:27]
	s_andn2_b64 s[4:5], s[24:25], exec
	s_and_b64 s[0:1], s[0:1], exec
	v_lshl_add_u64 v[54:55], v[54:55], 0, 4
	v_lshl_add_u64 v[64:65], v[64:65], 0, 4
	s_andn2_b64 s[22:23], s[22:23], exec
	s_or_b64 s[24:25], s[4:5], s[0:1]
                                        ; implicit-def: $sgpr28_sgpr29
	s_branch .LBB1493_63
.LBB1493_66:
	s_or_b64 exec, exec, s[18:19]
	s_and_saveexec_b64 s[0:1], s[20:21]
	s_xor_b64 s[0:1], exec, s[0:1]
; %bb.67:
	v_cndmask_b32_e64 v55, v23, v17, s[16:17]
	v_cndmask_b32_e64 v54, v22, v16, s[16:17]
	;; [unrolled: 1-line block ×4, first 2 shown]
	v_mov_b64_e32 v[22:23], v[54:55]
; %bb.68:
	s_or_b64 exec, exec, s[0:1]
	s_or_b64 exec, exec, s[14:15]
	s_and_saveexec_b64 s[14:15], vcc
	s_cbranch_execz .LBB1493_12
.LBB1493_69:
	v_mul_lo_u32 v64, v19, v6
	v_mul_lo_u32 v65, v18, v7
	v_mad_u64_u32 v[54:55], s[0:1], v18, v6, 0
	v_add3_u32 v55, v55, v65, v64
	v_mul_lo_u32 v66, v13, v6
	v_mul_lo_u32 v67, v12, v7
	v_mad_u64_u32 v[64:65], s[0:1], v12, v6, 0
	v_add3_u32 v65, v65, v67, v66
	v_lshl_add_u64 v[54:55], v[54:55], 2, v[8:9]
	v_lshl_add_u64 v[64:65], v[64:65], 2, v[8:9]
	s_mov_b64 s[18:19], 0
	v_mov_b64_e32 v[66:67], v[6:7]
                                        ; implicit-def: $sgpr16_sgpr17
                                        ; implicit-def: $sgpr20_sgpr21
                                        ; implicit-def: $sgpr24_sgpr25
                                        ; implicit-def: $sgpr22_sgpr23
                                        ; implicit-def: $sgpr26_sgpr27
                                        ; implicit-def: $sgpr28_sgpr29
	s_branch .LBB1493_71
.LBB1493_70:                            ;   in Loop: Header=BB1493_71 Depth=1
	s_or_b64 exec, exec, s[30:31]
	s_and_b64 s[0:1], exec, s[24:25]
	s_or_b64 s[18:19], s[0:1], s[18:19]
	s_andn2_b64 s[0:1], s[28:29], exec
	s_and_b64 s[4:5], s[26:27], exec
	s_or_b64 s[28:29], s[0:1], s[4:5]
	s_andn2_b64 s[0:1], s[20:21], exec
	s_and_b64 s[4:5], s[22:23], exec
	;; [unrolled: 3-line block ×3, first 2 shown]
	s_or_b64 s[16:17], s[0:1], s[2:3]
	s_andn2_b64 exec, exec, s[18:19]
	s_cbranch_execz .LBB1493_73
.LBB1493_71:                            ; =>This Inner Loop Header: Depth=1
	flat_load_dword v68, v[64:65]
	flat_load_dword v69, v[54:55]
	s_andn2_b64 s[26:27], s[26:27], exec
	s_or_b64 s[22:23], s[22:23], exec
	s_or_b64 s[24:25], s[24:25], exec
	s_waitcnt vmcnt(0) lgkmcnt(0)
	v_cmp_le_u32_e64 s[2:3], v68, v69
	v_cmp_lt_u32_e64 s[0:1], v68, v69
	s_and_b64 s[2:3], s[2:3], s[28:29]
	v_cmp_eq_u32_e64 s[4:5], v68, v69
	s_or_b64 s[2:3], s[0:1], s[2:3]
	s_and_saveexec_b64 s[30:31], s[4:5]
	s_cbranch_execz .LBB1493_70
; %bb.72:                               ;   in Loop: Header=BB1493_71 Depth=1
	v_lshl_add_u64 v[66:67], v[66:67], 0, -1
	v_cmp_eq_u64_e64 s[0:1], 0, v[66:67]
	s_andn2_b64 s[4:5], s[26:27], exec
	s_and_b64 s[26:27], s[2:3], exec
	s_or_b64 s[26:27], s[4:5], s[26:27]
	s_andn2_b64 s[4:5], s[24:25], exec
	s_and_b64 s[0:1], s[0:1], exec
	v_lshl_add_u64 v[54:55], v[54:55], 0, 4
	v_lshl_add_u64 v[64:65], v[64:65], 0, 4
	s_andn2_b64 s[22:23], s[22:23], exec
	s_or_b64 s[24:25], s[4:5], s[0:1]
                                        ; implicit-def: $sgpr28_sgpr29
	s_branch .LBB1493_70
.LBB1493_73:
	s_or_b64 exec, exec, s[18:19]
	s_and_saveexec_b64 s[0:1], s[20:21]
	s_xor_b64 s[0:1], exec, s[0:1]
; %bb.74:
	v_cndmask_b32_e64 v55, v19, v13, s[16:17]
	v_cndmask_b32_e64 v54, v18, v12, s[16:17]
	v_cndmask_b32_e64 v13, v13, v19, s[16:17]
	v_cndmask_b32_e64 v12, v12, v18, s[16:17]
	v_mov_b64_e32 v[18:19], v[54:55]
; %bb.75:
	s_or_b64 exec, exec, s[0:1]
	s_or_b64 exec, exec, s[14:15]
	s_and_saveexec_b64 s[14:15], vcc
	s_cbranch_execz .LBB1493_13
.LBB1493_76:
	v_mul_lo_u32 v64, v15, v6
	v_mul_lo_u32 v65, v14, v7
	v_mad_u64_u32 v[54:55], s[0:1], v14, v6, 0
	v_add3_u32 v55, v55, v65, v64
	v_mul_lo_u32 v66, v1, v6
	v_mul_lo_u32 v67, v0, v7
	v_mad_u64_u32 v[64:65], s[0:1], v0, v6, 0
	v_add3_u32 v65, v65, v67, v66
	v_lshl_add_u64 v[54:55], v[54:55], 2, v[8:9]
	v_lshl_add_u64 v[64:65], v[64:65], 2, v[8:9]
	s_mov_b64 s[18:19], 0
	v_mov_b64_e32 v[66:67], v[6:7]
                                        ; implicit-def: $sgpr16_sgpr17
                                        ; implicit-def: $sgpr20_sgpr21
                                        ; implicit-def: $sgpr24_sgpr25
                                        ; implicit-def: $sgpr22_sgpr23
                                        ; implicit-def: $sgpr26_sgpr27
                                        ; implicit-def: $sgpr28_sgpr29
	s_branch .LBB1493_78
.LBB1493_77:                            ;   in Loop: Header=BB1493_78 Depth=1
	s_or_b64 exec, exec, s[30:31]
	s_and_b64 s[0:1], exec, s[24:25]
	s_or_b64 s[18:19], s[0:1], s[18:19]
	s_andn2_b64 s[0:1], s[28:29], exec
	s_and_b64 s[4:5], s[26:27], exec
	s_or_b64 s[28:29], s[0:1], s[4:5]
	s_andn2_b64 s[0:1], s[20:21], exec
	s_and_b64 s[4:5], s[22:23], exec
	s_or_b64 s[20:21], s[0:1], s[4:5]
	s_andn2_b64 s[0:1], s[16:17], exec
	s_and_b64 s[2:3], s[2:3], exec
	s_or_b64 s[16:17], s[0:1], s[2:3]
	s_andn2_b64 exec, exec, s[18:19]
	s_cbranch_execz .LBB1493_80
.LBB1493_78:                            ; =>This Inner Loop Header: Depth=1
	flat_load_dword v68, v[64:65]
	flat_load_dword v69, v[54:55]
	s_andn2_b64 s[26:27], s[26:27], exec
	s_or_b64 s[22:23], s[22:23], exec
	s_or_b64 s[24:25], s[24:25], exec
	s_waitcnt vmcnt(0) lgkmcnt(0)
	v_cmp_le_u32_e64 s[2:3], v68, v69
	v_cmp_lt_u32_e64 s[0:1], v68, v69
	s_and_b64 s[2:3], s[2:3], s[28:29]
	v_cmp_eq_u32_e64 s[4:5], v68, v69
	s_or_b64 s[2:3], s[0:1], s[2:3]
	s_and_saveexec_b64 s[30:31], s[4:5]
	s_cbranch_execz .LBB1493_77
; %bb.79:                               ;   in Loop: Header=BB1493_78 Depth=1
	v_lshl_add_u64 v[66:67], v[66:67], 0, -1
	v_cmp_eq_u64_e64 s[0:1], 0, v[66:67]
	s_andn2_b64 s[4:5], s[26:27], exec
	s_and_b64 s[26:27], s[2:3], exec
	s_or_b64 s[26:27], s[4:5], s[26:27]
	s_andn2_b64 s[4:5], s[24:25], exec
	s_and_b64 s[0:1], s[0:1], exec
	v_lshl_add_u64 v[54:55], v[54:55], 0, 4
	v_lshl_add_u64 v[64:65], v[64:65], 0, 4
	s_andn2_b64 s[22:23], s[22:23], exec
	s_or_b64 s[24:25], s[4:5], s[0:1]
                                        ; implicit-def: $sgpr28_sgpr29
	s_branch .LBB1493_77
.LBB1493_80:
	s_or_b64 exec, exec, s[18:19]
	s_and_saveexec_b64 s[0:1], s[20:21]
	s_xor_b64 s[0:1], exec, s[0:1]
; %bb.81:
	v_cndmask_b32_e64 v55, v15, v1, s[16:17]
	v_cndmask_b32_e64 v54, v14, v0, s[16:17]
	;; [unrolled: 1-line block ×4, first 2 shown]
	v_mov_b64_e32 v[14:15], v[54:55]
; %bb.82:
	s_or_b64 exec, exec, s[0:1]
	s_or_b64 exec, exec, s[14:15]
	s_and_saveexec_b64 s[14:15], vcc
	s_cbranch_execz .LBB1493_14
.LBB1493_83:
	v_mul_lo_u32 v64, v21, v6
	v_mul_lo_u32 v65, v20, v7
	v_mad_u64_u32 v[54:55], s[0:1], v20, v6, 0
	v_add3_u32 v55, v55, v65, v64
	v_mul_lo_u32 v66, v23, v6
	v_mul_lo_u32 v67, v22, v7
	v_mad_u64_u32 v[64:65], s[0:1], v22, v6, 0
	v_add3_u32 v65, v65, v67, v66
	v_lshl_add_u64 v[54:55], v[54:55], 2, v[8:9]
	v_lshl_add_u64 v[64:65], v[64:65], 2, v[8:9]
	s_mov_b64 s[18:19], 0
	v_mov_b64_e32 v[66:67], v[6:7]
                                        ; implicit-def: $sgpr16_sgpr17
                                        ; implicit-def: $sgpr20_sgpr21
                                        ; implicit-def: $sgpr24_sgpr25
                                        ; implicit-def: $sgpr22_sgpr23
                                        ; implicit-def: $sgpr26_sgpr27
                                        ; implicit-def: $sgpr28_sgpr29
	s_branch .LBB1493_85
.LBB1493_84:                            ;   in Loop: Header=BB1493_85 Depth=1
	s_or_b64 exec, exec, s[30:31]
	s_and_b64 s[0:1], exec, s[24:25]
	s_or_b64 s[18:19], s[0:1], s[18:19]
	s_andn2_b64 s[0:1], s[28:29], exec
	s_and_b64 s[4:5], s[26:27], exec
	s_or_b64 s[28:29], s[0:1], s[4:5]
	s_andn2_b64 s[0:1], s[20:21], exec
	s_and_b64 s[4:5], s[22:23], exec
	;; [unrolled: 3-line block ×3, first 2 shown]
	s_or_b64 s[16:17], s[0:1], s[2:3]
	s_andn2_b64 exec, exec, s[18:19]
	s_cbranch_execz .LBB1493_87
.LBB1493_85:                            ; =>This Inner Loop Header: Depth=1
	flat_load_dword v68, v[64:65]
	flat_load_dword v69, v[54:55]
	s_andn2_b64 s[26:27], s[26:27], exec
	s_or_b64 s[22:23], s[22:23], exec
	s_or_b64 s[24:25], s[24:25], exec
	s_waitcnt vmcnt(0) lgkmcnt(0)
	v_cmp_le_u32_e64 s[2:3], v68, v69
	v_cmp_lt_u32_e64 s[0:1], v68, v69
	s_and_b64 s[2:3], s[2:3], s[28:29]
	v_cmp_eq_u32_e64 s[4:5], v68, v69
	s_or_b64 s[2:3], s[0:1], s[2:3]
	s_and_saveexec_b64 s[30:31], s[4:5]
	s_cbranch_execz .LBB1493_84
; %bb.86:                               ;   in Loop: Header=BB1493_85 Depth=1
	v_lshl_add_u64 v[66:67], v[66:67], 0, -1
	v_cmp_eq_u64_e64 s[0:1], 0, v[66:67]
	s_andn2_b64 s[4:5], s[26:27], exec
	s_and_b64 s[26:27], s[2:3], exec
	s_or_b64 s[26:27], s[4:5], s[26:27]
	s_andn2_b64 s[4:5], s[24:25], exec
	s_and_b64 s[0:1], s[0:1], exec
	v_lshl_add_u64 v[54:55], v[54:55], 0, 4
	v_lshl_add_u64 v[64:65], v[64:65], 0, 4
	s_andn2_b64 s[22:23], s[22:23], exec
	s_or_b64 s[24:25], s[4:5], s[0:1]
                                        ; implicit-def: $sgpr28_sgpr29
	s_branch .LBB1493_84
.LBB1493_87:
	s_or_b64 exec, exec, s[18:19]
	s_and_saveexec_b64 s[0:1], s[20:21]
	s_xor_b64 s[0:1], exec, s[0:1]
; %bb.88:
	v_cndmask_b32_e64 v55, v23, v21, s[16:17]
	v_cndmask_b32_e64 v54, v22, v20, s[16:17]
	;; [unrolled: 1-line block ×4, first 2 shown]
	v_mov_b64_e32 v[22:23], v[54:55]
; %bb.89:
	s_or_b64 exec, exec, s[0:1]
	s_or_b64 exec, exec, s[14:15]
	s_and_saveexec_b64 s[14:15], vcc
	s_cbranch_execz .LBB1493_15
.LBB1493_90:
	v_mul_lo_u32 v64, v17, v6
	v_mul_lo_u32 v65, v16, v7
	v_mad_u64_u32 v[54:55], s[0:1], v16, v6, 0
	v_add3_u32 v55, v55, v65, v64
	v_mul_lo_u32 v66, v19, v6
	v_mul_lo_u32 v67, v18, v7
	v_mad_u64_u32 v[64:65], s[0:1], v18, v6, 0
	v_add3_u32 v65, v65, v67, v66
	v_lshl_add_u64 v[54:55], v[54:55], 2, v[8:9]
	v_lshl_add_u64 v[64:65], v[64:65], 2, v[8:9]
	s_mov_b64 s[18:19], 0
	v_mov_b64_e32 v[66:67], v[6:7]
                                        ; implicit-def: $sgpr16_sgpr17
                                        ; implicit-def: $sgpr20_sgpr21
                                        ; implicit-def: $sgpr24_sgpr25
                                        ; implicit-def: $sgpr22_sgpr23
                                        ; implicit-def: $sgpr26_sgpr27
                                        ; implicit-def: $sgpr28_sgpr29
	s_branch .LBB1493_92
.LBB1493_91:                            ;   in Loop: Header=BB1493_92 Depth=1
	s_or_b64 exec, exec, s[30:31]
	s_and_b64 s[0:1], exec, s[24:25]
	s_or_b64 s[18:19], s[0:1], s[18:19]
	s_andn2_b64 s[0:1], s[28:29], exec
	s_and_b64 s[4:5], s[26:27], exec
	s_or_b64 s[28:29], s[0:1], s[4:5]
	s_andn2_b64 s[0:1], s[20:21], exec
	s_and_b64 s[4:5], s[22:23], exec
	;; [unrolled: 3-line block ×3, first 2 shown]
	s_or_b64 s[16:17], s[0:1], s[2:3]
	s_andn2_b64 exec, exec, s[18:19]
	s_cbranch_execz .LBB1493_94
.LBB1493_92:                            ; =>This Inner Loop Header: Depth=1
	flat_load_dword v68, v[64:65]
	flat_load_dword v69, v[54:55]
	s_andn2_b64 s[26:27], s[26:27], exec
	s_or_b64 s[22:23], s[22:23], exec
	s_or_b64 s[24:25], s[24:25], exec
	s_waitcnt vmcnt(0) lgkmcnt(0)
	v_cmp_le_u32_e64 s[2:3], v68, v69
	v_cmp_lt_u32_e64 s[0:1], v68, v69
	s_and_b64 s[2:3], s[2:3], s[28:29]
	v_cmp_eq_u32_e64 s[4:5], v68, v69
	s_or_b64 s[2:3], s[0:1], s[2:3]
	s_and_saveexec_b64 s[30:31], s[4:5]
	s_cbranch_execz .LBB1493_91
; %bb.93:                               ;   in Loop: Header=BB1493_92 Depth=1
	v_lshl_add_u64 v[66:67], v[66:67], 0, -1
	v_cmp_eq_u64_e64 s[0:1], 0, v[66:67]
	s_andn2_b64 s[4:5], s[26:27], exec
	s_and_b64 s[26:27], s[2:3], exec
	s_or_b64 s[26:27], s[4:5], s[26:27]
	s_andn2_b64 s[4:5], s[24:25], exec
	s_and_b64 s[0:1], s[0:1], exec
	v_lshl_add_u64 v[54:55], v[54:55], 0, 4
	v_lshl_add_u64 v[64:65], v[64:65], 0, 4
	s_andn2_b64 s[22:23], s[22:23], exec
	s_or_b64 s[24:25], s[4:5], s[0:1]
                                        ; implicit-def: $sgpr28_sgpr29
	s_branch .LBB1493_91
.LBB1493_94:
	s_or_b64 exec, exec, s[18:19]
	s_and_saveexec_b64 s[0:1], s[20:21]
	s_xor_b64 s[0:1], exec, s[0:1]
; %bb.95:
	v_cndmask_b32_e64 v55, v17, v19, s[16:17]
	v_cndmask_b32_e64 v54, v16, v18, s[16:17]
	;; [unrolled: 1-line block ×4, first 2 shown]
	v_mov_b64_e32 v[16:17], v[54:55]
; %bb.96:
	s_or_b64 exec, exec, s[0:1]
	s_or_b64 exec, exec, s[14:15]
	s_and_saveexec_b64 s[14:15], vcc
	s_cbranch_execz .LBB1493_16
.LBB1493_97:
	v_mul_lo_u32 v64, v13, v6
	v_mul_lo_u32 v65, v12, v7
	v_mad_u64_u32 v[54:55], s[0:1], v12, v6, 0
	v_add3_u32 v55, v55, v65, v64
	v_mul_lo_u32 v66, v15, v6
	v_mul_lo_u32 v67, v14, v7
	v_mad_u64_u32 v[64:65], s[0:1], v14, v6, 0
	v_add3_u32 v65, v65, v67, v66
	v_lshl_add_u64 v[54:55], v[54:55], 2, v[8:9]
	v_lshl_add_u64 v[64:65], v[64:65], 2, v[8:9]
	s_mov_b64 s[18:19], 0
	v_mov_b64_e32 v[66:67], v[6:7]
                                        ; implicit-def: $sgpr16_sgpr17
                                        ; implicit-def: $sgpr20_sgpr21
                                        ; implicit-def: $sgpr24_sgpr25
                                        ; implicit-def: $sgpr22_sgpr23
                                        ; implicit-def: $sgpr26_sgpr27
                                        ; implicit-def: $sgpr28_sgpr29
	s_branch .LBB1493_99
.LBB1493_98:                            ;   in Loop: Header=BB1493_99 Depth=1
	s_or_b64 exec, exec, s[30:31]
	s_and_b64 s[0:1], exec, s[24:25]
	s_or_b64 s[18:19], s[0:1], s[18:19]
	s_andn2_b64 s[0:1], s[28:29], exec
	s_and_b64 s[4:5], s[26:27], exec
	s_or_b64 s[28:29], s[0:1], s[4:5]
	s_andn2_b64 s[0:1], s[20:21], exec
	s_and_b64 s[4:5], s[22:23], exec
	;; [unrolled: 3-line block ×3, first 2 shown]
	s_or_b64 s[16:17], s[0:1], s[2:3]
	s_andn2_b64 exec, exec, s[18:19]
	s_cbranch_execz .LBB1493_101
.LBB1493_99:                            ; =>This Inner Loop Header: Depth=1
	flat_load_dword v68, v[64:65]
	flat_load_dword v69, v[54:55]
	s_andn2_b64 s[26:27], s[26:27], exec
	s_or_b64 s[22:23], s[22:23], exec
	s_or_b64 s[24:25], s[24:25], exec
	s_waitcnt vmcnt(0) lgkmcnt(0)
	v_cmp_le_u32_e64 s[2:3], v68, v69
	v_cmp_lt_u32_e64 s[0:1], v68, v69
	s_and_b64 s[2:3], s[2:3], s[28:29]
	v_cmp_eq_u32_e64 s[4:5], v68, v69
	s_or_b64 s[2:3], s[0:1], s[2:3]
	s_and_saveexec_b64 s[30:31], s[4:5]
	s_cbranch_execz .LBB1493_98
; %bb.100:                              ;   in Loop: Header=BB1493_99 Depth=1
	v_lshl_add_u64 v[66:67], v[66:67], 0, -1
	v_cmp_eq_u64_e64 s[0:1], 0, v[66:67]
	s_andn2_b64 s[4:5], s[26:27], exec
	s_and_b64 s[26:27], s[2:3], exec
	s_or_b64 s[26:27], s[4:5], s[26:27]
	s_andn2_b64 s[4:5], s[24:25], exec
	s_and_b64 s[0:1], s[0:1], exec
	v_lshl_add_u64 v[54:55], v[54:55], 0, 4
	v_lshl_add_u64 v[64:65], v[64:65], 0, 4
	s_andn2_b64 s[22:23], s[22:23], exec
	s_or_b64 s[24:25], s[4:5], s[0:1]
                                        ; implicit-def: $sgpr28_sgpr29
	s_branch .LBB1493_98
.LBB1493_101:
	s_or_b64 exec, exec, s[18:19]
	s_and_saveexec_b64 s[0:1], s[20:21]
	s_xor_b64 s[0:1], exec, s[0:1]
; %bb.102:
	v_cndmask_b32_e64 v55, v13, v15, s[16:17]
	v_cndmask_b32_e64 v54, v12, v14, s[16:17]
	;; [unrolled: 1-line block ×4, first 2 shown]
	v_mov_b64_e32 v[12:13], v[54:55]
; %bb.103:
	s_or_b64 exec, exec, s[0:1]
	s_or_b64 exec, exec, s[14:15]
	s_and_saveexec_b64 s[14:15], vcc
	s_cbranch_execz .LBB1493_17
.LBB1493_104:
	v_mul_lo_u32 v64, v1, v6
	v_mul_lo_u32 v65, v0, v7
	v_mad_u64_u32 v[54:55], s[0:1], v0, v6, 0
	v_add3_u32 v55, v55, v65, v64
	v_mul_lo_u32 v66, v3, v6
	v_mul_lo_u32 v67, v2, v7
	v_mad_u64_u32 v[64:65], s[0:1], v2, v6, 0
	v_add3_u32 v65, v65, v67, v66
	v_lshl_add_u64 v[54:55], v[54:55], 2, v[8:9]
	v_lshl_add_u64 v[64:65], v[64:65], 2, v[8:9]
	s_mov_b64 s[18:19], 0
	v_mov_b64_e32 v[66:67], v[6:7]
                                        ; implicit-def: $sgpr16_sgpr17
                                        ; implicit-def: $sgpr20_sgpr21
                                        ; implicit-def: $sgpr24_sgpr25
                                        ; implicit-def: $sgpr22_sgpr23
                                        ; implicit-def: $sgpr26_sgpr27
                                        ; implicit-def: $sgpr28_sgpr29
	s_branch .LBB1493_106
.LBB1493_105:                           ;   in Loop: Header=BB1493_106 Depth=1
	s_or_b64 exec, exec, s[30:31]
	s_and_b64 s[0:1], exec, s[24:25]
	s_or_b64 s[18:19], s[0:1], s[18:19]
	s_andn2_b64 s[0:1], s[28:29], exec
	s_and_b64 s[4:5], s[26:27], exec
	s_or_b64 s[28:29], s[0:1], s[4:5]
	s_andn2_b64 s[0:1], s[20:21], exec
	s_and_b64 s[4:5], s[22:23], exec
	;; [unrolled: 3-line block ×3, first 2 shown]
	s_or_b64 s[16:17], s[0:1], s[2:3]
	s_andn2_b64 exec, exec, s[18:19]
	s_cbranch_execz .LBB1493_108
.LBB1493_106:                           ; =>This Inner Loop Header: Depth=1
	flat_load_dword v68, v[64:65]
	flat_load_dword v69, v[54:55]
	s_andn2_b64 s[26:27], s[26:27], exec
	s_or_b64 s[22:23], s[22:23], exec
	s_or_b64 s[24:25], s[24:25], exec
	s_waitcnt vmcnt(0) lgkmcnt(0)
	v_cmp_le_u32_e64 s[2:3], v68, v69
	v_cmp_lt_u32_e64 s[0:1], v68, v69
	s_and_b64 s[2:3], s[2:3], s[28:29]
	v_cmp_eq_u32_e64 s[4:5], v68, v69
	s_or_b64 s[2:3], s[0:1], s[2:3]
	s_and_saveexec_b64 s[30:31], s[4:5]
	s_cbranch_execz .LBB1493_105
; %bb.107:                              ;   in Loop: Header=BB1493_106 Depth=1
	v_lshl_add_u64 v[66:67], v[66:67], 0, -1
	v_cmp_eq_u64_e64 s[0:1], 0, v[66:67]
	s_andn2_b64 s[4:5], s[26:27], exec
	s_and_b64 s[26:27], s[2:3], exec
	s_or_b64 s[26:27], s[4:5], s[26:27]
	s_andn2_b64 s[4:5], s[24:25], exec
	s_and_b64 s[0:1], s[0:1], exec
	v_lshl_add_u64 v[54:55], v[54:55], 0, 4
	v_lshl_add_u64 v[64:65], v[64:65], 0, 4
	s_andn2_b64 s[22:23], s[22:23], exec
	s_or_b64 s[24:25], s[4:5], s[0:1]
                                        ; implicit-def: $sgpr28_sgpr29
	s_branch .LBB1493_105
.LBB1493_108:
	s_or_b64 exec, exec, s[18:19]
	s_and_saveexec_b64 s[0:1], s[20:21]
	s_xor_b64 s[0:1], exec, s[0:1]
; %bb.109:
	v_cndmask_b32_e64 v55, v1, v3, s[16:17]
	v_cndmask_b32_e64 v54, v0, v2, s[16:17]
	;; [unrolled: 1-line block ×4, first 2 shown]
	v_mov_b64_e32 v[0:1], v[54:55]
; %bb.110:
	s_or_b64 exec, exec, s[0:1]
	s_or_b64 exec, exec, s[14:15]
	s_and_saveexec_b64 s[14:15], vcc
	s_cbranch_execz .LBB1493_18
.LBB1493_111:
	v_mul_lo_u32 v64, v23, v6
	v_mul_lo_u32 v65, v22, v7
	v_mad_u64_u32 v[54:55], s[0:1], v22, v6, 0
	v_add3_u32 v55, v55, v65, v64
	v_mul_lo_u32 v66, v17, v6
	v_mul_lo_u32 v67, v16, v7
	v_mad_u64_u32 v[64:65], s[0:1], v16, v6, 0
	v_add3_u32 v65, v65, v67, v66
	v_lshl_add_u64 v[54:55], v[54:55], 2, v[8:9]
	v_lshl_add_u64 v[64:65], v[64:65], 2, v[8:9]
	s_mov_b64 s[18:19], 0
	v_mov_b64_e32 v[66:67], v[6:7]
                                        ; implicit-def: $sgpr16_sgpr17
                                        ; implicit-def: $sgpr20_sgpr21
                                        ; implicit-def: $sgpr24_sgpr25
                                        ; implicit-def: $sgpr22_sgpr23
                                        ; implicit-def: $sgpr26_sgpr27
                                        ; implicit-def: $sgpr28_sgpr29
	s_branch .LBB1493_113
.LBB1493_112:                           ;   in Loop: Header=BB1493_113 Depth=1
	s_or_b64 exec, exec, s[30:31]
	s_and_b64 s[0:1], exec, s[24:25]
	s_or_b64 s[18:19], s[0:1], s[18:19]
	s_andn2_b64 s[0:1], s[28:29], exec
	s_and_b64 s[4:5], s[26:27], exec
	s_or_b64 s[28:29], s[0:1], s[4:5]
	s_andn2_b64 s[0:1], s[20:21], exec
	s_and_b64 s[4:5], s[22:23], exec
	;; [unrolled: 3-line block ×3, first 2 shown]
	s_or_b64 s[16:17], s[0:1], s[2:3]
	s_andn2_b64 exec, exec, s[18:19]
	s_cbranch_execz .LBB1493_115
.LBB1493_113:                           ; =>This Inner Loop Header: Depth=1
	flat_load_dword v68, v[64:65]
	flat_load_dword v69, v[54:55]
	s_andn2_b64 s[26:27], s[26:27], exec
	s_or_b64 s[22:23], s[22:23], exec
	s_or_b64 s[24:25], s[24:25], exec
	s_waitcnt vmcnt(0) lgkmcnt(0)
	v_cmp_le_u32_e64 s[2:3], v68, v69
	v_cmp_lt_u32_e64 s[0:1], v68, v69
	s_and_b64 s[2:3], s[2:3], s[28:29]
	v_cmp_eq_u32_e64 s[4:5], v68, v69
	s_or_b64 s[2:3], s[0:1], s[2:3]
	s_and_saveexec_b64 s[30:31], s[4:5]
	s_cbranch_execz .LBB1493_112
; %bb.114:                              ;   in Loop: Header=BB1493_113 Depth=1
	v_lshl_add_u64 v[66:67], v[66:67], 0, -1
	v_cmp_eq_u64_e64 s[0:1], 0, v[66:67]
	s_andn2_b64 s[4:5], s[26:27], exec
	s_and_b64 s[26:27], s[2:3], exec
	s_or_b64 s[26:27], s[4:5], s[26:27]
	s_andn2_b64 s[4:5], s[24:25], exec
	s_and_b64 s[0:1], s[0:1], exec
	v_lshl_add_u64 v[54:55], v[54:55], 0, 4
	v_lshl_add_u64 v[64:65], v[64:65], 0, 4
	s_andn2_b64 s[22:23], s[22:23], exec
	s_or_b64 s[24:25], s[4:5], s[0:1]
                                        ; implicit-def: $sgpr28_sgpr29
	s_branch .LBB1493_112
.LBB1493_115:
	s_or_b64 exec, exec, s[18:19]
	s_and_saveexec_b64 s[0:1], s[20:21]
	s_xor_b64 s[0:1], exec, s[0:1]
; %bb.116:
	v_cndmask_b32_e64 v55, v23, v17, s[16:17]
	v_cndmask_b32_e64 v54, v22, v16, s[16:17]
	;; [unrolled: 1-line block ×4, first 2 shown]
	v_mov_b64_e32 v[22:23], v[54:55]
; %bb.117:
	s_or_b64 exec, exec, s[0:1]
	s_or_b64 exec, exec, s[14:15]
	s_and_saveexec_b64 s[14:15], vcc
	s_cbranch_execz .LBB1493_19
.LBB1493_118:
	v_mul_lo_u32 v64, v19, v6
	v_mul_lo_u32 v65, v18, v7
	v_mad_u64_u32 v[54:55], s[0:1], v18, v6, 0
	v_add3_u32 v55, v55, v65, v64
	v_mul_lo_u32 v66, v13, v6
	v_mul_lo_u32 v67, v12, v7
	v_mad_u64_u32 v[64:65], s[0:1], v12, v6, 0
	v_add3_u32 v65, v65, v67, v66
	v_lshl_add_u64 v[54:55], v[54:55], 2, v[8:9]
	v_lshl_add_u64 v[64:65], v[64:65], 2, v[8:9]
	s_mov_b64 s[18:19], 0
	v_mov_b64_e32 v[66:67], v[6:7]
                                        ; implicit-def: $sgpr16_sgpr17
                                        ; implicit-def: $sgpr20_sgpr21
                                        ; implicit-def: $sgpr24_sgpr25
                                        ; implicit-def: $sgpr22_sgpr23
                                        ; implicit-def: $sgpr26_sgpr27
                                        ; implicit-def: $sgpr28_sgpr29
	s_branch .LBB1493_120
.LBB1493_119:                           ;   in Loop: Header=BB1493_120 Depth=1
	s_or_b64 exec, exec, s[30:31]
	s_and_b64 s[0:1], exec, s[24:25]
	s_or_b64 s[18:19], s[0:1], s[18:19]
	s_andn2_b64 s[0:1], s[28:29], exec
	s_and_b64 s[4:5], s[26:27], exec
	s_or_b64 s[28:29], s[0:1], s[4:5]
	s_andn2_b64 s[0:1], s[20:21], exec
	s_and_b64 s[4:5], s[22:23], exec
	s_or_b64 s[20:21], s[0:1], s[4:5]
	s_andn2_b64 s[0:1], s[16:17], exec
	s_and_b64 s[2:3], s[2:3], exec
	s_or_b64 s[16:17], s[0:1], s[2:3]
	s_andn2_b64 exec, exec, s[18:19]
	s_cbranch_execz .LBB1493_122
.LBB1493_120:                           ; =>This Inner Loop Header: Depth=1
	flat_load_dword v68, v[64:65]
	flat_load_dword v69, v[54:55]
	s_andn2_b64 s[26:27], s[26:27], exec
	s_or_b64 s[22:23], s[22:23], exec
	s_or_b64 s[24:25], s[24:25], exec
	s_waitcnt vmcnt(0) lgkmcnt(0)
	v_cmp_le_u32_e64 s[2:3], v68, v69
	v_cmp_lt_u32_e64 s[0:1], v68, v69
	s_and_b64 s[2:3], s[2:3], s[28:29]
	v_cmp_eq_u32_e64 s[4:5], v68, v69
	s_or_b64 s[2:3], s[0:1], s[2:3]
	s_and_saveexec_b64 s[30:31], s[4:5]
	s_cbranch_execz .LBB1493_119
; %bb.121:                              ;   in Loop: Header=BB1493_120 Depth=1
	v_lshl_add_u64 v[66:67], v[66:67], 0, -1
	v_cmp_eq_u64_e64 s[0:1], 0, v[66:67]
	s_andn2_b64 s[4:5], s[26:27], exec
	s_and_b64 s[26:27], s[2:3], exec
	s_or_b64 s[26:27], s[4:5], s[26:27]
	s_andn2_b64 s[4:5], s[24:25], exec
	s_and_b64 s[0:1], s[0:1], exec
	v_lshl_add_u64 v[54:55], v[54:55], 0, 4
	v_lshl_add_u64 v[64:65], v[64:65], 0, 4
	s_andn2_b64 s[22:23], s[22:23], exec
	s_or_b64 s[24:25], s[4:5], s[0:1]
                                        ; implicit-def: $sgpr28_sgpr29
	s_branch .LBB1493_119
.LBB1493_122:
	s_or_b64 exec, exec, s[18:19]
	s_and_saveexec_b64 s[0:1], s[20:21]
	s_xor_b64 s[0:1], exec, s[0:1]
; %bb.123:
	v_cndmask_b32_e64 v55, v19, v13, s[16:17]
	v_cndmask_b32_e64 v54, v18, v12, s[16:17]
	;; [unrolled: 1-line block ×4, first 2 shown]
	v_mov_b64_e32 v[18:19], v[54:55]
; %bb.124:
	s_or_b64 exec, exec, s[0:1]
	s_or_b64 exec, exec, s[14:15]
	s_and_saveexec_b64 s[14:15], vcc
	s_cbranch_execz .LBB1493_20
.LBB1493_125:
	v_mul_lo_u32 v64, v15, v6
	v_mul_lo_u32 v65, v14, v7
	v_mad_u64_u32 v[54:55], s[0:1], v14, v6, 0
	v_add3_u32 v55, v55, v65, v64
	v_mul_lo_u32 v66, v1, v6
	v_mul_lo_u32 v67, v0, v7
	v_mad_u64_u32 v[64:65], s[0:1], v0, v6, 0
	v_add3_u32 v65, v65, v67, v66
	v_lshl_add_u64 v[54:55], v[54:55], 2, v[8:9]
	v_lshl_add_u64 v[64:65], v[64:65], 2, v[8:9]
	s_mov_b64 s[18:19], 0
	v_mov_b64_e32 v[66:67], v[6:7]
                                        ; implicit-def: $sgpr16_sgpr17
                                        ; implicit-def: $sgpr20_sgpr21
                                        ; implicit-def: $sgpr24_sgpr25
                                        ; implicit-def: $sgpr22_sgpr23
                                        ; implicit-def: $sgpr26_sgpr27
                                        ; implicit-def: $sgpr28_sgpr29
	s_branch .LBB1493_127
.LBB1493_126:                           ;   in Loop: Header=BB1493_127 Depth=1
	s_or_b64 exec, exec, s[30:31]
	s_and_b64 s[0:1], exec, s[24:25]
	s_or_b64 s[18:19], s[0:1], s[18:19]
	s_andn2_b64 s[0:1], s[28:29], exec
	s_and_b64 s[4:5], s[26:27], exec
	s_or_b64 s[28:29], s[0:1], s[4:5]
	s_andn2_b64 s[0:1], s[20:21], exec
	s_and_b64 s[4:5], s[22:23], exec
	;; [unrolled: 3-line block ×3, first 2 shown]
	s_or_b64 s[16:17], s[0:1], s[2:3]
	s_andn2_b64 exec, exec, s[18:19]
	s_cbranch_execz .LBB1493_129
.LBB1493_127:                           ; =>This Inner Loop Header: Depth=1
	flat_load_dword v68, v[64:65]
	flat_load_dword v69, v[54:55]
	s_andn2_b64 s[26:27], s[26:27], exec
	s_or_b64 s[22:23], s[22:23], exec
	s_or_b64 s[24:25], s[24:25], exec
	s_waitcnt vmcnt(0) lgkmcnt(0)
	v_cmp_le_u32_e64 s[2:3], v68, v69
	v_cmp_lt_u32_e64 s[0:1], v68, v69
	s_and_b64 s[2:3], s[2:3], s[28:29]
	v_cmp_eq_u32_e64 s[4:5], v68, v69
	s_or_b64 s[2:3], s[0:1], s[2:3]
	s_and_saveexec_b64 s[30:31], s[4:5]
	s_cbranch_execz .LBB1493_126
; %bb.128:                              ;   in Loop: Header=BB1493_127 Depth=1
	v_lshl_add_u64 v[66:67], v[66:67], 0, -1
	v_cmp_eq_u64_e64 s[0:1], 0, v[66:67]
	s_andn2_b64 s[4:5], s[26:27], exec
	s_and_b64 s[26:27], s[2:3], exec
	s_or_b64 s[26:27], s[4:5], s[26:27]
	s_andn2_b64 s[4:5], s[24:25], exec
	s_and_b64 s[0:1], s[0:1], exec
	v_lshl_add_u64 v[54:55], v[54:55], 0, 4
	v_lshl_add_u64 v[64:65], v[64:65], 0, 4
	s_andn2_b64 s[22:23], s[22:23], exec
	s_or_b64 s[24:25], s[4:5], s[0:1]
                                        ; implicit-def: $sgpr28_sgpr29
	s_branch .LBB1493_126
.LBB1493_129:
	s_or_b64 exec, exec, s[18:19]
	s_and_saveexec_b64 s[0:1], s[20:21]
	s_xor_b64 s[0:1], exec, s[0:1]
; %bb.130:
	v_cndmask_b32_e64 v55, v15, v1, s[16:17]
	v_cndmask_b32_e64 v54, v14, v0, s[16:17]
	;; [unrolled: 1-line block ×4, first 2 shown]
	v_mov_b64_e32 v[14:15], v[54:55]
; %bb.131:
	s_or_b64 exec, exec, s[0:1]
	s_or_b64 exec, exec, s[14:15]
	s_and_saveexec_b64 s[14:15], vcc
	s_cbranch_execz .LBB1493_21
.LBB1493_132:
	v_mul_lo_u32 v64, v21, v6
	v_mul_lo_u32 v65, v20, v7
	v_mad_u64_u32 v[54:55], s[0:1], v20, v6, 0
	v_add3_u32 v55, v55, v65, v64
	v_mul_lo_u32 v66, v23, v6
	v_mul_lo_u32 v67, v22, v7
	v_mad_u64_u32 v[64:65], s[0:1], v22, v6, 0
	v_add3_u32 v65, v65, v67, v66
	v_lshl_add_u64 v[54:55], v[54:55], 2, v[8:9]
	v_lshl_add_u64 v[64:65], v[64:65], 2, v[8:9]
	s_mov_b64 s[18:19], 0
	v_mov_b64_e32 v[66:67], v[6:7]
                                        ; implicit-def: $sgpr16_sgpr17
                                        ; implicit-def: $sgpr20_sgpr21
                                        ; implicit-def: $sgpr24_sgpr25
                                        ; implicit-def: $sgpr22_sgpr23
                                        ; implicit-def: $sgpr26_sgpr27
                                        ; implicit-def: $sgpr28_sgpr29
	s_branch .LBB1493_134
.LBB1493_133:                           ;   in Loop: Header=BB1493_134 Depth=1
	s_or_b64 exec, exec, s[30:31]
	s_and_b64 s[0:1], exec, s[24:25]
	s_or_b64 s[18:19], s[0:1], s[18:19]
	s_andn2_b64 s[0:1], s[28:29], exec
	s_and_b64 s[4:5], s[26:27], exec
	s_or_b64 s[28:29], s[0:1], s[4:5]
	s_andn2_b64 s[0:1], s[20:21], exec
	s_and_b64 s[4:5], s[22:23], exec
	;; [unrolled: 3-line block ×3, first 2 shown]
	s_or_b64 s[16:17], s[0:1], s[2:3]
	s_andn2_b64 exec, exec, s[18:19]
	s_cbranch_execz .LBB1493_136
.LBB1493_134:                           ; =>This Inner Loop Header: Depth=1
	flat_load_dword v68, v[64:65]
	flat_load_dword v69, v[54:55]
	s_andn2_b64 s[26:27], s[26:27], exec
	s_or_b64 s[22:23], s[22:23], exec
	s_or_b64 s[24:25], s[24:25], exec
	s_waitcnt vmcnt(0) lgkmcnt(0)
	v_cmp_le_u32_e64 s[2:3], v68, v69
	v_cmp_lt_u32_e64 s[0:1], v68, v69
	s_and_b64 s[2:3], s[2:3], s[28:29]
	v_cmp_eq_u32_e64 s[4:5], v68, v69
	s_or_b64 s[2:3], s[0:1], s[2:3]
	s_and_saveexec_b64 s[30:31], s[4:5]
	s_cbranch_execz .LBB1493_133
; %bb.135:                              ;   in Loop: Header=BB1493_134 Depth=1
	v_lshl_add_u64 v[66:67], v[66:67], 0, -1
	v_cmp_eq_u64_e64 s[0:1], 0, v[66:67]
	s_andn2_b64 s[4:5], s[26:27], exec
	s_and_b64 s[26:27], s[2:3], exec
	s_or_b64 s[26:27], s[4:5], s[26:27]
	s_andn2_b64 s[4:5], s[24:25], exec
	s_and_b64 s[0:1], s[0:1], exec
	v_lshl_add_u64 v[54:55], v[54:55], 0, 4
	v_lshl_add_u64 v[64:65], v[64:65], 0, 4
	s_andn2_b64 s[22:23], s[22:23], exec
	s_or_b64 s[24:25], s[4:5], s[0:1]
                                        ; implicit-def: $sgpr28_sgpr29
	s_branch .LBB1493_133
.LBB1493_136:
	s_or_b64 exec, exec, s[18:19]
	s_and_saveexec_b64 s[0:1], s[20:21]
	s_xor_b64 s[0:1], exec, s[0:1]
; %bb.137:
	v_cndmask_b32_e64 v55, v23, v21, s[16:17]
	v_cndmask_b32_e64 v54, v22, v20, s[16:17]
	;; [unrolled: 1-line block ×4, first 2 shown]
	v_mov_b64_e32 v[22:23], v[54:55]
; %bb.138:
	s_or_b64 exec, exec, s[0:1]
	s_or_b64 exec, exec, s[14:15]
	s_and_saveexec_b64 s[14:15], vcc
	s_cbranch_execz .LBB1493_22
.LBB1493_139:
	v_mul_lo_u32 v64, v17, v6
	v_mul_lo_u32 v65, v16, v7
	v_mad_u64_u32 v[54:55], s[0:1], v16, v6, 0
	v_add3_u32 v55, v55, v65, v64
	v_mul_lo_u32 v66, v19, v6
	v_mul_lo_u32 v67, v18, v7
	v_mad_u64_u32 v[64:65], s[0:1], v18, v6, 0
	v_add3_u32 v65, v65, v67, v66
	v_lshl_add_u64 v[54:55], v[54:55], 2, v[8:9]
	v_lshl_add_u64 v[64:65], v[64:65], 2, v[8:9]
	s_mov_b64 s[18:19], 0
	v_mov_b64_e32 v[66:67], v[6:7]
                                        ; implicit-def: $sgpr16_sgpr17
                                        ; implicit-def: $sgpr20_sgpr21
                                        ; implicit-def: $sgpr24_sgpr25
                                        ; implicit-def: $sgpr22_sgpr23
                                        ; implicit-def: $sgpr26_sgpr27
                                        ; implicit-def: $sgpr28_sgpr29
	s_branch .LBB1493_141
.LBB1493_140:                           ;   in Loop: Header=BB1493_141 Depth=1
	s_or_b64 exec, exec, s[30:31]
	s_and_b64 s[0:1], exec, s[24:25]
	s_or_b64 s[18:19], s[0:1], s[18:19]
	s_andn2_b64 s[0:1], s[28:29], exec
	s_and_b64 s[4:5], s[26:27], exec
	s_or_b64 s[28:29], s[0:1], s[4:5]
	s_andn2_b64 s[0:1], s[20:21], exec
	s_and_b64 s[4:5], s[22:23], exec
	;; [unrolled: 3-line block ×3, first 2 shown]
	s_or_b64 s[16:17], s[0:1], s[2:3]
	s_andn2_b64 exec, exec, s[18:19]
	s_cbranch_execz .LBB1493_143
.LBB1493_141:                           ; =>This Inner Loop Header: Depth=1
	flat_load_dword v68, v[64:65]
	flat_load_dword v69, v[54:55]
	s_andn2_b64 s[26:27], s[26:27], exec
	s_or_b64 s[22:23], s[22:23], exec
	s_or_b64 s[24:25], s[24:25], exec
	s_waitcnt vmcnt(0) lgkmcnt(0)
	v_cmp_le_u32_e64 s[2:3], v68, v69
	v_cmp_lt_u32_e64 s[0:1], v68, v69
	s_and_b64 s[2:3], s[2:3], s[28:29]
	v_cmp_eq_u32_e64 s[4:5], v68, v69
	s_or_b64 s[2:3], s[0:1], s[2:3]
	s_and_saveexec_b64 s[30:31], s[4:5]
	s_cbranch_execz .LBB1493_140
; %bb.142:                              ;   in Loop: Header=BB1493_141 Depth=1
	v_lshl_add_u64 v[66:67], v[66:67], 0, -1
	v_cmp_eq_u64_e64 s[0:1], 0, v[66:67]
	s_andn2_b64 s[4:5], s[26:27], exec
	s_and_b64 s[26:27], s[2:3], exec
	s_or_b64 s[26:27], s[4:5], s[26:27]
	s_andn2_b64 s[4:5], s[24:25], exec
	s_and_b64 s[0:1], s[0:1], exec
	v_lshl_add_u64 v[54:55], v[54:55], 0, 4
	v_lshl_add_u64 v[64:65], v[64:65], 0, 4
	s_andn2_b64 s[22:23], s[22:23], exec
	s_or_b64 s[24:25], s[4:5], s[0:1]
                                        ; implicit-def: $sgpr28_sgpr29
	s_branch .LBB1493_140
.LBB1493_143:
	s_or_b64 exec, exec, s[18:19]
	s_and_saveexec_b64 s[0:1], s[20:21]
	s_xor_b64 s[0:1], exec, s[0:1]
; %bb.144:
	v_cndmask_b32_e64 v55, v17, v19, s[16:17]
	v_cndmask_b32_e64 v54, v16, v18, s[16:17]
	;; [unrolled: 1-line block ×4, first 2 shown]
	v_mov_b64_e32 v[16:17], v[54:55]
; %bb.145:
	s_or_b64 exec, exec, s[0:1]
	s_or_b64 exec, exec, s[14:15]
	s_and_saveexec_b64 s[14:15], vcc
	s_cbranch_execz .LBB1493_23
.LBB1493_146:
	v_mul_lo_u32 v64, v13, v6
	v_mul_lo_u32 v65, v12, v7
	v_mad_u64_u32 v[54:55], s[0:1], v12, v6, 0
	v_add3_u32 v55, v55, v65, v64
	v_mul_lo_u32 v66, v15, v6
	v_mul_lo_u32 v67, v14, v7
	v_mad_u64_u32 v[64:65], s[0:1], v14, v6, 0
	v_add3_u32 v65, v65, v67, v66
	v_lshl_add_u64 v[54:55], v[54:55], 2, v[8:9]
	v_lshl_add_u64 v[64:65], v[64:65], 2, v[8:9]
	s_mov_b64 s[18:19], 0
	v_mov_b64_e32 v[66:67], v[6:7]
                                        ; implicit-def: $sgpr16_sgpr17
                                        ; implicit-def: $sgpr20_sgpr21
                                        ; implicit-def: $sgpr24_sgpr25
                                        ; implicit-def: $sgpr22_sgpr23
                                        ; implicit-def: $sgpr26_sgpr27
                                        ; implicit-def: $sgpr28_sgpr29
	s_branch .LBB1493_148
.LBB1493_147:                           ;   in Loop: Header=BB1493_148 Depth=1
	s_or_b64 exec, exec, s[30:31]
	s_and_b64 s[0:1], exec, s[24:25]
	s_or_b64 s[18:19], s[0:1], s[18:19]
	s_andn2_b64 s[0:1], s[28:29], exec
	s_and_b64 s[4:5], s[26:27], exec
	s_or_b64 s[28:29], s[0:1], s[4:5]
	s_andn2_b64 s[0:1], s[20:21], exec
	s_and_b64 s[4:5], s[22:23], exec
	s_or_b64 s[20:21], s[0:1], s[4:5]
	s_andn2_b64 s[0:1], s[16:17], exec
	s_and_b64 s[2:3], s[2:3], exec
	s_or_b64 s[16:17], s[0:1], s[2:3]
	s_andn2_b64 exec, exec, s[18:19]
	s_cbranch_execz .LBB1493_150
.LBB1493_148:                           ; =>This Inner Loop Header: Depth=1
	flat_load_dword v68, v[64:65]
	flat_load_dword v69, v[54:55]
	s_andn2_b64 s[26:27], s[26:27], exec
	s_or_b64 s[22:23], s[22:23], exec
	s_or_b64 s[24:25], s[24:25], exec
	s_waitcnt vmcnt(0) lgkmcnt(0)
	v_cmp_le_u32_e64 s[2:3], v68, v69
	v_cmp_lt_u32_e64 s[0:1], v68, v69
	s_and_b64 s[2:3], s[2:3], s[28:29]
	v_cmp_eq_u32_e64 s[4:5], v68, v69
	s_or_b64 s[2:3], s[0:1], s[2:3]
	s_and_saveexec_b64 s[30:31], s[4:5]
	s_cbranch_execz .LBB1493_147
; %bb.149:                              ;   in Loop: Header=BB1493_148 Depth=1
	v_lshl_add_u64 v[66:67], v[66:67], 0, -1
	v_cmp_eq_u64_e64 s[0:1], 0, v[66:67]
	s_andn2_b64 s[4:5], s[26:27], exec
	s_and_b64 s[26:27], s[2:3], exec
	s_or_b64 s[26:27], s[4:5], s[26:27]
	s_andn2_b64 s[4:5], s[24:25], exec
	s_and_b64 s[0:1], s[0:1], exec
	v_lshl_add_u64 v[54:55], v[54:55], 0, 4
	v_lshl_add_u64 v[64:65], v[64:65], 0, 4
	s_andn2_b64 s[22:23], s[22:23], exec
	s_or_b64 s[24:25], s[4:5], s[0:1]
                                        ; implicit-def: $sgpr28_sgpr29
	s_branch .LBB1493_147
.LBB1493_150:
	s_or_b64 exec, exec, s[18:19]
	s_and_saveexec_b64 s[0:1], s[20:21]
	s_xor_b64 s[0:1], exec, s[0:1]
; %bb.151:
	v_cndmask_b32_e64 v55, v13, v15, s[16:17]
	v_cndmask_b32_e64 v54, v12, v14, s[16:17]
	;; [unrolled: 1-line block ×4, first 2 shown]
	v_mov_b64_e32 v[12:13], v[54:55]
; %bb.152:
	s_or_b64 exec, exec, s[0:1]
	s_or_b64 exec, exec, s[14:15]
	s_and_saveexec_b64 s[14:15], vcc
	s_cbranch_execz .LBB1493_24
.LBB1493_153:
	v_mul_lo_u32 v64, v1, v6
	v_mul_lo_u32 v65, v0, v7
	v_mad_u64_u32 v[54:55], s[0:1], v0, v6, 0
	v_add3_u32 v55, v55, v65, v64
	v_mul_lo_u32 v66, v3, v6
	v_mul_lo_u32 v67, v2, v7
	v_mad_u64_u32 v[64:65], s[0:1], v2, v6, 0
	v_add3_u32 v65, v65, v67, v66
	v_lshl_add_u64 v[54:55], v[54:55], 2, v[8:9]
	v_lshl_add_u64 v[64:65], v[64:65], 2, v[8:9]
	s_mov_b64 s[18:19], 0
	v_mov_b64_e32 v[66:67], v[6:7]
                                        ; implicit-def: $sgpr16_sgpr17
                                        ; implicit-def: $sgpr20_sgpr21
                                        ; implicit-def: $sgpr24_sgpr25
                                        ; implicit-def: $sgpr22_sgpr23
                                        ; implicit-def: $sgpr26_sgpr27
                                        ; implicit-def: $sgpr28_sgpr29
	s_branch .LBB1493_155
.LBB1493_154:                           ;   in Loop: Header=BB1493_155 Depth=1
	s_or_b64 exec, exec, s[30:31]
	s_and_b64 s[0:1], exec, s[24:25]
	s_or_b64 s[18:19], s[0:1], s[18:19]
	s_andn2_b64 s[0:1], s[28:29], exec
	s_and_b64 s[4:5], s[26:27], exec
	s_or_b64 s[28:29], s[0:1], s[4:5]
	s_andn2_b64 s[0:1], s[20:21], exec
	s_and_b64 s[4:5], s[22:23], exec
	;; [unrolled: 3-line block ×3, first 2 shown]
	s_or_b64 s[16:17], s[0:1], s[2:3]
	s_andn2_b64 exec, exec, s[18:19]
	s_cbranch_execz .LBB1493_157
.LBB1493_155:                           ; =>This Inner Loop Header: Depth=1
	flat_load_dword v68, v[64:65]
	flat_load_dword v69, v[54:55]
	s_andn2_b64 s[26:27], s[26:27], exec
	s_or_b64 s[22:23], s[22:23], exec
	s_or_b64 s[24:25], s[24:25], exec
	s_waitcnt vmcnt(0) lgkmcnt(0)
	v_cmp_le_u32_e64 s[2:3], v68, v69
	v_cmp_lt_u32_e64 s[0:1], v68, v69
	s_and_b64 s[2:3], s[2:3], s[28:29]
	v_cmp_eq_u32_e64 s[4:5], v68, v69
	s_or_b64 s[2:3], s[0:1], s[2:3]
	s_and_saveexec_b64 s[30:31], s[4:5]
	s_cbranch_execz .LBB1493_154
; %bb.156:                              ;   in Loop: Header=BB1493_155 Depth=1
	v_lshl_add_u64 v[66:67], v[66:67], 0, -1
	v_cmp_eq_u64_e64 s[0:1], 0, v[66:67]
	s_andn2_b64 s[4:5], s[26:27], exec
	s_and_b64 s[26:27], s[2:3], exec
	s_or_b64 s[26:27], s[4:5], s[26:27]
	s_andn2_b64 s[4:5], s[24:25], exec
	s_and_b64 s[0:1], s[0:1], exec
	v_lshl_add_u64 v[54:55], v[54:55], 0, 4
	v_lshl_add_u64 v[64:65], v[64:65], 0, 4
	s_andn2_b64 s[22:23], s[22:23], exec
	s_or_b64 s[24:25], s[4:5], s[0:1]
                                        ; implicit-def: $sgpr28_sgpr29
	s_branch .LBB1493_154
.LBB1493_157:
	s_or_b64 exec, exec, s[18:19]
	s_and_saveexec_b64 s[0:1], s[20:21]
	s_xor_b64 s[0:1], exec, s[0:1]
; %bb.158:
	v_cndmask_b32_e64 v55, v1, v3, s[16:17]
	v_cndmask_b32_e64 v54, v0, v2, s[16:17]
	;; [unrolled: 1-line block ×4, first 2 shown]
	v_mov_b64_e32 v[0:1], v[54:55]
; %bb.159:
	s_or_b64 exec, exec, s[0:1]
	s_or_b64 exec, exec, s[14:15]
	s_and_saveexec_b64 s[14:15], vcc
	s_cbranch_execz .LBB1493_25
.LBB1493_160:
	v_mul_lo_u32 v64, v23, v6
	v_mul_lo_u32 v65, v22, v7
	v_mad_u64_u32 v[54:55], s[0:1], v22, v6, 0
	v_add3_u32 v55, v55, v65, v64
	v_mul_lo_u32 v66, v17, v6
	v_mul_lo_u32 v67, v16, v7
	v_mad_u64_u32 v[64:65], s[0:1], v16, v6, 0
	v_add3_u32 v65, v65, v67, v66
	v_lshl_add_u64 v[54:55], v[54:55], 2, v[8:9]
	v_lshl_add_u64 v[64:65], v[64:65], 2, v[8:9]
	s_mov_b64 s[18:19], 0
	v_mov_b64_e32 v[66:67], v[6:7]
                                        ; implicit-def: $sgpr16_sgpr17
                                        ; implicit-def: $sgpr20_sgpr21
                                        ; implicit-def: $sgpr24_sgpr25
                                        ; implicit-def: $sgpr22_sgpr23
                                        ; implicit-def: $sgpr26_sgpr27
                                        ; implicit-def: $sgpr28_sgpr29
	s_branch .LBB1493_162
.LBB1493_161:                           ;   in Loop: Header=BB1493_162 Depth=1
	s_or_b64 exec, exec, s[30:31]
	s_and_b64 s[0:1], exec, s[24:25]
	s_or_b64 s[18:19], s[0:1], s[18:19]
	s_andn2_b64 s[0:1], s[28:29], exec
	s_and_b64 s[4:5], s[26:27], exec
	s_or_b64 s[28:29], s[0:1], s[4:5]
	s_andn2_b64 s[0:1], s[20:21], exec
	s_and_b64 s[4:5], s[22:23], exec
	;; [unrolled: 3-line block ×3, first 2 shown]
	s_or_b64 s[16:17], s[0:1], s[2:3]
	s_andn2_b64 exec, exec, s[18:19]
	s_cbranch_execz .LBB1493_164
.LBB1493_162:                           ; =>This Inner Loop Header: Depth=1
	flat_load_dword v68, v[64:65]
	flat_load_dword v69, v[54:55]
	s_andn2_b64 s[26:27], s[26:27], exec
	s_or_b64 s[22:23], s[22:23], exec
	s_or_b64 s[24:25], s[24:25], exec
	s_waitcnt vmcnt(0) lgkmcnt(0)
	v_cmp_le_u32_e64 s[2:3], v68, v69
	v_cmp_lt_u32_e64 s[0:1], v68, v69
	s_and_b64 s[2:3], s[2:3], s[28:29]
	v_cmp_eq_u32_e64 s[4:5], v68, v69
	s_or_b64 s[2:3], s[0:1], s[2:3]
	s_and_saveexec_b64 s[30:31], s[4:5]
	s_cbranch_execz .LBB1493_161
; %bb.163:                              ;   in Loop: Header=BB1493_162 Depth=1
	v_lshl_add_u64 v[66:67], v[66:67], 0, -1
	v_cmp_eq_u64_e64 s[0:1], 0, v[66:67]
	s_andn2_b64 s[4:5], s[26:27], exec
	s_and_b64 s[26:27], s[2:3], exec
	s_or_b64 s[26:27], s[4:5], s[26:27]
	s_andn2_b64 s[4:5], s[24:25], exec
	s_and_b64 s[0:1], s[0:1], exec
	v_lshl_add_u64 v[54:55], v[54:55], 0, 4
	v_lshl_add_u64 v[64:65], v[64:65], 0, 4
	s_andn2_b64 s[22:23], s[22:23], exec
	s_or_b64 s[24:25], s[4:5], s[0:1]
                                        ; implicit-def: $sgpr28_sgpr29
	s_branch .LBB1493_161
.LBB1493_164:
	s_or_b64 exec, exec, s[18:19]
	s_and_saveexec_b64 s[0:1], s[20:21]
	s_xor_b64 s[0:1], exec, s[0:1]
; %bb.165:
	v_cndmask_b32_e64 v55, v23, v17, s[16:17]
	v_cndmask_b32_e64 v54, v22, v16, s[16:17]
	;; [unrolled: 1-line block ×4, first 2 shown]
	v_mov_b64_e32 v[22:23], v[54:55]
; %bb.166:
	s_or_b64 exec, exec, s[0:1]
	s_or_b64 exec, exec, s[14:15]
	s_and_saveexec_b64 s[14:15], vcc
	s_cbranch_execz .LBB1493_26
.LBB1493_167:
	v_mul_lo_u32 v64, v19, v6
	v_mul_lo_u32 v65, v18, v7
	v_mad_u64_u32 v[54:55], s[0:1], v18, v6, 0
	v_add3_u32 v55, v55, v65, v64
	v_mul_lo_u32 v66, v13, v6
	v_mul_lo_u32 v67, v12, v7
	v_mad_u64_u32 v[64:65], s[0:1], v12, v6, 0
	v_add3_u32 v65, v65, v67, v66
	v_lshl_add_u64 v[54:55], v[54:55], 2, v[8:9]
	v_lshl_add_u64 v[64:65], v[64:65], 2, v[8:9]
	s_mov_b64 s[18:19], 0
	v_mov_b64_e32 v[66:67], v[6:7]
                                        ; implicit-def: $sgpr16_sgpr17
                                        ; implicit-def: $sgpr20_sgpr21
                                        ; implicit-def: $sgpr24_sgpr25
                                        ; implicit-def: $sgpr22_sgpr23
                                        ; implicit-def: $sgpr26_sgpr27
                                        ; implicit-def: $sgpr28_sgpr29
	s_branch .LBB1493_169
.LBB1493_168:                           ;   in Loop: Header=BB1493_169 Depth=1
	s_or_b64 exec, exec, s[30:31]
	s_and_b64 s[0:1], exec, s[24:25]
	s_or_b64 s[18:19], s[0:1], s[18:19]
	s_andn2_b64 s[0:1], s[28:29], exec
	s_and_b64 s[4:5], s[26:27], exec
	s_or_b64 s[28:29], s[0:1], s[4:5]
	s_andn2_b64 s[0:1], s[20:21], exec
	s_and_b64 s[4:5], s[22:23], exec
	;; [unrolled: 3-line block ×3, first 2 shown]
	s_or_b64 s[16:17], s[0:1], s[2:3]
	s_andn2_b64 exec, exec, s[18:19]
	s_cbranch_execz .LBB1493_171
.LBB1493_169:                           ; =>This Inner Loop Header: Depth=1
	flat_load_dword v68, v[64:65]
	flat_load_dword v69, v[54:55]
	s_andn2_b64 s[26:27], s[26:27], exec
	s_or_b64 s[22:23], s[22:23], exec
	s_or_b64 s[24:25], s[24:25], exec
	s_waitcnt vmcnt(0) lgkmcnt(0)
	v_cmp_le_u32_e64 s[2:3], v68, v69
	v_cmp_lt_u32_e64 s[0:1], v68, v69
	s_and_b64 s[2:3], s[2:3], s[28:29]
	v_cmp_eq_u32_e64 s[4:5], v68, v69
	s_or_b64 s[2:3], s[0:1], s[2:3]
	s_and_saveexec_b64 s[30:31], s[4:5]
	s_cbranch_execz .LBB1493_168
; %bb.170:                              ;   in Loop: Header=BB1493_169 Depth=1
	v_lshl_add_u64 v[66:67], v[66:67], 0, -1
	v_cmp_eq_u64_e64 s[0:1], 0, v[66:67]
	s_andn2_b64 s[4:5], s[26:27], exec
	s_and_b64 s[26:27], s[2:3], exec
	s_or_b64 s[26:27], s[4:5], s[26:27]
	s_andn2_b64 s[4:5], s[24:25], exec
	s_and_b64 s[0:1], s[0:1], exec
	v_lshl_add_u64 v[54:55], v[54:55], 0, 4
	v_lshl_add_u64 v[64:65], v[64:65], 0, 4
	s_andn2_b64 s[22:23], s[22:23], exec
	s_or_b64 s[24:25], s[4:5], s[0:1]
                                        ; implicit-def: $sgpr28_sgpr29
	s_branch .LBB1493_168
.LBB1493_171:
	s_or_b64 exec, exec, s[18:19]
	s_and_saveexec_b64 s[0:1], s[20:21]
	s_xor_b64 s[0:1], exec, s[0:1]
; %bb.172:
	v_cndmask_b32_e64 v55, v19, v13, s[16:17]
	v_cndmask_b32_e64 v54, v18, v12, s[16:17]
	;; [unrolled: 1-line block ×4, first 2 shown]
	v_mov_b64_e32 v[18:19], v[54:55]
; %bb.173:
	s_or_b64 exec, exec, s[0:1]
	s_or_b64 exec, exec, s[14:15]
	s_and_saveexec_b64 s[14:15], vcc
	s_cbranch_execz .LBB1493_27
.LBB1493_174:
	v_mul_lo_u32 v64, v15, v6
	v_mul_lo_u32 v65, v14, v7
	v_mad_u64_u32 v[54:55], s[0:1], v14, v6, 0
	v_add3_u32 v55, v55, v65, v64
	v_mul_lo_u32 v66, v1, v6
	v_mul_lo_u32 v67, v0, v7
	v_mad_u64_u32 v[64:65], s[0:1], v0, v6, 0
	v_add3_u32 v65, v65, v67, v66
	v_lshl_add_u64 v[54:55], v[54:55], 2, v[8:9]
	v_lshl_add_u64 v[64:65], v[64:65], 2, v[8:9]
	s_mov_b64 s[18:19], 0
	v_mov_b64_e32 v[66:67], v[6:7]
                                        ; implicit-def: $sgpr16_sgpr17
                                        ; implicit-def: $sgpr20_sgpr21
                                        ; implicit-def: $sgpr24_sgpr25
                                        ; implicit-def: $sgpr22_sgpr23
                                        ; implicit-def: $sgpr26_sgpr27
                                        ; implicit-def: $sgpr28_sgpr29
	s_branch .LBB1493_176
.LBB1493_175:                           ;   in Loop: Header=BB1493_176 Depth=1
	s_or_b64 exec, exec, s[30:31]
	s_and_b64 s[0:1], exec, s[24:25]
	s_or_b64 s[18:19], s[0:1], s[18:19]
	s_andn2_b64 s[0:1], s[28:29], exec
	s_and_b64 s[4:5], s[26:27], exec
	s_or_b64 s[28:29], s[0:1], s[4:5]
	s_andn2_b64 s[0:1], s[20:21], exec
	s_and_b64 s[4:5], s[22:23], exec
	;; [unrolled: 3-line block ×3, first 2 shown]
	s_or_b64 s[16:17], s[0:1], s[2:3]
	s_andn2_b64 exec, exec, s[18:19]
	s_cbranch_execz .LBB1493_178
.LBB1493_176:                           ; =>This Inner Loop Header: Depth=1
	flat_load_dword v68, v[64:65]
	flat_load_dword v69, v[54:55]
	s_andn2_b64 s[26:27], s[26:27], exec
	s_or_b64 s[22:23], s[22:23], exec
	s_or_b64 s[24:25], s[24:25], exec
	s_waitcnt vmcnt(0) lgkmcnt(0)
	v_cmp_le_u32_e64 s[2:3], v68, v69
	v_cmp_lt_u32_e64 s[0:1], v68, v69
	s_and_b64 s[2:3], s[2:3], s[28:29]
	v_cmp_eq_u32_e64 s[4:5], v68, v69
	s_or_b64 s[2:3], s[0:1], s[2:3]
	s_and_saveexec_b64 s[30:31], s[4:5]
	s_cbranch_execz .LBB1493_175
; %bb.177:                              ;   in Loop: Header=BB1493_176 Depth=1
	v_lshl_add_u64 v[66:67], v[66:67], 0, -1
	v_cmp_eq_u64_e64 s[0:1], 0, v[66:67]
	s_andn2_b64 s[4:5], s[26:27], exec
	s_and_b64 s[26:27], s[2:3], exec
	s_or_b64 s[26:27], s[4:5], s[26:27]
	s_andn2_b64 s[4:5], s[24:25], exec
	s_and_b64 s[0:1], s[0:1], exec
	v_lshl_add_u64 v[54:55], v[54:55], 0, 4
	v_lshl_add_u64 v[64:65], v[64:65], 0, 4
	s_andn2_b64 s[22:23], s[22:23], exec
	s_or_b64 s[24:25], s[4:5], s[0:1]
                                        ; implicit-def: $sgpr28_sgpr29
	s_branch .LBB1493_175
.LBB1493_178:
	s_or_b64 exec, exec, s[18:19]
	s_and_saveexec_b64 s[0:1], s[20:21]
	s_xor_b64 s[0:1], exec, s[0:1]
; %bb.179:
	v_cndmask_b32_e64 v55, v15, v1, s[16:17]
	v_cndmask_b32_e64 v54, v14, v0, s[16:17]
	;; [unrolled: 1-line block ×4, first 2 shown]
	v_mov_b64_e32 v[14:15], v[54:55]
; %bb.180:
	s_or_b64 exec, exec, s[0:1]
	s_or_b64 exec, exec, s[14:15]
	s_and_saveexec_b64 s[14:15], vcc
	s_cbranch_execz .LBB1493_28
.LBB1493_181:
	v_mul_lo_u32 v64, v21, v6
	v_mul_lo_u32 v65, v20, v7
	v_mad_u64_u32 v[54:55], s[0:1], v20, v6, 0
	v_add3_u32 v55, v55, v65, v64
	v_mul_lo_u32 v66, v23, v6
	v_mul_lo_u32 v67, v22, v7
	v_mad_u64_u32 v[64:65], s[0:1], v22, v6, 0
	v_add3_u32 v65, v65, v67, v66
	v_lshl_add_u64 v[54:55], v[54:55], 2, v[8:9]
	v_lshl_add_u64 v[64:65], v[64:65], 2, v[8:9]
	s_mov_b64 s[18:19], 0
	v_mov_b64_e32 v[66:67], v[6:7]
                                        ; implicit-def: $sgpr16_sgpr17
                                        ; implicit-def: $sgpr20_sgpr21
                                        ; implicit-def: $sgpr24_sgpr25
                                        ; implicit-def: $sgpr22_sgpr23
                                        ; implicit-def: $sgpr26_sgpr27
                                        ; implicit-def: $sgpr28_sgpr29
	s_branch .LBB1493_183
.LBB1493_182:                           ;   in Loop: Header=BB1493_183 Depth=1
	s_or_b64 exec, exec, s[30:31]
	s_and_b64 s[0:1], exec, s[24:25]
	s_or_b64 s[18:19], s[0:1], s[18:19]
	s_andn2_b64 s[0:1], s[28:29], exec
	s_and_b64 s[4:5], s[26:27], exec
	s_or_b64 s[28:29], s[0:1], s[4:5]
	s_andn2_b64 s[0:1], s[20:21], exec
	s_and_b64 s[4:5], s[22:23], exec
	;; [unrolled: 3-line block ×3, first 2 shown]
	s_or_b64 s[16:17], s[0:1], s[2:3]
	s_andn2_b64 exec, exec, s[18:19]
	s_cbranch_execz .LBB1493_185
.LBB1493_183:                           ; =>This Inner Loop Header: Depth=1
	flat_load_dword v68, v[64:65]
	flat_load_dword v69, v[54:55]
	s_andn2_b64 s[26:27], s[26:27], exec
	s_or_b64 s[22:23], s[22:23], exec
	s_or_b64 s[24:25], s[24:25], exec
	s_waitcnt vmcnt(0) lgkmcnt(0)
	v_cmp_le_u32_e64 s[2:3], v68, v69
	v_cmp_lt_u32_e64 s[0:1], v68, v69
	s_and_b64 s[2:3], s[2:3], s[28:29]
	v_cmp_eq_u32_e64 s[4:5], v68, v69
	s_or_b64 s[2:3], s[0:1], s[2:3]
	s_and_saveexec_b64 s[30:31], s[4:5]
	s_cbranch_execz .LBB1493_182
; %bb.184:                              ;   in Loop: Header=BB1493_183 Depth=1
	v_lshl_add_u64 v[66:67], v[66:67], 0, -1
	v_cmp_eq_u64_e64 s[0:1], 0, v[66:67]
	s_andn2_b64 s[4:5], s[26:27], exec
	s_and_b64 s[26:27], s[2:3], exec
	s_or_b64 s[26:27], s[4:5], s[26:27]
	s_andn2_b64 s[4:5], s[24:25], exec
	s_and_b64 s[0:1], s[0:1], exec
	v_lshl_add_u64 v[54:55], v[54:55], 0, 4
	v_lshl_add_u64 v[64:65], v[64:65], 0, 4
	s_andn2_b64 s[22:23], s[22:23], exec
	s_or_b64 s[24:25], s[4:5], s[0:1]
                                        ; implicit-def: $sgpr28_sgpr29
	s_branch .LBB1493_182
.LBB1493_185:
	s_or_b64 exec, exec, s[18:19]
	s_and_saveexec_b64 s[0:1], s[20:21]
	s_xor_b64 s[0:1], exec, s[0:1]
; %bb.186:
	v_cndmask_b32_e64 v55, v23, v21, s[16:17]
	v_cndmask_b32_e64 v54, v22, v20, s[16:17]
	;; [unrolled: 1-line block ×4, first 2 shown]
	v_mov_b64_e32 v[22:23], v[54:55]
; %bb.187:
	s_or_b64 exec, exec, s[0:1]
	s_or_b64 exec, exec, s[14:15]
	s_and_saveexec_b64 s[14:15], vcc
	s_cbranch_execz .LBB1493_29
.LBB1493_188:
	v_mul_lo_u32 v64, v17, v6
	v_mul_lo_u32 v65, v16, v7
	v_mad_u64_u32 v[54:55], s[0:1], v16, v6, 0
	v_add3_u32 v55, v55, v65, v64
	v_mul_lo_u32 v66, v19, v6
	v_mul_lo_u32 v67, v18, v7
	v_mad_u64_u32 v[64:65], s[0:1], v18, v6, 0
	v_add3_u32 v65, v65, v67, v66
	v_lshl_add_u64 v[54:55], v[54:55], 2, v[8:9]
	v_lshl_add_u64 v[64:65], v[64:65], 2, v[8:9]
	s_mov_b64 s[18:19], 0
	v_mov_b64_e32 v[66:67], v[6:7]
                                        ; implicit-def: $sgpr16_sgpr17
                                        ; implicit-def: $sgpr20_sgpr21
                                        ; implicit-def: $sgpr24_sgpr25
                                        ; implicit-def: $sgpr22_sgpr23
                                        ; implicit-def: $sgpr26_sgpr27
                                        ; implicit-def: $sgpr28_sgpr29
	s_branch .LBB1493_190
.LBB1493_189:                           ;   in Loop: Header=BB1493_190 Depth=1
	s_or_b64 exec, exec, s[30:31]
	s_and_b64 s[0:1], exec, s[24:25]
	s_or_b64 s[18:19], s[0:1], s[18:19]
	s_andn2_b64 s[0:1], s[28:29], exec
	s_and_b64 s[4:5], s[26:27], exec
	s_or_b64 s[28:29], s[0:1], s[4:5]
	s_andn2_b64 s[0:1], s[20:21], exec
	s_and_b64 s[4:5], s[22:23], exec
	;; [unrolled: 3-line block ×3, first 2 shown]
	s_or_b64 s[16:17], s[0:1], s[2:3]
	s_andn2_b64 exec, exec, s[18:19]
	s_cbranch_execz .LBB1493_192
.LBB1493_190:                           ; =>This Inner Loop Header: Depth=1
	flat_load_dword v68, v[64:65]
	flat_load_dword v69, v[54:55]
	s_andn2_b64 s[26:27], s[26:27], exec
	s_or_b64 s[22:23], s[22:23], exec
	s_or_b64 s[24:25], s[24:25], exec
	s_waitcnt vmcnt(0) lgkmcnt(0)
	v_cmp_le_u32_e64 s[2:3], v68, v69
	v_cmp_lt_u32_e64 s[0:1], v68, v69
	s_and_b64 s[2:3], s[2:3], s[28:29]
	v_cmp_eq_u32_e64 s[4:5], v68, v69
	s_or_b64 s[2:3], s[0:1], s[2:3]
	s_and_saveexec_b64 s[30:31], s[4:5]
	s_cbranch_execz .LBB1493_189
; %bb.191:                              ;   in Loop: Header=BB1493_190 Depth=1
	v_lshl_add_u64 v[66:67], v[66:67], 0, -1
	v_cmp_eq_u64_e64 s[0:1], 0, v[66:67]
	s_andn2_b64 s[4:5], s[26:27], exec
	s_and_b64 s[26:27], s[2:3], exec
	s_or_b64 s[26:27], s[4:5], s[26:27]
	s_andn2_b64 s[4:5], s[24:25], exec
	s_and_b64 s[0:1], s[0:1], exec
	v_lshl_add_u64 v[54:55], v[54:55], 0, 4
	v_lshl_add_u64 v[64:65], v[64:65], 0, 4
	s_andn2_b64 s[22:23], s[22:23], exec
	s_or_b64 s[24:25], s[4:5], s[0:1]
                                        ; implicit-def: $sgpr28_sgpr29
	s_branch .LBB1493_189
.LBB1493_192:
	s_or_b64 exec, exec, s[18:19]
	s_and_saveexec_b64 s[0:1], s[20:21]
	s_xor_b64 s[0:1], exec, s[0:1]
; %bb.193:
	v_cndmask_b32_e64 v55, v17, v19, s[16:17]
	v_cndmask_b32_e64 v54, v16, v18, s[16:17]
	;; [unrolled: 1-line block ×4, first 2 shown]
	v_mov_b64_e32 v[16:17], v[54:55]
; %bb.194:
	s_or_b64 exec, exec, s[0:1]
	s_or_b64 exec, exec, s[14:15]
	s_and_saveexec_b64 s[14:15], vcc
	s_cbranch_execz .LBB1493_30
.LBB1493_195:
	v_mul_lo_u32 v64, v13, v6
	v_mul_lo_u32 v65, v12, v7
	v_mad_u64_u32 v[54:55], s[0:1], v12, v6, 0
	v_add3_u32 v55, v55, v65, v64
	v_mul_lo_u32 v66, v15, v6
	v_mul_lo_u32 v67, v14, v7
	v_mad_u64_u32 v[64:65], s[0:1], v14, v6, 0
	v_add3_u32 v65, v65, v67, v66
	v_lshl_add_u64 v[54:55], v[54:55], 2, v[8:9]
	v_lshl_add_u64 v[64:65], v[64:65], 2, v[8:9]
	s_mov_b64 s[18:19], 0
	v_mov_b64_e32 v[66:67], v[6:7]
                                        ; implicit-def: $sgpr16_sgpr17
                                        ; implicit-def: $sgpr20_sgpr21
                                        ; implicit-def: $sgpr24_sgpr25
                                        ; implicit-def: $sgpr22_sgpr23
                                        ; implicit-def: $sgpr26_sgpr27
                                        ; implicit-def: $sgpr28_sgpr29
	s_branch .LBB1493_197
.LBB1493_196:                           ;   in Loop: Header=BB1493_197 Depth=1
	s_or_b64 exec, exec, s[30:31]
	s_and_b64 s[0:1], exec, s[24:25]
	s_or_b64 s[18:19], s[0:1], s[18:19]
	s_andn2_b64 s[0:1], s[28:29], exec
	s_and_b64 s[4:5], s[26:27], exec
	s_or_b64 s[28:29], s[0:1], s[4:5]
	s_andn2_b64 s[0:1], s[20:21], exec
	s_and_b64 s[4:5], s[22:23], exec
	;; [unrolled: 3-line block ×3, first 2 shown]
	s_or_b64 s[16:17], s[0:1], s[2:3]
	s_andn2_b64 exec, exec, s[18:19]
	s_cbranch_execz .LBB1493_199
.LBB1493_197:                           ; =>This Inner Loop Header: Depth=1
	flat_load_dword v68, v[64:65]
	flat_load_dword v69, v[54:55]
	s_andn2_b64 s[26:27], s[26:27], exec
	s_or_b64 s[22:23], s[22:23], exec
	s_or_b64 s[24:25], s[24:25], exec
	s_waitcnt vmcnt(0) lgkmcnt(0)
	v_cmp_le_u32_e64 s[2:3], v68, v69
	v_cmp_lt_u32_e64 s[0:1], v68, v69
	s_and_b64 s[2:3], s[2:3], s[28:29]
	v_cmp_eq_u32_e64 s[4:5], v68, v69
	s_or_b64 s[2:3], s[0:1], s[2:3]
	s_and_saveexec_b64 s[30:31], s[4:5]
	s_cbranch_execz .LBB1493_196
; %bb.198:                              ;   in Loop: Header=BB1493_197 Depth=1
	v_lshl_add_u64 v[66:67], v[66:67], 0, -1
	v_cmp_eq_u64_e64 s[0:1], 0, v[66:67]
	s_andn2_b64 s[4:5], s[26:27], exec
	s_and_b64 s[26:27], s[2:3], exec
	s_or_b64 s[26:27], s[4:5], s[26:27]
	s_andn2_b64 s[4:5], s[24:25], exec
	s_and_b64 s[0:1], s[0:1], exec
	v_lshl_add_u64 v[54:55], v[54:55], 0, 4
	v_lshl_add_u64 v[64:65], v[64:65], 0, 4
	s_andn2_b64 s[22:23], s[22:23], exec
	s_or_b64 s[24:25], s[4:5], s[0:1]
                                        ; implicit-def: $sgpr28_sgpr29
	s_branch .LBB1493_196
.LBB1493_199:
	s_or_b64 exec, exec, s[18:19]
	s_and_saveexec_b64 s[0:1], s[20:21]
	s_xor_b64 s[0:1], exec, s[0:1]
; %bb.200:
	v_cndmask_b32_e64 v55, v13, v15, s[16:17]
	v_cndmask_b32_e64 v54, v12, v14, s[16:17]
	;; [unrolled: 1-line block ×4, first 2 shown]
	v_mov_b64_e32 v[12:13], v[54:55]
; %bb.201:
	s_or_b64 exec, exec, s[0:1]
	s_or_b64 exec, exec, s[14:15]
	s_and_saveexec_b64 s[14:15], vcc
	s_cbranch_execz .LBB1493_31
.LBB1493_202:
	v_mul_lo_u32 v64, v1, v6
	v_mul_lo_u32 v65, v0, v7
	v_mad_u64_u32 v[54:55], s[0:1], v0, v6, 0
	v_add3_u32 v55, v55, v65, v64
	v_mul_lo_u32 v66, v3, v6
	v_mul_lo_u32 v67, v2, v7
	v_mad_u64_u32 v[64:65], s[0:1], v2, v6, 0
	v_add3_u32 v65, v65, v67, v66
	v_lshl_add_u64 v[54:55], v[54:55], 2, v[8:9]
	v_lshl_add_u64 v[64:65], v[64:65], 2, v[8:9]
	s_mov_b64 s[18:19], 0
	v_mov_b64_e32 v[66:67], v[6:7]
                                        ; implicit-def: $sgpr16_sgpr17
                                        ; implicit-def: $sgpr20_sgpr21
                                        ; implicit-def: $sgpr24_sgpr25
                                        ; implicit-def: $sgpr22_sgpr23
                                        ; implicit-def: $sgpr26_sgpr27
                                        ; implicit-def: $sgpr28_sgpr29
	s_branch .LBB1493_204
.LBB1493_203:                           ;   in Loop: Header=BB1493_204 Depth=1
	s_or_b64 exec, exec, s[30:31]
	s_and_b64 s[0:1], exec, s[24:25]
	s_or_b64 s[18:19], s[0:1], s[18:19]
	s_andn2_b64 s[0:1], s[28:29], exec
	s_and_b64 s[4:5], s[26:27], exec
	s_or_b64 s[28:29], s[0:1], s[4:5]
	s_andn2_b64 s[0:1], s[20:21], exec
	s_and_b64 s[4:5], s[22:23], exec
	s_or_b64 s[20:21], s[0:1], s[4:5]
	s_andn2_b64 s[0:1], s[16:17], exec
	s_and_b64 s[2:3], s[2:3], exec
	s_or_b64 s[16:17], s[0:1], s[2:3]
	s_andn2_b64 exec, exec, s[18:19]
	s_cbranch_execz .LBB1493_206
.LBB1493_204:                           ; =>This Inner Loop Header: Depth=1
	flat_load_dword v68, v[64:65]
	flat_load_dword v69, v[54:55]
	s_andn2_b64 s[26:27], s[26:27], exec
	s_or_b64 s[22:23], s[22:23], exec
	s_or_b64 s[24:25], s[24:25], exec
	s_waitcnt vmcnt(0) lgkmcnt(0)
	v_cmp_le_u32_e64 s[2:3], v68, v69
	v_cmp_lt_u32_e64 s[0:1], v68, v69
	s_and_b64 s[2:3], s[2:3], s[28:29]
	v_cmp_eq_u32_e64 s[4:5], v68, v69
	s_or_b64 s[2:3], s[0:1], s[2:3]
	s_and_saveexec_b64 s[30:31], s[4:5]
	s_cbranch_execz .LBB1493_203
; %bb.205:                              ;   in Loop: Header=BB1493_204 Depth=1
	v_lshl_add_u64 v[66:67], v[66:67], 0, -1
	v_cmp_eq_u64_e64 s[0:1], 0, v[66:67]
	s_andn2_b64 s[4:5], s[26:27], exec
	s_and_b64 s[26:27], s[2:3], exec
	s_or_b64 s[26:27], s[4:5], s[26:27]
	s_andn2_b64 s[4:5], s[24:25], exec
	s_and_b64 s[0:1], s[0:1], exec
	v_lshl_add_u64 v[54:55], v[54:55], 0, 4
	v_lshl_add_u64 v[64:65], v[64:65], 0, 4
	s_andn2_b64 s[22:23], s[22:23], exec
	s_or_b64 s[24:25], s[4:5], s[0:1]
                                        ; implicit-def: $sgpr28_sgpr29
	s_branch .LBB1493_203
.LBB1493_206:
	s_or_b64 exec, exec, s[18:19]
	s_and_saveexec_b64 s[0:1], s[20:21]
	s_xor_b64 s[0:1], exec, s[0:1]
; %bb.207:
	v_cndmask_b32_e64 v55, v1, v3, s[16:17]
	v_cndmask_b32_e64 v54, v0, v2, s[16:17]
	;; [unrolled: 1-line block ×4, first 2 shown]
	v_mov_b64_e32 v[0:1], v[54:55]
; %bb.208:
	s_or_b64 exec, exec, s[0:1]
	s_or_b64 exec, exec, s[14:15]
	s_and_saveexec_b64 s[14:15], vcc
	s_cbranch_execz .LBB1493_32
.LBB1493_209:
	v_mul_lo_u32 v64, v23, v6
	v_mul_lo_u32 v65, v22, v7
	v_mad_u64_u32 v[54:55], s[0:1], v22, v6, 0
	v_add3_u32 v55, v55, v65, v64
	v_mul_lo_u32 v66, v17, v6
	v_mul_lo_u32 v67, v16, v7
	v_mad_u64_u32 v[64:65], s[0:1], v16, v6, 0
	v_add3_u32 v65, v65, v67, v66
	v_lshl_add_u64 v[54:55], v[54:55], 2, v[8:9]
	v_lshl_add_u64 v[64:65], v[64:65], 2, v[8:9]
	s_mov_b64 s[18:19], 0
	v_mov_b64_e32 v[66:67], v[6:7]
                                        ; implicit-def: $sgpr16_sgpr17
                                        ; implicit-def: $sgpr20_sgpr21
                                        ; implicit-def: $sgpr24_sgpr25
                                        ; implicit-def: $sgpr22_sgpr23
                                        ; implicit-def: $sgpr26_sgpr27
                                        ; implicit-def: $sgpr28_sgpr29
	s_branch .LBB1493_211
.LBB1493_210:                           ;   in Loop: Header=BB1493_211 Depth=1
	s_or_b64 exec, exec, s[30:31]
	s_and_b64 s[0:1], exec, s[24:25]
	s_or_b64 s[18:19], s[0:1], s[18:19]
	s_andn2_b64 s[0:1], s[28:29], exec
	s_and_b64 s[4:5], s[26:27], exec
	s_or_b64 s[28:29], s[0:1], s[4:5]
	s_andn2_b64 s[0:1], s[20:21], exec
	s_and_b64 s[4:5], s[22:23], exec
	s_or_b64 s[20:21], s[0:1], s[4:5]
	s_andn2_b64 s[0:1], s[16:17], exec
	s_and_b64 s[2:3], s[2:3], exec
	s_or_b64 s[16:17], s[0:1], s[2:3]
	s_andn2_b64 exec, exec, s[18:19]
	s_cbranch_execz .LBB1493_213
.LBB1493_211:                           ; =>This Inner Loop Header: Depth=1
	flat_load_dword v68, v[64:65]
	flat_load_dword v69, v[54:55]
	s_andn2_b64 s[26:27], s[26:27], exec
	s_or_b64 s[22:23], s[22:23], exec
	s_or_b64 s[24:25], s[24:25], exec
	s_waitcnt vmcnt(0) lgkmcnt(0)
	v_cmp_le_u32_e64 s[2:3], v68, v69
	v_cmp_lt_u32_e64 s[0:1], v68, v69
	s_and_b64 s[2:3], s[2:3], s[28:29]
	v_cmp_eq_u32_e64 s[4:5], v68, v69
	s_or_b64 s[2:3], s[0:1], s[2:3]
	s_and_saveexec_b64 s[30:31], s[4:5]
	s_cbranch_execz .LBB1493_210
; %bb.212:                              ;   in Loop: Header=BB1493_211 Depth=1
	v_lshl_add_u64 v[66:67], v[66:67], 0, -1
	v_cmp_eq_u64_e64 s[0:1], 0, v[66:67]
	s_andn2_b64 s[4:5], s[26:27], exec
	s_and_b64 s[26:27], s[2:3], exec
	s_or_b64 s[26:27], s[4:5], s[26:27]
	s_andn2_b64 s[4:5], s[24:25], exec
	s_and_b64 s[0:1], s[0:1], exec
	v_lshl_add_u64 v[54:55], v[54:55], 0, 4
	v_lshl_add_u64 v[64:65], v[64:65], 0, 4
	s_andn2_b64 s[22:23], s[22:23], exec
	s_or_b64 s[24:25], s[4:5], s[0:1]
                                        ; implicit-def: $sgpr28_sgpr29
	s_branch .LBB1493_210
.LBB1493_213:
	s_or_b64 exec, exec, s[18:19]
	s_and_saveexec_b64 s[0:1], s[20:21]
	s_xor_b64 s[0:1], exec, s[0:1]
; %bb.214:
	v_cndmask_b32_e64 v55, v23, v17, s[16:17]
	v_cndmask_b32_e64 v54, v22, v16, s[16:17]
	;; [unrolled: 1-line block ×4, first 2 shown]
	v_mov_b64_e32 v[22:23], v[54:55]
; %bb.215:
	s_or_b64 exec, exec, s[0:1]
	s_or_b64 exec, exec, s[14:15]
	s_and_saveexec_b64 s[14:15], vcc
	s_cbranch_execz .LBB1493_33
.LBB1493_216:
	v_mul_lo_u32 v64, v19, v6
	v_mul_lo_u32 v65, v18, v7
	v_mad_u64_u32 v[54:55], s[0:1], v18, v6, 0
	v_add3_u32 v55, v55, v65, v64
	v_mul_lo_u32 v66, v13, v6
	v_mul_lo_u32 v67, v12, v7
	v_mad_u64_u32 v[64:65], s[0:1], v12, v6, 0
	v_add3_u32 v65, v65, v67, v66
	v_lshl_add_u64 v[54:55], v[54:55], 2, v[8:9]
	v_lshl_add_u64 v[64:65], v[64:65], 2, v[8:9]
	s_mov_b64 s[18:19], 0
	v_mov_b64_e32 v[66:67], v[6:7]
                                        ; implicit-def: $sgpr16_sgpr17
                                        ; implicit-def: $sgpr20_sgpr21
                                        ; implicit-def: $sgpr24_sgpr25
                                        ; implicit-def: $sgpr22_sgpr23
                                        ; implicit-def: $sgpr26_sgpr27
                                        ; implicit-def: $sgpr28_sgpr29
	s_branch .LBB1493_218
.LBB1493_217:                           ;   in Loop: Header=BB1493_218 Depth=1
	s_or_b64 exec, exec, s[30:31]
	s_and_b64 s[0:1], exec, s[24:25]
	s_or_b64 s[18:19], s[0:1], s[18:19]
	s_andn2_b64 s[0:1], s[28:29], exec
	s_and_b64 s[4:5], s[26:27], exec
	s_or_b64 s[28:29], s[0:1], s[4:5]
	s_andn2_b64 s[0:1], s[20:21], exec
	s_and_b64 s[4:5], s[22:23], exec
	s_or_b64 s[20:21], s[0:1], s[4:5]
	s_andn2_b64 s[0:1], s[16:17], exec
	s_and_b64 s[2:3], s[2:3], exec
	s_or_b64 s[16:17], s[0:1], s[2:3]
	s_andn2_b64 exec, exec, s[18:19]
	s_cbranch_execz .LBB1493_220
.LBB1493_218:                           ; =>This Inner Loop Header: Depth=1
	flat_load_dword v68, v[64:65]
	flat_load_dword v69, v[54:55]
	s_andn2_b64 s[26:27], s[26:27], exec
	s_or_b64 s[22:23], s[22:23], exec
	s_or_b64 s[24:25], s[24:25], exec
	s_waitcnt vmcnt(0) lgkmcnt(0)
	v_cmp_le_u32_e64 s[2:3], v68, v69
	v_cmp_lt_u32_e64 s[0:1], v68, v69
	s_and_b64 s[2:3], s[2:3], s[28:29]
	v_cmp_eq_u32_e64 s[4:5], v68, v69
	s_or_b64 s[2:3], s[0:1], s[2:3]
	s_and_saveexec_b64 s[30:31], s[4:5]
	s_cbranch_execz .LBB1493_217
; %bb.219:                              ;   in Loop: Header=BB1493_218 Depth=1
	v_lshl_add_u64 v[66:67], v[66:67], 0, -1
	v_cmp_eq_u64_e64 s[0:1], 0, v[66:67]
	s_andn2_b64 s[4:5], s[26:27], exec
	s_and_b64 s[26:27], s[2:3], exec
	s_or_b64 s[26:27], s[4:5], s[26:27]
	s_andn2_b64 s[4:5], s[24:25], exec
	s_and_b64 s[0:1], s[0:1], exec
	v_lshl_add_u64 v[54:55], v[54:55], 0, 4
	v_lshl_add_u64 v[64:65], v[64:65], 0, 4
	s_andn2_b64 s[22:23], s[22:23], exec
	s_or_b64 s[24:25], s[4:5], s[0:1]
                                        ; implicit-def: $sgpr28_sgpr29
	s_branch .LBB1493_217
.LBB1493_220:
	s_or_b64 exec, exec, s[18:19]
	s_and_saveexec_b64 s[0:1], s[20:21]
	s_xor_b64 s[0:1], exec, s[0:1]
; %bb.221:
	v_cndmask_b32_e64 v55, v19, v13, s[16:17]
	v_cndmask_b32_e64 v54, v18, v12, s[16:17]
	v_cndmask_b32_e64 v13, v13, v19, s[16:17]
	v_cndmask_b32_e64 v12, v12, v18, s[16:17]
	v_mov_b64_e32 v[18:19], v[54:55]
; %bb.222:
	s_or_b64 exec, exec, s[0:1]
	s_or_b64 exec, exec, s[14:15]
	s_and_saveexec_b64 s[14:15], vcc
	s_cbranch_execz .LBB1493_230
.LBB1493_223:
	v_mul_lo_u32 v64, v15, v6
	v_mul_lo_u32 v65, v14, v7
	v_mad_u64_u32 v[54:55], s[0:1], v14, v6, 0
	v_add3_u32 v55, v55, v65, v64
	v_mul_lo_u32 v66, v1, v6
	v_mul_lo_u32 v67, v0, v7
	v_mad_u64_u32 v[64:65], s[0:1], v0, v6, 0
	v_add3_u32 v65, v65, v67, v66
	v_lshl_add_u64 v[54:55], v[54:55], 2, v[8:9]
	v_lshl_add_u64 v[64:65], v[64:65], 2, v[8:9]
	s_mov_b64 s[20:21], 0
	v_mov_b64_e32 v[66:67], v[6:7]
                                        ; implicit-def: $sgpr16_sgpr17
                                        ; implicit-def: $sgpr18_sgpr19
                                        ; implicit-def: $sgpr24_sgpr25
                                        ; implicit-def: $sgpr22_sgpr23
                                        ; implicit-def: $sgpr26_sgpr27
                                        ; implicit-def: $sgpr28_sgpr29
	s_branch .LBB1493_225
.LBB1493_224:                           ;   in Loop: Header=BB1493_225 Depth=1
	s_or_b64 exec, exec, s[30:31]
	s_and_b64 s[0:1], exec, s[24:25]
	s_or_b64 s[20:21], s[0:1], s[20:21]
	s_andn2_b64 s[0:1], s[28:29], exec
	s_and_b64 s[4:5], s[26:27], exec
	s_or_b64 s[28:29], s[0:1], s[4:5]
	s_andn2_b64 s[0:1], s[18:19], exec
	s_and_b64 s[4:5], s[22:23], exec
	;; [unrolled: 3-line block ×3, first 2 shown]
	s_or_b64 s[16:17], s[0:1], s[2:3]
	s_andn2_b64 exec, exec, s[20:21]
	s_cbranch_execz .LBB1493_227
.LBB1493_225:                           ; =>This Inner Loop Header: Depth=1
	flat_load_dword v68, v[64:65]
	flat_load_dword v69, v[54:55]
	s_andn2_b64 s[26:27], s[26:27], exec
	s_or_b64 s[22:23], s[22:23], exec
	s_or_b64 s[24:25], s[24:25], exec
	s_waitcnt vmcnt(0) lgkmcnt(0)
	v_cmp_le_u32_e64 s[2:3], v68, v69
	v_cmp_lt_u32_e64 s[0:1], v68, v69
	s_and_b64 s[2:3], s[2:3], s[28:29]
	v_cmp_eq_u32_e64 s[4:5], v68, v69
	s_or_b64 s[2:3], s[0:1], s[2:3]
	s_and_saveexec_b64 s[30:31], s[4:5]
	s_cbranch_execz .LBB1493_224
; %bb.226:                              ;   in Loop: Header=BB1493_225 Depth=1
	v_lshl_add_u64 v[66:67], v[66:67], 0, -1
	v_cmp_eq_u64_e64 s[0:1], 0, v[66:67]
	s_andn2_b64 s[4:5], s[26:27], exec
	s_and_b64 s[26:27], s[2:3], exec
	s_or_b64 s[26:27], s[4:5], s[26:27]
	s_andn2_b64 s[4:5], s[24:25], exec
	s_and_b64 s[0:1], s[0:1], exec
	v_lshl_add_u64 v[54:55], v[54:55], 0, 4
	v_lshl_add_u64 v[64:65], v[64:65], 0, 4
	s_andn2_b64 s[22:23], s[22:23], exec
	s_or_b64 s[24:25], s[4:5], s[0:1]
                                        ; implicit-def: $sgpr28_sgpr29
	s_branch .LBB1493_224
.LBB1493_227:
	s_or_b64 exec, exec, s[20:21]
	s_and_saveexec_b64 s[0:1], s[18:19]
	s_xor_b64 s[0:1], exec, s[0:1]
; %bb.228:
	v_cndmask_b32_e64 v55, v15, v1, s[16:17]
	v_cndmask_b32_e64 v54, v14, v0, s[16:17]
	;; [unrolled: 1-line block ×4, first 2 shown]
	v_mov_b64_e32 v[14:15], v[54:55]
; %bb.229:
	s_or_b64 exec, exec, s[0:1]
.LBB1493_230:
	s_or_b64 exec, exec, s[14:15]
.LBB1493_231:
	s_or_b64 exec, exec, s[10:11]
	v_mbcnt_lo_u32_b32 v54, -1, 0
	v_mbcnt_hi_u32_b32 v64, -1, v54
	v_and_b32_e32 v66, 0xfffffe00, v31
	s_movk_i32 s0, 0x800
	v_mov_b32_e32 v67, 0
	v_sub_u32_e64 v31, s0, v66 clamp
	v_lshl_add_u64 v[54:55], v[66:67], 3, v[10:11]
	v_lshlrev_b32_e32 v98, 3, v64
	v_lshlrev_b32_e32 v66, 6, v64
	v_lshl_add_u64 v[64:65], v[54:55], 0, v[66:67]
	v_or_b32_e32 v66, 8, v98
	v_min_u32_e32 v99, v31, v66
	v_add_u32_e32 v66, 8, v99
	v_and_b32_e32 v101, 0x3f0, v98
	v_min_u32_e32 v100, v31, v66
	v_and_b32_e32 v66, 8, v98
	v_min_u32_e32 v102, v31, v66
	v_sub_u32_e32 v66, v99, v101
	v_sub_u32_e32 v68, v100, v99
	v_sub_u32_e64 v103, v102, v68 clamp
	v_min_u32_e32 v112, v102, v66
	v_cmp_lt_u32_e64 s[0:1], v103, v112
	flat_store_dwordx4 v[64:65], v[20:23]
	flat_store_dwordx4 v[64:65], v[16:19] offset:16
	flat_store_dwordx4 v[64:65], v[12:15] offset:32
	;; [unrolled: 1-line block ×3, first 2 shown]
	; wave barrier
	s_and_saveexec_b64 s[10:11], s[0:1]
	s_cbranch_execz .LBB1493_241
; %bb.232:
	v_lshlrev_b32_e32 v66, 3, v101
	v_lshl_add_u64 v[68:69], v[54:55], 0, v[66:67]
	v_lshlrev_b32_e32 v66, 3, v99
	v_lshl_add_u64 v[70:71], v[54:55], 0, v[66:67]
	v_lshlrev_b64 v[80:81], 2, v[6:7]
	s_mov_b64 s[14:15], 0
	s_branch .LBB1493_235
.LBB1493_233:                           ;   in Loop: Header=BB1493_235 Depth=1
	s_or_b64 exec, exec, s[18:19]
	s_and_b64 s[0:1], s[20:21], exec
.LBB1493_234:                           ;   in Loop: Header=BB1493_235 Depth=1
	s_or_b64 exec, exec, s[16:17]
	v_add_u32_e32 v66, 1, v82
	v_cndmask_b32_e64 v112, v112, v82, s[0:1]
	v_cndmask_b32_e64 v103, v66, v103, s[0:1]
	v_cmp_ge_u32_e64 s[0:1], v103, v112
	s_or_b64 s[14:15], s[0:1], s[14:15]
	s_andn2_b64 exec, exec, s[14:15]
	s_cbranch_execz .LBB1493_240
.LBB1493_235:                           ; =>This Loop Header: Depth=1
                                        ;     Child Loop BB1493_238 Depth 2
	v_add_u32_e32 v66, v112, v103
	v_lshrrev_b32_e32 v82, 1, v66
	s_mov_b64 s[0:1], 0
	s_and_saveexec_b64 s[16:17], vcc
	s_cbranch_execz .LBB1493_234
; %bb.236:                              ;   in Loop: Header=BB1493_235 Depth=1
	v_mov_b32_e32 v83, v67
	v_xad_u32 v66, v82, -1, v102
	v_lshl_add_u64 v[84:85], v[82:83], 3, v[68:69]
	v_lshl_add_u64 v[86:87], v[66:67], 3, v[70:71]
	flat_load_dwordx2 v[84:85], v[84:85]
	s_mov_b64 s[18:19], 0
	flat_load_dwordx2 v[86:87], v[86:87]
                                        ; implicit-def: $sgpr20_sgpr21
                                        ; implicit-def: $sgpr22_sgpr23
                                        ; implicit-def: $sgpr24_sgpr25
                                        ; implicit-def: $sgpr2_sgpr3
                                        ; implicit-def: $sgpr26_sgpr27
	s_waitcnt vmcnt(0) lgkmcnt(0)
	v_mul_lo_u32 v66, v80, v85
	v_mul_lo_u32 v83, v81, v84
	v_mad_u64_u32 v[84:85], s[0:1], v80, v84, v[8:9]
	v_mul_lo_u32 v96, v80, v87
	v_mul_lo_u32 v97, v81, v86
	v_mad_u64_u32 v[86:87], s[0:1], v80, v86, v[8:9]
	v_add3_u32 v85, v83, v85, v66
	v_add3_u32 v87, v97, v87, v96
	v_mov_b64_e32 v[96:97], v[6:7]
	s_branch .LBB1493_238
.LBB1493_237:                           ;   in Loop: Header=BB1493_238 Depth=2
	s_or_b64 exec, exec, s[28:29]
	s_and_b64 s[0:1], exec, s[22:23]
	s_or_b64 s[18:19], s[0:1], s[18:19]
	s_andn2_b64 s[0:1], s[26:27], exec
	s_and_b64 s[4:5], s[24:25], exec
	s_or_b64 s[26:27], s[0:1], s[4:5]
	s_andn2_b64 s[0:1], s[20:21], exec
	s_and_b64 s[4:5], s[2:3], exec
	s_or_b64 s[20:21], s[0:1], s[4:5]
	s_andn2_b64 exec, exec, s[18:19]
	s_cbranch_execz .LBB1493_233
.LBB1493_238:                           ;   Parent Loop BB1493_235 Depth=1
                                        ; =>  This Inner Loop Header: Depth=2
	flat_load_dword v66, v[86:87]
	flat_load_dword v83, v[84:85]
	s_andn2_b64 s[28:29], s[2:3], exec
	s_andn2_b64 s[24:25], s[24:25], exec
	s_or_b64 s[22:23], s[22:23], exec
	s_waitcnt vmcnt(0) lgkmcnt(0)
	v_cmp_le_u32_e64 s[2:3], v66, v83
	v_cmp_lt_u32_e64 s[0:1], v66, v83
	s_and_b64 s[2:3], s[2:3], s[26:27]
	s_or_b64 s[30:31], s[0:1], s[2:3]
	s_and_b64 s[0:1], s[30:31], exec
	v_cmp_eq_u32_e64 s[4:5], v66, v83
	s_or_b64 s[2:3], s[28:29], s[0:1]
	s_and_saveexec_b64 s[28:29], s[4:5]
	s_cbranch_execz .LBB1493_237
; %bb.239:                              ;   in Loop: Header=BB1493_238 Depth=2
	v_lshl_add_u64 v[96:97], v[96:97], 0, -1
	v_cmp_eq_u64_e64 s[0:1], 0, v[96:97]
	s_andn2_b64 s[4:5], s[24:25], exec
	s_and_b64 s[24:25], s[30:31], exec
	s_or_b64 s[24:25], s[4:5], s[24:25]
	s_andn2_b64 s[4:5], s[22:23], exec
	s_and_b64 s[0:1], s[0:1], exec
	v_lshl_add_u64 v[84:85], v[84:85], 0, 4
	v_lshl_add_u64 v[86:87], v[86:87], 0, 4
	s_andn2_b64 s[2:3], s[2:3], exec
	s_or_b64 s[22:23], s[4:5], s[0:1]
                                        ; implicit-def: $sgpr26_sgpr27
	s_branch .LBB1493_237
.LBB1493_240:
	s_or_b64 exec, exec, s[14:15]
.LBB1493_241:
	s_or_b64 exec, exec, s[10:11]
	v_add_u32_e32 v67, v99, v102
	v_add_u32_e32 v66, v103, v101
	v_sub_u32_e32 v68, v67, v103
	v_cmp_le_u32_e64 s[0:1], v66, v99
	v_cmp_le_u32_e64 s[2:3], v68, v100
	s_or_b64 s[0:1], s[0:1], s[2:3]
	s_and_saveexec_b64 s[10:11], s[0:1]
	s_cbranch_execz .LBB1493_325
; %bb.242:
	v_cmp_ge_u32_e64 s[0:1], v66, v99
	v_cmp_lt_u32_e64 s[2:3], v66, v99
                                        ; implicit-def: $vgpr0_vgpr1
	s_and_saveexec_b64 s[4:5], s[2:3]
	s_cbranch_execz .LBB1493_244
; %bb.243:
	v_mov_b32_e32 v67, 0
	v_lshl_add_u64 v[0:1], v[66:67], 3, v[54:55]
	flat_load_dwordx2 v[0:1], v[0:1]
.LBB1493_244:
	s_or_b64 exec, exec, s[4:5]
	v_cmp_ge_u32_e64 s[14:15], v68, v100
	v_cmp_lt_u32_e64 s[2:3], v68, v100
                                        ; implicit-def: $vgpr2_vgpr3
	s_and_saveexec_b64 s[4:5], s[2:3]
	s_cbranch_execz .LBB1493_246
; %bb.245:
	v_mov_b32_e32 v69, 0
	v_lshl_add_u64 v[2:3], v[68:69], 3, v[54:55]
	flat_load_dwordx2 v[2:3], v[2:3]
.LBB1493_246:
	s_or_b64 exec, exec, s[4:5]
	s_or_b64 s[0:1], s[0:1], s[14:15]
	s_xor_b64 s[0:1], s[0:1], -1
	s_and_saveexec_b64 s[16:17], s[0:1]
	s_cbranch_execz .LBB1493_254
; %bb.247:
	s_mov_b64 s[0:1], 0
	s_and_saveexec_b64 s[18:19], vcc
	s_cbranch_execz .LBB1493_253
; %bb.248:
	s_waitcnt vmcnt(0) lgkmcnt(0)
	v_mul_lo_u32 v14, v1, v6
	v_mul_lo_u32 v15, v0, v7
	v_mad_u64_u32 v[12:13], s[0:1], v0, v6, 0
	v_add3_u32 v13, v13, v15, v14
	v_mul_lo_u32 v16, v3, v6
	v_mul_lo_u32 v17, v2, v7
	v_mad_u64_u32 v[14:15], s[0:1], v2, v6, 0
	v_add3_u32 v15, v15, v17, v16
	v_lshl_add_u64 v[12:13], v[12:13], 2, v[8:9]
	v_lshl_add_u64 v[14:15], v[14:15], 2, v[8:9]
	s_mov_b64 s[20:21], 0
	v_mov_b64_e32 v[16:17], v[6:7]
                                        ; implicit-def: $sgpr22_sgpr23
                                        ; implicit-def: $sgpr24_sgpr25
                                        ; implicit-def: $sgpr26_sgpr27
                                        ; implicit-def: $sgpr2_sgpr3
                                        ; implicit-def: $sgpr28_sgpr29
	s_branch .LBB1493_250
.LBB1493_249:                           ;   in Loop: Header=BB1493_250 Depth=1
	s_or_b64 exec, exec, s[30:31]
	s_and_b64 s[0:1], exec, s[24:25]
	s_or_b64 s[20:21], s[0:1], s[20:21]
	s_andn2_b64 s[0:1], s[28:29], exec
	s_and_b64 s[4:5], s[26:27], exec
	s_or_b64 s[28:29], s[0:1], s[4:5]
	s_andn2_b64 s[0:1], s[22:23], exec
	s_and_b64 s[4:5], s[2:3], exec
	s_or_b64 s[22:23], s[0:1], s[4:5]
	s_andn2_b64 exec, exec, s[20:21]
	s_cbranch_execz .LBB1493_252
.LBB1493_250:                           ; =>This Inner Loop Header: Depth=1
	flat_load_dword v18, v[14:15]
	flat_load_dword v19, v[12:13]
	s_andn2_b64 s[30:31], s[2:3], exec
	s_andn2_b64 s[26:27], s[26:27], exec
	s_or_b64 s[24:25], s[24:25], exec
	s_waitcnt vmcnt(0) lgkmcnt(0)
	v_cmp_le_u32_e64 s[2:3], v18, v19
	v_cmp_lt_u32_e64 s[0:1], v18, v19
	s_and_b64 s[2:3], s[2:3], s[28:29]
	s_or_b64 s[34:35], s[0:1], s[2:3]
	s_and_b64 s[0:1], s[34:35], exec
	v_cmp_eq_u32_e64 s[4:5], v18, v19
	s_or_b64 s[2:3], s[30:31], s[0:1]
	s_and_saveexec_b64 s[30:31], s[4:5]
	s_cbranch_execz .LBB1493_249
; %bb.251:                              ;   in Loop: Header=BB1493_250 Depth=1
	v_lshl_add_u64 v[16:17], v[16:17], 0, -1
	v_cmp_eq_u64_e64 s[0:1], 0, v[16:17]
	s_andn2_b64 s[4:5], s[26:27], exec
	s_and_b64 s[26:27], s[34:35], exec
	s_or_b64 s[26:27], s[4:5], s[26:27]
	s_andn2_b64 s[4:5], s[24:25], exec
	s_and_b64 s[0:1], s[0:1], exec
	v_lshl_add_u64 v[12:13], v[12:13], 0, 4
	v_lshl_add_u64 v[14:15], v[14:15], 0, 4
	s_andn2_b64 s[2:3], s[2:3], exec
	s_or_b64 s[24:25], s[4:5], s[0:1]
                                        ; implicit-def: $sgpr28_sgpr29
	s_branch .LBB1493_249
.LBB1493_252:
	s_or_b64 exec, exec, s[20:21]
	s_and_b64 s[0:1], s[22:23], exec
.LBB1493_253:
	s_or_b64 exec, exec, s[18:19]
	s_xor_b64 s[0:1], s[0:1], -1
	s_andn2_b64 s[2:3], s[14:15], exec
	s_and_b64 s[0:1], s[0:1], exec
	s_or_b64 s[14:15], s[2:3], s[0:1]
.LBB1493_254:
	s_or_b64 exec, exec, s[16:17]
	v_cndmask_b32_e64 v12, v68, v66, s[14:15]
	v_cndmask_b32_e64 v13, v100, v99, s[14:15]
	v_add_u32_e32 v16, 1, v12
	v_add_u32_e32 v12, -1, v13
	v_min_u32_e32 v12, v16, v12
	v_mov_b32_e32 v13, 0
	v_lshl_add_u64 v[14:15], v[12:13], 3, v[54:55]
	flat_load_dwordx2 v[14:15], v[14:15]
	v_cndmask_b32_e64 v23, v16, v68, s[14:15]
	s_mov_b64 s[16:17], -1
	v_cndmask_b32_e64 v66, v66, v16, s[14:15]
	v_cmp_lt_u32_e64 s[0:1], v23, v100
	s_mov_b64 s[18:19], -1
	s_waitcnt vmcnt(0) lgkmcnt(0)
	v_cndmask_b32_e64 v20, v15, v3, s[14:15]
	v_cndmask_b32_e64 v21, v14, v2, s[14:15]
	;; [unrolled: 1-line block ×4, first 2 shown]
	s_and_saveexec_b64 s[20:21], s[0:1]
	s_cbranch_execz .LBB1493_264
; %bb.255:
	v_cmp_lt_u32_e64 s[0:1], v66, v99
	s_mov_b64 s[2:3], 0
	s_and_saveexec_b64 s[18:19], s[0:1]
	s_cbranch_execz .LBB1493_263
; %bb.256:
	s_mov_b64 s[0:1], 0
	s_and_saveexec_b64 s[22:23], vcc
	s_cbranch_execz .LBB1493_262
; %bb.257:
	v_mul_lo_u32 v12, v22, v6
	v_mul_lo_u32 v16, v68, v7
	v_mad_u64_u32 v[14:15], s[0:1], v68, v6, 0
	v_add3_u32 v15, v15, v16, v12
	v_mul_lo_u32 v12, v20, v6
	v_mul_lo_u32 v18, v21, v7
	v_mad_u64_u32 v[16:17], s[0:1], v21, v6, 0
	v_add3_u32 v17, v17, v18, v12
	v_lshl_add_u64 v[14:15], v[14:15], 2, v[8:9]
	v_lshl_add_u64 v[16:17], v[16:17], 2, v[8:9]
	s_mov_b64 s[24:25], 0
	v_mov_b64_e32 v[18:19], v[6:7]
                                        ; implicit-def: $sgpr26_sgpr27
                                        ; implicit-def: $sgpr28_sgpr29
                                        ; implicit-def: $sgpr30_sgpr31
                                        ; implicit-def: $sgpr2_sgpr3
                                        ; implicit-def: $sgpr34_sgpr35
	s_branch .LBB1493_259
.LBB1493_258:                           ;   in Loop: Header=BB1493_259 Depth=1
	s_or_b64 exec, exec, s[36:37]
	s_and_b64 s[0:1], exec, s[28:29]
	s_or_b64 s[24:25], s[0:1], s[24:25]
	s_andn2_b64 s[0:1], s[34:35], exec
	s_and_b64 s[4:5], s[30:31], exec
	s_or_b64 s[34:35], s[0:1], s[4:5]
	s_andn2_b64 s[0:1], s[26:27], exec
	s_and_b64 s[4:5], s[2:3], exec
	s_or_b64 s[26:27], s[0:1], s[4:5]
	s_andn2_b64 exec, exec, s[24:25]
	s_cbranch_execz .LBB1493_261
.LBB1493_259:                           ; =>This Inner Loop Header: Depth=1
	flat_load_dword v12, v[16:17]
	flat_load_dword v67, v[14:15]
	s_andn2_b64 s[36:37], s[2:3], exec
	s_andn2_b64 s[30:31], s[30:31], exec
	s_or_b64 s[28:29], s[28:29], exec
	s_waitcnt vmcnt(0) lgkmcnt(0)
	v_cmp_le_u32_e64 s[2:3], v12, v67
	v_cmp_lt_u32_e64 s[0:1], v12, v67
	s_and_b64 s[2:3], s[2:3], s[34:35]
	s_or_b64 s[38:39], s[0:1], s[2:3]
	s_and_b64 s[0:1], s[38:39], exec
	v_cmp_eq_u32_e64 s[4:5], v12, v67
	s_or_b64 s[2:3], s[36:37], s[0:1]
	s_and_saveexec_b64 s[36:37], s[4:5]
	s_cbranch_execz .LBB1493_258
; %bb.260:                              ;   in Loop: Header=BB1493_259 Depth=1
	v_lshl_add_u64 v[18:19], v[18:19], 0, -1
	v_cmp_eq_u64_e64 s[0:1], 0, v[18:19]
	s_andn2_b64 s[4:5], s[30:31], exec
	s_and_b64 s[30:31], s[38:39], exec
	s_or_b64 s[30:31], s[4:5], s[30:31]
	s_andn2_b64 s[4:5], s[28:29], exec
	s_and_b64 s[0:1], s[0:1], exec
	v_lshl_add_u64 v[14:15], v[14:15], 0, 4
	v_lshl_add_u64 v[16:17], v[16:17], 0, 4
	s_andn2_b64 s[2:3], s[2:3], exec
	s_or_b64 s[28:29], s[4:5], s[0:1]
                                        ; implicit-def: $sgpr34_sgpr35
	s_branch .LBB1493_258
.LBB1493_261:
	s_or_b64 exec, exec, s[24:25]
	s_and_b64 s[0:1], s[26:27], exec
.LBB1493_262:
	s_or_b64 exec, exec, s[22:23]
	s_xor_b64 s[0:1], s[0:1], -1
	s_and_b64 s[2:3], s[0:1], exec
.LBB1493_263:
	s_or_b64 exec, exec, s[18:19]
	s_orn2_b64 s[18:19], s[2:3], exec
.LBB1493_264:
	s_or_b64 exec, exec, s[20:21]
	v_cndmask_b32_e64 v12, v23, v66, s[18:19]
	v_cndmask_b32_e64 v14, v100, v99, s[18:19]
	v_add_u32_e32 v15, 1, v12
	v_add_u32_e32 v12, -1, v14
	v_min_u32_e32 v12, v15, v12
	v_lshl_add_u64 v[12:13], v[12:13], 3, v[54:55]
	flat_load_dwordx2 v[12:13], v[12:13]
	v_cndmask_b32_e64 v18, v15, v23, s[18:19]
	v_cndmask_b32_e64 v19, v66, v15, s[18:19]
	v_cmp_lt_u32_e64 s[0:1], v18, v100
	s_waitcnt vmcnt(0) lgkmcnt(0)
	v_cndmask_b32_e64 v23, v13, v20, s[18:19]
	v_cndmask_b32_e64 v69, v12, v21, s[18:19]
	v_cndmask_b32_e64 v70, v22, v13, s[18:19]
	v_cndmask_b32_e64 v71, v68, v12, s[18:19]
	s_and_saveexec_b64 s[20:21], s[0:1]
	s_cbranch_execz .LBB1493_274
; %bb.265:
	v_cmp_lt_u32_e64 s[0:1], v19, v99
	s_mov_b64 s[2:3], 0
	s_and_saveexec_b64 s[16:17], s[0:1]
	s_cbranch_execz .LBB1493_273
; %bb.266:
	s_mov_b64 s[0:1], 0
	s_and_saveexec_b64 s[22:23], vcc
	s_cbranch_execz .LBB1493_272
; %bb.267:
	v_mul_lo_u32 v14, v70, v6
	v_mul_lo_u32 v15, v71, v7
	v_mad_u64_u32 v[12:13], s[0:1], v71, v6, 0
	v_add3_u32 v13, v13, v15, v14
	v_mul_lo_u32 v16, v23, v6
	v_mul_lo_u32 v17, v69, v7
	v_mad_u64_u32 v[14:15], s[0:1], v69, v6, 0
	v_add3_u32 v15, v15, v17, v16
	v_lshl_add_u64 v[12:13], v[12:13], 2, v[8:9]
	v_lshl_add_u64 v[14:15], v[14:15], 2, v[8:9]
	s_mov_b64 s[24:25], 0
	v_mov_b64_e32 v[16:17], v[6:7]
                                        ; implicit-def: $sgpr26_sgpr27
                                        ; implicit-def: $sgpr28_sgpr29
                                        ; implicit-def: $sgpr30_sgpr31
                                        ; implicit-def: $sgpr2_sgpr3
                                        ; implicit-def: $sgpr34_sgpr35
	s_branch .LBB1493_269
.LBB1493_268:                           ;   in Loop: Header=BB1493_269 Depth=1
	s_or_b64 exec, exec, s[36:37]
	s_and_b64 s[0:1], exec, s[28:29]
	s_or_b64 s[24:25], s[0:1], s[24:25]
	s_andn2_b64 s[0:1], s[34:35], exec
	s_and_b64 s[4:5], s[30:31], exec
	s_or_b64 s[34:35], s[0:1], s[4:5]
	s_andn2_b64 s[0:1], s[26:27], exec
	s_and_b64 s[4:5], s[2:3], exec
	s_or_b64 s[26:27], s[0:1], s[4:5]
	s_andn2_b64 exec, exec, s[24:25]
	s_cbranch_execz .LBB1493_271
.LBB1493_269:                           ; =>This Inner Loop Header: Depth=1
	flat_load_dword v66, v[14:15]
	flat_load_dword v67, v[12:13]
	s_andn2_b64 s[36:37], s[2:3], exec
	s_andn2_b64 s[30:31], s[30:31], exec
	s_or_b64 s[28:29], s[28:29], exec
	s_waitcnt vmcnt(0) lgkmcnt(0)
	v_cmp_le_u32_e64 s[2:3], v66, v67
	v_cmp_lt_u32_e64 s[0:1], v66, v67
	s_and_b64 s[2:3], s[2:3], s[34:35]
	s_or_b64 s[38:39], s[0:1], s[2:3]
	s_and_b64 s[0:1], s[38:39], exec
	v_cmp_eq_u32_e64 s[4:5], v66, v67
	s_or_b64 s[2:3], s[36:37], s[0:1]
	s_and_saveexec_b64 s[36:37], s[4:5]
	s_cbranch_execz .LBB1493_268
; %bb.270:                              ;   in Loop: Header=BB1493_269 Depth=1
	v_lshl_add_u64 v[16:17], v[16:17], 0, -1
	v_cmp_eq_u64_e64 s[0:1], 0, v[16:17]
	s_andn2_b64 s[4:5], s[30:31], exec
	s_and_b64 s[30:31], s[38:39], exec
	s_or_b64 s[30:31], s[4:5], s[30:31]
	s_andn2_b64 s[4:5], s[28:29], exec
	s_and_b64 s[0:1], s[0:1], exec
	v_lshl_add_u64 v[12:13], v[12:13], 0, 4
	v_lshl_add_u64 v[14:15], v[14:15], 0, 4
	s_andn2_b64 s[2:3], s[2:3], exec
	s_or_b64 s[28:29], s[4:5], s[0:1]
                                        ; implicit-def: $sgpr34_sgpr35
	s_branch .LBB1493_268
.LBB1493_271:
	s_or_b64 exec, exec, s[24:25]
	s_and_b64 s[0:1], s[26:27], exec
.LBB1493_272:
	s_or_b64 exec, exec, s[22:23]
	s_xor_b64 s[0:1], s[0:1], -1
	s_and_b64 s[2:3], s[0:1], exec
.LBB1493_273:
	s_or_b64 exec, exec, s[16:17]
	s_orn2_b64 s[16:17], s[2:3], exec
.LBB1493_274:
	s_or_b64 exec, exec, s[20:21]
	v_cndmask_b32_e64 v12, v18, v19, s[16:17]
	v_cndmask_b32_e64 v13, v100, v99, s[16:17]
	v_add_u32_e32 v16, 1, v12
	v_add_u32_e32 v12, -1, v13
	v_min_u32_e32 v12, v16, v12
	v_mov_b32_e32 v13, 0
	v_lshl_add_u64 v[14:15], v[12:13], 3, v[54:55]
	flat_load_dwordx2 v[14:15], v[14:15]
	v_cndmask_b32_e64 v66, v16, v18, s[16:17]
	s_mov_b64 s[20:21], -1
	v_cndmask_b32_e64 v67, v19, v16, s[16:17]
	v_cmp_lt_u32_e64 s[0:1], v66, v100
	s_mov_b64 s[22:23], -1
	s_waitcnt vmcnt(0) lgkmcnt(0)
	v_cndmask_b32_e64 v80, v15, v23, s[16:17]
	v_cndmask_b32_e64 v81, v14, v69, s[16:17]
	;; [unrolled: 1-line block ×4, first 2 shown]
	s_and_saveexec_b64 s[24:25], s[0:1]
	s_cbranch_execz .LBB1493_284
; %bb.275:
	v_cmp_lt_u32_e64 s[0:1], v67, v99
	s_mov_b64 s[2:3], 0
	s_and_saveexec_b64 s[22:23], s[0:1]
	s_cbranch_execz .LBB1493_283
; %bb.276:
	s_mov_b64 s[0:1], -1
	s_and_saveexec_b64 s[26:27], vcc
	s_cbranch_execz .LBB1493_282
; %bb.277:
	v_mul_lo_u32 v12, v82, v6
	v_mul_lo_u32 v16, v83, v7
	v_mad_u64_u32 v[14:15], s[0:1], v83, v6, 0
	v_add3_u32 v15, v15, v16, v12
	v_mul_lo_u32 v12, v80, v6
	v_mul_lo_u32 v18, v81, v7
	v_mad_u64_u32 v[16:17], s[0:1], v81, v6, 0
	v_add3_u32 v17, v17, v18, v12
	v_lshl_add_u64 v[14:15], v[14:15], 2, v[8:9]
	v_lshl_add_u64 v[16:17], v[16:17], 2, v[8:9]
	s_mov_b64 s[28:29], 0
	v_mov_b64_e32 v[18:19], v[6:7]
                                        ; implicit-def: $sgpr30_sgpr31
                                        ; implicit-def: $sgpr34_sgpr35
                                        ; implicit-def: $sgpr2_sgpr3
                                        ; implicit-def: $sgpr36_sgpr37
                                        ; implicit-def: $sgpr38_sgpr39
	s_branch .LBB1493_279
.LBB1493_278:                           ;   in Loop: Header=BB1493_279 Depth=1
	s_or_b64 exec, exec, s[40:41]
	s_and_b64 s[0:1], exec, s[34:35]
	s_or_b64 s[28:29], s[0:1], s[28:29]
	s_andn2_b64 s[0:1], s[38:39], exec
	s_and_b64 s[4:5], s[36:37], exec
	s_or_b64 s[38:39], s[0:1], s[4:5]
	s_andn2_b64 s[0:1], s[30:31], exec
	s_and_b64 s[4:5], s[2:3], exec
	s_or_b64 s[30:31], s[0:1], s[4:5]
	s_andn2_b64 exec, exec, s[28:29]
	s_cbranch_execz .LBB1493_281
.LBB1493_279:                           ; =>This Inner Loop Header: Depth=1
	flat_load_dword v12, v[16:17]
	flat_load_dword v84, v[14:15]
	s_andn2_b64 s[40:41], s[2:3], exec
	s_andn2_b64 s[36:37], s[36:37], exec
	s_or_b64 s[34:35], s[34:35], exec
	s_waitcnt vmcnt(0) lgkmcnt(0)
	v_cmp_le_u32_e64 s[2:3], v12, v84
	v_cmp_lt_u32_e64 s[0:1], v12, v84
	s_and_b64 s[2:3], s[2:3], s[38:39]
	s_or_b64 s[42:43], s[0:1], s[2:3]
	s_and_b64 s[0:1], s[42:43], exec
	v_cmp_eq_u32_e64 s[4:5], v12, v84
	s_or_b64 s[2:3], s[40:41], s[0:1]
	s_and_saveexec_b64 s[40:41], s[4:5]
	s_cbranch_execz .LBB1493_278
; %bb.280:                              ;   in Loop: Header=BB1493_279 Depth=1
	v_lshl_add_u64 v[18:19], v[18:19], 0, -1
	v_cmp_eq_u64_e64 s[0:1], 0, v[18:19]
	s_andn2_b64 s[4:5], s[36:37], exec
	s_and_b64 s[36:37], s[42:43], exec
	s_or_b64 s[36:37], s[4:5], s[36:37]
	s_andn2_b64 s[4:5], s[34:35], exec
	s_and_b64 s[0:1], s[0:1], exec
	v_lshl_add_u64 v[14:15], v[14:15], 0, 4
	v_lshl_add_u64 v[16:17], v[16:17], 0, 4
	s_andn2_b64 s[2:3], s[2:3], exec
	s_or_b64 s[34:35], s[4:5], s[0:1]
                                        ; implicit-def: $sgpr38_sgpr39
	s_branch .LBB1493_278
.LBB1493_281:
	s_or_b64 exec, exec, s[28:29]
	s_xor_b64 s[0:1], s[30:31], -1
	s_orn2_b64 s[0:1], s[0:1], exec
.LBB1493_282:
	s_or_b64 exec, exec, s[26:27]
	s_and_b64 s[2:3], s[0:1], exec
.LBB1493_283:
	s_or_b64 exec, exec, s[22:23]
	s_orn2_b64 s[22:23], s[2:3], exec
.LBB1493_284:
	s_or_b64 exec, exec, s[24:25]
	v_cndmask_b32_e64 v12, v66, v67, s[22:23]
	v_cndmask_b32_e64 v14, v100, v99, s[22:23]
	v_add_u32_e32 v15, 1, v12
	v_add_u32_e32 v12, -1, v14
	v_min_u32_e32 v12, v15, v12
	v_lshl_add_u64 v[12:13], v[12:13], 3, v[54:55]
	flat_load_dwordx2 v[12:13], v[12:13]
	v_cndmask_b32_e64 v18, v15, v66, s[22:23]
	v_cndmask_b32_e64 v19, v67, v15, s[22:23]
	v_cmp_lt_u32_e64 s[0:1], v18, v100
	s_waitcnt vmcnt(0) lgkmcnt(0)
	v_cndmask_b32_e64 v84, v13, v80, s[22:23]
	v_cndmask_b32_e64 v85, v12, v81, s[22:23]
	;; [unrolled: 1-line block ×4, first 2 shown]
	s_and_saveexec_b64 s[24:25], s[0:1]
	s_cbranch_execz .LBB1493_294
; %bb.285:
	v_cmp_lt_u32_e64 s[0:1], v19, v99
	s_mov_b64 s[2:3], 0
	s_and_saveexec_b64 s[20:21], s[0:1]
	s_cbranch_execz .LBB1493_293
; %bb.286:
	s_mov_b64 s[0:1], -1
	s_and_saveexec_b64 s[26:27], vcc
	s_cbranch_execz .LBB1493_292
; %bb.287:
	v_mul_lo_u32 v14, v86, v6
	v_mul_lo_u32 v15, v87, v7
	v_mad_u64_u32 v[12:13], s[0:1], v87, v6, 0
	v_add3_u32 v13, v13, v15, v14
	v_mul_lo_u32 v16, v84, v6
	v_mul_lo_u32 v17, v85, v7
	v_mad_u64_u32 v[14:15], s[0:1], v85, v6, 0
	v_add3_u32 v15, v15, v17, v16
	v_lshl_add_u64 v[12:13], v[12:13], 2, v[8:9]
	v_lshl_add_u64 v[14:15], v[14:15], 2, v[8:9]
	s_mov_b64 s[28:29], 0
	v_mov_b64_e32 v[16:17], v[6:7]
                                        ; implicit-def: $sgpr30_sgpr31
                                        ; implicit-def: $sgpr34_sgpr35
                                        ; implicit-def: $sgpr2_sgpr3
                                        ; implicit-def: $sgpr36_sgpr37
                                        ; implicit-def: $sgpr38_sgpr39
	s_branch .LBB1493_289
.LBB1493_288:                           ;   in Loop: Header=BB1493_289 Depth=1
	s_or_b64 exec, exec, s[40:41]
	s_and_b64 s[0:1], exec, s[34:35]
	s_or_b64 s[28:29], s[0:1], s[28:29]
	s_andn2_b64 s[0:1], s[38:39], exec
	s_and_b64 s[4:5], s[36:37], exec
	s_or_b64 s[38:39], s[0:1], s[4:5]
	s_andn2_b64 s[0:1], s[30:31], exec
	s_and_b64 s[4:5], s[2:3], exec
	s_or_b64 s[30:31], s[0:1], s[4:5]
	s_andn2_b64 exec, exec, s[28:29]
	s_cbranch_execz .LBB1493_291
.LBB1493_289:                           ; =>This Inner Loop Header: Depth=1
	flat_load_dword v66, v[14:15]
	flat_load_dword v67, v[12:13]
	s_andn2_b64 s[40:41], s[2:3], exec
	s_andn2_b64 s[36:37], s[36:37], exec
	s_or_b64 s[34:35], s[34:35], exec
	s_waitcnt vmcnt(0) lgkmcnt(0)
	v_cmp_le_u32_e64 s[2:3], v66, v67
	v_cmp_lt_u32_e64 s[0:1], v66, v67
	s_and_b64 s[2:3], s[2:3], s[38:39]
	s_or_b64 s[42:43], s[0:1], s[2:3]
	s_and_b64 s[0:1], s[42:43], exec
	v_cmp_eq_u32_e64 s[4:5], v66, v67
	s_or_b64 s[2:3], s[40:41], s[0:1]
	s_and_saveexec_b64 s[40:41], s[4:5]
	s_cbranch_execz .LBB1493_288
; %bb.290:                              ;   in Loop: Header=BB1493_289 Depth=1
	v_lshl_add_u64 v[16:17], v[16:17], 0, -1
	v_cmp_eq_u64_e64 s[0:1], 0, v[16:17]
	s_andn2_b64 s[4:5], s[36:37], exec
	s_and_b64 s[36:37], s[42:43], exec
	s_or_b64 s[36:37], s[4:5], s[36:37]
	s_andn2_b64 s[4:5], s[34:35], exec
	s_and_b64 s[0:1], s[0:1], exec
	v_lshl_add_u64 v[12:13], v[12:13], 0, 4
	v_lshl_add_u64 v[14:15], v[14:15], 0, 4
	s_andn2_b64 s[2:3], s[2:3], exec
	s_or_b64 s[34:35], s[4:5], s[0:1]
                                        ; implicit-def: $sgpr38_sgpr39
	s_branch .LBB1493_288
.LBB1493_291:
	s_or_b64 exec, exec, s[28:29]
	s_xor_b64 s[0:1], s[30:31], -1
	s_orn2_b64 s[0:1], s[0:1], exec
.LBB1493_292:
	s_or_b64 exec, exec, s[26:27]
	s_and_b64 s[2:3], s[0:1], exec
.LBB1493_293:
	s_or_b64 exec, exec, s[20:21]
	s_orn2_b64 s[20:21], s[2:3], exec
.LBB1493_294:
	s_or_b64 exec, exec, s[24:25]
	v_cndmask_b32_e64 v12, v18, v19, s[20:21]
	v_cndmask_b32_e64 v13, v100, v99, s[20:21]
	v_add_u32_e32 v16, 1, v12
	v_add_u32_e32 v12, -1, v13
	v_min_u32_e32 v12, v16, v12
	v_mov_b32_e32 v13, 0
	v_lshl_add_u64 v[14:15], v[12:13], 3, v[54:55]
	flat_load_dwordx2 v[14:15], v[14:15]
	v_cndmask_b32_e64 v66, v16, v18, s[20:21]
	s_mov_b64 s[24:25], -1
	v_cndmask_b32_e64 v67, v19, v16, s[20:21]
	v_cmp_lt_u32_e64 s[0:1], v66, v100
	s_mov_b64 s[26:27], -1
	s_waitcnt vmcnt(0) lgkmcnt(0)
	v_cndmask_b32_e64 v96, v15, v84, s[20:21]
	v_cndmask_b32_e64 v97, v14, v85, s[20:21]
	;; [unrolled: 1-line block ×4, first 2 shown]
	s_and_saveexec_b64 s[28:29], s[0:1]
	s_cbranch_execz .LBB1493_304
; %bb.295:
	v_cmp_lt_u32_e64 s[0:1], v67, v99
	s_mov_b64 s[2:3], 0
	s_and_saveexec_b64 s[26:27], s[0:1]
	s_cbranch_execz .LBB1493_303
; %bb.296:
	s_mov_b64 s[0:1], -1
	s_and_saveexec_b64 s[30:31], vcc
	s_cbranch_execz .LBB1493_302
; %bb.297:
	v_mul_lo_u32 v12, v101, v6
	v_mul_lo_u32 v16, v102, v7
	v_mad_u64_u32 v[14:15], s[0:1], v102, v6, 0
	v_add3_u32 v15, v15, v16, v12
	v_mul_lo_u32 v12, v96, v6
	v_mul_lo_u32 v18, v97, v7
	v_mad_u64_u32 v[16:17], s[0:1], v97, v6, 0
	v_add3_u32 v17, v17, v18, v12
	v_lshl_add_u64 v[14:15], v[14:15], 2, v[8:9]
	v_lshl_add_u64 v[16:17], v[16:17], 2, v[8:9]
	s_mov_b64 s[34:35], 0
	v_mov_b64_e32 v[18:19], v[6:7]
                                        ; implicit-def: $sgpr36_sgpr37
                                        ; implicit-def: $sgpr38_sgpr39
                                        ; implicit-def: $sgpr2_sgpr3
                                        ; implicit-def: $sgpr40_sgpr41
                                        ; implicit-def: $sgpr42_sgpr43
	s_branch .LBB1493_299
.LBB1493_298:                           ;   in Loop: Header=BB1493_299 Depth=1
	s_or_b64 exec, exec, s[44:45]
	s_and_b64 s[0:1], exec, s[38:39]
	s_or_b64 s[34:35], s[0:1], s[34:35]
	s_andn2_b64 s[0:1], s[42:43], exec
	s_and_b64 s[4:5], s[40:41], exec
	s_or_b64 s[42:43], s[0:1], s[4:5]
	s_andn2_b64 s[0:1], s[36:37], exec
	s_and_b64 s[4:5], s[2:3], exec
	s_or_b64 s[36:37], s[0:1], s[4:5]
	s_andn2_b64 exec, exec, s[34:35]
	s_cbranch_execz .LBB1493_301
.LBB1493_299:                           ; =>This Inner Loop Header: Depth=1
	flat_load_dword v12, v[16:17]
	flat_load_dword v103, v[14:15]
	s_andn2_b64 s[44:45], s[2:3], exec
	s_andn2_b64 s[40:41], s[40:41], exec
	s_or_b64 s[38:39], s[38:39], exec
	s_waitcnt vmcnt(0) lgkmcnt(0)
	v_cmp_le_u32_e64 s[2:3], v12, v103
	v_cmp_lt_u32_e64 s[0:1], v12, v103
	s_and_b64 s[2:3], s[2:3], s[42:43]
	s_or_b64 s[46:47], s[0:1], s[2:3]
	s_and_b64 s[0:1], s[46:47], exec
	v_cmp_eq_u32_e64 s[4:5], v12, v103
	s_or_b64 s[2:3], s[44:45], s[0:1]
	s_and_saveexec_b64 s[44:45], s[4:5]
	s_cbranch_execz .LBB1493_298
; %bb.300:                              ;   in Loop: Header=BB1493_299 Depth=1
	v_lshl_add_u64 v[18:19], v[18:19], 0, -1
	v_cmp_eq_u64_e64 s[0:1], 0, v[18:19]
	s_andn2_b64 s[4:5], s[40:41], exec
	s_and_b64 s[40:41], s[46:47], exec
	s_or_b64 s[40:41], s[4:5], s[40:41]
	s_andn2_b64 s[4:5], s[38:39], exec
	s_and_b64 s[0:1], s[0:1], exec
	v_lshl_add_u64 v[14:15], v[14:15], 0, 4
	v_lshl_add_u64 v[16:17], v[16:17], 0, 4
	s_andn2_b64 s[2:3], s[2:3], exec
	s_or_b64 s[38:39], s[4:5], s[0:1]
                                        ; implicit-def: $sgpr42_sgpr43
	s_branch .LBB1493_298
.LBB1493_301:
	s_or_b64 exec, exec, s[34:35]
	s_xor_b64 s[0:1], s[36:37], -1
	s_orn2_b64 s[0:1], s[0:1], exec
.LBB1493_302:
	s_or_b64 exec, exec, s[30:31]
	s_and_b64 s[2:3], s[0:1], exec
.LBB1493_303:
	s_or_b64 exec, exec, s[26:27]
	s_orn2_b64 s[26:27], s[2:3], exec
.LBB1493_304:
	s_or_b64 exec, exec, s[28:29]
	v_cndmask_b32_e64 v12, v66, v67, s[26:27]
	v_cndmask_b32_e64 v14, v100, v99, s[26:27]
	v_add_u32_e32 v15, 1, v12
	v_add_u32_e32 v12, -1, v14
	v_min_u32_e32 v12, v15, v12
	v_lshl_add_u64 v[12:13], v[12:13], 3, v[54:55]
	flat_load_dwordx2 v[12:13], v[12:13]
	v_cndmask_b32_e64 v114, v15, v66, s[26:27]
	v_cndmask_b32_e64 v103, v67, v15, s[26:27]
	v_cmp_lt_u32_e64 s[0:1], v114, v100
	s_waitcnt vmcnt(0) lgkmcnt(0)
	v_cndmask_b32_e64 v112, v13, v96, s[26:27]
	v_cndmask_b32_e64 v113, v12, v97, s[26:27]
	;; [unrolled: 1-line block ×4, first 2 shown]
	s_and_saveexec_b64 s[28:29], s[0:1]
	s_cbranch_execz .LBB1493_314
; %bb.305:
	v_cmp_lt_u32_e64 s[0:1], v103, v99
	s_mov_b64 s[2:3], 0
	s_and_saveexec_b64 s[24:25], s[0:1]
	s_cbranch_execz .LBB1493_313
; %bb.306:
	s_mov_b64 s[0:1], -1
	s_and_saveexec_b64 s[30:31], vcc
	s_cbranch_execz .LBB1493_312
; %bb.307:
	v_mul_lo_u32 v14, v115, v6
	v_mul_lo_u32 v15, v116, v7
	v_mad_u64_u32 v[12:13], s[0:1], v116, v6, 0
	v_add3_u32 v13, v13, v15, v14
	v_mul_lo_u32 v16, v112, v6
	v_mul_lo_u32 v17, v113, v7
	v_mad_u64_u32 v[14:15], s[0:1], v113, v6, 0
	v_add3_u32 v15, v15, v17, v16
	v_lshl_add_u64 v[12:13], v[12:13], 2, v[8:9]
	v_lshl_add_u64 v[14:15], v[14:15], 2, v[8:9]
	s_mov_b64 s[34:35], 0
	v_mov_b64_e32 v[16:17], v[6:7]
                                        ; implicit-def: $sgpr36_sgpr37
                                        ; implicit-def: $sgpr38_sgpr39
                                        ; implicit-def: $sgpr2_sgpr3
                                        ; implicit-def: $sgpr40_sgpr41
                                        ; implicit-def: $sgpr42_sgpr43
	s_branch .LBB1493_309
.LBB1493_308:                           ;   in Loop: Header=BB1493_309 Depth=1
	s_or_b64 exec, exec, s[44:45]
	s_and_b64 s[0:1], exec, s[38:39]
	s_or_b64 s[34:35], s[0:1], s[34:35]
	s_andn2_b64 s[0:1], s[42:43], exec
	s_and_b64 s[4:5], s[40:41], exec
	s_or_b64 s[42:43], s[0:1], s[4:5]
	s_andn2_b64 s[0:1], s[36:37], exec
	s_and_b64 s[4:5], s[2:3], exec
	s_or_b64 s[36:37], s[0:1], s[4:5]
	s_andn2_b64 exec, exec, s[34:35]
	s_cbranch_execz .LBB1493_311
.LBB1493_309:                           ; =>This Inner Loop Header: Depth=1
	flat_load_dword v18, v[14:15]
	flat_load_dword v19, v[12:13]
	s_andn2_b64 s[44:45], s[2:3], exec
	s_andn2_b64 s[40:41], s[40:41], exec
	s_or_b64 s[38:39], s[38:39], exec
	s_waitcnt vmcnt(0) lgkmcnt(0)
	v_cmp_le_u32_e64 s[2:3], v18, v19
	v_cmp_lt_u32_e64 s[0:1], v18, v19
	s_and_b64 s[2:3], s[2:3], s[42:43]
	s_or_b64 s[46:47], s[0:1], s[2:3]
	s_and_b64 s[0:1], s[46:47], exec
	v_cmp_eq_u32_e64 s[4:5], v18, v19
	s_or_b64 s[2:3], s[44:45], s[0:1]
	s_and_saveexec_b64 s[44:45], s[4:5]
	s_cbranch_execz .LBB1493_308
; %bb.310:                              ;   in Loop: Header=BB1493_309 Depth=1
	v_lshl_add_u64 v[16:17], v[16:17], 0, -1
	v_cmp_eq_u64_e64 s[0:1], 0, v[16:17]
	s_andn2_b64 s[4:5], s[40:41], exec
	s_and_b64 s[40:41], s[46:47], exec
	s_or_b64 s[40:41], s[4:5], s[40:41]
	s_andn2_b64 s[4:5], s[38:39], exec
	s_and_b64 s[0:1], s[0:1], exec
	v_lshl_add_u64 v[12:13], v[12:13], 0, 4
	v_lshl_add_u64 v[14:15], v[14:15], 0, 4
	s_andn2_b64 s[2:3], s[2:3], exec
	s_or_b64 s[38:39], s[4:5], s[0:1]
                                        ; implicit-def: $sgpr42_sgpr43
	s_branch .LBB1493_308
.LBB1493_311:
	s_or_b64 exec, exec, s[34:35]
	s_xor_b64 s[0:1], s[36:37], -1
	s_orn2_b64 s[0:1], s[0:1], exec
.LBB1493_312:
	s_or_b64 exec, exec, s[30:31]
	s_and_b64 s[2:3], s[0:1], exec
.LBB1493_313:
	s_or_b64 exec, exec, s[24:25]
	s_orn2_b64 s[24:25], s[2:3], exec
.LBB1493_314:
	s_or_b64 exec, exec, s[28:29]
	v_cndmask_b32_e64 v12, v114, v103, s[24:25]
	v_cndmask_b32_e64 v13, v100, v99, s[24:25]
	v_add_u32_e32 v117, 1, v12
	v_add_u32_e32 v12, -1, v13
	v_min_u32_e32 v12, v117, v12
	v_mov_b32_e32 v13, 0
	v_lshl_add_u64 v[12:13], v[12:13], 3, v[54:55]
	flat_load_dwordx2 v[66:67], v[12:13]
	v_cndmask_b32_e64 v17, v23, v70, s[16:17]
	v_cndmask_b32_e64 v23, v20, v22, s[18:19]
	;; [unrolled: 1-line block ×15, first 2 shown]
	v_cmp_lt_u32_e64 s[0:1], v68, v100
	s_waitcnt vmcnt(0) lgkmcnt(0)
	v_cndmask_b32_e64 v3, v115, v67, s[24:25]
	v_cndmask_b32_e64 v2, v116, v66, s[24:25]
	s_and_saveexec_b64 s[14:15], s[0:1]
	s_cbranch_execz .LBB1493_324
; %bb.315:
	v_cndmask_b32_e64 v68, v103, v117, s[24:25]
	v_cndmask_b32_e64 v67, v67, v112, s[24:25]
	;; [unrolled: 1-line block ×3, first 2 shown]
	v_cmp_lt_u32_e64 s[0:1], v68, v99
	s_and_saveexec_b64 s[16:17], s[0:1]
	s_cbranch_execz .LBB1493_323
; %bb.316:
	s_and_saveexec_b64 s[18:19], vcc
	s_cbranch_execz .LBB1493_322
; %bb.317:
	v_mul_lo_u32 v70, v3, v6
	v_mul_lo_u32 v71, v2, v7
	v_mad_u64_u32 v[68:69], s[0:1], v2, v6, 0
	v_add3_u32 v69, v69, v71, v70
	v_mul_lo_u32 v80, v67, v6
	v_mul_lo_u32 v81, v66, v7
	v_mad_u64_u32 v[70:71], s[0:1], v66, v6, 0
	v_add3_u32 v71, v71, v81, v80
	v_lshl_add_u64 v[68:69], v[68:69], 2, v[8:9]
	v_lshl_add_u64 v[70:71], v[70:71], 2, v[8:9]
	s_mov_b64 s[20:21], 0
	v_mov_b64_e32 v[80:81], v[6:7]
                                        ; implicit-def: $sgpr22_sgpr23
                                        ; implicit-def: $sgpr24_sgpr25
                                        ; implicit-def: $sgpr2_sgpr3
                                        ; implicit-def: $sgpr26_sgpr27
                                        ; implicit-def: $sgpr28_sgpr29
	s_branch .LBB1493_319
.LBB1493_318:                           ;   in Loop: Header=BB1493_319 Depth=1
	s_or_b64 exec, exec, s[30:31]
	s_and_b64 s[0:1], exec, s[24:25]
	s_or_b64 s[20:21], s[0:1], s[20:21]
	s_andn2_b64 s[0:1], s[28:29], exec
	s_and_b64 s[4:5], s[26:27], exec
	s_or_b64 s[28:29], s[0:1], s[4:5]
	s_andn2_b64 s[0:1], s[22:23], exec
	s_and_b64 s[4:5], s[2:3], exec
	s_or_b64 s[22:23], s[0:1], s[4:5]
	s_andn2_b64 exec, exec, s[20:21]
	s_cbranch_execz .LBB1493_321
.LBB1493_319:                           ; =>This Inner Loop Header: Depth=1
	flat_load_dword v82, v[70:71]
	flat_load_dword v83, v[68:69]
	s_andn2_b64 s[30:31], s[2:3], exec
	s_andn2_b64 s[26:27], s[26:27], exec
	s_or_b64 s[24:25], s[24:25], exec
	s_waitcnt vmcnt(0) lgkmcnt(0)
	v_cmp_le_u32_e64 s[2:3], v82, v83
	v_cmp_lt_u32_e64 s[0:1], v82, v83
	s_and_b64 s[2:3], s[2:3], s[28:29]
	s_or_b64 s[34:35], s[0:1], s[2:3]
	s_and_b64 s[0:1], s[34:35], exec
	v_cmp_eq_u32_e64 s[4:5], v82, v83
	s_or_b64 s[2:3], s[30:31], s[0:1]
	s_and_saveexec_b64 s[30:31], s[4:5]
	s_cbranch_execz .LBB1493_318
; %bb.320:                              ;   in Loop: Header=BB1493_319 Depth=1
	v_lshl_add_u64 v[80:81], v[80:81], 0, -1
	v_cmp_eq_u64_e64 s[0:1], 0, v[80:81]
	s_andn2_b64 s[4:5], s[26:27], exec
	s_and_b64 s[26:27], s[34:35], exec
	s_or_b64 s[26:27], s[4:5], s[26:27]
	s_andn2_b64 s[4:5], s[24:25], exec
	s_and_b64 s[0:1], s[0:1], exec
	v_lshl_add_u64 v[68:69], v[68:69], 0, 4
	v_lshl_add_u64 v[70:71], v[70:71], 0, 4
	s_andn2_b64 s[2:3], s[2:3], exec
	s_or_b64 s[24:25], s[4:5], s[0:1]
                                        ; implicit-def: $sgpr28_sgpr29
	s_branch .LBB1493_318
.LBB1493_321:
	s_or_b64 exec, exec, s[20:21]
	v_cndmask_b32_e64 v3, v3, v67, s[22:23]
	v_cndmask_b32_e64 v2, v2, v66, s[22:23]
.LBB1493_322:
	s_or_b64 exec, exec, s[18:19]
	v_mov_b64_e32 v[66:67], v[2:3]
.LBB1493_323:
	s_or_b64 exec, exec, s[16:17]
	v_mov_b64_e32 v[2:3], v[66:67]
.LBB1493_324:
	s_or_b64 exec, exec, s[14:15]
.LBB1493_325:
	s_or_b64 exec, exec, s[10:11]
	v_and_b32_e32 v101, 0x3e0, v98
	v_or_b32_e32 v66, 16, v101
	v_min_u32_e32 v99, v31, v66
	v_add_u32_e32 v66, 16, v99
	v_min_u32_e32 v100, v31, v66
	v_and_b32_e32 v66, 24, v98
	v_min_u32_e32 v102, v31, v66
	v_sub_u32_e32 v66, v99, v101
	v_sub_u32_e32 v67, v100, v99
	v_sub_u32_e64 v103, v102, v67 clamp
	v_min_u32_e32 v112, v102, v66
	v_cmp_lt_u32_e64 s[0:1], v103, v112
	; wave barrier
	flat_store_dwordx4 v[64:65], v[20:23]
	flat_store_dwordx4 v[64:65], v[16:19] offset:16
	flat_store_dwordx4 v[64:65], v[12:15] offset:32
	;; [unrolled: 1-line block ×3, first 2 shown]
	; wave barrier
	s_and_saveexec_b64 s[10:11], s[0:1]
	s_cbranch_execz .LBB1493_335
; %bb.326:
	v_lshlrev_b32_e32 v66, 3, v101
	v_mov_b32_e32 v67, 0
	v_lshl_add_u64 v[68:69], v[54:55], 0, v[66:67]
	v_lshlrev_b32_e32 v66, 3, v99
	v_lshl_add_u64 v[70:71], v[54:55], 0, v[66:67]
	v_lshlrev_b64 v[80:81], 2, v[6:7]
	s_mov_b64 s[14:15], 0
	s_branch .LBB1493_329
.LBB1493_327:                           ;   in Loop: Header=BB1493_329 Depth=1
	s_or_b64 exec, exec, s[18:19]
	s_and_b64 s[0:1], s[20:21], exec
.LBB1493_328:                           ;   in Loop: Header=BB1493_329 Depth=1
	s_or_b64 exec, exec, s[16:17]
	v_add_u32_e32 v66, 1, v82
	v_cndmask_b32_e64 v112, v112, v82, s[0:1]
	v_cndmask_b32_e64 v103, v66, v103, s[0:1]
	v_cmp_ge_u32_e64 s[0:1], v103, v112
	s_or_b64 s[14:15], s[0:1], s[14:15]
	s_andn2_b64 exec, exec, s[14:15]
	s_cbranch_execz .LBB1493_334
.LBB1493_329:                           ; =>This Loop Header: Depth=1
                                        ;     Child Loop BB1493_332 Depth 2
	v_add_u32_e32 v66, v112, v103
	v_lshrrev_b32_e32 v82, 1, v66
	s_mov_b64 s[0:1], 0
	s_and_saveexec_b64 s[16:17], vcc
	s_cbranch_execz .LBB1493_328
; %bb.330:                              ;   in Loop: Header=BB1493_329 Depth=1
	v_mov_b32_e32 v83, v67
	v_xad_u32 v66, v82, -1, v102
	v_lshl_add_u64 v[84:85], v[82:83], 3, v[68:69]
	v_lshl_add_u64 v[86:87], v[66:67], 3, v[70:71]
	flat_load_dwordx2 v[84:85], v[84:85]
	s_mov_b64 s[18:19], 0
	flat_load_dwordx2 v[86:87], v[86:87]
                                        ; implicit-def: $sgpr20_sgpr21
                                        ; implicit-def: $sgpr22_sgpr23
                                        ; implicit-def: $sgpr24_sgpr25
                                        ; implicit-def: $sgpr2_sgpr3
                                        ; implicit-def: $sgpr26_sgpr27
	s_waitcnt vmcnt(0) lgkmcnt(0)
	v_mul_lo_u32 v66, v80, v85
	v_mul_lo_u32 v83, v81, v84
	v_mad_u64_u32 v[84:85], s[0:1], v80, v84, v[8:9]
	v_mul_lo_u32 v96, v80, v87
	v_mul_lo_u32 v97, v81, v86
	v_mad_u64_u32 v[86:87], s[0:1], v80, v86, v[8:9]
	v_add3_u32 v85, v83, v85, v66
	v_add3_u32 v87, v97, v87, v96
	v_mov_b64_e32 v[96:97], v[6:7]
	s_branch .LBB1493_332
.LBB1493_331:                           ;   in Loop: Header=BB1493_332 Depth=2
	s_or_b64 exec, exec, s[28:29]
	s_and_b64 s[0:1], exec, s[22:23]
	s_or_b64 s[18:19], s[0:1], s[18:19]
	s_andn2_b64 s[0:1], s[26:27], exec
	s_and_b64 s[4:5], s[24:25], exec
	s_or_b64 s[26:27], s[0:1], s[4:5]
	s_andn2_b64 s[0:1], s[20:21], exec
	s_and_b64 s[4:5], s[2:3], exec
	s_or_b64 s[20:21], s[0:1], s[4:5]
	s_andn2_b64 exec, exec, s[18:19]
	s_cbranch_execz .LBB1493_327
.LBB1493_332:                           ;   Parent Loop BB1493_329 Depth=1
                                        ; =>  This Inner Loop Header: Depth=2
	flat_load_dword v66, v[86:87]
	flat_load_dword v83, v[84:85]
	s_andn2_b64 s[28:29], s[2:3], exec
	s_andn2_b64 s[24:25], s[24:25], exec
	s_or_b64 s[22:23], s[22:23], exec
	s_waitcnt vmcnt(0) lgkmcnt(0)
	v_cmp_le_u32_e64 s[2:3], v66, v83
	v_cmp_lt_u32_e64 s[0:1], v66, v83
	s_and_b64 s[2:3], s[2:3], s[26:27]
	s_or_b64 s[30:31], s[0:1], s[2:3]
	s_and_b64 s[0:1], s[30:31], exec
	v_cmp_eq_u32_e64 s[4:5], v66, v83
	s_or_b64 s[2:3], s[28:29], s[0:1]
	s_and_saveexec_b64 s[28:29], s[4:5]
	s_cbranch_execz .LBB1493_331
; %bb.333:                              ;   in Loop: Header=BB1493_332 Depth=2
	v_lshl_add_u64 v[96:97], v[96:97], 0, -1
	v_cmp_eq_u64_e64 s[0:1], 0, v[96:97]
	s_andn2_b64 s[4:5], s[24:25], exec
	s_and_b64 s[24:25], s[30:31], exec
	s_or_b64 s[24:25], s[4:5], s[24:25]
	s_andn2_b64 s[4:5], s[22:23], exec
	s_and_b64 s[0:1], s[0:1], exec
	v_lshl_add_u64 v[84:85], v[84:85], 0, 4
	v_lshl_add_u64 v[86:87], v[86:87], 0, 4
	s_andn2_b64 s[2:3], s[2:3], exec
	s_or_b64 s[22:23], s[4:5], s[0:1]
                                        ; implicit-def: $sgpr26_sgpr27
	s_branch .LBB1493_331
.LBB1493_334:
	s_or_b64 exec, exec, s[14:15]
.LBB1493_335:
	s_or_b64 exec, exec, s[10:11]
	v_add_u32_e32 v67, v99, v102
	v_add_u32_e32 v66, v103, v101
	v_sub_u32_e32 v68, v67, v103
	v_cmp_le_u32_e64 s[0:1], v66, v99
	v_cmp_le_u32_e64 s[2:3], v68, v100
	s_or_b64 s[0:1], s[0:1], s[2:3]
	s_and_saveexec_b64 s[10:11], s[0:1]
	s_cbranch_execz .LBB1493_419
; %bb.336:
	v_cmp_ge_u32_e64 s[0:1], v66, v99
	v_cmp_lt_u32_e64 s[2:3], v66, v99
                                        ; implicit-def: $vgpr0_vgpr1
	s_and_saveexec_b64 s[4:5], s[2:3]
	s_cbranch_execz .LBB1493_338
; %bb.337:
	v_mov_b32_e32 v67, 0
	v_lshl_add_u64 v[0:1], v[66:67], 3, v[54:55]
	flat_load_dwordx2 v[0:1], v[0:1]
.LBB1493_338:
	s_or_b64 exec, exec, s[4:5]
	v_cmp_ge_u32_e64 s[14:15], v68, v100
	v_cmp_lt_u32_e64 s[2:3], v68, v100
                                        ; implicit-def: $vgpr2_vgpr3
	s_and_saveexec_b64 s[4:5], s[2:3]
	s_cbranch_execz .LBB1493_340
; %bb.339:
	v_mov_b32_e32 v69, 0
	v_lshl_add_u64 v[2:3], v[68:69], 3, v[54:55]
	flat_load_dwordx2 v[2:3], v[2:3]
.LBB1493_340:
	s_or_b64 exec, exec, s[4:5]
	s_or_b64 s[0:1], s[0:1], s[14:15]
	s_xor_b64 s[0:1], s[0:1], -1
	s_and_saveexec_b64 s[16:17], s[0:1]
	s_cbranch_execz .LBB1493_348
; %bb.341:
	s_mov_b64 s[0:1], 0
	s_and_saveexec_b64 s[18:19], vcc
	s_cbranch_execz .LBB1493_347
; %bb.342:
	s_waitcnt vmcnt(0) lgkmcnt(0)
	v_mul_lo_u32 v14, v1, v6
	v_mul_lo_u32 v15, v0, v7
	v_mad_u64_u32 v[12:13], s[0:1], v0, v6, 0
	v_add3_u32 v13, v13, v15, v14
	v_mul_lo_u32 v16, v3, v6
	v_mul_lo_u32 v17, v2, v7
	v_mad_u64_u32 v[14:15], s[0:1], v2, v6, 0
	v_add3_u32 v15, v15, v17, v16
	v_lshl_add_u64 v[12:13], v[12:13], 2, v[8:9]
	v_lshl_add_u64 v[14:15], v[14:15], 2, v[8:9]
	s_mov_b64 s[20:21], 0
	v_mov_b64_e32 v[16:17], v[6:7]
                                        ; implicit-def: $sgpr22_sgpr23
                                        ; implicit-def: $sgpr24_sgpr25
                                        ; implicit-def: $sgpr26_sgpr27
                                        ; implicit-def: $sgpr2_sgpr3
                                        ; implicit-def: $sgpr28_sgpr29
	s_branch .LBB1493_344
.LBB1493_343:                           ;   in Loop: Header=BB1493_344 Depth=1
	s_or_b64 exec, exec, s[30:31]
	s_and_b64 s[0:1], exec, s[24:25]
	s_or_b64 s[20:21], s[0:1], s[20:21]
	s_andn2_b64 s[0:1], s[28:29], exec
	s_and_b64 s[4:5], s[26:27], exec
	s_or_b64 s[28:29], s[0:1], s[4:5]
	s_andn2_b64 s[0:1], s[22:23], exec
	s_and_b64 s[4:5], s[2:3], exec
	s_or_b64 s[22:23], s[0:1], s[4:5]
	s_andn2_b64 exec, exec, s[20:21]
	s_cbranch_execz .LBB1493_346
.LBB1493_344:                           ; =>This Inner Loop Header: Depth=1
	flat_load_dword v18, v[14:15]
	flat_load_dword v19, v[12:13]
	s_andn2_b64 s[30:31], s[2:3], exec
	s_andn2_b64 s[26:27], s[26:27], exec
	s_or_b64 s[24:25], s[24:25], exec
	s_waitcnt vmcnt(0) lgkmcnt(0)
	v_cmp_le_u32_e64 s[2:3], v18, v19
	v_cmp_lt_u32_e64 s[0:1], v18, v19
	s_and_b64 s[2:3], s[2:3], s[28:29]
	s_or_b64 s[34:35], s[0:1], s[2:3]
	s_and_b64 s[0:1], s[34:35], exec
	v_cmp_eq_u32_e64 s[4:5], v18, v19
	s_or_b64 s[2:3], s[30:31], s[0:1]
	s_and_saveexec_b64 s[30:31], s[4:5]
	s_cbranch_execz .LBB1493_343
; %bb.345:                              ;   in Loop: Header=BB1493_344 Depth=1
	v_lshl_add_u64 v[16:17], v[16:17], 0, -1
	v_cmp_eq_u64_e64 s[0:1], 0, v[16:17]
	s_andn2_b64 s[4:5], s[26:27], exec
	s_and_b64 s[26:27], s[34:35], exec
	s_or_b64 s[26:27], s[4:5], s[26:27]
	s_andn2_b64 s[4:5], s[24:25], exec
	s_and_b64 s[0:1], s[0:1], exec
	v_lshl_add_u64 v[12:13], v[12:13], 0, 4
	v_lshl_add_u64 v[14:15], v[14:15], 0, 4
	s_andn2_b64 s[2:3], s[2:3], exec
	s_or_b64 s[24:25], s[4:5], s[0:1]
                                        ; implicit-def: $sgpr28_sgpr29
	s_branch .LBB1493_343
.LBB1493_346:
	s_or_b64 exec, exec, s[20:21]
	s_and_b64 s[0:1], s[22:23], exec
.LBB1493_347:
	s_or_b64 exec, exec, s[18:19]
	s_xor_b64 s[0:1], s[0:1], -1
	s_andn2_b64 s[2:3], s[14:15], exec
	s_and_b64 s[0:1], s[0:1], exec
	s_or_b64 s[14:15], s[2:3], s[0:1]
.LBB1493_348:
	s_or_b64 exec, exec, s[16:17]
	v_cndmask_b32_e64 v12, v68, v66, s[14:15]
	v_cndmask_b32_e64 v13, v100, v99, s[14:15]
	v_add_u32_e32 v16, 1, v12
	v_add_u32_e32 v12, -1, v13
	v_min_u32_e32 v12, v16, v12
	v_mov_b32_e32 v13, 0
	v_lshl_add_u64 v[14:15], v[12:13], 3, v[54:55]
	flat_load_dwordx2 v[14:15], v[14:15]
	v_cndmask_b32_e64 v23, v16, v68, s[14:15]
	s_mov_b64 s[16:17], -1
	v_cndmask_b32_e64 v66, v66, v16, s[14:15]
	v_cmp_lt_u32_e64 s[0:1], v23, v100
	s_mov_b64 s[18:19], -1
	s_waitcnt vmcnt(0) lgkmcnt(0)
	v_cndmask_b32_e64 v20, v15, v3, s[14:15]
	v_cndmask_b32_e64 v21, v14, v2, s[14:15]
	;; [unrolled: 1-line block ×4, first 2 shown]
	s_and_saveexec_b64 s[20:21], s[0:1]
	s_cbranch_execz .LBB1493_358
; %bb.349:
	v_cmp_lt_u32_e64 s[0:1], v66, v99
	s_mov_b64 s[2:3], 0
	s_and_saveexec_b64 s[18:19], s[0:1]
	s_cbranch_execz .LBB1493_357
; %bb.350:
	s_mov_b64 s[0:1], 0
	s_and_saveexec_b64 s[22:23], vcc
	s_cbranch_execz .LBB1493_356
; %bb.351:
	v_mul_lo_u32 v12, v22, v6
	v_mul_lo_u32 v16, v68, v7
	v_mad_u64_u32 v[14:15], s[0:1], v68, v6, 0
	v_add3_u32 v15, v15, v16, v12
	v_mul_lo_u32 v12, v20, v6
	v_mul_lo_u32 v18, v21, v7
	v_mad_u64_u32 v[16:17], s[0:1], v21, v6, 0
	v_add3_u32 v17, v17, v18, v12
	v_lshl_add_u64 v[14:15], v[14:15], 2, v[8:9]
	v_lshl_add_u64 v[16:17], v[16:17], 2, v[8:9]
	s_mov_b64 s[24:25], 0
	v_mov_b64_e32 v[18:19], v[6:7]
                                        ; implicit-def: $sgpr26_sgpr27
                                        ; implicit-def: $sgpr28_sgpr29
                                        ; implicit-def: $sgpr30_sgpr31
                                        ; implicit-def: $sgpr2_sgpr3
                                        ; implicit-def: $sgpr34_sgpr35
	s_branch .LBB1493_353
.LBB1493_352:                           ;   in Loop: Header=BB1493_353 Depth=1
	s_or_b64 exec, exec, s[36:37]
	s_and_b64 s[0:1], exec, s[28:29]
	s_or_b64 s[24:25], s[0:1], s[24:25]
	s_andn2_b64 s[0:1], s[34:35], exec
	s_and_b64 s[4:5], s[30:31], exec
	s_or_b64 s[34:35], s[0:1], s[4:5]
	s_andn2_b64 s[0:1], s[26:27], exec
	s_and_b64 s[4:5], s[2:3], exec
	s_or_b64 s[26:27], s[0:1], s[4:5]
	s_andn2_b64 exec, exec, s[24:25]
	s_cbranch_execz .LBB1493_355
.LBB1493_353:                           ; =>This Inner Loop Header: Depth=1
	flat_load_dword v12, v[16:17]
	flat_load_dword v67, v[14:15]
	s_andn2_b64 s[36:37], s[2:3], exec
	s_andn2_b64 s[30:31], s[30:31], exec
	s_or_b64 s[28:29], s[28:29], exec
	s_waitcnt vmcnt(0) lgkmcnt(0)
	v_cmp_le_u32_e64 s[2:3], v12, v67
	v_cmp_lt_u32_e64 s[0:1], v12, v67
	s_and_b64 s[2:3], s[2:3], s[34:35]
	s_or_b64 s[38:39], s[0:1], s[2:3]
	s_and_b64 s[0:1], s[38:39], exec
	v_cmp_eq_u32_e64 s[4:5], v12, v67
	s_or_b64 s[2:3], s[36:37], s[0:1]
	s_and_saveexec_b64 s[36:37], s[4:5]
	s_cbranch_execz .LBB1493_352
; %bb.354:                              ;   in Loop: Header=BB1493_353 Depth=1
	v_lshl_add_u64 v[18:19], v[18:19], 0, -1
	v_cmp_eq_u64_e64 s[0:1], 0, v[18:19]
	s_andn2_b64 s[4:5], s[30:31], exec
	s_and_b64 s[30:31], s[38:39], exec
	s_or_b64 s[30:31], s[4:5], s[30:31]
	s_andn2_b64 s[4:5], s[28:29], exec
	s_and_b64 s[0:1], s[0:1], exec
	v_lshl_add_u64 v[14:15], v[14:15], 0, 4
	v_lshl_add_u64 v[16:17], v[16:17], 0, 4
	s_andn2_b64 s[2:3], s[2:3], exec
	s_or_b64 s[28:29], s[4:5], s[0:1]
                                        ; implicit-def: $sgpr34_sgpr35
	s_branch .LBB1493_352
.LBB1493_355:
	s_or_b64 exec, exec, s[24:25]
	s_and_b64 s[0:1], s[26:27], exec
.LBB1493_356:
	s_or_b64 exec, exec, s[22:23]
	s_xor_b64 s[0:1], s[0:1], -1
	s_and_b64 s[2:3], s[0:1], exec
.LBB1493_357:
	s_or_b64 exec, exec, s[18:19]
	s_orn2_b64 s[18:19], s[2:3], exec
.LBB1493_358:
	s_or_b64 exec, exec, s[20:21]
	v_cndmask_b32_e64 v12, v23, v66, s[18:19]
	v_cndmask_b32_e64 v14, v100, v99, s[18:19]
	v_add_u32_e32 v15, 1, v12
	v_add_u32_e32 v12, -1, v14
	v_min_u32_e32 v12, v15, v12
	v_lshl_add_u64 v[12:13], v[12:13], 3, v[54:55]
	flat_load_dwordx2 v[12:13], v[12:13]
	v_cndmask_b32_e64 v18, v15, v23, s[18:19]
	v_cndmask_b32_e64 v19, v66, v15, s[18:19]
	v_cmp_lt_u32_e64 s[0:1], v18, v100
	s_waitcnt vmcnt(0) lgkmcnt(0)
	v_cndmask_b32_e64 v23, v13, v20, s[18:19]
	v_cndmask_b32_e64 v69, v12, v21, s[18:19]
	v_cndmask_b32_e64 v70, v22, v13, s[18:19]
	v_cndmask_b32_e64 v71, v68, v12, s[18:19]
	s_and_saveexec_b64 s[20:21], s[0:1]
	s_cbranch_execz .LBB1493_368
; %bb.359:
	v_cmp_lt_u32_e64 s[0:1], v19, v99
	s_mov_b64 s[2:3], 0
	s_and_saveexec_b64 s[16:17], s[0:1]
	s_cbranch_execz .LBB1493_367
; %bb.360:
	s_mov_b64 s[0:1], 0
	s_and_saveexec_b64 s[22:23], vcc
	s_cbranch_execz .LBB1493_366
; %bb.361:
	v_mul_lo_u32 v14, v70, v6
	v_mul_lo_u32 v15, v71, v7
	v_mad_u64_u32 v[12:13], s[0:1], v71, v6, 0
	v_add3_u32 v13, v13, v15, v14
	v_mul_lo_u32 v16, v23, v6
	v_mul_lo_u32 v17, v69, v7
	v_mad_u64_u32 v[14:15], s[0:1], v69, v6, 0
	v_add3_u32 v15, v15, v17, v16
	v_lshl_add_u64 v[12:13], v[12:13], 2, v[8:9]
	v_lshl_add_u64 v[14:15], v[14:15], 2, v[8:9]
	s_mov_b64 s[24:25], 0
	v_mov_b64_e32 v[16:17], v[6:7]
                                        ; implicit-def: $sgpr26_sgpr27
                                        ; implicit-def: $sgpr28_sgpr29
                                        ; implicit-def: $sgpr30_sgpr31
                                        ; implicit-def: $sgpr2_sgpr3
                                        ; implicit-def: $sgpr34_sgpr35
	s_branch .LBB1493_363
.LBB1493_362:                           ;   in Loop: Header=BB1493_363 Depth=1
	s_or_b64 exec, exec, s[36:37]
	s_and_b64 s[0:1], exec, s[28:29]
	s_or_b64 s[24:25], s[0:1], s[24:25]
	s_andn2_b64 s[0:1], s[34:35], exec
	s_and_b64 s[4:5], s[30:31], exec
	s_or_b64 s[34:35], s[0:1], s[4:5]
	s_andn2_b64 s[0:1], s[26:27], exec
	s_and_b64 s[4:5], s[2:3], exec
	s_or_b64 s[26:27], s[0:1], s[4:5]
	s_andn2_b64 exec, exec, s[24:25]
	s_cbranch_execz .LBB1493_365
.LBB1493_363:                           ; =>This Inner Loop Header: Depth=1
	flat_load_dword v66, v[14:15]
	flat_load_dword v67, v[12:13]
	s_andn2_b64 s[36:37], s[2:3], exec
	s_andn2_b64 s[30:31], s[30:31], exec
	s_or_b64 s[28:29], s[28:29], exec
	s_waitcnt vmcnt(0) lgkmcnt(0)
	v_cmp_le_u32_e64 s[2:3], v66, v67
	v_cmp_lt_u32_e64 s[0:1], v66, v67
	s_and_b64 s[2:3], s[2:3], s[34:35]
	s_or_b64 s[38:39], s[0:1], s[2:3]
	s_and_b64 s[0:1], s[38:39], exec
	v_cmp_eq_u32_e64 s[4:5], v66, v67
	s_or_b64 s[2:3], s[36:37], s[0:1]
	s_and_saveexec_b64 s[36:37], s[4:5]
	s_cbranch_execz .LBB1493_362
; %bb.364:                              ;   in Loop: Header=BB1493_363 Depth=1
	v_lshl_add_u64 v[16:17], v[16:17], 0, -1
	v_cmp_eq_u64_e64 s[0:1], 0, v[16:17]
	s_andn2_b64 s[4:5], s[30:31], exec
	s_and_b64 s[30:31], s[38:39], exec
	s_or_b64 s[30:31], s[4:5], s[30:31]
	s_andn2_b64 s[4:5], s[28:29], exec
	s_and_b64 s[0:1], s[0:1], exec
	v_lshl_add_u64 v[12:13], v[12:13], 0, 4
	v_lshl_add_u64 v[14:15], v[14:15], 0, 4
	s_andn2_b64 s[2:3], s[2:3], exec
	s_or_b64 s[28:29], s[4:5], s[0:1]
                                        ; implicit-def: $sgpr34_sgpr35
	s_branch .LBB1493_362
.LBB1493_365:
	s_or_b64 exec, exec, s[24:25]
	s_and_b64 s[0:1], s[26:27], exec
.LBB1493_366:
	s_or_b64 exec, exec, s[22:23]
	s_xor_b64 s[0:1], s[0:1], -1
	s_and_b64 s[2:3], s[0:1], exec
.LBB1493_367:
	s_or_b64 exec, exec, s[16:17]
	s_orn2_b64 s[16:17], s[2:3], exec
.LBB1493_368:
	s_or_b64 exec, exec, s[20:21]
	v_cndmask_b32_e64 v12, v18, v19, s[16:17]
	v_cndmask_b32_e64 v13, v100, v99, s[16:17]
	v_add_u32_e32 v16, 1, v12
	v_add_u32_e32 v12, -1, v13
	v_min_u32_e32 v12, v16, v12
	v_mov_b32_e32 v13, 0
	v_lshl_add_u64 v[14:15], v[12:13], 3, v[54:55]
	flat_load_dwordx2 v[14:15], v[14:15]
	v_cndmask_b32_e64 v66, v16, v18, s[16:17]
	s_mov_b64 s[20:21], -1
	v_cndmask_b32_e64 v67, v19, v16, s[16:17]
	v_cmp_lt_u32_e64 s[0:1], v66, v100
	s_mov_b64 s[22:23], -1
	s_waitcnt vmcnt(0) lgkmcnt(0)
	v_cndmask_b32_e64 v80, v15, v23, s[16:17]
	v_cndmask_b32_e64 v81, v14, v69, s[16:17]
	;; [unrolled: 1-line block ×4, first 2 shown]
	s_and_saveexec_b64 s[24:25], s[0:1]
	s_cbranch_execz .LBB1493_378
; %bb.369:
	v_cmp_lt_u32_e64 s[0:1], v67, v99
	s_mov_b64 s[2:3], 0
	s_and_saveexec_b64 s[22:23], s[0:1]
	s_cbranch_execz .LBB1493_377
; %bb.370:
	s_mov_b64 s[0:1], -1
	s_and_saveexec_b64 s[26:27], vcc
	s_cbranch_execz .LBB1493_376
; %bb.371:
	v_mul_lo_u32 v12, v82, v6
	v_mul_lo_u32 v16, v83, v7
	v_mad_u64_u32 v[14:15], s[0:1], v83, v6, 0
	v_add3_u32 v15, v15, v16, v12
	v_mul_lo_u32 v12, v80, v6
	v_mul_lo_u32 v18, v81, v7
	v_mad_u64_u32 v[16:17], s[0:1], v81, v6, 0
	v_add3_u32 v17, v17, v18, v12
	v_lshl_add_u64 v[14:15], v[14:15], 2, v[8:9]
	v_lshl_add_u64 v[16:17], v[16:17], 2, v[8:9]
	s_mov_b64 s[28:29], 0
	v_mov_b64_e32 v[18:19], v[6:7]
                                        ; implicit-def: $sgpr30_sgpr31
                                        ; implicit-def: $sgpr34_sgpr35
                                        ; implicit-def: $sgpr2_sgpr3
                                        ; implicit-def: $sgpr36_sgpr37
                                        ; implicit-def: $sgpr38_sgpr39
	s_branch .LBB1493_373
.LBB1493_372:                           ;   in Loop: Header=BB1493_373 Depth=1
	s_or_b64 exec, exec, s[40:41]
	s_and_b64 s[0:1], exec, s[34:35]
	s_or_b64 s[28:29], s[0:1], s[28:29]
	s_andn2_b64 s[0:1], s[38:39], exec
	s_and_b64 s[4:5], s[36:37], exec
	s_or_b64 s[38:39], s[0:1], s[4:5]
	s_andn2_b64 s[0:1], s[30:31], exec
	s_and_b64 s[4:5], s[2:3], exec
	s_or_b64 s[30:31], s[0:1], s[4:5]
	s_andn2_b64 exec, exec, s[28:29]
	s_cbranch_execz .LBB1493_375
.LBB1493_373:                           ; =>This Inner Loop Header: Depth=1
	flat_load_dword v12, v[16:17]
	flat_load_dword v84, v[14:15]
	s_andn2_b64 s[40:41], s[2:3], exec
	s_andn2_b64 s[36:37], s[36:37], exec
	s_or_b64 s[34:35], s[34:35], exec
	s_waitcnt vmcnt(0) lgkmcnt(0)
	v_cmp_le_u32_e64 s[2:3], v12, v84
	v_cmp_lt_u32_e64 s[0:1], v12, v84
	s_and_b64 s[2:3], s[2:3], s[38:39]
	s_or_b64 s[42:43], s[0:1], s[2:3]
	s_and_b64 s[0:1], s[42:43], exec
	v_cmp_eq_u32_e64 s[4:5], v12, v84
	s_or_b64 s[2:3], s[40:41], s[0:1]
	s_and_saveexec_b64 s[40:41], s[4:5]
	s_cbranch_execz .LBB1493_372
; %bb.374:                              ;   in Loop: Header=BB1493_373 Depth=1
	v_lshl_add_u64 v[18:19], v[18:19], 0, -1
	v_cmp_eq_u64_e64 s[0:1], 0, v[18:19]
	s_andn2_b64 s[4:5], s[36:37], exec
	s_and_b64 s[36:37], s[42:43], exec
	s_or_b64 s[36:37], s[4:5], s[36:37]
	s_andn2_b64 s[4:5], s[34:35], exec
	s_and_b64 s[0:1], s[0:1], exec
	v_lshl_add_u64 v[14:15], v[14:15], 0, 4
	v_lshl_add_u64 v[16:17], v[16:17], 0, 4
	s_andn2_b64 s[2:3], s[2:3], exec
	s_or_b64 s[34:35], s[4:5], s[0:1]
                                        ; implicit-def: $sgpr38_sgpr39
	s_branch .LBB1493_372
.LBB1493_375:
	s_or_b64 exec, exec, s[28:29]
	s_xor_b64 s[0:1], s[30:31], -1
	s_orn2_b64 s[0:1], s[0:1], exec
.LBB1493_376:
	s_or_b64 exec, exec, s[26:27]
	s_and_b64 s[2:3], s[0:1], exec
.LBB1493_377:
	s_or_b64 exec, exec, s[22:23]
	s_orn2_b64 s[22:23], s[2:3], exec
.LBB1493_378:
	s_or_b64 exec, exec, s[24:25]
	v_cndmask_b32_e64 v12, v66, v67, s[22:23]
	v_cndmask_b32_e64 v14, v100, v99, s[22:23]
	v_add_u32_e32 v15, 1, v12
	v_add_u32_e32 v12, -1, v14
	v_min_u32_e32 v12, v15, v12
	v_lshl_add_u64 v[12:13], v[12:13], 3, v[54:55]
	flat_load_dwordx2 v[12:13], v[12:13]
	v_cndmask_b32_e64 v18, v15, v66, s[22:23]
	v_cndmask_b32_e64 v19, v67, v15, s[22:23]
	v_cmp_lt_u32_e64 s[0:1], v18, v100
	s_waitcnt vmcnt(0) lgkmcnt(0)
	v_cndmask_b32_e64 v84, v13, v80, s[22:23]
	v_cndmask_b32_e64 v85, v12, v81, s[22:23]
	;; [unrolled: 1-line block ×4, first 2 shown]
	s_and_saveexec_b64 s[24:25], s[0:1]
	s_cbranch_execz .LBB1493_388
; %bb.379:
	v_cmp_lt_u32_e64 s[0:1], v19, v99
	s_mov_b64 s[2:3], 0
	s_and_saveexec_b64 s[20:21], s[0:1]
	s_cbranch_execz .LBB1493_387
; %bb.380:
	s_mov_b64 s[0:1], -1
	s_and_saveexec_b64 s[26:27], vcc
	s_cbranch_execz .LBB1493_386
; %bb.381:
	v_mul_lo_u32 v14, v86, v6
	v_mul_lo_u32 v15, v87, v7
	v_mad_u64_u32 v[12:13], s[0:1], v87, v6, 0
	v_add3_u32 v13, v13, v15, v14
	v_mul_lo_u32 v16, v84, v6
	v_mul_lo_u32 v17, v85, v7
	v_mad_u64_u32 v[14:15], s[0:1], v85, v6, 0
	v_add3_u32 v15, v15, v17, v16
	v_lshl_add_u64 v[12:13], v[12:13], 2, v[8:9]
	v_lshl_add_u64 v[14:15], v[14:15], 2, v[8:9]
	s_mov_b64 s[28:29], 0
	v_mov_b64_e32 v[16:17], v[6:7]
                                        ; implicit-def: $sgpr30_sgpr31
                                        ; implicit-def: $sgpr34_sgpr35
                                        ; implicit-def: $sgpr2_sgpr3
                                        ; implicit-def: $sgpr36_sgpr37
                                        ; implicit-def: $sgpr38_sgpr39
	s_branch .LBB1493_383
.LBB1493_382:                           ;   in Loop: Header=BB1493_383 Depth=1
	s_or_b64 exec, exec, s[40:41]
	s_and_b64 s[0:1], exec, s[34:35]
	s_or_b64 s[28:29], s[0:1], s[28:29]
	s_andn2_b64 s[0:1], s[38:39], exec
	s_and_b64 s[4:5], s[36:37], exec
	s_or_b64 s[38:39], s[0:1], s[4:5]
	s_andn2_b64 s[0:1], s[30:31], exec
	s_and_b64 s[4:5], s[2:3], exec
	s_or_b64 s[30:31], s[0:1], s[4:5]
	s_andn2_b64 exec, exec, s[28:29]
	s_cbranch_execz .LBB1493_385
.LBB1493_383:                           ; =>This Inner Loop Header: Depth=1
	flat_load_dword v66, v[14:15]
	flat_load_dword v67, v[12:13]
	s_andn2_b64 s[40:41], s[2:3], exec
	s_andn2_b64 s[36:37], s[36:37], exec
	s_or_b64 s[34:35], s[34:35], exec
	s_waitcnt vmcnt(0) lgkmcnt(0)
	v_cmp_le_u32_e64 s[2:3], v66, v67
	v_cmp_lt_u32_e64 s[0:1], v66, v67
	s_and_b64 s[2:3], s[2:3], s[38:39]
	s_or_b64 s[42:43], s[0:1], s[2:3]
	s_and_b64 s[0:1], s[42:43], exec
	v_cmp_eq_u32_e64 s[4:5], v66, v67
	s_or_b64 s[2:3], s[40:41], s[0:1]
	s_and_saveexec_b64 s[40:41], s[4:5]
	s_cbranch_execz .LBB1493_382
; %bb.384:                              ;   in Loop: Header=BB1493_383 Depth=1
	v_lshl_add_u64 v[16:17], v[16:17], 0, -1
	v_cmp_eq_u64_e64 s[0:1], 0, v[16:17]
	s_andn2_b64 s[4:5], s[36:37], exec
	s_and_b64 s[36:37], s[42:43], exec
	s_or_b64 s[36:37], s[4:5], s[36:37]
	s_andn2_b64 s[4:5], s[34:35], exec
	s_and_b64 s[0:1], s[0:1], exec
	v_lshl_add_u64 v[12:13], v[12:13], 0, 4
	v_lshl_add_u64 v[14:15], v[14:15], 0, 4
	s_andn2_b64 s[2:3], s[2:3], exec
	s_or_b64 s[34:35], s[4:5], s[0:1]
                                        ; implicit-def: $sgpr38_sgpr39
	s_branch .LBB1493_382
.LBB1493_385:
	s_or_b64 exec, exec, s[28:29]
	s_xor_b64 s[0:1], s[30:31], -1
	s_orn2_b64 s[0:1], s[0:1], exec
.LBB1493_386:
	s_or_b64 exec, exec, s[26:27]
	s_and_b64 s[2:3], s[0:1], exec
.LBB1493_387:
	s_or_b64 exec, exec, s[20:21]
	s_orn2_b64 s[20:21], s[2:3], exec
.LBB1493_388:
	s_or_b64 exec, exec, s[24:25]
	v_cndmask_b32_e64 v12, v18, v19, s[20:21]
	v_cndmask_b32_e64 v13, v100, v99, s[20:21]
	v_add_u32_e32 v16, 1, v12
	v_add_u32_e32 v12, -1, v13
	v_min_u32_e32 v12, v16, v12
	v_mov_b32_e32 v13, 0
	v_lshl_add_u64 v[14:15], v[12:13], 3, v[54:55]
	flat_load_dwordx2 v[14:15], v[14:15]
	v_cndmask_b32_e64 v66, v16, v18, s[20:21]
	s_mov_b64 s[24:25], -1
	v_cndmask_b32_e64 v67, v19, v16, s[20:21]
	v_cmp_lt_u32_e64 s[0:1], v66, v100
	s_mov_b64 s[26:27], -1
	s_waitcnt vmcnt(0) lgkmcnt(0)
	v_cndmask_b32_e64 v96, v15, v84, s[20:21]
	v_cndmask_b32_e64 v97, v14, v85, s[20:21]
	;; [unrolled: 1-line block ×4, first 2 shown]
	s_and_saveexec_b64 s[28:29], s[0:1]
	s_cbranch_execz .LBB1493_398
; %bb.389:
	v_cmp_lt_u32_e64 s[0:1], v67, v99
	s_mov_b64 s[2:3], 0
	s_and_saveexec_b64 s[26:27], s[0:1]
	s_cbranch_execz .LBB1493_397
; %bb.390:
	s_mov_b64 s[0:1], -1
	s_and_saveexec_b64 s[30:31], vcc
	s_cbranch_execz .LBB1493_396
; %bb.391:
	v_mul_lo_u32 v12, v101, v6
	v_mul_lo_u32 v16, v102, v7
	v_mad_u64_u32 v[14:15], s[0:1], v102, v6, 0
	v_add3_u32 v15, v15, v16, v12
	v_mul_lo_u32 v12, v96, v6
	v_mul_lo_u32 v18, v97, v7
	v_mad_u64_u32 v[16:17], s[0:1], v97, v6, 0
	v_add3_u32 v17, v17, v18, v12
	v_lshl_add_u64 v[14:15], v[14:15], 2, v[8:9]
	v_lshl_add_u64 v[16:17], v[16:17], 2, v[8:9]
	s_mov_b64 s[34:35], 0
	v_mov_b64_e32 v[18:19], v[6:7]
                                        ; implicit-def: $sgpr36_sgpr37
                                        ; implicit-def: $sgpr38_sgpr39
                                        ; implicit-def: $sgpr2_sgpr3
                                        ; implicit-def: $sgpr40_sgpr41
                                        ; implicit-def: $sgpr42_sgpr43
	s_branch .LBB1493_393
.LBB1493_392:                           ;   in Loop: Header=BB1493_393 Depth=1
	s_or_b64 exec, exec, s[44:45]
	s_and_b64 s[0:1], exec, s[38:39]
	s_or_b64 s[34:35], s[0:1], s[34:35]
	s_andn2_b64 s[0:1], s[42:43], exec
	s_and_b64 s[4:5], s[40:41], exec
	s_or_b64 s[42:43], s[0:1], s[4:5]
	s_andn2_b64 s[0:1], s[36:37], exec
	s_and_b64 s[4:5], s[2:3], exec
	s_or_b64 s[36:37], s[0:1], s[4:5]
	s_andn2_b64 exec, exec, s[34:35]
	s_cbranch_execz .LBB1493_395
.LBB1493_393:                           ; =>This Inner Loop Header: Depth=1
	flat_load_dword v12, v[16:17]
	flat_load_dword v103, v[14:15]
	s_andn2_b64 s[44:45], s[2:3], exec
	s_andn2_b64 s[40:41], s[40:41], exec
	s_or_b64 s[38:39], s[38:39], exec
	s_waitcnt vmcnt(0) lgkmcnt(0)
	v_cmp_le_u32_e64 s[2:3], v12, v103
	v_cmp_lt_u32_e64 s[0:1], v12, v103
	s_and_b64 s[2:3], s[2:3], s[42:43]
	s_or_b64 s[46:47], s[0:1], s[2:3]
	s_and_b64 s[0:1], s[46:47], exec
	v_cmp_eq_u32_e64 s[4:5], v12, v103
	s_or_b64 s[2:3], s[44:45], s[0:1]
	s_and_saveexec_b64 s[44:45], s[4:5]
	s_cbranch_execz .LBB1493_392
; %bb.394:                              ;   in Loop: Header=BB1493_393 Depth=1
	v_lshl_add_u64 v[18:19], v[18:19], 0, -1
	v_cmp_eq_u64_e64 s[0:1], 0, v[18:19]
	s_andn2_b64 s[4:5], s[40:41], exec
	s_and_b64 s[40:41], s[46:47], exec
	s_or_b64 s[40:41], s[4:5], s[40:41]
	s_andn2_b64 s[4:5], s[38:39], exec
	s_and_b64 s[0:1], s[0:1], exec
	v_lshl_add_u64 v[14:15], v[14:15], 0, 4
	v_lshl_add_u64 v[16:17], v[16:17], 0, 4
	s_andn2_b64 s[2:3], s[2:3], exec
	s_or_b64 s[38:39], s[4:5], s[0:1]
                                        ; implicit-def: $sgpr42_sgpr43
	s_branch .LBB1493_392
.LBB1493_395:
	s_or_b64 exec, exec, s[34:35]
	s_xor_b64 s[0:1], s[36:37], -1
	s_orn2_b64 s[0:1], s[0:1], exec
.LBB1493_396:
	s_or_b64 exec, exec, s[30:31]
	s_and_b64 s[2:3], s[0:1], exec
.LBB1493_397:
	s_or_b64 exec, exec, s[26:27]
	s_orn2_b64 s[26:27], s[2:3], exec
.LBB1493_398:
	s_or_b64 exec, exec, s[28:29]
	v_cndmask_b32_e64 v12, v66, v67, s[26:27]
	v_cndmask_b32_e64 v14, v100, v99, s[26:27]
	v_add_u32_e32 v15, 1, v12
	v_add_u32_e32 v12, -1, v14
	v_min_u32_e32 v12, v15, v12
	v_lshl_add_u64 v[12:13], v[12:13], 3, v[54:55]
	flat_load_dwordx2 v[12:13], v[12:13]
	v_cndmask_b32_e64 v114, v15, v66, s[26:27]
	v_cndmask_b32_e64 v103, v67, v15, s[26:27]
	v_cmp_lt_u32_e64 s[0:1], v114, v100
	s_waitcnt vmcnt(0) lgkmcnt(0)
	v_cndmask_b32_e64 v112, v13, v96, s[26:27]
	v_cndmask_b32_e64 v113, v12, v97, s[26:27]
	;; [unrolled: 1-line block ×4, first 2 shown]
	s_and_saveexec_b64 s[28:29], s[0:1]
	s_cbranch_execz .LBB1493_408
; %bb.399:
	v_cmp_lt_u32_e64 s[0:1], v103, v99
	s_mov_b64 s[2:3], 0
	s_and_saveexec_b64 s[24:25], s[0:1]
	s_cbranch_execz .LBB1493_407
; %bb.400:
	s_mov_b64 s[0:1], -1
	s_and_saveexec_b64 s[30:31], vcc
	s_cbranch_execz .LBB1493_406
; %bb.401:
	v_mul_lo_u32 v14, v115, v6
	v_mul_lo_u32 v15, v116, v7
	v_mad_u64_u32 v[12:13], s[0:1], v116, v6, 0
	v_add3_u32 v13, v13, v15, v14
	v_mul_lo_u32 v16, v112, v6
	v_mul_lo_u32 v17, v113, v7
	v_mad_u64_u32 v[14:15], s[0:1], v113, v6, 0
	v_add3_u32 v15, v15, v17, v16
	v_lshl_add_u64 v[12:13], v[12:13], 2, v[8:9]
	v_lshl_add_u64 v[14:15], v[14:15], 2, v[8:9]
	s_mov_b64 s[34:35], 0
	v_mov_b64_e32 v[16:17], v[6:7]
                                        ; implicit-def: $sgpr36_sgpr37
                                        ; implicit-def: $sgpr38_sgpr39
                                        ; implicit-def: $sgpr2_sgpr3
                                        ; implicit-def: $sgpr40_sgpr41
                                        ; implicit-def: $sgpr42_sgpr43
	s_branch .LBB1493_403
.LBB1493_402:                           ;   in Loop: Header=BB1493_403 Depth=1
	s_or_b64 exec, exec, s[44:45]
	s_and_b64 s[0:1], exec, s[38:39]
	s_or_b64 s[34:35], s[0:1], s[34:35]
	s_andn2_b64 s[0:1], s[42:43], exec
	s_and_b64 s[4:5], s[40:41], exec
	s_or_b64 s[42:43], s[0:1], s[4:5]
	s_andn2_b64 s[0:1], s[36:37], exec
	s_and_b64 s[4:5], s[2:3], exec
	s_or_b64 s[36:37], s[0:1], s[4:5]
	s_andn2_b64 exec, exec, s[34:35]
	s_cbranch_execz .LBB1493_405
.LBB1493_403:                           ; =>This Inner Loop Header: Depth=1
	flat_load_dword v18, v[14:15]
	flat_load_dword v19, v[12:13]
	s_andn2_b64 s[44:45], s[2:3], exec
	s_andn2_b64 s[40:41], s[40:41], exec
	s_or_b64 s[38:39], s[38:39], exec
	s_waitcnt vmcnt(0) lgkmcnt(0)
	v_cmp_le_u32_e64 s[2:3], v18, v19
	v_cmp_lt_u32_e64 s[0:1], v18, v19
	s_and_b64 s[2:3], s[2:3], s[42:43]
	s_or_b64 s[46:47], s[0:1], s[2:3]
	s_and_b64 s[0:1], s[46:47], exec
	v_cmp_eq_u32_e64 s[4:5], v18, v19
	s_or_b64 s[2:3], s[44:45], s[0:1]
	s_and_saveexec_b64 s[44:45], s[4:5]
	s_cbranch_execz .LBB1493_402
; %bb.404:                              ;   in Loop: Header=BB1493_403 Depth=1
	v_lshl_add_u64 v[16:17], v[16:17], 0, -1
	v_cmp_eq_u64_e64 s[0:1], 0, v[16:17]
	s_andn2_b64 s[4:5], s[40:41], exec
	s_and_b64 s[40:41], s[46:47], exec
	s_or_b64 s[40:41], s[4:5], s[40:41]
	s_andn2_b64 s[4:5], s[38:39], exec
	s_and_b64 s[0:1], s[0:1], exec
	v_lshl_add_u64 v[12:13], v[12:13], 0, 4
	v_lshl_add_u64 v[14:15], v[14:15], 0, 4
	s_andn2_b64 s[2:3], s[2:3], exec
	s_or_b64 s[38:39], s[4:5], s[0:1]
                                        ; implicit-def: $sgpr42_sgpr43
	s_branch .LBB1493_402
.LBB1493_405:
	s_or_b64 exec, exec, s[34:35]
	s_xor_b64 s[0:1], s[36:37], -1
	s_orn2_b64 s[0:1], s[0:1], exec
.LBB1493_406:
	s_or_b64 exec, exec, s[30:31]
	s_and_b64 s[2:3], s[0:1], exec
.LBB1493_407:
	s_or_b64 exec, exec, s[24:25]
	s_orn2_b64 s[24:25], s[2:3], exec
.LBB1493_408:
	s_or_b64 exec, exec, s[28:29]
	v_cndmask_b32_e64 v12, v114, v103, s[24:25]
	v_cndmask_b32_e64 v13, v100, v99, s[24:25]
	v_add_u32_e32 v117, 1, v12
	v_add_u32_e32 v12, -1, v13
	v_min_u32_e32 v12, v117, v12
	v_mov_b32_e32 v13, 0
	v_lshl_add_u64 v[12:13], v[12:13], 3, v[54:55]
	flat_load_dwordx2 v[66:67], v[12:13]
	v_cndmask_b32_e64 v17, v23, v70, s[16:17]
	v_cndmask_b32_e64 v23, v20, v22, s[18:19]
	;; [unrolled: 1-line block ×15, first 2 shown]
	v_cmp_lt_u32_e64 s[0:1], v68, v100
	s_waitcnt vmcnt(0) lgkmcnt(0)
	v_cndmask_b32_e64 v3, v115, v67, s[24:25]
	v_cndmask_b32_e64 v2, v116, v66, s[24:25]
	s_and_saveexec_b64 s[14:15], s[0:1]
	s_cbranch_execz .LBB1493_418
; %bb.409:
	v_cndmask_b32_e64 v68, v103, v117, s[24:25]
	v_cndmask_b32_e64 v67, v67, v112, s[24:25]
	;; [unrolled: 1-line block ×3, first 2 shown]
	v_cmp_lt_u32_e64 s[0:1], v68, v99
	s_and_saveexec_b64 s[16:17], s[0:1]
	s_cbranch_execz .LBB1493_417
; %bb.410:
	s_and_saveexec_b64 s[18:19], vcc
	s_cbranch_execz .LBB1493_416
; %bb.411:
	v_mul_lo_u32 v70, v3, v6
	v_mul_lo_u32 v71, v2, v7
	v_mad_u64_u32 v[68:69], s[0:1], v2, v6, 0
	v_add3_u32 v69, v69, v71, v70
	v_mul_lo_u32 v80, v67, v6
	v_mul_lo_u32 v81, v66, v7
	v_mad_u64_u32 v[70:71], s[0:1], v66, v6, 0
	v_add3_u32 v71, v71, v81, v80
	v_lshl_add_u64 v[68:69], v[68:69], 2, v[8:9]
	v_lshl_add_u64 v[70:71], v[70:71], 2, v[8:9]
	s_mov_b64 s[20:21], 0
	v_mov_b64_e32 v[80:81], v[6:7]
                                        ; implicit-def: $sgpr22_sgpr23
                                        ; implicit-def: $sgpr24_sgpr25
                                        ; implicit-def: $sgpr2_sgpr3
                                        ; implicit-def: $sgpr26_sgpr27
                                        ; implicit-def: $sgpr28_sgpr29
	s_branch .LBB1493_413
.LBB1493_412:                           ;   in Loop: Header=BB1493_413 Depth=1
	s_or_b64 exec, exec, s[30:31]
	s_and_b64 s[0:1], exec, s[24:25]
	s_or_b64 s[20:21], s[0:1], s[20:21]
	s_andn2_b64 s[0:1], s[28:29], exec
	s_and_b64 s[4:5], s[26:27], exec
	s_or_b64 s[28:29], s[0:1], s[4:5]
	s_andn2_b64 s[0:1], s[22:23], exec
	s_and_b64 s[4:5], s[2:3], exec
	s_or_b64 s[22:23], s[0:1], s[4:5]
	s_andn2_b64 exec, exec, s[20:21]
	s_cbranch_execz .LBB1493_415
.LBB1493_413:                           ; =>This Inner Loop Header: Depth=1
	flat_load_dword v82, v[70:71]
	flat_load_dword v83, v[68:69]
	s_andn2_b64 s[30:31], s[2:3], exec
	s_andn2_b64 s[26:27], s[26:27], exec
	s_or_b64 s[24:25], s[24:25], exec
	s_waitcnt vmcnt(0) lgkmcnt(0)
	v_cmp_le_u32_e64 s[2:3], v82, v83
	v_cmp_lt_u32_e64 s[0:1], v82, v83
	s_and_b64 s[2:3], s[2:3], s[28:29]
	s_or_b64 s[34:35], s[0:1], s[2:3]
	s_and_b64 s[0:1], s[34:35], exec
	v_cmp_eq_u32_e64 s[4:5], v82, v83
	s_or_b64 s[2:3], s[30:31], s[0:1]
	s_and_saveexec_b64 s[30:31], s[4:5]
	s_cbranch_execz .LBB1493_412
; %bb.414:                              ;   in Loop: Header=BB1493_413 Depth=1
	v_lshl_add_u64 v[80:81], v[80:81], 0, -1
	v_cmp_eq_u64_e64 s[0:1], 0, v[80:81]
	s_andn2_b64 s[4:5], s[26:27], exec
	s_and_b64 s[26:27], s[34:35], exec
	s_or_b64 s[26:27], s[4:5], s[26:27]
	s_andn2_b64 s[4:5], s[24:25], exec
	s_and_b64 s[0:1], s[0:1], exec
	v_lshl_add_u64 v[68:69], v[68:69], 0, 4
	v_lshl_add_u64 v[70:71], v[70:71], 0, 4
	s_andn2_b64 s[2:3], s[2:3], exec
	s_or_b64 s[24:25], s[4:5], s[0:1]
                                        ; implicit-def: $sgpr28_sgpr29
	s_branch .LBB1493_412
.LBB1493_415:
	s_or_b64 exec, exec, s[20:21]
	v_cndmask_b32_e64 v3, v3, v67, s[22:23]
	v_cndmask_b32_e64 v2, v2, v66, s[22:23]
.LBB1493_416:
	s_or_b64 exec, exec, s[18:19]
	v_mov_b64_e32 v[66:67], v[2:3]
.LBB1493_417:
	s_or_b64 exec, exec, s[16:17]
	v_mov_b64_e32 v[2:3], v[66:67]
.LBB1493_418:
	s_or_b64 exec, exec, s[14:15]
.LBB1493_419:
	s_or_b64 exec, exec, s[10:11]
	v_and_b32_e32 v101, 0x3c0, v98
	v_or_b32_e32 v66, 32, v101
	v_min_u32_e32 v99, v31, v66
	v_add_u32_e32 v66, 32, v99
	v_min_u32_e32 v100, v31, v66
	v_and_b32_e32 v66, 56, v98
	v_min_u32_e32 v102, v31, v66
	v_sub_u32_e32 v66, v99, v101
	v_sub_u32_e32 v67, v100, v99
	v_sub_u32_e64 v103, v102, v67 clamp
	v_min_u32_e32 v112, v102, v66
	v_cmp_lt_u32_e64 s[0:1], v103, v112
	; wave barrier
	flat_store_dwordx4 v[64:65], v[20:23]
	flat_store_dwordx4 v[64:65], v[16:19] offset:16
	flat_store_dwordx4 v[64:65], v[12:15] offset:32
	flat_store_dwordx4 v[64:65], v[0:3] offset:48
	; wave barrier
	s_and_saveexec_b64 s[10:11], s[0:1]
	s_cbranch_execz .LBB1493_429
; %bb.420:
	v_lshlrev_b32_e32 v66, 3, v101
	v_mov_b32_e32 v67, 0
	v_lshl_add_u64 v[68:69], v[54:55], 0, v[66:67]
	v_lshlrev_b32_e32 v66, 3, v99
	v_lshl_add_u64 v[70:71], v[54:55], 0, v[66:67]
	v_lshlrev_b64 v[80:81], 2, v[6:7]
	s_mov_b64 s[14:15], 0
	s_branch .LBB1493_423
.LBB1493_421:                           ;   in Loop: Header=BB1493_423 Depth=1
	s_or_b64 exec, exec, s[18:19]
	s_and_b64 s[0:1], s[20:21], exec
.LBB1493_422:                           ;   in Loop: Header=BB1493_423 Depth=1
	s_or_b64 exec, exec, s[16:17]
	v_add_u32_e32 v66, 1, v82
	v_cndmask_b32_e64 v112, v112, v82, s[0:1]
	v_cndmask_b32_e64 v103, v66, v103, s[0:1]
	v_cmp_ge_u32_e64 s[0:1], v103, v112
	s_or_b64 s[14:15], s[0:1], s[14:15]
	s_andn2_b64 exec, exec, s[14:15]
	s_cbranch_execz .LBB1493_428
.LBB1493_423:                           ; =>This Loop Header: Depth=1
                                        ;     Child Loop BB1493_426 Depth 2
	v_add_u32_e32 v66, v112, v103
	v_lshrrev_b32_e32 v82, 1, v66
	s_mov_b64 s[0:1], 0
	s_and_saveexec_b64 s[16:17], vcc
	s_cbranch_execz .LBB1493_422
; %bb.424:                              ;   in Loop: Header=BB1493_423 Depth=1
	v_mov_b32_e32 v83, v67
	v_xad_u32 v66, v82, -1, v102
	v_lshl_add_u64 v[84:85], v[82:83], 3, v[68:69]
	v_lshl_add_u64 v[86:87], v[66:67], 3, v[70:71]
	flat_load_dwordx2 v[84:85], v[84:85]
	s_mov_b64 s[18:19], 0
	flat_load_dwordx2 v[86:87], v[86:87]
                                        ; implicit-def: $sgpr20_sgpr21
                                        ; implicit-def: $sgpr22_sgpr23
                                        ; implicit-def: $sgpr24_sgpr25
                                        ; implicit-def: $sgpr2_sgpr3
                                        ; implicit-def: $sgpr26_sgpr27
	s_waitcnt vmcnt(0) lgkmcnt(0)
	v_mul_lo_u32 v66, v80, v85
	v_mul_lo_u32 v83, v81, v84
	v_mad_u64_u32 v[84:85], s[0:1], v80, v84, v[8:9]
	v_mul_lo_u32 v96, v80, v87
	v_mul_lo_u32 v97, v81, v86
	v_mad_u64_u32 v[86:87], s[0:1], v80, v86, v[8:9]
	v_add3_u32 v85, v83, v85, v66
	v_add3_u32 v87, v97, v87, v96
	v_mov_b64_e32 v[96:97], v[6:7]
	s_branch .LBB1493_426
.LBB1493_425:                           ;   in Loop: Header=BB1493_426 Depth=2
	s_or_b64 exec, exec, s[28:29]
	s_and_b64 s[0:1], exec, s[22:23]
	s_or_b64 s[18:19], s[0:1], s[18:19]
	s_andn2_b64 s[0:1], s[26:27], exec
	s_and_b64 s[4:5], s[24:25], exec
	s_or_b64 s[26:27], s[0:1], s[4:5]
	s_andn2_b64 s[0:1], s[20:21], exec
	s_and_b64 s[4:5], s[2:3], exec
	s_or_b64 s[20:21], s[0:1], s[4:5]
	s_andn2_b64 exec, exec, s[18:19]
	s_cbranch_execz .LBB1493_421
.LBB1493_426:                           ;   Parent Loop BB1493_423 Depth=1
                                        ; =>  This Inner Loop Header: Depth=2
	flat_load_dword v66, v[86:87]
	flat_load_dword v83, v[84:85]
	s_andn2_b64 s[28:29], s[2:3], exec
	s_andn2_b64 s[24:25], s[24:25], exec
	s_or_b64 s[22:23], s[22:23], exec
	s_waitcnt vmcnt(0) lgkmcnt(0)
	v_cmp_le_u32_e64 s[2:3], v66, v83
	v_cmp_lt_u32_e64 s[0:1], v66, v83
	s_and_b64 s[2:3], s[2:3], s[26:27]
	s_or_b64 s[30:31], s[0:1], s[2:3]
	s_and_b64 s[0:1], s[30:31], exec
	v_cmp_eq_u32_e64 s[4:5], v66, v83
	s_or_b64 s[2:3], s[28:29], s[0:1]
	s_and_saveexec_b64 s[28:29], s[4:5]
	s_cbranch_execz .LBB1493_425
; %bb.427:                              ;   in Loop: Header=BB1493_426 Depth=2
	v_lshl_add_u64 v[96:97], v[96:97], 0, -1
	v_cmp_eq_u64_e64 s[0:1], 0, v[96:97]
	s_andn2_b64 s[4:5], s[24:25], exec
	s_and_b64 s[24:25], s[30:31], exec
	s_or_b64 s[24:25], s[4:5], s[24:25]
	s_andn2_b64 s[4:5], s[22:23], exec
	s_and_b64 s[0:1], s[0:1], exec
	v_lshl_add_u64 v[84:85], v[84:85], 0, 4
	v_lshl_add_u64 v[86:87], v[86:87], 0, 4
	s_andn2_b64 s[2:3], s[2:3], exec
	s_or_b64 s[22:23], s[4:5], s[0:1]
                                        ; implicit-def: $sgpr26_sgpr27
	s_branch .LBB1493_425
.LBB1493_428:
	s_or_b64 exec, exec, s[14:15]
.LBB1493_429:
	s_or_b64 exec, exec, s[10:11]
	v_add_u32_e32 v67, v99, v102
	v_add_u32_e32 v66, v103, v101
	v_sub_u32_e32 v68, v67, v103
	v_cmp_le_u32_e64 s[0:1], v66, v99
	v_cmp_le_u32_e64 s[2:3], v68, v100
	s_or_b64 s[0:1], s[0:1], s[2:3]
	s_and_saveexec_b64 s[10:11], s[0:1]
	s_cbranch_execz .LBB1493_513
; %bb.430:
	v_cmp_ge_u32_e64 s[0:1], v66, v99
	v_cmp_lt_u32_e64 s[2:3], v66, v99
                                        ; implicit-def: $vgpr0_vgpr1
	s_and_saveexec_b64 s[4:5], s[2:3]
	s_cbranch_execz .LBB1493_432
; %bb.431:
	v_mov_b32_e32 v67, 0
	v_lshl_add_u64 v[0:1], v[66:67], 3, v[54:55]
	flat_load_dwordx2 v[0:1], v[0:1]
.LBB1493_432:
	s_or_b64 exec, exec, s[4:5]
	v_cmp_ge_u32_e64 s[14:15], v68, v100
	v_cmp_lt_u32_e64 s[2:3], v68, v100
                                        ; implicit-def: $vgpr2_vgpr3
	s_and_saveexec_b64 s[4:5], s[2:3]
	s_cbranch_execz .LBB1493_434
; %bb.433:
	v_mov_b32_e32 v69, 0
	v_lshl_add_u64 v[2:3], v[68:69], 3, v[54:55]
	flat_load_dwordx2 v[2:3], v[2:3]
.LBB1493_434:
	s_or_b64 exec, exec, s[4:5]
	s_or_b64 s[0:1], s[0:1], s[14:15]
	s_xor_b64 s[0:1], s[0:1], -1
	s_and_saveexec_b64 s[16:17], s[0:1]
	s_cbranch_execz .LBB1493_442
; %bb.435:
	s_mov_b64 s[0:1], 0
	s_and_saveexec_b64 s[18:19], vcc
	s_cbranch_execz .LBB1493_441
; %bb.436:
	s_waitcnt vmcnt(0) lgkmcnt(0)
	v_mul_lo_u32 v14, v1, v6
	v_mul_lo_u32 v15, v0, v7
	v_mad_u64_u32 v[12:13], s[0:1], v0, v6, 0
	v_add3_u32 v13, v13, v15, v14
	v_mul_lo_u32 v16, v3, v6
	v_mul_lo_u32 v17, v2, v7
	v_mad_u64_u32 v[14:15], s[0:1], v2, v6, 0
	v_add3_u32 v15, v15, v17, v16
	v_lshl_add_u64 v[12:13], v[12:13], 2, v[8:9]
	v_lshl_add_u64 v[14:15], v[14:15], 2, v[8:9]
	s_mov_b64 s[20:21], 0
	v_mov_b64_e32 v[16:17], v[6:7]
                                        ; implicit-def: $sgpr22_sgpr23
                                        ; implicit-def: $sgpr24_sgpr25
                                        ; implicit-def: $sgpr26_sgpr27
                                        ; implicit-def: $sgpr2_sgpr3
                                        ; implicit-def: $sgpr28_sgpr29
	s_branch .LBB1493_438
.LBB1493_437:                           ;   in Loop: Header=BB1493_438 Depth=1
	s_or_b64 exec, exec, s[30:31]
	s_and_b64 s[0:1], exec, s[24:25]
	s_or_b64 s[20:21], s[0:1], s[20:21]
	s_andn2_b64 s[0:1], s[28:29], exec
	s_and_b64 s[4:5], s[26:27], exec
	s_or_b64 s[28:29], s[0:1], s[4:5]
	s_andn2_b64 s[0:1], s[22:23], exec
	s_and_b64 s[4:5], s[2:3], exec
	s_or_b64 s[22:23], s[0:1], s[4:5]
	s_andn2_b64 exec, exec, s[20:21]
	s_cbranch_execz .LBB1493_440
.LBB1493_438:                           ; =>This Inner Loop Header: Depth=1
	flat_load_dword v18, v[14:15]
	flat_load_dword v19, v[12:13]
	s_andn2_b64 s[30:31], s[2:3], exec
	s_andn2_b64 s[26:27], s[26:27], exec
	s_or_b64 s[24:25], s[24:25], exec
	s_waitcnt vmcnt(0) lgkmcnt(0)
	v_cmp_le_u32_e64 s[2:3], v18, v19
	v_cmp_lt_u32_e64 s[0:1], v18, v19
	s_and_b64 s[2:3], s[2:3], s[28:29]
	s_or_b64 s[34:35], s[0:1], s[2:3]
	s_and_b64 s[0:1], s[34:35], exec
	v_cmp_eq_u32_e64 s[4:5], v18, v19
	s_or_b64 s[2:3], s[30:31], s[0:1]
	s_and_saveexec_b64 s[30:31], s[4:5]
	s_cbranch_execz .LBB1493_437
; %bb.439:                              ;   in Loop: Header=BB1493_438 Depth=1
	v_lshl_add_u64 v[16:17], v[16:17], 0, -1
	v_cmp_eq_u64_e64 s[0:1], 0, v[16:17]
	s_andn2_b64 s[4:5], s[26:27], exec
	s_and_b64 s[26:27], s[34:35], exec
	s_or_b64 s[26:27], s[4:5], s[26:27]
	s_andn2_b64 s[4:5], s[24:25], exec
	s_and_b64 s[0:1], s[0:1], exec
	v_lshl_add_u64 v[12:13], v[12:13], 0, 4
	v_lshl_add_u64 v[14:15], v[14:15], 0, 4
	s_andn2_b64 s[2:3], s[2:3], exec
	s_or_b64 s[24:25], s[4:5], s[0:1]
                                        ; implicit-def: $sgpr28_sgpr29
	s_branch .LBB1493_437
.LBB1493_440:
	s_or_b64 exec, exec, s[20:21]
	s_and_b64 s[0:1], s[22:23], exec
.LBB1493_441:
	s_or_b64 exec, exec, s[18:19]
	s_xor_b64 s[0:1], s[0:1], -1
	s_andn2_b64 s[2:3], s[14:15], exec
	s_and_b64 s[0:1], s[0:1], exec
	s_or_b64 s[14:15], s[2:3], s[0:1]
.LBB1493_442:
	s_or_b64 exec, exec, s[16:17]
	v_cndmask_b32_e64 v12, v68, v66, s[14:15]
	v_cndmask_b32_e64 v13, v100, v99, s[14:15]
	v_add_u32_e32 v16, 1, v12
	v_add_u32_e32 v12, -1, v13
	v_min_u32_e32 v12, v16, v12
	v_mov_b32_e32 v13, 0
	v_lshl_add_u64 v[14:15], v[12:13], 3, v[54:55]
	flat_load_dwordx2 v[14:15], v[14:15]
	v_cndmask_b32_e64 v23, v16, v68, s[14:15]
	s_mov_b64 s[16:17], -1
	v_cndmask_b32_e64 v66, v66, v16, s[14:15]
	v_cmp_lt_u32_e64 s[0:1], v23, v100
	s_mov_b64 s[18:19], -1
	s_waitcnt vmcnt(0) lgkmcnt(0)
	v_cndmask_b32_e64 v20, v15, v3, s[14:15]
	v_cndmask_b32_e64 v21, v14, v2, s[14:15]
	;; [unrolled: 1-line block ×4, first 2 shown]
	s_and_saveexec_b64 s[20:21], s[0:1]
	s_cbranch_execz .LBB1493_452
; %bb.443:
	v_cmp_lt_u32_e64 s[0:1], v66, v99
	s_mov_b64 s[2:3], 0
	s_and_saveexec_b64 s[18:19], s[0:1]
	s_cbranch_execz .LBB1493_451
; %bb.444:
	s_mov_b64 s[0:1], 0
	s_and_saveexec_b64 s[22:23], vcc
	s_cbranch_execz .LBB1493_450
; %bb.445:
	v_mul_lo_u32 v12, v22, v6
	v_mul_lo_u32 v16, v68, v7
	v_mad_u64_u32 v[14:15], s[0:1], v68, v6, 0
	v_add3_u32 v15, v15, v16, v12
	v_mul_lo_u32 v12, v20, v6
	v_mul_lo_u32 v18, v21, v7
	v_mad_u64_u32 v[16:17], s[0:1], v21, v6, 0
	v_add3_u32 v17, v17, v18, v12
	v_lshl_add_u64 v[14:15], v[14:15], 2, v[8:9]
	v_lshl_add_u64 v[16:17], v[16:17], 2, v[8:9]
	s_mov_b64 s[24:25], 0
	v_mov_b64_e32 v[18:19], v[6:7]
                                        ; implicit-def: $sgpr26_sgpr27
                                        ; implicit-def: $sgpr28_sgpr29
                                        ; implicit-def: $sgpr30_sgpr31
                                        ; implicit-def: $sgpr2_sgpr3
                                        ; implicit-def: $sgpr34_sgpr35
	s_branch .LBB1493_447
.LBB1493_446:                           ;   in Loop: Header=BB1493_447 Depth=1
	s_or_b64 exec, exec, s[36:37]
	s_and_b64 s[0:1], exec, s[28:29]
	s_or_b64 s[24:25], s[0:1], s[24:25]
	s_andn2_b64 s[0:1], s[34:35], exec
	s_and_b64 s[4:5], s[30:31], exec
	s_or_b64 s[34:35], s[0:1], s[4:5]
	s_andn2_b64 s[0:1], s[26:27], exec
	s_and_b64 s[4:5], s[2:3], exec
	s_or_b64 s[26:27], s[0:1], s[4:5]
	s_andn2_b64 exec, exec, s[24:25]
	s_cbranch_execz .LBB1493_449
.LBB1493_447:                           ; =>This Inner Loop Header: Depth=1
	flat_load_dword v12, v[16:17]
	flat_load_dword v67, v[14:15]
	s_andn2_b64 s[36:37], s[2:3], exec
	s_andn2_b64 s[30:31], s[30:31], exec
	s_or_b64 s[28:29], s[28:29], exec
	s_waitcnt vmcnt(0) lgkmcnt(0)
	v_cmp_le_u32_e64 s[2:3], v12, v67
	v_cmp_lt_u32_e64 s[0:1], v12, v67
	s_and_b64 s[2:3], s[2:3], s[34:35]
	s_or_b64 s[38:39], s[0:1], s[2:3]
	s_and_b64 s[0:1], s[38:39], exec
	v_cmp_eq_u32_e64 s[4:5], v12, v67
	s_or_b64 s[2:3], s[36:37], s[0:1]
	s_and_saveexec_b64 s[36:37], s[4:5]
	s_cbranch_execz .LBB1493_446
; %bb.448:                              ;   in Loop: Header=BB1493_447 Depth=1
	v_lshl_add_u64 v[18:19], v[18:19], 0, -1
	v_cmp_eq_u64_e64 s[0:1], 0, v[18:19]
	s_andn2_b64 s[4:5], s[30:31], exec
	s_and_b64 s[30:31], s[38:39], exec
	s_or_b64 s[30:31], s[4:5], s[30:31]
	s_andn2_b64 s[4:5], s[28:29], exec
	s_and_b64 s[0:1], s[0:1], exec
	v_lshl_add_u64 v[14:15], v[14:15], 0, 4
	v_lshl_add_u64 v[16:17], v[16:17], 0, 4
	s_andn2_b64 s[2:3], s[2:3], exec
	s_or_b64 s[28:29], s[4:5], s[0:1]
                                        ; implicit-def: $sgpr34_sgpr35
	s_branch .LBB1493_446
.LBB1493_449:
	s_or_b64 exec, exec, s[24:25]
	s_and_b64 s[0:1], s[26:27], exec
.LBB1493_450:
	s_or_b64 exec, exec, s[22:23]
	s_xor_b64 s[0:1], s[0:1], -1
	s_and_b64 s[2:3], s[0:1], exec
.LBB1493_451:
	s_or_b64 exec, exec, s[18:19]
	s_orn2_b64 s[18:19], s[2:3], exec
.LBB1493_452:
	s_or_b64 exec, exec, s[20:21]
	v_cndmask_b32_e64 v12, v23, v66, s[18:19]
	v_cndmask_b32_e64 v14, v100, v99, s[18:19]
	v_add_u32_e32 v15, 1, v12
	v_add_u32_e32 v12, -1, v14
	v_min_u32_e32 v12, v15, v12
	v_lshl_add_u64 v[12:13], v[12:13], 3, v[54:55]
	flat_load_dwordx2 v[12:13], v[12:13]
	v_cndmask_b32_e64 v18, v15, v23, s[18:19]
	v_cndmask_b32_e64 v19, v66, v15, s[18:19]
	v_cmp_lt_u32_e64 s[0:1], v18, v100
	s_waitcnt vmcnt(0) lgkmcnt(0)
	v_cndmask_b32_e64 v23, v13, v20, s[18:19]
	v_cndmask_b32_e64 v69, v12, v21, s[18:19]
	;; [unrolled: 1-line block ×4, first 2 shown]
	s_and_saveexec_b64 s[20:21], s[0:1]
	s_cbranch_execz .LBB1493_462
; %bb.453:
	v_cmp_lt_u32_e64 s[0:1], v19, v99
	s_mov_b64 s[2:3], 0
	s_and_saveexec_b64 s[16:17], s[0:1]
	s_cbranch_execz .LBB1493_461
; %bb.454:
	s_mov_b64 s[0:1], 0
	s_and_saveexec_b64 s[22:23], vcc
	s_cbranch_execz .LBB1493_460
; %bb.455:
	v_mul_lo_u32 v14, v70, v6
	v_mul_lo_u32 v15, v71, v7
	v_mad_u64_u32 v[12:13], s[0:1], v71, v6, 0
	v_add3_u32 v13, v13, v15, v14
	v_mul_lo_u32 v16, v23, v6
	v_mul_lo_u32 v17, v69, v7
	v_mad_u64_u32 v[14:15], s[0:1], v69, v6, 0
	v_add3_u32 v15, v15, v17, v16
	v_lshl_add_u64 v[12:13], v[12:13], 2, v[8:9]
	v_lshl_add_u64 v[14:15], v[14:15], 2, v[8:9]
	s_mov_b64 s[24:25], 0
	v_mov_b64_e32 v[16:17], v[6:7]
                                        ; implicit-def: $sgpr26_sgpr27
                                        ; implicit-def: $sgpr28_sgpr29
                                        ; implicit-def: $sgpr30_sgpr31
                                        ; implicit-def: $sgpr2_sgpr3
                                        ; implicit-def: $sgpr34_sgpr35
	s_branch .LBB1493_457
.LBB1493_456:                           ;   in Loop: Header=BB1493_457 Depth=1
	s_or_b64 exec, exec, s[36:37]
	s_and_b64 s[0:1], exec, s[28:29]
	s_or_b64 s[24:25], s[0:1], s[24:25]
	s_andn2_b64 s[0:1], s[34:35], exec
	s_and_b64 s[4:5], s[30:31], exec
	s_or_b64 s[34:35], s[0:1], s[4:5]
	s_andn2_b64 s[0:1], s[26:27], exec
	s_and_b64 s[4:5], s[2:3], exec
	s_or_b64 s[26:27], s[0:1], s[4:5]
	s_andn2_b64 exec, exec, s[24:25]
	s_cbranch_execz .LBB1493_459
.LBB1493_457:                           ; =>This Inner Loop Header: Depth=1
	flat_load_dword v66, v[14:15]
	flat_load_dword v67, v[12:13]
	s_andn2_b64 s[36:37], s[2:3], exec
	s_andn2_b64 s[30:31], s[30:31], exec
	s_or_b64 s[28:29], s[28:29], exec
	s_waitcnt vmcnt(0) lgkmcnt(0)
	v_cmp_le_u32_e64 s[2:3], v66, v67
	v_cmp_lt_u32_e64 s[0:1], v66, v67
	s_and_b64 s[2:3], s[2:3], s[34:35]
	s_or_b64 s[38:39], s[0:1], s[2:3]
	s_and_b64 s[0:1], s[38:39], exec
	v_cmp_eq_u32_e64 s[4:5], v66, v67
	s_or_b64 s[2:3], s[36:37], s[0:1]
	s_and_saveexec_b64 s[36:37], s[4:5]
	s_cbranch_execz .LBB1493_456
; %bb.458:                              ;   in Loop: Header=BB1493_457 Depth=1
	v_lshl_add_u64 v[16:17], v[16:17], 0, -1
	v_cmp_eq_u64_e64 s[0:1], 0, v[16:17]
	s_andn2_b64 s[4:5], s[30:31], exec
	s_and_b64 s[30:31], s[38:39], exec
	s_or_b64 s[30:31], s[4:5], s[30:31]
	s_andn2_b64 s[4:5], s[28:29], exec
	s_and_b64 s[0:1], s[0:1], exec
	v_lshl_add_u64 v[12:13], v[12:13], 0, 4
	v_lshl_add_u64 v[14:15], v[14:15], 0, 4
	s_andn2_b64 s[2:3], s[2:3], exec
	s_or_b64 s[28:29], s[4:5], s[0:1]
                                        ; implicit-def: $sgpr34_sgpr35
	s_branch .LBB1493_456
.LBB1493_459:
	s_or_b64 exec, exec, s[24:25]
	s_and_b64 s[0:1], s[26:27], exec
.LBB1493_460:
	s_or_b64 exec, exec, s[22:23]
	s_xor_b64 s[0:1], s[0:1], -1
	s_and_b64 s[2:3], s[0:1], exec
.LBB1493_461:
	s_or_b64 exec, exec, s[16:17]
	s_orn2_b64 s[16:17], s[2:3], exec
.LBB1493_462:
	s_or_b64 exec, exec, s[20:21]
	v_cndmask_b32_e64 v12, v18, v19, s[16:17]
	v_cndmask_b32_e64 v13, v100, v99, s[16:17]
	v_add_u32_e32 v16, 1, v12
	v_add_u32_e32 v12, -1, v13
	v_min_u32_e32 v12, v16, v12
	v_mov_b32_e32 v13, 0
	v_lshl_add_u64 v[14:15], v[12:13], 3, v[54:55]
	flat_load_dwordx2 v[14:15], v[14:15]
	v_cndmask_b32_e64 v66, v16, v18, s[16:17]
	s_mov_b64 s[20:21], -1
	v_cndmask_b32_e64 v67, v19, v16, s[16:17]
	v_cmp_lt_u32_e64 s[0:1], v66, v100
	s_mov_b64 s[22:23], -1
	s_waitcnt vmcnt(0) lgkmcnt(0)
	v_cndmask_b32_e64 v80, v15, v23, s[16:17]
	v_cndmask_b32_e64 v81, v14, v69, s[16:17]
	;; [unrolled: 1-line block ×4, first 2 shown]
	s_and_saveexec_b64 s[24:25], s[0:1]
	s_cbranch_execz .LBB1493_472
; %bb.463:
	v_cmp_lt_u32_e64 s[0:1], v67, v99
	s_mov_b64 s[2:3], 0
	s_and_saveexec_b64 s[22:23], s[0:1]
	s_cbranch_execz .LBB1493_471
; %bb.464:
	s_mov_b64 s[0:1], -1
	s_and_saveexec_b64 s[26:27], vcc
	s_cbranch_execz .LBB1493_470
; %bb.465:
	v_mul_lo_u32 v12, v82, v6
	v_mul_lo_u32 v16, v83, v7
	v_mad_u64_u32 v[14:15], s[0:1], v83, v6, 0
	v_add3_u32 v15, v15, v16, v12
	v_mul_lo_u32 v12, v80, v6
	v_mul_lo_u32 v18, v81, v7
	v_mad_u64_u32 v[16:17], s[0:1], v81, v6, 0
	v_add3_u32 v17, v17, v18, v12
	v_lshl_add_u64 v[14:15], v[14:15], 2, v[8:9]
	v_lshl_add_u64 v[16:17], v[16:17], 2, v[8:9]
	s_mov_b64 s[28:29], 0
	v_mov_b64_e32 v[18:19], v[6:7]
                                        ; implicit-def: $sgpr30_sgpr31
                                        ; implicit-def: $sgpr34_sgpr35
                                        ; implicit-def: $sgpr2_sgpr3
                                        ; implicit-def: $sgpr36_sgpr37
                                        ; implicit-def: $sgpr38_sgpr39
	s_branch .LBB1493_467
.LBB1493_466:                           ;   in Loop: Header=BB1493_467 Depth=1
	s_or_b64 exec, exec, s[40:41]
	s_and_b64 s[0:1], exec, s[34:35]
	s_or_b64 s[28:29], s[0:1], s[28:29]
	s_andn2_b64 s[0:1], s[38:39], exec
	s_and_b64 s[4:5], s[36:37], exec
	s_or_b64 s[38:39], s[0:1], s[4:5]
	s_andn2_b64 s[0:1], s[30:31], exec
	s_and_b64 s[4:5], s[2:3], exec
	s_or_b64 s[30:31], s[0:1], s[4:5]
	s_andn2_b64 exec, exec, s[28:29]
	s_cbranch_execz .LBB1493_469
.LBB1493_467:                           ; =>This Inner Loop Header: Depth=1
	flat_load_dword v12, v[16:17]
	flat_load_dword v84, v[14:15]
	s_andn2_b64 s[40:41], s[2:3], exec
	s_andn2_b64 s[36:37], s[36:37], exec
	s_or_b64 s[34:35], s[34:35], exec
	s_waitcnt vmcnt(0) lgkmcnt(0)
	v_cmp_le_u32_e64 s[2:3], v12, v84
	v_cmp_lt_u32_e64 s[0:1], v12, v84
	s_and_b64 s[2:3], s[2:3], s[38:39]
	s_or_b64 s[42:43], s[0:1], s[2:3]
	s_and_b64 s[0:1], s[42:43], exec
	v_cmp_eq_u32_e64 s[4:5], v12, v84
	s_or_b64 s[2:3], s[40:41], s[0:1]
	s_and_saveexec_b64 s[40:41], s[4:5]
	s_cbranch_execz .LBB1493_466
; %bb.468:                              ;   in Loop: Header=BB1493_467 Depth=1
	v_lshl_add_u64 v[18:19], v[18:19], 0, -1
	v_cmp_eq_u64_e64 s[0:1], 0, v[18:19]
	s_andn2_b64 s[4:5], s[36:37], exec
	s_and_b64 s[36:37], s[42:43], exec
	s_or_b64 s[36:37], s[4:5], s[36:37]
	s_andn2_b64 s[4:5], s[34:35], exec
	s_and_b64 s[0:1], s[0:1], exec
	v_lshl_add_u64 v[14:15], v[14:15], 0, 4
	v_lshl_add_u64 v[16:17], v[16:17], 0, 4
	s_andn2_b64 s[2:3], s[2:3], exec
	s_or_b64 s[34:35], s[4:5], s[0:1]
                                        ; implicit-def: $sgpr38_sgpr39
	s_branch .LBB1493_466
.LBB1493_469:
	s_or_b64 exec, exec, s[28:29]
	s_xor_b64 s[0:1], s[30:31], -1
	s_orn2_b64 s[0:1], s[0:1], exec
.LBB1493_470:
	s_or_b64 exec, exec, s[26:27]
	s_and_b64 s[2:3], s[0:1], exec
.LBB1493_471:
	s_or_b64 exec, exec, s[22:23]
	s_orn2_b64 s[22:23], s[2:3], exec
.LBB1493_472:
	s_or_b64 exec, exec, s[24:25]
	v_cndmask_b32_e64 v12, v66, v67, s[22:23]
	v_cndmask_b32_e64 v14, v100, v99, s[22:23]
	v_add_u32_e32 v15, 1, v12
	v_add_u32_e32 v12, -1, v14
	v_min_u32_e32 v12, v15, v12
	v_lshl_add_u64 v[12:13], v[12:13], 3, v[54:55]
	flat_load_dwordx2 v[12:13], v[12:13]
	v_cndmask_b32_e64 v18, v15, v66, s[22:23]
	v_cndmask_b32_e64 v19, v67, v15, s[22:23]
	v_cmp_lt_u32_e64 s[0:1], v18, v100
	s_waitcnt vmcnt(0) lgkmcnt(0)
	v_cndmask_b32_e64 v84, v13, v80, s[22:23]
	v_cndmask_b32_e64 v85, v12, v81, s[22:23]
	;; [unrolled: 1-line block ×4, first 2 shown]
	s_and_saveexec_b64 s[24:25], s[0:1]
	s_cbranch_execz .LBB1493_482
; %bb.473:
	v_cmp_lt_u32_e64 s[0:1], v19, v99
	s_mov_b64 s[2:3], 0
	s_and_saveexec_b64 s[20:21], s[0:1]
	s_cbranch_execz .LBB1493_481
; %bb.474:
	s_mov_b64 s[0:1], -1
	s_and_saveexec_b64 s[26:27], vcc
	s_cbranch_execz .LBB1493_480
; %bb.475:
	v_mul_lo_u32 v14, v86, v6
	v_mul_lo_u32 v15, v87, v7
	v_mad_u64_u32 v[12:13], s[0:1], v87, v6, 0
	v_add3_u32 v13, v13, v15, v14
	v_mul_lo_u32 v16, v84, v6
	v_mul_lo_u32 v17, v85, v7
	v_mad_u64_u32 v[14:15], s[0:1], v85, v6, 0
	v_add3_u32 v15, v15, v17, v16
	v_lshl_add_u64 v[12:13], v[12:13], 2, v[8:9]
	v_lshl_add_u64 v[14:15], v[14:15], 2, v[8:9]
	s_mov_b64 s[28:29], 0
	v_mov_b64_e32 v[16:17], v[6:7]
                                        ; implicit-def: $sgpr30_sgpr31
                                        ; implicit-def: $sgpr34_sgpr35
                                        ; implicit-def: $sgpr2_sgpr3
                                        ; implicit-def: $sgpr36_sgpr37
                                        ; implicit-def: $sgpr38_sgpr39
	s_branch .LBB1493_477
.LBB1493_476:                           ;   in Loop: Header=BB1493_477 Depth=1
	s_or_b64 exec, exec, s[40:41]
	s_and_b64 s[0:1], exec, s[34:35]
	s_or_b64 s[28:29], s[0:1], s[28:29]
	s_andn2_b64 s[0:1], s[38:39], exec
	s_and_b64 s[4:5], s[36:37], exec
	s_or_b64 s[38:39], s[0:1], s[4:5]
	s_andn2_b64 s[0:1], s[30:31], exec
	s_and_b64 s[4:5], s[2:3], exec
	s_or_b64 s[30:31], s[0:1], s[4:5]
	s_andn2_b64 exec, exec, s[28:29]
	s_cbranch_execz .LBB1493_479
.LBB1493_477:                           ; =>This Inner Loop Header: Depth=1
	flat_load_dword v66, v[14:15]
	flat_load_dword v67, v[12:13]
	s_andn2_b64 s[40:41], s[2:3], exec
	s_andn2_b64 s[36:37], s[36:37], exec
	s_or_b64 s[34:35], s[34:35], exec
	s_waitcnt vmcnt(0) lgkmcnt(0)
	v_cmp_le_u32_e64 s[2:3], v66, v67
	v_cmp_lt_u32_e64 s[0:1], v66, v67
	s_and_b64 s[2:3], s[2:3], s[38:39]
	s_or_b64 s[42:43], s[0:1], s[2:3]
	s_and_b64 s[0:1], s[42:43], exec
	v_cmp_eq_u32_e64 s[4:5], v66, v67
	s_or_b64 s[2:3], s[40:41], s[0:1]
	s_and_saveexec_b64 s[40:41], s[4:5]
	s_cbranch_execz .LBB1493_476
; %bb.478:                              ;   in Loop: Header=BB1493_477 Depth=1
	v_lshl_add_u64 v[16:17], v[16:17], 0, -1
	v_cmp_eq_u64_e64 s[0:1], 0, v[16:17]
	s_andn2_b64 s[4:5], s[36:37], exec
	s_and_b64 s[36:37], s[42:43], exec
	s_or_b64 s[36:37], s[4:5], s[36:37]
	s_andn2_b64 s[4:5], s[34:35], exec
	s_and_b64 s[0:1], s[0:1], exec
	v_lshl_add_u64 v[12:13], v[12:13], 0, 4
	v_lshl_add_u64 v[14:15], v[14:15], 0, 4
	s_andn2_b64 s[2:3], s[2:3], exec
	s_or_b64 s[34:35], s[4:5], s[0:1]
                                        ; implicit-def: $sgpr38_sgpr39
	s_branch .LBB1493_476
.LBB1493_479:
	s_or_b64 exec, exec, s[28:29]
	s_xor_b64 s[0:1], s[30:31], -1
	s_orn2_b64 s[0:1], s[0:1], exec
.LBB1493_480:
	s_or_b64 exec, exec, s[26:27]
	s_and_b64 s[2:3], s[0:1], exec
.LBB1493_481:
	s_or_b64 exec, exec, s[20:21]
	s_orn2_b64 s[20:21], s[2:3], exec
.LBB1493_482:
	s_or_b64 exec, exec, s[24:25]
	v_cndmask_b32_e64 v12, v18, v19, s[20:21]
	v_cndmask_b32_e64 v13, v100, v99, s[20:21]
	v_add_u32_e32 v16, 1, v12
	v_add_u32_e32 v12, -1, v13
	v_min_u32_e32 v12, v16, v12
	v_mov_b32_e32 v13, 0
	v_lshl_add_u64 v[14:15], v[12:13], 3, v[54:55]
	flat_load_dwordx2 v[14:15], v[14:15]
	v_cndmask_b32_e64 v66, v16, v18, s[20:21]
	s_mov_b64 s[24:25], -1
	v_cndmask_b32_e64 v67, v19, v16, s[20:21]
	v_cmp_lt_u32_e64 s[0:1], v66, v100
	s_mov_b64 s[26:27], -1
	s_waitcnt vmcnt(0) lgkmcnt(0)
	v_cndmask_b32_e64 v96, v15, v84, s[20:21]
	v_cndmask_b32_e64 v97, v14, v85, s[20:21]
	v_cndmask_b32_e64 v101, v86, v15, s[20:21]
	v_cndmask_b32_e64 v102, v87, v14, s[20:21]
	s_and_saveexec_b64 s[28:29], s[0:1]
	s_cbranch_execz .LBB1493_492
; %bb.483:
	v_cmp_lt_u32_e64 s[0:1], v67, v99
	s_mov_b64 s[2:3], 0
	s_and_saveexec_b64 s[26:27], s[0:1]
	s_cbranch_execz .LBB1493_491
; %bb.484:
	s_mov_b64 s[0:1], -1
	s_and_saveexec_b64 s[30:31], vcc
	s_cbranch_execz .LBB1493_490
; %bb.485:
	v_mul_lo_u32 v12, v101, v6
	v_mul_lo_u32 v16, v102, v7
	v_mad_u64_u32 v[14:15], s[0:1], v102, v6, 0
	v_add3_u32 v15, v15, v16, v12
	v_mul_lo_u32 v12, v96, v6
	v_mul_lo_u32 v18, v97, v7
	v_mad_u64_u32 v[16:17], s[0:1], v97, v6, 0
	v_add3_u32 v17, v17, v18, v12
	v_lshl_add_u64 v[14:15], v[14:15], 2, v[8:9]
	v_lshl_add_u64 v[16:17], v[16:17], 2, v[8:9]
	s_mov_b64 s[34:35], 0
	v_mov_b64_e32 v[18:19], v[6:7]
                                        ; implicit-def: $sgpr36_sgpr37
                                        ; implicit-def: $sgpr38_sgpr39
                                        ; implicit-def: $sgpr2_sgpr3
                                        ; implicit-def: $sgpr40_sgpr41
                                        ; implicit-def: $sgpr42_sgpr43
	s_branch .LBB1493_487
.LBB1493_486:                           ;   in Loop: Header=BB1493_487 Depth=1
	s_or_b64 exec, exec, s[44:45]
	s_and_b64 s[0:1], exec, s[38:39]
	s_or_b64 s[34:35], s[0:1], s[34:35]
	s_andn2_b64 s[0:1], s[42:43], exec
	s_and_b64 s[4:5], s[40:41], exec
	s_or_b64 s[42:43], s[0:1], s[4:5]
	s_andn2_b64 s[0:1], s[36:37], exec
	s_and_b64 s[4:5], s[2:3], exec
	s_or_b64 s[36:37], s[0:1], s[4:5]
	s_andn2_b64 exec, exec, s[34:35]
	s_cbranch_execz .LBB1493_489
.LBB1493_487:                           ; =>This Inner Loop Header: Depth=1
	flat_load_dword v12, v[16:17]
	flat_load_dword v103, v[14:15]
	s_andn2_b64 s[44:45], s[2:3], exec
	s_andn2_b64 s[40:41], s[40:41], exec
	s_or_b64 s[38:39], s[38:39], exec
	s_waitcnt vmcnt(0) lgkmcnt(0)
	v_cmp_le_u32_e64 s[2:3], v12, v103
	v_cmp_lt_u32_e64 s[0:1], v12, v103
	s_and_b64 s[2:3], s[2:3], s[42:43]
	s_or_b64 s[46:47], s[0:1], s[2:3]
	s_and_b64 s[0:1], s[46:47], exec
	v_cmp_eq_u32_e64 s[4:5], v12, v103
	s_or_b64 s[2:3], s[44:45], s[0:1]
	s_and_saveexec_b64 s[44:45], s[4:5]
	s_cbranch_execz .LBB1493_486
; %bb.488:                              ;   in Loop: Header=BB1493_487 Depth=1
	v_lshl_add_u64 v[18:19], v[18:19], 0, -1
	v_cmp_eq_u64_e64 s[0:1], 0, v[18:19]
	s_andn2_b64 s[4:5], s[40:41], exec
	s_and_b64 s[40:41], s[46:47], exec
	s_or_b64 s[40:41], s[4:5], s[40:41]
	s_andn2_b64 s[4:5], s[38:39], exec
	s_and_b64 s[0:1], s[0:1], exec
	v_lshl_add_u64 v[14:15], v[14:15], 0, 4
	v_lshl_add_u64 v[16:17], v[16:17], 0, 4
	s_andn2_b64 s[2:3], s[2:3], exec
	s_or_b64 s[38:39], s[4:5], s[0:1]
                                        ; implicit-def: $sgpr42_sgpr43
	s_branch .LBB1493_486
.LBB1493_489:
	s_or_b64 exec, exec, s[34:35]
	s_xor_b64 s[0:1], s[36:37], -1
	s_orn2_b64 s[0:1], s[0:1], exec
.LBB1493_490:
	s_or_b64 exec, exec, s[30:31]
	s_and_b64 s[2:3], s[0:1], exec
.LBB1493_491:
	s_or_b64 exec, exec, s[26:27]
	s_orn2_b64 s[26:27], s[2:3], exec
.LBB1493_492:
	s_or_b64 exec, exec, s[28:29]
	v_cndmask_b32_e64 v12, v66, v67, s[26:27]
	v_cndmask_b32_e64 v14, v100, v99, s[26:27]
	v_add_u32_e32 v15, 1, v12
	v_add_u32_e32 v12, -1, v14
	v_min_u32_e32 v12, v15, v12
	v_lshl_add_u64 v[12:13], v[12:13], 3, v[54:55]
	flat_load_dwordx2 v[12:13], v[12:13]
	v_cndmask_b32_e64 v114, v15, v66, s[26:27]
	v_cndmask_b32_e64 v103, v67, v15, s[26:27]
	v_cmp_lt_u32_e64 s[0:1], v114, v100
	s_waitcnt vmcnt(0) lgkmcnt(0)
	v_cndmask_b32_e64 v112, v13, v96, s[26:27]
	v_cndmask_b32_e64 v113, v12, v97, s[26:27]
	;; [unrolled: 1-line block ×4, first 2 shown]
	s_and_saveexec_b64 s[28:29], s[0:1]
	s_cbranch_execz .LBB1493_502
; %bb.493:
	v_cmp_lt_u32_e64 s[0:1], v103, v99
	s_mov_b64 s[2:3], 0
	s_and_saveexec_b64 s[24:25], s[0:1]
	s_cbranch_execz .LBB1493_501
; %bb.494:
	s_mov_b64 s[0:1], -1
	s_and_saveexec_b64 s[30:31], vcc
	s_cbranch_execz .LBB1493_500
; %bb.495:
	v_mul_lo_u32 v14, v115, v6
	v_mul_lo_u32 v15, v116, v7
	v_mad_u64_u32 v[12:13], s[0:1], v116, v6, 0
	v_add3_u32 v13, v13, v15, v14
	v_mul_lo_u32 v16, v112, v6
	v_mul_lo_u32 v17, v113, v7
	v_mad_u64_u32 v[14:15], s[0:1], v113, v6, 0
	v_add3_u32 v15, v15, v17, v16
	v_lshl_add_u64 v[12:13], v[12:13], 2, v[8:9]
	v_lshl_add_u64 v[14:15], v[14:15], 2, v[8:9]
	s_mov_b64 s[34:35], 0
	v_mov_b64_e32 v[16:17], v[6:7]
                                        ; implicit-def: $sgpr36_sgpr37
                                        ; implicit-def: $sgpr38_sgpr39
                                        ; implicit-def: $sgpr2_sgpr3
                                        ; implicit-def: $sgpr40_sgpr41
                                        ; implicit-def: $sgpr42_sgpr43
	s_branch .LBB1493_497
.LBB1493_496:                           ;   in Loop: Header=BB1493_497 Depth=1
	s_or_b64 exec, exec, s[44:45]
	s_and_b64 s[0:1], exec, s[38:39]
	s_or_b64 s[34:35], s[0:1], s[34:35]
	s_andn2_b64 s[0:1], s[42:43], exec
	s_and_b64 s[4:5], s[40:41], exec
	s_or_b64 s[42:43], s[0:1], s[4:5]
	s_andn2_b64 s[0:1], s[36:37], exec
	s_and_b64 s[4:5], s[2:3], exec
	s_or_b64 s[36:37], s[0:1], s[4:5]
	s_andn2_b64 exec, exec, s[34:35]
	s_cbranch_execz .LBB1493_499
.LBB1493_497:                           ; =>This Inner Loop Header: Depth=1
	flat_load_dword v18, v[14:15]
	flat_load_dword v19, v[12:13]
	s_andn2_b64 s[44:45], s[2:3], exec
	s_andn2_b64 s[40:41], s[40:41], exec
	s_or_b64 s[38:39], s[38:39], exec
	s_waitcnt vmcnt(0) lgkmcnt(0)
	v_cmp_le_u32_e64 s[2:3], v18, v19
	v_cmp_lt_u32_e64 s[0:1], v18, v19
	s_and_b64 s[2:3], s[2:3], s[42:43]
	s_or_b64 s[46:47], s[0:1], s[2:3]
	s_and_b64 s[0:1], s[46:47], exec
	v_cmp_eq_u32_e64 s[4:5], v18, v19
	s_or_b64 s[2:3], s[44:45], s[0:1]
	s_and_saveexec_b64 s[44:45], s[4:5]
	s_cbranch_execz .LBB1493_496
; %bb.498:                              ;   in Loop: Header=BB1493_497 Depth=1
	v_lshl_add_u64 v[16:17], v[16:17], 0, -1
	v_cmp_eq_u64_e64 s[0:1], 0, v[16:17]
	s_andn2_b64 s[4:5], s[40:41], exec
	s_and_b64 s[40:41], s[46:47], exec
	s_or_b64 s[40:41], s[4:5], s[40:41]
	s_andn2_b64 s[4:5], s[38:39], exec
	s_and_b64 s[0:1], s[0:1], exec
	v_lshl_add_u64 v[12:13], v[12:13], 0, 4
	v_lshl_add_u64 v[14:15], v[14:15], 0, 4
	s_andn2_b64 s[2:3], s[2:3], exec
	s_or_b64 s[38:39], s[4:5], s[0:1]
                                        ; implicit-def: $sgpr42_sgpr43
	s_branch .LBB1493_496
.LBB1493_499:
	s_or_b64 exec, exec, s[34:35]
	s_xor_b64 s[0:1], s[36:37], -1
	s_orn2_b64 s[0:1], s[0:1], exec
.LBB1493_500:
	s_or_b64 exec, exec, s[30:31]
	s_and_b64 s[2:3], s[0:1], exec
.LBB1493_501:
	s_or_b64 exec, exec, s[24:25]
	s_orn2_b64 s[24:25], s[2:3], exec
.LBB1493_502:
	s_or_b64 exec, exec, s[28:29]
	v_cndmask_b32_e64 v12, v114, v103, s[24:25]
	v_cndmask_b32_e64 v13, v100, v99, s[24:25]
	v_add_u32_e32 v117, 1, v12
	v_add_u32_e32 v12, -1, v13
	v_min_u32_e32 v12, v117, v12
	v_mov_b32_e32 v13, 0
	v_lshl_add_u64 v[12:13], v[12:13], 3, v[54:55]
	flat_load_dwordx2 v[66:67], v[12:13]
	v_cndmask_b32_e64 v17, v23, v70, s[16:17]
	v_cndmask_b32_e64 v23, v20, v22, s[18:19]
	;; [unrolled: 1-line block ×15, first 2 shown]
	v_cmp_lt_u32_e64 s[0:1], v68, v100
	s_waitcnt vmcnt(0) lgkmcnt(0)
	v_cndmask_b32_e64 v3, v115, v67, s[24:25]
	v_cndmask_b32_e64 v2, v116, v66, s[24:25]
	s_and_saveexec_b64 s[14:15], s[0:1]
	s_cbranch_execz .LBB1493_512
; %bb.503:
	v_cndmask_b32_e64 v68, v103, v117, s[24:25]
	v_cndmask_b32_e64 v67, v67, v112, s[24:25]
	;; [unrolled: 1-line block ×3, first 2 shown]
	v_cmp_lt_u32_e64 s[0:1], v68, v99
	s_and_saveexec_b64 s[16:17], s[0:1]
	s_cbranch_execz .LBB1493_511
; %bb.504:
	s_and_saveexec_b64 s[18:19], vcc
	s_cbranch_execz .LBB1493_510
; %bb.505:
	v_mul_lo_u32 v70, v3, v6
	v_mul_lo_u32 v71, v2, v7
	v_mad_u64_u32 v[68:69], s[0:1], v2, v6, 0
	v_add3_u32 v69, v69, v71, v70
	v_mul_lo_u32 v80, v67, v6
	v_mul_lo_u32 v81, v66, v7
	v_mad_u64_u32 v[70:71], s[0:1], v66, v6, 0
	v_add3_u32 v71, v71, v81, v80
	v_lshl_add_u64 v[68:69], v[68:69], 2, v[8:9]
	v_lshl_add_u64 v[70:71], v[70:71], 2, v[8:9]
	s_mov_b64 s[20:21], 0
	v_mov_b64_e32 v[80:81], v[6:7]
                                        ; implicit-def: $sgpr22_sgpr23
                                        ; implicit-def: $sgpr24_sgpr25
                                        ; implicit-def: $sgpr2_sgpr3
                                        ; implicit-def: $sgpr26_sgpr27
                                        ; implicit-def: $sgpr28_sgpr29
	s_branch .LBB1493_507
.LBB1493_506:                           ;   in Loop: Header=BB1493_507 Depth=1
	s_or_b64 exec, exec, s[30:31]
	s_and_b64 s[0:1], exec, s[24:25]
	s_or_b64 s[20:21], s[0:1], s[20:21]
	s_andn2_b64 s[0:1], s[28:29], exec
	s_and_b64 s[4:5], s[26:27], exec
	s_or_b64 s[28:29], s[0:1], s[4:5]
	s_andn2_b64 s[0:1], s[22:23], exec
	s_and_b64 s[4:5], s[2:3], exec
	s_or_b64 s[22:23], s[0:1], s[4:5]
	s_andn2_b64 exec, exec, s[20:21]
	s_cbranch_execz .LBB1493_509
.LBB1493_507:                           ; =>This Inner Loop Header: Depth=1
	flat_load_dword v82, v[70:71]
	flat_load_dword v83, v[68:69]
	s_andn2_b64 s[30:31], s[2:3], exec
	s_andn2_b64 s[26:27], s[26:27], exec
	s_or_b64 s[24:25], s[24:25], exec
	s_waitcnt vmcnt(0) lgkmcnt(0)
	v_cmp_le_u32_e64 s[2:3], v82, v83
	v_cmp_lt_u32_e64 s[0:1], v82, v83
	s_and_b64 s[2:3], s[2:3], s[28:29]
	s_or_b64 s[34:35], s[0:1], s[2:3]
	s_and_b64 s[0:1], s[34:35], exec
	v_cmp_eq_u32_e64 s[4:5], v82, v83
	s_or_b64 s[2:3], s[30:31], s[0:1]
	s_and_saveexec_b64 s[30:31], s[4:5]
	s_cbranch_execz .LBB1493_506
; %bb.508:                              ;   in Loop: Header=BB1493_507 Depth=1
	v_lshl_add_u64 v[80:81], v[80:81], 0, -1
	v_cmp_eq_u64_e64 s[0:1], 0, v[80:81]
	s_andn2_b64 s[4:5], s[26:27], exec
	s_and_b64 s[26:27], s[34:35], exec
	s_or_b64 s[26:27], s[4:5], s[26:27]
	s_andn2_b64 s[4:5], s[24:25], exec
	s_and_b64 s[0:1], s[0:1], exec
	v_lshl_add_u64 v[68:69], v[68:69], 0, 4
	v_lshl_add_u64 v[70:71], v[70:71], 0, 4
	s_andn2_b64 s[2:3], s[2:3], exec
	s_or_b64 s[24:25], s[4:5], s[0:1]
                                        ; implicit-def: $sgpr28_sgpr29
	s_branch .LBB1493_506
.LBB1493_509:
	s_or_b64 exec, exec, s[20:21]
	v_cndmask_b32_e64 v3, v3, v67, s[22:23]
	v_cndmask_b32_e64 v2, v2, v66, s[22:23]
.LBB1493_510:
	s_or_b64 exec, exec, s[18:19]
	v_mov_b64_e32 v[66:67], v[2:3]
.LBB1493_511:
	s_or_b64 exec, exec, s[16:17]
	v_mov_b64_e32 v[2:3], v[66:67]
.LBB1493_512:
	s_or_b64 exec, exec, s[14:15]
.LBB1493_513:
	s_or_b64 exec, exec, s[10:11]
	v_and_b32_e32 v99, 0x380, v98
	; wave barrier
	flat_store_dwordx4 v[64:65], v[20:23]
	flat_store_dwordx4 v[64:65], v[16:19] offset:16
	flat_store_dwordx4 v[64:65], v[12:15] offset:32
	;; [unrolled: 1-line block ×3, first 2 shown]
	v_or_b32_e32 v64, 64, v99
	v_min_u32_e32 v96, v31, v64
	v_add_u32_e32 v64, 64, v96
	v_min_u32_e32 v97, v31, v64
	v_and_b32_e32 v64, 0x78, v98
	v_min_u32_e32 v31, v31, v64
	v_sub_u32_e32 v64, v96, v99
	v_sub_u32_e32 v65, v97, v96
	v_sub_u32_e64 v98, v31, v65 clamp
	v_min_u32_e32 v100, v31, v64
	v_cmp_lt_u32_e64 s[0:1], v98, v100
	; wave barrier
	s_and_saveexec_b64 s[10:11], s[0:1]
	s_cbranch_execz .LBB1493_523
; %bb.514:
	v_lshlrev_b32_e32 v64, 3, v99
	v_mov_b32_e32 v65, 0
	v_lshl_add_u64 v[66:67], v[54:55], 0, v[64:65]
	v_lshlrev_b32_e32 v64, 3, v96
	v_lshl_add_u64 v[68:69], v[54:55], 0, v[64:65]
	v_lshlrev_b64 v[70:71], 2, v[6:7]
	s_mov_b64 s[14:15], 0
	s_branch .LBB1493_517
.LBB1493_515:                           ;   in Loop: Header=BB1493_517 Depth=1
	s_or_b64 exec, exec, s[18:19]
	s_and_b64 s[0:1], s[20:21], exec
.LBB1493_516:                           ;   in Loop: Header=BB1493_517 Depth=1
	s_or_b64 exec, exec, s[16:17]
	v_add_u32_e32 v64, 1, v80
	v_cndmask_b32_e64 v100, v100, v80, s[0:1]
	v_cndmask_b32_e64 v98, v64, v98, s[0:1]
	v_cmp_ge_u32_e64 s[0:1], v98, v100
	s_or_b64 s[14:15], s[0:1], s[14:15]
	s_andn2_b64 exec, exec, s[14:15]
	s_cbranch_execz .LBB1493_522
.LBB1493_517:                           ; =>This Loop Header: Depth=1
                                        ;     Child Loop BB1493_520 Depth 2
	v_add_u32_e32 v64, v100, v98
	v_lshrrev_b32_e32 v80, 1, v64
	s_mov_b64 s[0:1], 0
	s_and_saveexec_b64 s[16:17], vcc
	s_cbranch_execz .LBB1493_516
; %bb.518:                              ;   in Loop: Header=BB1493_517 Depth=1
	v_mov_b32_e32 v81, v65
	v_xad_u32 v64, v80, -1, v31
	v_lshl_add_u64 v[82:83], v[80:81], 3, v[66:67]
	v_lshl_add_u64 v[84:85], v[64:65], 3, v[68:69]
	flat_load_dwordx2 v[82:83], v[82:83]
	s_mov_b64 s[18:19], 0
	flat_load_dwordx2 v[84:85], v[84:85]
                                        ; implicit-def: $sgpr20_sgpr21
                                        ; implicit-def: $sgpr22_sgpr23
                                        ; implicit-def: $sgpr24_sgpr25
                                        ; implicit-def: $sgpr2_sgpr3
                                        ; implicit-def: $sgpr26_sgpr27
	s_waitcnt vmcnt(0) lgkmcnt(0)
	v_mul_lo_u32 v64, v70, v83
	v_mul_lo_u32 v81, v71, v82
	v_mad_u64_u32 v[82:83], s[0:1], v70, v82, v[8:9]
	v_mul_lo_u32 v86, v70, v85
	v_mul_lo_u32 v87, v71, v84
	v_mad_u64_u32 v[84:85], s[0:1], v70, v84, v[8:9]
	v_add3_u32 v83, v81, v83, v64
	v_add3_u32 v85, v87, v85, v86
	v_mov_b64_e32 v[86:87], v[6:7]
	s_branch .LBB1493_520
.LBB1493_519:                           ;   in Loop: Header=BB1493_520 Depth=2
	s_or_b64 exec, exec, s[28:29]
	s_and_b64 s[0:1], exec, s[22:23]
	s_or_b64 s[18:19], s[0:1], s[18:19]
	s_andn2_b64 s[0:1], s[26:27], exec
	s_and_b64 s[4:5], s[24:25], exec
	s_or_b64 s[26:27], s[0:1], s[4:5]
	s_andn2_b64 s[0:1], s[20:21], exec
	s_and_b64 s[4:5], s[2:3], exec
	s_or_b64 s[20:21], s[0:1], s[4:5]
	s_andn2_b64 exec, exec, s[18:19]
	s_cbranch_execz .LBB1493_515
.LBB1493_520:                           ;   Parent Loop BB1493_517 Depth=1
                                        ; =>  This Inner Loop Header: Depth=2
	flat_load_dword v64, v[84:85]
	flat_load_dword v81, v[82:83]
	s_andn2_b64 s[28:29], s[2:3], exec
	s_andn2_b64 s[24:25], s[24:25], exec
	s_or_b64 s[22:23], s[22:23], exec
	s_waitcnt vmcnt(0) lgkmcnt(0)
	v_cmp_le_u32_e64 s[2:3], v64, v81
	v_cmp_lt_u32_e64 s[0:1], v64, v81
	s_and_b64 s[2:3], s[2:3], s[26:27]
	s_or_b64 s[30:31], s[0:1], s[2:3]
	s_and_b64 s[0:1], s[30:31], exec
	v_cmp_eq_u32_e64 s[4:5], v64, v81
	s_or_b64 s[2:3], s[28:29], s[0:1]
	s_and_saveexec_b64 s[28:29], s[4:5]
	s_cbranch_execz .LBB1493_519
; %bb.521:                              ;   in Loop: Header=BB1493_520 Depth=2
	v_lshl_add_u64 v[86:87], v[86:87], 0, -1
	v_cmp_eq_u64_e64 s[0:1], 0, v[86:87]
	s_andn2_b64 s[4:5], s[24:25], exec
	s_and_b64 s[24:25], s[30:31], exec
	s_or_b64 s[24:25], s[4:5], s[24:25]
	s_andn2_b64 s[4:5], s[22:23], exec
	s_and_b64 s[0:1], s[0:1], exec
	v_lshl_add_u64 v[82:83], v[82:83], 0, 4
	v_lshl_add_u64 v[84:85], v[84:85], 0, 4
	s_andn2_b64 s[2:3], s[2:3], exec
	s_or_b64 s[22:23], s[4:5], s[0:1]
                                        ; implicit-def: $sgpr26_sgpr27
	s_branch .LBB1493_519
.LBB1493_522:
	s_or_b64 exec, exec, s[14:15]
.LBB1493_523:
	s_or_b64 exec, exec, s[10:11]
	v_add_u32_e32 v31, v96, v31
	v_add_u32_e32 v64, v98, v99
	v_sub_u32_e32 v66, v31, v98
	v_cmp_le_u32_e64 s[0:1], v64, v96
	v_cmp_le_u32_e64 s[2:3], v66, v97
	s_or_b64 s[0:1], s[0:1], s[2:3]
	s_and_saveexec_b64 s[10:11], s[0:1]
	s_cbranch_execz .LBB1493_607
; %bb.524:
	v_cmp_ge_u32_e64 s[0:1], v64, v96
	v_cmp_lt_u32_e64 s[2:3], v64, v96
                                        ; implicit-def: $vgpr0_vgpr1
	s_and_saveexec_b64 s[4:5], s[2:3]
	s_cbranch_execz .LBB1493_526
; %bb.525:
	v_mov_b32_e32 v65, 0
	v_lshl_add_u64 v[0:1], v[64:65], 3, v[54:55]
	flat_load_dwordx2 v[0:1], v[0:1]
.LBB1493_526:
	s_or_b64 exec, exec, s[4:5]
	v_cmp_ge_u32_e64 s[14:15], v66, v97
	v_cmp_lt_u32_e64 s[2:3], v66, v97
                                        ; implicit-def: $vgpr2_vgpr3
	s_and_saveexec_b64 s[4:5], s[2:3]
	s_cbranch_execz .LBB1493_528
; %bb.527:
	v_mov_b32_e32 v67, 0
	v_lshl_add_u64 v[2:3], v[66:67], 3, v[54:55]
	flat_load_dwordx2 v[2:3], v[2:3]
.LBB1493_528:
	s_or_b64 exec, exec, s[4:5]
	s_or_b64 s[0:1], s[0:1], s[14:15]
	s_xor_b64 s[0:1], s[0:1], -1
	s_and_saveexec_b64 s[16:17], s[0:1]
	s_cbranch_execz .LBB1493_536
; %bb.529:
	s_mov_b64 s[0:1], 0
	s_and_saveexec_b64 s[18:19], vcc
	s_cbranch_execz .LBB1493_535
; %bb.530:
	s_waitcnt vmcnt(0) lgkmcnt(0)
	v_mul_lo_u32 v14, v1, v6
	v_mul_lo_u32 v15, v0, v7
	v_mad_u64_u32 v[12:13], s[0:1], v0, v6, 0
	v_add3_u32 v13, v13, v15, v14
	v_mul_lo_u32 v16, v3, v6
	v_mul_lo_u32 v17, v2, v7
	v_mad_u64_u32 v[14:15], s[0:1], v2, v6, 0
	v_add3_u32 v15, v15, v17, v16
	v_lshl_add_u64 v[12:13], v[12:13], 2, v[8:9]
	v_lshl_add_u64 v[14:15], v[14:15], 2, v[8:9]
	s_mov_b64 s[20:21], 0
	v_mov_b64_e32 v[16:17], v[6:7]
                                        ; implicit-def: $sgpr22_sgpr23
                                        ; implicit-def: $sgpr24_sgpr25
                                        ; implicit-def: $sgpr26_sgpr27
                                        ; implicit-def: $sgpr2_sgpr3
                                        ; implicit-def: $sgpr28_sgpr29
	s_branch .LBB1493_532
.LBB1493_531:                           ;   in Loop: Header=BB1493_532 Depth=1
	s_or_b64 exec, exec, s[30:31]
	s_and_b64 s[0:1], exec, s[24:25]
	s_or_b64 s[20:21], s[0:1], s[20:21]
	s_andn2_b64 s[0:1], s[28:29], exec
	s_and_b64 s[4:5], s[26:27], exec
	s_or_b64 s[28:29], s[0:1], s[4:5]
	s_andn2_b64 s[0:1], s[22:23], exec
	s_and_b64 s[4:5], s[2:3], exec
	s_or_b64 s[22:23], s[0:1], s[4:5]
	s_andn2_b64 exec, exec, s[20:21]
	s_cbranch_execz .LBB1493_534
.LBB1493_532:                           ; =>This Inner Loop Header: Depth=1
	flat_load_dword v18, v[14:15]
	flat_load_dword v19, v[12:13]
	s_andn2_b64 s[30:31], s[2:3], exec
	s_andn2_b64 s[26:27], s[26:27], exec
	s_or_b64 s[24:25], s[24:25], exec
	s_waitcnt vmcnt(0) lgkmcnt(0)
	v_cmp_le_u32_e64 s[2:3], v18, v19
	v_cmp_lt_u32_e64 s[0:1], v18, v19
	s_and_b64 s[2:3], s[2:3], s[28:29]
	s_or_b64 s[34:35], s[0:1], s[2:3]
	s_and_b64 s[0:1], s[34:35], exec
	v_cmp_eq_u32_e64 s[4:5], v18, v19
	s_or_b64 s[2:3], s[30:31], s[0:1]
	s_and_saveexec_b64 s[30:31], s[4:5]
	s_cbranch_execz .LBB1493_531
; %bb.533:                              ;   in Loop: Header=BB1493_532 Depth=1
	v_lshl_add_u64 v[16:17], v[16:17], 0, -1
	v_cmp_eq_u64_e64 s[0:1], 0, v[16:17]
	s_andn2_b64 s[4:5], s[26:27], exec
	s_and_b64 s[26:27], s[34:35], exec
	s_or_b64 s[26:27], s[4:5], s[26:27]
	s_andn2_b64 s[4:5], s[24:25], exec
	s_and_b64 s[0:1], s[0:1], exec
	v_lshl_add_u64 v[12:13], v[12:13], 0, 4
	v_lshl_add_u64 v[14:15], v[14:15], 0, 4
	s_andn2_b64 s[2:3], s[2:3], exec
	s_or_b64 s[24:25], s[4:5], s[0:1]
                                        ; implicit-def: $sgpr28_sgpr29
	s_branch .LBB1493_531
.LBB1493_534:
	s_or_b64 exec, exec, s[20:21]
	s_and_b64 s[0:1], s[22:23], exec
.LBB1493_535:
	s_or_b64 exec, exec, s[18:19]
	s_xor_b64 s[0:1], s[0:1], -1
	s_andn2_b64 s[2:3], s[14:15], exec
	s_and_b64 s[0:1], s[0:1], exec
	s_or_b64 s[14:15], s[2:3], s[0:1]
.LBB1493_536:
	s_or_b64 exec, exec, s[16:17]
	v_cndmask_b32_e64 v12, v66, v64, s[14:15]
	v_cndmask_b32_e64 v13, v97, v96, s[14:15]
	v_add_u32_e32 v16, 1, v12
	v_add_u32_e32 v12, -1, v13
	v_min_u32_e32 v12, v16, v12
	v_mov_b32_e32 v13, 0
	v_lshl_add_u64 v[14:15], v[12:13], 3, v[54:55]
	flat_load_dwordx2 v[14:15], v[14:15]
	v_cndmask_b32_e64 v23, v16, v66, s[14:15]
	s_mov_b64 s[16:17], -1
	v_cndmask_b32_e64 v64, v64, v16, s[14:15]
	v_cmp_lt_u32_e64 s[0:1], v23, v97
	s_mov_b64 s[18:19], -1
	s_waitcnt vmcnt(0) lgkmcnt(0)
	v_cndmask_b32_e64 v20, v15, v3, s[14:15]
	v_cndmask_b32_e64 v21, v14, v2, s[14:15]
	;; [unrolled: 1-line block ×4, first 2 shown]
	s_and_saveexec_b64 s[20:21], s[0:1]
	s_cbranch_execz .LBB1493_546
; %bb.537:
	v_cmp_lt_u32_e64 s[0:1], v64, v96
	s_mov_b64 s[2:3], 0
	s_and_saveexec_b64 s[18:19], s[0:1]
	s_cbranch_execz .LBB1493_545
; %bb.538:
	s_mov_b64 s[0:1], 0
	s_and_saveexec_b64 s[22:23], vcc
	s_cbranch_execz .LBB1493_544
; %bb.539:
	v_mul_lo_u32 v12, v22, v6
	v_mul_lo_u32 v16, v31, v7
	v_mad_u64_u32 v[14:15], s[0:1], v31, v6, 0
	v_add3_u32 v15, v15, v16, v12
	v_mul_lo_u32 v12, v20, v6
	v_mul_lo_u32 v18, v21, v7
	v_mad_u64_u32 v[16:17], s[0:1], v21, v6, 0
	v_add3_u32 v17, v17, v18, v12
	v_lshl_add_u64 v[14:15], v[14:15], 2, v[8:9]
	v_lshl_add_u64 v[16:17], v[16:17], 2, v[8:9]
	s_mov_b64 s[24:25], 0
	v_mov_b64_e32 v[18:19], v[6:7]
                                        ; implicit-def: $sgpr26_sgpr27
                                        ; implicit-def: $sgpr28_sgpr29
                                        ; implicit-def: $sgpr30_sgpr31
                                        ; implicit-def: $sgpr2_sgpr3
                                        ; implicit-def: $sgpr34_sgpr35
	s_branch .LBB1493_541
.LBB1493_540:                           ;   in Loop: Header=BB1493_541 Depth=1
	s_or_b64 exec, exec, s[36:37]
	s_and_b64 s[0:1], exec, s[28:29]
	s_or_b64 s[24:25], s[0:1], s[24:25]
	s_andn2_b64 s[0:1], s[34:35], exec
	s_and_b64 s[4:5], s[30:31], exec
	s_or_b64 s[34:35], s[0:1], s[4:5]
	s_andn2_b64 s[0:1], s[26:27], exec
	s_and_b64 s[4:5], s[2:3], exec
	s_or_b64 s[26:27], s[0:1], s[4:5]
	s_andn2_b64 exec, exec, s[24:25]
	s_cbranch_execz .LBB1493_543
.LBB1493_541:                           ; =>This Inner Loop Header: Depth=1
	flat_load_dword v12, v[16:17]
	flat_load_dword v65, v[14:15]
	s_andn2_b64 s[36:37], s[2:3], exec
	s_andn2_b64 s[30:31], s[30:31], exec
	s_or_b64 s[28:29], s[28:29], exec
	s_waitcnt vmcnt(0) lgkmcnt(0)
	v_cmp_le_u32_e64 s[2:3], v12, v65
	v_cmp_lt_u32_e64 s[0:1], v12, v65
	s_and_b64 s[2:3], s[2:3], s[34:35]
	s_or_b64 s[38:39], s[0:1], s[2:3]
	s_and_b64 s[0:1], s[38:39], exec
	v_cmp_eq_u32_e64 s[4:5], v12, v65
	s_or_b64 s[2:3], s[36:37], s[0:1]
	s_and_saveexec_b64 s[36:37], s[4:5]
	s_cbranch_execz .LBB1493_540
; %bb.542:                              ;   in Loop: Header=BB1493_541 Depth=1
	v_lshl_add_u64 v[18:19], v[18:19], 0, -1
	v_cmp_eq_u64_e64 s[0:1], 0, v[18:19]
	s_andn2_b64 s[4:5], s[30:31], exec
	s_and_b64 s[30:31], s[38:39], exec
	s_or_b64 s[30:31], s[4:5], s[30:31]
	s_andn2_b64 s[4:5], s[28:29], exec
	s_and_b64 s[0:1], s[0:1], exec
	v_lshl_add_u64 v[14:15], v[14:15], 0, 4
	v_lshl_add_u64 v[16:17], v[16:17], 0, 4
	s_andn2_b64 s[2:3], s[2:3], exec
	s_or_b64 s[28:29], s[4:5], s[0:1]
                                        ; implicit-def: $sgpr34_sgpr35
	s_branch .LBB1493_540
.LBB1493_543:
	s_or_b64 exec, exec, s[24:25]
	s_and_b64 s[0:1], s[26:27], exec
.LBB1493_544:
	s_or_b64 exec, exec, s[22:23]
	s_xor_b64 s[0:1], s[0:1], -1
	s_and_b64 s[2:3], s[0:1], exec
.LBB1493_545:
	s_or_b64 exec, exec, s[18:19]
	s_orn2_b64 s[18:19], s[2:3], exec
.LBB1493_546:
	s_or_b64 exec, exec, s[20:21]
	v_cndmask_b32_e64 v12, v23, v64, s[18:19]
	v_cndmask_b32_e64 v14, v97, v96, s[18:19]
	v_add_u32_e32 v15, 1, v12
	v_add_u32_e32 v12, -1, v14
	v_min_u32_e32 v12, v15, v12
	v_lshl_add_u64 v[12:13], v[12:13], 3, v[54:55]
	flat_load_dwordx2 v[12:13], v[12:13]
	v_cndmask_b32_e64 v18, v15, v23, s[18:19]
	v_cndmask_b32_e64 v19, v64, v15, s[18:19]
	v_cmp_lt_u32_e64 s[0:1], v18, v97
	s_waitcnt vmcnt(0) lgkmcnt(0)
	v_cndmask_b32_e64 v23, v13, v20, s[18:19]
	v_cndmask_b32_e64 v64, v12, v21, s[18:19]
	;; [unrolled: 1-line block ×4, first 2 shown]
	s_and_saveexec_b64 s[20:21], s[0:1]
	s_cbranch_execz .LBB1493_556
; %bb.547:
	v_cmp_lt_u32_e64 s[0:1], v19, v96
	s_mov_b64 s[2:3], 0
	s_and_saveexec_b64 s[16:17], s[0:1]
	s_cbranch_execz .LBB1493_555
; %bb.548:
	s_mov_b64 s[0:1], 0
	s_and_saveexec_b64 s[22:23], vcc
	s_cbranch_execz .LBB1493_554
; %bb.549:
	v_mul_lo_u32 v14, v65, v6
	v_mul_lo_u32 v15, v66, v7
	v_mad_u64_u32 v[12:13], s[0:1], v66, v6, 0
	v_add3_u32 v13, v13, v15, v14
	v_mul_lo_u32 v16, v23, v6
	v_mul_lo_u32 v17, v64, v7
	v_mad_u64_u32 v[14:15], s[0:1], v64, v6, 0
	v_add3_u32 v15, v15, v17, v16
	v_lshl_add_u64 v[12:13], v[12:13], 2, v[8:9]
	v_lshl_add_u64 v[14:15], v[14:15], 2, v[8:9]
	s_mov_b64 s[24:25], 0
	v_mov_b64_e32 v[16:17], v[6:7]
                                        ; implicit-def: $sgpr26_sgpr27
                                        ; implicit-def: $sgpr28_sgpr29
                                        ; implicit-def: $sgpr30_sgpr31
                                        ; implicit-def: $sgpr2_sgpr3
                                        ; implicit-def: $sgpr34_sgpr35
	s_branch .LBB1493_551
.LBB1493_550:                           ;   in Loop: Header=BB1493_551 Depth=1
	s_or_b64 exec, exec, s[36:37]
	s_and_b64 s[0:1], exec, s[28:29]
	s_or_b64 s[24:25], s[0:1], s[24:25]
	s_andn2_b64 s[0:1], s[34:35], exec
	s_and_b64 s[4:5], s[30:31], exec
	s_or_b64 s[34:35], s[0:1], s[4:5]
	s_andn2_b64 s[0:1], s[26:27], exec
	s_and_b64 s[4:5], s[2:3], exec
	s_or_b64 s[26:27], s[0:1], s[4:5]
	s_andn2_b64 exec, exec, s[24:25]
	s_cbranch_execz .LBB1493_553
.LBB1493_551:                           ; =>This Inner Loop Header: Depth=1
	flat_load_dword v67, v[14:15]
	flat_load_dword v68, v[12:13]
	s_andn2_b64 s[36:37], s[2:3], exec
	s_andn2_b64 s[30:31], s[30:31], exec
	s_or_b64 s[28:29], s[28:29], exec
	s_waitcnt vmcnt(0) lgkmcnt(0)
	v_cmp_le_u32_e64 s[2:3], v67, v68
	v_cmp_lt_u32_e64 s[0:1], v67, v68
	s_and_b64 s[2:3], s[2:3], s[34:35]
	s_or_b64 s[38:39], s[0:1], s[2:3]
	s_and_b64 s[0:1], s[38:39], exec
	v_cmp_eq_u32_e64 s[4:5], v67, v68
	s_or_b64 s[2:3], s[36:37], s[0:1]
	s_and_saveexec_b64 s[36:37], s[4:5]
	s_cbranch_execz .LBB1493_550
; %bb.552:                              ;   in Loop: Header=BB1493_551 Depth=1
	v_lshl_add_u64 v[16:17], v[16:17], 0, -1
	v_cmp_eq_u64_e64 s[0:1], 0, v[16:17]
	s_andn2_b64 s[4:5], s[30:31], exec
	s_and_b64 s[30:31], s[38:39], exec
	s_or_b64 s[30:31], s[4:5], s[30:31]
	s_andn2_b64 s[4:5], s[28:29], exec
	s_and_b64 s[0:1], s[0:1], exec
	v_lshl_add_u64 v[12:13], v[12:13], 0, 4
	v_lshl_add_u64 v[14:15], v[14:15], 0, 4
	s_andn2_b64 s[2:3], s[2:3], exec
	s_or_b64 s[28:29], s[4:5], s[0:1]
                                        ; implicit-def: $sgpr34_sgpr35
	s_branch .LBB1493_550
.LBB1493_553:
	s_or_b64 exec, exec, s[24:25]
	s_and_b64 s[0:1], s[26:27], exec
.LBB1493_554:
	s_or_b64 exec, exec, s[22:23]
	s_xor_b64 s[0:1], s[0:1], -1
	s_and_b64 s[2:3], s[0:1], exec
.LBB1493_555:
	s_or_b64 exec, exec, s[16:17]
	s_orn2_b64 s[16:17], s[2:3], exec
.LBB1493_556:
	s_or_b64 exec, exec, s[20:21]
	v_cndmask_b32_e64 v12, v18, v19, s[16:17]
	v_cndmask_b32_e64 v13, v97, v96, s[16:17]
	v_add_u32_e32 v16, 1, v12
	v_add_u32_e32 v12, -1, v13
	v_min_u32_e32 v12, v16, v12
	v_mov_b32_e32 v13, 0
	v_lshl_add_u64 v[14:15], v[12:13], 3, v[54:55]
	flat_load_dwordx2 v[14:15], v[14:15]
	v_cndmask_b32_e64 v71, v16, v18, s[16:17]
	s_mov_b64 s[20:21], -1
	v_cndmask_b32_e64 v80, v19, v16, s[16:17]
	v_cmp_lt_u32_e64 s[0:1], v71, v97
	s_mov_b64 s[22:23], -1
	s_waitcnt vmcnt(0) lgkmcnt(0)
	v_cndmask_b32_e64 v67, v15, v23, s[16:17]
	v_cndmask_b32_e64 v68, v14, v64, s[16:17]
	;; [unrolled: 1-line block ×4, first 2 shown]
	s_and_saveexec_b64 s[24:25], s[0:1]
	s_cbranch_execz .LBB1493_566
; %bb.557:
	v_cmp_lt_u32_e64 s[0:1], v80, v96
	s_mov_b64 s[2:3], 0
	s_and_saveexec_b64 s[22:23], s[0:1]
	s_cbranch_execz .LBB1493_565
; %bb.558:
	s_mov_b64 s[0:1], -1
	s_and_saveexec_b64 s[26:27], vcc
	s_cbranch_execz .LBB1493_564
; %bb.559:
	v_mul_lo_u32 v12, v69, v6
	v_mul_lo_u32 v16, v70, v7
	v_mad_u64_u32 v[14:15], s[0:1], v70, v6, 0
	v_add3_u32 v15, v15, v16, v12
	v_mul_lo_u32 v12, v67, v6
	v_mul_lo_u32 v18, v68, v7
	v_mad_u64_u32 v[16:17], s[0:1], v68, v6, 0
	v_add3_u32 v17, v17, v18, v12
	v_lshl_add_u64 v[14:15], v[14:15], 2, v[8:9]
	v_lshl_add_u64 v[16:17], v[16:17], 2, v[8:9]
	s_mov_b64 s[28:29], 0
	v_mov_b64_e32 v[18:19], v[6:7]
                                        ; implicit-def: $sgpr30_sgpr31
                                        ; implicit-def: $sgpr34_sgpr35
                                        ; implicit-def: $sgpr2_sgpr3
                                        ; implicit-def: $sgpr36_sgpr37
                                        ; implicit-def: $sgpr38_sgpr39
	s_branch .LBB1493_561
.LBB1493_560:                           ;   in Loop: Header=BB1493_561 Depth=1
	s_or_b64 exec, exec, s[40:41]
	s_and_b64 s[0:1], exec, s[34:35]
	s_or_b64 s[28:29], s[0:1], s[28:29]
	s_andn2_b64 s[0:1], s[38:39], exec
	s_and_b64 s[4:5], s[36:37], exec
	s_or_b64 s[38:39], s[0:1], s[4:5]
	s_andn2_b64 s[0:1], s[30:31], exec
	s_and_b64 s[4:5], s[2:3], exec
	s_or_b64 s[30:31], s[0:1], s[4:5]
	s_andn2_b64 exec, exec, s[28:29]
	s_cbranch_execz .LBB1493_563
.LBB1493_561:                           ; =>This Inner Loop Header: Depth=1
	flat_load_dword v12, v[16:17]
	flat_load_dword v81, v[14:15]
	s_andn2_b64 s[40:41], s[2:3], exec
	s_andn2_b64 s[36:37], s[36:37], exec
	s_or_b64 s[34:35], s[34:35], exec
	s_waitcnt vmcnt(0) lgkmcnt(0)
	v_cmp_le_u32_e64 s[2:3], v12, v81
	v_cmp_lt_u32_e64 s[0:1], v12, v81
	s_and_b64 s[2:3], s[2:3], s[38:39]
	s_or_b64 s[42:43], s[0:1], s[2:3]
	s_and_b64 s[0:1], s[42:43], exec
	v_cmp_eq_u32_e64 s[4:5], v12, v81
	s_or_b64 s[2:3], s[40:41], s[0:1]
	s_and_saveexec_b64 s[40:41], s[4:5]
	s_cbranch_execz .LBB1493_560
; %bb.562:                              ;   in Loop: Header=BB1493_561 Depth=1
	v_lshl_add_u64 v[18:19], v[18:19], 0, -1
	v_cmp_eq_u64_e64 s[0:1], 0, v[18:19]
	s_andn2_b64 s[4:5], s[36:37], exec
	s_and_b64 s[36:37], s[42:43], exec
	s_or_b64 s[36:37], s[4:5], s[36:37]
	s_andn2_b64 s[4:5], s[34:35], exec
	s_and_b64 s[0:1], s[0:1], exec
	v_lshl_add_u64 v[14:15], v[14:15], 0, 4
	v_lshl_add_u64 v[16:17], v[16:17], 0, 4
	s_andn2_b64 s[2:3], s[2:3], exec
	s_or_b64 s[34:35], s[4:5], s[0:1]
                                        ; implicit-def: $sgpr38_sgpr39
	s_branch .LBB1493_560
.LBB1493_563:
	s_or_b64 exec, exec, s[28:29]
	s_xor_b64 s[0:1], s[30:31], -1
	s_orn2_b64 s[0:1], s[0:1], exec
.LBB1493_564:
	s_or_b64 exec, exec, s[26:27]
	s_and_b64 s[2:3], s[0:1], exec
.LBB1493_565:
	s_or_b64 exec, exec, s[22:23]
	s_orn2_b64 s[22:23], s[2:3], exec
.LBB1493_566:
	s_or_b64 exec, exec, s[24:25]
	v_cndmask_b32_e64 v12, v71, v80, s[22:23]
	v_cndmask_b32_e64 v14, v97, v96, s[22:23]
	v_add_u32_e32 v15, 1, v12
	v_add_u32_e32 v12, -1, v14
	v_min_u32_e32 v12, v15, v12
	v_lshl_add_u64 v[12:13], v[12:13], 3, v[54:55]
	flat_load_dwordx2 v[12:13], v[12:13]
	v_cndmask_b32_e64 v18, v15, v71, s[22:23]
	v_cndmask_b32_e64 v19, v80, v15, s[22:23]
	v_cmp_lt_u32_e64 s[0:1], v18, v97
	s_waitcnt vmcnt(0) lgkmcnt(0)
	v_cndmask_b32_e64 v71, v13, v67, s[22:23]
	v_cndmask_b32_e64 v80, v12, v68, s[22:23]
	;; [unrolled: 1-line block ×4, first 2 shown]
	s_and_saveexec_b64 s[24:25], s[0:1]
	s_cbranch_execz .LBB1493_576
; %bb.567:
	v_cmp_lt_u32_e64 s[0:1], v19, v96
	s_mov_b64 s[2:3], 0
	s_and_saveexec_b64 s[20:21], s[0:1]
	s_cbranch_execz .LBB1493_575
; %bb.568:
	s_mov_b64 s[0:1], -1
	s_and_saveexec_b64 s[26:27], vcc
	s_cbranch_execz .LBB1493_574
; %bb.569:
	v_mul_lo_u32 v14, v81, v6
	v_mul_lo_u32 v15, v82, v7
	v_mad_u64_u32 v[12:13], s[0:1], v82, v6, 0
	v_add3_u32 v13, v13, v15, v14
	v_mul_lo_u32 v16, v71, v6
	v_mul_lo_u32 v17, v80, v7
	v_mad_u64_u32 v[14:15], s[0:1], v80, v6, 0
	v_add3_u32 v15, v15, v17, v16
	v_lshl_add_u64 v[12:13], v[12:13], 2, v[8:9]
	v_lshl_add_u64 v[14:15], v[14:15], 2, v[8:9]
	s_mov_b64 s[28:29], 0
	v_mov_b64_e32 v[16:17], v[6:7]
                                        ; implicit-def: $sgpr30_sgpr31
                                        ; implicit-def: $sgpr34_sgpr35
                                        ; implicit-def: $sgpr2_sgpr3
                                        ; implicit-def: $sgpr36_sgpr37
                                        ; implicit-def: $sgpr38_sgpr39
	s_branch .LBB1493_571
.LBB1493_570:                           ;   in Loop: Header=BB1493_571 Depth=1
	s_or_b64 exec, exec, s[40:41]
	s_and_b64 s[0:1], exec, s[34:35]
	s_or_b64 s[28:29], s[0:1], s[28:29]
	s_andn2_b64 s[0:1], s[38:39], exec
	s_and_b64 s[4:5], s[36:37], exec
	s_or_b64 s[38:39], s[0:1], s[4:5]
	s_andn2_b64 s[0:1], s[30:31], exec
	s_and_b64 s[4:5], s[2:3], exec
	s_or_b64 s[30:31], s[0:1], s[4:5]
	s_andn2_b64 exec, exec, s[28:29]
	s_cbranch_execz .LBB1493_573
.LBB1493_571:                           ; =>This Inner Loop Header: Depth=1
	flat_load_dword v83, v[14:15]
	flat_load_dword v84, v[12:13]
	s_andn2_b64 s[40:41], s[2:3], exec
	s_andn2_b64 s[36:37], s[36:37], exec
	s_or_b64 s[34:35], s[34:35], exec
	s_waitcnt vmcnt(0) lgkmcnt(0)
	v_cmp_le_u32_e64 s[2:3], v83, v84
	v_cmp_lt_u32_e64 s[0:1], v83, v84
	s_and_b64 s[2:3], s[2:3], s[38:39]
	s_or_b64 s[42:43], s[0:1], s[2:3]
	s_and_b64 s[0:1], s[42:43], exec
	v_cmp_eq_u32_e64 s[4:5], v83, v84
	s_or_b64 s[2:3], s[40:41], s[0:1]
	s_and_saveexec_b64 s[40:41], s[4:5]
	s_cbranch_execz .LBB1493_570
; %bb.572:                              ;   in Loop: Header=BB1493_571 Depth=1
	v_lshl_add_u64 v[16:17], v[16:17], 0, -1
	v_cmp_eq_u64_e64 s[0:1], 0, v[16:17]
	s_andn2_b64 s[4:5], s[36:37], exec
	s_and_b64 s[36:37], s[42:43], exec
	s_or_b64 s[36:37], s[4:5], s[36:37]
	s_andn2_b64 s[4:5], s[34:35], exec
	s_and_b64 s[0:1], s[0:1], exec
	v_lshl_add_u64 v[12:13], v[12:13], 0, 4
	v_lshl_add_u64 v[14:15], v[14:15], 0, 4
	s_andn2_b64 s[2:3], s[2:3], exec
	s_or_b64 s[34:35], s[4:5], s[0:1]
                                        ; implicit-def: $sgpr38_sgpr39
	s_branch .LBB1493_570
.LBB1493_573:
	s_or_b64 exec, exec, s[28:29]
	s_xor_b64 s[0:1], s[30:31], -1
	s_orn2_b64 s[0:1], s[0:1], exec
.LBB1493_574:
	s_or_b64 exec, exec, s[26:27]
	s_and_b64 s[2:3], s[0:1], exec
.LBB1493_575:
	s_or_b64 exec, exec, s[20:21]
	s_orn2_b64 s[20:21], s[2:3], exec
.LBB1493_576:
	s_or_b64 exec, exec, s[24:25]
	v_cndmask_b32_e64 v12, v18, v19, s[20:21]
	v_cndmask_b32_e64 v13, v97, v96, s[20:21]
	v_add_u32_e32 v16, 1, v12
	v_add_u32_e32 v12, -1, v13
	v_min_u32_e32 v12, v16, v12
	v_mov_b32_e32 v13, 0
	v_lshl_add_u64 v[14:15], v[12:13], 3, v[54:55]
	flat_load_dwordx2 v[14:15], v[14:15]
	v_cndmask_b32_e64 v87, v16, v18, s[20:21]
	s_mov_b64 s[24:25], -1
	v_cndmask_b32_e64 v98, v19, v16, s[20:21]
	v_cmp_lt_u32_e64 s[0:1], v87, v97
	s_mov_b64 s[26:27], -1
	s_waitcnt vmcnt(0) lgkmcnt(0)
	v_cndmask_b32_e64 v83, v15, v71, s[20:21]
	v_cndmask_b32_e64 v84, v14, v80, s[20:21]
	v_cndmask_b32_e64 v85, v81, v15, s[20:21]
	v_cndmask_b32_e64 v86, v82, v14, s[20:21]
	s_and_saveexec_b64 s[28:29], s[0:1]
	s_cbranch_execz .LBB1493_586
; %bb.577:
	v_cmp_lt_u32_e64 s[0:1], v98, v96
	s_mov_b64 s[2:3], 0
	s_and_saveexec_b64 s[26:27], s[0:1]
	s_cbranch_execz .LBB1493_585
; %bb.578:
	s_mov_b64 s[0:1], -1
	s_and_saveexec_b64 s[30:31], vcc
	s_cbranch_execz .LBB1493_584
; %bb.579:
	v_mul_lo_u32 v12, v85, v6
	v_mul_lo_u32 v16, v86, v7
	v_mad_u64_u32 v[14:15], s[0:1], v86, v6, 0
	v_add3_u32 v15, v15, v16, v12
	v_mul_lo_u32 v12, v83, v6
	v_mul_lo_u32 v18, v84, v7
	v_mad_u64_u32 v[16:17], s[0:1], v84, v6, 0
	v_add3_u32 v17, v17, v18, v12
	v_lshl_add_u64 v[14:15], v[14:15], 2, v[8:9]
	v_lshl_add_u64 v[16:17], v[16:17], 2, v[8:9]
	s_mov_b64 s[34:35], 0
	v_mov_b64_e32 v[18:19], v[6:7]
                                        ; implicit-def: $sgpr36_sgpr37
                                        ; implicit-def: $sgpr38_sgpr39
                                        ; implicit-def: $sgpr2_sgpr3
                                        ; implicit-def: $sgpr40_sgpr41
                                        ; implicit-def: $sgpr42_sgpr43
	s_branch .LBB1493_581
.LBB1493_580:                           ;   in Loop: Header=BB1493_581 Depth=1
	s_or_b64 exec, exec, s[44:45]
	s_and_b64 s[0:1], exec, s[38:39]
	s_or_b64 s[34:35], s[0:1], s[34:35]
	s_andn2_b64 s[0:1], s[42:43], exec
	s_and_b64 s[4:5], s[40:41], exec
	s_or_b64 s[42:43], s[0:1], s[4:5]
	s_andn2_b64 s[0:1], s[36:37], exec
	s_and_b64 s[4:5], s[2:3], exec
	s_or_b64 s[36:37], s[0:1], s[4:5]
	s_andn2_b64 exec, exec, s[34:35]
	s_cbranch_execz .LBB1493_583
.LBB1493_581:                           ; =>This Inner Loop Header: Depth=1
	flat_load_dword v12, v[16:17]
	flat_load_dword v99, v[14:15]
	s_andn2_b64 s[44:45], s[2:3], exec
	s_andn2_b64 s[40:41], s[40:41], exec
	s_or_b64 s[38:39], s[38:39], exec
	s_waitcnt vmcnt(0) lgkmcnt(0)
	v_cmp_le_u32_e64 s[2:3], v12, v99
	v_cmp_lt_u32_e64 s[0:1], v12, v99
	s_and_b64 s[2:3], s[2:3], s[42:43]
	s_or_b64 s[46:47], s[0:1], s[2:3]
	s_and_b64 s[0:1], s[46:47], exec
	v_cmp_eq_u32_e64 s[4:5], v12, v99
	s_or_b64 s[2:3], s[44:45], s[0:1]
	s_and_saveexec_b64 s[44:45], s[4:5]
	s_cbranch_execz .LBB1493_580
; %bb.582:                              ;   in Loop: Header=BB1493_581 Depth=1
	v_lshl_add_u64 v[18:19], v[18:19], 0, -1
	v_cmp_eq_u64_e64 s[0:1], 0, v[18:19]
	s_andn2_b64 s[4:5], s[40:41], exec
	s_and_b64 s[40:41], s[46:47], exec
	s_or_b64 s[40:41], s[4:5], s[40:41]
	s_andn2_b64 s[4:5], s[38:39], exec
	s_and_b64 s[0:1], s[0:1], exec
	v_lshl_add_u64 v[14:15], v[14:15], 0, 4
	v_lshl_add_u64 v[16:17], v[16:17], 0, 4
	s_andn2_b64 s[2:3], s[2:3], exec
	s_or_b64 s[38:39], s[4:5], s[0:1]
                                        ; implicit-def: $sgpr42_sgpr43
	s_branch .LBB1493_580
.LBB1493_583:
	s_or_b64 exec, exec, s[34:35]
	s_xor_b64 s[0:1], s[36:37], -1
	s_orn2_b64 s[0:1], s[0:1], exec
.LBB1493_584:
	s_or_b64 exec, exec, s[30:31]
	s_and_b64 s[2:3], s[0:1], exec
.LBB1493_585:
	s_or_b64 exec, exec, s[26:27]
	s_orn2_b64 s[26:27], s[2:3], exec
.LBB1493_586:
	s_or_b64 exec, exec, s[28:29]
	v_cndmask_b32_e64 v12, v87, v98, s[26:27]
	v_cndmask_b32_e64 v14, v97, v96, s[26:27]
	v_add_u32_e32 v15, 1, v12
	v_add_u32_e32 v12, -1, v14
	v_min_u32_e32 v12, v15, v12
	v_lshl_add_u64 v[12:13], v[12:13], 3, v[54:55]
	flat_load_dwordx2 v[12:13], v[12:13]
	v_cndmask_b32_e64 v100, v15, v87, s[26:27]
	v_cndmask_b32_e64 v87, v98, v15, s[26:27]
	v_cmp_lt_u32_e64 s[0:1], v100, v97
	s_waitcnt vmcnt(0) lgkmcnt(0)
	v_cndmask_b32_e64 v98, v13, v83, s[26:27]
	v_cndmask_b32_e64 v99, v12, v84, s[26:27]
	;; [unrolled: 1-line block ×4, first 2 shown]
	s_and_saveexec_b64 s[28:29], s[0:1]
	s_cbranch_execz .LBB1493_596
; %bb.587:
	v_cmp_lt_u32_e64 s[0:1], v87, v96
	s_mov_b64 s[2:3], 0
	s_and_saveexec_b64 s[24:25], s[0:1]
	s_cbranch_execz .LBB1493_595
; %bb.588:
	s_mov_b64 s[0:1], -1
	s_and_saveexec_b64 s[30:31], vcc
	s_cbranch_execz .LBB1493_594
; %bb.589:
	v_mul_lo_u32 v14, v101, v6
	v_mul_lo_u32 v15, v102, v7
	v_mad_u64_u32 v[12:13], s[0:1], v102, v6, 0
	v_add3_u32 v13, v13, v15, v14
	v_mul_lo_u32 v16, v98, v6
	v_mul_lo_u32 v17, v99, v7
	v_mad_u64_u32 v[14:15], s[0:1], v99, v6, 0
	v_add3_u32 v15, v15, v17, v16
	v_lshl_add_u64 v[12:13], v[12:13], 2, v[8:9]
	v_lshl_add_u64 v[14:15], v[14:15], 2, v[8:9]
	s_mov_b64 s[34:35], 0
	v_mov_b64_e32 v[16:17], v[6:7]
                                        ; implicit-def: $sgpr36_sgpr37
                                        ; implicit-def: $sgpr38_sgpr39
                                        ; implicit-def: $sgpr2_sgpr3
                                        ; implicit-def: $sgpr40_sgpr41
                                        ; implicit-def: $sgpr42_sgpr43
	s_branch .LBB1493_591
.LBB1493_590:                           ;   in Loop: Header=BB1493_591 Depth=1
	s_or_b64 exec, exec, s[44:45]
	s_and_b64 s[0:1], exec, s[38:39]
	s_or_b64 s[34:35], s[0:1], s[34:35]
	s_andn2_b64 s[0:1], s[42:43], exec
	s_and_b64 s[4:5], s[40:41], exec
	s_or_b64 s[42:43], s[0:1], s[4:5]
	s_andn2_b64 s[0:1], s[36:37], exec
	s_and_b64 s[4:5], s[2:3], exec
	s_or_b64 s[36:37], s[0:1], s[4:5]
	s_andn2_b64 exec, exec, s[34:35]
	s_cbranch_execz .LBB1493_593
.LBB1493_591:                           ; =>This Inner Loop Header: Depth=1
	flat_load_dword v18, v[14:15]
	flat_load_dword v19, v[12:13]
	s_andn2_b64 s[44:45], s[2:3], exec
	s_andn2_b64 s[40:41], s[40:41], exec
	s_or_b64 s[38:39], s[38:39], exec
	s_waitcnt vmcnt(0) lgkmcnt(0)
	v_cmp_le_u32_e64 s[2:3], v18, v19
	v_cmp_lt_u32_e64 s[0:1], v18, v19
	s_and_b64 s[2:3], s[2:3], s[42:43]
	s_or_b64 s[46:47], s[0:1], s[2:3]
	s_and_b64 s[0:1], s[46:47], exec
	v_cmp_eq_u32_e64 s[4:5], v18, v19
	s_or_b64 s[2:3], s[44:45], s[0:1]
	s_and_saveexec_b64 s[44:45], s[4:5]
	s_cbranch_execz .LBB1493_590
; %bb.592:                              ;   in Loop: Header=BB1493_591 Depth=1
	v_lshl_add_u64 v[16:17], v[16:17], 0, -1
	v_cmp_eq_u64_e64 s[0:1], 0, v[16:17]
	s_andn2_b64 s[4:5], s[40:41], exec
	s_and_b64 s[40:41], s[46:47], exec
	s_or_b64 s[40:41], s[4:5], s[40:41]
	s_andn2_b64 s[4:5], s[38:39], exec
	s_and_b64 s[0:1], s[0:1], exec
	v_lshl_add_u64 v[12:13], v[12:13], 0, 4
	v_lshl_add_u64 v[14:15], v[14:15], 0, 4
	s_andn2_b64 s[2:3], s[2:3], exec
	s_or_b64 s[38:39], s[4:5], s[0:1]
                                        ; implicit-def: $sgpr42_sgpr43
	s_branch .LBB1493_590
.LBB1493_593:
	s_or_b64 exec, exec, s[34:35]
	s_xor_b64 s[0:1], s[36:37], -1
	s_orn2_b64 s[0:1], s[0:1], exec
.LBB1493_594:
	s_or_b64 exec, exec, s[30:31]
	s_and_b64 s[2:3], s[0:1], exec
.LBB1493_595:
	s_or_b64 exec, exec, s[24:25]
	s_orn2_b64 s[24:25], s[2:3], exec
.LBB1493_596:
	s_or_b64 exec, exec, s[28:29]
	v_cndmask_b32_e64 v12, v100, v87, s[24:25]
	v_cndmask_b32_e64 v13, v97, v96, s[24:25]
	v_add_u32_e32 v103, 1, v12
	v_add_u32_e32 v12, -1, v13
	v_min_u32_e32 v12, v103, v12
	v_mov_b32_e32 v13, 0
	v_lshl_add_u64 v[12:13], v[12:13], 3, v[54:55]
	flat_load_dwordx2 v[54:55], v[12:13]
	v_cndmask_b32_e64 v17, v23, v65, s[16:17]
	v_cndmask_b32_e64 v23, v20, v22, s[18:19]
	;; [unrolled: 1-line block ×15, first 2 shown]
	v_cmp_lt_u32_e64 s[0:1], v31, v97
	s_waitcnt vmcnt(0) lgkmcnt(0)
	v_cndmask_b32_e64 v3, v101, v55, s[24:25]
	v_cndmask_b32_e64 v2, v102, v54, s[24:25]
	s_and_saveexec_b64 s[14:15], s[0:1]
	s_cbranch_execz .LBB1493_606
; %bb.597:
	v_cndmask_b32_e64 v31, v87, v103, s[24:25]
	v_cndmask_b32_e64 v55, v55, v98, s[24:25]
	;; [unrolled: 1-line block ×3, first 2 shown]
	v_cmp_lt_u32_e64 s[0:1], v31, v96
	s_and_saveexec_b64 s[16:17], s[0:1]
	s_cbranch_execz .LBB1493_605
; %bb.598:
	s_and_saveexec_b64 s[18:19], vcc
	s_cbranch_execz .LBB1493_604
; %bb.599:
	v_mul_lo_u32 v31, v3, v6
	v_mul_lo_u32 v66, v2, v7
	v_mad_u64_u32 v[64:65], s[0:1], v2, v6, 0
	v_add3_u32 v65, v65, v66, v31
	v_mul_lo_u32 v31, v55, v6
	v_mul_lo_u32 v68, v54, v7
	v_mad_u64_u32 v[66:67], s[0:1], v54, v6, 0
	v_add3_u32 v67, v67, v68, v31
	v_lshl_add_u64 v[64:65], v[64:65], 2, v[8:9]
	v_lshl_add_u64 v[66:67], v[66:67], 2, v[8:9]
	s_mov_b64 s[20:21], 0
	v_mov_b64_e32 v[68:69], v[6:7]
                                        ; implicit-def: $sgpr22_sgpr23
                                        ; implicit-def: $sgpr24_sgpr25
                                        ; implicit-def: $sgpr2_sgpr3
                                        ; implicit-def: $sgpr26_sgpr27
                                        ; implicit-def: $sgpr28_sgpr29
	s_branch .LBB1493_601
.LBB1493_600:                           ;   in Loop: Header=BB1493_601 Depth=1
	s_or_b64 exec, exec, s[30:31]
	s_and_b64 s[0:1], exec, s[24:25]
	s_or_b64 s[20:21], s[0:1], s[20:21]
	s_andn2_b64 s[0:1], s[28:29], exec
	s_and_b64 s[4:5], s[26:27], exec
	s_or_b64 s[28:29], s[0:1], s[4:5]
	s_andn2_b64 s[0:1], s[22:23], exec
	s_and_b64 s[4:5], s[2:3], exec
	s_or_b64 s[22:23], s[0:1], s[4:5]
	s_andn2_b64 exec, exec, s[20:21]
	s_cbranch_execz .LBB1493_603
.LBB1493_601:                           ; =>This Inner Loop Header: Depth=1
	flat_load_dword v31, v[66:67]
	flat_load_dword v70, v[64:65]
	s_andn2_b64 s[30:31], s[2:3], exec
	s_andn2_b64 s[26:27], s[26:27], exec
	s_or_b64 s[24:25], s[24:25], exec
	s_waitcnt vmcnt(0) lgkmcnt(0)
	v_cmp_le_u32_e64 s[2:3], v31, v70
	v_cmp_lt_u32_e64 s[0:1], v31, v70
	s_and_b64 s[2:3], s[2:3], s[28:29]
	s_or_b64 s[34:35], s[0:1], s[2:3]
	s_and_b64 s[0:1], s[34:35], exec
	v_cmp_eq_u32_e64 s[4:5], v31, v70
	s_or_b64 s[2:3], s[30:31], s[0:1]
	s_and_saveexec_b64 s[30:31], s[4:5]
	s_cbranch_execz .LBB1493_600
; %bb.602:                              ;   in Loop: Header=BB1493_601 Depth=1
	v_lshl_add_u64 v[68:69], v[68:69], 0, -1
	v_cmp_eq_u64_e64 s[0:1], 0, v[68:69]
	s_andn2_b64 s[4:5], s[26:27], exec
	s_and_b64 s[26:27], s[34:35], exec
	s_or_b64 s[26:27], s[4:5], s[26:27]
	s_andn2_b64 s[4:5], s[24:25], exec
	s_and_b64 s[0:1], s[0:1], exec
	v_lshl_add_u64 v[64:65], v[64:65], 0, 4
	v_lshl_add_u64 v[66:67], v[66:67], 0, 4
	s_andn2_b64 s[2:3], s[2:3], exec
	s_or_b64 s[24:25], s[4:5], s[0:1]
                                        ; implicit-def: $sgpr28_sgpr29
	s_branch .LBB1493_600
.LBB1493_603:
	s_or_b64 exec, exec, s[20:21]
	v_cndmask_b32_e64 v3, v3, v55, s[22:23]
	v_cndmask_b32_e64 v2, v2, v54, s[22:23]
.LBB1493_604:
	s_or_b64 exec, exec, s[18:19]
	v_mov_b64_e32 v[54:55], v[2:3]
.LBB1493_605:
	s_or_b64 exec, exec, s[16:17]
	v_mov_b64_e32 v[2:3], v[54:55]
.LBB1493_606:
	s_or_b64 exec, exec, s[14:15]
.LBB1493_607:
	s_or_b64 exec, exec, s[10:11]
	v_lshlrev_b32_e32 v54, 3, v30
	v_mov_b32_e32 v55, 0
	v_lshl_add_u64 v[64:65], v[10:11], 0, v[54:55]
	v_lshlrev_b64 v[66:67], 2, v[6:7]
	s_movk_i32 s50, 0x80
	; wave barrier
	s_waitcnt lgkmcnt(0)
	s_barrier
.LBB1493_608:                           ; =>This Loop Header: Depth=1
                                        ;     Child Loop BB1493_612 Depth 2
                                        ;       Child Loop BB1493_615 Depth 3
                                        ;     Child Loop BB1493_627 Depth 2
                                        ;     Child Loop BB1493_636 Depth 2
	;; [unrolled: 1-line block ×8, first 2 shown]
	s_lshl_b32 s51, s50, 1
	s_sub_i32 s1, 0, s51
	v_and_b32_e32 v97, s1, v30
	v_add_u32_e32 v31, s50, v97
	v_min_u32_e32 v31, 0x800, v31
	s_add_i32 s0, s51, -1
	v_add_u32_e32 v54, s50, v31
	v_min_u32_e32 v96, 0x800, v54
	v_and_b32_e32 v54, s0, v30
	v_min_u32_e32 v98, 0x800, v54
	v_sub_u32_e32 v54, v31, v97
	v_sub_u32_e32 v68, v96, v31
	v_sub_u32_e64 v99, v98, v68 clamp
	v_min_u32_e32 v100, v98, v54
	v_cmp_lt_u32_e64 s[0:1], v99, v100
	flat_store_dwordx4 v[64:65], v[20:23]
	flat_store_dwordx4 v[64:65], v[16:19] offset:16
	flat_store_dwordx4 v[64:65], v[12:15] offset:32
	;; [unrolled: 1-line block ×3, first 2 shown]
	s_waitcnt lgkmcnt(0)
	s_barrier
	s_and_saveexec_b64 s[10:11], s[0:1]
	s_cbranch_execz .LBB1493_618
; %bb.609:                              ;   in Loop: Header=BB1493_608 Depth=1
	v_lshlrev_b32_e32 v54, 3, v97
	v_lshl_add_u64 v[68:69], v[10:11], 0, v[54:55]
	v_lshlrev_b32_e32 v54, 3, v31
	v_lshl_add_u64 v[70:71], v[10:11], 0, v[54:55]
	s_mov_b64 s[14:15], 0
	s_branch .LBB1493_612
.LBB1493_610:                           ;   in Loop: Header=BB1493_612 Depth=2
	s_or_b64 exec, exec, s[18:19]
	s_and_b64 s[0:1], s[20:21], exec
.LBB1493_611:                           ;   in Loop: Header=BB1493_612 Depth=2
	s_or_b64 exec, exec, s[16:17]
	v_add_u32_e32 v54, 1, v80
	v_cndmask_b32_e64 v100, v100, v80, s[0:1]
	v_cndmask_b32_e64 v99, v54, v99, s[0:1]
	v_cmp_ge_u32_e64 s[0:1], v99, v100
	s_or_b64 s[14:15], s[0:1], s[14:15]
	s_andn2_b64 exec, exec, s[14:15]
	s_cbranch_execz .LBB1493_617
.LBB1493_612:                           ;   Parent Loop BB1493_608 Depth=1
                                        ; =>  This Loop Header: Depth=2
                                        ;       Child Loop BB1493_615 Depth 3
	v_add_u32_e32 v54, v100, v99
	v_lshrrev_b32_e32 v80, 1, v54
	s_mov_b64 s[0:1], 0
	s_and_saveexec_b64 s[16:17], vcc
	s_cbranch_execz .LBB1493_611
; %bb.613:                              ;   in Loop: Header=BB1493_612 Depth=2
	v_mov_b32_e32 v81, v55
	v_xad_u32 v54, v80, -1, v98
	v_lshl_add_u64 v[82:83], v[80:81], 3, v[68:69]
	v_lshl_add_u64 v[84:85], v[54:55], 3, v[70:71]
	flat_load_dwordx2 v[82:83], v[82:83]
	s_mov_b64 s[18:19], 0
	flat_load_dwordx2 v[84:85], v[84:85]
                                        ; implicit-def: $sgpr20_sgpr21
                                        ; implicit-def: $sgpr22_sgpr23
                                        ; implicit-def: $sgpr24_sgpr25
                                        ; implicit-def: $sgpr2_sgpr3
                                        ; implicit-def: $sgpr26_sgpr27
	s_waitcnt vmcnt(0) lgkmcnt(0)
	v_mul_lo_u32 v54, v66, v83
	v_mul_lo_u32 v81, v67, v82
	v_mad_u64_u32 v[82:83], s[0:1], v66, v82, v[8:9]
	v_mul_lo_u32 v86, v66, v85
	v_mul_lo_u32 v87, v67, v84
	v_mad_u64_u32 v[84:85], s[0:1], v66, v84, v[8:9]
	v_add3_u32 v83, v81, v83, v54
	v_add3_u32 v85, v87, v85, v86
	v_mov_b64_e32 v[86:87], v[6:7]
	s_branch .LBB1493_615
.LBB1493_614:                           ;   in Loop: Header=BB1493_615 Depth=3
	s_or_b64 exec, exec, s[28:29]
	s_and_b64 s[0:1], exec, s[22:23]
	s_or_b64 s[18:19], s[0:1], s[18:19]
	s_andn2_b64 s[0:1], s[26:27], exec
	s_and_b64 s[4:5], s[24:25], exec
	s_or_b64 s[26:27], s[0:1], s[4:5]
	s_andn2_b64 s[0:1], s[20:21], exec
	s_and_b64 s[4:5], s[2:3], exec
	s_or_b64 s[20:21], s[0:1], s[4:5]
	s_andn2_b64 exec, exec, s[18:19]
	s_cbranch_execz .LBB1493_610
.LBB1493_615:                           ;   Parent Loop BB1493_608 Depth=1
                                        ;     Parent Loop BB1493_612 Depth=2
                                        ; =>    This Inner Loop Header: Depth=3
	flat_load_dword v54, v[84:85]
	flat_load_dword v81, v[82:83]
	s_andn2_b64 s[28:29], s[2:3], exec
	s_andn2_b64 s[24:25], s[24:25], exec
	s_or_b64 s[22:23], s[22:23], exec
	s_waitcnt vmcnt(0) lgkmcnt(0)
	v_cmp_le_u32_e64 s[2:3], v54, v81
	v_cmp_lt_u32_e64 s[0:1], v54, v81
	s_and_b64 s[2:3], s[2:3], s[26:27]
	s_or_b64 s[30:31], s[0:1], s[2:3]
	s_and_b64 s[0:1], s[30:31], exec
	v_cmp_eq_u32_e64 s[4:5], v54, v81
	s_or_b64 s[2:3], s[28:29], s[0:1]
	s_and_saveexec_b64 s[28:29], s[4:5]
	s_cbranch_execz .LBB1493_614
; %bb.616:                              ;   in Loop: Header=BB1493_615 Depth=3
	v_lshl_add_u64 v[86:87], v[86:87], 0, -1
	v_cmp_eq_u64_e64 s[0:1], 0, v[86:87]
	s_andn2_b64 s[4:5], s[24:25], exec
	s_and_b64 s[24:25], s[30:31], exec
	s_or_b64 s[24:25], s[4:5], s[24:25]
	s_andn2_b64 s[4:5], s[22:23], exec
	s_and_b64 s[0:1], s[0:1], exec
	v_lshl_add_u64 v[82:83], v[82:83], 0, 4
	v_lshl_add_u64 v[84:85], v[84:85], 0, 4
	s_andn2_b64 s[2:3], s[2:3], exec
	s_or_b64 s[22:23], s[4:5], s[0:1]
                                        ; implicit-def: $sgpr26_sgpr27
	s_branch .LBB1493_614
.LBB1493_617:                           ;   in Loop: Header=BB1493_608 Depth=1
	s_or_b64 exec, exec, s[14:15]
.LBB1493_618:                           ;   in Loop: Header=BB1493_608 Depth=1
	s_or_b64 exec, exec, s[10:11]
	v_sub_u32_e32 v54, v98, v99
	v_add_u32_e32 v68, v99, v97
	v_add_u32_e32 v70, v54, v31
	v_cmp_le_u32_e64 s[0:1], v68, v31
	v_cmp_le_u32_e64 s[2:3], v70, v96
	s_or_b64 s[0:1], s[0:1], s[2:3]
	s_and_saveexec_b64 s[10:11], s[0:1]
	s_cbranch_execz .LBB1493_702
; %bb.619:                              ;   in Loop: Header=BB1493_608 Depth=1
	v_cmp_ge_u32_e64 s[0:1], v68, v31
	v_cmp_lt_u32_e64 s[2:3], v68, v31
                                        ; implicit-def: $vgpr0_vgpr1
	s_and_saveexec_b64 s[4:5], s[2:3]
	s_cbranch_execz .LBB1493_621
; %bb.620:                              ;   in Loop: Header=BB1493_608 Depth=1
	v_mov_b32_e32 v69, v55
	v_lshl_add_u64 v[0:1], v[68:69], 3, v[10:11]
	flat_load_dwordx2 v[0:1], v[0:1]
.LBB1493_621:                           ;   in Loop: Header=BB1493_608 Depth=1
	s_or_b64 exec, exec, s[4:5]
	v_cmp_ge_u32_e64 s[14:15], v70, v96
	v_cmp_lt_u32_e64 s[2:3], v70, v96
                                        ; implicit-def: $vgpr20_vgpr21
	s_and_saveexec_b64 s[4:5], s[2:3]
	s_cbranch_execz .LBB1493_623
; %bb.622:                              ;   in Loop: Header=BB1493_608 Depth=1
	v_mov_b32_e32 v71, v55
	v_lshl_add_u64 v[2:3], v[70:71], 3, v[10:11]
	flat_load_dwordx2 v[20:21], v[2:3]
.LBB1493_623:                           ;   in Loop: Header=BB1493_608 Depth=1
	s_or_b64 exec, exec, s[4:5]
	s_or_b64 s[0:1], s[0:1], s[14:15]
	s_xor_b64 s[0:1], s[0:1], -1
	s_and_saveexec_b64 s[16:17], s[0:1]
	s_cbranch_execz .LBB1493_631
; %bb.624:                              ;   in Loop: Header=BB1493_608 Depth=1
	s_mov_b64 s[0:1], 0
	s_and_saveexec_b64 s[18:19], vcc
	s_cbranch_execz .LBB1493_630
; %bb.625:                              ;   in Loop: Header=BB1493_608 Depth=1
	s_waitcnt vmcnt(0) lgkmcnt(0)
	v_mad_u64_u32 v[2:3], s[0:1], v66, v0, v[8:9]
	v_mul_lo_u32 v12, v66, v1
	v_mul_lo_u32 v13, v67, v0
	v_add3_u32 v3, v13, v3, v12
	v_mad_u64_u32 v[12:13], s[0:1], v66, v20, v[8:9]
	v_mul_lo_u32 v14, v66, v21
	v_mul_lo_u32 v15, v67, v20
	v_add3_u32 v13, v15, v13, v14
	s_mov_b64 s[20:21], 0
	v_mov_b64_e32 v[14:15], v[6:7]
                                        ; implicit-def: $sgpr22_sgpr23
                                        ; implicit-def: $sgpr24_sgpr25
                                        ; implicit-def: $sgpr26_sgpr27
                                        ; implicit-def: $sgpr2_sgpr3
                                        ; implicit-def: $sgpr28_sgpr29
	s_branch .LBB1493_627
.LBB1493_626:                           ;   in Loop: Header=BB1493_627 Depth=2
	s_or_b64 exec, exec, s[30:31]
	s_and_b64 s[0:1], exec, s[24:25]
	s_or_b64 s[20:21], s[0:1], s[20:21]
	s_andn2_b64 s[0:1], s[28:29], exec
	s_and_b64 s[4:5], s[26:27], exec
	s_or_b64 s[28:29], s[0:1], s[4:5]
	s_andn2_b64 s[0:1], s[22:23], exec
	s_and_b64 s[4:5], s[2:3], exec
	s_or_b64 s[22:23], s[0:1], s[4:5]
	s_andn2_b64 exec, exec, s[20:21]
	s_cbranch_execz .LBB1493_629
.LBB1493_627:                           ;   Parent Loop BB1493_608 Depth=1
                                        ; =>  This Inner Loop Header: Depth=2
	flat_load_dword v16, v[12:13]
	flat_load_dword v17, v[2:3]
	s_andn2_b64 s[30:31], s[2:3], exec
	s_andn2_b64 s[26:27], s[26:27], exec
	s_or_b64 s[24:25], s[24:25], exec
	s_waitcnt vmcnt(0) lgkmcnt(0)
	v_cmp_le_u32_e64 s[2:3], v16, v17
	v_cmp_lt_u32_e64 s[0:1], v16, v17
	s_and_b64 s[2:3], s[2:3], s[28:29]
	s_or_b64 s[34:35], s[0:1], s[2:3]
	s_and_b64 s[0:1], s[34:35], exec
	v_cmp_eq_u32_e64 s[4:5], v16, v17
	s_or_b64 s[2:3], s[30:31], s[0:1]
	s_and_saveexec_b64 s[30:31], s[4:5]
	s_cbranch_execz .LBB1493_626
; %bb.628:                              ;   in Loop: Header=BB1493_627 Depth=2
	v_lshl_add_u64 v[14:15], v[14:15], 0, -1
	v_cmp_eq_u64_e64 s[0:1], 0, v[14:15]
	s_andn2_b64 s[4:5], s[26:27], exec
	s_and_b64 s[26:27], s[34:35], exec
	s_or_b64 s[26:27], s[4:5], s[26:27]
	s_andn2_b64 s[4:5], s[24:25], exec
	s_and_b64 s[0:1], s[0:1], exec
	v_lshl_add_u64 v[2:3], v[2:3], 0, 4
	v_lshl_add_u64 v[12:13], v[12:13], 0, 4
	s_andn2_b64 s[2:3], s[2:3], exec
	s_or_b64 s[24:25], s[4:5], s[0:1]
                                        ; implicit-def: $sgpr28_sgpr29
	s_branch .LBB1493_626
.LBB1493_629:                           ;   in Loop: Header=BB1493_608 Depth=1
	s_or_b64 exec, exec, s[20:21]
	s_and_b64 s[0:1], s[22:23], exec
.LBB1493_630:                           ;   in Loop: Header=BB1493_608 Depth=1
	s_or_b64 exec, exec, s[18:19]
	s_xor_b64 s[0:1], s[0:1], -1
	s_andn2_b64 s[2:3], s[14:15], exec
	s_and_b64 s[0:1], s[0:1], exec
	s_or_b64 s[14:15], s[2:3], s[0:1]
.LBB1493_631:                           ;   in Loop: Header=BB1493_608 Depth=1
	s_or_b64 exec, exec, s[16:17]
	v_cndmask_b32_e64 v2, v70, v68, s[14:15]
	v_cndmask_b32_e64 v3, v96, v31, s[14:15]
	v_add_u32_e32 v12, 1, v2
	v_add_u32_e32 v2, -1, v3
	v_min_u32_e32 v54, v12, v2
	v_lshl_add_u64 v[2:3], v[54:55], 3, v[10:11]
	flat_load_dwordx2 v[2:3], v[2:3]
	v_cndmask_b32_e64 v16, v12, v70, s[14:15]
	s_mov_b64 s[16:17], -1
	v_cndmask_b32_e64 v17, v68, v12, s[14:15]
	v_cmp_lt_u32_e64 s[0:1], v16, v96
	s_mov_b64 s[18:19], -1
	s_waitcnt vmcnt(0) lgkmcnt(0)
	v_cndmask_b32_e64 v22, v3, v21, s[14:15]
	v_cndmask_b32_e64 v68, v2, v20, s[14:15]
	;; [unrolled: 1-line block ×4, first 2 shown]
	s_and_saveexec_b64 s[20:21], s[0:1]
	s_cbranch_execz .LBB1493_641
; %bb.632:                              ;   in Loop: Header=BB1493_608 Depth=1
	v_cmp_lt_u32_e64 s[0:1], v17, v31
	s_mov_b64 s[2:3], 0
	s_and_saveexec_b64 s[18:19], s[0:1]
	s_cbranch_execz .LBB1493_640
; %bb.633:                              ;   in Loop: Header=BB1493_608 Depth=1
	s_mov_b64 s[0:1], 0
	s_and_saveexec_b64 s[22:23], vcc
	s_cbranch_execz .LBB1493_639
; %bb.634:                              ;   in Loop: Header=BB1493_608 Depth=1
	v_mad_u64_u32 v[2:3], s[0:1], v66, v69, v[8:9]
	v_mul_lo_u32 v12, v66, v23
	v_mul_lo_u32 v13, v67, v69
	v_add3_u32 v3, v13, v3, v12
	v_mad_u64_u32 v[12:13], s[0:1], v66, v68, v[8:9]
	v_mul_lo_u32 v14, v66, v22
	v_mul_lo_u32 v15, v67, v68
	v_add3_u32 v13, v15, v13, v14
	s_mov_b64 s[24:25], 0
	v_mov_b64_e32 v[14:15], v[6:7]
                                        ; implicit-def: $sgpr26_sgpr27
                                        ; implicit-def: $sgpr28_sgpr29
                                        ; implicit-def: $sgpr30_sgpr31
                                        ; implicit-def: $sgpr2_sgpr3
                                        ; implicit-def: $sgpr34_sgpr35
	s_branch .LBB1493_636
.LBB1493_635:                           ;   in Loop: Header=BB1493_636 Depth=2
	s_or_b64 exec, exec, s[36:37]
	s_and_b64 s[0:1], exec, s[28:29]
	s_or_b64 s[24:25], s[0:1], s[24:25]
	s_andn2_b64 s[0:1], s[34:35], exec
	s_and_b64 s[4:5], s[30:31], exec
	s_or_b64 s[34:35], s[0:1], s[4:5]
	s_andn2_b64 s[0:1], s[26:27], exec
	s_and_b64 s[4:5], s[2:3], exec
	s_or_b64 s[26:27], s[0:1], s[4:5]
	s_andn2_b64 exec, exec, s[24:25]
	s_cbranch_execz .LBB1493_638
.LBB1493_636:                           ;   Parent Loop BB1493_608 Depth=1
                                        ; =>  This Inner Loop Header: Depth=2
	flat_load_dword v18, v[12:13]
	flat_load_dword v19, v[2:3]
	s_andn2_b64 s[36:37], s[2:3], exec
	s_andn2_b64 s[30:31], s[30:31], exec
	s_or_b64 s[28:29], s[28:29], exec
	s_waitcnt vmcnt(0) lgkmcnt(0)
	v_cmp_le_u32_e64 s[2:3], v18, v19
	v_cmp_lt_u32_e64 s[0:1], v18, v19
	s_and_b64 s[2:3], s[2:3], s[34:35]
	s_or_b64 s[38:39], s[0:1], s[2:3]
	s_and_b64 s[0:1], s[38:39], exec
	v_cmp_eq_u32_e64 s[4:5], v18, v19
	s_or_b64 s[2:3], s[36:37], s[0:1]
	s_and_saveexec_b64 s[36:37], s[4:5]
	s_cbranch_execz .LBB1493_635
; %bb.637:                              ;   in Loop: Header=BB1493_636 Depth=2
	v_lshl_add_u64 v[14:15], v[14:15], 0, -1
	v_cmp_eq_u64_e64 s[0:1], 0, v[14:15]
	s_andn2_b64 s[4:5], s[30:31], exec
	s_and_b64 s[30:31], s[38:39], exec
	s_or_b64 s[30:31], s[4:5], s[30:31]
	s_andn2_b64 s[4:5], s[28:29], exec
	s_and_b64 s[0:1], s[0:1], exec
	v_lshl_add_u64 v[2:3], v[2:3], 0, 4
	v_lshl_add_u64 v[12:13], v[12:13], 0, 4
	s_andn2_b64 s[2:3], s[2:3], exec
	s_or_b64 s[28:29], s[4:5], s[0:1]
                                        ; implicit-def: $sgpr34_sgpr35
	s_branch .LBB1493_635
.LBB1493_638:                           ;   in Loop: Header=BB1493_608 Depth=1
	s_or_b64 exec, exec, s[24:25]
	s_and_b64 s[0:1], s[26:27], exec
.LBB1493_639:                           ;   in Loop: Header=BB1493_608 Depth=1
	s_or_b64 exec, exec, s[22:23]
	s_xor_b64 s[0:1], s[0:1], -1
	s_and_b64 s[2:3], s[0:1], exec
.LBB1493_640:                           ;   in Loop: Header=BB1493_608 Depth=1
	s_or_b64 exec, exec, s[18:19]
	s_orn2_b64 s[18:19], s[2:3], exec
.LBB1493_641:                           ;   in Loop: Header=BB1493_608 Depth=1
	s_or_b64 exec, exec, s[20:21]
	v_cndmask_b32_e64 v2, v16, v17, s[18:19]
	v_cndmask_b32_e64 v3, v96, v31, s[18:19]
	v_add_u32_e32 v12, 1, v2
	v_add_u32_e32 v2, -1, v3
	v_min_u32_e32 v54, v12, v2
	v_lshl_add_u64 v[2:3], v[54:55], 3, v[10:11]
	flat_load_dwordx2 v[2:3], v[2:3]
	v_cndmask_b32_e64 v16, v12, v16, s[18:19]
	v_cndmask_b32_e64 v17, v17, v12, s[18:19]
	v_cmp_lt_u32_e64 s[0:1], v16, v96
	s_waitcnt vmcnt(0) lgkmcnt(0)
	v_cndmask_b32_e64 v70, v3, v22, s[18:19]
	v_cndmask_b32_e64 v71, v2, v68, s[18:19]
	;; [unrolled: 1-line block ×4, first 2 shown]
	s_and_saveexec_b64 s[20:21], s[0:1]
	s_cbranch_execz .LBB1493_651
; %bb.642:                              ;   in Loop: Header=BB1493_608 Depth=1
	v_cmp_lt_u32_e64 s[0:1], v17, v31
	s_mov_b64 s[2:3], 0
	s_and_saveexec_b64 s[16:17], s[0:1]
	s_cbranch_execz .LBB1493_650
; %bb.643:                              ;   in Loop: Header=BB1493_608 Depth=1
	s_mov_b64 s[0:1], 0
	s_and_saveexec_b64 s[22:23], vcc
	s_cbranch_execz .LBB1493_649
; %bb.644:                              ;   in Loop: Header=BB1493_608 Depth=1
	v_mad_u64_u32 v[2:3], s[0:1], v66, v81, v[8:9]
	v_mul_lo_u32 v12, v66, v80
	v_mul_lo_u32 v13, v67, v81
	v_add3_u32 v3, v13, v3, v12
	v_mad_u64_u32 v[12:13], s[0:1], v66, v71, v[8:9]
	v_mul_lo_u32 v14, v66, v70
	v_mul_lo_u32 v15, v67, v71
	v_add3_u32 v13, v15, v13, v14
	s_mov_b64 s[24:25], 0
	v_mov_b64_e32 v[14:15], v[6:7]
                                        ; implicit-def: $sgpr26_sgpr27
                                        ; implicit-def: $sgpr28_sgpr29
                                        ; implicit-def: $sgpr30_sgpr31
                                        ; implicit-def: $sgpr2_sgpr3
                                        ; implicit-def: $sgpr34_sgpr35
	s_branch .LBB1493_646
.LBB1493_645:                           ;   in Loop: Header=BB1493_646 Depth=2
	s_or_b64 exec, exec, s[36:37]
	s_and_b64 s[0:1], exec, s[28:29]
	s_or_b64 s[24:25], s[0:1], s[24:25]
	s_andn2_b64 s[0:1], s[34:35], exec
	s_and_b64 s[4:5], s[30:31], exec
	s_or_b64 s[34:35], s[0:1], s[4:5]
	s_andn2_b64 s[0:1], s[26:27], exec
	s_and_b64 s[4:5], s[2:3], exec
	s_or_b64 s[26:27], s[0:1], s[4:5]
	s_andn2_b64 exec, exec, s[24:25]
	s_cbranch_execz .LBB1493_648
.LBB1493_646:                           ;   Parent Loop BB1493_608 Depth=1
                                        ; =>  This Inner Loop Header: Depth=2
	flat_load_dword v18, v[12:13]
	flat_load_dword v19, v[2:3]
	s_andn2_b64 s[36:37], s[2:3], exec
	s_andn2_b64 s[30:31], s[30:31], exec
	s_or_b64 s[28:29], s[28:29], exec
	s_waitcnt vmcnt(0) lgkmcnt(0)
	v_cmp_le_u32_e64 s[2:3], v18, v19
	v_cmp_lt_u32_e64 s[0:1], v18, v19
	s_and_b64 s[2:3], s[2:3], s[34:35]
	s_or_b64 s[38:39], s[0:1], s[2:3]
	s_and_b64 s[0:1], s[38:39], exec
	v_cmp_eq_u32_e64 s[4:5], v18, v19
	s_or_b64 s[2:3], s[36:37], s[0:1]
	s_and_saveexec_b64 s[36:37], s[4:5]
	s_cbranch_execz .LBB1493_645
; %bb.647:                              ;   in Loop: Header=BB1493_646 Depth=2
	v_lshl_add_u64 v[14:15], v[14:15], 0, -1
	v_cmp_eq_u64_e64 s[0:1], 0, v[14:15]
	s_andn2_b64 s[4:5], s[30:31], exec
	s_and_b64 s[30:31], s[38:39], exec
	s_or_b64 s[30:31], s[4:5], s[30:31]
	s_andn2_b64 s[4:5], s[28:29], exec
	s_and_b64 s[0:1], s[0:1], exec
	v_lshl_add_u64 v[2:3], v[2:3], 0, 4
	v_lshl_add_u64 v[12:13], v[12:13], 0, 4
	s_andn2_b64 s[2:3], s[2:3], exec
	s_or_b64 s[28:29], s[4:5], s[0:1]
                                        ; implicit-def: $sgpr34_sgpr35
	s_branch .LBB1493_645
.LBB1493_648:                           ;   in Loop: Header=BB1493_608 Depth=1
	s_or_b64 exec, exec, s[24:25]
	s_and_b64 s[0:1], s[26:27], exec
.LBB1493_649:                           ;   in Loop: Header=BB1493_608 Depth=1
	s_or_b64 exec, exec, s[22:23]
	s_xor_b64 s[0:1], s[0:1], -1
	s_and_b64 s[2:3], s[0:1], exec
.LBB1493_650:                           ;   in Loop: Header=BB1493_608 Depth=1
	s_or_b64 exec, exec, s[16:17]
	s_orn2_b64 s[16:17], s[2:3], exec
.LBB1493_651:                           ;   in Loop: Header=BB1493_608 Depth=1
	s_or_b64 exec, exec, s[20:21]
	v_cndmask_b32_e64 v2, v16, v17, s[16:17]
	v_cndmask_b32_e64 v3, v96, v31, s[16:17]
	v_add_u32_e32 v12, 1, v2
	v_add_u32_e32 v2, -1, v3
	v_min_u32_e32 v54, v12, v2
	v_lshl_add_u64 v[2:3], v[54:55], 3, v[10:11]
	flat_load_dwordx2 v[2:3], v[2:3]
	v_cndmask_b32_e64 v16, v12, v16, s[16:17]
	s_mov_b64 s[20:21], -1
	v_cndmask_b32_e64 v17, v17, v12, s[16:17]
	v_cmp_lt_u32_e64 s[0:1], v16, v96
	s_mov_b64 s[22:23], -1
	s_waitcnt vmcnt(0) lgkmcnt(0)
	v_cndmask_b32_e64 v82, v3, v70, s[16:17]
	v_cndmask_b32_e64 v83, v2, v71, s[16:17]
	;; [unrolled: 1-line block ×4, first 2 shown]
	s_and_saveexec_b64 s[24:25], s[0:1]
	s_cbranch_execz .LBB1493_661
; %bb.652:                              ;   in Loop: Header=BB1493_608 Depth=1
	v_cmp_lt_u32_e64 s[0:1], v17, v31
	s_mov_b64 s[2:3], 0
	s_and_saveexec_b64 s[22:23], s[0:1]
	s_cbranch_execz .LBB1493_660
; %bb.653:                              ;   in Loop: Header=BB1493_608 Depth=1
	s_mov_b64 s[0:1], -1
	s_and_saveexec_b64 s[26:27], vcc
	s_cbranch_execz .LBB1493_659
; %bb.654:                              ;   in Loop: Header=BB1493_608 Depth=1
	v_mad_u64_u32 v[2:3], s[0:1], v66, v85, v[8:9]
	v_mul_lo_u32 v12, v66, v84
	v_mul_lo_u32 v13, v67, v85
	v_add3_u32 v3, v13, v3, v12
	v_mad_u64_u32 v[12:13], s[0:1], v66, v83, v[8:9]
	v_mul_lo_u32 v14, v66, v82
	v_mul_lo_u32 v15, v67, v83
	v_add3_u32 v13, v15, v13, v14
	s_mov_b64 s[28:29], 0
	v_mov_b64_e32 v[14:15], v[6:7]
                                        ; implicit-def: $sgpr30_sgpr31
                                        ; implicit-def: $sgpr34_sgpr35
                                        ; implicit-def: $sgpr2_sgpr3
                                        ; implicit-def: $sgpr36_sgpr37
                                        ; implicit-def: $sgpr38_sgpr39
	s_branch .LBB1493_656
.LBB1493_655:                           ;   in Loop: Header=BB1493_656 Depth=2
	s_or_b64 exec, exec, s[40:41]
	s_and_b64 s[0:1], exec, s[34:35]
	s_or_b64 s[28:29], s[0:1], s[28:29]
	s_andn2_b64 s[0:1], s[38:39], exec
	s_and_b64 s[4:5], s[36:37], exec
	s_or_b64 s[38:39], s[0:1], s[4:5]
	s_andn2_b64 s[0:1], s[30:31], exec
	s_and_b64 s[4:5], s[2:3], exec
	s_or_b64 s[30:31], s[0:1], s[4:5]
	s_andn2_b64 exec, exec, s[28:29]
	s_cbranch_execz .LBB1493_658
.LBB1493_656:                           ;   Parent Loop BB1493_608 Depth=1
                                        ; =>  This Inner Loop Header: Depth=2
	flat_load_dword v18, v[12:13]
	flat_load_dword v19, v[2:3]
	s_andn2_b64 s[40:41], s[2:3], exec
	s_andn2_b64 s[36:37], s[36:37], exec
	s_or_b64 s[34:35], s[34:35], exec
	s_waitcnt vmcnt(0) lgkmcnt(0)
	v_cmp_le_u32_e64 s[2:3], v18, v19
	v_cmp_lt_u32_e64 s[0:1], v18, v19
	s_and_b64 s[2:3], s[2:3], s[38:39]
	s_or_b64 s[42:43], s[0:1], s[2:3]
	s_and_b64 s[0:1], s[42:43], exec
	v_cmp_eq_u32_e64 s[4:5], v18, v19
	s_or_b64 s[2:3], s[40:41], s[0:1]
	s_and_saveexec_b64 s[40:41], s[4:5]
	s_cbranch_execz .LBB1493_655
; %bb.657:                              ;   in Loop: Header=BB1493_656 Depth=2
	v_lshl_add_u64 v[14:15], v[14:15], 0, -1
	v_cmp_eq_u64_e64 s[0:1], 0, v[14:15]
	s_andn2_b64 s[4:5], s[36:37], exec
	s_and_b64 s[36:37], s[42:43], exec
	s_or_b64 s[36:37], s[4:5], s[36:37]
	s_andn2_b64 s[4:5], s[34:35], exec
	s_and_b64 s[0:1], s[0:1], exec
	v_lshl_add_u64 v[2:3], v[2:3], 0, 4
	v_lshl_add_u64 v[12:13], v[12:13], 0, 4
	s_andn2_b64 s[2:3], s[2:3], exec
	s_or_b64 s[34:35], s[4:5], s[0:1]
                                        ; implicit-def: $sgpr38_sgpr39
	s_branch .LBB1493_655
.LBB1493_658:                           ;   in Loop: Header=BB1493_608 Depth=1
	s_or_b64 exec, exec, s[28:29]
	s_xor_b64 s[0:1], s[30:31], -1
	s_orn2_b64 s[0:1], s[0:1], exec
.LBB1493_659:                           ;   in Loop: Header=BB1493_608 Depth=1
	s_or_b64 exec, exec, s[26:27]
	s_and_b64 s[2:3], s[0:1], exec
.LBB1493_660:                           ;   in Loop: Header=BB1493_608 Depth=1
	s_or_b64 exec, exec, s[22:23]
	s_orn2_b64 s[22:23], s[2:3], exec
.LBB1493_661:                           ;   in Loop: Header=BB1493_608 Depth=1
	s_or_b64 exec, exec, s[24:25]
	v_cndmask_b32_e64 v2, v16, v17, s[22:23]
	v_cndmask_b32_e64 v3, v96, v31, s[22:23]
	v_add_u32_e32 v12, 1, v2
	v_add_u32_e32 v2, -1, v3
	v_min_u32_e32 v54, v12, v2
	v_lshl_add_u64 v[2:3], v[54:55], 3, v[10:11]
	flat_load_dwordx2 v[2:3], v[2:3]
	v_cndmask_b32_e64 v16, v12, v16, s[22:23]
	v_cndmask_b32_e64 v17, v17, v12, s[22:23]
	v_cmp_lt_u32_e64 s[0:1], v16, v96
	s_waitcnt vmcnt(0) lgkmcnt(0)
	v_cndmask_b32_e64 v86, v3, v82, s[22:23]
	v_cndmask_b32_e64 v87, v2, v83, s[22:23]
	;; [unrolled: 1-line block ×4, first 2 shown]
	s_and_saveexec_b64 s[24:25], s[0:1]
	s_cbranch_execz .LBB1493_671
; %bb.662:                              ;   in Loop: Header=BB1493_608 Depth=1
	v_cmp_lt_u32_e64 s[0:1], v17, v31
	s_mov_b64 s[2:3], 0
	s_and_saveexec_b64 s[20:21], s[0:1]
	s_cbranch_execz .LBB1493_670
; %bb.663:                              ;   in Loop: Header=BB1493_608 Depth=1
	s_mov_b64 s[0:1], -1
	s_and_saveexec_b64 s[26:27], vcc
	s_cbranch_execz .LBB1493_669
; %bb.664:                              ;   in Loop: Header=BB1493_608 Depth=1
	v_mad_u64_u32 v[2:3], s[0:1], v66, v98, v[8:9]
	v_mul_lo_u32 v12, v66, v97
	v_mul_lo_u32 v13, v67, v98
	v_add3_u32 v3, v13, v3, v12
	v_mad_u64_u32 v[12:13], s[0:1], v66, v87, v[8:9]
	v_mul_lo_u32 v14, v66, v86
	v_mul_lo_u32 v15, v67, v87
	v_add3_u32 v13, v15, v13, v14
	s_mov_b64 s[28:29], 0
	v_mov_b64_e32 v[14:15], v[6:7]
                                        ; implicit-def: $sgpr30_sgpr31
                                        ; implicit-def: $sgpr34_sgpr35
                                        ; implicit-def: $sgpr2_sgpr3
                                        ; implicit-def: $sgpr36_sgpr37
                                        ; implicit-def: $sgpr38_sgpr39
	s_branch .LBB1493_666
.LBB1493_665:                           ;   in Loop: Header=BB1493_666 Depth=2
	s_or_b64 exec, exec, s[40:41]
	s_and_b64 s[0:1], exec, s[34:35]
	s_or_b64 s[28:29], s[0:1], s[28:29]
	s_andn2_b64 s[0:1], s[38:39], exec
	s_and_b64 s[4:5], s[36:37], exec
	s_or_b64 s[38:39], s[0:1], s[4:5]
	s_andn2_b64 s[0:1], s[30:31], exec
	s_and_b64 s[4:5], s[2:3], exec
	s_or_b64 s[30:31], s[0:1], s[4:5]
	s_andn2_b64 exec, exec, s[28:29]
	s_cbranch_execz .LBB1493_668
.LBB1493_666:                           ;   Parent Loop BB1493_608 Depth=1
                                        ; =>  This Inner Loop Header: Depth=2
	flat_load_dword v18, v[12:13]
	flat_load_dword v19, v[2:3]
	s_andn2_b64 s[40:41], s[2:3], exec
	s_andn2_b64 s[36:37], s[36:37], exec
	s_or_b64 s[34:35], s[34:35], exec
	s_waitcnt vmcnt(0) lgkmcnt(0)
	v_cmp_le_u32_e64 s[2:3], v18, v19
	v_cmp_lt_u32_e64 s[0:1], v18, v19
	s_and_b64 s[2:3], s[2:3], s[38:39]
	s_or_b64 s[42:43], s[0:1], s[2:3]
	s_and_b64 s[0:1], s[42:43], exec
	v_cmp_eq_u32_e64 s[4:5], v18, v19
	s_or_b64 s[2:3], s[40:41], s[0:1]
	s_and_saveexec_b64 s[40:41], s[4:5]
	s_cbranch_execz .LBB1493_665
; %bb.667:                              ;   in Loop: Header=BB1493_666 Depth=2
	v_lshl_add_u64 v[14:15], v[14:15], 0, -1
	v_cmp_eq_u64_e64 s[0:1], 0, v[14:15]
	s_andn2_b64 s[4:5], s[36:37], exec
	s_and_b64 s[36:37], s[42:43], exec
	s_or_b64 s[36:37], s[4:5], s[36:37]
	s_andn2_b64 s[4:5], s[34:35], exec
	s_and_b64 s[0:1], s[0:1], exec
	v_lshl_add_u64 v[2:3], v[2:3], 0, 4
	v_lshl_add_u64 v[12:13], v[12:13], 0, 4
	s_andn2_b64 s[2:3], s[2:3], exec
	s_or_b64 s[34:35], s[4:5], s[0:1]
                                        ; implicit-def: $sgpr38_sgpr39
	s_branch .LBB1493_665
.LBB1493_668:                           ;   in Loop: Header=BB1493_608 Depth=1
	s_or_b64 exec, exec, s[28:29]
	s_xor_b64 s[0:1], s[30:31], -1
	s_orn2_b64 s[0:1], s[0:1], exec
.LBB1493_669:                           ;   in Loop: Header=BB1493_608 Depth=1
	s_or_b64 exec, exec, s[26:27]
	s_and_b64 s[2:3], s[0:1], exec
.LBB1493_670:                           ;   in Loop: Header=BB1493_608 Depth=1
	s_or_b64 exec, exec, s[20:21]
	s_orn2_b64 s[20:21], s[2:3], exec
.LBB1493_671:                           ;   in Loop: Header=BB1493_608 Depth=1
	s_or_b64 exec, exec, s[24:25]
	v_cndmask_b32_e64 v2, v16, v17, s[20:21]
	v_cndmask_b32_e64 v3, v96, v31, s[20:21]
	v_add_u32_e32 v12, 1, v2
	v_add_u32_e32 v2, -1, v3
	v_min_u32_e32 v54, v12, v2
	v_lshl_add_u64 v[2:3], v[54:55], 3, v[10:11]
	flat_load_dwordx2 v[2:3], v[2:3]
	v_cndmask_b32_e64 v16, v12, v16, s[20:21]
	s_mov_b64 s[24:25], -1
	v_cndmask_b32_e64 v17, v17, v12, s[20:21]
	v_cmp_lt_u32_e64 s[0:1], v16, v96
	s_mov_b64 s[26:27], -1
	s_waitcnt vmcnt(0) lgkmcnt(0)
	v_cndmask_b32_e64 v99, v3, v86, s[20:21]
	v_cndmask_b32_e64 v100, v2, v87, s[20:21]
	v_cndmask_b32_e64 v101, v97, v3, s[20:21]
	v_cndmask_b32_e64 v102, v98, v2, s[20:21]
	s_and_saveexec_b64 s[28:29], s[0:1]
	s_cbranch_execz .LBB1493_681
; %bb.672:                              ;   in Loop: Header=BB1493_608 Depth=1
	v_cmp_lt_u32_e64 s[0:1], v17, v31
	s_mov_b64 s[2:3], 0
	s_and_saveexec_b64 s[26:27], s[0:1]
	s_cbranch_execz .LBB1493_680
; %bb.673:                              ;   in Loop: Header=BB1493_608 Depth=1
	s_mov_b64 s[0:1], -1
	s_and_saveexec_b64 s[30:31], vcc
	s_cbranch_execz .LBB1493_679
; %bb.674:                              ;   in Loop: Header=BB1493_608 Depth=1
	v_mad_u64_u32 v[2:3], s[0:1], v66, v102, v[8:9]
	v_mul_lo_u32 v12, v66, v101
	v_mul_lo_u32 v13, v67, v102
	v_add3_u32 v3, v13, v3, v12
	v_mad_u64_u32 v[12:13], s[0:1], v66, v100, v[8:9]
	v_mul_lo_u32 v14, v66, v99
	v_mul_lo_u32 v15, v67, v100
	v_add3_u32 v13, v15, v13, v14
	s_mov_b64 s[34:35], 0
	v_mov_b64_e32 v[14:15], v[6:7]
                                        ; implicit-def: $sgpr36_sgpr37
                                        ; implicit-def: $sgpr38_sgpr39
                                        ; implicit-def: $sgpr2_sgpr3
                                        ; implicit-def: $sgpr40_sgpr41
                                        ; implicit-def: $sgpr42_sgpr43
	s_branch .LBB1493_676
.LBB1493_675:                           ;   in Loop: Header=BB1493_676 Depth=2
	s_or_b64 exec, exec, s[44:45]
	s_and_b64 s[0:1], exec, s[38:39]
	s_or_b64 s[34:35], s[0:1], s[34:35]
	s_andn2_b64 s[0:1], s[42:43], exec
	s_and_b64 s[4:5], s[40:41], exec
	s_or_b64 s[42:43], s[0:1], s[4:5]
	s_andn2_b64 s[0:1], s[36:37], exec
	s_and_b64 s[4:5], s[2:3], exec
	s_or_b64 s[36:37], s[0:1], s[4:5]
	s_andn2_b64 exec, exec, s[34:35]
	s_cbranch_execz .LBB1493_678
.LBB1493_676:                           ;   Parent Loop BB1493_608 Depth=1
                                        ; =>  This Inner Loop Header: Depth=2
	flat_load_dword v18, v[12:13]
	flat_load_dword v19, v[2:3]
	s_andn2_b64 s[44:45], s[2:3], exec
	s_andn2_b64 s[40:41], s[40:41], exec
	s_or_b64 s[38:39], s[38:39], exec
	s_waitcnt vmcnt(0) lgkmcnt(0)
	v_cmp_le_u32_e64 s[2:3], v18, v19
	v_cmp_lt_u32_e64 s[0:1], v18, v19
	s_and_b64 s[2:3], s[2:3], s[42:43]
	s_or_b64 s[46:47], s[0:1], s[2:3]
	s_and_b64 s[0:1], s[46:47], exec
	v_cmp_eq_u32_e64 s[4:5], v18, v19
	s_or_b64 s[2:3], s[44:45], s[0:1]
	s_and_saveexec_b64 s[44:45], s[4:5]
	s_cbranch_execz .LBB1493_675
; %bb.677:                              ;   in Loop: Header=BB1493_676 Depth=2
	v_lshl_add_u64 v[14:15], v[14:15], 0, -1
	v_cmp_eq_u64_e64 s[0:1], 0, v[14:15]
	s_andn2_b64 s[4:5], s[40:41], exec
	s_and_b64 s[40:41], s[46:47], exec
	s_or_b64 s[40:41], s[4:5], s[40:41]
	s_andn2_b64 s[4:5], s[38:39], exec
	s_and_b64 s[0:1], s[0:1], exec
	v_lshl_add_u64 v[2:3], v[2:3], 0, 4
	v_lshl_add_u64 v[12:13], v[12:13], 0, 4
	s_andn2_b64 s[2:3], s[2:3], exec
	s_or_b64 s[38:39], s[4:5], s[0:1]
                                        ; implicit-def: $sgpr42_sgpr43
	s_branch .LBB1493_675
.LBB1493_678:                           ;   in Loop: Header=BB1493_608 Depth=1
	s_or_b64 exec, exec, s[34:35]
	s_xor_b64 s[0:1], s[36:37], -1
	s_orn2_b64 s[0:1], s[0:1], exec
.LBB1493_679:                           ;   in Loop: Header=BB1493_608 Depth=1
	s_or_b64 exec, exec, s[30:31]
	s_and_b64 s[2:3], s[0:1], exec
.LBB1493_680:                           ;   in Loop: Header=BB1493_608 Depth=1
	s_or_b64 exec, exec, s[26:27]
	s_orn2_b64 s[26:27], s[2:3], exec
.LBB1493_681:                           ;   in Loop: Header=BB1493_608 Depth=1
	s_or_b64 exec, exec, s[28:29]
	v_cndmask_b32_e64 v2, v16, v17, s[26:27]
	v_cndmask_b32_e64 v3, v96, v31, s[26:27]
	v_add_u32_e32 v12, 1, v2
	v_add_u32_e32 v2, -1, v3
	v_min_u32_e32 v54, v12, v2
	v_lshl_add_u64 v[2:3], v[54:55], 3, v[10:11]
	flat_load_dwordx2 v[2:3], v[2:3]
	v_cndmask_b32_e64 v18, v12, v16, s[26:27]
	v_cndmask_b32_e64 v16, v17, v12, s[26:27]
	v_cmp_lt_u32_e64 s[0:1], v18, v96
	s_waitcnt vmcnt(0) lgkmcnt(0)
	v_cndmask_b32_e64 v103, v3, v99, s[26:27]
	v_cndmask_b32_e64 v112, v2, v100, s[26:27]
	;; [unrolled: 1-line block ×4, first 2 shown]
	s_and_saveexec_b64 s[28:29], s[0:1]
	s_cbranch_execz .LBB1493_691
; %bb.682:                              ;   in Loop: Header=BB1493_608 Depth=1
	v_cmp_lt_u32_e64 s[0:1], v16, v31
	s_mov_b64 s[2:3], 0
	s_and_saveexec_b64 s[24:25], s[0:1]
	s_cbranch_execz .LBB1493_690
; %bb.683:                              ;   in Loop: Header=BB1493_608 Depth=1
	s_mov_b64 s[0:1], -1
	s_and_saveexec_b64 s[30:31], vcc
	s_cbranch_execz .LBB1493_689
; %bb.684:                              ;   in Loop: Header=BB1493_608 Depth=1
	v_mad_u64_u32 v[2:3], s[0:1], v66, v114, v[8:9]
	v_mul_lo_u32 v12, v66, v113
	v_mul_lo_u32 v13, v67, v114
	v_add3_u32 v3, v13, v3, v12
	v_mad_u64_u32 v[12:13], s[0:1], v66, v112, v[8:9]
	v_mul_lo_u32 v14, v66, v103
	v_mul_lo_u32 v15, v67, v112
	v_add3_u32 v13, v15, v13, v14
	s_mov_b64 s[34:35], 0
	v_mov_b64_e32 v[14:15], v[6:7]
                                        ; implicit-def: $sgpr36_sgpr37
                                        ; implicit-def: $sgpr38_sgpr39
                                        ; implicit-def: $sgpr2_sgpr3
                                        ; implicit-def: $sgpr40_sgpr41
                                        ; implicit-def: $sgpr42_sgpr43
	s_branch .LBB1493_686
.LBB1493_685:                           ;   in Loop: Header=BB1493_686 Depth=2
	s_or_b64 exec, exec, s[44:45]
	s_and_b64 s[0:1], exec, s[38:39]
	s_or_b64 s[34:35], s[0:1], s[34:35]
	s_andn2_b64 s[0:1], s[42:43], exec
	s_and_b64 s[4:5], s[40:41], exec
	s_or_b64 s[42:43], s[0:1], s[4:5]
	s_andn2_b64 s[0:1], s[36:37], exec
	s_and_b64 s[4:5], s[2:3], exec
	s_or_b64 s[36:37], s[0:1], s[4:5]
	s_andn2_b64 exec, exec, s[34:35]
	s_cbranch_execz .LBB1493_688
.LBB1493_686:                           ;   Parent Loop BB1493_608 Depth=1
                                        ; =>  This Inner Loop Header: Depth=2
	flat_load_dword v17, v[12:13]
	flat_load_dword v19, v[2:3]
	s_andn2_b64 s[44:45], s[2:3], exec
	s_andn2_b64 s[40:41], s[40:41], exec
	s_or_b64 s[38:39], s[38:39], exec
	s_waitcnt vmcnt(0) lgkmcnt(0)
	v_cmp_le_u32_e64 s[2:3], v17, v19
	v_cmp_lt_u32_e64 s[0:1], v17, v19
	s_and_b64 s[2:3], s[2:3], s[42:43]
	s_or_b64 s[46:47], s[0:1], s[2:3]
	s_and_b64 s[0:1], s[46:47], exec
	v_cmp_eq_u32_e64 s[4:5], v17, v19
	s_or_b64 s[2:3], s[44:45], s[0:1]
	s_and_saveexec_b64 s[44:45], s[4:5]
	s_cbranch_execz .LBB1493_685
; %bb.687:                              ;   in Loop: Header=BB1493_686 Depth=2
	v_lshl_add_u64 v[14:15], v[14:15], 0, -1
	v_cmp_eq_u64_e64 s[0:1], 0, v[14:15]
	s_andn2_b64 s[4:5], s[40:41], exec
	s_and_b64 s[40:41], s[46:47], exec
	s_or_b64 s[40:41], s[4:5], s[40:41]
	s_andn2_b64 s[4:5], s[38:39], exec
	s_and_b64 s[0:1], s[0:1], exec
	v_lshl_add_u64 v[2:3], v[2:3], 0, 4
	v_lshl_add_u64 v[12:13], v[12:13], 0, 4
	s_andn2_b64 s[2:3], s[2:3], exec
	s_or_b64 s[38:39], s[4:5], s[0:1]
                                        ; implicit-def: $sgpr42_sgpr43
	s_branch .LBB1493_685
.LBB1493_688:                           ;   in Loop: Header=BB1493_608 Depth=1
	s_or_b64 exec, exec, s[34:35]
	s_xor_b64 s[0:1], s[36:37], -1
	s_orn2_b64 s[0:1], s[0:1], exec
.LBB1493_689:                           ;   in Loop: Header=BB1493_608 Depth=1
	s_or_b64 exec, exec, s[30:31]
	s_and_b64 s[2:3], s[0:1], exec
.LBB1493_690:                           ;   in Loop: Header=BB1493_608 Depth=1
	s_or_b64 exec, exec, s[24:25]
	s_orn2_b64 s[24:25], s[2:3], exec
.LBB1493_691:                           ;   in Loop: Header=BB1493_608 Depth=1
	s_or_b64 exec, exec, s[28:29]
	v_cndmask_b32_e64 v2, v18, v16, s[24:25]
	v_cndmask_b32_e64 v3, v96, v31, s[24:25]
	v_add_u32_e32 v14, 1, v2
	v_add_u32_e32 v2, -1, v3
	v_min_u32_e32 v54, v14, v2
	v_lshl_add_u64 v[2:3], v[54:55], 3, v[10:11]
	flat_load_dwordx2 v[12:13], v[2:3]
	v_cndmask_b32_e64 v15, v14, v18, s[24:25]
	v_cmp_lt_u32_e64 s[0:1], v15, v96
	s_waitcnt vmcnt(0) lgkmcnt(0)
	v_cndmask_b32_e64 v3, v113, v13, s[24:25]
	v_cndmask_b32_e64 v2, v114, v12, s[24:25]
	s_and_saveexec_b64 s[28:29], s[0:1]
	s_cbranch_execz .LBB1493_701
; %bb.692:                              ;   in Loop: Header=BB1493_608 Depth=1
	v_cndmask_b32_e64 v14, v16, v14, s[24:25]
	v_cndmask_b32_e64 v13, v13, v103, s[24:25]
	v_cndmask_b32_e64 v12, v12, v112, s[24:25]
	v_cmp_lt_u32_e64 s[0:1], v14, v31
	s_and_saveexec_b64 s[30:31], s[0:1]
	s_cbranch_execz .LBB1493_700
; %bb.693:                              ;   in Loop: Header=BB1493_608 Depth=1
	s_and_saveexec_b64 s[34:35], vcc
	s_cbranch_execz .LBB1493_699
; %bb.694:                              ;   in Loop: Header=BB1493_608 Depth=1
	v_mad_u64_u32 v[14:15], s[0:1], v66, v2, v[8:9]
	v_mul_lo_u32 v16, v66, v3
	v_mul_lo_u32 v17, v67, v2
	v_add3_u32 v15, v17, v15, v16
	v_mad_u64_u32 v[16:17], s[0:1], v66, v12, v[8:9]
	v_mul_lo_u32 v18, v66, v13
	v_mul_lo_u32 v19, v67, v12
	v_add3_u32 v17, v19, v17, v18
	s_mov_b64 s[36:37], 0
	v_mov_b64_e32 v[18:19], v[6:7]
                                        ; implicit-def: $sgpr38_sgpr39
                                        ; implicit-def: $sgpr40_sgpr41
                                        ; implicit-def: $sgpr2_sgpr3
                                        ; implicit-def: $sgpr42_sgpr43
                                        ; implicit-def: $sgpr44_sgpr45
	s_branch .LBB1493_696
.LBB1493_695:                           ;   in Loop: Header=BB1493_696 Depth=2
	s_or_b64 exec, exec, s[46:47]
	s_and_b64 s[0:1], exec, s[40:41]
	s_or_b64 s[36:37], s[0:1], s[36:37]
	s_andn2_b64 s[0:1], s[44:45], exec
	s_and_b64 s[4:5], s[42:43], exec
	s_or_b64 s[44:45], s[0:1], s[4:5]
	s_andn2_b64 s[0:1], s[38:39], exec
	s_and_b64 s[4:5], s[2:3], exec
	s_or_b64 s[38:39], s[0:1], s[4:5]
	s_andn2_b64 exec, exec, s[36:37]
	s_cbranch_execz .LBB1493_698
.LBB1493_696:                           ;   Parent Loop BB1493_608 Depth=1
                                        ; =>  This Inner Loop Header: Depth=2
	flat_load_dword v31, v[16:17]
	flat_load_dword v54, v[14:15]
	s_andn2_b64 s[46:47], s[2:3], exec
	s_andn2_b64 s[42:43], s[42:43], exec
	s_or_b64 s[40:41], s[40:41], exec
	s_waitcnt vmcnt(0) lgkmcnt(0)
	v_cmp_le_u32_e64 s[2:3], v31, v54
	v_cmp_lt_u32_e64 s[0:1], v31, v54
	s_and_b64 s[2:3], s[2:3], s[44:45]
	s_or_b64 s[48:49], s[0:1], s[2:3]
	s_and_b64 s[0:1], s[48:49], exec
	v_cmp_eq_u32_e64 s[4:5], v31, v54
	s_or_b64 s[2:3], s[46:47], s[0:1]
	s_and_saveexec_b64 s[46:47], s[4:5]
	s_cbranch_execz .LBB1493_695
; %bb.697:                              ;   in Loop: Header=BB1493_696 Depth=2
	v_lshl_add_u64 v[18:19], v[18:19], 0, -1
	v_cmp_eq_u64_e64 s[0:1], 0, v[18:19]
	s_andn2_b64 s[4:5], s[42:43], exec
	s_and_b64 s[42:43], s[48:49], exec
	s_or_b64 s[42:43], s[4:5], s[42:43]
	s_andn2_b64 s[4:5], s[40:41], exec
	s_and_b64 s[0:1], s[0:1], exec
	v_lshl_add_u64 v[14:15], v[14:15], 0, 4
	v_lshl_add_u64 v[16:17], v[16:17], 0, 4
	s_andn2_b64 s[2:3], s[2:3], exec
	s_or_b64 s[40:41], s[4:5], s[0:1]
                                        ; implicit-def: $sgpr44_sgpr45
	s_branch .LBB1493_695
.LBB1493_698:                           ;   in Loop: Header=BB1493_608 Depth=1
	s_or_b64 exec, exec, s[36:37]
	v_cndmask_b32_e64 v3, v3, v13, s[38:39]
	v_cndmask_b32_e64 v2, v2, v12, s[38:39]
.LBB1493_699:                           ;   in Loop: Header=BB1493_608 Depth=1
	s_or_b64 exec, exec, s[34:35]
	v_mov_b64_e32 v[12:13], v[2:3]
.LBB1493_700:                           ;   in Loop: Header=BB1493_608 Depth=1
	s_or_b64 exec, exec, s[30:31]
	v_mov_b64_e32 v[2:3], v[12:13]
.LBB1493_701:                           ;   in Loop: Header=BB1493_608 Depth=1
	s_or_b64 exec, exec, s[28:29]
	v_cndmask_b32_e64 v15, v99, v101, s[26:27]
	v_cndmask_b32_e64 v14, v100, v102, s[26:27]
	;; [unrolled: 1-line block ×14, first 2 shown]
.LBB1493_702:                           ;   in Loop: Header=BB1493_608 Depth=1
	s_or_b64 exec, exec, s[10:11]
	s_cmpk_lt_u32 s50, 0x400
	s_barrier
	s_cbranch_scc0 .LBB1493_704
; %bb.703:                              ;   in Loop: Header=BB1493_608 Depth=1
	s_mov_b32 s50, s51
	s_branch .LBB1493_608
.LBB1493_704:
	s_barrier
	flat_store_dwordx4 v[52:53], v[20:23]
	flat_store_dwordx4 v[52:53], v[16:19] offset:16
	flat_store_dwordx4 v[52:53], v[12:15] offset:32
	;; [unrolled: 1-line block ×3, first 2 shown]
	s_waitcnt lgkmcnt(0)
	s_barrier
	flat_load_dwordx2 v[0:1], v[24:25]
	flat_load_dwordx2 v[2:3], v[26:27] offset:2048
	flat_load_dwordx2 v[6:7], v[34:35]
	flat_load_dwordx2 v[8:9], v[32:33]
	flat_load_dwordx2 v[10:11], v[38:39]
	flat_load_dwordx2 v[14:15], v[36:37]
	flat_load_dwordx2 v[16:17], v[50:51]
	flat_load_dwordx2 v[12:13], v[48:49]
	v_mov_b32_e32 v31, 0
	s_movk_i32 s0, 0x1000
	v_lshl_add_u64 v[18:19], v[4:5], 0, v[30:31]
	v_add_co_u32_e32 v20, vcc, s0, v18
	s_mov_b64 s[38:39], exec
	s_nop 0
	v_addc_co_u32_e32 v21, vcc, 0, v19, vcc
	v_add_co_u32_e32 v22, vcc, 0x2000, v18
                                        ; implicit-def: $vgpr64
                                        ; implicit-def: $vgpr65
                                        ; implicit-def: $vgpr30
                                        ; implicit-def: $vgpr32
	s_nop 1
	v_addc_co_u32_e32 v23, vcc, 0, v19, vcc
	v_add_co_u32_e32 v24, vcc, 0x3000, v18
	s_nop 1
	v_addc_co_u32_e32 v25, vcc, 0, v19, vcc
	s_waitcnt vmcnt(0) lgkmcnt(0)
	flat_store_dwordx2 v[18:19], v[0:1]
	flat_store_dwordx2 v[18:19], v[2:3] offset:2048
	flat_store_dwordx2 v[20:21], v[6:7]
	flat_store_dwordx2 v[20:21], v[8:9] offset:2048
	;; [unrolled: 2-line block ×3, first 2 shown]
	flat_store_dwordx2 v[24:25], v[16:17]
                                        ; implicit-def: $vgpr0
                                        ; implicit-def: $vgpr6_vgpr7
                                        ; implicit-def: $vgpr2_vgpr3
                                        ; implicit-def: $vgpr8_vgpr9
                                        ; implicit-def: $vgpr10_vgpr11
                                        ; implicit-def: $vgpr1
	s_andn2_saveexec_b64 s[40:41], s[6:7]
	s_cbranch_execz .LBB1493_2
.LBB1493_705:
	v_cmp_lt_u32_e32 vcc, v28, v0
                                        ; implicit-def: $vgpr12_vgpr13
	s_and_saveexec_b64 s[0:1], vcc
	s_cbranch_execz .LBB1493_707
; %bb.706:
	v_mov_b32_e32 v31, 0
	v_lshl_add_u64 v[12:13], v[2:3], 0, v[30:31]
	flat_load_dwordx2 v[12:13], v[12:13]
.LBB1493_707:
	s_or_b64 exec, exec, s[0:1]
	v_add_u32_e32 v33, 0x100, v28
	v_cmp_lt_u32_e64 s[0:1], v33, v0
                                        ; implicit-def: $vgpr14_vgpr15
	s_and_saveexec_b64 s[2:3], s[0:1]
	s_cbranch_execz .LBB1493_709
; %bb.708:
	v_mov_b32_e32 v31, 0
	v_lshl_add_u64 v[14:15], v[2:3], 0, v[30:31]
	flat_load_dwordx2 v[14:15], v[14:15] offset:2048
.LBB1493_709:
	s_or_b64 exec, exec, s[2:3]
	v_add_u32_e32 v31, 0x200, v28
	v_cmp_lt_u32_e64 s[2:3], v31, v0
                                        ; implicit-def: $vgpr16_vgpr17
	s_and_saveexec_b64 s[4:5], s[2:3]
	s_cbranch_execz .LBB1493_711
; %bb.710:
	v_lshlrev_b32_e32 v16, 3, v31
	v_mov_b32_e32 v17, 0
	v_lshl_add_u64 v[16:17], v[2:3], 0, v[16:17]
	flat_load_dwordx2 v[16:17], v[16:17]
.LBB1493_711:
	s_or_b64 exec, exec, s[4:5]
	v_add_u32_e32 v36, 0x300, v28
	v_cmp_lt_u32_e64 s[4:5], v36, v0
                                        ; implicit-def: $vgpr18_vgpr19
	s_and_saveexec_b64 s[6:7], s[4:5]
	s_cbranch_execz .LBB1493_713
; %bb.712:
	v_lshlrev_b32_e32 v18, 3, v36
	v_mov_b32_e32 v19, 0
	v_lshl_add_u64 v[18:19], v[2:3], 0, v[18:19]
	flat_load_dwordx2 v[18:19], v[18:19]
.LBB1493_713:
	s_or_b64 exec, exec, s[6:7]
	v_or_b32_e32 v38, 0x400, v28
	v_cmp_lt_u32_e64 s[6:7], v38, v0
                                        ; implicit-def: $vgpr20_vgpr21
	s_and_saveexec_b64 s[10:11], s[6:7]
	s_cbranch_execz .LBB1493_715
; %bb.714:
	v_lshlrev_b32_e32 v20, 3, v38
	v_mov_b32_e32 v21, 0
	v_lshl_add_u64 v[20:21], v[2:3], 0, v[20:21]
	flat_load_dwordx2 v[20:21], v[20:21]
.LBB1493_715:
	s_or_b64 exec, exec, s[10:11]
	v_add_u32_e32 v48, 0x500, v28
	v_cmp_lt_u32_e64 s[30:31], v48, v0
                                        ; implicit-def: $vgpr22_vgpr23
	s_and_saveexec_b64 s[10:11], s[30:31]
	s_cbranch_execz .LBB1493_717
; %bb.716:
	v_lshlrev_b32_e32 v22, 3, v48
	v_mov_b32_e32 v23, 0
	v_lshl_add_u64 v[22:23], v[2:3], 0, v[22:23]
	flat_load_dwordx2 v[22:23], v[22:23]
.LBB1493_717:
	s_or_b64 exec, exec, s[10:11]
	v_add_u32_e32 v50, 0x600, v28
	v_cmp_lt_u32_e64 s[10:11], v50, v0
                                        ; implicit-def: $vgpr24_vgpr25
	s_and_saveexec_b64 s[14:15], s[10:11]
	s_cbranch_execz .LBB1493_719
; %bb.718:
	v_lshlrev_b32_e32 v24, 3, v50
	v_mov_b32_e32 v25, 0
	v_lshl_add_u64 v[24:25], v[2:3], 0, v[24:25]
	flat_load_dwordx2 v[24:25], v[24:25]
.LBB1493_719:
	s_or_b64 exec, exec, s[14:15]
	v_add_u32_e32 v52, 0x700, v28
	v_cmp_lt_u32_e64 s[14:15], v52, v0
                                        ; implicit-def: $vgpr26_vgpr27
	s_and_saveexec_b64 s[16:17], s[14:15]
	s_cbranch_execz .LBB1493_721
; %bb.720:
	v_lshlrev_b32_e32 v26, 3, v52
	v_mov_b32_e32 v27, 0
	v_lshl_add_u64 v[2:3], v[2:3], 0, v[26:27]
	flat_load_dwordx2 v[26:27], v[2:3]
.LBB1493_721:
	s_or_b64 exec, exec, s[16:17]
	v_mov_b32_e32 v29, 0
	v_add_lshl_u32 v2, v32, v28, 3
	v_mov_b32_e32 v3, v29
	v_lshl_add_u64 v[2:3], v[10:11], 0, v[2:3]
	s_waitcnt vmcnt(0) lgkmcnt(0)
	flat_store_dwordx2 v[2:3], v[12:13]
	v_lshrrev_b32_e32 v12, 5, v33
	v_add_lshl_u32 v12, v12, v28, 3
	v_mov_b32_e32 v13, v29
	v_lshl_add_u64 v[32:33], v[10:11], 0, v[12:13]
	v_lshrrev_b32_e32 v12, 5, v31
	v_add_lshl_u32 v12, v12, v31, 3
	v_lshl_add_u64 v[34:35], v[10:11], 0, v[12:13]
	v_lshrrev_b32_e32 v12, 5, v36
	v_add_lshl_u32 v12, v12, v36, 3
	;; [unrolled: 3-line block ×6, first 2 shown]
	v_lshl_add_u64 v[52:53], v[10:11], 0, v[12:13]
	v_add_lshl_u32 v12, v1, v30, 3
	v_lshl_add_u64 v[54:55], v[10:11], 0, v[12:13]
	flat_store_dwordx2 v[32:33], v[14:15] offset:2048
	flat_store_dwordx2 v[34:35], v[16:17]
	flat_store_dwordx2 v[36:37], v[18:19]
	flat_store_dwordx2 v[38:39], v[20:21]
	flat_store_dwordx2 v[48:49], v[22:23]
	flat_store_dwordx2 v[50:51], v[24:25]
	flat_store_dwordx2 v[52:53], v[26:27]
	s_waitcnt lgkmcnt(0)
	s_barrier
	flat_load_dwordx4 v[24:27], v[54:55]
	flat_load_dwordx4 v[20:23], v[54:55] offset:16
	flat_load_dwordx4 v[16:19], v[54:55] offset:32
	;; [unrolled: 1-line block ×3, first 2 shown]
	s_waitcnt lgkmcnt(0)
	s_barrier
	s_load_dwordx2 s[16:17], s[8:9], 0x0
	s_waitcnt lgkmcnt(0)
	s_cmp_lt_u32 s12, s16
	s_cselect_b32 s16, 12, 18
	s_cmp_lt_u32 s13, s17
	s_cselect_b32 s12, 14, 20
	s_add_u32 s12, s8, s12
	s_addc_u32 s13, s9, 0
	s_add_u32 s8, s8, s16
	s_addc_u32 s9, s9, 0
	global_load_ushort v1, v29, s[12:13]
	global_load_ushort v31, v29, s[8:9]
	v_cmp_lt_i64_e64 s[8:9], 0, v[6:7]
	s_waitcnt vmcnt(0)
	v_mad_u32_u24 v1, v65, v1, v64
	v_mul_lo_u32 v1, v1, v31
	v_add_lshl_u32 v1, v1, v28, 3
	v_sub_u32_e64 v31, v0, v1 clamp
	v_cmp_lt_u32_e64 s[16:17], 1, v31
	s_and_saveexec_b64 s[22:23], s[16:17]
	s_cbranch_execnz .LBB1493_725
; %bb.722:
	s_or_b64 exec, exec, s[22:23]
	v_cmp_lt_u32_e64 s[18:19], 3, v31
	s_and_saveexec_b64 s[24:25], s[18:19]
	s_cbranch_execnz .LBB1493_734
.LBB1493_723:
	s_or_b64 exec, exec, s[24:25]
	v_cmp_lt_u32_e64 s[20:21], 5, v31
	s_and_saveexec_b64 s[26:27], s[20:21]
	s_cbranch_execnz .LBB1493_743
.LBB1493_724:
	s_or_b64 exec, exec, s[26:27]
	v_cmp_lt_u32_e64 s[22:23], 7, v31
	s_and_saveexec_b64 s[28:29], s[22:23]
	s_cbranch_execnz .LBB1493_752
	s_branch .LBB1493_761
.LBB1493_725:
	s_and_saveexec_b64 s[24:25], s[8:9]
	s_cbranch_execz .LBB1493_733
; %bb.726:
	v_mul_lo_u32 v66, v25, v6
	v_mul_lo_u32 v67, v24, v7
	v_mad_u64_u32 v[64:65], s[12:13], v24, v6, 0
	v_add3_u32 v65, v65, v67, v66
	v_mul_lo_u32 v68, v27, v6
	v_mul_lo_u32 v69, v26, v7
	v_mad_u64_u32 v[66:67], s[12:13], v26, v6, 0
	v_add3_u32 v67, v67, v69, v68
	v_lshl_add_u64 v[64:65], v[64:65], 2, v[8:9]
	v_lshl_add_u64 v[66:67], v[66:67], 2, v[8:9]
	s_mov_b64 s[28:29], 0
	v_mov_b64_e32 v[68:69], v[6:7]
                                        ; implicit-def: $sgpr26_sgpr27
                                        ; implicit-def: $sgpr34_sgpr35
                                        ; implicit-def: $sgpr42_sgpr43
                                        ; implicit-def: $sgpr36_sgpr37
                                        ; implicit-def: $sgpr44_sgpr45
                                        ; implicit-def: $sgpr46_sgpr47
	s_branch .LBB1493_728
.LBB1493_727:                           ;   in Loop: Header=BB1493_728 Depth=1
	s_or_b64 exec, exec, s[48:49]
	s_and_b64 s[12:13], exec, s[42:43]
	s_or_b64 s[28:29], s[12:13], s[28:29]
	s_andn2_b64 s[12:13], s[46:47], exec
	s_and_b64 s[20:21], s[44:45], exec
	s_or_b64 s[46:47], s[12:13], s[20:21]
	s_andn2_b64 s[12:13], s[34:35], exec
	s_and_b64 s[20:21], s[36:37], exec
	s_or_b64 s[34:35], s[12:13], s[20:21]
	s_andn2_b64 s[12:13], s[26:27], exec
	s_and_b64 s[18:19], s[18:19], exec
	s_or_b64 s[26:27], s[12:13], s[18:19]
	s_andn2_b64 exec, exec, s[28:29]
	s_cbranch_execz .LBB1493_730
.LBB1493_728:                           ; =>This Inner Loop Header: Depth=1
	flat_load_dword v70, v[66:67]
	flat_load_dword v71, v[64:65]
	s_andn2_b64 s[44:45], s[44:45], exec
	s_or_b64 s[36:37], s[36:37], exec
	s_or_b64 s[42:43], s[42:43], exec
	s_waitcnt vmcnt(0) lgkmcnt(0)
	v_cmp_le_u32_e64 s[18:19], v70, v71
	v_cmp_lt_u32_e64 s[12:13], v70, v71
	s_and_b64 s[18:19], s[18:19], s[46:47]
	v_cmp_eq_u32_e64 s[20:21], v70, v71
	s_or_b64 s[18:19], s[12:13], s[18:19]
	s_and_saveexec_b64 s[48:49], s[20:21]
	s_cbranch_execz .LBB1493_727
; %bb.729:                              ;   in Loop: Header=BB1493_728 Depth=1
	v_lshl_add_u64 v[68:69], v[68:69], 0, -1
	v_cmp_eq_u64_e64 s[12:13], 0, v[68:69]
	s_andn2_b64 s[20:21], s[44:45], exec
	s_and_b64 s[44:45], s[18:19], exec
	s_or_b64 s[44:45], s[20:21], s[44:45]
	s_andn2_b64 s[20:21], s[42:43], exec
	s_and_b64 s[12:13], s[12:13], exec
	v_lshl_add_u64 v[64:65], v[64:65], 0, 4
	v_lshl_add_u64 v[66:67], v[66:67], 0, 4
	s_andn2_b64 s[36:37], s[36:37], exec
	s_or_b64 s[42:43], s[20:21], s[12:13]
                                        ; implicit-def: $sgpr46_sgpr47
	s_branch .LBB1493_727
.LBB1493_730:
	s_or_b64 exec, exec, s[28:29]
	s_and_saveexec_b64 s[12:13], s[34:35]
	s_xor_b64 s[12:13], exec, s[12:13]
; %bb.731:
	v_cndmask_b32_e64 v65, v27, v25, s[26:27]
	v_cndmask_b32_e64 v64, v26, v24, s[26:27]
	;; [unrolled: 1-line block ×4, first 2 shown]
	v_mov_b64_e32 v[26:27], v[64:65]
; %bb.732:
	s_or_b64 exec, exec, s[12:13]
.LBB1493_733:
	s_or_b64 exec, exec, s[24:25]
	s_or_b64 exec, exec, s[22:23]
	v_cmp_lt_u32_e64 s[18:19], 3, v31
	s_and_saveexec_b64 s[24:25], s[18:19]
	s_cbranch_execz .LBB1493_723
.LBB1493_734:
	s_and_saveexec_b64 s[26:27], s[8:9]
	s_cbranch_execz .LBB1493_742
; %bb.735:
	v_mul_lo_u32 v66, v21, v6
	v_mul_lo_u32 v67, v20, v7
	v_mad_u64_u32 v[64:65], s[12:13], v20, v6, 0
	v_add3_u32 v65, v65, v67, v66
	v_mul_lo_u32 v68, v23, v6
	v_mul_lo_u32 v69, v22, v7
	v_mad_u64_u32 v[66:67], s[12:13], v22, v6, 0
	v_add3_u32 v67, v67, v69, v68
	v_lshl_add_u64 v[64:65], v[64:65], 2, v[8:9]
	v_lshl_add_u64 v[66:67], v[66:67], 2, v[8:9]
	s_mov_b64 s[34:35], 0
	v_mov_b64_e32 v[68:69], v[6:7]
                                        ; implicit-def: $sgpr28_sgpr29
                                        ; implicit-def: $sgpr36_sgpr37
                                        ; implicit-def: $sgpr44_sgpr45
                                        ; implicit-def: $sgpr42_sgpr43
                                        ; implicit-def: $sgpr46_sgpr47
                                        ; implicit-def: $sgpr48_sgpr49
	s_branch .LBB1493_737
.LBB1493_736:                           ;   in Loop: Header=BB1493_737 Depth=1
	s_or_b64 exec, exec, s[50:51]
	s_and_b64 s[12:13], exec, s[44:45]
	s_or_b64 s[34:35], s[12:13], s[34:35]
	s_andn2_b64 s[12:13], s[48:49], exec
	s_and_b64 s[22:23], s[46:47], exec
	s_or_b64 s[48:49], s[12:13], s[22:23]
	s_andn2_b64 s[12:13], s[36:37], exec
	s_and_b64 s[22:23], s[42:43], exec
	;; [unrolled: 3-line block ×3, first 2 shown]
	s_or_b64 s[28:29], s[12:13], s[20:21]
	s_andn2_b64 exec, exec, s[34:35]
	s_cbranch_execz .LBB1493_739
.LBB1493_737:                           ; =>This Inner Loop Header: Depth=1
	flat_load_dword v70, v[66:67]
	flat_load_dword v71, v[64:65]
	s_andn2_b64 s[46:47], s[46:47], exec
	s_or_b64 s[42:43], s[42:43], exec
	s_or_b64 s[44:45], s[44:45], exec
	s_waitcnt vmcnt(0) lgkmcnt(0)
	v_cmp_le_u32_e64 s[20:21], v70, v71
	v_cmp_lt_u32_e64 s[12:13], v70, v71
	s_and_b64 s[20:21], s[20:21], s[48:49]
	v_cmp_eq_u32_e64 s[22:23], v70, v71
	s_or_b64 s[20:21], s[12:13], s[20:21]
	s_and_saveexec_b64 s[50:51], s[22:23]
	s_cbranch_execz .LBB1493_736
; %bb.738:                              ;   in Loop: Header=BB1493_737 Depth=1
	v_lshl_add_u64 v[68:69], v[68:69], 0, -1
	v_cmp_eq_u64_e64 s[12:13], 0, v[68:69]
	s_andn2_b64 s[22:23], s[46:47], exec
	s_and_b64 s[46:47], s[20:21], exec
	s_or_b64 s[46:47], s[22:23], s[46:47]
	s_andn2_b64 s[22:23], s[44:45], exec
	s_and_b64 s[12:13], s[12:13], exec
	v_lshl_add_u64 v[64:65], v[64:65], 0, 4
	v_lshl_add_u64 v[66:67], v[66:67], 0, 4
	s_andn2_b64 s[42:43], s[42:43], exec
	s_or_b64 s[44:45], s[22:23], s[12:13]
                                        ; implicit-def: $sgpr48_sgpr49
	s_branch .LBB1493_736
.LBB1493_739:
	s_or_b64 exec, exec, s[34:35]
	s_and_saveexec_b64 s[12:13], s[36:37]
	s_xor_b64 s[12:13], exec, s[12:13]
; %bb.740:
	v_cndmask_b32_e64 v65, v21, v23, s[28:29]
	v_cndmask_b32_e64 v64, v20, v22, s[28:29]
	;; [unrolled: 1-line block ×4, first 2 shown]
	v_mov_b64_e32 v[20:21], v[64:65]
; %bb.741:
	s_or_b64 exec, exec, s[12:13]
.LBB1493_742:
	s_or_b64 exec, exec, s[26:27]
	s_or_b64 exec, exec, s[24:25]
	v_cmp_lt_u32_e64 s[20:21], 5, v31
	s_and_saveexec_b64 s[26:27], s[20:21]
	s_cbranch_execz .LBB1493_724
.LBB1493_743:
	s_and_saveexec_b64 s[28:29], s[8:9]
	s_cbranch_execz .LBB1493_751
; %bb.744:
	v_mul_lo_u32 v66, v17, v6
	v_mul_lo_u32 v67, v16, v7
	v_mad_u64_u32 v[64:65], s[12:13], v16, v6, 0
	v_add3_u32 v65, v65, v67, v66
	v_mul_lo_u32 v68, v19, v6
	v_mul_lo_u32 v69, v18, v7
	v_mad_u64_u32 v[66:67], s[12:13], v18, v6, 0
	v_add3_u32 v67, v67, v69, v68
	v_lshl_add_u64 v[64:65], v[64:65], 2, v[8:9]
	v_lshl_add_u64 v[66:67], v[66:67], 2, v[8:9]
	s_mov_b64 s[36:37], 0
	v_mov_b64_e32 v[68:69], v[6:7]
                                        ; implicit-def: $sgpr34_sgpr35
                                        ; implicit-def: $sgpr42_sgpr43
                                        ; implicit-def: $sgpr46_sgpr47
                                        ; implicit-def: $sgpr44_sgpr45
                                        ; implicit-def: $sgpr48_sgpr49
                                        ; implicit-def: $sgpr50_sgpr51
	s_branch .LBB1493_746
.LBB1493_745:                           ;   in Loop: Header=BB1493_746 Depth=1
	s_or_b64 exec, exec, s[52:53]
	s_and_b64 s[12:13], exec, s[46:47]
	s_or_b64 s[36:37], s[12:13], s[36:37]
	s_andn2_b64 s[12:13], s[50:51], exec
	s_and_b64 s[24:25], s[48:49], exec
	s_or_b64 s[50:51], s[12:13], s[24:25]
	s_andn2_b64 s[12:13], s[42:43], exec
	s_and_b64 s[24:25], s[44:45], exec
	;; [unrolled: 3-line block ×3, first 2 shown]
	s_or_b64 s[34:35], s[12:13], s[22:23]
	s_andn2_b64 exec, exec, s[36:37]
	s_cbranch_execz .LBB1493_748
.LBB1493_746:                           ; =>This Inner Loop Header: Depth=1
	flat_load_dword v70, v[66:67]
	flat_load_dword v71, v[64:65]
	s_andn2_b64 s[48:49], s[48:49], exec
	s_or_b64 s[44:45], s[44:45], exec
	s_or_b64 s[46:47], s[46:47], exec
	s_waitcnt vmcnt(0) lgkmcnt(0)
	v_cmp_le_u32_e64 s[22:23], v70, v71
	v_cmp_lt_u32_e64 s[12:13], v70, v71
	s_and_b64 s[22:23], s[22:23], s[50:51]
	v_cmp_eq_u32_e64 s[24:25], v70, v71
	s_or_b64 s[22:23], s[12:13], s[22:23]
	s_and_saveexec_b64 s[52:53], s[24:25]
	s_cbranch_execz .LBB1493_745
; %bb.747:                              ;   in Loop: Header=BB1493_746 Depth=1
	v_lshl_add_u64 v[68:69], v[68:69], 0, -1
	v_cmp_eq_u64_e64 s[12:13], 0, v[68:69]
	s_andn2_b64 s[24:25], s[48:49], exec
	s_and_b64 s[48:49], s[22:23], exec
	s_or_b64 s[48:49], s[24:25], s[48:49]
	s_andn2_b64 s[24:25], s[46:47], exec
	s_and_b64 s[12:13], s[12:13], exec
	v_lshl_add_u64 v[64:65], v[64:65], 0, 4
	v_lshl_add_u64 v[66:67], v[66:67], 0, 4
	s_andn2_b64 s[44:45], s[44:45], exec
	s_or_b64 s[46:47], s[24:25], s[12:13]
                                        ; implicit-def: $sgpr50_sgpr51
	s_branch .LBB1493_745
.LBB1493_748:
	s_or_b64 exec, exec, s[36:37]
	s_and_saveexec_b64 s[12:13], s[42:43]
	s_xor_b64 s[12:13], exec, s[12:13]
; %bb.749:
	v_cndmask_b32_e64 v65, v17, v19, s[34:35]
	v_cndmask_b32_e64 v64, v16, v18, s[34:35]
	;; [unrolled: 1-line block ×4, first 2 shown]
	v_mov_b64_e32 v[16:17], v[64:65]
; %bb.750:
	s_or_b64 exec, exec, s[12:13]
.LBB1493_751:
	s_or_b64 exec, exec, s[28:29]
	s_or_b64 exec, exec, s[26:27]
	v_cmp_lt_u32_e64 s[22:23], 7, v31
	s_and_saveexec_b64 s[28:29], s[22:23]
	s_cbranch_execz .LBB1493_761
.LBB1493_752:
	s_and_saveexec_b64 s[34:35], s[8:9]
	s_cbranch_execz .LBB1493_760
; %bb.753:
	v_mul_lo_u32 v66, v13, v6
	v_mul_lo_u32 v67, v12, v7
	v_mad_u64_u32 v[64:65], s[12:13], v12, v6, 0
	v_add3_u32 v65, v65, v67, v66
	v_mul_lo_u32 v68, v15, v6
	v_mul_lo_u32 v69, v14, v7
	v_mad_u64_u32 v[66:67], s[12:13], v14, v6, 0
	v_add3_u32 v67, v67, v69, v68
	v_lshl_add_u64 v[64:65], v[64:65], 2, v[8:9]
	v_lshl_add_u64 v[66:67], v[66:67], 2, v[8:9]
	s_mov_b64 s[42:43], 0
	v_mov_b64_e32 v[68:69], v[6:7]
                                        ; implicit-def: $sgpr36_sgpr37
                                        ; implicit-def: $sgpr44_sgpr45
                                        ; implicit-def: $sgpr48_sgpr49
                                        ; implicit-def: $sgpr46_sgpr47
                                        ; implicit-def: $sgpr50_sgpr51
                                        ; implicit-def: $sgpr52_sgpr53
	s_branch .LBB1493_755
.LBB1493_754:                           ;   in Loop: Header=BB1493_755 Depth=1
	s_or_b64 exec, exec, s[54:55]
	s_and_b64 s[12:13], exec, s[48:49]
	s_or_b64 s[42:43], s[12:13], s[42:43]
	s_andn2_b64 s[12:13], s[52:53], exec
	s_and_b64 s[26:27], s[50:51], exec
	s_or_b64 s[52:53], s[12:13], s[26:27]
	s_andn2_b64 s[12:13], s[44:45], exec
	s_and_b64 s[26:27], s[46:47], exec
	;; [unrolled: 3-line block ×3, first 2 shown]
	s_or_b64 s[36:37], s[12:13], s[24:25]
	s_andn2_b64 exec, exec, s[42:43]
	s_cbranch_execz .LBB1493_757
.LBB1493_755:                           ; =>This Inner Loop Header: Depth=1
	flat_load_dword v70, v[66:67]
	flat_load_dword v71, v[64:65]
	s_andn2_b64 s[50:51], s[50:51], exec
	s_or_b64 s[46:47], s[46:47], exec
	s_or_b64 s[48:49], s[48:49], exec
	s_waitcnt vmcnt(0) lgkmcnt(0)
	v_cmp_le_u32_e64 s[24:25], v70, v71
	v_cmp_lt_u32_e64 s[12:13], v70, v71
	s_and_b64 s[24:25], s[24:25], s[52:53]
	v_cmp_eq_u32_e64 s[26:27], v70, v71
	s_or_b64 s[24:25], s[12:13], s[24:25]
	s_and_saveexec_b64 s[54:55], s[26:27]
	s_cbranch_execz .LBB1493_754
; %bb.756:                              ;   in Loop: Header=BB1493_755 Depth=1
	v_lshl_add_u64 v[68:69], v[68:69], 0, -1
	v_cmp_eq_u64_e64 s[12:13], 0, v[68:69]
	s_andn2_b64 s[26:27], s[50:51], exec
	s_and_b64 s[50:51], s[24:25], exec
	s_or_b64 s[50:51], s[26:27], s[50:51]
	s_andn2_b64 s[26:27], s[48:49], exec
	s_and_b64 s[12:13], s[12:13], exec
	v_lshl_add_u64 v[64:65], v[64:65], 0, 4
	v_lshl_add_u64 v[66:67], v[66:67], 0, 4
	s_andn2_b64 s[46:47], s[46:47], exec
	s_or_b64 s[48:49], s[26:27], s[12:13]
                                        ; implicit-def: $sgpr52_sgpr53
	s_branch .LBB1493_754
.LBB1493_757:
	s_or_b64 exec, exec, s[42:43]
	s_and_saveexec_b64 s[12:13], s[44:45]
	s_xor_b64 s[12:13], exec, s[12:13]
; %bb.758:
	v_cndmask_b32_e64 v65, v13, v15, s[36:37]
	v_cndmask_b32_e64 v64, v12, v14, s[36:37]
	;; [unrolled: 1-line block ×4, first 2 shown]
	v_mov_b64_e32 v[12:13], v[64:65]
; %bb.759:
	s_or_b64 exec, exec, s[12:13]
.LBB1493_760:
	s_or_b64 exec, exec, s[34:35]
.LBB1493_761:
	s_or_b64 exec, exec, s[28:29]
	v_cmp_lt_u32_e64 s[24:25], 2, v31
	s_and_saveexec_b64 s[12:13], s[24:25]
	s_xor_b64 s[34:35], exec, s[12:13]
	s_cbranch_execnz .LBB1493_785
; %bb.762:
	s_or_b64 exec, exec, s[34:35]
	v_cmp_lt_u32_e64 s[26:27], 4, v31
	s_and_saveexec_b64 s[36:37], s[26:27]
	s_cbranch_execnz .LBB1493_794
.LBB1493_763:
	s_or_b64 exec, exec, s[36:37]
	v_cmp_lt_u32_e64 s[28:29], 6, v31
	s_and_saveexec_b64 s[42:43], s[28:29]
	s_cbranch_execnz .LBB1493_803
.LBB1493_764:
	s_or_b64 exec, exec, s[42:43]
	s_and_saveexec_b64 s[42:43], s[16:17]
	s_cbranch_execnz .LBB1493_812
.LBB1493_765:
	s_or_b64 exec, exec, s[42:43]
	s_and_saveexec_b64 s[42:43], s[18:19]
	s_cbranch_execnz .LBB1493_821
.LBB1493_766:
	s_or_b64 exec, exec, s[42:43]
	s_and_saveexec_b64 s[42:43], s[20:21]
	s_cbranch_execnz .LBB1493_830
.LBB1493_767:
	s_or_b64 exec, exec, s[42:43]
	s_and_saveexec_b64 s[42:43], s[22:23]
	s_cbranch_execnz .LBB1493_839
.LBB1493_768:
	s_or_b64 exec, exec, s[42:43]
	s_and_saveexec_b64 s[42:43], s[24:25]
	s_cbranch_execnz .LBB1493_848
.LBB1493_769:
	s_or_b64 exec, exec, s[42:43]
	s_and_saveexec_b64 s[42:43], s[26:27]
	s_cbranch_execnz .LBB1493_857
.LBB1493_770:
	s_or_b64 exec, exec, s[42:43]
	s_and_saveexec_b64 s[42:43], s[28:29]
	s_cbranch_execnz .LBB1493_866
.LBB1493_771:
	s_or_b64 exec, exec, s[42:43]
	s_and_saveexec_b64 s[42:43], s[16:17]
	s_cbranch_execnz .LBB1493_875
.LBB1493_772:
	s_or_b64 exec, exec, s[42:43]
	s_and_saveexec_b64 s[42:43], s[18:19]
	s_cbranch_execnz .LBB1493_884
.LBB1493_773:
	s_or_b64 exec, exec, s[42:43]
	s_and_saveexec_b64 s[42:43], s[20:21]
	s_cbranch_execnz .LBB1493_893
.LBB1493_774:
	s_or_b64 exec, exec, s[42:43]
	s_and_saveexec_b64 s[42:43], s[22:23]
	s_cbranch_execnz .LBB1493_902
.LBB1493_775:
	s_or_b64 exec, exec, s[42:43]
	s_and_saveexec_b64 s[42:43], s[24:25]
	s_cbranch_execnz .LBB1493_911
.LBB1493_776:
	s_or_b64 exec, exec, s[42:43]
	s_and_saveexec_b64 s[42:43], s[26:27]
	s_cbranch_execnz .LBB1493_920
.LBB1493_777:
	s_or_b64 exec, exec, s[42:43]
	s_and_saveexec_b64 s[42:43], s[28:29]
	s_cbranch_execnz .LBB1493_929
.LBB1493_778:
	s_or_b64 exec, exec, s[42:43]
	s_and_saveexec_b64 s[36:37], s[16:17]
	s_cbranch_execnz .LBB1493_938
.LBB1493_779:
	s_or_b64 exec, exec, s[36:37]
	s_and_saveexec_b64 s[34:35], s[18:19]
	s_cbranch_execnz .LBB1493_947
.LBB1493_780:
	s_or_b64 exec, exec, s[34:35]
	s_and_saveexec_b64 s[34:35], s[20:21]
	s_cbranch_execnz .LBB1493_956
.LBB1493_781:
	s_or_b64 exec, exec, s[34:35]
	s_and_saveexec_b64 s[20:21], s[22:23]
	s_cbranch_execnz .LBB1493_965
.LBB1493_782:
	s_or_b64 exec, exec, s[20:21]
	s_and_saveexec_b64 s[20:21], s[24:25]
	s_cbranch_execnz .LBB1493_974
.LBB1493_783:
	s_or_b64 exec, exec, s[20:21]
	s_and_saveexec_b64 s[20:21], s[26:27]
	s_cbranch_execnz .LBB1493_983
.LBB1493_784:
	s_or_b64 exec, exec, s[20:21]
	s_and_saveexec_b64 s[20:21], s[28:29]
	s_cbranch_execnz .LBB1493_992
	s_branch .LBB1493_1001
.LBB1493_785:
	s_and_saveexec_b64 s[36:37], s[8:9]
	s_cbranch_execz .LBB1493_793
; %bb.786:
	v_mul_lo_u32 v66, v27, v6
	v_mul_lo_u32 v67, v26, v7
	v_mad_u64_u32 v[64:65], s[12:13], v26, v6, 0
	v_add3_u32 v65, v65, v67, v66
	v_mul_lo_u32 v68, v21, v6
	v_mul_lo_u32 v69, v20, v7
	v_mad_u64_u32 v[66:67], s[12:13], v20, v6, 0
	v_add3_u32 v67, v67, v69, v68
	v_lshl_add_u64 v[64:65], v[64:65], 2, v[8:9]
	v_lshl_add_u64 v[66:67], v[66:67], 2, v[8:9]
	s_mov_b64 s[44:45], 0
	v_mov_b64_e32 v[68:69], v[6:7]
                                        ; implicit-def: $sgpr42_sgpr43
                                        ; implicit-def: $sgpr46_sgpr47
                                        ; implicit-def: $sgpr50_sgpr51
                                        ; implicit-def: $sgpr48_sgpr49
                                        ; implicit-def: $sgpr52_sgpr53
                                        ; implicit-def: $sgpr54_sgpr55
	s_branch .LBB1493_788
.LBB1493_787:                           ;   in Loop: Header=BB1493_788 Depth=1
	s_or_b64 exec, exec, s[56:57]
	s_and_b64 s[12:13], exec, s[50:51]
	s_or_b64 s[44:45], s[12:13], s[44:45]
	s_andn2_b64 s[12:13], s[54:55], exec
	s_and_b64 s[28:29], s[52:53], exec
	s_or_b64 s[54:55], s[12:13], s[28:29]
	s_andn2_b64 s[12:13], s[46:47], exec
	s_and_b64 s[28:29], s[48:49], exec
	;; [unrolled: 3-line block ×3, first 2 shown]
	s_or_b64 s[42:43], s[12:13], s[26:27]
	s_andn2_b64 exec, exec, s[44:45]
	s_cbranch_execz .LBB1493_790
.LBB1493_788:                           ; =>This Inner Loop Header: Depth=1
	flat_load_dword v70, v[66:67]
	flat_load_dword v71, v[64:65]
	s_andn2_b64 s[52:53], s[52:53], exec
	s_or_b64 s[48:49], s[48:49], exec
	s_or_b64 s[50:51], s[50:51], exec
	s_waitcnt vmcnt(0) lgkmcnt(0)
	v_cmp_le_u32_e64 s[26:27], v70, v71
	v_cmp_lt_u32_e64 s[12:13], v70, v71
	s_and_b64 s[26:27], s[26:27], s[54:55]
	v_cmp_eq_u32_e64 s[28:29], v70, v71
	s_or_b64 s[26:27], s[12:13], s[26:27]
	s_and_saveexec_b64 s[56:57], s[28:29]
	s_cbranch_execz .LBB1493_787
; %bb.789:                              ;   in Loop: Header=BB1493_788 Depth=1
	v_lshl_add_u64 v[68:69], v[68:69], 0, -1
	v_cmp_eq_u64_e64 s[12:13], 0, v[68:69]
	s_andn2_b64 s[28:29], s[52:53], exec
	s_and_b64 s[52:53], s[26:27], exec
	s_or_b64 s[52:53], s[28:29], s[52:53]
	s_andn2_b64 s[28:29], s[50:51], exec
	s_and_b64 s[12:13], s[12:13], exec
	v_lshl_add_u64 v[64:65], v[64:65], 0, 4
	v_lshl_add_u64 v[66:67], v[66:67], 0, 4
	s_andn2_b64 s[48:49], s[48:49], exec
	s_or_b64 s[50:51], s[28:29], s[12:13]
                                        ; implicit-def: $sgpr54_sgpr55
	s_branch .LBB1493_787
.LBB1493_790:
	s_or_b64 exec, exec, s[44:45]
	s_and_saveexec_b64 s[12:13], s[46:47]
	s_xor_b64 s[12:13], exec, s[12:13]
; %bb.791:
	v_cndmask_b32_e64 v65, v27, v21, s[42:43]
	v_cndmask_b32_e64 v64, v26, v20, s[42:43]
	;; [unrolled: 1-line block ×4, first 2 shown]
	v_mov_b64_e32 v[26:27], v[64:65]
; %bb.792:
	s_or_b64 exec, exec, s[12:13]
.LBB1493_793:
	s_or_b64 exec, exec, s[36:37]
	s_or_b64 exec, exec, s[34:35]
	v_cmp_lt_u32_e64 s[26:27], 4, v31
	s_and_saveexec_b64 s[36:37], s[26:27]
	s_cbranch_execz .LBB1493_763
.LBB1493_794:
	s_and_saveexec_b64 s[42:43], s[8:9]
	s_cbranch_execz .LBB1493_802
; %bb.795:
	v_mul_lo_u32 v66, v23, v6
	v_mul_lo_u32 v67, v22, v7
	v_mad_u64_u32 v[64:65], s[12:13], v22, v6, 0
	v_add3_u32 v65, v65, v67, v66
	v_mul_lo_u32 v68, v17, v6
	v_mul_lo_u32 v69, v16, v7
	v_mad_u64_u32 v[66:67], s[12:13], v16, v6, 0
	v_add3_u32 v67, v67, v69, v68
	v_lshl_add_u64 v[64:65], v[64:65], 2, v[8:9]
	v_lshl_add_u64 v[66:67], v[66:67], 2, v[8:9]
	s_mov_b64 s[46:47], 0
	v_mov_b64_e32 v[68:69], v[6:7]
                                        ; implicit-def: $sgpr44_sgpr45
                                        ; implicit-def: $sgpr48_sgpr49
                                        ; implicit-def: $sgpr52_sgpr53
                                        ; implicit-def: $sgpr50_sgpr51
                                        ; implicit-def: $sgpr54_sgpr55
                                        ; implicit-def: $sgpr56_sgpr57
	s_branch .LBB1493_797
.LBB1493_796:                           ;   in Loop: Header=BB1493_797 Depth=1
	s_or_b64 exec, exec, s[58:59]
	s_and_b64 s[12:13], exec, s[52:53]
	s_or_b64 s[46:47], s[12:13], s[46:47]
	s_andn2_b64 s[12:13], s[56:57], exec
	s_and_b64 s[34:35], s[54:55], exec
	s_or_b64 s[56:57], s[12:13], s[34:35]
	s_andn2_b64 s[12:13], s[48:49], exec
	s_and_b64 s[34:35], s[50:51], exec
	;; [unrolled: 3-line block ×3, first 2 shown]
	s_or_b64 s[44:45], s[12:13], s[28:29]
	s_andn2_b64 exec, exec, s[46:47]
	s_cbranch_execz .LBB1493_799
.LBB1493_797:                           ; =>This Inner Loop Header: Depth=1
	flat_load_dword v70, v[66:67]
	flat_load_dword v71, v[64:65]
	s_andn2_b64 s[54:55], s[54:55], exec
	s_or_b64 s[50:51], s[50:51], exec
	s_or_b64 s[52:53], s[52:53], exec
	s_waitcnt vmcnt(0) lgkmcnt(0)
	v_cmp_le_u32_e64 s[28:29], v70, v71
	v_cmp_lt_u32_e64 s[12:13], v70, v71
	s_and_b64 s[28:29], s[28:29], s[56:57]
	v_cmp_eq_u32_e64 s[34:35], v70, v71
	s_or_b64 s[28:29], s[12:13], s[28:29]
	s_and_saveexec_b64 s[58:59], s[34:35]
	s_cbranch_execz .LBB1493_796
; %bb.798:                              ;   in Loop: Header=BB1493_797 Depth=1
	v_lshl_add_u64 v[68:69], v[68:69], 0, -1
	v_cmp_eq_u64_e64 s[12:13], 0, v[68:69]
	s_andn2_b64 s[34:35], s[54:55], exec
	s_and_b64 s[54:55], s[28:29], exec
	s_or_b64 s[54:55], s[34:35], s[54:55]
	s_andn2_b64 s[34:35], s[52:53], exec
	s_and_b64 s[12:13], s[12:13], exec
	v_lshl_add_u64 v[64:65], v[64:65], 0, 4
	v_lshl_add_u64 v[66:67], v[66:67], 0, 4
	s_andn2_b64 s[50:51], s[50:51], exec
	s_or_b64 s[52:53], s[34:35], s[12:13]
                                        ; implicit-def: $sgpr56_sgpr57
	s_branch .LBB1493_796
.LBB1493_799:
	s_or_b64 exec, exec, s[46:47]
	s_and_saveexec_b64 s[12:13], s[48:49]
	s_xor_b64 s[12:13], exec, s[12:13]
; %bb.800:
	v_cndmask_b32_e64 v65, v23, v17, s[44:45]
	v_cndmask_b32_e64 v64, v22, v16, s[44:45]
	;; [unrolled: 1-line block ×4, first 2 shown]
	v_mov_b64_e32 v[22:23], v[64:65]
; %bb.801:
	s_or_b64 exec, exec, s[12:13]
.LBB1493_802:
	s_or_b64 exec, exec, s[42:43]
	s_or_b64 exec, exec, s[36:37]
	v_cmp_lt_u32_e64 s[28:29], 6, v31
	s_and_saveexec_b64 s[42:43], s[28:29]
	s_cbranch_execz .LBB1493_764
.LBB1493_803:
	s_and_saveexec_b64 s[44:45], s[8:9]
	s_cbranch_execz .LBB1493_811
; %bb.804:
	v_mul_lo_u32 v31, v19, v6
	v_mul_lo_u32 v66, v18, v7
	v_mad_u64_u32 v[64:65], s[12:13], v18, v6, 0
	v_add3_u32 v65, v65, v66, v31
	v_mul_lo_u32 v31, v13, v6
	v_mul_lo_u32 v68, v12, v7
	v_mad_u64_u32 v[66:67], s[12:13], v12, v6, 0
	v_add3_u32 v67, v67, v68, v31
	v_lshl_add_u64 v[64:65], v[64:65], 2, v[8:9]
	v_lshl_add_u64 v[66:67], v[66:67], 2, v[8:9]
	s_mov_b64 s[48:49], 0
	v_mov_b64_e32 v[68:69], v[6:7]
                                        ; implicit-def: $sgpr46_sgpr47
                                        ; implicit-def: $sgpr50_sgpr51
                                        ; implicit-def: $sgpr54_sgpr55
                                        ; implicit-def: $sgpr52_sgpr53
                                        ; implicit-def: $sgpr56_sgpr57
                                        ; implicit-def: $sgpr58_sgpr59
	s_branch .LBB1493_806
.LBB1493_805:                           ;   in Loop: Header=BB1493_806 Depth=1
	s_or_b64 exec, exec, s[60:61]
	s_and_b64 s[12:13], exec, s[54:55]
	s_or_b64 s[48:49], s[12:13], s[48:49]
	s_andn2_b64 s[12:13], s[58:59], exec
	s_and_b64 s[36:37], s[56:57], exec
	s_or_b64 s[58:59], s[12:13], s[36:37]
	s_andn2_b64 s[12:13], s[50:51], exec
	s_and_b64 s[36:37], s[52:53], exec
	s_or_b64 s[50:51], s[12:13], s[36:37]
	s_andn2_b64 s[12:13], s[46:47], exec
	s_and_b64 s[34:35], s[34:35], exec
	s_or_b64 s[46:47], s[12:13], s[34:35]
	s_andn2_b64 exec, exec, s[48:49]
	s_cbranch_execz .LBB1493_808
.LBB1493_806:                           ; =>This Inner Loop Header: Depth=1
	flat_load_dword v31, v[66:67]
	flat_load_dword v70, v[64:65]
	s_andn2_b64 s[56:57], s[56:57], exec
	s_or_b64 s[52:53], s[52:53], exec
	s_or_b64 s[54:55], s[54:55], exec
	s_waitcnt vmcnt(0) lgkmcnt(0)
	v_cmp_le_u32_e64 s[34:35], v31, v70
	v_cmp_lt_u32_e64 s[12:13], v31, v70
	s_and_b64 s[34:35], s[34:35], s[58:59]
	v_cmp_eq_u32_e64 s[36:37], v31, v70
	s_or_b64 s[34:35], s[12:13], s[34:35]
	s_and_saveexec_b64 s[60:61], s[36:37]
	s_cbranch_execz .LBB1493_805
; %bb.807:                              ;   in Loop: Header=BB1493_806 Depth=1
	v_lshl_add_u64 v[68:69], v[68:69], 0, -1
	v_cmp_eq_u64_e64 s[12:13], 0, v[68:69]
	s_andn2_b64 s[36:37], s[56:57], exec
	s_and_b64 s[56:57], s[34:35], exec
	s_or_b64 s[56:57], s[36:37], s[56:57]
	s_andn2_b64 s[36:37], s[54:55], exec
	s_and_b64 s[12:13], s[12:13], exec
	v_lshl_add_u64 v[64:65], v[64:65], 0, 4
	v_lshl_add_u64 v[66:67], v[66:67], 0, 4
	s_andn2_b64 s[52:53], s[52:53], exec
	s_or_b64 s[54:55], s[36:37], s[12:13]
                                        ; implicit-def: $sgpr58_sgpr59
	s_branch .LBB1493_805
.LBB1493_808:
	s_or_b64 exec, exec, s[48:49]
	s_and_saveexec_b64 s[12:13], s[50:51]
	s_xor_b64 s[12:13], exec, s[12:13]
; %bb.809:
	v_cndmask_b32_e64 v65, v19, v13, s[46:47]
	v_cndmask_b32_e64 v64, v18, v12, s[46:47]
	;; [unrolled: 1-line block ×4, first 2 shown]
	v_mov_b64_e32 v[18:19], v[64:65]
; %bb.810:
	s_or_b64 exec, exec, s[12:13]
.LBB1493_811:
	s_or_b64 exec, exec, s[44:45]
	s_or_b64 exec, exec, s[42:43]
	s_and_saveexec_b64 s[42:43], s[16:17]
	s_cbranch_execz .LBB1493_765
.LBB1493_812:
	s_and_saveexec_b64 s[44:45], s[8:9]
	s_cbranch_execz .LBB1493_820
; %bb.813:
	v_mul_lo_u32 v31, v25, v6
	v_mul_lo_u32 v66, v24, v7
	v_mad_u64_u32 v[64:65], s[12:13], v24, v6, 0
	v_add3_u32 v65, v65, v66, v31
	v_mul_lo_u32 v31, v27, v6
	v_mul_lo_u32 v68, v26, v7
	v_mad_u64_u32 v[66:67], s[12:13], v26, v6, 0
	v_add3_u32 v67, v67, v68, v31
	v_lshl_add_u64 v[64:65], v[64:65], 2, v[8:9]
	v_lshl_add_u64 v[66:67], v[66:67], 2, v[8:9]
	s_mov_b64 s[48:49], 0
	v_mov_b64_e32 v[68:69], v[6:7]
                                        ; implicit-def: $sgpr46_sgpr47
                                        ; implicit-def: $sgpr50_sgpr51
                                        ; implicit-def: $sgpr54_sgpr55
                                        ; implicit-def: $sgpr52_sgpr53
                                        ; implicit-def: $sgpr56_sgpr57
                                        ; implicit-def: $sgpr58_sgpr59
	s_branch .LBB1493_815
.LBB1493_814:                           ;   in Loop: Header=BB1493_815 Depth=1
	s_or_b64 exec, exec, s[60:61]
	s_and_b64 s[12:13], exec, s[54:55]
	s_or_b64 s[48:49], s[12:13], s[48:49]
	s_andn2_b64 s[12:13], s[58:59], exec
	s_and_b64 s[36:37], s[56:57], exec
	s_or_b64 s[58:59], s[12:13], s[36:37]
	s_andn2_b64 s[12:13], s[50:51], exec
	s_and_b64 s[36:37], s[52:53], exec
	;; [unrolled: 3-line block ×3, first 2 shown]
	s_or_b64 s[46:47], s[12:13], s[34:35]
	s_andn2_b64 exec, exec, s[48:49]
	s_cbranch_execz .LBB1493_817
.LBB1493_815:                           ; =>This Inner Loop Header: Depth=1
	flat_load_dword v31, v[66:67]
	flat_load_dword v70, v[64:65]
	s_andn2_b64 s[56:57], s[56:57], exec
	s_or_b64 s[52:53], s[52:53], exec
	s_or_b64 s[54:55], s[54:55], exec
	s_waitcnt vmcnt(0) lgkmcnt(0)
	v_cmp_le_u32_e64 s[34:35], v31, v70
	v_cmp_lt_u32_e64 s[12:13], v31, v70
	s_and_b64 s[34:35], s[34:35], s[58:59]
	v_cmp_eq_u32_e64 s[36:37], v31, v70
	s_or_b64 s[34:35], s[12:13], s[34:35]
	s_and_saveexec_b64 s[60:61], s[36:37]
	s_cbranch_execz .LBB1493_814
; %bb.816:                              ;   in Loop: Header=BB1493_815 Depth=1
	v_lshl_add_u64 v[68:69], v[68:69], 0, -1
	v_cmp_eq_u64_e64 s[12:13], 0, v[68:69]
	s_andn2_b64 s[36:37], s[56:57], exec
	s_and_b64 s[56:57], s[34:35], exec
	s_or_b64 s[56:57], s[36:37], s[56:57]
	s_andn2_b64 s[36:37], s[54:55], exec
	s_and_b64 s[12:13], s[12:13], exec
	v_lshl_add_u64 v[64:65], v[64:65], 0, 4
	v_lshl_add_u64 v[66:67], v[66:67], 0, 4
	s_andn2_b64 s[52:53], s[52:53], exec
	s_or_b64 s[54:55], s[36:37], s[12:13]
                                        ; implicit-def: $sgpr58_sgpr59
	s_branch .LBB1493_814
.LBB1493_817:
	s_or_b64 exec, exec, s[48:49]
	s_and_saveexec_b64 s[12:13], s[50:51]
	s_xor_b64 s[12:13], exec, s[12:13]
; %bb.818:
	v_cndmask_b32_e64 v65, v27, v25, s[46:47]
	v_cndmask_b32_e64 v64, v26, v24, s[46:47]
	;; [unrolled: 1-line block ×4, first 2 shown]
	v_mov_b64_e32 v[26:27], v[64:65]
; %bb.819:
	s_or_b64 exec, exec, s[12:13]
.LBB1493_820:
	s_or_b64 exec, exec, s[44:45]
	s_or_b64 exec, exec, s[42:43]
	s_and_saveexec_b64 s[42:43], s[18:19]
	s_cbranch_execz .LBB1493_766
.LBB1493_821:
	s_and_saveexec_b64 s[44:45], s[8:9]
	s_cbranch_execz .LBB1493_829
; %bb.822:
	v_mul_lo_u32 v31, v21, v6
	v_mul_lo_u32 v66, v20, v7
	v_mad_u64_u32 v[64:65], s[12:13], v20, v6, 0
	v_add3_u32 v65, v65, v66, v31
	v_mul_lo_u32 v31, v23, v6
	v_mul_lo_u32 v68, v22, v7
	v_mad_u64_u32 v[66:67], s[12:13], v22, v6, 0
	v_add3_u32 v67, v67, v68, v31
	v_lshl_add_u64 v[64:65], v[64:65], 2, v[8:9]
	v_lshl_add_u64 v[66:67], v[66:67], 2, v[8:9]
	s_mov_b64 s[48:49], 0
	v_mov_b64_e32 v[68:69], v[6:7]
                                        ; implicit-def: $sgpr46_sgpr47
                                        ; implicit-def: $sgpr50_sgpr51
                                        ; implicit-def: $sgpr54_sgpr55
                                        ; implicit-def: $sgpr52_sgpr53
                                        ; implicit-def: $sgpr56_sgpr57
                                        ; implicit-def: $sgpr58_sgpr59
	s_branch .LBB1493_824
.LBB1493_823:                           ;   in Loop: Header=BB1493_824 Depth=1
	s_or_b64 exec, exec, s[60:61]
	s_and_b64 s[12:13], exec, s[54:55]
	s_or_b64 s[48:49], s[12:13], s[48:49]
	s_andn2_b64 s[12:13], s[58:59], exec
	s_and_b64 s[36:37], s[56:57], exec
	s_or_b64 s[58:59], s[12:13], s[36:37]
	s_andn2_b64 s[12:13], s[50:51], exec
	s_and_b64 s[36:37], s[52:53], exec
	;; [unrolled: 3-line block ×3, first 2 shown]
	s_or_b64 s[46:47], s[12:13], s[34:35]
	s_andn2_b64 exec, exec, s[48:49]
	s_cbranch_execz .LBB1493_826
.LBB1493_824:                           ; =>This Inner Loop Header: Depth=1
	flat_load_dword v31, v[66:67]
	flat_load_dword v70, v[64:65]
	s_andn2_b64 s[56:57], s[56:57], exec
	s_or_b64 s[52:53], s[52:53], exec
	s_or_b64 s[54:55], s[54:55], exec
	s_waitcnt vmcnt(0) lgkmcnt(0)
	v_cmp_le_u32_e64 s[34:35], v31, v70
	v_cmp_lt_u32_e64 s[12:13], v31, v70
	s_and_b64 s[34:35], s[34:35], s[58:59]
	v_cmp_eq_u32_e64 s[36:37], v31, v70
	s_or_b64 s[34:35], s[12:13], s[34:35]
	s_and_saveexec_b64 s[60:61], s[36:37]
	s_cbranch_execz .LBB1493_823
; %bb.825:                              ;   in Loop: Header=BB1493_824 Depth=1
	v_lshl_add_u64 v[68:69], v[68:69], 0, -1
	v_cmp_eq_u64_e64 s[12:13], 0, v[68:69]
	s_andn2_b64 s[36:37], s[56:57], exec
	s_and_b64 s[56:57], s[34:35], exec
	s_or_b64 s[56:57], s[36:37], s[56:57]
	s_andn2_b64 s[36:37], s[54:55], exec
	s_and_b64 s[12:13], s[12:13], exec
	v_lshl_add_u64 v[64:65], v[64:65], 0, 4
	v_lshl_add_u64 v[66:67], v[66:67], 0, 4
	s_andn2_b64 s[52:53], s[52:53], exec
	s_or_b64 s[54:55], s[36:37], s[12:13]
                                        ; implicit-def: $sgpr58_sgpr59
	s_branch .LBB1493_823
.LBB1493_826:
	s_or_b64 exec, exec, s[48:49]
	s_and_saveexec_b64 s[12:13], s[50:51]
	s_xor_b64 s[12:13], exec, s[12:13]
; %bb.827:
	v_cndmask_b32_e64 v65, v21, v23, s[46:47]
	v_cndmask_b32_e64 v64, v20, v22, s[46:47]
	;; [unrolled: 1-line block ×4, first 2 shown]
	v_mov_b64_e32 v[20:21], v[64:65]
; %bb.828:
	s_or_b64 exec, exec, s[12:13]
.LBB1493_829:
	s_or_b64 exec, exec, s[44:45]
	s_or_b64 exec, exec, s[42:43]
	s_and_saveexec_b64 s[42:43], s[20:21]
	s_cbranch_execz .LBB1493_767
.LBB1493_830:
	s_and_saveexec_b64 s[44:45], s[8:9]
	s_cbranch_execz .LBB1493_838
; %bb.831:
	v_mul_lo_u32 v31, v17, v6
	v_mul_lo_u32 v66, v16, v7
	v_mad_u64_u32 v[64:65], s[12:13], v16, v6, 0
	v_add3_u32 v65, v65, v66, v31
	v_mul_lo_u32 v31, v19, v6
	v_mul_lo_u32 v68, v18, v7
	v_mad_u64_u32 v[66:67], s[12:13], v18, v6, 0
	v_add3_u32 v67, v67, v68, v31
	v_lshl_add_u64 v[64:65], v[64:65], 2, v[8:9]
	v_lshl_add_u64 v[66:67], v[66:67], 2, v[8:9]
	s_mov_b64 s[48:49], 0
	v_mov_b64_e32 v[68:69], v[6:7]
                                        ; implicit-def: $sgpr46_sgpr47
                                        ; implicit-def: $sgpr50_sgpr51
                                        ; implicit-def: $sgpr54_sgpr55
                                        ; implicit-def: $sgpr52_sgpr53
                                        ; implicit-def: $sgpr56_sgpr57
                                        ; implicit-def: $sgpr58_sgpr59
	s_branch .LBB1493_833
.LBB1493_832:                           ;   in Loop: Header=BB1493_833 Depth=1
	s_or_b64 exec, exec, s[60:61]
	s_and_b64 s[12:13], exec, s[54:55]
	s_or_b64 s[48:49], s[12:13], s[48:49]
	s_andn2_b64 s[12:13], s[58:59], exec
	s_and_b64 s[36:37], s[56:57], exec
	s_or_b64 s[58:59], s[12:13], s[36:37]
	s_andn2_b64 s[12:13], s[50:51], exec
	s_and_b64 s[36:37], s[52:53], exec
	;; [unrolled: 3-line block ×3, first 2 shown]
	s_or_b64 s[46:47], s[12:13], s[34:35]
	s_andn2_b64 exec, exec, s[48:49]
	s_cbranch_execz .LBB1493_835
.LBB1493_833:                           ; =>This Inner Loop Header: Depth=1
	flat_load_dword v31, v[66:67]
	flat_load_dword v70, v[64:65]
	s_andn2_b64 s[56:57], s[56:57], exec
	s_or_b64 s[52:53], s[52:53], exec
	s_or_b64 s[54:55], s[54:55], exec
	s_waitcnt vmcnt(0) lgkmcnt(0)
	v_cmp_le_u32_e64 s[34:35], v31, v70
	v_cmp_lt_u32_e64 s[12:13], v31, v70
	s_and_b64 s[34:35], s[34:35], s[58:59]
	v_cmp_eq_u32_e64 s[36:37], v31, v70
	s_or_b64 s[34:35], s[12:13], s[34:35]
	s_and_saveexec_b64 s[60:61], s[36:37]
	s_cbranch_execz .LBB1493_832
; %bb.834:                              ;   in Loop: Header=BB1493_833 Depth=1
	v_lshl_add_u64 v[68:69], v[68:69], 0, -1
	v_cmp_eq_u64_e64 s[12:13], 0, v[68:69]
	s_andn2_b64 s[36:37], s[56:57], exec
	s_and_b64 s[56:57], s[34:35], exec
	s_or_b64 s[56:57], s[36:37], s[56:57]
	s_andn2_b64 s[36:37], s[54:55], exec
	s_and_b64 s[12:13], s[12:13], exec
	v_lshl_add_u64 v[64:65], v[64:65], 0, 4
	v_lshl_add_u64 v[66:67], v[66:67], 0, 4
	s_andn2_b64 s[52:53], s[52:53], exec
	s_or_b64 s[54:55], s[36:37], s[12:13]
                                        ; implicit-def: $sgpr58_sgpr59
	s_branch .LBB1493_832
.LBB1493_835:
	s_or_b64 exec, exec, s[48:49]
	s_and_saveexec_b64 s[12:13], s[50:51]
	s_xor_b64 s[12:13], exec, s[12:13]
; %bb.836:
	v_cndmask_b32_e64 v65, v17, v19, s[46:47]
	v_cndmask_b32_e64 v64, v16, v18, s[46:47]
	;; [unrolled: 1-line block ×4, first 2 shown]
	v_mov_b64_e32 v[16:17], v[64:65]
; %bb.837:
	s_or_b64 exec, exec, s[12:13]
.LBB1493_838:
	s_or_b64 exec, exec, s[44:45]
	s_or_b64 exec, exec, s[42:43]
	s_and_saveexec_b64 s[42:43], s[22:23]
	s_cbranch_execz .LBB1493_768
.LBB1493_839:
	s_and_saveexec_b64 s[44:45], s[8:9]
	s_cbranch_execz .LBB1493_847
; %bb.840:
	v_mul_lo_u32 v31, v13, v6
	v_mul_lo_u32 v66, v12, v7
	v_mad_u64_u32 v[64:65], s[12:13], v12, v6, 0
	v_add3_u32 v65, v65, v66, v31
	v_mul_lo_u32 v31, v15, v6
	v_mul_lo_u32 v68, v14, v7
	v_mad_u64_u32 v[66:67], s[12:13], v14, v6, 0
	v_add3_u32 v67, v67, v68, v31
	v_lshl_add_u64 v[64:65], v[64:65], 2, v[8:9]
	v_lshl_add_u64 v[66:67], v[66:67], 2, v[8:9]
	s_mov_b64 s[48:49], 0
	v_mov_b64_e32 v[68:69], v[6:7]
                                        ; implicit-def: $sgpr46_sgpr47
                                        ; implicit-def: $sgpr50_sgpr51
                                        ; implicit-def: $sgpr54_sgpr55
                                        ; implicit-def: $sgpr52_sgpr53
                                        ; implicit-def: $sgpr56_sgpr57
                                        ; implicit-def: $sgpr58_sgpr59
	s_branch .LBB1493_842
.LBB1493_841:                           ;   in Loop: Header=BB1493_842 Depth=1
	s_or_b64 exec, exec, s[60:61]
	s_and_b64 s[12:13], exec, s[54:55]
	s_or_b64 s[48:49], s[12:13], s[48:49]
	s_andn2_b64 s[12:13], s[58:59], exec
	s_and_b64 s[36:37], s[56:57], exec
	s_or_b64 s[58:59], s[12:13], s[36:37]
	s_andn2_b64 s[12:13], s[50:51], exec
	s_and_b64 s[36:37], s[52:53], exec
	s_or_b64 s[50:51], s[12:13], s[36:37]
	s_andn2_b64 s[12:13], s[46:47], exec
	s_and_b64 s[34:35], s[34:35], exec
	s_or_b64 s[46:47], s[12:13], s[34:35]
	s_andn2_b64 exec, exec, s[48:49]
	s_cbranch_execz .LBB1493_844
.LBB1493_842:                           ; =>This Inner Loop Header: Depth=1
	flat_load_dword v31, v[66:67]
	flat_load_dword v70, v[64:65]
	s_andn2_b64 s[56:57], s[56:57], exec
	s_or_b64 s[52:53], s[52:53], exec
	s_or_b64 s[54:55], s[54:55], exec
	s_waitcnt vmcnt(0) lgkmcnt(0)
	v_cmp_le_u32_e64 s[34:35], v31, v70
	v_cmp_lt_u32_e64 s[12:13], v31, v70
	s_and_b64 s[34:35], s[34:35], s[58:59]
	v_cmp_eq_u32_e64 s[36:37], v31, v70
	s_or_b64 s[34:35], s[12:13], s[34:35]
	s_and_saveexec_b64 s[60:61], s[36:37]
	s_cbranch_execz .LBB1493_841
; %bb.843:                              ;   in Loop: Header=BB1493_842 Depth=1
	v_lshl_add_u64 v[68:69], v[68:69], 0, -1
	v_cmp_eq_u64_e64 s[12:13], 0, v[68:69]
	s_andn2_b64 s[36:37], s[56:57], exec
	s_and_b64 s[56:57], s[34:35], exec
	s_or_b64 s[56:57], s[36:37], s[56:57]
	s_andn2_b64 s[36:37], s[54:55], exec
	s_and_b64 s[12:13], s[12:13], exec
	v_lshl_add_u64 v[64:65], v[64:65], 0, 4
	v_lshl_add_u64 v[66:67], v[66:67], 0, 4
	s_andn2_b64 s[52:53], s[52:53], exec
	s_or_b64 s[54:55], s[36:37], s[12:13]
                                        ; implicit-def: $sgpr58_sgpr59
	s_branch .LBB1493_841
.LBB1493_844:
	s_or_b64 exec, exec, s[48:49]
	s_and_saveexec_b64 s[12:13], s[50:51]
	s_xor_b64 s[12:13], exec, s[12:13]
; %bb.845:
	v_cndmask_b32_e64 v65, v13, v15, s[46:47]
	v_cndmask_b32_e64 v64, v12, v14, s[46:47]
	;; [unrolled: 1-line block ×4, first 2 shown]
	v_mov_b64_e32 v[12:13], v[64:65]
; %bb.846:
	s_or_b64 exec, exec, s[12:13]
.LBB1493_847:
	s_or_b64 exec, exec, s[44:45]
	s_or_b64 exec, exec, s[42:43]
	s_and_saveexec_b64 s[42:43], s[24:25]
	s_cbranch_execz .LBB1493_769
.LBB1493_848:
	s_and_saveexec_b64 s[44:45], s[8:9]
	s_cbranch_execz .LBB1493_856
; %bb.849:
	v_mul_lo_u32 v31, v27, v6
	v_mul_lo_u32 v66, v26, v7
	v_mad_u64_u32 v[64:65], s[12:13], v26, v6, 0
	v_add3_u32 v65, v65, v66, v31
	v_mul_lo_u32 v31, v21, v6
	v_mul_lo_u32 v68, v20, v7
	v_mad_u64_u32 v[66:67], s[12:13], v20, v6, 0
	v_add3_u32 v67, v67, v68, v31
	v_lshl_add_u64 v[64:65], v[64:65], 2, v[8:9]
	v_lshl_add_u64 v[66:67], v[66:67], 2, v[8:9]
	s_mov_b64 s[48:49], 0
	v_mov_b64_e32 v[68:69], v[6:7]
                                        ; implicit-def: $sgpr46_sgpr47
                                        ; implicit-def: $sgpr50_sgpr51
                                        ; implicit-def: $sgpr54_sgpr55
                                        ; implicit-def: $sgpr52_sgpr53
                                        ; implicit-def: $sgpr56_sgpr57
                                        ; implicit-def: $sgpr58_sgpr59
	s_branch .LBB1493_851
.LBB1493_850:                           ;   in Loop: Header=BB1493_851 Depth=1
	s_or_b64 exec, exec, s[60:61]
	s_and_b64 s[12:13], exec, s[54:55]
	s_or_b64 s[48:49], s[12:13], s[48:49]
	s_andn2_b64 s[12:13], s[58:59], exec
	s_and_b64 s[36:37], s[56:57], exec
	s_or_b64 s[58:59], s[12:13], s[36:37]
	s_andn2_b64 s[12:13], s[50:51], exec
	s_and_b64 s[36:37], s[52:53], exec
	;; [unrolled: 3-line block ×3, first 2 shown]
	s_or_b64 s[46:47], s[12:13], s[34:35]
	s_andn2_b64 exec, exec, s[48:49]
	s_cbranch_execz .LBB1493_853
.LBB1493_851:                           ; =>This Inner Loop Header: Depth=1
	flat_load_dword v31, v[66:67]
	flat_load_dword v70, v[64:65]
	s_andn2_b64 s[56:57], s[56:57], exec
	s_or_b64 s[52:53], s[52:53], exec
	s_or_b64 s[54:55], s[54:55], exec
	s_waitcnt vmcnt(0) lgkmcnt(0)
	v_cmp_le_u32_e64 s[34:35], v31, v70
	v_cmp_lt_u32_e64 s[12:13], v31, v70
	s_and_b64 s[34:35], s[34:35], s[58:59]
	v_cmp_eq_u32_e64 s[36:37], v31, v70
	s_or_b64 s[34:35], s[12:13], s[34:35]
	s_and_saveexec_b64 s[60:61], s[36:37]
	s_cbranch_execz .LBB1493_850
; %bb.852:                              ;   in Loop: Header=BB1493_851 Depth=1
	v_lshl_add_u64 v[68:69], v[68:69], 0, -1
	v_cmp_eq_u64_e64 s[12:13], 0, v[68:69]
	s_andn2_b64 s[36:37], s[56:57], exec
	s_and_b64 s[56:57], s[34:35], exec
	s_or_b64 s[56:57], s[36:37], s[56:57]
	s_andn2_b64 s[36:37], s[54:55], exec
	s_and_b64 s[12:13], s[12:13], exec
	v_lshl_add_u64 v[64:65], v[64:65], 0, 4
	v_lshl_add_u64 v[66:67], v[66:67], 0, 4
	s_andn2_b64 s[52:53], s[52:53], exec
	s_or_b64 s[54:55], s[36:37], s[12:13]
                                        ; implicit-def: $sgpr58_sgpr59
	s_branch .LBB1493_850
.LBB1493_853:
	s_or_b64 exec, exec, s[48:49]
	s_and_saveexec_b64 s[12:13], s[50:51]
	s_xor_b64 s[12:13], exec, s[12:13]
; %bb.854:
	v_cndmask_b32_e64 v65, v27, v21, s[46:47]
	v_cndmask_b32_e64 v64, v26, v20, s[46:47]
	;; [unrolled: 1-line block ×4, first 2 shown]
	v_mov_b64_e32 v[26:27], v[64:65]
; %bb.855:
	s_or_b64 exec, exec, s[12:13]
.LBB1493_856:
	s_or_b64 exec, exec, s[44:45]
	s_or_b64 exec, exec, s[42:43]
	s_and_saveexec_b64 s[42:43], s[26:27]
	s_cbranch_execz .LBB1493_770
.LBB1493_857:
	s_and_saveexec_b64 s[44:45], s[8:9]
	s_cbranch_execz .LBB1493_865
; %bb.858:
	v_mul_lo_u32 v31, v23, v6
	v_mul_lo_u32 v66, v22, v7
	v_mad_u64_u32 v[64:65], s[12:13], v22, v6, 0
	v_add3_u32 v65, v65, v66, v31
	v_mul_lo_u32 v31, v17, v6
	v_mul_lo_u32 v68, v16, v7
	v_mad_u64_u32 v[66:67], s[12:13], v16, v6, 0
	v_add3_u32 v67, v67, v68, v31
	v_lshl_add_u64 v[64:65], v[64:65], 2, v[8:9]
	v_lshl_add_u64 v[66:67], v[66:67], 2, v[8:9]
	s_mov_b64 s[48:49], 0
	v_mov_b64_e32 v[68:69], v[6:7]
                                        ; implicit-def: $sgpr46_sgpr47
                                        ; implicit-def: $sgpr50_sgpr51
                                        ; implicit-def: $sgpr54_sgpr55
                                        ; implicit-def: $sgpr52_sgpr53
                                        ; implicit-def: $sgpr56_sgpr57
                                        ; implicit-def: $sgpr58_sgpr59
	s_branch .LBB1493_860
.LBB1493_859:                           ;   in Loop: Header=BB1493_860 Depth=1
	s_or_b64 exec, exec, s[60:61]
	s_and_b64 s[12:13], exec, s[54:55]
	s_or_b64 s[48:49], s[12:13], s[48:49]
	s_andn2_b64 s[12:13], s[58:59], exec
	s_and_b64 s[36:37], s[56:57], exec
	s_or_b64 s[58:59], s[12:13], s[36:37]
	s_andn2_b64 s[12:13], s[50:51], exec
	s_and_b64 s[36:37], s[52:53], exec
	;; [unrolled: 3-line block ×3, first 2 shown]
	s_or_b64 s[46:47], s[12:13], s[34:35]
	s_andn2_b64 exec, exec, s[48:49]
	s_cbranch_execz .LBB1493_862
.LBB1493_860:                           ; =>This Inner Loop Header: Depth=1
	flat_load_dword v31, v[66:67]
	flat_load_dword v70, v[64:65]
	s_andn2_b64 s[56:57], s[56:57], exec
	s_or_b64 s[52:53], s[52:53], exec
	s_or_b64 s[54:55], s[54:55], exec
	s_waitcnt vmcnt(0) lgkmcnt(0)
	v_cmp_le_u32_e64 s[34:35], v31, v70
	v_cmp_lt_u32_e64 s[12:13], v31, v70
	s_and_b64 s[34:35], s[34:35], s[58:59]
	v_cmp_eq_u32_e64 s[36:37], v31, v70
	s_or_b64 s[34:35], s[12:13], s[34:35]
	s_and_saveexec_b64 s[60:61], s[36:37]
	s_cbranch_execz .LBB1493_859
; %bb.861:                              ;   in Loop: Header=BB1493_860 Depth=1
	v_lshl_add_u64 v[68:69], v[68:69], 0, -1
	v_cmp_eq_u64_e64 s[12:13], 0, v[68:69]
	s_andn2_b64 s[36:37], s[56:57], exec
	s_and_b64 s[56:57], s[34:35], exec
	s_or_b64 s[56:57], s[36:37], s[56:57]
	s_andn2_b64 s[36:37], s[54:55], exec
	s_and_b64 s[12:13], s[12:13], exec
	v_lshl_add_u64 v[64:65], v[64:65], 0, 4
	v_lshl_add_u64 v[66:67], v[66:67], 0, 4
	s_andn2_b64 s[52:53], s[52:53], exec
	s_or_b64 s[54:55], s[36:37], s[12:13]
                                        ; implicit-def: $sgpr58_sgpr59
	s_branch .LBB1493_859
.LBB1493_862:
	s_or_b64 exec, exec, s[48:49]
	s_and_saveexec_b64 s[12:13], s[50:51]
	s_xor_b64 s[12:13], exec, s[12:13]
; %bb.863:
	v_cndmask_b32_e64 v65, v23, v17, s[46:47]
	v_cndmask_b32_e64 v64, v22, v16, s[46:47]
	;; [unrolled: 1-line block ×4, first 2 shown]
	v_mov_b64_e32 v[22:23], v[64:65]
; %bb.864:
	s_or_b64 exec, exec, s[12:13]
.LBB1493_865:
	s_or_b64 exec, exec, s[44:45]
	s_or_b64 exec, exec, s[42:43]
	s_and_saveexec_b64 s[42:43], s[28:29]
	s_cbranch_execz .LBB1493_771
.LBB1493_866:
	s_and_saveexec_b64 s[44:45], s[8:9]
	s_cbranch_execz .LBB1493_874
; %bb.867:
	v_mul_lo_u32 v31, v19, v6
	v_mul_lo_u32 v66, v18, v7
	v_mad_u64_u32 v[64:65], s[12:13], v18, v6, 0
	v_add3_u32 v65, v65, v66, v31
	v_mul_lo_u32 v31, v13, v6
	v_mul_lo_u32 v68, v12, v7
	v_mad_u64_u32 v[66:67], s[12:13], v12, v6, 0
	v_add3_u32 v67, v67, v68, v31
	v_lshl_add_u64 v[64:65], v[64:65], 2, v[8:9]
	v_lshl_add_u64 v[66:67], v[66:67], 2, v[8:9]
	s_mov_b64 s[48:49], 0
	v_mov_b64_e32 v[68:69], v[6:7]
                                        ; implicit-def: $sgpr46_sgpr47
                                        ; implicit-def: $sgpr50_sgpr51
                                        ; implicit-def: $sgpr54_sgpr55
                                        ; implicit-def: $sgpr52_sgpr53
                                        ; implicit-def: $sgpr56_sgpr57
                                        ; implicit-def: $sgpr58_sgpr59
	s_branch .LBB1493_869
.LBB1493_868:                           ;   in Loop: Header=BB1493_869 Depth=1
	s_or_b64 exec, exec, s[60:61]
	s_and_b64 s[12:13], exec, s[54:55]
	s_or_b64 s[48:49], s[12:13], s[48:49]
	s_andn2_b64 s[12:13], s[58:59], exec
	s_and_b64 s[36:37], s[56:57], exec
	s_or_b64 s[58:59], s[12:13], s[36:37]
	s_andn2_b64 s[12:13], s[50:51], exec
	s_and_b64 s[36:37], s[52:53], exec
	;; [unrolled: 3-line block ×3, first 2 shown]
	s_or_b64 s[46:47], s[12:13], s[34:35]
	s_andn2_b64 exec, exec, s[48:49]
	s_cbranch_execz .LBB1493_871
.LBB1493_869:                           ; =>This Inner Loop Header: Depth=1
	flat_load_dword v31, v[66:67]
	flat_load_dword v70, v[64:65]
	s_andn2_b64 s[56:57], s[56:57], exec
	s_or_b64 s[52:53], s[52:53], exec
	s_or_b64 s[54:55], s[54:55], exec
	s_waitcnt vmcnt(0) lgkmcnt(0)
	v_cmp_le_u32_e64 s[34:35], v31, v70
	v_cmp_lt_u32_e64 s[12:13], v31, v70
	s_and_b64 s[34:35], s[34:35], s[58:59]
	v_cmp_eq_u32_e64 s[36:37], v31, v70
	s_or_b64 s[34:35], s[12:13], s[34:35]
	s_and_saveexec_b64 s[60:61], s[36:37]
	s_cbranch_execz .LBB1493_868
; %bb.870:                              ;   in Loop: Header=BB1493_869 Depth=1
	v_lshl_add_u64 v[68:69], v[68:69], 0, -1
	v_cmp_eq_u64_e64 s[12:13], 0, v[68:69]
	s_andn2_b64 s[36:37], s[56:57], exec
	s_and_b64 s[56:57], s[34:35], exec
	s_or_b64 s[56:57], s[36:37], s[56:57]
	s_andn2_b64 s[36:37], s[54:55], exec
	s_and_b64 s[12:13], s[12:13], exec
	v_lshl_add_u64 v[64:65], v[64:65], 0, 4
	v_lshl_add_u64 v[66:67], v[66:67], 0, 4
	s_andn2_b64 s[52:53], s[52:53], exec
	s_or_b64 s[54:55], s[36:37], s[12:13]
                                        ; implicit-def: $sgpr58_sgpr59
	s_branch .LBB1493_868
.LBB1493_871:
	s_or_b64 exec, exec, s[48:49]
	s_and_saveexec_b64 s[12:13], s[50:51]
	s_xor_b64 s[12:13], exec, s[12:13]
; %bb.872:
	v_cndmask_b32_e64 v65, v19, v13, s[46:47]
	v_cndmask_b32_e64 v64, v18, v12, s[46:47]
	;; [unrolled: 1-line block ×4, first 2 shown]
	v_mov_b64_e32 v[18:19], v[64:65]
; %bb.873:
	s_or_b64 exec, exec, s[12:13]
.LBB1493_874:
	s_or_b64 exec, exec, s[44:45]
	s_or_b64 exec, exec, s[42:43]
	s_and_saveexec_b64 s[42:43], s[16:17]
	s_cbranch_execz .LBB1493_772
.LBB1493_875:
	s_and_saveexec_b64 s[44:45], s[8:9]
	s_cbranch_execz .LBB1493_883
; %bb.876:
	v_mul_lo_u32 v31, v25, v6
	v_mul_lo_u32 v66, v24, v7
	v_mad_u64_u32 v[64:65], s[12:13], v24, v6, 0
	v_add3_u32 v65, v65, v66, v31
	v_mul_lo_u32 v31, v27, v6
	v_mul_lo_u32 v68, v26, v7
	v_mad_u64_u32 v[66:67], s[12:13], v26, v6, 0
	v_add3_u32 v67, v67, v68, v31
	v_lshl_add_u64 v[64:65], v[64:65], 2, v[8:9]
	v_lshl_add_u64 v[66:67], v[66:67], 2, v[8:9]
	s_mov_b64 s[48:49], 0
	v_mov_b64_e32 v[68:69], v[6:7]
                                        ; implicit-def: $sgpr46_sgpr47
                                        ; implicit-def: $sgpr50_sgpr51
                                        ; implicit-def: $sgpr54_sgpr55
                                        ; implicit-def: $sgpr52_sgpr53
                                        ; implicit-def: $sgpr56_sgpr57
                                        ; implicit-def: $sgpr58_sgpr59
	s_branch .LBB1493_878
.LBB1493_877:                           ;   in Loop: Header=BB1493_878 Depth=1
	s_or_b64 exec, exec, s[60:61]
	s_and_b64 s[12:13], exec, s[54:55]
	s_or_b64 s[48:49], s[12:13], s[48:49]
	s_andn2_b64 s[12:13], s[58:59], exec
	s_and_b64 s[36:37], s[56:57], exec
	s_or_b64 s[58:59], s[12:13], s[36:37]
	s_andn2_b64 s[12:13], s[50:51], exec
	s_and_b64 s[36:37], s[52:53], exec
	;; [unrolled: 3-line block ×3, first 2 shown]
	s_or_b64 s[46:47], s[12:13], s[34:35]
	s_andn2_b64 exec, exec, s[48:49]
	s_cbranch_execz .LBB1493_880
.LBB1493_878:                           ; =>This Inner Loop Header: Depth=1
	flat_load_dword v31, v[66:67]
	flat_load_dword v70, v[64:65]
	s_andn2_b64 s[56:57], s[56:57], exec
	s_or_b64 s[52:53], s[52:53], exec
	s_or_b64 s[54:55], s[54:55], exec
	s_waitcnt vmcnt(0) lgkmcnt(0)
	v_cmp_le_u32_e64 s[34:35], v31, v70
	v_cmp_lt_u32_e64 s[12:13], v31, v70
	s_and_b64 s[34:35], s[34:35], s[58:59]
	v_cmp_eq_u32_e64 s[36:37], v31, v70
	s_or_b64 s[34:35], s[12:13], s[34:35]
	s_and_saveexec_b64 s[60:61], s[36:37]
	s_cbranch_execz .LBB1493_877
; %bb.879:                              ;   in Loop: Header=BB1493_878 Depth=1
	v_lshl_add_u64 v[68:69], v[68:69], 0, -1
	v_cmp_eq_u64_e64 s[12:13], 0, v[68:69]
	s_andn2_b64 s[36:37], s[56:57], exec
	s_and_b64 s[56:57], s[34:35], exec
	s_or_b64 s[56:57], s[36:37], s[56:57]
	s_andn2_b64 s[36:37], s[54:55], exec
	s_and_b64 s[12:13], s[12:13], exec
	v_lshl_add_u64 v[64:65], v[64:65], 0, 4
	v_lshl_add_u64 v[66:67], v[66:67], 0, 4
	s_andn2_b64 s[52:53], s[52:53], exec
	s_or_b64 s[54:55], s[36:37], s[12:13]
                                        ; implicit-def: $sgpr58_sgpr59
	s_branch .LBB1493_877
.LBB1493_880:
	s_or_b64 exec, exec, s[48:49]
	s_and_saveexec_b64 s[12:13], s[50:51]
	s_xor_b64 s[12:13], exec, s[12:13]
; %bb.881:
	v_cndmask_b32_e64 v65, v27, v25, s[46:47]
	v_cndmask_b32_e64 v64, v26, v24, s[46:47]
	;; [unrolled: 1-line block ×4, first 2 shown]
	v_mov_b64_e32 v[26:27], v[64:65]
; %bb.882:
	s_or_b64 exec, exec, s[12:13]
.LBB1493_883:
	s_or_b64 exec, exec, s[44:45]
	s_or_b64 exec, exec, s[42:43]
	s_and_saveexec_b64 s[42:43], s[18:19]
	s_cbranch_execz .LBB1493_773
.LBB1493_884:
	s_and_saveexec_b64 s[44:45], s[8:9]
	s_cbranch_execz .LBB1493_892
; %bb.885:
	v_mul_lo_u32 v31, v21, v6
	v_mul_lo_u32 v66, v20, v7
	v_mad_u64_u32 v[64:65], s[12:13], v20, v6, 0
	v_add3_u32 v65, v65, v66, v31
	v_mul_lo_u32 v31, v23, v6
	v_mul_lo_u32 v68, v22, v7
	v_mad_u64_u32 v[66:67], s[12:13], v22, v6, 0
	v_add3_u32 v67, v67, v68, v31
	v_lshl_add_u64 v[64:65], v[64:65], 2, v[8:9]
	v_lshl_add_u64 v[66:67], v[66:67], 2, v[8:9]
	s_mov_b64 s[48:49], 0
	v_mov_b64_e32 v[68:69], v[6:7]
                                        ; implicit-def: $sgpr46_sgpr47
                                        ; implicit-def: $sgpr50_sgpr51
                                        ; implicit-def: $sgpr54_sgpr55
                                        ; implicit-def: $sgpr52_sgpr53
                                        ; implicit-def: $sgpr56_sgpr57
                                        ; implicit-def: $sgpr58_sgpr59
	s_branch .LBB1493_887
.LBB1493_886:                           ;   in Loop: Header=BB1493_887 Depth=1
	s_or_b64 exec, exec, s[60:61]
	s_and_b64 s[12:13], exec, s[54:55]
	s_or_b64 s[48:49], s[12:13], s[48:49]
	s_andn2_b64 s[12:13], s[58:59], exec
	s_and_b64 s[36:37], s[56:57], exec
	s_or_b64 s[58:59], s[12:13], s[36:37]
	s_andn2_b64 s[12:13], s[50:51], exec
	s_and_b64 s[36:37], s[52:53], exec
	;; [unrolled: 3-line block ×3, first 2 shown]
	s_or_b64 s[46:47], s[12:13], s[34:35]
	s_andn2_b64 exec, exec, s[48:49]
	s_cbranch_execz .LBB1493_889
.LBB1493_887:                           ; =>This Inner Loop Header: Depth=1
	flat_load_dword v31, v[66:67]
	flat_load_dword v70, v[64:65]
	s_andn2_b64 s[56:57], s[56:57], exec
	s_or_b64 s[52:53], s[52:53], exec
	s_or_b64 s[54:55], s[54:55], exec
	s_waitcnt vmcnt(0) lgkmcnt(0)
	v_cmp_le_u32_e64 s[34:35], v31, v70
	v_cmp_lt_u32_e64 s[12:13], v31, v70
	s_and_b64 s[34:35], s[34:35], s[58:59]
	v_cmp_eq_u32_e64 s[36:37], v31, v70
	s_or_b64 s[34:35], s[12:13], s[34:35]
	s_and_saveexec_b64 s[60:61], s[36:37]
	s_cbranch_execz .LBB1493_886
; %bb.888:                              ;   in Loop: Header=BB1493_887 Depth=1
	v_lshl_add_u64 v[68:69], v[68:69], 0, -1
	v_cmp_eq_u64_e64 s[12:13], 0, v[68:69]
	s_andn2_b64 s[36:37], s[56:57], exec
	s_and_b64 s[56:57], s[34:35], exec
	s_or_b64 s[56:57], s[36:37], s[56:57]
	s_andn2_b64 s[36:37], s[54:55], exec
	s_and_b64 s[12:13], s[12:13], exec
	v_lshl_add_u64 v[64:65], v[64:65], 0, 4
	v_lshl_add_u64 v[66:67], v[66:67], 0, 4
	s_andn2_b64 s[52:53], s[52:53], exec
	s_or_b64 s[54:55], s[36:37], s[12:13]
                                        ; implicit-def: $sgpr58_sgpr59
	s_branch .LBB1493_886
.LBB1493_889:
	s_or_b64 exec, exec, s[48:49]
	s_and_saveexec_b64 s[12:13], s[50:51]
	s_xor_b64 s[12:13], exec, s[12:13]
; %bb.890:
	v_cndmask_b32_e64 v65, v21, v23, s[46:47]
	v_cndmask_b32_e64 v64, v20, v22, s[46:47]
	;; [unrolled: 1-line block ×4, first 2 shown]
	v_mov_b64_e32 v[20:21], v[64:65]
; %bb.891:
	s_or_b64 exec, exec, s[12:13]
.LBB1493_892:
	s_or_b64 exec, exec, s[44:45]
	s_or_b64 exec, exec, s[42:43]
	s_and_saveexec_b64 s[42:43], s[20:21]
	s_cbranch_execz .LBB1493_774
.LBB1493_893:
	s_and_saveexec_b64 s[44:45], s[8:9]
	s_cbranch_execz .LBB1493_901
; %bb.894:
	v_mul_lo_u32 v31, v17, v6
	v_mul_lo_u32 v66, v16, v7
	v_mad_u64_u32 v[64:65], s[12:13], v16, v6, 0
	v_add3_u32 v65, v65, v66, v31
	v_mul_lo_u32 v31, v19, v6
	v_mul_lo_u32 v68, v18, v7
	v_mad_u64_u32 v[66:67], s[12:13], v18, v6, 0
	v_add3_u32 v67, v67, v68, v31
	v_lshl_add_u64 v[64:65], v[64:65], 2, v[8:9]
	v_lshl_add_u64 v[66:67], v[66:67], 2, v[8:9]
	s_mov_b64 s[48:49], 0
	v_mov_b64_e32 v[68:69], v[6:7]
                                        ; implicit-def: $sgpr46_sgpr47
                                        ; implicit-def: $sgpr50_sgpr51
                                        ; implicit-def: $sgpr54_sgpr55
                                        ; implicit-def: $sgpr52_sgpr53
                                        ; implicit-def: $sgpr56_sgpr57
                                        ; implicit-def: $sgpr58_sgpr59
	s_branch .LBB1493_896
.LBB1493_895:                           ;   in Loop: Header=BB1493_896 Depth=1
	s_or_b64 exec, exec, s[60:61]
	s_and_b64 s[12:13], exec, s[54:55]
	s_or_b64 s[48:49], s[12:13], s[48:49]
	s_andn2_b64 s[12:13], s[58:59], exec
	s_and_b64 s[36:37], s[56:57], exec
	s_or_b64 s[58:59], s[12:13], s[36:37]
	s_andn2_b64 s[12:13], s[50:51], exec
	s_and_b64 s[36:37], s[52:53], exec
	;; [unrolled: 3-line block ×3, first 2 shown]
	s_or_b64 s[46:47], s[12:13], s[34:35]
	s_andn2_b64 exec, exec, s[48:49]
	s_cbranch_execz .LBB1493_898
.LBB1493_896:                           ; =>This Inner Loop Header: Depth=1
	flat_load_dword v31, v[66:67]
	flat_load_dword v70, v[64:65]
	s_andn2_b64 s[56:57], s[56:57], exec
	s_or_b64 s[52:53], s[52:53], exec
	s_or_b64 s[54:55], s[54:55], exec
	s_waitcnt vmcnt(0) lgkmcnt(0)
	v_cmp_le_u32_e64 s[34:35], v31, v70
	v_cmp_lt_u32_e64 s[12:13], v31, v70
	s_and_b64 s[34:35], s[34:35], s[58:59]
	v_cmp_eq_u32_e64 s[36:37], v31, v70
	s_or_b64 s[34:35], s[12:13], s[34:35]
	s_and_saveexec_b64 s[60:61], s[36:37]
	s_cbranch_execz .LBB1493_895
; %bb.897:                              ;   in Loop: Header=BB1493_896 Depth=1
	v_lshl_add_u64 v[68:69], v[68:69], 0, -1
	v_cmp_eq_u64_e64 s[12:13], 0, v[68:69]
	s_andn2_b64 s[36:37], s[56:57], exec
	s_and_b64 s[56:57], s[34:35], exec
	s_or_b64 s[56:57], s[36:37], s[56:57]
	s_andn2_b64 s[36:37], s[54:55], exec
	s_and_b64 s[12:13], s[12:13], exec
	v_lshl_add_u64 v[64:65], v[64:65], 0, 4
	v_lshl_add_u64 v[66:67], v[66:67], 0, 4
	s_andn2_b64 s[52:53], s[52:53], exec
	s_or_b64 s[54:55], s[36:37], s[12:13]
                                        ; implicit-def: $sgpr58_sgpr59
	s_branch .LBB1493_895
.LBB1493_898:
	s_or_b64 exec, exec, s[48:49]
	s_and_saveexec_b64 s[12:13], s[50:51]
	s_xor_b64 s[12:13], exec, s[12:13]
; %bb.899:
	v_cndmask_b32_e64 v65, v17, v19, s[46:47]
	v_cndmask_b32_e64 v64, v16, v18, s[46:47]
	;; [unrolled: 1-line block ×4, first 2 shown]
	v_mov_b64_e32 v[16:17], v[64:65]
; %bb.900:
	s_or_b64 exec, exec, s[12:13]
.LBB1493_901:
	s_or_b64 exec, exec, s[44:45]
	s_or_b64 exec, exec, s[42:43]
	s_and_saveexec_b64 s[42:43], s[22:23]
	s_cbranch_execz .LBB1493_775
.LBB1493_902:
	s_and_saveexec_b64 s[44:45], s[8:9]
	s_cbranch_execz .LBB1493_910
; %bb.903:
	v_mul_lo_u32 v31, v13, v6
	v_mul_lo_u32 v66, v12, v7
	v_mad_u64_u32 v[64:65], s[12:13], v12, v6, 0
	v_add3_u32 v65, v65, v66, v31
	v_mul_lo_u32 v31, v15, v6
	v_mul_lo_u32 v68, v14, v7
	v_mad_u64_u32 v[66:67], s[12:13], v14, v6, 0
	v_add3_u32 v67, v67, v68, v31
	v_lshl_add_u64 v[64:65], v[64:65], 2, v[8:9]
	v_lshl_add_u64 v[66:67], v[66:67], 2, v[8:9]
	s_mov_b64 s[48:49], 0
	v_mov_b64_e32 v[68:69], v[6:7]
                                        ; implicit-def: $sgpr46_sgpr47
                                        ; implicit-def: $sgpr50_sgpr51
                                        ; implicit-def: $sgpr54_sgpr55
                                        ; implicit-def: $sgpr52_sgpr53
                                        ; implicit-def: $sgpr56_sgpr57
                                        ; implicit-def: $sgpr58_sgpr59
	s_branch .LBB1493_905
.LBB1493_904:                           ;   in Loop: Header=BB1493_905 Depth=1
	s_or_b64 exec, exec, s[60:61]
	s_and_b64 s[12:13], exec, s[54:55]
	s_or_b64 s[48:49], s[12:13], s[48:49]
	s_andn2_b64 s[12:13], s[58:59], exec
	s_and_b64 s[36:37], s[56:57], exec
	s_or_b64 s[58:59], s[12:13], s[36:37]
	s_andn2_b64 s[12:13], s[50:51], exec
	s_and_b64 s[36:37], s[52:53], exec
	;; [unrolled: 3-line block ×3, first 2 shown]
	s_or_b64 s[46:47], s[12:13], s[34:35]
	s_andn2_b64 exec, exec, s[48:49]
	s_cbranch_execz .LBB1493_907
.LBB1493_905:                           ; =>This Inner Loop Header: Depth=1
	flat_load_dword v31, v[66:67]
	flat_load_dword v70, v[64:65]
	s_andn2_b64 s[56:57], s[56:57], exec
	s_or_b64 s[52:53], s[52:53], exec
	s_or_b64 s[54:55], s[54:55], exec
	s_waitcnt vmcnt(0) lgkmcnt(0)
	v_cmp_le_u32_e64 s[34:35], v31, v70
	v_cmp_lt_u32_e64 s[12:13], v31, v70
	s_and_b64 s[34:35], s[34:35], s[58:59]
	v_cmp_eq_u32_e64 s[36:37], v31, v70
	s_or_b64 s[34:35], s[12:13], s[34:35]
	s_and_saveexec_b64 s[60:61], s[36:37]
	s_cbranch_execz .LBB1493_904
; %bb.906:                              ;   in Loop: Header=BB1493_905 Depth=1
	v_lshl_add_u64 v[68:69], v[68:69], 0, -1
	v_cmp_eq_u64_e64 s[12:13], 0, v[68:69]
	s_andn2_b64 s[36:37], s[56:57], exec
	s_and_b64 s[56:57], s[34:35], exec
	s_or_b64 s[56:57], s[36:37], s[56:57]
	s_andn2_b64 s[36:37], s[54:55], exec
	s_and_b64 s[12:13], s[12:13], exec
	v_lshl_add_u64 v[64:65], v[64:65], 0, 4
	v_lshl_add_u64 v[66:67], v[66:67], 0, 4
	s_andn2_b64 s[52:53], s[52:53], exec
	s_or_b64 s[54:55], s[36:37], s[12:13]
                                        ; implicit-def: $sgpr58_sgpr59
	s_branch .LBB1493_904
.LBB1493_907:
	s_or_b64 exec, exec, s[48:49]
	s_and_saveexec_b64 s[12:13], s[50:51]
	s_xor_b64 s[12:13], exec, s[12:13]
; %bb.908:
	v_cndmask_b32_e64 v65, v13, v15, s[46:47]
	v_cndmask_b32_e64 v64, v12, v14, s[46:47]
	;; [unrolled: 1-line block ×4, first 2 shown]
	v_mov_b64_e32 v[12:13], v[64:65]
; %bb.909:
	s_or_b64 exec, exec, s[12:13]
.LBB1493_910:
	s_or_b64 exec, exec, s[44:45]
	s_or_b64 exec, exec, s[42:43]
	s_and_saveexec_b64 s[42:43], s[24:25]
	s_cbranch_execz .LBB1493_776
.LBB1493_911:
	s_and_saveexec_b64 s[44:45], s[8:9]
	s_cbranch_execz .LBB1493_919
; %bb.912:
	v_mul_lo_u32 v31, v27, v6
	v_mul_lo_u32 v66, v26, v7
	v_mad_u64_u32 v[64:65], s[12:13], v26, v6, 0
	v_add3_u32 v65, v65, v66, v31
	v_mul_lo_u32 v31, v21, v6
	v_mul_lo_u32 v68, v20, v7
	v_mad_u64_u32 v[66:67], s[12:13], v20, v6, 0
	v_add3_u32 v67, v67, v68, v31
	v_lshl_add_u64 v[64:65], v[64:65], 2, v[8:9]
	v_lshl_add_u64 v[66:67], v[66:67], 2, v[8:9]
	s_mov_b64 s[48:49], 0
	v_mov_b64_e32 v[68:69], v[6:7]
                                        ; implicit-def: $sgpr46_sgpr47
                                        ; implicit-def: $sgpr50_sgpr51
                                        ; implicit-def: $sgpr54_sgpr55
                                        ; implicit-def: $sgpr52_sgpr53
                                        ; implicit-def: $sgpr56_sgpr57
                                        ; implicit-def: $sgpr58_sgpr59
	s_branch .LBB1493_914
.LBB1493_913:                           ;   in Loop: Header=BB1493_914 Depth=1
	s_or_b64 exec, exec, s[60:61]
	s_and_b64 s[12:13], exec, s[54:55]
	s_or_b64 s[48:49], s[12:13], s[48:49]
	s_andn2_b64 s[12:13], s[58:59], exec
	s_and_b64 s[36:37], s[56:57], exec
	s_or_b64 s[58:59], s[12:13], s[36:37]
	s_andn2_b64 s[12:13], s[50:51], exec
	s_and_b64 s[36:37], s[52:53], exec
	;; [unrolled: 3-line block ×3, first 2 shown]
	s_or_b64 s[46:47], s[12:13], s[34:35]
	s_andn2_b64 exec, exec, s[48:49]
	s_cbranch_execz .LBB1493_916
.LBB1493_914:                           ; =>This Inner Loop Header: Depth=1
	flat_load_dword v31, v[66:67]
	flat_load_dword v70, v[64:65]
	s_andn2_b64 s[56:57], s[56:57], exec
	s_or_b64 s[52:53], s[52:53], exec
	s_or_b64 s[54:55], s[54:55], exec
	s_waitcnt vmcnt(0) lgkmcnt(0)
	v_cmp_le_u32_e64 s[34:35], v31, v70
	v_cmp_lt_u32_e64 s[12:13], v31, v70
	s_and_b64 s[34:35], s[34:35], s[58:59]
	v_cmp_eq_u32_e64 s[36:37], v31, v70
	s_or_b64 s[34:35], s[12:13], s[34:35]
	s_and_saveexec_b64 s[60:61], s[36:37]
	s_cbranch_execz .LBB1493_913
; %bb.915:                              ;   in Loop: Header=BB1493_914 Depth=1
	v_lshl_add_u64 v[68:69], v[68:69], 0, -1
	v_cmp_eq_u64_e64 s[12:13], 0, v[68:69]
	s_andn2_b64 s[36:37], s[56:57], exec
	s_and_b64 s[56:57], s[34:35], exec
	s_or_b64 s[56:57], s[36:37], s[56:57]
	s_andn2_b64 s[36:37], s[54:55], exec
	s_and_b64 s[12:13], s[12:13], exec
	v_lshl_add_u64 v[64:65], v[64:65], 0, 4
	v_lshl_add_u64 v[66:67], v[66:67], 0, 4
	s_andn2_b64 s[52:53], s[52:53], exec
	s_or_b64 s[54:55], s[36:37], s[12:13]
                                        ; implicit-def: $sgpr58_sgpr59
	s_branch .LBB1493_913
.LBB1493_916:
	s_or_b64 exec, exec, s[48:49]
	s_and_saveexec_b64 s[12:13], s[50:51]
	s_xor_b64 s[12:13], exec, s[12:13]
; %bb.917:
	v_cndmask_b32_e64 v65, v27, v21, s[46:47]
	v_cndmask_b32_e64 v64, v26, v20, s[46:47]
	;; [unrolled: 1-line block ×4, first 2 shown]
	v_mov_b64_e32 v[26:27], v[64:65]
; %bb.918:
	s_or_b64 exec, exec, s[12:13]
.LBB1493_919:
	s_or_b64 exec, exec, s[44:45]
	s_or_b64 exec, exec, s[42:43]
	s_and_saveexec_b64 s[42:43], s[26:27]
	s_cbranch_execz .LBB1493_777
.LBB1493_920:
	s_and_saveexec_b64 s[44:45], s[8:9]
	s_cbranch_execz .LBB1493_928
; %bb.921:
	v_mul_lo_u32 v31, v23, v6
	v_mul_lo_u32 v66, v22, v7
	v_mad_u64_u32 v[64:65], s[12:13], v22, v6, 0
	v_add3_u32 v65, v65, v66, v31
	v_mul_lo_u32 v31, v17, v6
	v_mul_lo_u32 v68, v16, v7
	v_mad_u64_u32 v[66:67], s[12:13], v16, v6, 0
	v_add3_u32 v67, v67, v68, v31
	v_lshl_add_u64 v[64:65], v[64:65], 2, v[8:9]
	v_lshl_add_u64 v[66:67], v[66:67], 2, v[8:9]
	s_mov_b64 s[48:49], 0
	v_mov_b64_e32 v[68:69], v[6:7]
                                        ; implicit-def: $sgpr46_sgpr47
                                        ; implicit-def: $sgpr50_sgpr51
                                        ; implicit-def: $sgpr54_sgpr55
                                        ; implicit-def: $sgpr52_sgpr53
                                        ; implicit-def: $sgpr56_sgpr57
                                        ; implicit-def: $sgpr58_sgpr59
	s_branch .LBB1493_923
.LBB1493_922:                           ;   in Loop: Header=BB1493_923 Depth=1
	s_or_b64 exec, exec, s[60:61]
	s_and_b64 s[12:13], exec, s[54:55]
	s_or_b64 s[48:49], s[12:13], s[48:49]
	s_andn2_b64 s[12:13], s[58:59], exec
	s_and_b64 s[36:37], s[56:57], exec
	s_or_b64 s[58:59], s[12:13], s[36:37]
	s_andn2_b64 s[12:13], s[50:51], exec
	s_and_b64 s[36:37], s[52:53], exec
	;; [unrolled: 3-line block ×3, first 2 shown]
	s_or_b64 s[46:47], s[12:13], s[34:35]
	s_andn2_b64 exec, exec, s[48:49]
	s_cbranch_execz .LBB1493_925
.LBB1493_923:                           ; =>This Inner Loop Header: Depth=1
	flat_load_dword v31, v[66:67]
	flat_load_dword v70, v[64:65]
	s_andn2_b64 s[56:57], s[56:57], exec
	s_or_b64 s[52:53], s[52:53], exec
	s_or_b64 s[54:55], s[54:55], exec
	s_waitcnt vmcnt(0) lgkmcnt(0)
	v_cmp_le_u32_e64 s[34:35], v31, v70
	v_cmp_lt_u32_e64 s[12:13], v31, v70
	s_and_b64 s[34:35], s[34:35], s[58:59]
	v_cmp_eq_u32_e64 s[36:37], v31, v70
	s_or_b64 s[34:35], s[12:13], s[34:35]
	s_and_saveexec_b64 s[60:61], s[36:37]
	s_cbranch_execz .LBB1493_922
; %bb.924:                              ;   in Loop: Header=BB1493_923 Depth=1
	v_lshl_add_u64 v[68:69], v[68:69], 0, -1
	v_cmp_eq_u64_e64 s[12:13], 0, v[68:69]
	s_andn2_b64 s[36:37], s[56:57], exec
	s_and_b64 s[56:57], s[34:35], exec
	s_or_b64 s[56:57], s[36:37], s[56:57]
	s_andn2_b64 s[36:37], s[54:55], exec
	s_and_b64 s[12:13], s[12:13], exec
	v_lshl_add_u64 v[64:65], v[64:65], 0, 4
	v_lshl_add_u64 v[66:67], v[66:67], 0, 4
	s_andn2_b64 s[52:53], s[52:53], exec
	s_or_b64 s[54:55], s[36:37], s[12:13]
                                        ; implicit-def: $sgpr58_sgpr59
	s_branch .LBB1493_922
.LBB1493_925:
	s_or_b64 exec, exec, s[48:49]
	s_and_saveexec_b64 s[12:13], s[50:51]
	s_xor_b64 s[12:13], exec, s[12:13]
; %bb.926:
	v_cndmask_b32_e64 v65, v23, v17, s[46:47]
	v_cndmask_b32_e64 v64, v22, v16, s[46:47]
	;; [unrolled: 1-line block ×4, first 2 shown]
	v_mov_b64_e32 v[22:23], v[64:65]
; %bb.927:
	s_or_b64 exec, exec, s[12:13]
.LBB1493_928:
	s_or_b64 exec, exec, s[44:45]
	s_or_b64 exec, exec, s[42:43]
	s_and_saveexec_b64 s[42:43], s[28:29]
	s_cbranch_execz .LBB1493_778
.LBB1493_929:
	s_and_saveexec_b64 s[44:45], s[8:9]
	s_cbranch_execz .LBB1493_937
; %bb.930:
	v_mul_lo_u32 v31, v19, v6
	v_mul_lo_u32 v66, v18, v7
	v_mad_u64_u32 v[64:65], s[12:13], v18, v6, 0
	v_add3_u32 v65, v65, v66, v31
	v_mul_lo_u32 v31, v13, v6
	v_mul_lo_u32 v68, v12, v7
	v_mad_u64_u32 v[66:67], s[12:13], v12, v6, 0
	v_add3_u32 v67, v67, v68, v31
	v_lshl_add_u64 v[64:65], v[64:65], 2, v[8:9]
	v_lshl_add_u64 v[66:67], v[66:67], 2, v[8:9]
	s_mov_b64 s[48:49], 0
	v_mov_b64_e32 v[68:69], v[6:7]
                                        ; implicit-def: $sgpr46_sgpr47
                                        ; implicit-def: $sgpr50_sgpr51
                                        ; implicit-def: $sgpr54_sgpr55
                                        ; implicit-def: $sgpr52_sgpr53
                                        ; implicit-def: $sgpr56_sgpr57
                                        ; implicit-def: $sgpr58_sgpr59
	s_branch .LBB1493_932
.LBB1493_931:                           ;   in Loop: Header=BB1493_932 Depth=1
	s_or_b64 exec, exec, s[60:61]
	s_and_b64 s[12:13], exec, s[54:55]
	s_or_b64 s[48:49], s[12:13], s[48:49]
	s_andn2_b64 s[12:13], s[58:59], exec
	s_and_b64 s[36:37], s[56:57], exec
	s_or_b64 s[58:59], s[12:13], s[36:37]
	s_andn2_b64 s[12:13], s[50:51], exec
	s_and_b64 s[36:37], s[52:53], exec
	;; [unrolled: 3-line block ×3, first 2 shown]
	s_or_b64 s[46:47], s[12:13], s[34:35]
	s_andn2_b64 exec, exec, s[48:49]
	s_cbranch_execz .LBB1493_934
.LBB1493_932:                           ; =>This Inner Loop Header: Depth=1
	flat_load_dword v31, v[66:67]
	flat_load_dword v70, v[64:65]
	s_andn2_b64 s[56:57], s[56:57], exec
	s_or_b64 s[52:53], s[52:53], exec
	s_or_b64 s[54:55], s[54:55], exec
	s_waitcnt vmcnt(0) lgkmcnt(0)
	v_cmp_le_u32_e64 s[34:35], v31, v70
	v_cmp_lt_u32_e64 s[12:13], v31, v70
	s_and_b64 s[34:35], s[34:35], s[58:59]
	v_cmp_eq_u32_e64 s[36:37], v31, v70
	s_or_b64 s[34:35], s[12:13], s[34:35]
	s_and_saveexec_b64 s[60:61], s[36:37]
	s_cbranch_execz .LBB1493_931
; %bb.933:                              ;   in Loop: Header=BB1493_932 Depth=1
	v_lshl_add_u64 v[68:69], v[68:69], 0, -1
	v_cmp_eq_u64_e64 s[12:13], 0, v[68:69]
	s_andn2_b64 s[36:37], s[56:57], exec
	s_and_b64 s[56:57], s[34:35], exec
	s_or_b64 s[56:57], s[36:37], s[56:57]
	s_andn2_b64 s[36:37], s[54:55], exec
	s_and_b64 s[12:13], s[12:13], exec
	v_lshl_add_u64 v[64:65], v[64:65], 0, 4
	v_lshl_add_u64 v[66:67], v[66:67], 0, 4
	s_andn2_b64 s[52:53], s[52:53], exec
	s_or_b64 s[54:55], s[36:37], s[12:13]
                                        ; implicit-def: $sgpr58_sgpr59
	s_branch .LBB1493_931
.LBB1493_934:
	s_or_b64 exec, exec, s[48:49]
	s_and_saveexec_b64 s[12:13], s[50:51]
	s_xor_b64 s[12:13], exec, s[12:13]
; %bb.935:
	v_cndmask_b32_e64 v65, v19, v13, s[46:47]
	v_cndmask_b32_e64 v64, v18, v12, s[46:47]
	;; [unrolled: 1-line block ×4, first 2 shown]
	v_mov_b64_e32 v[18:19], v[64:65]
; %bb.936:
	s_or_b64 exec, exec, s[12:13]
.LBB1493_937:
	s_or_b64 exec, exec, s[44:45]
	s_or_b64 exec, exec, s[42:43]
	s_and_saveexec_b64 s[36:37], s[16:17]
	s_cbranch_execz .LBB1493_779
.LBB1493_938:
	s_and_saveexec_b64 s[42:43], s[8:9]
	s_cbranch_execz .LBB1493_946
; %bb.939:
	v_mul_lo_u32 v31, v25, v6
	v_mul_lo_u32 v66, v24, v7
	v_mad_u64_u32 v[64:65], s[12:13], v24, v6, 0
	v_add3_u32 v65, v65, v66, v31
	v_mul_lo_u32 v31, v27, v6
	v_mul_lo_u32 v68, v26, v7
	v_mad_u64_u32 v[66:67], s[12:13], v26, v6, 0
	v_add3_u32 v67, v67, v68, v31
	v_lshl_add_u64 v[64:65], v[64:65], 2, v[8:9]
	v_lshl_add_u64 v[66:67], v[66:67], 2, v[8:9]
	s_mov_b64 s[46:47], 0
	v_mov_b64_e32 v[68:69], v[6:7]
                                        ; implicit-def: $sgpr44_sgpr45
                                        ; implicit-def: $sgpr48_sgpr49
                                        ; implicit-def: $sgpr52_sgpr53
                                        ; implicit-def: $sgpr50_sgpr51
                                        ; implicit-def: $sgpr54_sgpr55
                                        ; implicit-def: $sgpr56_sgpr57
	s_branch .LBB1493_941
.LBB1493_940:                           ;   in Loop: Header=BB1493_941 Depth=1
	s_or_b64 exec, exec, s[58:59]
	s_and_b64 s[12:13], exec, s[52:53]
	s_or_b64 s[46:47], s[12:13], s[46:47]
	s_andn2_b64 s[12:13], s[56:57], exec
	s_and_b64 s[34:35], s[54:55], exec
	s_or_b64 s[56:57], s[12:13], s[34:35]
	s_andn2_b64 s[12:13], s[48:49], exec
	s_and_b64 s[34:35], s[50:51], exec
	;; [unrolled: 3-line block ×3, first 2 shown]
	s_or_b64 s[44:45], s[12:13], s[16:17]
	s_andn2_b64 exec, exec, s[46:47]
	s_cbranch_execz .LBB1493_943
.LBB1493_941:                           ; =>This Inner Loop Header: Depth=1
	flat_load_dword v31, v[66:67]
	flat_load_dword v70, v[64:65]
	s_andn2_b64 s[54:55], s[54:55], exec
	s_or_b64 s[50:51], s[50:51], exec
	s_or_b64 s[52:53], s[52:53], exec
	s_waitcnt vmcnt(0) lgkmcnt(0)
	v_cmp_le_u32_e64 s[16:17], v31, v70
	v_cmp_lt_u32_e64 s[12:13], v31, v70
	s_and_b64 s[16:17], s[16:17], s[56:57]
	v_cmp_eq_u32_e64 s[34:35], v31, v70
	s_or_b64 s[16:17], s[12:13], s[16:17]
	s_and_saveexec_b64 s[58:59], s[34:35]
	s_cbranch_execz .LBB1493_940
; %bb.942:                              ;   in Loop: Header=BB1493_941 Depth=1
	v_lshl_add_u64 v[68:69], v[68:69], 0, -1
	v_cmp_eq_u64_e64 s[12:13], 0, v[68:69]
	s_andn2_b64 s[34:35], s[54:55], exec
	s_and_b64 s[54:55], s[16:17], exec
	s_or_b64 s[54:55], s[34:35], s[54:55]
	s_andn2_b64 s[34:35], s[52:53], exec
	s_and_b64 s[12:13], s[12:13], exec
	v_lshl_add_u64 v[64:65], v[64:65], 0, 4
	v_lshl_add_u64 v[66:67], v[66:67], 0, 4
	s_andn2_b64 s[50:51], s[50:51], exec
	s_or_b64 s[52:53], s[34:35], s[12:13]
                                        ; implicit-def: $sgpr56_sgpr57
	s_branch .LBB1493_940
.LBB1493_943:
	s_or_b64 exec, exec, s[46:47]
	s_and_saveexec_b64 s[12:13], s[48:49]
	s_xor_b64 s[12:13], exec, s[12:13]
; %bb.944:
	v_cndmask_b32_e64 v65, v27, v25, s[44:45]
	v_cndmask_b32_e64 v64, v26, v24, s[44:45]
	;; [unrolled: 1-line block ×4, first 2 shown]
	v_mov_b64_e32 v[26:27], v[64:65]
; %bb.945:
	s_or_b64 exec, exec, s[12:13]
.LBB1493_946:
	s_or_b64 exec, exec, s[42:43]
	s_or_b64 exec, exec, s[36:37]
	s_and_saveexec_b64 s[34:35], s[18:19]
	s_cbranch_execz .LBB1493_780
.LBB1493_947:
	s_and_saveexec_b64 s[36:37], s[8:9]
	s_cbranch_execz .LBB1493_955
; %bb.948:
	v_mul_lo_u32 v31, v21, v6
	v_mul_lo_u32 v66, v20, v7
	v_mad_u64_u32 v[64:65], s[12:13], v20, v6, 0
	v_add3_u32 v65, v65, v66, v31
	v_mul_lo_u32 v31, v23, v6
	v_mul_lo_u32 v68, v22, v7
	v_mad_u64_u32 v[66:67], s[12:13], v22, v6, 0
	v_add3_u32 v67, v67, v68, v31
	v_lshl_add_u64 v[64:65], v[64:65], 2, v[8:9]
	v_lshl_add_u64 v[66:67], v[66:67], 2, v[8:9]
	s_mov_b64 s[44:45], 0
	v_mov_b64_e32 v[68:69], v[6:7]
                                        ; implicit-def: $sgpr42_sgpr43
                                        ; implicit-def: $sgpr46_sgpr47
                                        ; implicit-def: $sgpr50_sgpr51
                                        ; implicit-def: $sgpr48_sgpr49
                                        ; implicit-def: $sgpr52_sgpr53
                                        ; implicit-def: $sgpr54_sgpr55
	s_branch .LBB1493_950
.LBB1493_949:                           ;   in Loop: Header=BB1493_950 Depth=1
	s_or_b64 exec, exec, s[56:57]
	s_and_b64 s[12:13], exec, s[50:51]
	s_or_b64 s[44:45], s[12:13], s[44:45]
	s_andn2_b64 s[12:13], s[54:55], exec
	s_and_b64 s[18:19], s[52:53], exec
	s_or_b64 s[54:55], s[12:13], s[18:19]
	s_andn2_b64 s[12:13], s[46:47], exec
	s_and_b64 s[18:19], s[48:49], exec
	;; [unrolled: 3-line block ×3, first 2 shown]
	s_or_b64 s[42:43], s[12:13], s[16:17]
	s_andn2_b64 exec, exec, s[44:45]
	s_cbranch_execz .LBB1493_952
.LBB1493_950:                           ; =>This Inner Loop Header: Depth=1
	flat_load_dword v31, v[66:67]
	flat_load_dword v70, v[64:65]
	s_andn2_b64 s[52:53], s[52:53], exec
	s_or_b64 s[48:49], s[48:49], exec
	s_or_b64 s[50:51], s[50:51], exec
	s_waitcnt vmcnt(0) lgkmcnt(0)
	v_cmp_le_u32_e64 s[16:17], v31, v70
	v_cmp_lt_u32_e64 s[12:13], v31, v70
	s_and_b64 s[16:17], s[16:17], s[54:55]
	v_cmp_eq_u32_e64 s[18:19], v31, v70
	s_or_b64 s[16:17], s[12:13], s[16:17]
	s_and_saveexec_b64 s[56:57], s[18:19]
	s_cbranch_execz .LBB1493_949
; %bb.951:                              ;   in Loop: Header=BB1493_950 Depth=1
	v_lshl_add_u64 v[68:69], v[68:69], 0, -1
	v_cmp_eq_u64_e64 s[12:13], 0, v[68:69]
	s_andn2_b64 s[18:19], s[52:53], exec
	s_and_b64 s[52:53], s[16:17], exec
	s_or_b64 s[52:53], s[18:19], s[52:53]
	s_andn2_b64 s[18:19], s[50:51], exec
	s_and_b64 s[12:13], s[12:13], exec
	v_lshl_add_u64 v[64:65], v[64:65], 0, 4
	v_lshl_add_u64 v[66:67], v[66:67], 0, 4
	s_andn2_b64 s[48:49], s[48:49], exec
	s_or_b64 s[50:51], s[18:19], s[12:13]
                                        ; implicit-def: $sgpr54_sgpr55
	s_branch .LBB1493_949
.LBB1493_952:
	s_or_b64 exec, exec, s[44:45]
	s_and_saveexec_b64 s[12:13], s[46:47]
	s_xor_b64 s[12:13], exec, s[12:13]
; %bb.953:
	v_cndmask_b32_e64 v65, v21, v23, s[42:43]
	v_cndmask_b32_e64 v64, v20, v22, s[42:43]
	;; [unrolled: 1-line block ×4, first 2 shown]
	v_mov_b64_e32 v[20:21], v[64:65]
; %bb.954:
	s_or_b64 exec, exec, s[12:13]
.LBB1493_955:
	s_or_b64 exec, exec, s[36:37]
	s_or_b64 exec, exec, s[34:35]
	s_and_saveexec_b64 s[34:35], s[20:21]
	s_cbranch_execz .LBB1493_781
.LBB1493_956:
	s_and_saveexec_b64 s[20:21], s[8:9]
	s_cbranch_execz .LBB1493_964
; %bb.957:
	v_mul_lo_u32 v31, v17, v6
	v_mul_lo_u32 v66, v16, v7
	v_mad_u64_u32 v[64:65], s[12:13], v16, v6, 0
	v_add3_u32 v65, v65, v66, v31
	v_mul_lo_u32 v31, v19, v6
	v_mul_lo_u32 v68, v18, v7
	v_mad_u64_u32 v[66:67], s[12:13], v18, v6, 0
	v_add3_u32 v67, v67, v68, v31
	v_lshl_add_u64 v[64:65], v[64:65], 2, v[8:9]
	v_lshl_add_u64 v[66:67], v[66:67], 2, v[8:9]
	s_mov_b64 s[42:43], 0
	v_mov_b64_e32 v[68:69], v[6:7]
                                        ; implicit-def: $sgpr36_sgpr37
                                        ; implicit-def: $sgpr44_sgpr45
                                        ; implicit-def: $sgpr48_sgpr49
                                        ; implicit-def: $sgpr46_sgpr47
                                        ; implicit-def: $sgpr50_sgpr51
                                        ; implicit-def: $sgpr52_sgpr53
	s_branch .LBB1493_959
.LBB1493_958:                           ;   in Loop: Header=BB1493_959 Depth=1
	s_or_b64 exec, exec, s[54:55]
	s_and_b64 s[12:13], exec, s[48:49]
	s_or_b64 s[42:43], s[12:13], s[42:43]
	s_andn2_b64 s[12:13], s[52:53], exec
	s_and_b64 s[18:19], s[50:51], exec
	s_or_b64 s[52:53], s[12:13], s[18:19]
	s_andn2_b64 s[12:13], s[44:45], exec
	s_and_b64 s[18:19], s[46:47], exec
	;; [unrolled: 3-line block ×3, first 2 shown]
	s_or_b64 s[36:37], s[12:13], s[16:17]
	s_andn2_b64 exec, exec, s[42:43]
	s_cbranch_execz .LBB1493_961
.LBB1493_959:                           ; =>This Inner Loop Header: Depth=1
	flat_load_dword v31, v[66:67]
	flat_load_dword v70, v[64:65]
	s_andn2_b64 s[50:51], s[50:51], exec
	s_or_b64 s[46:47], s[46:47], exec
	s_or_b64 s[48:49], s[48:49], exec
	s_waitcnt vmcnt(0) lgkmcnt(0)
	v_cmp_le_u32_e64 s[16:17], v31, v70
	v_cmp_lt_u32_e64 s[12:13], v31, v70
	s_and_b64 s[16:17], s[16:17], s[52:53]
	v_cmp_eq_u32_e64 s[18:19], v31, v70
	s_or_b64 s[16:17], s[12:13], s[16:17]
	s_and_saveexec_b64 s[54:55], s[18:19]
	s_cbranch_execz .LBB1493_958
; %bb.960:                              ;   in Loop: Header=BB1493_959 Depth=1
	v_lshl_add_u64 v[68:69], v[68:69], 0, -1
	v_cmp_eq_u64_e64 s[12:13], 0, v[68:69]
	s_andn2_b64 s[18:19], s[50:51], exec
	s_and_b64 s[50:51], s[16:17], exec
	s_or_b64 s[50:51], s[18:19], s[50:51]
	s_andn2_b64 s[18:19], s[48:49], exec
	s_and_b64 s[12:13], s[12:13], exec
	v_lshl_add_u64 v[64:65], v[64:65], 0, 4
	v_lshl_add_u64 v[66:67], v[66:67], 0, 4
	s_andn2_b64 s[46:47], s[46:47], exec
	s_or_b64 s[48:49], s[18:19], s[12:13]
                                        ; implicit-def: $sgpr52_sgpr53
	s_branch .LBB1493_958
.LBB1493_961:
	s_or_b64 exec, exec, s[42:43]
	s_and_saveexec_b64 s[12:13], s[44:45]
	s_xor_b64 s[12:13], exec, s[12:13]
; %bb.962:
	v_cndmask_b32_e64 v65, v17, v19, s[36:37]
	v_cndmask_b32_e64 v64, v16, v18, s[36:37]
	v_cndmask_b32_e64 v19, v19, v17, s[36:37]
	v_cndmask_b32_e64 v18, v18, v16, s[36:37]
	v_mov_b64_e32 v[16:17], v[64:65]
; %bb.963:
	s_or_b64 exec, exec, s[12:13]
.LBB1493_964:
	s_or_b64 exec, exec, s[20:21]
	s_or_b64 exec, exec, s[34:35]
	s_and_saveexec_b64 s[20:21], s[22:23]
	s_cbranch_execz .LBB1493_782
.LBB1493_965:
	s_and_saveexec_b64 s[22:23], s[8:9]
	s_cbranch_execz .LBB1493_973
; %bb.966:
	v_mul_lo_u32 v31, v13, v6
	v_mul_lo_u32 v66, v12, v7
	v_mad_u64_u32 v[64:65], s[12:13], v12, v6, 0
	v_add3_u32 v65, v65, v66, v31
	v_mul_lo_u32 v31, v15, v6
	v_mul_lo_u32 v68, v14, v7
	v_mad_u64_u32 v[66:67], s[12:13], v14, v6, 0
	v_add3_u32 v67, v67, v68, v31
	v_lshl_add_u64 v[64:65], v[64:65], 2, v[8:9]
	v_lshl_add_u64 v[66:67], v[66:67], 2, v[8:9]
	s_mov_b64 s[36:37], 0
	v_mov_b64_e32 v[68:69], v[6:7]
                                        ; implicit-def: $sgpr34_sgpr35
                                        ; implicit-def: $sgpr42_sgpr43
                                        ; implicit-def: $sgpr46_sgpr47
                                        ; implicit-def: $sgpr44_sgpr45
                                        ; implicit-def: $sgpr48_sgpr49
                                        ; implicit-def: $sgpr50_sgpr51
	s_branch .LBB1493_968
.LBB1493_967:                           ;   in Loop: Header=BB1493_968 Depth=1
	s_or_b64 exec, exec, s[52:53]
	s_and_b64 s[12:13], exec, s[46:47]
	s_or_b64 s[36:37], s[12:13], s[36:37]
	s_andn2_b64 s[12:13], s[50:51], exec
	s_and_b64 s[18:19], s[48:49], exec
	s_or_b64 s[50:51], s[12:13], s[18:19]
	s_andn2_b64 s[12:13], s[42:43], exec
	s_and_b64 s[18:19], s[44:45], exec
	s_or_b64 s[42:43], s[12:13], s[18:19]
	s_andn2_b64 s[12:13], s[34:35], exec
	s_and_b64 s[16:17], s[16:17], exec
	s_or_b64 s[34:35], s[12:13], s[16:17]
	s_andn2_b64 exec, exec, s[36:37]
	s_cbranch_execz .LBB1493_970
.LBB1493_968:                           ; =>This Inner Loop Header: Depth=1
	flat_load_dword v31, v[66:67]
	flat_load_dword v70, v[64:65]
	s_andn2_b64 s[48:49], s[48:49], exec
	s_or_b64 s[44:45], s[44:45], exec
	s_or_b64 s[46:47], s[46:47], exec
	s_waitcnt vmcnt(0) lgkmcnt(0)
	v_cmp_le_u32_e64 s[16:17], v31, v70
	v_cmp_lt_u32_e64 s[12:13], v31, v70
	s_and_b64 s[16:17], s[16:17], s[50:51]
	v_cmp_eq_u32_e64 s[18:19], v31, v70
	s_or_b64 s[16:17], s[12:13], s[16:17]
	s_and_saveexec_b64 s[52:53], s[18:19]
	s_cbranch_execz .LBB1493_967
; %bb.969:                              ;   in Loop: Header=BB1493_968 Depth=1
	v_lshl_add_u64 v[68:69], v[68:69], 0, -1
	v_cmp_eq_u64_e64 s[12:13], 0, v[68:69]
	s_andn2_b64 s[18:19], s[48:49], exec
	s_and_b64 s[48:49], s[16:17], exec
	s_or_b64 s[48:49], s[18:19], s[48:49]
	s_andn2_b64 s[18:19], s[46:47], exec
	s_and_b64 s[12:13], s[12:13], exec
	v_lshl_add_u64 v[64:65], v[64:65], 0, 4
	v_lshl_add_u64 v[66:67], v[66:67], 0, 4
	s_andn2_b64 s[44:45], s[44:45], exec
	s_or_b64 s[46:47], s[18:19], s[12:13]
                                        ; implicit-def: $sgpr50_sgpr51
	s_branch .LBB1493_967
.LBB1493_970:
	s_or_b64 exec, exec, s[36:37]
	s_and_saveexec_b64 s[12:13], s[42:43]
	s_xor_b64 s[12:13], exec, s[12:13]
; %bb.971:
	v_cndmask_b32_e64 v65, v13, v15, s[34:35]
	v_cndmask_b32_e64 v64, v12, v14, s[34:35]
	v_cndmask_b32_e64 v15, v15, v13, s[34:35]
	v_cndmask_b32_e64 v14, v14, v12, s[34:35]
	v_mov_b64_e32 v[12:13], v[64:65]
; %bb.972:
	s_or_b64 exec, exec, s[12:13]
.LBB1493_973:
	s_or_b64 exec, exec, s[22:23]
	s_or_b64 exec, exec, s[20:21]
	s_and_saveexec_b64 s[20:21], s[24:25]
	s_cbranch_execz .LBB1493_783
.LBB1493_974:
	s_and_saveexec_b64 s[22:23], s[8:9]
	s_cbranch_execz .LBB1493_982
; %bb.975:
	v_mul_lo_u32 v31, v27, v6
	v_mul_lo_u32 v66, v26, v7
	v_mad_u64_u32 v[64:65], s[12:13], v26, v6, 0
	v_add3_u32 v65, v65, v66, v31
	v_mul_lo_u32 v31, v21, v6
	v_mul_lo_u32 v68, v20, v7
	v_mad_u64_u32 v[66:67], s[12:13], v20, v6, 0
	v_add3_u32 v67, v67, v68, v31
	v_lshl_add_u64 v[64:65], v[64:65], 2, v[8:9]
	v_lshl_add_u64 v[66:67], v[66:67], 2, v[8:9]
	s_mov_b64 s[34:35], 0
	v_mov_b64_e32 v[68:69], v[6:7]
                                        ; implicit-def: $sgpr24_sgpr25
                                        ; implicit-def: $sgpr36_sgpr37
                                        ; implicit-def: $sgpr44_sgpr45
                                        ; implicit-def: $sgpr42_sgpr43
                                        ; implicit-def: $sgpr46_sgpr47
                                        ; implicit-def: $sgpr48_sgpr49
	s_branch .LBB1493_977
.LBB1493_976:                           ;   in Loop: Header=BB1493_977 Depth=1
	s_or_b64 exec, exec, s[50:51]
	s_and_b64 s[12:13], exec, s[44:45]
	s_or_b64 s[34:35], s[12:13], s[34:35]
	s_andn2_b64 s[12:13], s[48:49], exec
	s_and_b64 s[18:19], s[46:47], exec
	s_or_b64 s[48:49], s[12:13], s[18:19]
	s_andn2_b64 s[12:13], s[36:37], exec
	s_and_b64 s[18:19], s[42:43], exec
	;; [unrolled: 3-line block ×3, first 2 shown]
	s_or_b64 s[24:25], s[12:13], s[16:17]
	s_andn2_b64 exec, exec, s[34:35]
	s_cbranch_execz .LBB1493_979
.LBB1493_977:                           ; =>This Inner Loop Header: Depth=1
	flat_load_dword v31, v[66:67]
	flat_load_dword v70, v[64:65]
	s_andn2_b64 s[46:47], s[46:47], exec
	s_or_b64 s[42:43], s[42:43], exec
	s_or_b64 s[44:45], s[44:45], exec
	s_waitcnt vmcnt(0) lgkmcnt(0)
	v_cmp_le_u32_e64 s[16:17], v31, v70
	v_cmp_lt_u32_e64 s[12:13], v31, v70
	s_and_b64 s[16:17], s[16:17], s[48:49]
	v_cmp_eq_u32_e64 s[18:19], v31, v70
	s_or_b64 s[16:17], s[12:13], s[16:17]
	s_and_saveexec_b64 s[50:51], s[18:19]
	s_cbranch_execz .LBB1493_976
; %bb.978:                              ;   in Loop: Header=BB1493_977 Depth=1
	v_lshl_add_u64 v[68:69], v[68:69], 0, -1
	v_cmp_eq_u64_e64 s[12:13], 0, v[68:69]
	s_andn2_b64 s[18:19], s[46:47], exec
	s_and_b64 s[46:47], s[16:17], exec
	s_or_b64 s[46:47], s[18:19], s[46:47]
	s_andn2_b64 s[18:19], s[44:45], exec
	s_and_b64 s[12:13], s[12:13], exec
	v_lshl_add_u64 v[64:65], v[64:65], 0, 4
	v_lshl_add_u64 v[66:67], v[66:67], 0, 4
	s_andn2_b64 s[42:43], s[42:43], exec
	s_or_b64 s[44:45], s[18:19], s[12:13]
                                        ; implicit-def: $sgpr48_sgpr49
	s_branch .LBB1493_976
.LBB1493_979:
	s_or_b64 exec, exec, s[34:35]
	s_and_saveexec_b64 s[12:13], s[36:37]
	s_xor_b64 s[12:13], exec, s[12:13]
; %bb.980:
	v_cndmask_b32_e64 v65, v27, v21, s[24:25]
	v_cndmask_b32_e64 v64, v26, v20, s[24:25]
	;; [unrolled: 1-line block ×4, first 2 shown]
	v_mov_b64_e32 v[26:27], v[64:65]
; %bb.981:
	s_or_b64 exec, exec, s[12:13]
.LBB1493_982:
	s_or_b64 exec, exec, s[22:23]
	s_or_b64 exec, exec, s[20:21]
	s_and_saveexec_b64 s[20:21], s[26:27]
	s_cbranch_execz .LBB1493_784
.LBB1493_983:
	s_and_saveexec_b64 s[22:23], s[8:9]
	s_cbranch_execz .LBB1493_991
; %bb.984:
	v_mul_lo_u32 v31, v23, v6
	v_mul_lo_u32 v66, v22, v7
	v_mad_u64_u32 v[64:65], s[12:13], v22, v6, 0
	v_add3_u32 v65, v65, v66, v31
	v_mul_lo_u32 v31, v17, v6
	v_mul_lo_u32 v68, v16, v7
	v_mad_u64_u32 v[66:67], s[12:13], v16, v6, 0
	v_add3_u32 v67, v67, v68, v31
	v_lshl_add_u64 v[64:65], v[64:65], 2, v[8:9]
	v_lshl_add_u64 v[66:67], v[66:67], 2, v[8:9]
	s_mov_b64 s[26:27], 0
	v_mov_b64_e32 v[68:69], v[6:7]
                                        ; implicit-def: $sgpr24_sgpr25
                                        ; implicit-def: $sgpr34_sgpr35
                                        ; implicit-def: $sgpr42_sgpr43
                                        ; implicit-def: $sgpr36_sgpr37
                                        ; implicit-def: $sgpr44_sgpr45
                                        ; implicit-def: $sgpr46_sgpr47
	s_branch .LBB1493_986
.LBB1493_985:                           ;   in Loop: Header=BB1493_986 Depth=1
	s_or_b64 exec, exec, s[48:49]
	s_and_b64 s[12:13], exec, s[42:43]
	s_or_b64 s[26:27], s[12:13], s[26:27]
	s_andn2_b64 s[12:13], s[46:47], exec
	s_and_b64 s[18:19], s[44:45], exec
	s_or_b64 s[46:47], s[12:13], s[18:19]
	s_andn2_b64 s[12:13], s[34:35], exec
	s_and_b64 s[18:19], s[36:37], exec
	;; [unrolled: 3-line block ×3, first 2 shown]
	s_or_b64 s[24:25], s[12:13], s[16:17]
	s_andn2_b64 exec, exec, s[26:27]
	s_cbranch_execz .LBB1493_988
.LBB1493_986:                           ; =>This Inner Loop Header: Depth=1
	flat_load_dword v31, v[66:67]
	flat_load_dword v70, v[64:65]
	s_andn2_b64 s[44:45], s[44:45], exec
	s_or_b64 s[36:37], s[36:37], exec
	s_or_b64 s[42:43], s[42:43], exec
	s_waitcnt vmcnt(0) lgkmcnt(0)
	v_cmp_le_u32_e64 s[16:17], v31, v70
	v_cmp_lt_u32_e64 s[12:13], v31, v70
	s_and_b64 s[16:17], s[16:17], s[46:47]
	v_cmp_eq_u32_e64 s[18:19], v31, v70
	s_or_b64 s[16:17], s[12:13], s[16:17]
	s_and_saveexec_b64 s[48:49], s[18:19]
	s_cbranch_execz .LBB1493_985
; %bb.987:                              ;   in Loop: Header=BB1493_986 Depth=1
	v_lshl_add_u64 v[68:69], v[68:69], 0, -1
	v_cmp_eq_u64_e64 s[12:13], 0, v[68:69]
	s_andn2_b64 s[18:19], s[44:45], exec
	s_and_b64 s[44:45], s[16:17], exec
	s_or_b64 s[44:45], s[18:19], s[44:45]
	s_andn2_b64 s[18:19], s[42:43], exec
	s_and_b64 s[12:13], s[12:13], exec
	v_lshl_add_u64 v[64:65], v[64:65], 0, 4
	v_lshl_add_u64 v[66:67], v[66:67], 0, 4
	s_andn2_b64 s[36:37], s[36:37], exec
	s_or_b64 s[42:43], s[18:19], s[12:13]
                                        ; implicit-def: $sgpr46_sgpr47
	s_branch .LBB1493_985
.LBB1493_988:
	s_or_b64 exec, exec, s[26:27]
	s_and_saveexec_b64 s[12:13], s[34:35]
	s_xor_b64 s[12:13], exec, s[12:13]
; %bb.989:
	v_cndmask_b32_e64 v65, v23, v17, s[24:25]
	v_cndmask_b32_e64 v64, v22, v16, s[24:25]
	;; [unrolled: 1-line block ×4, first 2 shown]
	v_mov_b64_e32 v[22:23], v[64:65]
; %bb.990:
	s_or_b64 exec, exec, s[12:13]
.LBB1493_991:
	s_or_b64 exec, exec, s[22:23]
	s_or_b64 exec, exec, s[20:21]
	s_and_saveexec_b64 s[20:21], s[28:29]
	s_cbranch_execz .LBB1493_1001
.LBB1493_992:
	s_and_saveexec_b64 s[22:23], s[8:9]
	s_cbranch_execz .LBB1493_1000
; %bb.993:
	v_mul_lo_u32 v31, v19, v6
	v_mul_lo_u32 v66, v18, v7
	v_mad_u64_u32 v[64:65], s[12:13], v18, v6, 0
	v_add3_u32 v65, v65, v66, v31
	v_mul_lo_u32 v31, v13, v6
	v_mul_lo_u32 v68, v12, v7
	v_mad_u64_u32 v[66:67], s[12:13], v12, v6, 0
	v_add3_u32 v67, v67, v68, v31
	v_lshl_add_u64 v[64:65], v[64:65], 2, v[8:9]
	v_lshl_add_u64 v[66:67], v[66:67], 2, v[8:9]
	s_mov_b64 s[26:27], 0
	v_mov_b64_e32 v[68:69], v[6:7]
                                        ; implicit-def: $sgpr24_sgpr25
                                        ; implicit-def: $sgpr28_sgpr29
                                        ; implicit-def: $sgpr36_sgpr37
                                        ; implicit-def: $sgpr34_sgpr35
                                        ; implicit-def: $sgpr42_sgpr43
                                        ; implicit-def: $sgpr44_sgpr45
	s_branch .LBB1493_995
.LBB1493_994:                           ;   in Loop: Header=BB1493_995 Depth=1
	s_or_b64 exec, exec, s[46:47]
	s_and_b64 s[12:13], exec, s[36:37]
	s_or_b64 s[26:27], s[12:13], s[26:27]
	s_andn2_b64 s[12:13], s[44:45], exec
	s_and_b64 s[18:19], s[42:43], exec
	s_or_b64 s[44:45], s[12:13], s[18:19]
	s_andn2_b64 s[12:13], s[28:29], exec
	s_and_b64 s[18:19], s[34:35], exec
	;; [unrolled: 3-line block ×3, first 2 shown]
	s_or_b64 s[24:25], s[12:13], s[16:17]
	s_andn2_b64 exec, exec, s[26:27]
	s_cbranch_execz .LBB1493_997
.LBB1493_995:                           ; =>This Inner Loop Header: Depth=1
	flat_load_dword v31, v[66:67]
	flat_load_dword v70, v[64:65]
	s_andn2_b64 s[42:43], s[42:43], exec
	s_or_b64 s[34:35], s[34:35], exec
	s_or_b64 s[36:37], s[36:37], exec
	s_waitcnt vmcnt(0) lgkmcnt(0)
	v_cmp_le_u32_e64 s[16:17], v31, v70
	v_cmp_lt_u32_e64 s[12:13], v31, v70
	s_and_b64 s[16:17], s[16:17], s[44:45]
	v_cmp_eq_u32_e64 s[18:19], v31, v70
	s_or_b64 s[16:17], s[12:13], s[16:17]
	s_and_saveexec_b64 s[46:47], s[18:19]
	s_cbranch_execz .LBB1493_994
; %bb.996:                              ;   in Loop: Header=BB1493_995 Depth=1
	v_lshl_add_u64 v[68:69], v[68:69], 0, -1
	v_cmp_eq_u64_e64 s[12:13], 0, v[68:69]
	s_andn2_b64 s[18:19], s[42:43], exec
	s_and_b64 s[42:43], s[16:17], exec
	s_or_b64 s[42:43], s[18:19], s[42:43]
	s_andn2_b64 s[18:19], s[36:37], exec
	s_and_b64 s[12:13], s[12:13], exec
	v_lshl_add_u64 v[64:65], v[64:65], 0, 4
	v_lshl_add_u64 v[66:67], v[66:67], 0, 4
	s_andn2_b64 s[34:35], s[34:35], exec
	s_or_b64 s[36:37], s[18:19], s[12:13]
                                        ; implicit-def: $sgpr44_sgpr45
	s_branch .LBB1493_994
.LBB1493_997:
	s_or_b64 exec, exec, s[26:27]
	s_and_saveexec_b64 s[12:13], s[28:29]
	s_xor_b64 s[12:13], exec, s[12:13]
; %bb.998:
	v_cndmask_b32_e64 v65, v19, v13, s[24:25]
	v_cndmask_b32_e64 v64, v18, v12, s[24:25]
	;; [unrolled: 1-line block ×4, first 2 shown]
	v_mov_b64_e32 v[18:19], v[64:65]
; %bb.999:
	s_or_b64 exec, exec, s[12:13]
.LBB1493_1000:
	s_or_b64 exec, exec, s[22:23]
.LBB1493_1001:
	s_or_b64 exec, exec, s[20:21]
	v_mbcnt_lo_u32_b32 v31, -1, 0
	v_mbcnt_hi_u32_b32 v64, -1, v31
	v_and_b32_e32 v70, 0xfffffe00, v1
	v_mov_b32_e32 v71, 0
	v_lshlrev_b32_e32 v31, 3, v64
	v_sub_u32_e64 v1, v0, v70 clamp
	v_lshl_add_u64 v[66:67], v[70:71], 3, v[10:11]
	v_lshlrev_b32_e32 v70, 6, v64
	v_or_b32_e32 v64, 8, v31
	v_min_u32_e32 v100, v1, v64
	v_add_u32_e32 v64, 8, v100
	v_and_b32_e32 v102, 0x3f0, v31
	v_min_u32_e32 v101, v1, v64
	v_and_b32_e32 v64, 8, v31
	v_min_u32_e32 v103, v1, v64
	v_sub_u32_e32 v64, v100, v102
	v_sub_u32_e32 v65, v101, v100
	v_sub_u32_e64 v112, v103, v65 clamp
	v_min_u32_e32 v113, v103, v64
	v_lshl_add_u64 v[68:69], v[66:67], 0, v[70:71]
	v_cmp_lt_u32_e64 s[12:13], v112, v113
	v_lshlrev_b64 v[64:65], 2, v[6:7]
	flat_store_dwordx4 v[68:69], v[24:27]
	flat_store_dwordx4 v[68:69], v[20:23] offset:16
	flat_store_dwordx4 v[68:69], v[16:19] offset:32
	;; [unrolled: 1-line block ×3, first 2 shown]
	; wave barrier
	s_and_saveexec_b64 s[20:21], s[12:13]
	s_cbranch_execz .LBB1493_1011
; %bb.1002:
	v_lshlrev_b32_e32 v70, 3, v102
	v_lshl_add_u64 v[80:81], v[66:67], 0, v[70:71]
	v_lshlrev_b32_e32 v70, 3, v100
	v_lshl_add_u64 v[82:83], v[66:67], 0, v[70:71]
	s_mov_b64 s[22:23], 0
	s_branch .LBB1493_1005
.LBB1493_1003:                          ;   in Loop: Header=BB1493_1005 Depth=1
	s_or_b64 exec, exec, s[26:27]
	s_and_b64 s[12:13], s[28:29], exec
.LBB1493_1004:                          ;   in Loop: Header=BB1493_1005 Depth=1
	s_or_b64 exec, exec, s[24:25]
	v_add_u32_e32 v70, 1, v84
	v_cndmask_b32_e64 v113, v113, v84, s[12:13]
	v_cndmask_b32_e64 v112, v70, v112, s[12:13]
	v_cmp_ge_u32_e64 s[12:13], v112, v113
	s_or_b64 s[22:23], s[12:13], s[22:23]
	s_andn2_b64 exec, exec, s[22:23]
	s_cbranch_execz .LBB1493_1010
.LBB1493_1005:                          ; =>This Loop Header: Depth=1
                                        ;     Child Loop BB1493_1008 Depth 2
	v_add_u32_e32 v70, v113, v112
	v_lshrrev_b32_e32 v84, 1, v70
	s_mov_b64 s[12:13], 0
	s_and_saveexec_b64 s[24:25], s[8:9]
	s_cbranch_execz .LBB1493_1004
; %bb.1006:                             ;   in Loop: Header=BB1493_1005 Depth=1
	v_mov_b32_e32 v85, v71
	v_xad_u32 v70, v84, -1, v103
	v_lshl_add_u64 v[86:87], v[84:85], 3, v[80:81]
	v_lshl_add_u64 v[96:97], v[70:71], 3, v[82:83]
	flat_load_dwordx2 v[86:87], v[86:87]
	s_mov_b64 s[26:27], 0
	flat_load_dwordx2 v[96:97], v[96:97]
                                        ; implicit-def: $sgpr28_sgpr29
                                        ; implicit-def: $sgpr34_sgpr35
                                        ; implicit-def: $sgpr36_sgpr37
                                        ; implicit-def: $sgpr16_sgpr17
                                        ; implicit-def: $sgpr42_sgpr43
	s_waitcnt vmcnt(0) lgkmcnt(0)
	v_mul_lo_u32 v70, v64, v87
	v_mul_lo_u32 v85, v65, v86
	v_mad_u64_u32 v[86:87], s[12:13], v64, v86, v[8:9]
	v_mul_lo_u32 v98, v64, v97
	v_mul_lo_u32 v99, v65, v96
	v_mad_u64_u32 v[96:97], s[12:13], v64, v96, v[8:9]
	v_add3_u32 v87, v85, v87, v70
	v_add3_u32 v97, v99, v97, v98
	v_mov_b64_e32 v[98:99], v[6:7]
	s_branch .LBB1493_1008
.LBB1493_1007:                          ;   in Loop: Header=BB1493_1008 Depth=2
	s_or_b64 exec, exec, s[44:45]
	s_and_b64 s[12:13], exec, s[34:35]
	s_or_b64 s[26:27], s[12:13], s[26:27]
	s_andn2_b64 s[12:13], s[42:43], exec
	s_and_b64 s[18:19], s[36:37], exec
	s_or_b64 s[42:43], s[12:13], s[18:19]
	s_andn2_b64 s[12:13], s[28:29], exec
	s_and_b64 s[18:19], s[16:17], exec
	s_or_b64 s[28:29], s[12:13], s[18:19]
	s_andn2_b64 exec, exec, s[26:27]
	s_cbranch_execz .LBB1493_1003
.LBB1493_1008:                          ;   Parent Loop BB1493_1005 Depth=1
                                        ; =>  This Inner Loop Header: Depth=2
	flat_load_dword v70, v[96:97]
	flat_load_dword v85, v[86:87]
	s_andn2_b64 s[44:45], s[16:17], exec
	s_andn2_b64 s[36:37], s[36:37], exec
	s_or_b64 s[34:35], s[34:35], exec
	s_waitcnt vmcnt(0) lgkmcnt(0)
	v_cmp_le_u32_e64 s[16:17], v70, v85
	v_cmp_lt_u32_e64 s[12:13], v70, v85
	s_and_b64 s[16:17], s[16:17], s[42:43]
	s_or_b64 s[46:47], s[12:13], s[16:17]
	s_and_b64 s[12:13], s[46:47], exec
	v_cmp_eq_u32_e64 s[18:19], v70, v85
	s_or_b64 s[16:17], s[44:45], s[12:13]
	s_and_saveexec_b64 s[44:45], s[18:19]
	s_cbranch_execz .LBB1493_1007
; %bb.1009:                             ;   in Loop: Header=BB1493_1008 Depth=2
	v_lshl_add_u64 v[98:99], v[98:99], 0, -1
	v_cmp_eq_u64_e64 s[12:13], 0, v[98:99]
	s_andn2_b64 s[18:19], s[36:37], exec
	s_and_b64 s[36:37], s[46:47], exec
	s_or_b64 s[36:37], s[18:19], s[36:37]
	s_andn2_b64 s[18:19], s[34:35], exec
	s_and_b64 s[12:13], s[12:13], exec
	v_lshl_add_u64 v[86:87], v[86:87], 0, 4
	v_lshl_add_u64 v[96:97], v[96:97], 0, 4
	s_andn2_b64 s[16:17], s[16:17], exec
	s_or_b64 s[34:35], s[18:19], s[12:13]
                                        ; implicit-def: $sgpr42_sgpr43
	s_branch .LBB1493_1007
.LBB1493_1010:
	s_or_b64 exec, exec, s[22:23]
.LBB1493_1011:
	s_or_b64 exec, exec, s[20:21]
	v_add_u32_e32 v71, v100, v103
	v_add_u32_e32 v70, v112, v102
	v_sub_u32_e32 v80, v71, v112
	v_cmp_le_u32_e64 s[12:13], v70, v100
	v_cmp_le_u32_e64 s[16:17], v80, v101
	s_or_b64 s[12:13], s[12:13], s[16:17]
	s_and_saveexec_b64 s[20:21], s[12:13]
	s_cbranch_execz .LBB1493_1095
; %bb.1012:
	v_cmp_ge_u32_e64 s[16:17], v70, v100
	v_cmp_lt_u32_e64 s[12:13], v70, v100
                                        ; implicit-def: $vgpr12_vgpr13
	s_and_saveexec_b64 s[18:19], s[12:13]
	s_cbranch_execz .LBB1493_1014
; %bb.1013:
	v_mov_b32_e32 v71, 0
	v_lshl_add_u64 v[12:13], v[70:71], 3, v[66:67]
	flat_load_dwordx2 v[12:13], v[12:13]
.LBB1493_1014:
	s_or_b64 exec, exec, s[18:19]
	v_cmp_ge_u32_e64 s[22:23], v80, v101
	v_cmp_lt_u32_e64 s[12:13], v80, v101
                                        ; implicit-def: $vgpr14_vgpr15
	s_and_saveexec_b64 s[18:19], s[12:13]
	s_cbranch_execz .LBB1493_1016
; %bb.1015:
	v_mov_b32_e32 v81, 0
	v_lshl_add_u64 v[14:15], v[80:81], 3, v[66:67]
	flat_load_dwordx2 v[14:15], v[14:15]
.LBB1493_1016:
	s_or_b64 exec, exec, s[18:19]
	s_or_b64 s[12:13], s[16:17], s[22:23]
	s_xor_b64 s[12:13], s[12:13], -1
	s_and_saveexec_b64 s[24:25], s[12:13]
	s_cbranch_execz .LBB1493_1024
; %bb.1017:
	s_mov_b64 s[12:13], 0
	s_and_saveexec_b64 s[26:27], s[8:9]
	s_cbranch_execz .LBB1493_1023
; %bb.1018:
	s_waitcnt vmcnt(0) lgkmcnt(0)
	v_mul_lo_u32 v18, v13, v6
	v_mul_lo_u32 v19, v12, v7
	v_mad_u64_u32 v[16:17], s[12:13], v12, v6, 0
	v_add3_u32 v17, v17, v19, v18
	v_mul_lo_u32 v20, v15, v6
	v_mul_lo_u32 v21, v14, v7
	v_mad_u64_u32 v[18:19], s[12:13], v14, v6, 0
	v_add3_u32 v19, v19, v21, v20
	v_lshl_add_u64 v[16:17], v[16:17], 2, v[8:9]
	v_lshl_add_u64 v[18:19], v[18:19], 2, v[8:9]
	s_mov_b64 s[28:29], 0
	v_mov_b64_e32 v[20:21], v[6:7]
                                        ; implicit-def: $sgpr34_sgpr35
                                        ; implicit-def: $sgpr36_sgpr37
                                        ; implicit-def: $sgpr42_sgpr43
                                        ; implicit-def: $sgpr16_sgpr17
                                        ; implicit-def: $sgpr44_sgpr45
	s_branch .LBB1493_1020
.LBB1493_1019:                          ;   in Loop: Header=BB1493_1020 Depth=1
	s_or_b64 exec, exec, s[46:47]
	s_and_b64 s[12:13], exec, s[36:37]
	s_or_b64 s[28:29], s[12:13], s[28:29]
	s_andn2_b64 s[12:13], s[44:45], exec
	s_and_b64 s[18:19], s[42:43], exec
	s_or_b64 s[44:45], s[12:13], s[18:19]
	s_andn2_b64 s[12:13], s[34:35], exec
	s_and_b64 s[18:19], s[16:17], exec
	s_or_b64 s[34:35], s[12:13], s[18:19]
	s_andn2_b64 exec, exec, s[28:29]
	s_cbranch_execz .LBB1493_1022
.LBB1493_1020:                          ; =>This Inner Loop Header: Depth=1
	flat_load_dword v22, v[18:19]
	flat_load_dword v23, v[16:17]
	s_andn2_b64 s[46:47], s[16:17], exec
	s_andn2_b64 s[42:43], s[42:43], exec
	s_or_b64 s[36:37], s[36:37], exec
	s_waitcnt vmcnt(0) lgkmcnt(0)
	v_cmp_le_u32_e64 s[16:17], v22, v23
	v_cmp_lt_u32_e64 s[12:13], v22, v23
	s_and_b64 s[16:17], s[16:17], s[44:45]
	s_or_b64 s[48:49], s[12:13], s[16:17]
	s_and_b64 s[12:13], s[48:49], exec
	v_cmp_eq_u32_e64 s[18:19], v22, v23
	s_or_b64 s[16:17], s[46:47], s[12:13]
	s_and_saveexec_b64 s[46:47], s[18:19]
	s_cbranch_execz .LBB1493_1019
; %bb.1021:                             ;   in Loop: Header=BB1493_1020 Depth=1
	v_lshl_add_u64 v[20:21], v[20:21], 0, -1
	v_cmp_eq_u64_e64 s[12:13], 0, v[20:21]
	s_andn2_b64 s[18:19], s[42:43], exec
	s_and_b64 s[42:43], s[48:49], exec
	s_or_b64 s[42:43], s[18:19], s[42:43]
	s_andn2_b64 s[18:19], s[36:37], exec
	s_and_b64 s[12:13], s[12:13], exec
	v_lshl_add_u64 v[16:17], v[16:17], 0, 4
	v_lshl_add_u64 v[18:19], v[18:19], 0, 4
	s_andn2_b64 s[16:17], s[16:17], exec
	s_or_b64 s[36:37], s[18:19], s[12:13]
                                        ; implicit-def: $sgpr44_sgpr45
	s_branch .LBB1493_1019
.LBB1493_1022:
	s_or_b64 exec, exec, s[28:29]
	s_and_b64 s[12:13], s[34:35], exec
.LBB1493_1023:
	s_or_b64 exec, exec, s[26:27]
	s_xor_b64 s[12:13], s[12:13], -1
	s_andn2_b64 s[16:17], s[22:23], exec
	s_and_b64 s[12:13], s[12:13], exec
	s_or_b64 s[22:23], s[16:17], s[12:13]
.LBB1493_1024:
	s_or_b64 exec, exec, s[24:25]
	v_cndmask_b32_e64 v16, v80, v70, s[22:23]
	v_cndmask_b32_e64 v17, v101, v100, s[22:23]
	v_add_u32_e32 v20, 1, v16
	v_add_u32_e32 v16, -1, v17
	v_min_u32_e32 v16, v20, v16
	v_mov_b32_e32 v17, 0
	v_lshl_add_u64 v[18:19], v[16:17], 3, v[66:67]
	flat_load_dwordx2 v[18:19], v[18:19]
	v_cndmask_b32_e64 v27, v20, v80, s[22:23]
	s_mov_b64 s[24:25], -1
	v_cndmask_b32_e64 v70, v70, v20, s[22:23]
	v_cmp_lt_u32_e64 s[12:13], v27, v101
	s_mov_b64 s[26:27], -1
	s_waitcnt vmcnt(0) lgkmcnt(0)
	v_cndmask_b32_e64 v24, v19, v15, s[22:23]
	v_cndmask_b32_e64 v25, v18, v14, s[22:23]
	;; [unrolled: 1-line block ×4, first 2 shown]
	s_and_saveexec_b64 s[28:29], s[12:13]
	s_cbranch_execz .LBB1493_1034
; %bb.1025:
	v_cmp_lt_u32_e64 s[12:13], v70, v100
	s_mov_b64 s[16:17], 0
	s_and_saveexec_b64 s[26:27], s[12:13]
	s_cbranch_execz .LBB1493_1033
; %bb.1026:
	s_mov_b64 s[12:13], 0
	s_and_saveexec_b64 s[34:35], s[8:9]
	s_cbranch_execz .LBB1493_1032
; %bb.1027:
	v_mul_lo_u32 v16, v26, v6
	v_mul_lo_u32 v20, v80, v7
	v_mad_u64_u32 v[18:19], s[12:13], v80, v6, 0
	v_add3_u32 v19, v19, v20, v16
	v_mul_lo_u32 v16, v24, v6
	v_mul_lo_u32 v22, v25, v7
	v_mad_u64_u32 v[20:21], s[12:13], v25, v6, 0
	v_add3_u32 v21, v21, v22, v16
	v_lshl_add_u64 v[18:19], v[18:19], 2, v[8:9]
	v_lshl_add_u64 v[20:21], v[20:21], 2, v[8:9]
	s_mov_b64 s[36:37], 0
	v_mov_b64_e32 v[22:23], v[6:7]
                                        ; implicit-def: $sgpr42_sgpr43
                                        ; implicit-def: $sgpr44_sgpr45
                                        ; implicit-def: $sgpr46_sgpr47
                                        ; implicit-def: $sgpr16_sgpr17
                                        ; implicit-def: $sgpr48_sgpr49
	s_branch .LBB1493_1029
.LBB1493_1028:                          ;   in Loop: Header=BB1493_1029 Depth=1
	s_or_b64 exec, exec, s[50:51]
	s_and_b64 s[12:13], exec, s[44:45]
	s_or_b64 s[36:37], s[12:13], s[36:37]
	s_andn2_b64 s[12:13], s[48:49], exec
	s_and_b64 s[18:19], s[46:47], exec
	s_or_b64 s[48:49], s[12:13], s[18:19]
	s_andn2_b64 s[12:13], s[42:43], exec
	s_and_b64 s[18:19], s[16:17], exec
	s_or_b64 s[42:43], s[12:13], s[18:19]
	s_andn2_b64 exec, exec, s[36:37]
	s_cbranch_execz .LBB1493_1031
.LBB1493_1029:                          ; =>This Inner Loop Header: Depth=1
	flat_load_dword v16, v[20:21]
	flat_load_dword v71, v[18:19]
	s_andn2_b64 s[50:51], s[16:17], exec
	s_andn2_b64 s[46:47], s[46:47], exec
	s_or_b64 s[44:45], s[44:45], exec
	s_waitcnt vmcnt(0) lgkmcnt(0)
	v_cmp_le_u32_e64 s[16:17], v16, v71
	v_cmp_lt_u32_e64 s[12:13], v16, v71
	s_and_b64 s[16:17], s[16:17], s[48:49]
	s_or_b64 s[52:53], s[12:13], s[16:17]
	s_and_b64 s[12:13], s[52:53], exec
	v_cmp_eq_u32_e64 s[18:19], v16, v71
	s_or_b64 s[16:17], s[50:51], s[12:13]
	s_and_saveexec_b64 s[50:51], s[18:19]
	s_cbranch_execz .LBB1493_1028
; %bb.1030:                             ;   in Loop: Header=BB1493_1029 Depth=1
	v_lshl_add_u64 v[22:23], v[22:23], 0, -1
	v_cmp_eq_u64_e64 s[12:13], 0, v[22:23]
	s_andn2_b64 s[18:19], s[46:47], exec
	s_and_b64 s[46:47], s[52:53], exec
	s_or_b64 s[46:47], s[18:19], s[46:47]
	s_andn2_b64 s[18:19], s[44:45], exec
	s_and_b64 s[12:13], s[12:13], exec
	v_lshl_add_u64 v[18:19], v[18:19], 0, 4
	v_lshl_add_u64 v[20:21], v[20:21], 0, 4
	s_andn2_b64 s[16:17], s[16:17], exec
	s_or_b64 s[44:45], s[18:19], s[12:13]
                                        ; implicit-def: $sgpr48_sgpr49
	s_branch .LBB1493_1028
.LBB1493_1031:
	s_or_b64 exec, exec, s[36:37]
	s_and_b64 s[12:13], s[42:43], exec
.LBB1493_1032:
	s_or_b64 exec, exec, s[34:35]
	s_xor_b64 s[12:13], s[12:13], -1
	s_and_b64 s[16:17], s[12:13], exec
.LBB1493_1033:
	s_or_b64 exec, exec, s[26:27]
	s_orn2_b64 s[26:27], s[16:17], exec
.LBB1493_1034:
	s_or_b64 exec, exec, s[28:29]
	v_cndmask_b32_e64 v16, v27, v70, s[26:27]
	v_cndmask_b32_e64 v18, v101, v100, s[26:27]
	v_add_u32_e32 v19, 1, v16
	v_add_u32_e32 v16, -1, v18
	v_min_u32_e32 v16, v19, v16
	v_lshl_add_u64 v[16:17], v[16:17], 3, v[66:67]
	flat_load_dwordx2 v[16:17], v[16:17]
	v_cndmask_b32_e64 v22, v19, v27, s[26:27]
	v_cndmask_b32_e64 v23, v70, v19, s[26:27]
	v_cmp_lt_u32_e64 s[12:13], v22, v101
	s_waitcnt vmcnt(0) lgkmcnt(0)
	v_cndmask_b32_e64 v27, v17, v24, s[26:27]
	v_cndmask_b32_e64 v81, v16, v25, s[26:27]
	;; [unrolled: 1-line block ×4, first 2 shown]
	s_and_saveexec_b64 s[28:29], s[12:13]
	s_cbranch_execz .LBB1493_1044
; %bb.1035:
	v_cmp_lt_u32_e64 s[12:13], v23, v100
	s_mov_b64 s[16:17], 0
	s_and_saveexec_b64 s[24:25], s[12:13]
	s_cbranch_execz .LBB1493_1043
; %bb.1036:
	s_mov_b64 s[12:13], 0
	s_and_saveexec_b64 s[34:35], s[8:9]
	s_cbranch_execz .LBB1493_1042
; %bb.1037:
	v_mul_lo_u32 v18, v82, v6
	v_mul_lo_u32 v19, v83, v7
	v_mad_u64_u32 v[16:17], s[12:13], v83, v6, 0
	v_add3_u32 v17, v17, v19, v18
	v_mul_lo_u32 v20, v27, v6
	v_mul_lo_u32 v21, v81, v7
	v_mad_u64_u32 v[18:19], s[12:13], v81, v6, 0
	v_add3_u32 v19, v19, v21, v20
	v_lshl_add_u64 v[16:17], v[16:17], 2, v[8:9]
	v_lshl_add_u64 v[18:19], v[18:19], 2, v[8:9]
	s_mov_b64 s[36:37], 0
	v_mov_b64_e32 v[20:21], v[6:7]
                                        ; implicit-def: $sgpr42_sgpr43
                                        ; implicit-def: $sgpr44_sgpr45
                                        ; implicit-def: $sgpr46_sgpr47
                                        ; implicit-def: $sgpr16_sgpr17
                                        ; implicit-def: $sgpr48_sgpr49
	s_branch .LBB1493_1039
.LBB1493_1038:                          ;   in Loop: Header=BB1493_1039 Depth=1
	s_or_b64 exec, exec, s[50:51]
	s_and_b64 s[12:13], exec, s[44:45]
	s_or_b64 s[36:37], s[12:13], s[36:37]
	s_andn2_b64 s[12:13], s[48:49], exec
	s_and_b64 s[18:19], s[46:47], exec
	s_or_b64 s[48:49], s[12:13], s[18:19]
	s_andn2_b64 s[12:13], s[42:43], exec
	s_and_b64 s[18:19], s[16:17], exec
	s_or_b64 s[42:43], s[12:13], s[18:19]
	s_andn2_b64 exec, exec, s[36:37]
	s_cbranch_execz .LBB1493_1041
.LBB1493_1039:                          ; =>This Inner Loop Header: Depth=1
	flat_load_dword v70, v[18:19]
	flat_load_dword v71, v[16:17]
	s_andn2_b64 s[50:51], s[16:17], exec
	s_andn2_b64 s[46:47], s[46:47], exec
	s_or_b64 s[44:45], s[44:45], exec
	s_waitcnt vmcnt(0) lgkmcnt(0)
	v_cmp_le_u32_e64 s[16:17], v70, v71
	v_cmp_lt_u32_e64 s[12:13], v70, v71
	s_and_b64 s[16:17], s[16:17], s[48:49]
	s_or_b64 s[52:53], s[12:13], s[16:17]
	s_and_b64 s[12:13], s[52:53], exec
	v_cmp_eq_u32_e64 s[18:19], v70, v71
	s_or_b64 s[16:17], s[50:51], s[12:13]
	s_and_saveexec_b64 s[50:51], s[18:19]
	s_cbranch_execz .LBB1493_1038
; %bb.1040:                             ;   in Loop: Header=BB1493_1039 Depth=1
	v_lshl_add_u64 v[20:21], v[20:21], 0, -1
	v_cmp_eq_u64_e64 s[12:13], 0, v[20:21]
	s_andn2_b64 s[18:19], s[46:47], exec
	s_and_b64 s[46:47], s[52:53], exec
	s_or_b64 s[46:47], s[18:19], s[46:47]
	s_andn2_b64 s[18:19], s[44:45], exec
	s_and_b64 s[12:13], s[12:13], exec
	v_lshl_add_u64 v[16:17], v[16:17], 0, 4
	v_lshl_add_u64 v[18:19], v[18:19], 0, 4
	s_andn2_b64 s[16:17], s[16:17], exec
	s_or_b64 s[44:45], s[18:19], s[12:13]
                                        ; implicit-def: $sgpr48_sgpr49
	s_branch .LBB1493_1038
.LBB1493_1041:
	s_or_b64 exec, exec, s[36:37]
	s_and_b64 s[12:13], s[42:43], exec
.LBB1493_1042:
	s_or_b64 exec, exec, s[34:35]
	s_xor_b64 s[12:13], s[12:13], -1
	s_and_b64 s[16:17], s[12:13], exec
.LBB1493_1043:
	s_or_b64 exec, exec, s[24:25]
	s_orn2_b64 s[24:25], s[16:17], exec
.LBB1493_1044:
	s_or_b64 exec, exec, s[28:29]
	v_cndmask_b32_e64 v16, v22, v23, s[24:25]
	v_cndmask_b32_e64 v17, v101, v100, s[24:25]
	v_add_u32_e32 v20, 1, v16
	v_add_u32_e32 v16, -1, v17
	v_min_u32_e32 v16, v20, v16
	v_mov_b32_e32 v17, 0
	v_lshl_add_u64 v[18:19], v[16:17], 3, v[66:67]
	flat_load_dwordx2 v[18:19], v[18:19]
	v_cndmask_b32_e64 v70, v20, v22, s[24:25]
	s_mov_b64 s[28:29], -1
	v_cndmask_b32_e64 v71, v23, v20, s[24:25]
	v_cmp_lt_u32_e64 s[12:13], v70, v101
	s_mov_b64 s[34:35], -1
	s_waitcnt vmcnt(0) lgkmcnt(0)
	v_cndmask_b32_e64 v84, v19, v27, s[24:25]
	v_cndmask_b32_e64 v85, v18, v81, s[24:25]
	;; [unrolled: 1-line block ×4, first 2 shown]
	s_and_saveexec_b64 s[36:37], s[12:13]
	s_cbranch_execz .LBB1493_1054
; %bb.1045:
	v_cmp_lt_u32_e64 s[12:13], v71, v100
	s_mov_b64 s[16:17], 0
	s_and_saveexec_b64 s[34:35], s[12:13]
	s_cbranch_execz .LBB1493_1053
; %bb.1046:
	s_mov_b64 s[12:13], -1
	s_and_saveexec_b64 s[42:43], s[8:9]
	s_cbranch_execz .LBB1493_1052
; %bb.1047:
	v_mul_lo_u32 v16, v86, v6
	v_mul_lo_u32 v20, v87, v7
	v_mad_u64_u32 v[18:19], s[12:13], v87, v6, 0
	v_add3_u32 v19, v19, v20, v16
	v_mul_lo_u32 v16, v84, v6
	v_mul_lo_u32 v22, v85, v7
	v_mad_u64_u32 v[20:21], s[12:13], v85, v6, 0
	v_add3_u32 v21, v21, v22, v16
	v_lshl_add_u64 v[18:19], v[18:19], 2, v[8:9]
	v_lshl_add_u64 v[20:21], v[20:21], 2, v[8:9]
	s_mov_b64 s[44:45], 0
	v_mov_b64_e32 v[22:23], v[6:7]
                                        ; implicit-def: $sgpr46_sgpr47
                                        ; implicit-def: $sgpr48_sgpr49
                                        ; implicit-def: $sgpr16_sgpr17
                                        ; implicit-def: $sgpr50_sgpr51
                                        ; implicit-def: $sgpr52_sgpr53
	s_branch .LBB1493_1049
.LBB1493_1048:                          ;   in Loop: Header=BB1493_1049 Depth=1
	s_or_b64 exec, exec, s[54:55]
	s_and_b64 s[12:13], exec, s[48:49]
	s_or_b64 s[44:45], s[12:13], s[44:45]
	s_andn2_b64 s[12:13], s[52:53], exec
	s_and_b64 s[18:19], s[50:51], exec
	s_or_b64 s[52:53], s[12:13], s[18:19]
	s_andn2_b64 s[12:13], s[46:47], exec
	s_and_b64 s[18:19], s[16:17], exec
	s_or_b64 s[46:47], s[12:13], s[18:19]
	s_andn2_b64 exec, exec, s[44:45]
	s_cbranch_execz .LBB1493_1051
.LBB1493_1049:                          ; =>This Inner Loop Header: Depth=1
	flat_load_dword v16, v[20:21]
	flat_load_dword v96, v[18:19]
	s_andn2_b64 s[54:55], s[16:17], exec
	s_andn2_b64 s[50:51], s[50:51], exec
	s_or_b64 s[48:49], s[48:49], exec
	s_waitcnt vmcnt(0) lgkmcnt(0)
	v_cmp_le_u32_e64 s[16:17], v16, v96
	v_cmp_lt_u32_e64 s[12:13], v16, v96
	s_and_b64 s[16:17], s[16:17], s[52:53]
	s_or_b64 s[56:57], s[12:13], s[16:17]
	s_and_b64 s[12:13], s[56:57], exec
	v_cmp_eq_u32_e64 s[18:19], v16, v96
	s_or_b64 s[16:17], s[54:55], s[12:13]
	s_and_saveexec_b64 s[54:55], s[18:19]
	s_cbranch_execz .LBB1493_1048
; %bb.1050:                             ;   in Loop: Header=BB1493_1049 Depth=1
	v_lshl_add_u64 v[22:23], v[22:23], 0, -1
	v_cmp_eq_u64_e64 s[12:13], 0, v[22:23]
	s_andn2_b64 s[18:19], s[50:51], exec
	s_and_b64 s[50:51], s[56:57], exec
	s_or_b64 s[50:51], s[18:19], s[50:51]
	s_andn2_b64 s[18:19], s[48:49], exec
	s_and_b64 s[12:13], s[12:13], exec
	v_lshl_add_u64 v[18:19], v[18:19], 0, 4
	v_lshl_add_u64 v[20:21], v[20:21], 0, 4
	s_andn2_b64 s[16:17], s[16:17], exec
	s_or_b64 s[48:49], s[18:19], s[12:13]
                                        ; implicit-def: $sgpr52_sgpr53
	s_branch .LBB1493_1048
.LBB1493_1051:
	s_or_b64 exec, exec, s[44:45]
	s_xor_b64 s[12:13], s[46:47], -1
	s_orn2_b64 s[12:13], s[12:13], exec
.LBB1493_1052:
	s_or_b64 exec, exec, s[42:43]
	s_and_b64 s[16:17], s[12:13], exec
.LBB1493_1053:
	s_or_b64 exec, exec, s[34:35]
	s_orn2_b64 s[34:35], s[16:17], exec
.LBB1493_1054:
	s_or_b64 exec, exec, s[36:37]
	v_cndmask_b32_e64 v16, v70, v71, s[34:35]
	v_cndmask_b32_e64 v18, v101, v100, s[34:35]
	v_add_u32_e32 v19, 1, v16
	v_add_u32_e32 v16, -1, v18
	v_min_u32_e32 v16, v19, v16
	v_lshl_add_u64 v[16:17], v[16:17], 3, v[66:67]
	flat_load_dwordx2 v[16:17], v[16:17]
	v_cndmask_b32_e64 v22, v19, v70, s[34:35]
	v_cndmask_b32_e64 v23, v71, v19, s[34:35]
	v_cmp_lt_u32_e64 s[12:13], v22, v101
	s_waitcnt vmcnt(0) lgkmcnt(0)
	v_cndmask_b32_e64 v96, v17, v84, s[34:35]
	v_cndmask_b32_e64 v97, v16, v85, s[34:35]
	;; [unrolled: 1-line block ×4, first 2 shown]
	s_and_saveexec_b64 s[36:37], s[12:13]
	s_cbranch_execz .LBB1493_1064
; %bb.1055:
	v_cmp_lt_u32_e64 s[12:13], v23, v100
	s_mov_b64 s[16:17], 0
	s_and_saveexec_b64 s[28:29], s[12:13]
	s_cbranch_execz .LBB1493_1063
; %bb.1056:
	s_mov_b64 s[12:13], -1
	s_and_saveexec_b64 s[42:43], s[8:9]
	s_cbranch_execz .LBB1493_1062
; %bb.1057:
	v_mul_lo_u32 v18, v98, v6
	v_mul_lo_u32 v19, v99, v7
	v_mad_u64_u32 v[16:17], s[12:13], v99, v6, 0
	v_add3_u32 v17, v17, v19, v18
	v_mul_lo_u32 v20, v96, v6
	v_mul_lo_u32 v21, v97, v7
	v_mad_u64_u32 v[18:19], s[12:13], v97, v6, 0
	v_add3_u32 v19, v19, v21, v20
	v_lshl_add_u64 v[16:17], v[16:17], 2, v[8:9]
	v_lshl_add_u64 v[18:19], v[18:19], 2, v[8:9]
	s_mov_b64 s[44:45], 0
	v_mov_b64_e32 v[20:21], v[6:7]
                                        ; implicit-def: $sgpr46_sgpr47
                                        ; implicit-def: $sgpr48_sgpr49
                                        ; implicit-def: $sgpr16_sgpr17
                                        ; implicit-def: $sgpr50_sgpr51
                                        ; implicit-def: $sgpr52_sgpr53
	s_branch .LBB1493_1059
.LBB1493_1058:                          ;   in Loop: Header=BB1493_1059 Depth=1
	s_or_b64 exec, exec, s[54:55]
	s_and_b64 s[12:13], exec, s[48:49]
	s_or_b64 s[44:45], s[12:13], s[44:45]
	s_andn2_b64 s[12:13], s[52:53], exec
	s_and_b64 s[18:19], s[50:51], exec
	s_or_b64 s[52:53], s[12:13], s[18:19]
	s_andn2_b64 s[12:13], s[46:47], exec
	s_and_b64 s[18:19], s[16:17], exec
	s_or_b64 s[46:47], s[12:13], s[18:19]
	s_andn2_b64 exec, exec, s[44:45]
	s_cbranch_execz .LBB1493_1061
.LBB1493_1059:                          ; =>This Inner Loop Header: Depth=1
	flat_load_dword v70, v[18:19]
	flat_load_dword v71, v[16:17]
	s_andn2_b64 s[54:55], s[16:17], exec
	s_andn2_b64 s[50:51], s[50:51], exec
	s_or_b64 s[48:49], s[48:49], exec
	s_waitcnt vmcnt(0) lgkmcnt(0)
	v_cmp_le_u32_e64 s[16:17], v70, v71
	v_cmp_lt_u32_e64 s[12:13], v70, v71
	s_and_b64 s[16:17], s[16:17], s[52:53]
	s_or_b64 s[56:57], s[12:13], s[16:17]
	s_and_b64 s[12:13], s[56:57], exec
	v_cmp_eq_u32_e64 s[18:19], v70, v71
	s_or_b64 s[16:17], s[54:55], s[12:13]
	s_and_saveexec_b64 s[54:55], s[18:19]
	s_cbranch_execz .LBB1493_1058
; %bb.1060:                             ;   in Loop: Header=BB1493_1059 Depth=1
	v_lshl_add_u64 v[20:21], v[20:21], 0, -1
	v_cmp_eq_u64_e64 s[12:13], 0, v[20:21]
	s_andn2_b64 s[18:19], s[50:51], exec
	s_and_b64 s[50:51], s[56:57], exec
	s_or_b64 s[50:51], s[18:19], s[50:51]
	s_andn2_b64 s[18:19], s[48:49], exec
	s_and_b64 s[12:13], s[12:13], exec
	v_lshl_add_u64 v[16:17], v[16:17], 0, 4
	v_lshl_add_u64 v[18:19], v[18:19], 0, 4
	s_andn2_b64 s[16:17], s[16:17], exec
	s_or_b64 s[48:49], s[18:19], s[12:13]
                                        ; implicit-def: $sgpr52_sgpr53
	s_branch .LBB1493_1058
.LBB1493_1061:
	s_or_b64 exec, exec, s[44:45]
	s_xor_b64 s[12:13], s[46:47], -1
	s_orn2_b64 s[12:13], s[12:13], exec
.LBB1493_1062:
	s_or_b64 exec, exec, s[42:43]
	s_and_b64 s[16:17], s[12:13], exec
.LBB1493_1063:
	s_or_b64 exec, exec, s[28:29]
	s_orn2_b64 s[28:29], s[16:17], exec
.LBB1493_1064:
	s_or_b64 exec, exec, s[36:37]
	v_cndmask_b32_e64 v16, v22, v23, s[28:29]
	v_cndmask_b32_e64 v17, v101, v100, s[28:29]
	v_add_u32_e32 v20, 1, v16
	v_add_u32_e32 v16, -1, v17
	v_min_u32_e32 v16, v20, v16
	v_mov_b32_e32 v17, 0
	v_lshl_add_u64 v[18:19], v[16:17], 3, v[66:67]
	flat_load_dwordx2 v[18:19], v[18:19]
	v_cndmask_b32_e64 v70, v20, v22, s[28:29]
	s_mov_b64 s[36:37], -1
	v_cndmask_b32_e64 v71, v23, v20, s[28:29]
	v_cmp_lt_u32_e64 s[12:13], v70, v101
	s_mov_b64 s[42:43], -1
	s_waitcnt vmcnt(0) lgkmcnt(0)
	v_cndmask_b32_e64 v102, v19, v96, s[28:29]
	v_cndmask_b32_e64 v103, v18, v97, s[28:29]
	;; [unrolled: 1-line block ×4, first 2 shown]
	s_and_saveexec_b64 s[44:45], s[12:13]
	s_cbranch_execz .LBB1493_1074
; %bb.1065:
	v_cmp_lt_u32_e64 s[12:13], v71, v100
	s_mov_b64 s[16:17], 0
	s_and_saveexec_b64 s[42:43], s[12:13]
	s_cbranch_execz .LBB1493_1073
; %bb.1066:
	s_mov_b64 s[12:13], -1
	s_and_saveexec_b64 s[46:47], s[8:9]
	s_cbranch_execz .LBB1493_1072
; %bb.1067:
	v_mul_lo_u32 v16, v112, v6
	v_mul_lo_u32 v20, v113, v7
	v_mad_u64_u32 v[18:19], s[12:13], v113, v6, 0
	v_add3_u32 v19, v19, v20, v16
	v_mul_lo_u32 v16, v102, v6
	v_mul_lo_u32 v22, v103, v7
	v_mad_u64_u32 v[20:21], s[12:13], v103, v6, 0
	v_add3_u32 v21, v21, v22, v16
	v_lshl_add_u64 v[18:19], v[18:19], 2, v[8:9]
	v_lshl_add_u64 v[20:21], v[20:21], 2, v[8:9]
	s_mov_b64 s[48:49], 0
	v_mov_b64_e32 v[22:23], v[6:7]
                                        ; implicit-def: $sgpr50_sgpr51
                                        ; implicit-def: $sgpr52_sgpr53
                                        ; implicit-def: $sgpr16_sgpr17
                                        ; implicit-def: $sgpr54_sgpr55
                                        ; implicit-def: $sgpr56_sgpr57
	s_branch .LBB1493_1069
.LBB1493_1068:                          ;   in Loop: Header=BB1493_1069 Depth=1
	s_or_b64 exec, exec, s[58:59]
	s_and_b64 s[12:13], exec, s[52:53]
	s_or_b64 s[48:49], s[12:13], s[48:49]
	s_andn2_b64 s[12:13], s[56:57], exec
	s_and_b64 s[18:19], s[54:55], exec
	s_or_b64 s[56:57], s[12:13], s[18:19]
	s_andn2_b64 s[12:13], s[50:51], exec
	s_and_b64 s[18:19], s[16:17], exec
	s_or_b64 s[50:51], s[12:13], s[18:19]
	s_andn2_b64 exec, exec, s[48:49]
	s_cbranch_execz .LBB1493_1071
.LBB1493_1069:                          ; =>This Inner Loop Header: Depth=1
	flat_load_dword v16, v[20:21]
	flat_load_dword v114, v[18:19]
	s_andn2_b64 s[58:59], s[16:17], exec
	s_andn2_b64 s[54:55], s[54:55], exec
	s_or_b64 s[52:53], s[52:53], exec
	s_waitcnt vmcnt(0) lgkmcnt(0)
	v_cmp_le_u32_e64 s[16:17], v16, v114
	v_cmp_lt_u32_e64 s[12:13], v16, v114
	s_and_b64 s[16:17], s[16:17], s[56:57]
	s_or_b64 s[60:61], s[12:13], s[16:17]
	s_and_b64 s[12:13], s[60:61], exec
	v_cmp_eq_u32_e64 s[18:19], v16, v114
	s_or_b64 s[16:17], s[58:59], s[12:13]
	s_and_saveexec_b64 s[58:59], s[18:19]
	s_cbranch_execz .LBB1493_1068
; %bb.1070:                             ;   in Loop: Header=BB1493_1069 Depth=1
	v_lshl_add_u64 v[22:23], v[22:23], 0, -1
	v_cmp_eq_u64_e64 s[12:13], 0, v[22:23]
	s_andn2_b64 s[18:19], s[54:55], exec
	s_and_b64 s[54:55], s[60:61], exec
	s_or_b64 s[54:55], s[18:19], s[54:55]
	s_andn2_b64 s[18:19], s[52:53], exec
	s_and_b64 s[12:13], s[12:13], exec
	v_lshl_add_u64 v[18:19], v[18:19], 0, 4
	v_lshl_add_u64 v[20:21], v[20:21], 0, 4
	s_andn2_b64 s[16:17], s[16:17], exec
	s_or_b64 s[52:53], s[18:19], s[12:13]
                                        ; implicit-def: $sgpr56_sgpr57
	s_branch .LBB1493_1068
.LBB1493_1071:
	s_or_b64 exec, exec, s[48:49]
	s_xor_b64 s[12:13], s[50:51], -1
	s_orn2_b64 s[12:13], s[12:13], exec
.LBB1493_1072:
	s_or_b64 exec, exec, s[46:47]
	s_and_b64 s[16:17], s[12:13], exec
.LBB1493_1073:
	s_or_b64 exec, exec, s[42:43]
	s_orn2_b64 s[42:43], s[16:17], exec
.LBB1493_1074:
	s_or_b64 exec, exec, s[44:45]
	v_cndmask_b32_e64 v16, v70, v71, s[42:43]
	v_cndmask_b32_e64 v18, v101, v100, s[42:43]
	v_add_u32_e32 v19, 1, v16
	v_add_u32_e32 v16, -1, v18
	v_min_u32_e32 v16, v19, v16
	v_lshl_add_u64 v[16:17], v[16:17], 3, v[66:67]
	flat_load_dwordx2 v[16:17], v[16:17]
	v_cndmask_b32_e64 v117, v19, v70, s[42:43]
	v_cndmask_b32_e64 v114, v71, v19, s[42:43]
	v_cmp_lt_u32_e64 s[12:13], v117, v101
	s_waitcnt vmcnt(0) lgkmcnt(0)
	v_cndmask_b32_e64 v115, v17, v102, s[42:43]
	v_cndmask_b32_e64 v116, v16, v103, s[42:43]
	;; [unrolled: 1-line block ×4, first 2 shown]
	s_and_saveexec_b64 s[44:45], s[12:13]
	s_cbranch_execz .LBB1493_1084
; %bb.1075:
	v_cmp_lt_u32_e64 s[12:13], v114, v100
	s_mov_b64 s[16:17], 0
	s_and_saveexec_b64 s[36:37], s[12:13]
	s_cbranch_execz .LBB1493_1083
; %bb.1076:
	s_mov_b64 s[12:13], -1
	s_and_saveexec_b64 s[46:47], s[8:9]
	s_cbranch_execz .LBB1493_1082
; %bb.1077:
	v_mul_lo_u32 v18, v118, v6
	v_mul_lo_u32 v19, v119, v7
	v_mad_u64_u32 v[16:17], s[12:13], v119, v6, 0
	v_add3_u32 v17, v17, v19, v18
	v_mul_lo_u32 v20, v115, v6
	v_mul_lo_u32 v21, v116, v7
	v_mad_u64_u32 v[18:19], s[12:13], v116, v6, 0
	v_add3_u32 v19, v19, v21, v20
	v_lshl_add_u64 v[16:17], v[16:17], 2, v[8:9]
	v_lshl_add_u64 v[18:19], v[18:19], 2, v[8:9]
	s_mov_b64 s[48:49], 0
	v_mov_b64_e32 v[20:21], v[6:7]
                                        ; implicit-def: $sgpr50_sgpr51
                                        ; implicit-def: $sgpr52_sgpr53
                                        ; implicit-def: $sgpr16_sgpr17
                                        ; implicit-def: $sgpr54_sgpr55
                                        ; implicit-def: $sgpr56_sgpr57
	s_branch .LBB1493_1079
.LBB1493_1078:                          ;   in Loop: Header=BB1493_1079 Depth=1
	s_or_b64 exec, exec, s[58:59]
	s_and_b64 s[12:13], exec, s[52:53]
	s_or_b64 s[48:49], s[12:13], s[48:49]
	s_andn2_b64 s[12:13], s[56:57], exec
	s_and_b64 s[18:19], s[54:55], exec
	s_or_b64 s[56:57], s[12:13], s[18:19]
	s_andn2_b64 s[12:13], s[50:51], exec
	s_and_b64 s[18:19], s[16:17], exec
	s_or_b64 s[50:51], s[12:13], s[18:19]
	s_andn2_b64 exec, exec, s[48:49]
	s_cbranch_execz .LBB1493_1081
.LBB1493_1079:                          ; =>This Inner Loop Header: Depth=1
	flat_load_dword v22, v[18:19]
	flat_load_dword v23, v[16:17]
	s_andn2_b64 s[58:59], s[16:17], exec
	s_andn2_b64 s[54:55], s[54:55], exec
	s_or_b64 s[52:53], s[52:53], exec
	s_waitcnt vmcnt(0) lgkmcnt(0)
	v_cmp_le_u32_e64 s[16:17], v22, v23
	v_cmp_lt_u32_e64 s[12:13], v22, v23
	s_and_b64 s[16:17], s[16:17], s[56:57]
	s_or_b64 s[60:61], s[12:13], s[16:17]
	s_and_b64 s[12:13], s[60:61], exec
	v_cmp_eq_u32_e64 s[18:19], v22, v23
	s_or_b64 s[16:17], s[58:59], s[12:13]
	s_and_saveexec_b64 s[58:59], s[18:19]
	s_cbranch_execz .LBB1493_1078
; %bb.1080:                             ;   in Loop: Header=BB1493_1079 Depth=1
	v_lshl_add_u64 v[20:21], v[20:21], 0, -1
	v_cmp_eq_u64_e64 s[12:13], 0, v[20:21]
	s_andn2_b64 s[18:19], s[54:55], exec
	s_and_b64 s[54:55], s[60:61], exec
	s_or_b64 s[54:55], s[18:19], s[54:55]
	s_andn2_b64 s[18:19], s[52:53], exec
	s_and_b64 s[12:13], s[12:13], exec
	v_lshl_add_u64 v[16:17], v[16:17], 0, 4
	v_lshl_add_u64 v[18:19], v[18:19], 0, 4
	s_andn2_b64 s[16:17], s[16:17], exec
	s_or_b64 s[52:53], s[18:19], s[12:13]
                                        ; implicit-def: $sgpr56_sgpr57
	s_branch .LBB1493_1078
.LBB1493_1081:
	s_or_b64 exec, exec, s[48:49]
	s_xor_b64 s[12:13], s[50:51], -1
	s_orn2_b64 s[12:13], s[12:13], exec
.LBB1493_1082:
	s_or_b64 exec, exec, s[46:47]
	s_and_b64 s[16:17], s[12:13], exec
.LBB1493_1083:
	s_or_b64 exec, exec, s[36:37]
	s_orn2_b64 s[36:37], s[16:17], exec
.LBB1493_1084:
	s_or_b64 exec, exec, s[44:45]
	v_cndmask_b32_e64 v16, v117, v114, s[36:37]
	v_cndmask_b32_e64 v17, v101, v100, s[36:37]
	v_add_u32_e32 v128, 1, v16
	v_add_u32_e32 v16, -1, v17
	v_min_u32_e32 v16, v128, v16
	v_mov_b32_e32 v17, 0
	v_lshl_add_u64 v[16:17], v[16:17], 3, v[66:67]
	flat_load_dwordx2 v[70:71], v[16:17]
	v_cndmask_b32_e64 v21, v27, v82, s[24:25]
	v_cndmask_b32_e64 v27, v24, v26, s[26:27]
	;; [unrolled: 1-line block ×15, first 2 shown]
	v_cmp_lt_u32_e64 s[12:13], v80, v101
	s_waitcnt vmcnt(0) lgkmcnt(0)
	v_cndmask_b32_e64 v15, v118, v71, s[36:37]
	v_cndmask_b32_e64 v14, v119, v70, s[36:37]
	s_and_saveexec_b64 s[22:23], s[12:13]
	s_cbranch_execz .LBB1493_1094
; %bb.1085:
	v_cndmask_b32_e64 v80, v114, v128, s[36:37]
	v_cndmask_b32_e64 v71, v71, v115, s[36:37]
	;; [unrolled: 1-line block ×3, first 2 shown]
	v_cmp_lt_u32_e64 s[12:13], v80, v100
	s_and_saveexec_b64 s[24:25], s[12:13]
	s_cbranch_execz .LBB1493_1093
; %bb.1086:
	s_and_saveexec_b64 s[26:27], s[8:9]
	s_cbranch_execz .LBB1493_1092
; %bb.1087:
	v_mul_lo_u32 v82, v15, v6
	v_mul_lo_u32 v83, v14, v7
	v_mad_u64_u32 v[80:81], s[12:13], v14, v6, 0
	v_add3_u32 v81, v81, v83, v82
	v_mul_lo_u32 v84, v71, v6
	v_mul_lo_u32 v85, v70, v7
	v_mad_u64_u32 v[82:83], s[12:13], v70, v6, 0
	v_add3_u32 v83, v83, v85, v84
	v_lshl_add_u64 v[80:81], v[80:81], 2, v[8:9]
	v_lshl_add_u64 v[82:83], v[82:83], 2, v[8:9]
	s_mov_b64 s[28:29], 0
	v_mov_b64_e32 v[84:85], v[6:7]
                                        ; implicit-def: $sgpr34_sgpr35
                                        ; implicit-def: $sgpr36_sgpr37
                                        ; implicit-def: $sgpr16_sgpr17
                                        ; implicit-def: $sgpr42_sgpr43
                                        ; implicit-def: $sgpr44_sgpr45
	s_branch .LBB1493_1089
.LBB1493_1088:                          ;   in Loop: Header=BB1493_1089 Depth=1
	s_or_b64 exec, exec, s[46:47]
	s_and_b64 s[12:13], exec, s[36:37]
	s_or_b64 s[28:29], s[12:13], s[28:29]
	s_andn2_b64 s[12:13], s[44:45], exec
	s_and_b64 s[18:19], s[42:43], exec
	s_or_b64 s[44:45], s[12:13], s[18:19]
	s_andn2_b64 s[12:13], s[34:35], exec
	s_and_b64 s[18:19], s[16:17], exec
	s_or_b64 s[34:35], s[12:13], s[18:19]
	s_andn2_b64 exec, exec, s[28:29]
	s_cbranch_execz .LBB1493_1091
.LBB1493_1089:                          ; =>This Inner Loop Header: Depth=1
	flat_load_dword v86, v[82:83]
	flat_load_dword v87, v[80:81]
	s_andn2_b64 s[46:47], s[16:17], exec
	s_andn2_b64 s[42:43], s[42:43], exec
	s_or_b64 s[36:37], s[36:37], exec
	s_waitcnt vmcnt(0) lgkmcnt(0)
	v_cmp_le_u32_e64 s[16:17], v86, v87
	v_cmp_lt_u32_e64 s[12:13], v86, v87
	s_and_b64 s[16:17], s[16:17], s[44:45]
	s_or_b64 s[48:49], s[12:13], s[16:17]
	s_and_b64 s[12:13], s[48:49], exec
	v_cmp_eq_u32_e64 s[18:19], v86, v87
	s_or_b64 s[16:17], s[46:47], s[12:13]
	s_and_saveexec_b64 s[46:47], s[18:19]
	s_cbranch_execz .LBB1493_1088
; %bb.1090:                             ;   in Loop: Header=BB1493_1089 Depth=1
	v_lshl_add_u64 v[84:85], v[84:85], 0, -1
	v_cmp_eq_u64_e64 s[12:13], 0, v[84:85]
	s_andn2_b64 s[18:19], s[42:43], exec
	s_and_b64 s[42:43], s[48:49], exec
	s_or_b64 s[42:43], s[18:19], s[42:43]
	s_andn2_b64 s[18:19], s[36:37], exec
	s_and_b64 s[12:13], s[12:13], exec
	v_lshl_add_u64 v[80:81], v[80:81], 0, 4
	v_lshl_add_u64 v[82:83], v[82:83], 0, 4
	s_andn2_b64 s[16:17], s[16:17], exec
	s_or_b64 s[36:37], s[18:19], s[12:13]
                                        ; implicit-def: $sgpr44_sgpr45
	s_branch .LBB1493_1088
.LBB1493_1091:
	s_or_b64 exec, exec, s[28:29]
	v_cndmask_b32_e64 v15, v15, v71, s[34:35]
	v_cndmask_b32_e64 v14, v14, v70, s[34:35]
.LBB1493_1092:
	s_or_b64 exec, exec, s[26:27]
	v_mov_b64_e32 v[70:71], v[14:15]
.LBB1493_1093:
	s_or_b64 exec, exec, s[24:25]
	v_mov_b64_e32 v[14:15], v[70:71]
.LBB1493_1094:
	s_or_b64 exec, exec, s[22:23]
.LBB1493_1095:
	s_or_b64 exec, exec, s[20:21]
	v_and_b32_e32 v102, 0x3e0, v31
	v_or_b32_e32 v70, 16, v102
	v_min_u32_e32 v100, v1, v70
	v_add_u32_e32 v70, 16, v100
	v_min_u32_e32 v101, v1, v70
	v_and_b32_e32 v70, 24, v31
	v_min_u32_e32 v103, v1, v70
	v_sub_u32_e32 v70, v100, v102
	v_sub_u32_e32 v71, v101, v100
	v_sub_u32_e64 v112, v103, v71 clamp
	v_min_u32_e32 v113, v103, v70
	v_cmp_lt_u32_e64 s[12:13], v112, v113
	; wave barrier
	flat_store_dwordx4 v[68:69], v[24:27]
	flat_store_dwordx4 v[68:69], v[20:23] offset:16
	flat_store_dwordx4 v[68:69], v[16:19] offset:32
	;; [unrolled: 1-line block ×3, first 2 shown]
	; wave barrier
	s_and_saveexec_b64 s[20:21], s[12:13]
	s_cbranch_execz .LBB1493_1105
; %bb.1096:
	v_lshlrev_b32_e32 v70, 3, v102
	v_mov_b32_e32 v71, 0
	v_lshl_add_u64 v[80:81], v[66:67], 0, v[70:71]
	v_lshlrev_b32_e32 v70, 3, v100
	v_lshl_add_u64 v[82:83], v[66:67], 0, v[70:71]
	s_mov_b64 s[22:23], 0
	s_branch .LBB1493_1099
.LBB1493_1097:                          ;   in Loop: Header=BB1493_1099 Depth=1
	s_or_b64 exec, exec, s[26:27]
	s_and_b64 s[12:13], s[28:29], exec
.LBB1493_1098:                          ;   in Loop: Header=BB1493_1099 Depth=1
	s_or_b64 exec, exec, s[24:25]
	v_add_u32_e32 v70, 1, v84
	v_cndmask_b32_e64 v113, v113, v84, s[12:13]
	v_cndmask_b32_e64 v112, v70, v112, s[12:13]
	v_cmp_ge_u32_e64 s[12:13], v112, v113
	s_or_b64 s[22:23], s[12:13], s[22:23]
	s_andn2_b64 exec, exec, s[22:23]
	s_cbranch_execz .LBB1493_1104
.LBB1493_1099:                          ; =>This Loop Header: Depth=1
                                        ;     Child Loop BB1493_1102 Depth 2
	v_add_u32_e32 v70, v113, v112
	v_lshrrev_b32_e32 v84, 1, v70
	s_mov_b64 s[12:13], 0
	s_and_saveexec_b64 s[24:25], s[8:9]
	s_cbranch_execz .LBB1493_1098
; %bb.1100:                             ;   in Loop: Header=BB1493_1099 Depth=1
	v_mov_b32_e32 v85, v71
	v_xad_u32 v70, v84, -1, v103
	v_lshl_add_u64 v[86:87], v[84:85], 3, v[80:81]
	v_lshl_add_u64 v[96:97], v[70:71], 3, v[82:83]
	flat_load_dwordx2 v[86:87], v[86:87]
	s_mov_b64 s[26:27], 0
	flat_load_dwordx2 v[96:97], v[96:97]
                                        ; implicit-def: $sgpr28_sgpr29
                                        ; implicit-def: $sgpr34_sgpr35
                                        ; implicit-def: $sgpr36_sgpr37
                                        ; implicit-def: $sgpr16_sgpr17
                                        ; implicit-def: $sgpr42_sgpr43
	s_waitcnt vmcnt(0) lgkmcnt(0)
	v_mul_lo_u32 v70, v64, v87
	v_mul_lo_u32 v85, v65, v86
	v_mad_u64_u32 v[86:87], s[12:13], v64, v86, v[8:9]
	v_mul_lo_u32 v98, v64, v97
	v_mul_lo_u32 v99, v65, v96
	v_mad_u64_u32 v[96:97], s[12:13], v64, v96, v[8:9]
	v_add3_u32 v87, v85, v87, v70
	v_add3_u32 v97, v99, v97, v98
	v_mov_b64_e32 v[98:99], v[6:7]
	s_branch .LBB1493_1102
.LBB1493_1101:                          ;   in Loop: Header=BB1493_1102 Depth=2
	s_or_b64 exec, exec, s[44:45]
	s_and_b64 s[12:13], exec, s[34:35]
	s_or_b64 s[26:27], s[12:13], s[26:27]
	s_andn2_b64 s[12:13], s[42:43], exec
	s_and_b64 s[18:19], s[36:37], exec
	s_or_b64 s[42:43], s[12:13], s[18:19]
	s_andn2_b64 s[12:13], s[28:29], exec
	s_and_b64 s[18:19], s[16:17], exec
	s_or_b64 s[28:29], s[12:13], s[18:19]
	s_andn2_b64 exec, exec, s[26:27]
	s_cbranch_execz .LBB1493_1097
.LBB1493_1102:                          ;   Parent Loop BB1493_1099 Depth=1
                                        ; =>  This Inner Loop Header: Depth=2
	flat_load_dword v70, v[96:97]
	flat_load_dword v85, v[86:87]
	s_andn2_b64 s[44:45], s[16:17], exec
	s_andn2_b64 s[36:37], s[36:37], exec
	s_or_b64 s[34:35], s[34:35], exec
	s_waitcnt vmcnt(0) lgkmcnt(0)
	v_cmp_le_u32_e64 s[16:17], v70, v85
	v_cmp_lt_u32_e64 s[12:13], v70, v85
	s_and_b64 s[16:17], s[16:17], s[42:43]
	s_or_b64 s[46:47], s[12:13], s[16:17]
	s_and_b64 s[12:13], s[46:47], exec
	v_cmp_eq_u32_e64 s[18:19], v70, v85
	s_or_b64 s[16:17], s[44:45], s[12:13]
	s_and_saveexec_b64 s[44:45], s[18:19]
	s_cbranch_execz .LBB1493_1101
; %bb.1103:                             ;   in Loop: Header=BB1493_1102 Depth=2
	v_lshl_add_u64 v[98:99], v[98:99], 0, -1
	v_cmp_eq_u64_e64 s[12:13], 0, v[98:99]
	s_andn2_b64 s[18:19], s[36:37], exec
	s_and_b64 s[36:37], s[46:47], exec
	s_or_b64 s[36:37], s[18:19], s[36:37]
	s_andn2_b64 s[18:19], s[34:35], exec
	s_and_b64 s[12:13], s[12:13], exec
	v_lshl_add_u64 v[86:87], v[86:87], 0, 4
	v_lshl_add_u64 v[96:97], v[96:97], 0, 4
	s_andn2_b64 s[16:17], s[16:17], exec
	s_or_b64 s[34:35], s[18:19], s[12:13]
                                        ; implicit-def: $sgpr42_sgpr43
	s_branch .LBB1493_1101
.LBB1493_1104:
	s_or_b64 exec, exec, s[22:23]
.LBB1493_1105:
	s_or_b64 exec, exec, s[20:21]
	v_add_u32_e32 v71, v100, v103
	v_add_u32_e32 v70, v112, v102
	v_sub_u32_e32 v80, v71, v112
	v_cmp_le_u32_e64 s[12:13], v70, v100
	v_cmp_le_u32_e64 s[16:17], v80, v101
	s_or_b64 s[12:13], s[12:13], s[16:17]
	s_and_saveexec_b64 s[20:21], s[12:13]
	s_cbranch_execz .LBB1493_1189
; %bb.1106:
	v_cmp_ge_u32_e64 s[16:17], v70, v100
	v_cmp_lt_u32_e64 s[12:13], v70, v100
                                        ; implicit-def: $vgpr12_vgpr13
	s_and_saveexec_b64 s[18:19], s[12:13]
	s_cbranch_execz .LBB1493_1108
; %bb.1107:
	v_mov_b32_e32 v71, 0
	v_lshl_add_u64 v[12:13], v[70:71], 3, v[66:67]
	flat_load_dwordx2 v[12:13], v[12:13]
.LBB1493_1108:
	s_or_b64 exec, exec, s[18:19]
	v_cmp_ge_u32_e64 s[22:23], v80, v101
	v_cmp_lt_u32_e64 s[12:13], v80, v101
                                        ; implicit-def: $vgpr14_vgpr15
	s_and_saveexec_b64 s[18:19], s[12:13]
	s_cbranch_execz .LBB1493_1110
; %bb.1109:
	v_mov_b32_e32 v81, 0
	v_lshl_add_u64 v[14:15], v[80:81], 3, v[66:67]
	flat_load_dwordx2 v[14:15], v[14:15]
.LBB1493_1110:
	s_or_b64 exec, exec, s[18:19]
	s_or_b64 s[12:13], s[16:17], s[22:23]
	s_xor_b64 s[12:13], s[12:13], -1
	s_and_saveexec_b64 s[24:25], s[12:13]
	s_cbranch_execz .LBB1493_1118
; %bb.1111:
	s_mov_b64 s[12:13], 0
	s_and_saveexec_b64 s[26:27], s[8:9]
	s_cbranch_execz .LBB1493_1117
; %bb.1112:
	s_waitcnt vmcnt(0) lgkmcnt(0)
	v_mul_lo_u32 v18, v13, v6
	v_mul_lo_u32 v19, v12, v7
	v_mad_u64_u32 v[16:17], s[12:13], v12, v6, 0
	v_add3_u32 v17, v17, v19, v18
	v_mul_lo_u32 v20, v15, v6
	v_mul_lo_u32 v21, v14, v7
	v_mad_u64_u32 v[18:19], s[12:13], v14, v6, 0
	v_add3_u32 v19, v19, v21, v20
	v_lshl_add_u64 v[16:17], v[16:17], 2, v[8:9]
	v_lshl_add_u64 v[18:19], v[18:19], 2, v[8:9]
	s_mov_b64 s[28:29], 0
	v_mov_b64_e32 v[20:21], v[6:7]
                                        ; implicit-def: $sgpr34_sgpr35
                                        ; implicit-def: $sgpr36_sgpr37
                                        ; implicit-def: $sgpr42_sgpr43
                                        ; implicit-def: $sgpr16_sgpr17
                                        ; implicit-def: $sgpr44_sgpr45
	s_branch .LBB1493_1114
.LBB1493_1113:                          ;   in Loop: Header=BB1493_1114 Depth=1
	s_or_b64 exec, exec, s[46:47]
	s_and_b64 s[12:13], exec, s[36:37]
	s_or_b64 s[28:29], s[12:13], s[28:29]
	s_andn2_b64 s[12:13], s[44:45], exec
	s_and_b64 s[18:19], s[42:43], exec
	s_or_b64 s[44:45], s[12:13], s[18:19]
	s_andn2_b64 s[12:13], s[34:35], exec
	s_and_b64 s[18:19], s[16:17], exec
	s_or_b64 s[34:35], s[12:13], s[18:19]
	s_andn2_b64 exec, exec, s[28:29]
	s_cbranch_execz .LBB1493_1116
.LBB1493_1114:                          ; =>This Inner Loop Header: Depth=1
	flat_load_dword v22, v[18:19]
	flat_load_dword v23, v[16:17]
	s_andn2_b64 s[46:47], s[16:17], exec
	s_andn2_b64 s[42:43], s[42:43], exec
	s_or_b64 s[36:37], s[36:37], exec
	s_waitcnt vmcnt(0) lgkmcnt(0)
	v_cmp_le_u32_e64 s[16:17], v22, v23
	v_cmp_lt_u32_e64 s[12:13], v22, v23
	s_and_b64 s[16:17], s[16:17], s[44:45]
	s_or_b64 s[48:49], s[12:13], s[16:17]
	s_and_b64 s[12:13], s[48:49], exec
	v_cmp_eq_u32_e64 s[18:19], v22, v23
	s_or_b64 s[16:17], s[46:47], s[12:13]
	s_and_saveexec_b64 s[46:47], s[18:19]
	s_cbranch_execz .LBB1493_1113
; %bb.1115:                             ;   in Loop: Header=BB1493_1114 Depth=1
	v_lshl_add_u64 v[20:21], v[20:21], 0, -1
	v_cmp_eq_u64_e64 s[12:13], 0, v[20:21]
	s_andn2_b64 s[18:19], s[42:43], exec
	s_and_b64 s[42:43], s[48:49], exec
	s_or_b64 s[42:43], s[18:19], s[42:43]
	s_andn2_b64 s[18:19], s[36:37], exec
	s_and_b64 s[12:13], s[12:13], exec
	v_lshl_add_u64 v[16:17], v[16:17], 0, 4
	v_lshl_add_u64 v[18:19], v[18:19], 0, 4
	s_andn2_b64 s[16:17], s[16:17], exec
	s_or_b64 s[36:37], s[18:19], s[12:13]
                                        ; implicit-def: $sgpr44_sgpr45
	s_branch .LBB1493_1113
.LBB1493_1116:
	s_or_b64 exec, exec, s[28:29]
	s_and_b64 s[12:13], s[34:35], exec
.LBB1493_1117:
	s_or_b64 exec, exec, s[26:27]
	s_xor_b64 s[12:13], s[12:13], -1
	s_andn2_b64 s[16:17], s[22:23], exec
	s_and_b64 s[12:13], s[12:13], exec
	s_or_b64 s[22:23], s[16:17], s[12:13]
.LBB1493_1118:
	s_or_b64 exec, exec, s[24:25]
	v_cndmask_b32_e64 v16, v80, v70, s[22:23]
	v_cndmask_b32_e64 v17, v101, v100, s[22:23]
	v_add_u32_e32 v20, 1, v16
	v_add_u32_e32 v16, -1, v17
	v_min_u32_e32 v16, v20, v16
	v_mov_b32_e32 v17, 0
	v_lshl_add_u64 v[18:19], v[16:17], 3, v[66:67]
	flat_load_dwordx2 v[18:19], v[18:19]
	v_cndmask_b32_e64 v27, v20, v80, s[22:23]
	s_mov_b64 s[24:25], -1
	v_cndmask_b32_e64 v70, v70, v20, s[22:23]
	v_cmp_lt_u32_e64 s[12:13], v27, v101
	s_mov_b64 s[26:27], -1
	s_waitcnt vmcnt(0) lgkmcnt(0)
	v_cndmask_b32_e64 v24, v19, v15, s[22:23]
	v_cndmask_b32_e64 v25, v18, v14, s[22:23]
	;; [unrolled: 1-line block ×4, first 2 shown]
	s_and_saveexec_b64 s[28:29], s[12:13]
	s_cbranch_execz .LBB1493_1128
; %bb.1119:
	v_cmp_lt_u32_e64 s[12:13], v70, v100
	s_mov_b64 s[16:17], 0
	s_and_saveexec_b64 s[26:27], s[12:13]
	s_cbranch_execz .LBB1493_1127
; %bb.1120:
	s_mov_b64 s[12:13], 0
	s_and_saveexec_b64 s[34:35], s[8:9]
	s_cbranch_execz .LBB1493_1126
; %bb.1121:
	v_mul_lo_u32 v16, v26, v6
	v_mul_lo_u32 v20, v80, v7
	v_mad_u64_u32 v[18:19], s[12:13], v80, v6, 0
	v_add3_u32 v19, v19, v20, v16
	v_mul_lo_u32 v16, v24, v6
	v_mul_lo_u32 v22, v25, v7
	v_mad_u64_u32 v[20:21], s[12:13], v25, v6, 0
	v_add3_u32 v21, v21, v22, v16
	v_lshl_add_u64 v[18:19], v[18:19], 2, v[8:9]
	v_lshl_add_u64 v[20:21], v[20:21], 2, v[8:9]
	s_mov_b64 s[36:37], 0
	v_mov_b64_e32 v[22:23], v[6:7]
                                        ; implicit-def: $sgpr42_sgpr43
                                        ; implicit-def: $sgpr44_sgpr45
                                        ; implicit-def: $sgpr46_sgpr47
                                        ; implicit-def: $sgpr16_sgpr17
                                        ; implicit-def: $sgpr48_sgpr49
	s_branch .LBB1493_1123
.LBB1493_1122:                          ;   in Loop: Header=BB1493_1123 Depth=1
	s_or_b64 exec, exec, s[50:51]
	s_and_b64 s[12:13], exec, s[44:45]
	s_or_b64 s[36:37], s[12:13], s[36:37]
	s_andn2_b64 s[12:13], s[48:49], exec
	s_and_b64 s[18:19], s[46:47], exec
	s_or_b64 s[48:49], s[12:13], s[18:19]
	s_andn2_b64 s[12:13], s[42:43], exec
	s_and_b64 s[18:19], s[16:17], exec
	s_or_b64 s[42:43], s[12:13], s[18:19]
	s_andn2_b64 exec, exec, s[36:37]
	s_cbranch_execz .LBB1493_1125
.LBB1493_1123:                          ; =>This Inner Loop Header: Depth=1
	flat_load_dword v16, v[20:21]
	flat_load_dword v71, v[18:19]
	s_andn2_b64 s[50:51], s[16:17], exec
	s_andn2_b64 s[46:47], s[46:47], exec
	s_or_b64 s[44:45], s[44:45], exec
	s_waitcnt vmcnt(0) lgkmcnt(0)
	v_cmp_le_u32_e64 s[16:17], v16, v71
	v_cmp_lt_u32_e64 s[12:13], v16, v71
	s_and_b64 s[16:17], s[16:17], s[48:49]
	s_or_b64 s[52:53], s[12:13], s[16:17]
	s_and_b64 s[12:13], s[52:53], exec
	v_cmp_eq_u32_e64 s[18:19], v16, v71
	s_or_b64 s[16:17], s[50:51], s[12:13]
	s_and_saveexec_b64 s[50:51], s[18:19]
	s_cbranch_execz .LBB1493_1122
; %bb.1124:                             ;   in Loop: Header=BB1493_1123 Depth=1
	v_lshl_add_u64 v[22:23], v[22:23], 0, -1
	v_cmp_eq_u64_e64 s[12:13], 0, v[22:23]
	s_andn2_b64 s[18:19], s[46:47], exec
	s_and_b64 s[46:47], s[52:53], exec
	s_or_b64 s[46:47], s[18:19], s[46:47]
	s_andn2_b64 s[18:19], s[44:45], exec
	s_and_b64 s[12:13], s[12:13], exec
	v_lshl_add_u64 v[18:19], v[18:19], 0, 4
	v_lshl_add_u64 v[20:21], v[20:21], 0, 4
	s_andn2_b64 s[16:17], s[16:17], exec
	s_or_b64 s[44:45], s[18:19], s[12:13]
                                        ; implicit-def: $sgpr48_sgpr49
	s_branch .LBB1493_1122
.LBB1493_1125:
	s_or_b64 exec, exec, s[36:37]
	s_and_b64 s[12:13], s[42:43], exec
.LBB1493_1126:
	s_or_b64 exec, exec, s[34:35]
	s_xor_b64 s[12:13], s[12:13], -1
	s_and_b64 s[16:17], s[12:13], exec
.LBB1493_1127:
	s_or_b64 exec, exec, s[26:27]
	s_orn2_b64 s[26:27], s[16:17], exec
.LBB1493_1128:
	s_or_b64 exec, exec, s[28:29]
	v_cndmask_b32_e64 v16, v27, v70, s[26:27]
	v_cndmask_b32_e64 v18, v101, v100, s[26:27]
	v_add_u32_e32 v19, 1, v16
	v_add_u32_e32 v16, -1, v18
	v_min_u32_e32 v16, v19, v16
	v_lshl_add_u64 v[16:17], v[16:17], 3, v[66:67]
	flat_load_dwordx2 v[16:17], v[16:17]
	v_cndmask_b32_e64 v22, v19, v27, s[26:27]
	v_cndmask_b32_e64 v23, v70, v19, s[26:27]
	v_cmp_lt_u32_e64 s[12:13], v22, v101
	s_waitcnt vmcnt(0) lgkmcnt(0)
	v_cndmask_b32_e64 v27, v17, v24, s[26:27]
	v_cndmask_b32_e64 v81, v16, v25, s[26:27]
	;; [unrolled: 1-line block ×4, first 2 shown]
	s_and_saveexec_b64 s[28:29], s[12:13]
	s_cbranch_execz .LBB1493_1138
; %bb.1129:
	v_cmp_lt_u32_e64 s[12:13], v23, v100
	s_mov_b64 s[16:17], 0
	s_and_saveexec_b64 s[24:25], s[12:13]
	s_cbranch_execz .LBB1493_1137
; %bb.1130:
	s_mov_b64 s[12:13], 0
	s_and_saveexec_b64 s[34:35], s[8:9]
	s_cbranch_execz .LBB1493_1136
; %bb.1131:
	v_mul_lo_u32 v18, v82, v6
	v_mul_lo_u32 v19, v83, v7
	v_mad_u64_u32 v[16:17], s[12:13], v83, v6, 0
	v_add3_u32 v17, v17, v19, v18
	v_mul_lo_u32 v20, v27, v6
	v_mul_lo_u32 v21, v81, v7
	v_mad_u64_u32 v[18:19], s[12:13], v81, v6, 0
	v_add3_u32 v19, v19, v21, v20
	v_lshl_add_u64 v[16:17], v[16:17], 2, v[8:9]
	v_lshl_add_u64 v[18:19], v[18:19], 2, v[8:9]
	s_mov_b64 s[36:37], 0
	v_mov_b64_e32 v[20:21], v[6:7]
                                        ; implicit-def: $sgpr42_sgpr43
                                        ; implicit-def: $sgpr44_sgpr45
                                        ; implicit-def: $sgpr46_sgpr47
                                        ; implicit-def: $sgpr16_sgpr17
                                        ; implicit-def: $sgpr48_sgpr49
	s_branch .LBB1493_1133
.LBB1493_1132:                          ;   in Loop: Header=BB1493_1133 Depth=1
	s_or_b64 exec, exec, s[50:51]
	s_and_b64 s[12:13], exec, s[44:45]
	s_or_b64 s[36:37], s[12:13], s[36:37]
	s_andn2_b64 s[12:13], s[48:49], exec
	s_and_b64 s[18:19], s[46:47], exec
	s_or_b64 s[48:49], s[12:13], s[18:19]
	s_andn2_b64 s[12:13], s[42:43], exec
	s_and_b64 s[18:19], s[16:17], exec
	s_or_b64 s[42:43], s[12:13], s[18:19]
	s_andn2_b64 exec, exec, s[36:37]
	s_cbranch_execz .LBB1493_1135
.LBB1493_1133:                          ; =>This Inner Loop Header: Depth=1
	flat_load_dword v70, v[18:19]
	flat_load_dword v71, v[16:17]
	s_andn2_b64 s[50:51], s[16:17], exec
	s_andn2_b64 s[46:47], s[46:47], exec
	s_or_b64 s[44:45], s[44:45], exec
	s_waitcnt vmcnt(0) lgkmcnt(0)
	v_cmp_le_u32_e64 s[16:17], v70, v71
	v_cmp_lt_u32_e64 s[12:13], v70, v71
	s_and_b64 s[16:17], s[16:17], s[48:49]
	s_or_b64 s[52:53], s[12:13], s[16:17]
	s_and_b64 s[12:13], s[52:53], exec
	v_cmp_eq_u32_e64 s[18:19], v70, v71
	s_or_b64 s[16:17], s[50:51], s[12:13]
	s_and_saveexec_b64 s[50:51], s[18:19]
	s_cbranch_execz .LBB1493_1132
; %bb.1134:                             ;   in Loop: Header=BB1493_1133 Depth=1
	v_lshl_add_u64 v[20:21], v[20:21], 0, -1
	v_cmp_eq_u64_e64 s[12:13], 0, v[20:21]
	s_andn2_b64 s[18:19], s[46:47], exec
	s_and_b64 s[46:47], s[52:53], exec
	s_or_b64 s[46:47], s[18:19], s[46:47]
	s_andn2_b64 s[18:19], s[44:45], exec
	s_and_b64 s[12:13], s[12:13], exec
	v_lshl_add_u64 v[16:17], v[16:17], 0, 4
	v_lshl_add_u64 v[18:19], v[18:19], 0, 4
	s_andn2_b64 s[16:17], s[16:17], exec
	s_or_b64 s[44:45], s[18:19], s[12:13]
                                        ; implicit-def: $sgpr48_sgpr49
	s_branch .LBB1493_1132
.LBB1493_1135:
	s_or_b64 exec, exec, s[36:37]
	s_and_b64 s[12:13], s[42:43], exec
.LBB1493_1136:
	s_or_b64 exec, exec, s[34:35]
	s_xor_b64 s[12:13], s[12:13], -1
	s_and_b64 s[16:17], s[12:13], exec
.LBB1493_1137:
	s_or_b64 exec, exec, s[24:25]
	s_orn2_b64 s[24:25], s[16:17], exec
.LBB1493_1138:
	s_or_b64 exec, exec, s[28:29]
	v_cndmask_b32_e64 v16, v22, v23, s[24:25]
	v_cndmask_b32_e64 v17, v101, v100, s[24:25]
	v_add_u32_e32 v20, 1, v16
	v_add_u32_e32 v16, -1, v17
	v_min_u32_e32 v16, v20, v16
	v_mov_b32_e32 v17, 0
	v_lshl_add_u64 v[18:19], v[16:17], 3, v[66:67]
	flat_load_dwordx2 v[18:19], v[18:19]
	v_cndmask_b32_e64 v70, v20, v22, s[24:25]
	s_mov_b64 s[28:29], -1
	v_cndmask_b32_e64 v71, v23, v20, s[24:25]
	v_cmp_lt_u32_e64 s[12:13], v70, v101
	s_mov_b64 s[34:35], -1
	s_waitcnt vmcnt(0) lgkmcnt(0)
	v_cndmask_b32_e64 v84, v19, v27, s[24:25]
	v_cndmask_b32_e64 v85, v18, v81, s[24:25]
	v_cndmask_b32_e64 v86, v82, v19, s[24:25]
	v_cndmask_b32_e64 v87, v83, v18, s[24:25]
	s_and_saveexec_b64 s[36:37], s[12:13]
	s_cbranch_execz .LBB1493_1148
; %bb.1139:
	v_cmp_lt_u32_e64 s[12:13], v71, v100
	s_mov_b64 s[16:17], 0
	s_and_saveexec_b64 s[34:35], s[12:13]
	s_cbranch_execz .LBB1493_1147
; %bb.1140:
	s_mov_b64 s[12:13], -1
	s_and_saveexec_b64 s[42:43], s[8:9]
	s_cbranch_execz .LBB1493_1146
; %bb.1141:
	v_mul_lo_u32 v16, v86, v6
	v_mul_lo_u32 v20, v87, v7
	v_mad_u64_u32 v[18:19], s[12:13], v87, v6, 0
	v_add3_u32 v19, v19, v20, v16
	v_mul_lo_u32 v16, v84, v6
	v_mul_lo_u32 v22, v85, v7
	v_mad_u64_u32 v[20:21], s[12:13], v85, v6, 0
	v_add3_u32 v21, v21, v22, v16
	v_lshl_add_u64 v[18:19], v[18:19], 2, v[8:9]
	v_lshl_add_u64 v[20:21], v[20:21], 2, v[8:9]
	s_mov_b64 s[44:45], 0
	v_mov_b64_e32 v[22:23], v[6:7]
                                        ; implicit-def: $sgpr46_sgpr47
                                        ; implicit-def: $sgpr48_sgpr49
                                        ; implicit-def: $sgpr16_sgpr17
                                        ; implicit-def: $sgpr50_sgpr51
                                        ; implicit-def: $sgpr52_sgpr53
	s_branch .LBB1493_1143
.LBB1493_1142:                          ;   in Loop: Header=BB1493_1143 Depth=1
	s_or_b64 exec, exec, s[54:55]
	s_and_b64 s[12:13], exec, s[48:49]
	s_or_b64 s[44:45], s[12:13], s[44:45]
	s_andn2_b64 s[12:13], s[52:53], exec
	s_and_b64 s[18:19], s[50:51], exec
	s_or_b64 s[52:53], s[12:13], s[18:19]
	s_andn2_b64 s[12:13], s[46:47], exec
	s_and_b64 s[18:19], s[16:17], exec
	s_or_b64 s[46:47], s[12:13], s[18:19]
	s_andn2_b64 exec, exec, s[44:45]
	s_cbranch_execz .LBB1493_1145
.LBB1493_1143:                          ; =>This Inner Loop Header: Depth=1
	flat_load_dword v16, v[20:21]
	flat_load_dword v96, v[18:19]
	s_andn2_b64 s[54:55], s[16:17], exec
	s_andn2_b64 s[50:51], s[50:51], exec
	s_or_b64 s[48:49], s[48:49], exec
	s_waitcnt vmcnt(0) lgkmcnt(0)
	v_cmp_le_u32_e64 s[16:17], v16, v96
	v_cmp_lt_u32_e64 s[12:13], v16, v96
	s_and_b64 s[16:17], s[16:17], s[52:53]
	s_or_b64 s[56:57], s[12:13], s[16:17]
	s_and_b64 s[12:13], s[56:57], exec
	v_cmp_eq_u32_e64 s[18:19], v16, v96
	s_or_b64 s[16:17], s[54:55], s[12:13]
	s_and_saveexec_b64 s[54:55], s[18:19]
	s_cbranch_execz .LBB1493_1142
; %bb.1144:                             ;   in Loop: Header=BB1493_1143 Depth=1
	v_lshl_add_u64 v[22:23], v[22:23], 0, -1
	v_cmp_eq_u64_e64 s[12:13], 0, v[22:23]
	s_andn2_b64 s[18:19], s[50:51], exec
	s_and_b64 s[50:51], s[56:57], exec
	s_or_b64 s[50:51], s[18:19], s[50:51]
	s_andn2_b64 s[18:19], s[48:49], exec
	s_and_b64 s[12:13], s[12:13], exec
	v_lshl_add_u64 v[18:19], v[18:19], 0, 4
	v_lshl_add_u64 v[20:21], v[20:21], 0, 4
	s_andn2_b64 s[16:17], s[16:17], exec
	s_or_b64 s[48:49], s[18:19], s[12:13]
                                        ; implicit-def: $sgpr52_sgpr53
	s_branch .LBB1493_1142
.LBB1493_1145:
	s_or_b64 exec, exec, s[44:45]
	s_xor_b64 s[12:13], s[46:47], -1
	s_orn2_b64 s[12:13], s[12:13], exec
.LBB1493_1146:
	s_or_b64 exec, exec, s[42:43]
	s_and_b64 s[16:17], s[12:13], exec
.LBB1493_1147:
	s_or_b64 exec, exec, s[34:35]
	s_orn2_b64 s[34:35], s[16:17], exec
.LBB1493_1148:
	s_or_b64 exec, exec, s[36:37]
	v_cndmask_b32_e64 v16, v70, v71, s[34:35]
	v_cndmask_b32_e64 v18, v101, v100, s[34:35]
	v_add_u32_e32 v19, 1, v16
	v_add_u32_e32 v16, -1, v18
	v_min_u32_e32 v16, v19, v16
	v_lshl_add_u64 v[16:17], v[16:17], 3, v[66:67]
	flat_load_dwordx2 v[16:17], v[16:17]
	v_cndmask_b32_e64 v22, v19, v70, s[34:35]
	v_cndmask_b32_e64 v23, v71, v19, s[34:35]
	v_cmp_lt_u32_e64 s[12:13], v22, v101
	s_waitcnt vmcnt(0) lgkmcnt(0)
	v_cndmask_b32_e64 v96, v17, v84, s[34:35]
	v_cndmask_b32_e64 v97, v16, v85, s[34:35]
	;; [unrolled: 1-line block ×4, first 2 shown]
	s_and_saveexec_b64 s[36:37], s[12:13]
	s_cbranch_execz .LBB1493_1158
; %bb.1149:
	v_cmp_lt_u32_e64 s[12:13], v23, v100
	s_mov_b64 s[16:17], 0
	s_and_saveexec_b64 s[28:29], s[12:13]
	s_cbranch_execz .LBB1493_1157
; %bb.1150:
	s_mov_b64 s[12:13], -1
	s_and_saveexec_b64 s[42:43], s[8:9]
	s_cbranch_execz .LBB1493_1156
; %bb.1151:
	v_mul_lo_u32 v18, v98, v6
	v_mul_lo_u32 v19, v99, v7
	v_mad_u64_u32 v[16:17], s[12:13], v99, v6, 0
	v_add3_u32 v17, v17, v19, v18
	v_mul_lo_u32 v20, v96, v6
	v_mul_lo_u32 v21, v97, v7
	v_mad_u64_u32 v[18:19], s[12:13], v97, v6, 0
	v_add3_u32 v19, v19, v21, v20
	v_lshl_add_u64 v[16:17], v[16:17], 2, v[8:9]
	v_lshl_add_u64 v[18:19], v[18:19], 2, v[8:9]
	s_mov_b64 s[44:45], 0
	v_mov_b64_e32 v[20:21], v[6:7]
                                        ; implicit-def: $sgpr46_sgpr47
                                        ; implicit-def: $sgpr48_sgpr49
                                        ; implicit-def: $sgpr16_sgpr17
                                        ; implicit-def: $sgpr50_sgpr51
                                        ; implicit-def: $sgpr52_sgpr53
	s_branch .LBB1493_1153
.LBB1493_1152:                          ;   in Loop: Header=BB1493_1153 Depth=1
	s_or_b64 exec, exec, s[54:55]
	s_and_b64 s[12:13], exec, s[48:49]
	s_or_b64 s[44:45], s[12:13], s[44:45]
	s_andn2_b64 s[12:13], s[52:53], exec
	s_and_b64 s[18:19], s[50:51], exec
	s_or_b64 s[52:53], s[12:13], s[18:19]
	s_andn2_b64 s[12:13], s[46:47], exec
	s_and_b64 s[18:19], s[16:17], exec
	s_or_b64 s[46:47], s[12:13], s[18:19]
	s_andn2_b64 exec, exec, s[44:45]
	s_cbranch_execz .LBB1493_1155
.LBB1493_1153:                          ; =>This Inner Loop Header: Depth=1
	flat_load_dword v70, v[18:19]
	flat_load_dword v71, v[16:17]
	s_andn2_b64 s[54:55], s[16:17], exec
	s_andn2_b64 s[50:51], s[50:51], exec
	s_or_b64 s[48:49], s[48:49], exec
	s_waitcnt vmcnt(0) lgkmcnt(0)
	v_cmp_le_u32_e64 s[16:17], v70, v71
	v_cmp_lt_u32_e64 s[12:13], v70, v71
	s_and_b64 s[16:17], s[16:17], s[52:53]
	s_or_b64 s[56:57], s[12:13], s[16:17]
	s_and_b64 s[12:13], s[56:57], exec
	v_cmp_eq_u32_e64 s[18:19], v70, v71
	s_or_b64 s[16:17], s[54:55], s[12:13]
	s_and_saveexec_b64 s[54:55], s[18:19]
	s_cbranch_execz .LBB1493_1152
; %bb.1154:                             ;   in Loop: Header=BB1493_1153 Depth=1
	v_lshl_add_u64 v[20:21], v[20:21], 0, -1
	v_cmp_eq_u64_e64 s[12:13], 0, v[20:21]
	s_andn2_b64 s[18:19], s[50:51], exec
	s_and_b64 s[50:51], s[56:57], exec
	s_or_b64 s[50:51], s[18:19], s[50:51]
	s_andn2_b64 s[18:19], s[48:49], exec
	s_and_b64 s[12:13], s[12:13], exec
	v_lshl_add_u64 v[16:17], v[16:17], 0, 4
	v_lshl_add_u64 v[18:19], v[18:19], 0, 4
	s_andn2_b64 s[16:17], s[16:17], exec
	s_or_b64 s[48:49], s[18:19], s[12:13]
                                        ; implicit-def: $sgpr52_sgpr53
	s_branch .LBB1493_1152
.LBB1493_1155:
	s_or_b64 exec, exec, s[44:45]
	s_xor_b64 s[12:13], s[46:47], -1
	s_orn2_b64 s[12:13], s[12:13], exec
.LBB1493_1156:
	s_or_b64 exec, exec, s[42:43]
	s_and_b64 s[16:17], s[12:13], exec
.LBB1493_1157:
	s_or_b64 exec, exec, s[28:29]
	s_orn2_b64 s[28:29], s[16:17], exec
.LBB1493_1158:
	s_or_b64 exec, exec, s[36:37]
	v_cndmask_b32_e64 v16, v22, v23, s[28:29]
	v_cndmask_b32_e64 v17, v101, v100, s[28:29]
	v_add_u32_e32 v20, 1, v16
	v_add_u32_e32 v16, -1, v17
	v_min_u32_e32 v16, v20, v16
	v_mov_b32_e32 v17, 0
	v_lshl_add_u64 v[18:19], v[16:17], 3, v[66:67]
	flat_load_dwordx2 v[18:19], v[18:19]
	v_cndmask_b32_e64 v70, v20, v22, s[28:29]
	s_mov_b64 s[36:37], -1
	v_cndmask_b32_e64 v71, v23, v20, s[28:29]
	v_cmp_lt_u32_e64 s[12:13], v70, v101
	s_mov_b64 s[42:43], -1
	s_waitcnt vmcnt(0) lgkmcnt(0)
	v_cndmask_b32_e64 v102, v19, v96, s[28:29]
	v_cndmask_b32_e64 v103, v18, v97, s[28:29]
	;; [unrolled: 1-line block ×4, first 2 shown]
	s_and_saveexec_b64 s[44:45], s[12:13]
	s_cbranch_execz .LBB1493_1168
; %bb.1159:
	v_cmp_lt_u32_e64 s[12:13], v71, v100
	s_mov_b64 s[16:17], 0
	s_and_saveexec_b64 s[42:43], s[12:13]
	s_cbranch_execz .LBB1493_1167
; %bb.1160:
	s_mov_b64 s[12:13], -1
	s_and_saveexec_b64 s[46:47], s[8:9]
	s_cbranch_execz .LBB1493_1166
; %bb.1161:
	v_mul_lo_u32 v16, v112, v6
	v_mul_lo_u32 v20, v113, v7
	v_mad_u64_u32 v[18:19], s[12:13], v113, v6, 0
	v_add3_u32 v19, v19, v20, v16
	v_mul_lo_u32 v16, v102, v6
	v_mul_lo_u32 v22, v103, v7
	v_mad_u64_u32 v[20:21], s[12:13], v103, v6, 0
	v_add3_u32 v21, v21, v22, v16
	v_lshl_add_u64 v[18:19], v[18:19], 2, v[8:9]
	v_lshl_add_u64 v[20:21], v[20:21], 2, v[8:9]
	s_mov_b64 s[48:49], 0
	v_mov_b64_e32 v[22:23], v[6:7]
                                        ; implicit-def: $sgpr50_sgpr51
                                        ; implicit-def: $sgpr52_sgpr53
                                        ; implicit-def: $sgpr16_sgpr17
                                        ; implicit-def: $sgpr54_sgpr55
                                        ; implicit-def: $sgpr56_sgpr57
	s_branch .LBB1493_1163
.LBB1493_1162:                          ;   in Loop: Header=BB1493_1163 Depth=1
	s_or_b64 exec, exec, s[58:59]
	s_and_b64 s[12:13], exec, s[52:53]
	s_or_b64 s[48:49], s[12:13], s[48:49]
	s_andn2_b64 s[12:13], s[56:57], exec
	s_and_b64 s[18:19], s[54:55], exec
	s_or_b64 s[56:57], s[12:13], s[18:19]
	s_andn2_b64 s[12:13], s[50:51], exec
	s_and_b64 s[18:19], s[16:17], exec
	s_or_b64 s[50:51], s[12:13], s[18:19]
	s_andn2_b64 exec, exec, s[48:49]
	s_cbranch_execz .LBB1493_1165
.LBB1493_1163:                          ; =>This Inner Loop Header: Depth=1
	flat_load_dword v16, v[20:21]
	flat_load_dword v114, v[18:19]
	s_andn2_b64 s[58:59], s[16:17], exec
	s_andn2_b64 s[54:55], s[54:55], exec
	s_or_b64 s[52:53], s[52:53], exec
	s_waitcnt vmcnt(0) lgkmcnt(0)
	v_cmp_le_u32_e64 s[16:17], v16, v114
	v_cmp_lt_u32_e64 s[12:13], v16, v114
	s_and_b64 s[16:17], s[16:17], s[56:57]
	s_or_b64 s[60:61], s[12:13], s[16:17]
	s_and_b64 s[12:13], s[60:61], exec
	v_cmp_eq_u32_e64 s[18:19], v16, v114
	s_or_b64 s[16:17], s[58:59], s[12:13]
	s_and_saveexec_b64 s[58:59], s[18:19]
	s_cbranch_execz .LBB1493_1162
; %bb.1164:                             ;   in Loop: Header=BB1493_1163 Depth=1
	v_lshl_add_u64 v[22:23], v[22:23], 0, -1
	v_cmp_eq_u64_e64 s[12:13], 0, v[22:23]
	s_andn2_b64 s[18:19], s[54:55], exec
	s_and_b64 s[54:55], s[60:61], exec
	s_or_b64 s[54:55], s[18:19], s[54:55]
	s_andn2_b64 s[18:19], s[52:53], exec
	s_and_b64 s[12:13], s[12:13], exec
	v_lshl_add_u64 v[18:19], v[18:19], 0, 4
	v_lshl_add_u64 v[20:21], v[20:21], 0, 4
	s_andn2_b64 s[16:17], s[16:17], exec
	s_or_b64 s[52:53], s[18:19], s[12:13]
                                        ; implicit-def: $sgpr56_sgpr57
	s_branch .LBB1493_1162
.LBB1493_1165:
	s_or_b64 exec, exec, s[48:49]
	s_xor_b64 s[12:13], s[50:51], -1
	s_orn2_b64 s[12:13], s[12:13], exec
.LBB1493_1166:
	s_or_b64 exec, exec, s[46:47]
	s_and_b64 s[16:17], s[12:13], exec
.LBB1493_1167:
	s_or_b64 exec, exec, s[42:43]
	s_orn2_b64 s[42:43], s[16:17], exec
.LBB1493_1168:
	s_or_b64 exec, exec, s[44:45]
	v_cndmask_b32_e64 v16, v70, v71, s[42:43]
	v_cndmask_b32_e64 v18, v101, v100, s[42:43]
	v_add_u32_e32 v19, 1, v16
	v_add_u32_e32 v16, -1, v18
	v_min_u32_e32 v16, v19, v16
	v_lshl_add_u64 v[16:17], v[16:17], 3, v[66:67]
	flat_load_dwordx2 v[16:17], v[16:17]
	v_cndmask_b32_e64 v117, v19, v70, s[42:43]
	v_cndmask_b32_e64 v114, v71, v19, s[42:43]
	v_cmp_lt_u32_e64 s[12:13], v117, v101
	s_waitcnt vmcnt(0) lgkmcnt(0)
	v_cndmask_b32_e64 v115, v17, v102, s[42:43]
	v_cndmask_b32_e64 v116, v16, v103, s[42:43]
	;; [unrolled: 1-line block ×4, first 2 shown]
	s_and_saveexec_b64 s[44:45], s[12:13]
	s_cbranch_execz .LBB1493_1178
; %bb.1169:
	v_cmp_lt_u32_e64 s[12:13], v114, v100
	s_mov_b64 s[16:17], 0
	s_and_saveexec_b64 s[36:37], s[12:13]
	s_cbranch_execz .LBB1493_1177
; %bb.1170:
	s_mov_b64 s[12:13], -1
	s_and_saveexec_b64 s[46:47], s[8:9]
	s_cbranch_execz .LBB1493_1176
; %bb.1171:
	v_mul_lo_u32 v18, v118, v6
	v_mul_lo_u32 v19, v119, v7
	v_mad_u64_u32 v[16:17], s[12:13], v119, v6, 0
	v_add3_u32 v17, v17, v19, v18
	v_mul_lo_u32 v20, v115, v6
	v_mul_lo_u32 v21, v116, v7
	v_mad_u64_u32 v[18:19], s[12:13], v116, v6, 0
	v_add3_u32 v19, v19, v21, v20
	v_lshl_add_u64 v[16:17], v[16:17], 2, v[8:9]
	v_lshl_add_u64 v[18:19], v[18:19], 2, v[8:9]
	s_mov_b64 s[48:49], 0
	v_mov_b64_e32 v[20:21], v[6:7]
                                        ; implicit-def: $sgpr50_sgpr51
                                        ; implicit-def: $sgpr52_sgpr53
                                        ; implicit-def: $sgpr16_sgpr17
                                        ; implicit-def: $sgpr54_sgpr55
                                        ; implicit-def: $sgpr56_sgpr57
	s_branch .LBB1493_1173
.LBB1493_1172:                          ;   in Loop: Header=BB1493_1173 Depth=1
	s_or_b64 exec, exec, s[58:59]
	s_and_b64 s[12:13], exec, s[52:53]
	s_or_b64 s[48:49], s[12:13], s[48:49]
	s_andn2_b64 s[12:13], s[56:57], exec
	s_and_b64 s[18:19], s[54:55], exec
	s_or_b64 s[56:57], s[12:13], s[18:19]
	s_andn2_b64 s[12:13], s[50:51], exec
	s_and_b64 s[18:19], s[16:17], exec
	s_or_b64 s[50:51], s[12:13], s[18:19]
	s_andn2_b64 exec, exec, s[48:49]
	s_cbranch_execz .LBB1493_1175
.LBB1493_1173:                          ; =>This Inner Loop Header: Depth=1
	flat_load_dword v22, v[18:19]
	flat_load_dword v23, v[16:17]
	s_andn2_b64 s[58:59], s[16:17], exec
	s_andn2_b64 s[54:55], s[54:55], exec
	s_or_b64 s[52:53], s[52:53], exec
	s_waitcnt vmcnt(0) lgkmcnt(0)
	v_cmp_le_u32_e64 s[16:17], v22, v23
	v_cmp_lt_u32_e64 s[12:13], v22, v23
	s_and_b64 s[16:17], s[16:17], s[56:57]
	s_or_b64 s[60:61], s[12:13], s[16:17]
	s_and_b64 s[12:13], s[60:61], exec
	v_cmp_eq_u32_e64 s[18:19], v22, v23
	s_or_b64 s[16:17], s[58:59], s[12:13]
	s_and_saveexec_b64 s[58:59], s[18:19]
	s_cbranch_execz .LBB1493_1172
; %bb.1174:                             ;   in Loop: Header=BB1493_1173 Depth=1
	v_lshl_add_u64 v[20:21], v[20:21], 0, -1
	v_cmp_eq_u64_e64 s[12:13], 0, v[20:21]
	s_andn2_b64 s[18:19], s[54:55], exec
	s_and_b64 s[54:55], s[60:61], exec
	s_or_b64 s[54:55], s[18:19], s[54:55]
	s_andn2_b64 s[18:19], s[52:53], exec
	s_and_b64 s[12:13], s[12:13], exec
	v_lshl_add_u64 v[16:17], v[16:17], 0, 4
	v_lshl_add_u64 v[18:19], v[18:19], 0, 4
	s_andn2_b64 s[16:17], s[16:17], exec
	s_or_b64 s[52:53], s[18:19], s[12:13]
                                        ; implicit-def: $sgpr56_sgpr57
	s_branch .LBB1493_1172
.LBB1493_1175:
	s_or_b64 exec, exec, s[48:49]
	s_xor_b64 s[12:13], s[50:51], -1
	s_orn2_b64 s[12:13], s[12:13], exec
.LBB1493_1176:
	s_or_b64 exec, exec, s[46:47]
	s_and_b64 s[16:17], s[12:13], exec
.LBB1493_1177:
	s_or_b64 exec, exec, s[36:37]
	s_orn2_b64 s[36:37], s[16:17], exec
.LBB1493_1178:
	s_or_b64 exec, exec, s[44:45]
	v_cndmask_b32_e64 v16, v117, v114, s[36:37]
	v_cndmask_b32_e64 v17, v101, v100, s[36:37]
	v_add_u32_e32 v128, 1, v16
	v_add_u32_e32 v16, -1, v17
	v_min_u32_e32 v16, v128, v16
	v_mov_b32_e32 v17, 0
	v_lshl_add_u64 v[16:17], v[16:17], 3, v[66:67]
	flat_load_dwordx2 v[70:71], v[16:17]
	v_cndmask_b32_e64 v21, v27, v82, s[24:25]
	v_cndmask_b32_e64 v27, v24, v26, s[26:27]
	;; [unrolled: 1-line block ×15, first 2 shown]
	v_cmp_lt_u32_e64 s[12:13], v80, v101
	s_waitcnt vmcnt(0) lgkmcnt(0)
	v_cndmask_b32_e64 v15, v118, v71, s[36:37]
	v_cndmask_b32_e64 v14, v119, v70, s[36:37]
	s_and_saveexec_b64 s[22:23], s[12:13]
	s_cbranch_execz .LBB1493_1188
; %bb.1179:
	v_cndmask_b32_e64 v80, v114, v128, s[36:37]
	v_cndmask_b32_e64 v71, v71, v115, s[36:37]
	;; [unrolled: 1-line block ×3, first 2 shown]
	v_cmp_lt_u32_e64 s[12:13], v80, v100
	s_and_saveexec_b64 s[24:25], s[12:13]
	s_cbranch_execz .LBB1493_1187
; %bb.1180:
	s_and_saveexec_b64 s[26:27], s[8:9]
	s_cbranch_execz .LBB1493_1186
; %bb.1181:
	v_mul_lo_u32 v82, v15, v6
	v_mul_lo_u32 v83, v14, v7
	v_mad_u64_u32 v[80:81], s[12:13], v14, v6, 0
	v_add3_u32 v81, v81, v83, v82
	v_mul_lo_u32 v84, v71, v6
	v_mul_lo_u32 v85, v70, v7
	v_mad_u64_u32 v[82:83], s[12:13], v70, v6, 0
	v_add3_u32 v83, v83, v85, v84
	v_lshl_add_u64 v[80:81], v[80:81], 2, v[8:9]
	v_lshl_add_u64 v[82:83], v[82:83], 2, v[8:9]
	s_mov_b64 s[28:29], 0
	v_mov_b64_e32 v[84:85], v[6:7]
                                        ; implicit-def: $sgpr34_sgpr35
                                        ; implicit-def: $sgpr36_sgpr37
                                        ; implicit-def: $sgpr16_sgpr17
                                        ; implicit-def: $sgpr42_sgpr43
                                        ; implicit-def: $sgpr44_sgpr45
	s_branch .LBB1493_1183
.LBB1493_1182:                          ;   in Loop: Header=BB1493_1183 Depth=1
	s_or_b64 exec, exec, s[46:47]
	s_and_b64 s[12:13], exec, s[36:37]
	s_or_b64 s[28:29], s[12:13], s[28:29]
	s_andn2_b64 s[12:13], s[44:45], exec
	s_and_b64 s[18:19], s[42:43], exec
	s_or_b64 s[44:45], s[12:13], s[18:19]
	s_andn2_b64 s[12:13], s[34:35], exec
	s_and_b64 s[18:19], s[16:17], exec
	s_or_b64 s[34:35], s[12:13], s[18:19]
	s_andn2_b64 exec, exec, s[28:29]
	s_cbranch_execz .LBB1493_1185
.LBB1493_1183:                          ; =>This Inner Loop Header: Depth=1
	flat_load_dword v86, v[82:83]
	flat_load_dword v87, v[80:81]
	s_andn2_b64 s[46:47], s[16:17], exec
	s_andn2_b64 s[42:43], s[42:43], exec
	s_or_b64 s[36:37], s[36:37], exec
	s_waitcnt vmcnt(0) lgkmcnt(0)
	v_cmp_le_u32_e64 s[16:17], v86, v87
	v_cmp_lt_u32_e64 s[12:13], v86, v87
	s_and_b64 s[16:17], s[16:17], s[44:45]
	s_or_b64 s[48:49], s[12:13], s[16:17]
	s_and_b64 s[12:13], s[48:49], exec
	v_cmp_eq_u32_e64 s[18:19], v86, v87
	s_or_b64 s[16:17], s[46:47], s[12:13]
	s_and_saveexec_b64 s[46:47], s[18:19]
	s_cbranch_execz .LBB1493_1182
; %bb.1184:                             ;   in Loop: Header=BB1493_1183 Depth=1
	v_lshl_add_u64 v[84:85], v[84:85], 0, -1
	v_cmp_eq_u64_e64 s[12:13], 0, v[84:85]
	s_andn2_b64 s[18:19], s[42:43], exec
	s_and_b64 s[42:43], s[48:49], exec
	s_or_b64 s[42:43], s[18:19], s[42:43]
	s_andn2_b64 s[18:19], s[36:37], exec
	s_and_b64 s[12:13], s[12:13], exec
	v_lshl_add_u64 v[80:81], v[80:81], 0, 4
	v_lshl_add_u64 v[82:83], v[82:83], 0, 4
	s_andn2_b64 s[16:17], s[16:17], exec
	s_or_b64 s[36:37], s[18:19], s[12:13]
                                        ; implicit-def: $sgpr44_sgpr45
	s_branch .LBB1493_1182
.LBB1493_1185:
	s_or_b64 exec, exec, s[28:29]
	v_cndmask_b32_e64 v15, v15, v71, s[34:35]
	v_cndmask_b32_e64 v14, v14, v70, s[34:35]
.LBB1493_1186:
	s_or_b64 exec, exec, s[26:27]
	v_mov_b64_e32 v[70:71], v[14:15]
.LBB1493_1187:
	s_or_b64 exec, exec, s[24:25]
	v_mov_b64_e32 v[14:15], v[70:71]
.LBB1493_1188:
	s_or_b64 exec, exec, s[22:23]
.LBB1493_1189:
	s_or_b64 exec, exec, s[20:21]
	v_and_b32_e32 v102, 0x3c0, v31
	v_or_b32_e32 v70, 32, v102
	v_min_u32_e32 v100, v1, v70
	v_add_u32_e32 v70, 32, v100
	v_min_u32_e32 v101, v1, v70
	v_and_b32_e32 v70, 56, v31
	v_min_u32_e32 v103, v1, v70
	v_sub_u32_e32 v70, v100, v102
	v_sub_u32_e32 v71, v101, v100
	v_sub_u32_e64 v112, v103, v71 clamp
	v_min_u32_e32 v113, v103, v70
	v_cmp_lt_u32_e64 s[12:13], v112, v113
	; wave barrier
	flat_store_dwordx4 v[68:69], v[24:27]
	flat_store_dwordx4 v[68:69], v[20:23] offset:16
	flat_store_dwordx4 v[68:69], v[16:19] offset:32
	flat_store_dwordx4 v[68:69], v[12:15] offset:48
	; wave barrier
	s_and_saveexec_b64 s[20:21], s[12:13]
	s_cbranch_execz .LBB1493_1199
; %bb.1190:
	v_lshlrev_b32_e32 v70, 3, v102
	v_mov_b32_e32 v71, 0
	v_lshl_add_u64 v[80:81], v[66:67], 0, v[70:71]
	v_lshlrev_b32_e32 v70, 3, v100
	v_lshl_add_u64 v[82:83], v[66:67], 0, v[70:71]
	s_mov_b64 s[22:23], 0
	s_branch .LBB1493_1193
.LBB1493_1191:                          ;   in Loop: Header=BB1493_1193 Depth=1
	s_or_b64 exec, exec, s[26:27]
	s_and_b64 s[12:13], s[28:29], exec
.LBB1493_1192:                          ;   in Loop: Header=BB1493_1193 Depth=1
	s_or_b64 exec, exec, s[24:25]
	v_add_u32_e32 v70, 1, v84
	v_cndmask_b32_e64 v113, v113, v84, s[12:13]
	v_cndmask_b32_e64 v112, v70, v112, s[12:13]
	v_cmp_ge_u32_e64 s[12:13], v112, v113
	s_or_b64 s[22:23], s[12:13], s[22:23]
	s_andn2_b64 exec, exec, s[22:23]
	s_cbranch_execz .LBB1493_1198
.LBB1493_1193:                          ; =>This Loop Header: Depth=1
                                        ;     Child Loop BB1493_1196 Depth 2
	v_add_u32_e32 v70, v113, v112
	v_lshrrev_b32_e32 v84, 1, v70
	s_mov_b64 s[12:13], 0
	s_and_saveexec_b64 s[24:25], s[8:9]
	s_cbranch_execz .LBB1493_1192
; %bb.1194:                             ;   in Loop: Header=BB1493_1193 Depth=1
	v_mov_b32_e32 v85, v71
	v_xad_u32 v70, v84, -1, v103
	v_lshl_add_u64 v[86:87], v[84:85], 3, v[80:81]
	v_lshl_add_u64 v[96:97], v[70:71], 3, v[82:83]
	flat_load_dwordx2 v[86:87], v[86:87]
	s_mov_b64 s[26:27], 0
	flat_load_dwordx2 v[96:97], v[96:97]
                                        ; implicit-def: $sgpr28_sgpr29
                                        ; implicit-def: $sgpr34_sgpr35
                                        ; implicit-def: $sgpr36_sgpr37
                                        ; implicit-def: $sgpr16_sgpr17
                                        ; implicit-def: $sgpr42_sgpr43
	s_waitcnt vmcnt(0) lgkmcnt(0)
	v_mul_lo_u32 v70, v64, v87
	v_mul_lo_u32 v85, v65, v86
	v_mad_u64_u32 v[86:87], s[12:13], v64, v86, v[8:9]
	v_mul_lo_u32 v98, v64, v97
	v_mul_lo_u32 v99, v65, v96
	v_mad_u64_u32 v[96:97], s[12:13], v64, v96, v[8:9]
	v_add3_u32 v87, v85, v87, v70
	v_add3_u32 v97, v99, v97, v98
	v_mov_b64_e32 v[98:99], v[6:7]
	s_branch .LBB1493_1196
.LBB1493_1195:                          ;   in Loop: Header=BB1493_1196 Depth=2
	s_or_b64 exec, exec, s[44:45]
	s_and_b64 s[12:13], exec, s[34:35]
	s_or_b64 s[26:27], s[12:13], s[26:27]
	s_andn2_b64 s[12:13], s[42:43], exec
	s_and_b64 s[18:19], s[36:37], exec
	s_or_b64 s[42:43], s[12:13], s[18:19]
	s_andn2_b64 s[12:13], s[28:29], exec
	s_and_b64 s[18:19], s[16:17], exec
	s_or_b64 s[28:29], s[12:13], s[18:19]
	s_andn2_b64 exec, exec, s[26:27]
	s_cbranch_execz .LBB1493_1191
.LBB1493_1196:                          ;   Parent Loop BB1493_1193 Depth=1
                                        ; =>  This Inner Loop Header: Depth=2
	flat_load_dword v70, v[96:97]
	flat_load_dword v85, v[86:87]
	s_andn2_b64 s[44:45], s[16:17], exec
	s_andn2_b64 s[36:37], s[36:37], exec
	s_or_b64 s[34:35], s[34:35], exec
	s_waitcnt vmcnt(0) lgkmcnt(0)
	v_cmp_le_u32_e64 s[16:17], v70, v85
	v_cmp_lt_u32_e64 s[12:13], v70, v85
	s_and_b64 s[16:17], s[16:17], s[42:43]
	s_or_b64 s[46:47], s[12:13], s[16:17]
	s_and_b64 s[12:13], s[46:47], exec
	v_cmp_eq_u32_e64 s[18:19], v70, v85
	s_or_b64 s[16:17], s[44:45], s[12:13]
	s_and_saveexec_b64 s[44:45], s[18:19]
	s_cbranch_execz .LBB1493_1195
; %bb.1197:                             ;   in Loop: Header=BB1493_1196 Depth=2
	v_lshl_add_u64 v[98:99], v[98:99], 0, -1
	v_cmp_eq_u64_e64 s[12:13], 0, v[98:99]
	s_andn2_b64 s[18:19], s[36:37], exec
	s_and_b64 s[36:37], s[46:47], exec
	s_or_b64 s[36:37], s[18:19], s[36:37]
	s_andn2_b64 s[18:19], s[34:35], exec
	s_and_b64 s[12:13], s[12:13], exec
	v_lshl_add_u64 v[86:87], v[86:87], 0, 4
	v_lshl_add_u64 v[96:97], v[96:97], 0, 4
	s_andn2_b64 s[16:17], s[16:17], exec
	s_or_b64 s[34:35], s[18:19], s[12:13]
                                        ; implicit-def: $sgpr42_sgpr43
	s_branch .LBB1493_1195
.LBB1493_1198:
	s_or_b64 exec, exec, s[22:23]
.LBB1493_1199:
	s_or_b64 exec, exec, s[20:21]
	v_add_u32_e32 v71, v100, v103
	v_add_u32_e32 v70, v112, v102
	v_sub_u32_e32 v80, v71, v112
	v_cmp_le_u32_e64 s[12:13], v70, v100
	v_cmp_le_u32_e64 s[16:17], v80, v101
	s_or_b64 s[12:13], s[12:13], s[16:17]
	s_and_saveexec_b64 s[20:21], s[12:13]
	s_cbranch_execz .LBB1493_1283
; %bb.1200:
	v_cmp_ge_u32_e64 s[16:17], v70, v100
	v_cmp_lt_u32_e64 s[12:13], v70, v100
                                        ; implicit-def: $vgpr12_vgpr13
	s_and_saveexec_b64 s[18:19], s[12:13]
	s_cbranch_execz .LBB1493_1202
; %bb.1201:
	v_mov_b32_e32 v71, 0
	v_lshl_add_u64 v[12:13], v[70:71], 3, v[66:67]
	flat_load_dwordx2 v[12:13], v[12:13]
.LBB1493_1202:
	s_or_b64 exec, exec, s[18:19]
	v_cmp_ge_u32_e64 s[22:23], v80, v101
	v_cmp_lt_u32_e64 s[12:13], v80, v101
                                        ; implicit-def: $vgpr14_vgpr15
	s_and_saveexec_b64 s[18:19], s[12:13]
	s_cbranch_execz .LBB1493_1204
; %bb.1203:
	v_mov_b32_e32 v81, 0
	v_lshl_add_u64 v[14:15], v[80:81], 3, v[66:67]
	flat_load_dwordx2 v[14:15], v[14:15]
.LBB1493_1204:
	s_or_b64 exec, exec, s[18:19]
	s_or_b64 s[12:13], s[16:17], s[22:23]
	s_xor_b64 s[12:13], s[12:13], -1
	s_and_saveexec_b64 s[24:25], s[12:13]
	s_cbranch_execz .LBB1493_1212
; %bb.1205:
	s_mov_b64 s[12:13], 0
	s_and_saveexec_b64 s[26:27], s[8:9]
	s_cbranch_execz .LBB1493_1211
; %bb.1206:
	s_waitcnt vmcnt(0) lgkmcnt(0)
	v_mul_lo_u32 v18, v13, v6
	v_mul_lo_u32 v19, v12, v7
	v_mad_u64_u32 v[16:17], s[12:13], v12, v6, 0
	v_add3_u32 v17, v17, v19, v18
	v_mul_lo_u32 v20, v15, v6
	v_mul_lo_u32 v21, v14, v7
	v_mad_u64_u32 v[18:19], s[12:13], v14, v6, 0
	v_add3_u32 v19, v19, v21, v20
	v_lshl_add_u64 v[16:17], v[16:17], 2, v[8:9]
	v_lshl_add_u64 v[18:19], v[18:19], 2, v[8:9]
	s_mov_b64 s[28:29], 0
	v_mov_b64_e32 v[20:21], v[6:7]
                                        ; implicit-def: $sgpr34_sgpr35
                                        ; implicit-def: $sgpr36_sgpr37
                                        ; implicit-def: $sgpr42_sgpr43
                                        ; implicit-def: $sgpr16_sgpr17
                                        ; implicit-def: $sgpr44_sgpr45
	s_branch .LBB1493_1208
.LBB1493_1207:                          ;   in Loop: Header=BB1493_1208 Depth=1
	s_or_b64 exec, exec, s[46:47]
	s_and_b64 s[12:13], exec, s[36:37]
	s_or_b64 s[28:29], s[12:13], s[28:29]
	s_andn2_b64 s[12:13], s[44:45], exec
	s_and_b64 s[18:19], s[42:43], exec
	s_or_b64 s[44:45], s[12:13], s[18:19]
	s_andn2_b64 s[12:13], s[34:35], exec
	s_and_b64 s[18:19], s[16:17], exec
	s_or_b64 s[34:35], s[12:13], s[18:19]
	s_andn2_b64 exec, exec, s[28:29]
	s_cbranch_execz .LBB1493_1210
.LBB1493_1208:                          ; =>This Inner Loop Header: Depth=1
	flat_load_dword v22, v[18:19]
	flat_load_dword v23, v[16:17]
	s_andn2_b64 s[46:47], s[16:17], exec
	s_andn2_b64 s[42:43], s[42:43], exec
	s_or_b64 s[36:37], s[36:37], exec
	s_waitcnt vmcnt(0) lgkmcnt(0)
	v_cmp_le_u32_e64 s[16:17], v22, v23
	v_cmp_lt_u32_e64 s[12:13], v22, v23
	s_and_b64 s[16:17], s[16:17], s[44:45]
	s_or_b64 s[48:49], s[12:13], s[16:17]
	s_and_b64 s[12:13], s[48:49], exec
	v_cmp_eq_u32_e64 s[18:19], v22, v23
	s_or_b64 s[16:17], s[46:47], s[12:13]
	s_and_saveexec_b64 s[46:47], s[18:19]
	s_cbranch_execz .LBB1493_1207
; %bb.1209:                             ;   in Loop: Header=BB1493_1208 Depth=1
	v_lshl_add_u64 v[20:21], v[20:21], 0, -1
	v_cmp_eq_u64_e64 s[12:13], 0, v[20:21]
	s_andn2_b64 s[18:19], s[42:43], exec
	s_and_b64 s[42:43], s[48:49], exec
	s_or_b64 s[42:43], s[18:19], s[42:43]
	s_andn2_b64 s[18:19], s[36:37], exec
	s_and_b64 s[12:13], s[12:13], exec
	v_lshl_add_u64 v[16:17], v[16:17], 0, 4
	v_lshl_add_u64 v[18:19], v[18:19], 0, 4
	s_andn2_b64 s[16:17], s[16:17], exec
	s_or_b64 s[36:37], s[18:19], s[12:13]
                                        ; implicit-def: $sgpr44_sgpr45
	s_branch .LBB1493_1207
.LBB1493_1210:
	s_or_b64 exec, exec, s[28:29]
	s_and_b64 s[12:13], s[34:35], exec
.LBB1493_1211:
	s_or_b64 exec, exec, s[26:27]
	s_xor_b64 s[12:13], s[12:13], -1
	s_andn2_b64 s[16:17], s[22:23], exec
	s_and_b64 s[12:13], s[12:13], exec
	s_or_b64 s[22:23], s[16:17], s[12:13]
.LBB1493_1212:
	s_or_b64 exec, exec, s[24:25]
	v_cndmask_b32_e64 v16, v80, v70, s[22:23]
	v_cndmask_b32_e64 v17, v101, v100, s[22:23]
	v_add_u32_e32 v20, 1, v16
	v_add_u32_e32 v16, -1, v17
	v_min_u32_e32 v16, v20, v16
	v_mov_b32_e32 v17, 0
	v_lshl_add_u64 v[18:19], v[16:17], 3, v[66:67]
	flat_load_dwordx2 v[18:19], v[18:19]
	v_cndmask_b32_e64 v27, v20, v80, s[22:23]
	s_mov_b64 s[24:25], -1
	v_cndmask_b32_e64 v70, v70, v20, s[22:23]
	v_cmp_lt_u32_e64 s[12:13], v27, v101
	s_mov_b64 s[26:27], -1
	s_waitcnt vmcnt(0) lgkmcnt(0)
	v_cndmask_b32_e64 v24, v19, v15, s[22:23]
	v_cndmask_b32_e64 v25, v18, v14, s[22:23]
	;; [unrolled: 1-line block ×4, first 2 shown]
	s_and_saveexec_b64 s[28:29], s[12:13]
	s_cbranch_execz .LBB1493_1222
; %bb.1213:
	v_cmp_lt_u32_e64 s[12:13], v70, v100
	s_mov_b64 s[16:17], 0
	s_and_saveexec_b64 s[26:27], s[12:13]
	s_cbranch_execz .LBB1493_1221
; %bb.1214:
	s_mov_b64 s[12:13], 0
	s_and_saveexec_b64 s[34:35], s[8:9]
	s_cbranch_execz .LBB1493_1220
; %bb.1215:
	v_mul_lo_u32 v16, v26, v6
	v_mul_lo_u32 v20, v80, v7
	v_mad_u64_u32 v[18:19], s[12:13], v80, v6, 0
	v_add3_u32 v19, v19, v20, v16
	v_mul_lo_u32 v16, v24, v6
	v_mul_lo_u32 v22, v25, v7
	v_mad_u64_u32 v[20:21], s[12:13], v25, v6, 0
	v_add3_u32 v21, v21, v22, v16
	v_lshl_add_u64 v[18:19], v[18:19], 2, v[8:9]
	v_lshl_add_u64 v[20:21], v[20:21], 2, v[8:9]
	s_mov_b64 s[36:37], 0
	v_mov_b64_e32 v[22:23], v[6:7]
                                        ; implicit-def: $sgpr42_sgpr43
                                        ; implicit-def: $sgpr44_sgpr45
                                        ; implicit-def: $sgpr46_sgpr47
                                        ; implicit-def: $sgpr16_sgpr17
                                        ; implicit-def: $sgpr48_sgpr49
	s_branch .LBB1493_1217
.LBB1493_1216:                          ;   in Loop: Header=BB1493_1217 Depth=1
	s_or_b64 exec, exec, s[50:51]
	s_and_b64 s[12:13], exec, s[44:45]
	s_or_b64 s[36:37], s[12:13], s[36:37]
	s_andn2_b64 s[12:13], s[48:49], exec
	s_and_b64 s[18:19], s[46:47], exec
	s_or_b64 s[48:49], s[12:13], s[18:19]
	s_andn2_b64 s[12:13], s[42:43], exec
	s_and_b64 s[18:19], s[16:17], exec
	s_or_b64 s[42:43], s[12:13], s[18:19]
	s_andn2_b64 exec, exec, s[36:37]
	s_cbranch_execz .LBB1493_1219
.LBB1493_1217:                          ; =>This Inner Loop Header: Depth=1
	flat_load_dword v16, v[20:21]
	flat_load_dword v71, v[18:19]
	s_andn2_b64 s[50:51], s[16:17], exec
	s_andn2_b64 s[46:47], s[46:47], exec
	s_or_b64 s[44:45], s[44:45], exec
	s_waitcnt vmcnt(0) lgkmcnt(0)
	v_cmp_le_u32_e64 s[16:17], v16, v71
	v_cmp_lt_u32_e64 s[12:13], v16, v71
	s_and_b64 s[16:17], s[16:17], s[48:49]
	s_or_b64 s[52:53], s[12:13], s[16:17]
	s_and_b64 s[12:13], s[52:53], exec
	v_cmp_eq_u32_e64 s[18:19], v16, v71
	s_or_b64 s[16:17], s[50:51], s[12:13]
	s_and_saveexec_b64 s[50:51], s[18:19]
	s_cbranch_execz .LBB1493_1216
; %bb.1218:                             ;   in Loop: Header=BB1493_1217 Depth=1
	v_lshl_add_u64 v[22:23], v[22:23], 0, -1
	v_cmp_eq_u64_e64 s[12:13], 0, v[22:23]
	s_andn2_b64 s[18:19], s[46:47], exec
	s_and_b64 s[46:47], s[52:53], exec
	s_or_b64 s[46:47], s[18:19], s[46:47]
	s_andn2_b64 s[18:19], s[44:45], exec
	s_and_b64 s[12:13], s[12:13], exec
	v_lshl_add_u64 v[18:19], v[18:19], 0, 4
	v_lshl_add_u64 v[20:21], v[20:21], 0, 4
	s_andn2_b64 s[16:17], s[16:17], exec
	s_or_b64 s[44:45], s[18:19], s[12:13]
                                        ; implicit-def: $sgpr48_sgpr49
	s_branch .LBB1493_1216
.LBB1493_1219:
	s_or_b64 exec, exec, s[36:37]
	s_and_b64 s[12:13], s[42:43], exec
.LBB1493_1220:
	s_or_b64 exec, exec, s[34:35]
	s_xor_b64 s[12:13], s[12:13], -1
	s_and_b64 s[16:17], s[12:13], exec
.LBB1493_1221:
	s_or_b64 exec, exec, s[26:27]
	s_orn2_b64 s[26:27], s[16:17], exec
.LBB1493_1222:
	s_or_b64 exec, exec, s[28:29]
	v_cndmask_b32_e64 v16, v27, v70, s[26:27]
	v_cndmask_b32_e64 v18, v101, v100, s[26:27]
	v_add_u32_e32 v19, 1, v16
	v_add_u32_e32 v16, -1, v18
	v_min_u32_e32 v16, v19, v16
	v_lshl_add_u64 v[16:17], v[16:17], 3, v[66:67]
	flat_load_dwordx2 v[16:17], v[16:17]
	v_cndmask_b32_e64 v22, v19, v27, s[26:27]
	v_cndmask_b32_e64 v23, v70, v19, s[26:27]
	v_cmp_lt_u32_e64 s[12:13], v22, v101
	s_waitcnt vmcnt(0) lgkmcnt(0)
	v_cndmask_b32_e64 v27, v17, v24, s[26:27]
	v_cndmask_b32_e64 v81, v16, v25, s[26:27]
	;; [unrolled: 1-line block ×4, first 2 shown]
	s_and_saveexec_b64 s[28:29], s[12:13]
	s_cbranch_execz .LBB1493_1232
; %bb.1223:
	v_cmp_lt_u32_e64 s[12:13], v23, v100
	s_mov_b64 s[16:17], 0
	s_and_saveexec_b64 s[24:25], s[12:13]
	s_cbranch_execz .LBB1493_1231
; %bb.1224:
	s_mov_b64 s[12:13], 0
	s_and_saveexec_b64 s[34:35], s[8:9]
	s_cbranch_execz .LBB1493_1230
; %bb.1225:
	v_mul_lo_u32 v18, v82, v6
	v_mul_lo_u32 v19, v83, v7
	v_mad_u64_u32 v[16:17], s[12:13], v83, v6, 0
	v_add3_u32 v17, v17, v19, v18
	v_mul_lo_u32 v20, v27, v6
	v_mul_lo_u32 v21, v81, v7
	v_mad_u64_u32 v[18:19], s[12:13], v81, v6, 0
	v_add3_u32 v19, v19, v21, v20
	v_lshl_add_u64 v[16:17], v[16:17], 2, v[8:9]
	v_lshl_add_u64 v[18:19], v[18:19], 2, v[8:9]
	s_mov_b64 s[36:37], 0
	v_mov_b64_e32 v[20:21], v[6:7]
                                        ; implicit-def: $sgpr42_sgpr43
                                        ; implicit-def: $sgpr44_sgpr45
                                        ; implicit-def: $sgpr46_sgpr47
                                        ; implicit-def: $sgpr16_sgpr17
                                        ; implicit-def: $sgpr48_sgpr49
	s_branch .LBB1493_1227
.LBB1493_1226:                          ;   in Loop: Header=BB1493_1227 Depth=1
	s_or_b64 exec, exec, s[50:51]
	s_and_b64 s[12:13], exec, s[44:45]
	s_or_b64 s[36:37], s[12:13], s[36:37]
	s_andn2_b64 s[12:13], s[48:49], exec
	s_and_b64 s[18:19], s[46:47], exec
	s_or_b64 s[48:49], s[12:13], s[18:19]
	s_andn2_b64 s[12:13], s[42:43], exec
	s_and_b64 s[18:19], s[16:17], exec
	s_or_b64 s[42:43], s[12:13], s[18:19]
	s_andn2_b64 exec, exec, s[36:37]
	s_cbranch_execz .LBB1493_1229
.LBB1493_1227:                          ; =>This Inner Loop Header: Depth=1
	flat_load_dword v70, v[18:19]
	flat_load_dword v71, v[16:17]
	s_andn2_b64 s[50:51], s[16:17], exec
	s_andn2_b64 s[46:47], s[46:47], exec
	s_or_b64 s[44:45], s[44:45], exec
	s_waitcnt vmcnt(0) lgkmcnt(0)
	v_cmp_le_u32_e64 s[16:17], v70, v71
	v_cmp_lt_u32_e64 s[12:13], v70, v71
	s_and_b64 s[16:17], s[16:17], s[48:49]
	s_or_b64 s[52:53], s[12:13], s[16:17]
	s_and_b64 s[12:13], s[52:53], exec
	v_cmp_eq_u32_e64 s[18:19], v70, v71
	s_or_b64 s[16:17], s[50:51], s[12:13]
	s_and_saveexec_b64 s[50:51], s[18:19]
	s_cbranch_execz .LBB1493_1226
; %bb.1228:                             ;   in Loop: Header=BB1493_1227 Depth=1
	v_lshl_add_u64 v[20:21], v[20:21], 0, -1
	v_cmp_eq_u64_e64 s[12:13], 0, v[20:21]
	s_andn2_b64 s[18:19], s[46:47], exec
	s_and_b64 s[46:47], s[52:53], exec
	s_or_b64 s[46:47], s[18:19], s[46:47]
	s_andn2_b64 s[18:19], s[44:45], exec
	s_and_b64 s[12:13], s[12:13], exec
	v_lshl_add_u64 v[16:17], v[16:17], 0, 4
	v_lshl_add_u64 v[18:19], v[18:19], 0, 4
	s_andn2_b64 s[16:17], s[16:17], exec
	s_or_b64 s[44:45], s[18:19], s[12:13]
                                        ; implicit-def: $sgpr48_sgpr49
	s_branch .LBB1493_1226
.LBB1493_1229:
	s_or_b64 exec, exec, s[36:37]
	s_and_b64 s[12:13], s[42:43], exec
.LBB1493_1230:
	s_or_b64 exec, exec, s[34:35]
	s_xor_b64 s[12:13], s[12:13], -1
	s_and_b64 s[16:17], s[12:13], exec
.LBB1493_1231:
	s_or_b64 exec, exec, s[24:25]
	s_orn2_b64 s[24:25], s[16:17], exec
.LBB1493_1232:
	s_or_b64 exec, exec, s[28:29]
	v_cndmask_b32_e64 v16, v22, v23, s[24:25]
	v_cndmask_b32_e64 v17, v101, v100, s[24:25]
	v_add_u32_e32 v20, 1, v16
	v_add_u32_e32 v16, -1, v17
	v_min_u32_e32 v16, v20, v16
	v_mov_b32_e32 v17, 0
	v_lshl_add_u64 v[18:19], v[16:17], 3, v[66:67]
	flat_load_dwordx2 v[18:19], v[18:19]
	v_cndmask_b32_e64 v70, v20, v22, s[24:25]
	s_mov_b64 s[28:29], -1
	v_cndmask_b32_e64 v71, v23, v20, s[24:25]
	v_cmp_lt_u32_e64 s[12:13], v70, v101
	s_mov_b64 s[34:35], -1
	s_waitcnt vmcnt(0) lgkmcnt(0)
	v_cndmask_b32_e64 v84, v19, v27, s[24:25]
	v_cndmask_b32_e64 v85, v18, v81, s[24:25]
	;; [unrolled: 1-line block ×4, first 2 shown]
	s_and_saveexec_b64 s[36:37], s[12:13]
	s_cbranch_execz .LBB1493_1242
; %bb.1233:
	v_cmp_lt_u32_e64 s[12:13], v71, v100
	s_mov_b64 s[16:17], 0
	s_and_saveexec_b64 s[34:35], s[12:13]
	s_cbranch_execz .LBB1493_1241
; %bb.1234:
	s_mov_b64 s[12:13], -1
	s_and_saveexec_b64 s[42:43], s[8:9]
	s_cbranch_execz .LBB1493_1240
; %bb.1235:
	v_mul_lo_u32 v16, v86, v6
	v_mul_lo_u32 v20, v87, v7
	v_mad_u64_u32 v[18:19], s[12:13], v87, v6, 0
	v_add3_u32 v19, v19, v20, v16
	v_mul_lo_u32 v16, v84, v6
	v_mul_lo_u32 v22, v85, v7
	v_mad_u64_u32 v[20:21], s[12:13], v85, v6, 0
	v_add3_u32 v21, v21, v22, v16
	v_lshl_add_u64 v[18:19], v[18:19], 2, v[8:9]
	v_lshl_add_u64 v[20:21], v[20:21], 2, v[8:9]
	s_mov_b64 s[44:45], 0
	v_mov_b64_e32 v[22:23], v[6:7]
                                        ; implicit-def: $sgpr46_sgpr47
                                        ; implicit-def: $sgpr48_sgpr49
                                        ; implicit-def: $sgpr16_sgpr17
                                        ; implicit-def: $sgpr50_sgpr51
                                        ; implicit-def: $sgpr52_sgpr53
	s_branch .LBB1493_1237
.LBB1493_1236:                          ;   in Loop: Header=BB1493_1237 Depth=1
	s_or_b64 exec, exec, s[54:55]
	s_and_b64 s[12:13], exec, s[48:49]
	s_or_b64 s[44:45], s[12:13], s[44:45]
	s_andn2_b64 s[12:13], s[52:53], exec
	s_and_b64 s[18:19], s[50:51], exec
	s_or_b64 s[52:53], s[12:13], s[18:19]
	s_andn2_b64 s[12:13], s[46:47], exec
	s_and_b64 s[18:19], s[16:17], exec
	s_or_b64 s[46:47], s[12:13], s[18:19]
	s_andn2_b64 exec, exec, s[44:45]
	s_cbranch_execz .LBB1493_1239
.LBB1493_1237:                          ; =>This Inner Loop Header: Depth=1
	flat_load_dword v16, v[20:21]
	flat_load_dword v96, v[18:19]
	s_andn2_b64 s[54:55], s[16:17], exec
	s_andn2_b64 s[50:51], s[50:51], exec
	s_or_b64 s[48:49], s[48:49], exec
	s_waitcnt vmcnt(0) lgkmcnt(0)
	v_cmp_le_u32_e64 s[16:17], v16, v96
	v_cmp_lt_u32_e64 s[12:13], v16, v96
	s_and_b64 s[16:17], s[16:17], s[52:53]
	s_or_b64 s[56:57], s[12:13], s[16:17]
	s_and_b64 s[12:13], s[56:57], exec
	v_cmp_eq_u32_e64 s[18:19], v16, v96
	s_or_b64 s[16:17], s[54:55], s[12:13]
	s_and_saveexec_b64 s[54:55], s[18:19]
	s_cbranch_execz .LBB1493_1236
; %bb.1238:                             ;   in Loop: Header=BB1493_1237 Depth=1
	v_lshl_add_u64 v[22:23], v[22:23], 0, -1
	v_cmp_eq_u64_e64 s[12:13], 0, v[22:23]
	s_andn2_b64 s[18:19], s[50:51], exec
	s_and_b64 s[50:51], s[56:57], exec
	s_or_b64 s[50:51], s[18:19], s[50:51]
	s_andn2_b64 s[18:19], s[48:49], exec
	s_and_b64 s[12:13], s[12:13], exec
	v_lshl_add_u64 v[18:19], v[18:19], 0, 4
	v_lshl_add_u64 v[20:21], v[20:21], 0, 4
	s_andn2_b64 s[16:17], s[16:17], exec
	s_or_b64 s[48:49], s[18:19], s[12:13]
                                        ; implicit-def: $sgpr52_sgpr53
	s_branch .LBB1493_1236
.LBB1493_1239:
	s_or_b64 exec, exec, s[44:45]
	s_xor_b64 s[12:13], s[46:47], -1
	s_orn2_b64 s[12:13], s[12:13], exec
.LBB1493_1240:
	s_or_b64 exec, exec, s[42:43]
	s_and_b64 s[16:17], s[12:13], exec
.LBB1493_1241:
	s_or_b64 exec, exec, s[34:35]
	s_orn2_b64 s[34:35], s[16:17], exec
.LBB1493_1242:
	s_or_b64 exec, exec, s[36:37]
	v_cndmask_b32_e64 v16, v70, v71, s[34:35]
	v_cndmask_b32_e64 v18, v101, v100, s[34:35]
	v_add_u32_e32 v19, 1, v16
	v_add_u32_e32 v16, -1, v18
	v_min_u32_e32 v16, v19, v16
	v_lshl_add_u64 v[16:17], v[16:17], 3, v[66:67]
	flat_load_dwordx2 v[16:17], v[16:17]
	v_cndmask_b32_e64 v22, v19, v70, s[34:35]
	v_cndmask_b32_e64 v23, v71, v19, s[34:35]
	v_cmp_lt_u32_e64 s[12:13], v22, v101
	s_waitcnt vmcnt(0) lgkmcnt(0)
	v_cndmask_b32_e64 v96, v17, v84, s[34:35]
	v_cndmask_b32_e64 v97, v16, v85, s[34:35]
	;; [unrolled: 1-line block ×4, first 2 shown]
	s_and_saveexec_b64 s[36:37], s[12:13]
	s_cbranch_execz .LBB1493_1252
; %bb.1243:
	v_cmp_lt_u32_e64 s[12:13], v23, v100
	s_mov_b64 s[16:17], 0
	s_and_saveexec_b64 s[28:29], s[12:13]
	s_cbranch_execz .LBB1493_1251
; %bb.1244:
	s_mov_b64 s[12:13], -1
	s_and_saveexec_b64 s[42:43], s[8:9]
	s_cbranch_execz .LBB1493_1250
; %bb.1245:
	v_mul_lo_u32 v18, v98, v6
	v_mul_lo_u32 v19, v99, v7
	v_mad_u64_u32 v[16:17], s[12:13], v99, v6, 0
	v_add3_u32 v17, v17, v19, v18
	v_mul_lo_u32 v20, v96, v6
	v_mul_lo_u32 v21, v97, v7
	v_mad_u64_u32 v[18:19], s[12:13], v97, v6, 0
	v_add3_u32 v19, v19, v21, v20
	v_lshl_add_u64 v[16:17], v[16:17], 2, v[8:9]
	v_lshl_add_u64 v[18:19], v[18:19], 2, v[8:9]
	s_mov_b64 s[44:45], 0
	v_mov_b64_e32 v[20:21], v[6:7]
                                        ; implicit-def: $sgpr46_sgpr47
                                        ; implicit-def: $sgpr48_sgpr49
                                        ; implicit-def: $sgpr16_sgpr17
                                        ; implicit-def: $sgpr50_sgpr51
                                        ; implicit-def: $sgpr52_sgpr53
	s_branch .LBB1493_1247
.LBB1493_1246:                          ;   in Loop: Header=BB1493_1247 Depth=1
	s_or_b64 exec, exec, s[54:55]
	s_and_b64 s[12:13], exec, s[48:49]
	s_or_b64 s[44:45], s[12:13], s[44:45]
	s_andn2_b64 s[12:13], s[52:53], exec
	s_and_b64 s[18:19], s[50:51], exec
	s_or_b64 s[52:53], s[12:13], s[18:19]
	s_andn2_b64 s[12:13], s[46:47], exec
	s_and_b64 s[18:19], s[16:17], exec
	s_or_b64 s[46:47], s[12:13], s[18:19]
	s_andn2_b64 exec, exec, s[44:45]
	s_cbranch_execz .LBB1493_1249
.LBB1493_1247:                          ; =>This Inner Loop Header: Depth=1
	flat_load_dword v70, v[18:19]
	flat_load_dword v71, v[16:17]
	s_andn2_b64 s[54:55], s[16:17], exec
	s_andn2_b64 s[50:51], s[50:51], exec
	s_or_b64 s[48:49], s[48:49], exec
	s_waitcnt vmcnt(0) lgkmcnt(0)
	v_cmp_le_u32_e64 s[16:17], v70, v71
	v_cmp_lt_u32_e64 s[12:13], v70, v71
	s_and_b64 s[16:17], s[16:17], s[52:53]
	s_or_b64 s[56:57], s[12:13], s[16:17]
	s_and_b64 s[12:13], s[56:57], exec
	v_cmp_eq_u32_e64 s[18:19], v70, v71
	s_or_b64 s[16:17], s[54:55], s[12:13]
	s_and_saveexec_b64 s[54:55], s[18:19]
	s_cbranch_execz .LBB1493_1246
; %bb.1248:                             ;   in Loop: Header=BB1493_1247 Depth=1
	v_lshl_add_u64 v[20:21], v[20:21], 0, -1
	v_cmp_eq_u64_e64 s[12:13], 0, v[20:21]
	s_andn2_b64 s[18:19], s[50:51], exec
	s_and_b64 s[50:51], s[56:57], exec
	s_or_b64 s[50:51], s[18:19], s[50:51]
	s_andn2_b64 s[18:19], s[48:49], exec
	s_and_b64 s[12:13], s[12:13], exec
	v_lshl_add_u64 v[16:17], v[16:17], 0, 4
	v_lshl_add_u64 v[18:19], v[18:19], 0, 4
	s_andn2_b64 s[16:17], s[16:17], exec
	s_or_b64 s[48:49], s[18:19], s[12:13]
                                        ; implicit-def: $sgpr52_sgpr53
	s_branch .LBB1493_1246
.LBB1493_1249:
	s_or_b64 exec, exec, s[44:45]
	s_xor_b64 s[12:13], s[46:47], -1
	s_orn2_b64 s[12:13], s[12:13], exec
.LBB1493_1250:
	s_or_b64 exec, exec, s[42:43]
	s_and_b64 s[16:17], s[12:13], exec
.LBB1493_1251:
	s_or_b64 exec, exec, s[28:29]
	s_orn2_b64 s[28:29], s[16:17], exec
.LBB1493_1252:
	s_or_b64 exec, exec, s[36:37]
	v_cndmask_b32_e64 v16, v22, v23, s[28:29]
	v_cndmask_b32_e64 v17, v101, v100, s[28:29]
	v_add_u32_e32 v20, 1, v16
	v_add_u32_e32 v16, -1, v17
	v_min_u32_e32 v16, v20, v16
	v_mov_b32_e32 v17, 0
	v_lshl_add_u64 v[18:19], v[16:17], 3, v[66:67]
	flat_load_dwordx2 v[18:19], v[18:19]
	v_cndmask_b32_e64 v70, v20, v22, s[28:29]
	s_mov_b64 s[36:37], -1
	v_cndmask_b32_e64 v71, v23, v20, s[28:29]
	v_cmp_lt_u32_e64 s[12:13], v70, v101
	s_mov_b64 s[42:43], -1
	s_waitcnt vmcnt(0) lgkmcnt(0)
	v_cndmask_b32_e64 v102, v19, v96, s[28:29]
	v_cndmask_b32_e64 v103, v18, v97, s[28:29]
	;; [unrolled: 1-line block ×4, first 2 shown]
	s_and_saveexec_b64 s[44:45], s[12:13]
	s_cbranch_execz .LBB1493_1262
; %bb.1253:
	v_cmp_lt_u32_e64 s[12:13], v71, v100
	s_mov_b64 s[16:17], 0
	s_and_saveexec_b64 s[42:43], s[12:13]
	s_cbranch_execz .LBB1493_1261
; %bb.1254:
	s_mov_b64 s[12:13], -1
	s_and_saveexec_b64 s[46:47], s[8:9]
	s_cbranch_execz .LBB1493_1260
; %bb.1255:
	v_mul_lo_u32 v16, v112, v6
	v_mul_lo_u32 v20, v113, v7
	v_mad_u64_u32 v[18:19], s[12:13], v113, v6, 0
	v_add3_u32 v19, v19, v20, v16
	v_mul_lo_u32 v16, v102, v6
	v_mul_lo_u32 v22, v103, v7
	v_mad_u64_u32 v[20:21], s[12:13], v103, v6, 0
	v_add3_u32 v21, v21, v22, v16
	v_lshl_add_u64 v[18:19], v[18:19], 2, v[8:9]
	v_lshl_add_u64 v[20:21], v[20:21], 2, v[8:9]
	s_mov_b64 s[48:49], 0
	v_mov_b64_e32 v[22:23], v[6:7]
                                        ; implicit-def: $sgpr50_sgpr51
                                        ; implicit-def: $sgpr52_sgpr53
                                        ; implicit-def: $sgpr16_sgpr17
                                        ; implicit-def: $sgpr54_sgpr55
                                        ; implicit-def: $sgpr56_sgpr57
	s_branch .LBB1493_1257
.LBB1493_1256:                          ;   in Loop: Header=BB1493_1257 Depth=1
	s_or_b64 exec, exec, s[58:59]
	s_and_b64 s[12:13], exec, s[52:53]
	s_or_b64 s[48:49], s[12:13], s[48:49]
	s_andn2_b64 s[12:13], s[56:57], exec
	s_and_b64 s[18:19], s[54:55], exec
	s_or_b64 s[56:57], s[12:13], s[18:19]
	s_andn2_b64 s[12:13], s[50:51], exec
	s_and_b64 s[18:19], s[16:17], exec
	s_or_b64 s[50:51], s[12:13], s[18:19]
	s_andn2_b64 exec, exec, s[48:49]
	s_cbranch_execz .LBB1493_1259
.LBB1493_1257:                          ; =>This Inner Loop Header: Depth=1
	flat_load_dword v16, v[20:21]
	flat_load_dword v114, v[18:19]
	s_andn2_b64 s[58:59], s[16:17], exec
	s_andn2_b64 s[54:55], s[54:55], exec
	s_or_b64 s[52:53], s[52:53], exec
	s_waitcnt vmcnt(0) lgkmcnt(0)
	v_cmp_le_u32_e64 s[16:17], v16, v114
	v_cmp_lt_u32_e64 s[12:13], v16, v114
	s_and_b64 s[16:17], s[16:17], s[56:57]
	s_or_b64 s[60:61], s[12:13], s[16:17]
	s_and_b64 s[12:13], s[60:61], exec
	v_cmp_eq_u32_e64 s[18:19], v16, v114
	s_or_b64 s[16:17], s[58:59], s[12:13]
	s_and_saveexec_b64 s[58:59], s[18:19]
	s_cbranch_execz .LBB1493_1256
; %bb.1258:                             ;   in Loop: Header=BB1493_1257 Depth=1
	v_lshl_add_u64 v[22:23], v[22:23], 0, -1
	v_cmp_eq_u64_e64 s[12:13], 0, v[22:23]
	s_andn2_b64 s[18:19], s[54:55], exec
	s_and_b64 s[54:55], s[60:61], exec
	s_or_b64 s[54:55], s[18:19], s[54:55]
	s_andn2_b64 s[18:19], s[52:53], exec
	s_and_b64 s[12:13], s[12:13], exec
	v_lshl_add_u64 v[18:19], v[18:19], 0, 4
	v_lshl_add_u64 v[20:21], v[20:21], 0, 4
	s_andn2_b64 s[16:17], s[16:17], exec
	s_or_b64 s[52:53], s[18:19], s[12:13]
                                        ; implicit-def: $sgpr56_sgpr57
	s_branch .LBB1493_1256
.LBB1493_1259:
	s_or_b64 exec, exec, s[48:49]
	s_xor_b64 s[12:13], s[50:51], -1
	s_orn2_b64 s[12:13], s[12:13], exec
.LBB1493_1260:
	s_or_b64 exec, exec, s[46:47]
	s_and_b64 s[16:17], s[12:13], exec
.LBB1493_1261:
	s_or_b64 exec, exec, s[42:43]
	s_orn2_b64 s[42:43], s[16:17], exec
.LBB1493_1262:
	s_or_b64 exec, exec, s[44:45]
	v_cndmask_b32_e64 v16, v70, v71, s[42:43]
	v_cndmask_b32_e64 v18, v101, v100, s[42:43]
	v_add_u32_e32 v19, 1, v16
	v_add_u32_e32 v16, -1, v18
	v_min_u32_e32 v16, v19, v16
	v_lshl_add_u64 v[16:17], v[16:17], 3, v[66:67]
	flat_load_dwordx2 v[16:17], v[16:17]
	v_cndmask_b32_e64 v117, v19, v70, s[42:43]
	v_cndmask_b32_e64 v114, v71, v19, s[42:43]
	v_cmp_lt_u32_e64 s[12:13], v117, v101
	s_waitcnt vmcnt(0) lgkmcnt(0)
	v_cndmask_b32_e64 v115, v17, v102, s[42:43]
	v_cndmask_b32_e64 v116, v16, v103, s[42:43]
	;; [unrolled: 1-line block ×4, first 2 shown]
	s_and_saveexec_b64 s[44:45], s[12:13]
	s_cbranch_execz .LBB1493_1272
; %bb.1263:
	v_cmp_lt_u32_e64 s[12:13], v114, v100
	s_mov_b64 s[16:17], 0
	s_and_saveexec_b64 s[36:37], s[12:13]
	s_cbranch_execz .LBB1493_1271
; %bb.1264:
	s_mov_b64 s[12:13], -1
	s_and_saveexec_b64 s[46:47], s[8:9]
	s_cbranch_execz .LBB1493_1270
; %bb.1265:
	v_mul_lo_u32 v18, v118, v6
	v_mul_lo_u32 v19, v119, v7
	v_mad_u64_u32 v[16:17], s[12:13], v119, v6, 0
	v_add3_u32 v17, v17, v19, v18
	v_mul_lo_u32 v20, v115, v6
	v_mul_lo_u32 v21, v116, v7
	v_mad_u64_u32 v[18:19], s[12:13], v116, v6, 0
	v_add3_u32 v19, v19, v21, v20
	v_lshl_add_u64 v[16:17], v[16:17], 2, v[8:9]
	v_lshl_add_u64 v[18:19], v[18:19], 2, v[8:9]
	s_mov_b64 s[48:49], 0
	v_mov_b64_e32 v[20:21], v[6:7]
                                        ; implicit-def: $sgpr50_sgpr51
                                        ; implicit-def: $sgpr52_sgpr53
                                        ; implicit-def: $sgpr16_sgpr17
                                        ; implicit-def: $sgpr54_sgpr55
                                        ; implicit-def: $sgpr56_sgpr57
	s_branch .LBB1493_1267
.LBB1493_1266:                          ;   in Loop: Header=BB1493_1267 Depth=1
	s_or_b64 exec, exec, s[58:59]
	s_and_b64 s[12:13], exec, s[52:53]
	s_or_b64 s[48:49], s[12:13], s[48:49]
	s_andn2_b64 s[12:13], s[56:57], exec
	s_and_b64 s[18:19], s[54:55], exec
	s_or_b64 s[56:57], s[12:13], s[18:19]
	s_andn2_b64 s[12:13], s[50:51], exec
	s_and_b64 s[18:19], s[16:17], exec
	s_or_b64 s[50:51], s[12:13], s[18:19]
	s_andn2_b64 exec, exec, s[48:49]
	s_cbranch_execz .LBB1493_1269
.LBB1493_1267:                          ; =>This Inner Loop Header: Depth=1
	flat_load_dword v22, v[18:19]
	flat_load_dword v23, v[16:17]
	s_andn2_b64 s[58:59], s[16:17], exec
	s_andn2_b64 s[54:55], s[54:55], exec
	s_or_b64 s[52:53], s[52:53], exec
	s_waitcnt vmcnt(0) lgkmcnt(0)
	v_cmp_le_u32_e64 s[16:17], v22, v23
	v_cmp_lt_u32_e64 s[12:13], v22, v23
	s_and_b64 s[16:17], s[16:17], s[56:57]
	s_or_b64 s[60:61], s[12:13], s[16:17]
	s_and_b64 s[12:13], s[60:61], exec
	v_cmp_eq_u32_e64 s[18:19], v22, v23
	s_or_b64 s[16:17], s[58:59], s[12:13]
	s_and_saveexec_b64 s[58:59], s[18:19]
	s_cbranch_execz .LBB1493_1266
; %bb.1268:                             ;   in Loop: Header=BB1493_1267 Depth=1
	v_lshl_add_u64 v[20:21], v[20:21], 0, -1
	v_cmp_eq_u64_e64 s[12:13], 0, v[20:21]
	s_andn2_b64 s[18:19], s[54:55], exec
	s_and_b64 s[54:55], s[60:61], exec
	s_or_b64 s[54:55], s[18:19], s[54:55]
	s_andn2_b64 s[18:19], s[52:53], exec
	s_and_b64 s[12:13], s[12:13], exec
	v_lshl_add_u64 v[16:17], v[16:17], 0, 4
	v_lshl_add_u64 v[18:19], v[18:19], 0, 4
	s_andn2_b64 s[16:17], s[16:17], exec
	s_or_b64 s[52:53], s[18:19], s[12:13]
                                        ; implicit-def: $sgpr56_sgpr57
	s_branch .LBB1493_1266
.LBB1493_1269:
	s_or_b64 exec, exec, s[48:49]
	s_xor_b64 s[12:13], s[50:51], -1
	s_orn2_b64 s[12:13], s[12:13], exec
.LBB1493_1270:
	s_or_b64 exec, exec, s[46:47]
	s_and_b64 s[16:17], s[12:13], exec
.LBB1493_1271:
	s_or_b64 exec, exec, s[36:37]
	s_orn2_b64 s[36:37], s[16:17], exec
.LBB1493_1272:
	s_or_b64 exec, exec, s[44:45]
	v_cndmask_b32_e64 v16, v117, v114, s[36:37]
	v_cndmask_b32_e64 v17, v101, v100, s[36:37]
	v_add_u32_e32 v128, 1, v16
	v_add_u32_e32 v16, -1, v17
	v_min_u32_e32 v16, v128, v16
	v_mov_b32_e32 v17, 0
	v_lshl_add_u64 v[16:17], v[16:17], 3, v[66:67]
	flat_load_dwordx2 v[70:71], v[16:17]
	v_cndmask_b32_e64 v21, v27, v82, s[24:25]
	v_cndmask_b32_e64 v27, v24, v26, s[26:27]
	;; [unrolled: 1-line block ×15, first 2 shown]
	v_cmp_lt_u32_e64 s[12:13], v80, v101
	s_waitcnt vmcnt(0) lgkmcnt(0)
	v_cndmask_b32_e64 v15, v118, v71, s[36:37]
	v_cndmask_b32_e64 v14, v119, v70, s[36:37]
	s_and_saveexec_b64 s[22:23], s[12:13]
	s_cbranch_execz .LBB1493_1282
; %bb.1273:
	v_cndmask_b32_e64 v80, v114, v128, s[36:37]
	v_cndmask_b32_e64 v71, v71, v115, s[36:37]
	;; [unrolled: 1-line block ×3, first 2 shown]
	v_cmp_lt_u32_e64 s[12:13], v80, v100
	s_and_saveexec_b64 s[24:25], s[12:13]
	s_cbranch_execz .LBB1493_1281
; %bb.1274:
	s_and_saveexec_b64 s[26:27], s[8:9]
	s_cbranch_execz .LBB1493_1280
; %bb.1275:
	v_mul_lo_u32 v82, v15, v6
	v_mul_lo_u32 v83, v14, v7
	v_mad_u64_u32 v[80:81], s[12:13], v14, v6, 0
	v_add3_u32 v81, v81, v83, v82
	v_mul_lo_u32 v84, v71, v6
	v_mul_lo_u32 v85, v70, v7
	v_mad_u64_u32 v[82:83], s[12:13], v70, v6, 0
	v_add3_u32 v83, v83, v85, v84
	v_lshl_add_u64 v[80:81], v[80:81], 2, v[8:9]
	v_lshl_add_u64 v[82:83], v[82:83], 2, v[8:9]
	s_mov_b64 s[28:29], 0
	v_mov_b64_e32 v[84:85], v[6:7]
                                        ; implicit-def: $sgpr34_sgpr35
                                        ; implicit-def: $sgpr36_sgpr37
                                        ; implicit-def: $sgpr16_sgpr17
                                        ; implicit-def: $sgpr42_sgpr43
                                        ; implicit-def: $sgpr44_sgpr45
	s_branch .LBB1493_1277
.LBB1493_1276:                          ;   in Loop: Header=BB1493_1277 Depth=1
	s_or_b64 exec, exec, s[46:47]
	s_and_b64 s[12:13], exec, s[36:37]
	s_or_b64 s[28:29], s[12:13], s[28:29]
	s_andn2_b64 s[12:13], s[44:45], exec
	s_and_b64 s[18:19], s[42:43], exec
	s_or_b64 s[44:45], s[12:13], s[18:19]
	s_andn2_b64 s[12:13], s[34:35], exec
	s_and_b64 s[18:19], s[16:17], exec
	s_or_b64 s[34:35], s[12:13], s[18:19]
	s_andn2_b64 exec, exec, s[28:29]
	s_cbranch_execz .LBB1493_1279
.LBB1493_1277:                          ; =>This Inner Loop Header: Depth=1
	flat_load_dword v86, v[82:83]
	flat_load_dword v87, v[80:81]
	s_andn2_b64 s[46:47], s[16:17], exec
	s_andn2_b64 s[42:43], s[42:43], exec
	s_or_b64 s[36:37], s[36:37], exec
	s_waitcnt vmcnt(0) lgkmcnt(0)
	v_cmp_le_u32_e64 s[16:17], v86, v87
	v_cmp_lt_u32_e64 s[12:13], v86, v87
	s_and_b64 s[16:17], s[16:17], s[44:45]
	s_or_b64 s[48:49], s[12:13], s[16:17]
	s_and_b64 s[12:13], s[48:49], exec
	v_cmp_eq_u32_e64 s[18:19], v86, v87
	s_or_b64 s[16:17], s[46:47], s[12:13]
	s_and_saveexec_b64 s[46:47], s[18:19]
	s_cbranch_execz .LBB1493_1276
; %bb.1278:                             ;   in Loop: Header=BB1493_1277 Depth=1
	v_lshl_add_u64 v[84:85], v[84:85], 0, -1
	v_cmp_eq_u64_e64 s[12:13], 0, v[84:85]
	s_andn2_b64 s[18:19], s[42:43], exec
	s_and_b64 s[42:43], s[48:49], exec
	s_or_b64 s[42:43], s[18:19], s[42:43]
	s_andn2_b64 s[18:19], s[36:37], exec
	s_and_b64 s[12:13], s[12:13], exec
	v_lshl_add_u64 v[80:81], v[80:81], 0, 4
	v_lshl_add_u64 v[82:83], v[82:83], 0, 4
	s_andn2_b64 s[16:17], s[16:17], exec
	s_or_b64 s[36:37], s[18:19], s[12:13]
                                        ; implicit-def: $sgpr44_sgpr45
	s_branch .LBB1493_1276
.LBB1493_1279:
	s_or_b64 exec, exec, s[28:29]
	v_cndmask_b32_e64 v15, v15, v71, s[34:35]
	v_cndmask_b32_e64 v14, v14, v70, s[34:35]
.LBB1493_1280:
	s_or_b64 exec, exec, s[26:27]
	v_mov_b64_e32 v[70:71], v[14:15]
.LBB1493_1281:
	s_or_b64 exec, exec, s[24:25]
	v_mov_b64_e32 v[14:15], v[70:71]
.LBB1493_1282:
	s_or_b64 exec, exec, s[22:23]
.LBB1493_1283:
	s_or_b64 exec, exec, s[20:21]
	v_and_b32_e32 v100, 0x380, v31
	; wave barrier
	flat_store_dwordx4 v[68:69], v[24:27]
	flat_store_dwordx4 v[68:69], v[20:23] offset:16
	flat_store_dwordx4 v[68:69], v[16:19] offset:32
	;; [unrolled: 1-line block ×3, first 2 shown]
	v_or_b32_e32 v68, 64, v100
	v_min_u32_e32 v98, v1, v68
	v_add_u32_e32 v68, 64, v98
	v_min_u32_e32 v99, v1, v68
	v_and_b32_e32 v31, 0x78, v31
	v_min_u32_e32 v1, v1, v31
	v_sub_u32_e32 v68, v98, v100
	v_sub_u32_e32 v31, v99, v98
	v_sub_u32_e64 v31, v1, v31 clamp
	v_min_u32_e32 v101, v1, v68
	v_cmp_lt_u32_e64 s[12:13], v31, v101
	; wave barrier
	s_and_saveexec_b64 s[20:21], s[12:13]
	s_cbranch_execz .LBB1493_1293
; %bb.1284:
	v_lshlrev_b32_e32 v68, 3, v100
	v_mov_b32_e32 v69, 0
	v_lshl_add_u64 v[70:71], v[66:67], 0, v[68:69]
	v_lshlrev_b32_e32 v68, 3, v98
	v_lshl_add_u64 v[80:81], v[66:67], 0, v[68:69]
	s_mov_b64 s[22:23], 0
	s_branch .LBB1493_1287
.LBB1493_1285:                          ;   in Loop: Header=BB1493_1287 Depth=1
	s_or_b64 exec, exec, s[26:27]
	s_and_b64 s[12:13], s[28:29], exec
.LBB1493_1286:                          ;   in Loop: Header=BB1493_1287 Depth=1
	s_or_b64 exec, exec, s[24:25]
	v_add_u32_e32 v68, 1, v82
	v_cndmask_b32_e64 v101, v101, v82, s[12:13]
	v_cndmask_b32_e64 v31, v68, v31, s[12:13]
	v_cmp_ge_u32_e64 s[12:13], v31, v101
	s_or_b64 s[22:23], s[12:13], s[22:23]
	s_andn2_b64 exec, exec, s[22:23]
	s_cbranch_execz .LBB1493_1292
.LBB1493_1287:                          ; =>This Loop Header: Depth=1
                                        ;     Child Loop BB1493_1290 Depth 2
	v_add_u32_e32 v68, v101, v31
	v_lshrrev_b32_e32 v82, 1, v68
	s_mov_b64 s[12:13], 0
	s_and_saveexec_b64 s[24:25], s[8:9]
	s_cbranch_execz .LBB1493_1286
; %bb.1288:                             ;   in Loop: Header=BB1493_1287 Depth=1
	v_mov_b32_e32 v83, v69
	v_xad_u32 v68, v82, -1, v1
	v_lshl_add_u64 v[84:85], v[82:83], 3, v[70:71]
	v_lshl_add_u64 v[86:87], v[68:69], 3, v[80:81]
	flat_load_dwordx2 v[84:85], v[84:85]
	s_mov_b64 s[26:27], 0
	flat_load_dwordx2 v[86:87], v[86:87]
                                        ; implicit-def: $sgpr28_sgpr29
                                        ; implicit-def: $sgpr34_sgpr35
                                        ; implicit-def: $sgpr36_sgpr37
                                        ; implicit-def: $sgpr16_sgpr17
                                        ; implicit-def: $sgpr42_sgpr43
	s_waitcnt vmcnt(0) lgkmcnt(0)
	v_mul_lo_u32 v68, v64, v85
	v_mul_lo_u32 v83, v65, v84
	v_mad_u64_u32 v[84:85], s[12:13], v64, v84, v[8:9]
	v_mul_lo_u32 v96, v64, v87
	v_mul_lo_u32 v97, v65, v86
	v_mad_u64_u32 v[86:87], s[12:13], v64, v86, v[8:9]
	v_add3_u32 v85, v83, v85, v68
	v_add3_u32 v87, v97, v87, v96
	v_mov_b64_e32 v[96:97], v[6:7]
	s_branch .LBB1493_1290
.LBB1493_1289:                          ;   in Loop: Header=BB1493_1290 Depth=2
	s_or_b64 exec, exec, s[44:45]
	s_and_b64 s[12:13], exec, s[34:35]
	s_or_b64 s[26:27], s[12:13], s[26:27]
	s_andn2_b64 s[12:13], s[42:43], exec
	s_and_b64 s[18:19], s[36:37], exec
	s_or_b64 s[42:43], s[12:13], s[18:19]
	s_andn2_b64 s[12:13], s[28:29], exec
	s_and_b64 s[18:19], s[16:17], exec
	s_or_b64 s[28:29], s[12:13], s[18:19]
	s_andn2_b64 exec, exec, s[26:27]
	s_cbranch_execz .LBB1493_1285
.LBB1493_1290:                          ;   Parent Loop BB1493_1287 Depth=1
                                        ; =>  This Inner Loop Header: Depth=2
	flat_load_dword v68, v[86:87]
	flat_load_dword v83, v[84:85]
	s_andn2_b64 s[44:45], s[16:17], exec
	s_andn2_b64 s[36:37], s[36:37], exec
	s_or_b64 s[34:35], s[34:35], exec
	s_waitcnt vmcnt(0) lgkmcnt(0)
	v_cmp_le_u32_e64 s[16:17], v68, v83
	v_cmp_lt_u32_e64 s[12:13], v68, v83
	s_and_b64 s[16:17], s[16:17], s[42:43]
	s_or_b64 s[46:47], s[12:13], s[16:17]
	s_and_b64 s[12:13], s[46:47], exec
	v_cmp_eq_u32_e64 s[18:19], v68, v83
	s_or_b64 s[16:17], s[44:45], s[12:13]
	s_and_saveexec_b64 s[44:45], s[18:19]
	s_cbranch_execz .LBB1493_1289
; %bb.1291:                             ;   in Loop: Header=BB1493_1290 Depth=2
	v_lshl_add_u64 v[96:97], v[96:97], 0, -1
	v_cmp_eq_u64_e64 s[12:13], 0, v[96:97]
	s_andn2_b64 s[18:19], s[36:37], exec
	s_and_b64 s[36:37], s[46:47], exec
	s_or_b64 s[36:37], s[18:19], s[36:37]
	s_andn2_b64 s[18:19], s[34:35], exec
	s_and_b64 s[12:13], s[12:13], exec
	v_lshl_add_u64 v[84:85], v[84:85], 0, 4
	v_lshl_add_u64 v[86:87], v[86:87], 0, 4
	s_andn2_b64 s[16:17], s[16:17], exec
	s_or_b64 s[34:35], s[18:19], s[12:13]
                                        ; implicit-def: $sgpr42_sgpr43
	s_branch .LBB1493_1289
.LBB1493_1292:
	s_or_b64 exec, exec, s[22:23]
.LBB1493_1293:
	s_or_b64 exec, exec, s[20:21]
	v_add_u32_e32 v1, v98, v1
	v_add_u32_e32 v68, v31, v100
	v_sub_u32_e32 v70, v1, v31
	v_cmp_le_u32_e64 s[12:13], v68, v98
	v_cmp_le_u32_e64 s[16:17], v70, v99
	s_or_b64 s[12:13], s[12:13], s[16:17]
	s_and_saveexec_b64 s[20:21], s[12:13]
	s_cbranch_execz .LBB1493_1377
; %bb.1294:
	v_cmp_ge_u32_e64 s[16:17], v68, v98
	v_cmp_lt_u32_e64 s[12:13], v68, v98
                                        ; implicit-def: $vgpr12_vgpr13
	s_and_saveexec_b64 s[18:19], s[12:13]
	s_cbranch_execz .LBB1493_1296
; %bb.1295:
	v_mov_b32_e32 v69, 0
	v_lshl_add_u64 v[12:13], v[68:69], 3, v[66:67]
	flat_load_dwordx2 v[12:13], v[12:13]
.LBB1493_1296:
	s_or_b64 exec, exec, s[18:19]
	v_cmp_ge_u32_e64 s[22:23], v70, v99
	v_cmp_lt_u32_e64 s[12:13], v70, v99
                                        ; implicit-def: $vgpr14_vgpr15
	s_and_saveexec_b64 s[18:19], s[12:13]
	s_cbranch_execz .LBB1493_1298
; %bb.1297:
	v_mov_b32_e32 v71, 0
	v_lshl_add_u64 v[14:15], v[70:71], 3, v[66:67]
	flat_load_dwordx2 v[14:15], v[14:15]
.LBB1493_1298:
	s_or_b64 exec, exec, s[18:19]
	s_or_b64 s[12:13], s[16:17], s[22:23]
	s_xor_b64 s[12:13], s[12:13], -1
	s_and_saveexec_b64 s[24:25], s[12:13]
	s_cbranch_execz .LBB1493_1306
; %bb.1299:
	s_mov_b64 s[12:13], 0
	s_and_saveexec_b64 s[26:27], s[8:9]
	s_cbranch_execz .LBB1493_1305
; %bb.1300:
	s_waitcnt vmcnt(0) lgkmcnt(0)
	v_mul_lo_u32 v1, v13, v6
	v_mul_lo_u32 v18, v12, v7
	v_mad_u64_u32 v[16:17], s[12:13], v12, v6, 0
	v_add3_u32 v17, v17, v18, v1
	v_mul_lo_u32 v1, v15, v6
	v_mul_lo_u32 v20, v14, v7
	v_mad_u64_u32 v[18:19], s[12:13], v14, v6, 0
	v_add3_u32 v19, v19, v20, v1
	v_lshl_add_u64 v[16:17], v[16:17], 2, v[8:9]
	v_lshl_add_u64 v[18:19], v[18:19], 2, v[8:9]
	s_mov_b64 s[28:29], 0
	v_mov_b64_e32 v[20:21], v[6:7]
                                        ; implicit-def: $sgpr34_sgpr35
                                        ; implicit-def: $sgpr36_sgpr37
                                        ; implicit-def: $sgpr42_sgpr43
                                        ; implicit-def: $sgpr16_sgpr17
                                        ; implicit-def: $sgpr44_sgpr45
	s_branch .LBB1493_1302
.LBB1493_1301:                          ;   in Loop: Header=BB1493_1302 Depth=1
	s_or_b64 exec, exec, s[46:47]
	s_and_b64 s[12:13], exec, s[36:37]
	s_or_b64 s[28:29], s[12:13], s[28:29]
	s_andn2_b64 s[12:13], s[44:45], exec
	s_and_b64 s[18:19], s[42:43], exec
	s_or_b64 s[44:45], s[12:13], s[18:19]
	s_andn2_b64 s[12:13], s[34:35], exec
	s_and_b64 s[18:19], s[16:17], exec
	s_or_b64 s[34:35], s[12:13], s[18:19]
	s_andn2_b64 exec, exec, s[28:29]
	s_cbranch_execz .LBB1493_1304
.LBB1493_1302:                          ; =>This Inner Loop Header: Depth=1
	flat_load_dword v1, v[18:19]
	flat_load_dword v22, v[16:17]
	s_andn2_b64 s[46:47], s[16:17], exec
	s_andn2_b64 s[42:43], s[42:43], exec
	s_or_b64 s[36:37], s[36:37], exec
	s_waitcnt vmcnt(0) lgkmcnt(0)
	v_cmp_le_u32_e64 s[16:17], v1, v22
	v_cmp_lt_u32_e64 s[12:13], v1, v22
	s_and_b64 s[16:17], s[16:17], s[44:45]
	s_or_b64 s[48:49], s[12:13], s[16:17]
	s_and_b64 s[12:13], s[48:49], exec
	v_cmp_eq_u32_e64 s[18:19], v1, v22
	s_or_b64 s[16:17], s[46:47], s[12:13]
	s_and_saveexec_b64 s[46:47], s[18:19]
	s_cbranch_execz .LBB1493_1301
; %bb.1303:                             ;   in Loop: Header=BB1493_1302 Depth=1
	v_lshl_add_u64 v[20:21], v[20:21], 0, -1
	v_cmp_eq_u64_e64 s[12:13], 0, v[20:21]
	s_andn2_b64 s[18:19], s[42:43], exec
	s_and_b64 s[42:43], s[48:49], exec
	s_or_b64 s[42:43], s[18:19], s[42:43]
	s_andn2_b64 s[18:19], s[36:37], exec
	s_and_b64 s[12:13], s[12:13], exec
	v_lshl_add_u64 v[16:17], v[16:17], 0, 4
	v_lshl_add_u64 v[18:19], v[18:19], 0, 4
	s_andn2_b64 s[16:17], s[16:17], exec
	s_or_b64 s[36:37], s[18:19], s[12:13]
                                        ; implicit-def: $sgpr44_sgpr45
	s_branch .LBB1493_1301
.LBB1493_1304:
	s_or_b64 exec, exec, s[28:29]
	s_and_b64 s[12:13], s[34:35], exec
.LBB1493_1305:
	s_or_b64 exec, exec, s[26:27]
	s_xor_b64 s[12:13], s[12:13], -1
	s_andn2_b64 s[16:17], s[22:23], exec
	s_and_b64 s[12:13], s[12:13], exec
	s_or_b64 s[22:23], s[16:17], s[12:13]
.LBB1493_1306:
	s_or_b64 exec, exec, s[24:25]
	v_cndmask_b32_e64 v1, v70, v68, s[22:23]
	v_cndmask_b32_e64 v16, v99, v98, s[22:23]
	v_add_u32_e32 v1, 1, v1
	v_add_u32_e32 v16, -1, v16
	v_min_u32_e32 v16, v1, v16
	v_mov_b32_e32 v17, 0
	v_lshl_add_u64 v[18:19], v[16:17], 3, v[66:67]
	flat_load_dwordx2 v[18:19], v[18:19]
	v_cndmask_b32_e64 v27, v1, v70, s[22:23]
	s_mov_b64 s[24:25], -1
	v_cndmask_b32_e64 v31, v68, v1, s[22:23]
	v_cmp_lt_u32_e64 s[12:13], v27, v99
	s_mov_b64 s[26:27], -1
	s_waitcnt vmcnt(0) lgkmcnt(0)
	v_cndmask_b32_e64 v1, v19, v15, s[22:23]
	v_cndmask_b32_e64 v24, v18, v14, s[22:23]
	;; [unrolled: 1-line block ×4, first 2 shown]
	s_and_saveexec_b64 s[28:29], s[12:13]
	s_cbranch_execz .LBB1493_1316
; %bb.1307:
	v_cmp_lt_u32_e64 s[12:13], v31, v98
	s_mov_b64 s[16:17], 0
	s_and_saveexec_b64 s[26:27], s[12:13]
	s_cbranch_execz .LBB1493_1315
; %bb.1308:
	s_mov_b64 s[12:13], 0
	s_and_saveexec_b64 s[34:35], s[8:9]
	s_cbranch_execz .LBB1493_1314
; %bb.1309:
	v_mul_lo_u32 v16, v25, v6
	v_mul_lo_u32 v20, v26, v7
	v_mad_u64_u32 v[18:19], s[12:13], v26, v6, 0
	v_add3_u32 v19, v19, v20, v16
	v_mul_lo_u32 v16, v1, v6
	v_mul_lo_u32 v22, v24, v7
	v_mad_u64_u32 v[20:21], s[12:13], v24, v6, 0
	v_add3_u32 v21, v21, v22, v16
	v_lshl_add_u64 v[18:19], v[18:19], 2, v[8:9]
	v_lshl_add_u64 v[20:21], v[20:21], 2, v[8:9]
	s_mov_b64 s[36:37], 0
	v_mov_b64_e32 v[22:23], v[6:7]
                                        ; implicit-def: $sgpr42_sgpr43
                                        ; implicit-def: $sgpr44_sgpr45
                                        ; implicit-def: $sgpr46_sgpr47
                                        ; implicit-def: $sgpr16_sgpr17
                                        ; implicit-def: $sgpr48_sgpr49
	s_branch .LBB1493_1311
.LBB1493_1310:                          ;   in Loop: Header=BB1493_1311 Depth=1
	s_or_b64 exec, exec, s[50:51]
	s_and_b64 s[12:13], exec, s[44:45]
	s_or_b64 s[36:37], s[12:13], s[36:37]
	s_andn2_b64 s[12:13], s[48:49], exec
	s_and_b64 s[18:19], s[46:47], exec
	s_or_b64 s[48:49], s[12:13], s[18:19]
	s_andn2_b64 s[12:13], s[42:43], exec
	s_and_b64 s[18:19], s[16:17], exec
	s_or_b64 s[42:43], s[12:13], s[18:19]
	s_andn2_b64 exec, exec, s[36:37]
	s_cbranch_execz .LBB1493_1313
.LBB1493_1311:                          ; =>This Inner Loop Header: Depth=1
	flat_load_dword v16, v[20:21]
	flat_load_dword v68, v[18:19]
	s_andn2_b64 s[50:51], s[16:17], exec
	s_andn2_b64 s[46:47], s[46:47], exec
	s_or_b64 s[44:45], s[44:45], exec
	s_waitcnt vmcnt(0) lgkmcnt(0)
	v_cmp_le_u32_e64 s[16:17], v16, v68
	v_cmp_lt_u32_e64 s[12:13], v16, v68
	s_and_b64 s[16:17], s[16:17], s[48:49]
	s_or_b64 s[52:53], s[12:13], s[16:17]
	s_and_b64 s[12:13], s[52:53], exec
	v_cmp_eq_u32_e64 s[18:19], v16, v68
	s_or_b64 s[16:17], s[50:51], s[12:13]
	s_and_saveexec_b64 s[50:51], s[18:19]
	s_cbranch_execz .LBB1493_1310
; %bb.1312:                             ;   in Loop: Header=BB1493_1311 Depth=1
	v_lshl_add_u64 v[22:23], v[22:23], 0, -1
	v_cmp_eq_u64_e64 s[12:13], 0, v[22:23]
	s_andn2_b64 s[18:19], s[46:47], exec
	s_and_b64 s[46:47], s[52:53], exec
	s_or_b64 s[46:47], s[18:19], s[46:47]
	s_andn2_b64 s[18:19], s[44:45], exec
	s_and_b64 s[12:13], s[12:13], exec
	v_lshl_add_u64 v[18:19], v[18:19], 0, 4
	v_lshl_add_u64 v[20:21], v[20:21], 0, 4
	s_andn2_b64 s[16:17], s[16:17], exec
	s_or_b64 s[44:45], s[18:19], s[12:13]
                                        ; implicit-def: $sgpr48_sgpr49
	s_branch .LBB1493_1310
.LBB1493_1313:
	s_or_b64 exec, exec, s[36:37]
	s_and_b64 s[12:13], s[42:43], exec
.LBB1493_1314:
	s_or_b64 exec, exec, s[34:35]
	s_xor_b64 s[12:13], s[12:13], -1
	s_and_b64 s[16:17], s[12:13], exec
.LBB1493_1315:
	s_or_b64 exec, exec, s[26:27]
	s_orn2_b64 s[26:27], s[16:17], exec
.LBB1493_1316:
	s_or_b64 exec, exec, s[28:29]
	v_cndmask_b32_e64 v16, v27, v31, s[26:27]
	v_cndmask_b32_e64 v18, v99, v98, s[26:27]
	v_add_u32_e32 v19, 1, v16
	v_add_u32_e32 v16, -1, v18
	v_min_u32_e32 v16, v19, v16
	v_lshl_add_u64 v[16:17], v[16:17], 3, v[66:67]
	flat_load_dwordx2 v[16:17], v[16:17]
	v_cndmask_b32_e64 v22, v19, v27, s[26:27]
	v_cndmask_b32_e64 v23, v31, v19, s[26:27]
	v_cmp_lt_u32_e64 s[12:13], v22, v99
	s_waitcnt vmcnt(0) lgkmcnt(0)
	v_cndmask_b32_e64 v27, v17, v1, s[26:27]
	v_cndmask_b32_e64 v31, v16, v24, s[26:27]
	;; [unrolled: 1-line block ×4, first 2 shown]
	s_and_saveexec_b64 s[28:29], s[12:13]
	s_cbranch_execz .LBB1493_1326
; %bb.1317:
	v_cmp_lt_u32_e64 s[12:13], v23, v98
	s_mov_b64 s[16:17], 0
	s_and_saveexec_b64 s[24:25], s[12:13]
	s_cbranch_execz .LBB1493_1325
; %bb.1318:
	s_mov_b64 s[12:13], 0
	s_and_saveexec_b64 s[34:35], s[8:9]
	s_cbranch_execz .LBB1493_1324
; %bb.1319:
	v_mul_lo_u32 v18, v68, v6
	v_mul_lo_u32 v19, v69, v7
	v_mad_u64_u32 v[16:17], s[12:13], v69, v6, 0
	v_add3_u32 v17, v17, v19, v18
	v_mul_lo_u32 v20, v27, v6
	v_mul_lo_u32 v21, v31, v7
	v_mad_u64_u32 v[18:19], s[12:13], v31, v6, 0
	v_add3_u32 v19, v19, v21, v20
	v_lshl_add_u64 v[16:17], v[16:17], 2, v[8:9]
	v_lshl_add_u64 v[18:19], v[18:19], 2, v[8:9]
	s_mov_b64 s[36:37], 0
	v_mov_b64_e32 v[20:21], v[6:7]
                                        ; implicit-def: $sgpr42_sgpr43
                                        ; implicit-def: $sgpr44_sgpr45
                                        ; implicit-def: $sgpr46_sgpr47
                                        ; implicit-def: $sgpr16_sgpr17
                                        ; implicit-def: $sgpr48_sgpr49
	s_branch .LBB1493_1321
.LBB1493_1320:                          ;   in Loop: Header=BB1493_1321 Depth=1
	s_or_b64 exec, exec, s[50:51]
	s_and_b64 s[12:13], exec, s[44:45]
	s_or_b64 s[36:37], s[12:13], s[36:37]
	s_andn2_b64 s[12:13], s[48:49], exec
	s_and_b64 s[18:19], s[46:47], exec
	s_or_b64 s[48:49], s[12:13], s[18:19]
	s_andn2_b64 s[12:13], s[42:43], exec
	s_and_b64 s[18:19], s[16:17], exec
	s_or_b64 s[42:43], s[12:13], s[18:19]
	s_andn2_b64 exec, exec, s[36:37]
	s_cbranch_execz .LBB1493_1323
.LBB1493_1321:                          ; =>This Inner Loop Header: Depth=1
	flat_load_dword v70, v[18:19]
	flat_load_dword v71, v[16:17]
	s_andn2_b64 s[50:51], s[16:17], exec
	s_andn2_b64 s[46:47], s[46:47], exec
	s_or_b64 s[44:45], s[44:45], exec
	s_waitcnt vmcnt(0) lgkmcnt(0)
	v_cmp_le_u32_e64 s[16:17], v70, v71
	v_cmp_lt_u32_e64 s[12:13], v70, v71
	s_and_b64 s[16:17], s[16:17], s[48:49]
	s_or_b64 s[52:53], s[12:13], s[16:17]
	s_and_b64 s[12:13], s[52:53], exec
	v_cmp_eq_u32_e64 s[18:19], v70, v71
	s_or_b64 s[16:17], s[50:51], s[12:13]
	s_and_saveexec_b64 s[50:51], s[18:19]
	s_cbranch_execz .LBB1493_1320
; %bb.1322:                             ;   in Loop: Header=BB1493_1321 Depth=1
	v_lshl_add_u64 v[20:21], v[20:21], 0, -1
	v_cmp_eq_u64_e64 s[12:13], 0, v[20:21]
	s_andn2_b64 s[18:19], s[46:47], exec
	s_and_b64 s[46:47], s[52:53], exec
	s_or_b64 s[46:47], s[18:19], s[46:47]
	s_andn2_b64 s[18:19], s[44:45], exec
	s_and_b64 s[12:13], s[12:13], exec
	v_lshl_add_u64 v[16:17], v[16:17], 0, 4
	v_lshl_add_u64 v[18:19], v[18:19], 0, 4
	s_andn2_b64 s[16:17], s[16:17], exec
	s_or_b64 s[44:45], s[18:19], s[12:13]
                                        ; implicit-def: $sgpr48_sgpr49
	s_branch .LBB1493_1320
.LBB1493_1323:
	s_or_b64 exec, exec, s[36:37]
	s_and_b64 s[12:13], s[42:43], exec
.LBB1493_1324:
	s_or_b64 exec, exec, s[34:35]
	s_xor_b64 s[12:13], s[12:13], -1
	s_and_b64 s[16:17], s[12:13], exec
.LBB1493_1325:
	s_or_b64 exec, exec, s[24:25]
	s_orn2_b64 s[24:25], s[16:17], exec
.LBB1493_1326:
	s_or_b64 exec, exec, s[28:29]
	v_cndmask_b32_e64 v16, v22, v23, s[24:25]
	v_cndmask_b32_e64 v17, v99, v98, s[24:25]
	v_add_u32_e32 v20, 1, v16
	v_add_u32_e32 v16, -1, v17
	v_min_u32_e32 v16, v20, v16
	v_mov_b32_e32 v17, 0
	v_lshl_add_u64 v[18:19], v[16:17], 3, v[66:67]
	flat_load_dwordx2 v[18:19], v[18:19]
	v_cndmask_b32_e64 v82, v20, v22, s[24:25]
	s_mov_b64 s[28:29], -1
	v_cndmask_b32_e64 v83, v23, v20, s[24:25]
	v_cmp_lt_u32_e64 s[12:13], v82, v99
	s_mov_b64 s[34:35], -1
	s_waitcnt vmcnt(0) lgkmcnt(0)
	v_cndmask_b32_e64 v70, v19, v27, s[24:25]
	v_cndmask_b32_e64 v71, v18, v31, s[24:25]
	;; [unrolled: 1-line block ×4, first 2 shown]
	s_and_saveexec_b64 s[36:37], s[12:13]
	s_cbranch_execz .LBB1493_1336
; %bb.1327:
	v_cmp_lt_u32_e64 s[12:13], v83, v98
	s_mov_b64 s[16:17], 0
	s_and_saveexec_b64 s[34:35], s[12:13]
	s_cbranch_execz .LBB1493_1335
; %bb.1328:
	s_mov_b64 s[12:13], -1
	s_and_saveexec_b64 s[42:43], s[8:9]
	s_cbranch_execz .LBB1493_1334
; %bb.1329:
	v_mul_lo_u32 v16, v80, v6
	v_mul_lo_u32 v20, v81, v7
	v_mad_u64_u32 v[18:19], s[12:13], v81, v6, 0
	v_add3_u32 v19, v19, v20, v16
	v_mul_lo_u32 v16, v70, v6
	v_mul_lo_u32 v22, v71, v7
	v_mad_u64_u32 v[20:21], s[12:13], v71, v6, 0
	v_add3_u32 v21, v21, v22, v16
	v_lshl_add_u64 v[18:19], v[18:19], 2, v[8:9]
	v_lshl_add_u64 v[20:21], v[20:21], 2, v[8:9]
	s_mov_b64 s[44:45], 0
	v_mov_b64_e32 v[22:23], v[6:7]
                                        ; implicit-def: $sgpr46_sgpr47
                                        ; implicit-def: $sgpr48_sgpr49
                                        ; implicit-def: $sgpr16_sgpr17
                                        ; implicit-def: $sgpr50_sgpr51
                                        ; implicit-def: $sgpr52_sgpr53
	s_branch .LBB1493_1331
.LBB1493_1330:                          ;   in Loop: Header=BB1493_1331 Depth=1
	s_or_b64 exec, exec, s[54:55]
	s_and_b64 s[12:13], exec, s[48:49]
	s_or_b64 s[44:45], s[12:13], s[44:45]
	s_andn2_b64 s[12:13], s[52:53], exec
	s_and_b64 s[18:19], s[50:51], exec
	s_or_b64 s[52:53], s[12:13], s[18:19]
	s_andn2_b64 s[12:13], s[46:47], exec
	s_and_b64 s[18:19], s[16:17], exec
	s_or_b64 s[46:47], s[12:13], s[18:19]
	s_andn2_b64 exec, exec, s[44:45]
	s_cbranch_execz .LBB1493_1333
.LBB1493_1331:                          ; =>This Inner Loop Header: Depth=1
	flat_load_dword v16, v[20:21]
	flat_load_dword v84, v[18:19]
	s_andn2_b64 s[54:55], s[16:17], exec
	s_andn2_b64 s[50:51], s[50:51], exec
	s_or_b64 s[48:49], s[48:49], exec
	s_waitcnt vmcnt(0) lgkmcnt(0)
	v_cmp_le_u32_e64 s[16:17], v16, v84
	v_cmp_lt_u32_e64 s[12:13], v16, v84
	s_and_b64 s[16:17], s[16:17], s[52:53]
	s_or_b64 s[56:57], s[12:13], s[16:17]
	s_and_b64 s[12:13], s[56:57], exec
	v_cmp_eq_u32_e64 s[18:19], v16, v84
	s_or_b64 s[16:17], s[54:55], s[12:13]
	s_and_saveexec_b64 s[54:55], s[18:19]
	s_cbranch_execz .LBB1493_1330
; %bb.1332:                             ;   in Loop: Header=BB1493_1331 Depth=1
	v_lshl_add_u64 v[22:23], v[22:23], 0, -1
	v_cmp_eq_u64_e64 s[12:13], 0, v[22:23]
	s_andn2_b64 s[18:19], s[50:51], exec
	s_and_b64 s[50:51], s[56:57], exec
	s_or_b64 s[50:51], s[18:19], s[50:51]
	s_andn2_b64 s[18:19], s[48:49], exec
	s_and_b64 s[12:13], s[12:13], exec
	v_lshl_add_u64 v[18:19], v[18:19], 0, 4
	v_lshl_add_u64 v[20:21], v[20:21], 0, 4
	s_andn2_b64 s[16:17], s[16:17], exec
	s_or_b64 s[48:49], s[18:19], s[12:13]
                                        ; implicit-def: $sgpr52_sgpr53
	s_branch .LBB1493_1330
.LBB1493_1333:
	s_or_b64 exec, exec, s[44:45]
	s_xor_b64 s[12:13], s[46:47], -1
	s_orn2_b64 s[12:13], s[12:13], exec
.LBB1493_1334:
	s_or_b64 exec, exec, s[42:43]
	s_and_b64 s[16:17], s[12:13], exec
.LBB1493_1335:
	s_or_b64 exec, exec, s[34:35]
	s_orn2_b64 s[34:35], s[16:17], exec
.LBB1493_1336:
	s_or_b64 exec, exec, s[36:37]
	v_cndmask_b32_e64 v16, v82, v83, s[34:35]
	v_cndmask_b32_e64 v18, v99, v98, s[34:35]
	v_add_u32_e32 v19, 1, v16
	v_add_u32_e32 v16, -1, v18
	v_min_u32_e32 v16, v19, v16
	v_lshl_add_u64 v[16:17], v[16:17], 3, v[66:67]
	flat_load_dwordx2 v[16:17], v[16:17]
	v_cndmask_b32_e64 v22, v19, v82, s[34:35]
	v_cndmask_b32_e64 v23, v83, v19, s[34:35]
	v_cmp_lt_u32_e64 s[12:13], v22, v99
	s_waitcnt vmcnt(0) lgkmcnt(0)
	v_cndmask_b32_e64 v82, v17, v70, s[34:35]
	v_cndmask_b32_e64 v83, v16, v71, s[34:35]
	;; [unrolled: 1-line block ×4, first 2 shown]
	s_and_saveexec_b64 s[36:37], s[12:13]
	s_cbranch_execz .LBB1493_1346
; %bb.1337:
	v_cmp_lt_u32_e64 s[12:13], v23, v98
	s_mov_b64 s[16:17], 0
	s_and_saveexec_b64 s[28:29], s[12:13]
	s_cbranch_execz .LBB1493_1345
; %bb.1338:
	s_mov_b64 s[12:13], -1
	s_and_saveexec_b64 s[42:43], s[8:9]
	s_cbranch_execz .LBB1493_1344
; %bb.1339:
	v_mul_lo_u32 v18, v84, v6
	v_mul_lo_u32 v19, v85, v7
	v_mad_u64_u32 v[16:17], s[12:13], v85, v6, 0
	v_add3_u32 v17, v17, v19, v18
	v_mul_lo_u32 v20, v82, v6
	v_mul_lo_u32 v21, v83, v7
	v_mad_u64_u32 v[18:19], s[12:13], v83, v6, 0
	v_add3_u32 v19, v19, v21, v20
	v_lshl_add_u64 v[16:17], v[16:17], 2, v[8:9]
	v_lshl_add_u64 v[18:19], v[18:19], 2, v[8:9]
	s_mov_b64 s[44:45], 0
	v_mov_b64_e32 v[20:21], v[6:7]
                                        ; implicit-def: $sgpr46_sgpr47
                                        ; implicit-def: $sgpr48_sgpr49
                                        ; implicit-def: $sgpr16_sgpr17
                                        ; implicit-def: $sgpr50_sgpr51
                                        ; implicit-def: $sgpr52_sgpr53
	s_branch .LBB1493_1341
.LBB1493_1340:                          ;   in Loop: Header=BB1493_1341 Depth=1
	s_or_b64 exec, exec, s[54:55]
	s_and_b64 s[12:13], exec, s[48:49]
	s_or_b64 s[44:45], s[12:13], s[44:45]
	s_andn2_b64 s[12:13], s[52:53], exec
	s_and_b64 s[18:19], s[50:51], exec
	s_or_b64 s[52:53], s[12:13], s[18:19]
	s_andn2_b64 s[12:13], s[46:47], exec
	s_and_b64 s[18:19], s[16:17], exec
	s_or_b64 s[46:47], s[12:13], s[18:19]
	s_andn2_b64 exec, exec, s[44:45]
	s_cbranch_execz .LBB1493_1343
.LBB1493_1341:                          ; =>This Inner Loop Header: Depth=1
	flat_load_dword v86, v[18:19]
	flat_load_dword v87, v[16:17]
	s_andn2_b64 s[54:55], s[16:17], exec
	s_andn2_b64 s[50:51], s[50:51], exec
	s_or_b64 s[48:49], s[48:49], exec
	s_waitcnt vmcnt(0) lgkmcnt(0)
	v_cmp_le_u32_e64 s[16:17], v86, v87
	v_cmp_lt_u32_e64 s[12:13], v86, v87
	s_and_b64 s[16:17], s[16:17], s[52:53]
	s_or_b64 s[56:57], s[12:13], s[16:17]
	s_and_b64 s[12:13], s[56:57], exec
	v_cmp_eq_u32_e64 s[18:19], v86, v87
	s_or_b64 s[16:17], s[54:55], s[12:13]
	s_and_saveexec_b64 s[54:55], s[18:19]
	s_cbranch_execz .LBB1493_1340
; %bb.1342:                             ;   in Loop: Header=BB1493_1341 Depth=1
	v_lshl_add_u64 v[20:21], v[20:21], 0, -1
	v_cmp_eq_u64_e64 s[12:13], 0, v[20:21]
	s_andn2_b64 s[18:19], s[50:51], exec
	s_and_b64 s[50:51], s[56:57], exec
	s_or_b64 s[50:51], s[18:19], s[50:51]
	s_andn2_b64 s[18:19], s[48:49], exec
	s_and_b64 s[12:13], s[12:13], exec
	v_lshl_add_u64 v[16:17], v[16:17], 0, 4
	v_lshl_add_u64 v[18:19], v[18:19], 0, 4
	s_andn2_b64 s[16:17], s[16:17], exec
	s_or_b64 s[48:49], s[18:19], s[12:13]
                                        ; implicit-def: $sgpr52_sgpr53
	s_branch .LBB1493_1340
.LBB1493_1343:
	s_or_b64 exec, exec, s[44:45]
	s_xor_b64 s[12:13], s[46:47], -1
	s_orn2_b64 s[12:13], s[12:13], exec
.LBB1493_1344:
	s_or_b64 exec, exec, s[42:43]
	s_and_b64 s[16:17], s[12:13], exec
.LBB1493_1345:
	s_or_b64 exec, exec, s[28:29]
	s_orn2_b64 s[28:29], s[16:17], exec
.LBB1493_1346:
	s_or_b64 exec, exec, s[36:37]
	v_cndmask_b32_e64 v16, v22, v23, s[28:29]
	v_cndmask_b32_e64 v17, v99, v98, s[28:29]
	v_add_u32_e32 v20, 1, v16
	v_add_u32_e32 v16, -1, v17
	v_min_u32_e32 v16, v20, v16
	v_mov_b32_e32 v17, 0
	v_lshl_add_u64 v[18:19], v[16:17], 3, v[66:67]
	flat_load_dwordx2 v[18:19], v[18:19]
	v_cndmask_b32_e64 v100, v20, v22, s[28:29]
	s_mov_b64 s[36:37], -1
	v_cndmask_b32_e64 v101, v23, v20, s[28:29]
	v_cmp_lt_u32_e64 s[12:13], v100, v99
	s_mov_b64 s[42:43], -1
	s_waitcnt vmcnt(0) lgkmcnt(0)
	v_cndmask_b32_e64 v86, v19, v82, s[28:29]
	v_cndmask_b32_e64 v87, v18, v83, s[28:29]
	;; [unrolled: 1-line block ×4, first 2 shown]
	s_and_saveexec_b64 s[44:45], s[12:13]
	s_cbranch_execz .LBB1493_1356
; %bb.1347:
	v_cmp_lt_u32_e64 s[12:13], v101, v98
	s_mov_b64 s[16:17], 0
	s_and_saveexec_b64 s[42:43], s[12:13]
	s_cbranch_execz .LBB1493_1355
; %bb.1348:
	s_mov_b64 s[12:13], -1
	s_and_saveexec_b64 s[46:47], s[8:9]
	s_cbranch_execz .LBB1493_1354
; %bb.1349:
	v_mul_lo_u32 v16, v96, v6
	v_mul_lo_u32 v20, v97, v7
	v_mad_u64_u32 v[18:19], s[12:13], v97, v6, 0
	v_add3_u32 v19, v19, v20, v16
	v_mul_lo_u32 v16, v86, v6
	v_mul_lo_u32 v22, v87, v7
	v_mad_u64_u32 v[20:21], s[12:13], v87, v6, 0
	v_add3_u32 v21, v21, v22, v16
	v_lshl_add_u64 v[18:19], v[18:19], 2, v[8:9]
	v_lshl_add_u64 v[20:21], v[20:21], 2, v[8:9]
	s_mov_b64 s[48:49], 0
	v_mov_b64_e32 v[22:23], v[6:7]
                                        ; implicit-def: $sgpr50_sgpr51
                                        ; implicit-def: $sgpr52_sgpr53
                                        ; implicit-def: $sgpr16_sgpr17
                                        ; implicit-def: $sgpr54_sgpr55
                                        ; implicit-def: $sgpr56_sgpr57
	s_branch .LBB1493_1351
.LBB1493_1350:                          ;   in Loop: Header=BB1493_1351 Depth=1
	s_or_b64 exec, exec, s[58:59]
	s_and_b64 s[12:13], exec, s[52:53]
	s_or_b64 s[48:49], s[12:13], s[48:49]
	s_andn2_b64 s[12:13], s[56:57], exec
	s_and_b64 s[18:19], s[54:55], exec
	s_or_b64 s[56:57], s[12:13], s[18:19]
	s_andn2_b64 s[12:13], s[50:51], exec
	s_and_b64 s[18:19], s[16:17], exec
	s_or_b64 s[50:51], s[12:13], s[18:19]
	s_andn2_b64 exec, exec, s[48:49]
	s_cbranch_execz .LBB1493_1353
.LBB1493_1351:                          ; =>This Inner Loop Header: Depth=1
	flat_load_dword v16, v[20:21]
	flat_load_dword v102, v[18:19]
	s_andn2_b64 s[58:59], s[16:17], exec
	s_andn2_b64 s[54:55], s[54:55], exec
	s_or_b64 s[52:53], s[52:53], exec
	s_waitcnt vmcnt(0) lgkmcnt(0)
	v_cmp_le_u32_e64 s[16:17], v16, v102
	v_cmp_lt_u32_e64 s[12:13], v16, v102
	s_and_b64 s[16:17], s[16:17], s[56:57]
	s_or_b64 s[60:61], s[12:13], s[16:17]
	s_and_b64 s[12:13], s[60:61], exec
	v_cmp_eq_u32_e64 s[18:19], v16, v102
	s_or_b64 s[16:17], s[58:59], s[12:13]
	s_and_saveexec_b64 s[58:59], s[18:19]
	s_cbranch_execz .LBB1493_1350
; %bb.1352:                             ;   in Loop: Header=BB1493_1351 Depth=1
	v_lshl_add_u64 v[22:23], v[22:23], 0, -1
	v_cmp_eq_u64_e64 s[12:13], 0, v[22:23]
	s_andn2_b64 s[18:19], s[54:55], exec
	s_and_b64 s[54:55], s[60:61], exec
	s_or_b64 s[54:55], s[18:19], s[54:55]
	s_andn2_b64 s[18:19], s[52:53], exec
	s_and_b64 s[12:13], s[12:13], exec
	v_lshl_add_u64 v[18:19], v[18:19], 0, 4
	v_lshl_add_u64 v[20:21], v[20:21], 0, 4
	s_andn2_b64 s[16:17], s[16:17], exec
	s_or_b64 s[52:53], s[18:19], s[12:13]
                                        ; implicit-def: $sgpr56_sgpr57
	s_branch .LBB1493_1350
.LBB1493_1353:
	s_or_b64 exec, exec, s[48:49]
	s_xor_b64 s[12:13], s[50:51], -1
	s_orn2_b64 s[12:13], s[12:13], exec
.LBB1493_1354:
	s_or_b64 exec, exec, s[46:47]
	s_and_b64 s[16:17], s[12:13], exec
.LBB1493_1355:
	s_or_b64 exec, exec, s[42:43]
	s_orn2_b64 s[42:43], s[16:17], exec
.LBB1493_1356:
	s_or_b64 exec, exec, s[44:45]
	v_cndmask_b32_e64 v16, v100, v101, s[42:43]
	v_cndmask_b32_e64 v18, v99, v98, s[42:43]
	v_add_u32_e32 v19, 1, v16
	v_add_u32_e32 v16, -1, v18
	v_min_u32_e32 v16, v19, v16
	v_lshl_add_u64 v[16:17], v[16:17], 3, v[66:67]
	flat_load_dwordx2 v[16:17], v[16:17]
	v_cndmask_b32_e64 v103, v19, v100, s[42:43]
	v_cndmask_b32_e64 v100, v101, v19, s[42:43]
	v_cmp_lt_u32_e64 s[12:13], v103, v99
	s_waitcnt vmcnt(0) lgkmcnt(0)
	v_cndmask_b32_e64 v101, v17, v86, s[42:43]
	v_cndmask_b32_e64 v102, v16, v87, s[42:43]
	;; [unrolled: 1-line block ×4, first 2 shown]
	s_and_saveexec_b64 s[44:45], s[12:13]
	s_cbranch_execz .LBB1493_1366
; %bb.1357:
	v_cmp_lt_u32_e64 s[12:13], v100, v98
	s_mov_b64 s[16:17], 0
	s_and_saveexec_b64 s[36:37], s[12:13]
	s_cbranch_execz .LBB1493_1365
; %bb.1358:
	s_mov_b64 s[12:13], -1
	s_and_saveexec_b64 s[46:47], s[8:9]
	s_cbranch_execz .LBB1493_1364
; %bb.1359:
	v_mul_lo_u32 v18, v112, v6
	v_mul_lo_u32 v19, v113, v7
	v_mad_u64_u32 v[16:17], s[12:13], v113, v6, 0
	v_add3_u32 v17, v17, v19, v18
	v_mul_lo_u32 v20, v101, v6
	v_mul_lo_u32 v21, v102, v7
	v_mad_u64_u32 v[18:19], s[12:13], v102, v6, 0
	v_add3_u32 v19, v19, v21, v20
	v_lshl_add_u64 v[16:17], v[16:17], 2, v[8:9]
	v_lshl_add_u64 v[18:19], v[18:19], 2, v[8:9]
	s_mov_b64 s[48:49], 0
	v_mov_b64_e32 v[20:21], v[6:7]
                                        ; implicit-def: $sgpr50_sgpr51
                                        ; implicit-def: $sgpr52_sgpr53
                                        ; implicit-def: $sgpr16_sgpr17
                                        ; implicit-def: $sgpr54_sgpr55
                                        ; implicit-def: $sgpr56_sgpr57
	s_branch .LBB1493_1361
.LBB1493_1360:                          ;   in Loop: Header=BB1493_1361 Depth=1
	s_or_b64 exec, exec, s[58:59]
	s_and_b64 s[12:13], exec, s[52:53]
	s_or_b64 s[48:49], s[12:13], s[48:49]
	s_andn2_b64 s[12:13], s[56:57], exec
	s_and_b64 s[18:19], s[54:55], exec
	s_or_b64 s[56:57], s[12:13], s[18:19]
	s_andn2_b64 s[12:13], s[50:51], exec
	s_and_b64 s[18:19], s[16:17], exec
	s_or_b64 s[50:51], s[12:13], s[18:19]
	s_andn2_b64 exec, exec, s[48:49]
	s_cbranch_execz .LBB1493_1363
.LBB1493_1361:                          ; =>This Inner Loop Header: Depth=1
	flat_load_dword v22, v[18:19]
	flat_load_dword v23, v[16:17]
	s_andn2_b64 s[58:59], s[16:17], exec
	s_andn2_b64 s[54:55], s[54:55], exec
	s_or_b64 s[52:53], s[52:53], exec
	s_waitcnt vmcnt(0) lgkmcnt(0)
	v_cmp_le_u32_e64 s[16:17], v22, v23
	v_cmp_lt_u32_e64 s[12:13], v22, v23
	s_and_b64 s[16:17], s[16:17], s[56:57]
	s_or_b64 s[60:61], s[12:13], s[16:17]
	s_and_b64 s[12:13], s[60:61], exec
	v_cmp_eq_u32_e64 s[18:19], v22, v23
	s_or_b64 s[16:17], s[58:59], s[12:13]
	s_and_saveexec_b64 s[58:59], s[18:19]
	s_cbranch_execz .LBB1493_1360
; %bb.1362:                             ;   in Loop: Header=BB1493_1361 Depth=1
	v_lshl_add_u64 v[20:21], v[20:21], 0, -1
	v_cmp_eq_u64_e64 s[12:13], 0, v[20:21]
	s_andn2_b64 s[18:19], s[54:55], exec
	s_and_b64 s[54:55], s[60:61], exec
	s_or_b64 s[54:55], s[18:19], s[54:55]
	s_andn2_b64 s[18:19], s[52:53], exec
	s_and_b64 s[12:13], s[12:13], exec
	v_lshl_add_u64 v[16:17], v[16:17], 0, 4
	v_lshl_add_u64 v[18:19], v[18:19], 0, 4
	s_andn2_b64 s[16:17], s[16:17], exec
	s_or_b64 s[52:53], s[18:19], s[12:13]
                                        ; implicit-def: $sgpr56_sgpr57
	s_branch .LBB1493_1360
.LBB1493_1363:
	s_or_b64 exec, exec, s[48:49]
	s_xor_b64 s[12:13], s[50:51], -1
	s_orn2_b64 s[12:13], s[12:13], exec
.LBB1493_1364:
	s_or_b64 exec, exec, s[46:47]
	s_and_b64 s[16:17], s[12:13], exec
.LBB1493_1365:
	s_or_b64 exec, exec, s[36:37]
	s_orn2_b64 s[36:37], s[16:17], exec
.LBB1493_1366:
	s_or_b64 exec, exec, s[44:45]
	v_cndmask_b32_e64 v16, v103, v100, s[36:37]
	v_cndmask_b32_e64 v17, v99, v98, s[36:37]
	v_add_u32_e32 v114, 1, v16
	v_add_u32_e32 v16, -1, v17
	v_min_u32_e32 v16, v114, v16
	v_mov_b32_e32 v17, 0
	v_lshl_add_u64 v[16:17], v[16:17], 3, v[66:67]
	flat_load_dwordx2 v[66:67], v[16:17]
	v_cndmask_b32_e64 v21, v27, v68, s[24:25]
	v_cndmask_b32_e64 v27, v1, v25, s[26:27]
	;; [unrolled: 1-line block ×15, first 2 shown]
	v_cmp_lt_u32_e64 s[12:13], v1, v99
	s_waitcnt vmcnt(0) lgkmcnt(0)
	v_cndmask_b32_e64 v15, v112, v67, s[36:37]
	v_cndmask_b32_e64 v14, v113, v66, s[36:37]
	s_and_saveexec_b64 s[22:23], s[12:13]
	s_cbranch_execz .LBB1493_1376
; %bb.1367:
	v_cndmask_b32_e64 v1, v100, v114, s[36:37]
	v_cndmask_b32_e64 v67, v67, v101, s[36:37]
	v_cndmask_b32_e64 v66, v66, v102, s[36:37]
	v_cmp_lt_u32_e64 s[12:13], v1, v98
	s_and_saveexec_b64 s[24:25], s[12:13]
	s_cbranch_execz .LBB1493_1375
; %bb.1368:
	s_and_saveexec_b64 s[26:27], s[8:9]
	s_cbranch_execz .LBB1493_1374
; %bb.1369:
	v_mul_lo_u32 v1, v15, v6
	v_mul_lo_u32 v31, v14, v7
	v_mad_u64_u32 v[68:69], s[12:13], v14, v6, 0
	v_add3_u32 v69, v69, v31, v1
	v_mul_lo_u32 v1, v67, v6
	v_mul_lo_u32 v31, v66, v7
	v_mad_u64_u32 v[70:71], s[12:13], v66, v6, 0
	v_add3_u32 v71, v71, v31, v1
	v_lshl_add_u64 v[68:69], v[68:69], 2, v[8:9]
	v_lshl_add_u64 v[70:71], v[70:71], 2, v[8:9]
	s_mov_b64 s[28:29], 0
	v_mov_b64_e32 v[80:81], v[6:7]
                                        ; implicit-def: $sgpr34_sgpr35
                                        ; implicit-def: $sgpr36_sgpr37
                                        ; implicit-def: $sgpr16_sgpr17
                                        ; implicit-def: $sgpr42_sgpr43
                                        ; implicit-def: $sgpr44_sgpr45
	s_branch .LBB1493_1371
.LBB1493_1370:                          ;   in Loop: Header=BB1493_1371 Depth=1
	s_or_b64 exec, exec, s[46:47]
	s_and_b64 s[12:13], exec, s[36:37]
	s_or_b64 s[28:29], s[12:13], s[28:29]
	s_andn2_b64 s[12:13], s[44:45], exec
	s_and_b64 s[18:19], s[42:43], exec
	s_or_b64 s[44:45], s[12:13], s[18:19]
	s_andn2_b64 s[12:13], s[34:35], exec
	s_and_b64 s[18:19], s[16:17], exec
	s_or_b64 s[34:35], s[12:13], s[18:19]
	s_andn2_b64 exec, exec, s[28:29]
	s_cbranch_execz .LBB1493_1373
.LBB1493_1371:                          ; =>This Inner Loop Header: Depth=1
	flat_load_dword v1, v[70:71]
	flat_load_dword v31, v[68:69]
	s_andn2_b64 s[46:47], s[16:17], exec
	s_andn2_b64 s[42:43], s[42:43], exec
	s_or_b64 s[36:37], s[36:37], exec
	s_waitcnt vmcnt(0) lgkmcnt(0)
	v_cmp_le_u32_e64 s[16:17], v1, v31
	v_cmp_lt_u32_e64 s[12:13], v1, v31
	s_and_b64 s[16:17], s[16:17], s[44:45]
	s_or_b64 s[48:49], s[12:13], s[16:17]
	s_and_b64 s[12:13], s[48:49], exec
	v_cmp_eq_u32_e64 s[18:19], v1, v31
	s_or_b64 s[16:17], s[46:47], s[12:13]
	s_and_saveexec_b64 s[46:47], s[18:19]
	s_cbranch_execz .LBB1493_1370
; %bb.1372:                             ;   in Loop: Header=BB1493_1371 Depth=1
	v_lshl_add_u64 v[80:81], v[80:81], 0, -1
	v_cmp_eq_u64_e64 s[12:13], 0, v[80:81]
	s_andn2_b64 s[18:19], s[42:43], exec
	s_and_b64 s[42:43], s[48:49], exec
	s_or_b64 s[42:43], s[18:19], s[42:43]
	s_andn2_b64 s[18:19], s[36:37], exec
	s_and_b64 s[12:13], s[12:13], exec
	v_lshl_add_u64 v[68:69], v[68:69], 0, 4
	v_lshl_add_u64 v[70:71], v[70:71], 0, 4
	s_andn2_b64 s[16:17], s[16:17], exec
	s_or_b64 s[36:37], s[18:19], s[12:13]
                                        ; implicit-def: $sgpr44_sgpr45
	s_branch .LBB1493_1370
.LBB1493_1373:
	s_or_b64 exec, exec, s[28:29]
	v_cndmask_b32_e64 v15, v15, v67, s[34:35]
	v_cndmask_b32_e64 v14, v14, v66, s[34:35]
.LBB1493_1374:
	s_or_b64 exec, exec, s[26:27]
	v_mov_b64_e32 v[66:67], v[14:15]
.LBB1493_1375:
	s_or_b64 exec, exec, s[24:25]
	v_mov_b64_e32 v[14:15], v[66:67]
.LBB1493_1376:
	s_or_b64 exec, exec, s[22:23]
.LBB1493_1377:
	s_or_b64 exec, exec, s[20:21]
	s_movk_i32 s68, 0x80
	v_cmp_lt_u32_e64 s[12:13], s68, v0
	; wave barrier
	s_waitcnt lgkmcnt(0)
	s_barrier
	s_and_saveexec_b64 s[20:21], s[12:13]
	s_cbranch_execz .LBB1493_1475
; %bb.1378:
	v_lshlrev_b32_e32 v66, 3, v30
	v_mov_b32_e32 v67, 0
	v_lshl_add_u64 v[68:69], v[10:11], 0, v[66:67]
	s_mov_b64 s[22:23], 0
	s_branch .LBB1493_1384
.LBB1493_1379:                          ;   in Loop: Header=BB1493_1384 Depth=1
	s_or_b64 exec, exec, s[54:55]
	v_cndmask_b32_e64 v15, v15, v17, s[56:57]
	v_cndmask_b32_e64 v14, v14, v16, s[56:57]
.LBB1493_1380:                          ;   in Loop: Header=BB1493_1384 Depth=1
	s_or_b64 exec, exec, s[52:53]
	v_mov_b64_e32 v[16:17], v[14:15]
.LBB1493_1381:                          ;   in Loop: Header=BB1493_1384 Depth=1
	s_or_b64 exec, exec, s[50:51]
	v_mov_b64_e32 v[14:15], v[16:17]
.LBB1493_1382:                          ;   in Loop: Header=BB1493_1384 Depth=1
	s_or_b64 exec, exec, s[48:49]
	v_cndmask_b32_e64 v19, v100, v102, s[46:47]
	v_cndmask_b32_e64 v18, v101, v103, s[46:47]
	;; [unrolled: 1-line block ×14, first 2 shown]
.LBB1493_1383:                          ;   in Loop: Header=BB1493_1384 Depth=1
	s_or_b64 exec, exec, s[24:25]
	v_cmp_ge_u32_e64 s[12:13], s68, v0
	s_or_b64 s[22:23], s[12:13], s[22:23]
	s_barrier
	s_andn2_b64 exec, exec, s[22:23]
	s_cbranch_execz .LBB1493_1474
.LBB1493_1384:                          ; =>This Loop Header: Depth=1
                                        ;     Child Loop BB1493_1388 Depth 2
                                        ;       Child Loop BB1493_1391 Depth 3
                                        ;     Child Loop BB1493_1403 Depth 2
                                        ;     Child Loop BB1493_1412 Depth 2
                                        ;     Child Loop BB1493_1422 Depth 2
                                        ;     Child Loop BB1493_1432 Depth 2
                                        ;     Child Loop BB1493_1442 Depth 2
                                        ;     Child Loop BB1493_1452 Depth 2
                                        ;     Child Loop BB1493_1462 Depth 2
                                        ;     Child Loop BB1493_1472 Depth 2
	s_mov_b32 s12, s68
	s_lshl_b32 s68, s68, 1
	s_sub_i32 s16, 0, s68
	v_and_b32_e32 v31, s16, v30
	v_add_u32_e32 v1, s12, v31
	v_min_u32_e32 v70, v1, v0
	s_add_i32 s13, s68, -1
	v_add_u32_e32 v1, s12, v70
	v_min_u32_e32 v1, v1, v0
	v_and_b32_e32 v66, s13, v30
	v_min_u32_e32 v100, v66, v0
	v_sub_u32_e32 v66, v70, v31
	v_sub_u32_e32 v71, v1, v70
	v_sub_u32_e64 v101, v100, v71 clamp
	v_min_u32_e32 v102, v100, v66
	v_cmp_lt_u32_e64 s[12:13], v101, v102
	flat_store_dwordx4 v[68:69], v[24:27]
	flat_store_dwordx4 v[68:69], v[20:23] offset:16
	flat_store_dwordx4 v[68:69], v[16:19] offset:32
	;; [unrolled: 1-line block ×3, first 2 shown]
	s_waitcnt lgkmcnt(0)
	s_barrier
	s_and_saveexec_b64 s[24:25], s[12:13]
	s_cbranch_execz .LBB1493_1394
; %bb.1385:                             ;   in Loop: Header=BB1493_1384 Depth=1
	v_lshlrev_b32_e32 v66, 3, v31
	v_mov_b32_e32 v71, v67
	v_lshl_add_u64 v[80:81], v[10:11], 0, v[66:67]
	v_lshl_add_u64 v[82:83], v[70:71], 3, v[10:11]
	s_mov_b64 s[26:27], 0
	s_branch .LBB1493_1388
.LBB1493_1386:                          ;   in Loop: Header=BB1493_1388 Depth=2
	s_or_b64 exec, exec, s[34:35]
	s_and_b64 s[12:13], s[36:37], exec
.LBB1493_1387:                          ;   in Loop: Header=BB1493_1388 Depth=2
	s_or_b64 exec, exec, s[28:29]
	v_add_u32_e32 v66, 1, v84
	v_cndmask_b32_e64 v102, v102, v84, s[12:13]
	v_cndmask_b32_e64 v101, v66, v101, s[12:13]
	v_cmp_ge_u32_e64 s[12:13], v101, v102
	s_or_b64 s[26:27], s[12:13], s[26:27]
	s_andn2_b64 exec, exec, s[26:27]
	s_cbranch_execz .LBB1493_1393
.LBB1493_1388:                          ;   Parent Loop BB1493_1384 Depth=1
                                        ; =>  This Loop Header: Depth=2
                                        ;       Child Loop BB1493_1391 Depth 3
	v_add_u32_e32 v66, v102, v101
	v_lshrrev_b32_e32 v84, 1, v66
	s_mov_b64 s[12:13], 0
	s_and_saveexec_b64 s[28:29], s[8:9]
	s_cbranch_execz .LBB1493_1387
; %bb.1389:                             ;   in Loop: Header=BB1493_1388 Depth=2
	v_mov_b32_e32 v85, v67
	v_xad_u32 v66, v84, -1, v100
	v_lshl_add_u64 v[86:87], v[84:85], 3, v[80:81]
	v_lshl_add_u64 v[96:97], v[66:67], 3, v[82:83]
	flat_load_dwordx2 v[86:87], v[86:87]
	s_mov_b64 s[34:35], 0
	flat_load_dwordx2 v[96:97], v[96:97]
                                        ; implicit-def: $sgpr36_sgpr37
                                        ; implicit-def: $sgpr42_sgpr43
                                        ; implicit-def: $sgpr44_sgpr45
                                        ; implicit-def: $sgpr16_sgpr17
                                        ; implicit-def: $sgpr46_sgpr47
	s_waitcnt vmcnt(0) lgkmcnt(0)
	v_mul_lo_u32 v66, v64, v87
	v_mul_lo_u32 v71, v65, v86
	v_mad_u64_u32 v[86:87], s[12:13], v64, v86, v[8:9]
	v_mul_lo_u32 v85, v64, v97
	v_mul_lo_u32 v98, v65, v96
	v_mad_u64_u32 v[96:97], s[12:13], v64, v96, v[8:9]
	v_add3_u32 v87, v71, v87, v66
	v_add3_u32 v97, v98, v97, v85
	v_mov_b64_e32 v[98:99], v[6:7]
	s_branch .LBB1493_1391
.LBB1493_1390:                          ;   in Loop: Header=BB1493_1391 Depth=3
	s_or_b64 exec, exec, s[48:49]
	s_and_b64 s[12:13], exec, s[42:43]
	s_or_b64 s[34:35], s[12:13], s[34:35]
	s_andn2_b64 s[12:13], s[46:47], exec
	s_and_b64 s[18:19], s[44:45], exec
	s_or_b64 s[46:47], s[12:13], s[18:19]
	s_andn2_b64 s[12:13], s[36:37], exec
	s_and_b64 s[18:19], s[16:17], exec
	s_or_b64 s[36:37], s[12:13], s[18:19]
	s_andn2_b64 exec, exec, s[34:35]
	s_cbranch_execz .LBB1493_1386
.LBB1493_1391:                          ;   Parent Loop BB1493_1384 Depth=1
                                        ;     Parent Loop BB1493_1388 Depth=2
                                        ; =>    This Inner Loop Header: Depth=3
	flat_load_dword v66, v[96:97]
	flat_load_dword v71, v[86:87]
	s_andn2_b64 s[48:49], s[16:17], exec
	s_andn2_b64 s[44:45], s[44:45], exec
	s_or_b64 s[42:43], s[42:43], exec
	s_waitcnt vmcnt(0) lgkmcnt(0)
	v_cmp_le_u32_e64 s[16:17], v66, v71
	v_cmp_lt_u32_e64 s[12:13], v66, v71
	s_and_b64 s[16:17], s[16:17], s[46:47]
	s_or_b64 s[50:51], s[12:13], s[16:17]
	s_and_b64 s[12:13], s[50:51], exec
	v_cmp_eq_u32_e64 s[18:19], v66, v71
	s_or_b64 s[16:17], s[48:49], s[12:13]
	s_and_saveexec_b64 s[48:49], s[18:19]
	s_cbranch_execz .LBB1493_1390
; %bb.1392:                             ;   in Loop: Header=BB1493_1391 Depth=3
	v_lshl_add_u64 v[98:99], v[98:99], 0, -1
	v_cmp_eq_u64_e64 s[12:13], 0, v[98:99]
	s_andn2_b64 s[18:19], s[44:45], exec
	s_and_b64 s[44:45], s[50:51], exec
	s_or_b64 s[44:45], s[18:19], s[44:45]
	s_andn2_b64 s[18:19], s[42:43], exec
	s_and_b64 s[12:13], s[12:13], exec
	v_lshl_add_u64 v[86:87], v[86:87], 0, 4
	v_lshl_add_u64 v[96:97], v[96:97], 0, 4
	s_andn2_b64 s[16:17], s[16:17], exec
	s_or_b64 s[42:43], s[18:19], s[12:13]
                                        ; implicit-def: $sgpr46_sgpr47
	s_branch .LBB1493_1390
.LBB1493_1393:                          ;   in Loop: Header=BB1493_1384 Depth=1
	s_or_b64 exec, exec, s[26:27]
.LBB1493_1394:                          ;   in Loop: Header=BB1493_1384 Depth=1
	s_or_b64 exec, exec, s[24:25]
	v_sub_u32_e32 v66, v100, v101
	v_add_u32_e32 v80, v101, v31
	v_add_u32_e32 v82, v66, v70
	v_cmp_le_u32_e64 s[12:13], v80, v70
	v_cmp_le_u32_e64 s[16:17], v82, v1
	s_or_b64 s[12:13], s[12:13], s[16:17]
	s_and_saveexec_b64 s[24:25], s[12:13]
	s_cbranch_execz .LBB1493_1383
; %bb.1395:                             ;   in Loop: Header=BB1493_1384 Depth=1
	v_cmp_ge_u32_e64 s[16:17], v80, v70
	v_cmp_lt_u32_e64 s[12:13], v80, v70
                                        ; implicit-def: $vgpr12_vgpr13
	s_and_saveexec_b64 s[18:19], s[12:13]
	s_cbranch_execz .LBB1493_1397
; %bb.1396:                             ;   in Loop: Header=BB1493_1384 Depth=1
	v_mov_b32_e32 v81, v67
	v_lshl_add_u64 v[12:13], v[80:81], 3, v[10:11]
	flat_load_dwordx2 v[12:13], v[12:13]
.LBB1493_1397:                          ;   in Loop: Header=BB1493_1384 Depth=1
	s_or_b64 exec, exec, s[18:19]
	v_cmp_ge_u32_e64 s[26:27], v82, v1
	v_cmp_lt_u32_e64 s[12:13], v82, v1
                                        ; implicit-def: $vgpr24_vgpr25
	s_and_saveexec_b64 s[18:19], s[12:13]
	s_cbranch_execz .LBB1493_1399
; %bb.1398:                             ;   in Loop: Header=BB1493_1384 Depth=1
	v_mov_b32_e32 v83, v67
	v_lshl_add_u64 v[14:15], v[82:83], 3, v[10:11]
	flat_load_dwordx2 v[24:25], v[14:15]
.LBB1493_1399:                          ;   in Loop: Header=BB1493_1384 Depth=1
	s_or_b64 exec, exec, s[18:19]
	s_or_b64 s[12:13], s[16:17], s[26:27]
	s_xor_b64 s[12:13], s[12:13], -1
	s_and_saveexec_b64 s[28:29], s[12:13]
	s_cbranch_execz .LBB1493_1407
; %bb.1400:                             ;   in Loop: Header=BB1493_1384 Depth=1
	s_mov_b64 s[12:13], 0
	s_and_saveexec_b64 s[34:35], s[8:9]
	s_cbranch_execz .LBB1493_1406
; %bb.1401:                             ;   in Loop: Header=BB1493_1384 Depth=1
	s_waitcnt vmcnt(0) lgkmcnt(0)
	v_mad_u64_u32 v[14:15], s[12:13], v64, v12, v[8:9]
	v_mul_lo_u32 v16, v64, v13
	v_mul_lo_u32 v17, v65, v12
	v_add3_u32 v15, v17, v15, v16
	v_mad_u64_u32 v[16:17], s[12:13], v64, v24, v[8:9]
	v_mul_lo_u32 v18, v64, v25
	v_mul_lo_u32 v19, v65, v24
	v_add3_u32 v17, v19, v17, v18
	s_mov_b64 s[36:37], 0
	v_mov_b64_e32 v[18:19], v[6:7]
                                        ; implicit-def: $sgpr42_sgpr43
                                        ; implicit-def: $sgpr44_sgpr45
                                        ; implicit-def: $sgpr46_sgpr47
                                        ; implicit-def: $sgpr16_sgpr17
                                        ; implicit-def: $sgpr48_sgpr49
	s_branch .LBB1493_1403
.LBB1493_1402:                          ;   in Loop: Header=BB1493_1403 Depth=2
	s_or_b64 exec, exec, s[50:51]
	s_and_b64 s[12:13], exec, s[44:45]
	s_or_b64 s[36:37], s[12:13], s[36:37]
	s_andn2_b64 s[12:13], s[48:49], exec
	s_and_b64 s[18:19], s[46:47], exec
	s_or_b64 s[48:49], s[12:13], s[18:19]
	s_andn2_b64 s[12:13], s[42:43], exec
	s_and_b64 s[18:19], s[16:17], exec
	s_or_b64 s[42:43], s[12:13], s[18:19]
	s_andn2_b64 exec, exec, s[36:37]
	s_cbranch_execz .LBB1493_1405
.LBB1493_1403:                          ;   Parent Loop BB1493_1384 Depth=1
                                        ; =>  This Inner Loop Header: Depth=2
	flat_load_dword v20, v[16:17]
	flat_load_dword v21, v[14:15]
	s_andn2_b64 s[50:51], s[16:17], exec
	s_andn2_b64 s[46:47], s[46:47], exec
	s_or_b64 s[44:45], s[44:45], exec
	s_waitcnt vmcnt(0) lgkmcnt(0)
	v_cmp_le_u32_e64 s[16:17], v20, v21
	v_cmp_lt_u32_e64 s[12:13], v20, v21
	s_and_b64 s[16:17], s[16:17], s[48:49]
	s_or_b64 s[52:53], s[12:13], s[16:17]
	s_and_b64 s[12:13], s[52:53], exec
	v_cmp_eq_u32_e64 s[18:19], v20, v21
	s_or_b64 s[16:17], s[50:51], s[12:13]
	s_and_saveexec_b64 s[50:51], s[18:19]
	s_cbranch_execz .LBB1493_1402
; %bb.1404:                             ;   in Loop: Header=BB1493_1403 Depth=2
	v_lshl_add_u64 v[18:19], v[18:19], 0, -1
	v_cmp_eq_u64_e64 s[12:13], 0, v[18:19]
	s_andn2_b64 s[18:19], s[46:47], exec
	s_and_b64 s[46:47], s[52:53], exec
	s_or_b64 s[46:47], s[18:19], s[46:47]
	s_andn2_b64 s[18:19], s[44:45], exec
	s_and_b64 s[12:13], s[12:13], exec
	v_lshl_add_u64 v[14:15], v[14:15], 0, 4
	v_lshl_add_u64 v[16:17], v[16:17], 0, 4
	s_andn2_b64 s[16:17], s[16:17], exec
	s_or_b64 s[44:45], s[18:19], s[12:13]
                                        ; implicit-def: $sgpr48_sgpr49
	s_branch .LBB1493_1402
.LBB1493_1405:                          ;   in Loop: Header=BB1493_1384 Depth=1
	s_or_b64 exec, exec, s[36:37]
	s_and_b64 s[12:13], s[42:43], exec
.LBB1493_1406:                          ;   in Loop: Header=BB1493_1384 Depth=1
	s_or_b64 exec, exec, s[34:35]
	s_xor_b64 s[12:13], s[12:13], -1
	s_andn2_b64 s[16:17], s[26:27], exec
	s_and_b64 s[12:13], s[12:13], exec
	s_or_b64 s[26:27], s[16:17], s[12:13]
.LBB1493_1407:                          ;   in Loop: Header=BB1493_1384 Depth=1
	s_or_b64 exec, exec, s[28:29]
	v_cndmask_b32_e64 v14, v82, v80, s[26:27]
	v_cndmask_b32_e64 v15, v1, v70, s[26:27]
	v_add_u32_e32 v16, 1, v14
	v_add_u32_e32 v14, -1, v15
	v_min_u32_e32 v66, v16, v14
	v_lshl_add_u64 v[14:15], v[66:67], 3, v[10:11]
	flat_load_dwordx2 v[14:15], v[14:15]
	v_cndmask_b32_e64 v20, v16, v82, s[26:27]
	s_mov_b64 s[28:29], -1
	v_cndmask_b32_e64 v21, v80, v16, s[26:27]
	v_cmp_lt_u32_e64 s[12:13], v20, v1
	s_mov_b64 s[34:35], -1
	s_waitcnt vmcnt(0) lgkmcnt(0)
	v_cndmask_b32_e64 v26, v15, v25, s[26:27]
	v_cndmask_b32_e64 v31, v14, v24, s[26:27]
	;; [unrolled: 1-line block ×4, first 2 shown]
	s_and_saveexec_b64 s[36:37], s[12:13]
	s_cbranch_execz .LBB1493_1417
; %bb.1408:                             ;   in Loop: Header=BB1493_1384 Depth=1
	v_cmp_lt_u32_e64 s[12:13], v21, v70
	s_mov_b64 s[16:17], 0
	s_and_saveexec_b64 s[34:35], s[12:13]
	s_cbranch_execz .LBB1493_1416
; %bb.1409:                             ;   in Loop: Header=BB1493_1384 Depth=1
	s_mov_b64 s[12:13], 0
	s_and_saveexec_b64 s[42:43], s[8:9]
	s_cbranch_execz .LBB1493_1415
; %bb.1410:                             ;   in Loop: Header=BB1493_1384 Depth=1
	v_mad_u64_u32 v[14:15], s[12:13], v64, v71, v[8:9]
	v_mul_lo_u32 v16, v64, v27
	v_mul_lo_u32 v17, v65, v71
	v_add3_u32 v15, v17, v15, v16
	v_mad_u64_u32 v[16:17], s[12:13], v64, v31, v[8:9]
	v_mul_lo_u32 v18, v64, v26
	v_mul_lo_u32 v19, v65, v31
	v_add3_u32 v17, v19, v17, v18
	s_mov_b64 s[44:45], 0
	v_mov_b64_e32 v[18:19], v[6:7]
                                        ; implicit-def: $sgpr46_sgpr47
                                        ; implicit-def: $sgpr48_sgpr49
                                        ; implicit-def: $sgpr50_sgpr51
                                        ; implicit-def: $sgpr16_sgpr17
                                        ; implicit-def: $sgpr52_sgpr53
	s_branch .LBB1493_1412
.LBB1493_1411:                          ;   in Loop: Header=BB1493_1412 Depth=2
	s_or_b64 exec, exec, s[54:55]
	s_and_b64 s[12:13], exec, s[48:49]
	s_or_b64 s[44:45], s[12:13], s[44:45]
	s_andn2_b64 s[12:13], s[52:53], exec
	s_and_b64 s[18:19], s[50:51], exec
	s_or_b64 s[52:53], s[12:13], s[18:19]
	s_andn2_b64 s[12:13], s[46:47], exec
	s_and_b64 s[18:19], s[16:17], exec
	s_or_b64 s[46:47], s[12:13], s[18:19]
	s_andn2_b64 exec, exec, s[44:45]
	s_cbranch_execz .LBB1493_1414
.LBB1493_1412:                          ;   Parent Loop BB1493_1384 Depth=1
                                        ; =>  This Inner Loop Header: Depth=2
	flat_load_dword v22, v[16:17]
	flat_load_dword v23, v[14:15]
	s_andn2_b64 s[54:55], s[16:17], exec
	s_andn2_b64 s[50:51], s[50:51], exec
	s_or_b64 s[48:49], s[48:49], exec
	s_waitcnt vmcnt(0) lgkmcnt(0)
	v_cmp_le_u32_e64 s[16:17], v22, v23
	v_cmp_lt_u32_e64 s[12:13], v22, v23
	s_and_b64 s[16:17], s[16:17], s[52:53]
	s_or_b64 s[56:57], s[12:13], s[16:17]
	s_and_b64 s[12:13], s[56:57], exec
	v_cmp_eq_u32_e64 s[18:19], v22, v23
	s_or_b64 s[16:17], s[54:55], s[12:13]
	s_and_saveexec_b64 s[54:55], s[18:19]
	s_cbranch_execz .LBB1493_1411
; %bb.1413:                             ;   in Loop: Header=BB1493_1412 Depth=2
	v_lshl_add_u64 v[18:19], v[18:19], 0, -1
	v_cmp_eq_u64_e64 s[12:13], 0, v[18:19]
	s_andn2_b64 s[18:19], s[50:51], exec
	s_and_b64 s[50:51], s[56:57], exec
	s_or_b64 s[50:51], s[18:19], s[50:51]
	s_andn2_b64 s[18:19], s[48:49], exec
	s_and_b64 s[12:13], s[12:13], exec
	v_lshl_add_u64 v[14:15], v[14:15], 0, 4
	v_lshl_add_u64 v[16:17], v[16:17], 0, 4
	s_andn2_b64 s[16:17], s[16:17], exec
	s_or_b64 s[48:49], s[18:19], s[12:13]
                                        ; implicit-def: $sgpr52_sgpr53
	s_branch .LBB1493_1411
.LBB1493_1414:                          ;   in Loop: Header=BB1493_1384 Depth=1
	s_or_b64 exec, exec, s[44:45]
	s_and_b64 s[12:13], s[46:47], exec
.LBB1493_1415:                          ;   in Loop: Header=BB1493_1384 Depth=1
	s_or_b64 exec, exec, s[42:43]
	s_xor_b64 s[12:13], s[12:13], -1
	s_and_b64 s[16:17], s[12:13], exec
.LBB1493_1416:                          ;   in Loop: Header=BB1493_1384 Depth=1
	s_or_b64 exec, exec, s[34:35]
	s_orn2_b64 s[34:35], s[16:17], exec
.LBB1493_1417:                          ;   in Loop: Header=BB1493_1384 Depth=1
	s_or_b64 exec, exec, s[36:37]
	v_cndmask_b32_e64 v14, v20, v21, s[34:35]
	v_cndmask_b32_e64 v15, v1, v70, s[34:35]
	v_add_u32_e32 v16, 1, v14
	v_add_u32_e32 v14, -1, v15
	v_min_u32_e32 v66, v16, v14
	v_lshl_add_u64 v[14:15], v[66:67], 3, v[10:11]
	flat_load_dwordx2 v[14:15], v[14:15]
	v_cndmask_b32_e64 v20, v16, v20, s[34:35]
	v_cndmask_b32_e64 v21, v21, v16, s[34:35]
	v_cmp_lt_u32_e64 s[12:13], v20, v1
	s_waitcnt vmcnt(0) lgkmcnt(0)
	v_cndmask_b32_e64 v80, v15, v26, s[34:35]
	v_cndmask_b32_e64 v81, v14, v31, s[34:35]
	;; [unrolled: 1-line block ×4, first 2 shown]
	s_and_saveexec_b64 s[36:37], s[12:13]
	s_cbranch_execz .LBB1493_1427
; %bb.1418:                             ;   in Loop: Header=BB1493_1384 Depth=1
	v_cmp_lt_u32_e64 s[12:13], v21, v70
	s_mov_b64 s[16:17], 0
	s_and_saveexec_b64 s[28:29], s[12:13]
	s_cbranch_execz .LBB1493_1426
; %bb.1419:                             ;   in Loop: Header=BB1493_1384 Depth=1
	s_mov_b64 s[12:13], 0
	s_and_saveexec_b64 s[42:43], s[8:9]
	s_cbranch_execz .LBB1493_1425
; %bb.1420:                             ;   in Loop: Header=BB1493_1384 Depth=1
	v_mad_u64_u32 v[14:15], s[12:13], v64, v83, v[8:9]
	v_mul_lo_u32 v16, v64, v82
	v_mul_lo_u32 v17, v65, v83
	v_add3_u32 v15, v17, v15, v16
	v_mad_u64_u32 v[16:17], s[12:13], v64, v81, v[8:9]
	v_mul_lo_u32 v18, v64, v80
	v_mul_lo_u32 v19, v65, v81
	v_add3_u32 v17, v19, v17, v18
	s_mov_b64 s[44:45], 0
	v_mov_b64_e32 v[18:19], v[6:7]
                                        ; implicit-def: $sgpr46_sgpr47
                                        ; implicit-def: $sgpr48_sgpr49
                                        ; implicit-def: $sgpr50_sgpr51
                                        ; implicit-def: $sgpr16_sgpr17
                                        ; implicit-def: $sgpr52_sgpr53
	s_branch .LBB1493_1422
.LBB1493_1421:                          ;   in Loop: Header=BB1493_1422 Depth=2
	s_or_b64 exec, exec, s[54:55]
	s_and_b64 s[12:13], exec, s[48:49]
	s_or_b64 s[44:45], s[12:13], s[44:45]
	s_andn2_b64 s[12:13], s[52:53], exec
	s_and_b64 s[18:19], s[50:51], exec
	s_or_b64 s[52:53], s[12:13], s[18:19]
	s_andn2_b64 s[12:13], s[46:47], exec
	s_and_b64 s[18:19], s[16:17], exec
	s_or_b64 s[46:47], s[12:13], s[18:19]
	s_andn2_b64 exec, exec, s[44:45]
	s_cbranch_execz .LBB1493_1424
.LBB1493_1422:                          ;   Parent Loop BB1493_1384 Depth=1
                                        ; =>  This Inner Loop Header: Depth=2
	flat_load_dword v22, v[16:17]
	flat_load_dword v23, v[14:15]
	s_andn2_b64 s[54:55], s[16:17], exec
	s_andn2_b64 s[50:51], s[50:51], exec
	s_or_b64 s[48:49], s[48:49], exec
	s_waitcnt vmcnt(0) lgkmcnt(0)
	v_cmp_le_u32_e64 s[16:17], v22, v23
	v_cmp_lt_u32_e64 s[12:13], v22, v23
	s_and_b64 s[16:17], s[16:17], s[52:53]
	s_or_b64 s[56:57], s[12:13], s[16:17]
	s_and_b64 s[12:13], s[56:57], exec
	v_cmp_eq_u32_e64 s[18:19], v22, v23
	s_or_b64 s[16:17], s[54:55], s[12:13]
	s_and_saveexec_b64 s[54:55], s[18:19]
	s_cbranch_execz .LBB1493_1421
; %bb.1423:                             ;   in Loop: Header=BB1493_1422 Depth=2
	v_lshl_add_u64 v[18:19], v[18:19], 0, -1
	v_cmp_eq_u64_e64 s[12:13], 0, v[18:19]
	s_andn2_b64 s[18:19], s[50:51], exec
	s_and_b64 s[50:51], s[56:57], exec
	s_or_b64 s[50:51], s[18:19], s[50:51]
	s_andn2_b64 s[18:19], s[48:49], exec
	s_and_b64 s[12:13], s[12:13], exec
	v_lshl_add_u64 v[14:15], v[14:15], 0, 4
	v_lshl_add_u64 v[16:17], v[16:17], 0, 4
	s_andn2_b64 s[16:17], s[16:17], exec
	s_or_b64 s[48:49], s[18:19], s[12:13]
                                        ; implicit-def: $sgpr52_sgpr53
	s_branch .LBB1493_1421
.LBB1493_1424:                          ;   in Loop: Header=BB1493_1384 Depth=1
	s_or_b64 exec, exec, s[44:45]
	s_and_b64 s[12:13], s[46:47], exec
.LBB1493_1425:                          ;   in Loop: Header=BB1493_1384 Depth=1
	s_or_b64 exec, exec, s[42:43]
	s_xor_b64 s[12:13], s[12:13], -1
	s_and_b64 s[16:17], s[12:13], exec
.LBB1493_1426:                          ;   in Loop: Header=BB1493_1384 Depth=1
	s_or_b64 exec, exec, s[28:29]
	s_orn2_b64 s[28:29], s[16:17], exec
.LBB1493_1427:                          ;   in Loop: Header=BB1493_1384 Depth=1
	s_or_b64 exec, exec, s[36:37]
	v_cndmask_b32_e64 v14, v20, v21, s[28:29]
	v_cndmask_b32_e64 v15, v1, v70, s[28:29]
	v_add_u32_e32 v16, 1, v14
	v_add_u32_e32 v14, -1, v15
	v_min_u32_e32 v66, v16, v14
	v_lshl_add_u64 v[14:15], v[66:67], 3, v[10:11]
	flat_load_dwordx2 v[14:15], v[14:15]
	v_cndmask_b32_e64 v20, v16, v20, s[28:29]
	s_mov_b64 s[36:37], -1
	v_cndmask_b32_e64 v21, v21, v16, s[28:29]
	v_cmp_lt_u32_e64 s[12:13], v20, v1
	s_mov_b64 s[42:43], -1
	s_waitcnt vmcnt(0) lgkmcnt(0)
	v_cndmask_b32_e64 v84, v15, v80, s[28:29]
	v_cndmask_b32_e64 v85, v14, v81, s[28:29]
	;; [unrolled: 1-line block ×4, first 2 shown]
	s_and_saveexec_b64 s[44:45], s[12:13]
	s_cbranch_execz .LBB1493_1437
; %bb.1428:                             ;   in Loop: Header=BB1493_1384 Depth=1
	v_cmp_lt_u32_e64 s[12:13], v21, v70
	s_mov_b64 s[16:17], 0
	s_and_saveexec_b64 s[42:43], s[12:13]
	s_cbranch_execz .LBB1493_1436
; %bb.1429:                             ;   in Loop: Header=BB1493_1384 Depth=1
	s_mov_b64 s[12:13], -1
	s_and_saveexec_b64 s[46:47], s[8:9]
	s_cbranch_execz .LBB1493_1435
; %bb.1430:                             ;   in Loop: Header=BB1493_1384 Depth=1
	v_mad_u64_u32 v[14:15], s[12:13], v64, v87, v[8:9]
	v_mul_lo_u32 v16, v64, v86
	v_mul_lo_u32 v17, v65, v87
	v_add3_u32 v15, v17, v15, v16
	v_mad_u64_u32 v[16:17], s[12:13], v64, v85, v[8:9]
	v_mul_lo_u32 v18, v64, v84
	v_mul_lo_u32 v19, v65, v85
	v_add3_u32 v17, v19, v17, v18
	s_mov_b64 s[48:49], 0
	v_mov_b64_e32 v[18:19], v[6:7]
                                        ; implicit-def: $sgpr50_sgpr51
                                        ; implicit-def: $sgpr52_sgpr53
                                        ; implicit-def: $sgpr16_sgpr17
                                        ; implicit-def: $sgpr54_sgpr55
                                        ; implicit-def: $sgpr56_sgpr57
	s_branch .LBB1493_1432
.LBB1493_1431:                          ;   in Loop: Header=BB1493_1432 Depth=2
	s_or_b64 exec, exec, s[58:59]
	s_and_b64 s[12:13], exec, s[52:53]
	s_or_b64 s[48:49], s[12:13], s[48:49]
	s_andn2_b64 s[12:13], s[56:57], exec
	s_and_b64 s[18:19], s[54:55], exec
	s_or_b64 s[56:57], s[12:13], s[18:19]
	s_andn2_b64 s[12:13], s[50:51], exec
	s_and_b64 s[18:19], s[16:17], exec
	s_or_b64 s[50:51], s[12:13], s[18:19]
	s_andn2_b64 exec, exec, s[48:49]
	s_cbranch_execz .LBB1493_1434
.LBB1493_1432:                          ;   Parent Loop BB1493_1384 Depth=1
                                        ; =>  This Inner Loop Header: Depth=2
	flat_load_dword v22, v[16:17]
	flat_load_dword v23, v[14:15]
	s_andn2_b64 s[58:59], s[16:17], exec
	s_andn2_b64 s[54:55], s[54:55], exec
	s_or_b64 s[52:53], s[52:53], exec
	s_waitcnt vmcnt(0) lgkmcnt(0)
	v_cmp_le_u32_e64 s[16:17], v22, v23
	v_cmp_lt_u32_e64 s[12:13], v22, v23
	s_and_b64 s[16:17], s[16:17], s[56:57]
	s_or_b64 s[60:61], s[12:13], s[16:17]
	s_and_b64 s[12:13], s[60:61], exec
	v_cmp_eq_u32_e64 s[18:19], v22, v23
	s_or_b64 s[16:17], s[58:59], s[12:13]
	s_and_saveexec_b64 s[58:59], s[18:19]
	s_cbranch_execz .LBB1493_1431
; %bb.1433:                             ;   in Loop: Header=BB1493_1432 Depth=2
	v_lshl_add_u64 v[18:19], v[18:19], 0, -1
	v_cmp_eq_u64_e64 s[12:13], 0, v[18:19]
	s_andn2_b64 s[18:19], s[54:55], exec
	s_and_b64 s[54:55], s[60:61], exec
	s_or_b64 s[54:55], s[18:19], s[54:55]
	s_andn2_b64 s[18:19], s[52:53], exec
	s_and_b64 s[12:13], s[12:13], exec
	v_lshl_add_u64 v[14:15], v[14:15], 0, 4
	v_lshl_add_u64 v[16:17], v[16:17], 0, 4
	s_andn2_b64 s[16:17], s[16:17], exec
	s_or_b64 s[52:53], s[18:19], s[12:13]
                                        ; implicit-def: $sgpr56_sgpr57
	s_branch .LBB1493_1431
.LBB1493_1434:                          ;   in Loop: Header=BB1493_1384 Depth=1
	s_or_b64 exec, exec, s[48:49]
	s_xor_b64 s[12:13], s[50:51], -1
	s_orn2_b64 s[12:13], s[12:13], exec
.LBB1493_1435:                          ;   in Loop: Header=BB1493_1384 Depth=1
	s_or_b64 exec, exec, s[46:47]
	s_and_b64 s[16:17], s[12:13], exec
.LBB1493_1436:                          ;   in Loop: Header=BB1493_1384 Depth=1
	s_or_b64 exec, exec, s[42:43]
	s_orn2_b64 s[42:43], s[16:17], exec
.LBB1493_1437:                          ;   in Loop: Header=BB1493_1384 Depth=1
	s_or_b64 exec, exec, s[44:45]
	v_cndmask_b32_e64 v14, v20, v21, s[42:43]
	v_cndmask_b32_e64 v15, v1, v70, s[42:43]
	v_add_u32_e32 v16, 1, v14
	v_add_u32_e32 v14, -1, v15
	v_min_u32_e32 v66, v16, v14
	v_lshl_add_u64 v[14:15], v[66:67], 3, v[10:11]
	flat_load_dwordx2 v[14:15], v[14:15]
	v_cndmask_b32_e64 v20, v16, v20, s[42:43]
	v_cndmask_b32_e64 v21, v21, v16, s[42:43]
	v_cmp_lt_u32_e64 s[12:13], v20, v1
	s_waitcnt vmcnt(0) lgkmcnt(0)
	v_cndmask_b32_e64 v96, v15, v84, s[42:43]
	v_cndmask_b32_e64 v97, v14, v85, s[42:43]
	;; [unrolled: 1-line block ×4, first 2 shown]
	s_and_saveexec_b64 s[44:45], s[12:13]
	s_cbranch_execz .LBB1493_1447
; %bb.1438:                             ;   in Loop: Header=BB1493_1384 Depth=1
	v_cmp_lt_u32_e64 s[12:13], v21, v70
	s_mov_b64 s[16:17], 0
	s_and_saveexec_b64 s[36:37], s[12:13]
	s_cbranch_execz .LBB1493_1446
; %bb.1439:                             ;   in Loop: Header=BB1493_1384 Depth=1
	s_mov_b64 s[12:13], -1
	s_and_saveexec_b64 s[46:47], s[8:9]
	s_cbranch_execz .LBB1493_1445
; %bb.1440:                             ;   in Loop: Header=BB1493_1384 Depth=1
	v_mad_u64_u32 v[14:15], s[12:13], v64, v99, v[8:9]
	v_mul_lo_u32 v16, v64, v98
	v_mul_lo_u32 v17, v65, v99
	v_add3_u32 v15, v17, v15, v16
	v_mad_u64_u32 v[16:17], s[12:13], v64, v97, v[8:9]
	v_mul_lo_u32 v18, v64, v96
	v_mul_lo_u32 v19, v65, v97
	v_add3_u32 v17, v19, v17, v18
	s_mov_b64 s[48:49], 0
	v_mov_b64_e32 v[18:19], v[6:7]
                                        ; implicit-def: $sgpr50_sgpr51
                                        ; implicit-def: $sgpr52_sgpr53
                                        ; implicit-def: $sgpr16_sgpr17
                                        ; implicit-def: $sgpr54_sgpr55
                                        ; implicit-def: $sgpr56_sgpr57
	s_branch .LBB1493_1442
.LBB1493_1441:                          ;   in Loop: Header=BB1493_1442 Depth=2
	s_or_b64 exec, exec, s[58:59]
	s_and_b64 s[12:13], exec, s[52:53]
	s_or_b64 s[48:49], s[12:13], s[48:49]
	s_andn2_b64 s[12:13], s[56:57], exec
	s_and_b64 s[18:19], s[54:55], exec
	s_or_b64 s[56:57], s[12:13], s[18:19]
	s_andn2_b64 s[12:13], s[50:51], exec
	s_and_b64 s[18:19], s[16:17], exec
	s_or_b64 s[50:51], s[12:13], s[18:19]
	s_andn2_b64 exec, exec, s[48:49]
	s_cbranch_execz .LBB1493_1444
.LBB1493_1442:                          ;   Parent Loop BB1493_1384 Depth=1
                                        ; =>  This Inner Loop Header: Depth=2
	flat_load_dword v22, v[16:17]
	flat_load_dword v23, v[14:15]
	s_andn2_b64 s[58:59], s[16:17], exec
	s_andn2_b64 s[54:55], s[54:55], exec
	s_or_b64 s[52:53], s[52:53], exec
	s_waitcnt vmcnt(0) lgkmcnt(0)
	v_cmp_le_u32_e64 s[16:17], v22, v23
	v_cmp_lt_u32_e64 s[12:13], v22, v23
	s_and_b64 s[16:17], s[16:17], s[56:57]
	s_or_b64 s[60:61], s[12:13], s[16:17]
	s_and_b64 s[12:13], s[60:61], exec
	v_cmp_eq_u32_e64 s[18:19], v22, v23
	s_or_b64 s[16:17], s[58:59], s[12:13]
	s_and_saveexec_b64 s[58:59], s[18:19]
	s_cbranch_execz .LBB1493_1441
; %bb.1443:                             ;   in Loop: Header=BB1493_1442 Depth=2
	v_lshl_add_u64 v[18:19], v[18:19], 0, -1
	v_cmp_eq_u64_e64 s[12:13], 0, v[18:19]
	s_andn2_b64 s[18:19], s[54:55], exec
	s_and_b64 s[54:55], s[60:61], exec
	s_or_b64 s[54:55], s[18:19], s[54:55]
	s_andn2_b64 s[18:19], s[52:53], exec
	s_and_b64 s[12:13], s[12:13], exec
	v_lshl_add_u64 v[14:15], v[14:15], 0, 4
	v_lshl_add_u64 v[16:17], v[16:17], 0, 4
	s_andn2_b64 s[16:17], s[16:17], exec
	s_or_b64 s[52:53], s[18:19], s[12:13]
                                        ; implicit-def: $sgpr56_sgpr57
	s_branch .LBB1493_1441
.LBB1493_1444:                          ;   in Loop: Header=BB1493_1384 Depth=1
	s_or_b64 exec, exec, s[48:49]
	s_xor_b64 s[12:13], s[50:51], -1
	s_orn2_b64 s[12:13], s[12:13], exec
.LBB1493_1445:                          ;   in Loop: Header=BB1493_1384 Depth=1
	s_or_b64 exec, exec, s[46:47]
	s_and_b64 s[16:17], s[12:13], exec
.LBB1493_1446:                          ;   in Loop: Header=BB1493_1384 Depth=1
	s_or_b64 exec, exec, s[36:37]
	s_orn2_b64 s[36:37], s[16:17], exec
.LBB1493_1447:                          ;   in Loop: Header=BB1493_1384 Depth=1
	s_or_b64 exec, exec, s[44:45]
	v_cndmask_b32_e64 v14, v20, v21, s[36:37]
	v_cndmask_b32_e64 v15, v1, v70, s[36:37]
	v_add_u32_e32 v16, 1, v14
	v_add_u32_e32 v14, -1, v15
	v_min_u32_e32 v66, v16, v14
	v_lshl_add_u64 v[14:15], v[66:67], 3, v[10:11]
	flat_load_dwordx2 v[14:15], v[14:15]
	v_cndmask_b32_e64 v20, v16, v20, s[36:37]
	s_mov_b64 s[44:45], -1
	v_cndmask_b32_e64 v21, v21, v16, s[36:37]
	v_cmp_lt_u32_e64 s[12:13], v20, v1
	s_mov_b64 s[46:47], -1
	s_waitcnt vmcnt(0) lgkmcnt(0)
	v_cndmask_b32_e64 v100, v15, v96, s[36:37]
	v_cndmask_b32_e64 v101, v14, v97, s[36:37]
	;; [unrolled: 1-line block ×4, first 2 shown]
	s_and_saveexec_b64 s[48:49], s[12:13]
	s_cbranch_execz .LBB1493_1457
; %bb.1448:                             ;   in Loop: Header=BB1493_1384 Depth=1
	v_cmp_lt_u32_e64 s[12:13], v21, v70
	s_mov_b64 s[16:17], 0
	s_and_saveexec_b64 s[46:47], s[12:13]
	s_cbranch_execz .LBB1493_1456
; %bb.1449:                             ;   in Loop: Header=BB1493_1384 Depth=1
	s_mov_b64 s[12:13], -1
	s_and_saveexec_b64 s[50:51], s[8:9]
	s_cbranch_execz .LBB1493_1455
; %bb.1450:                             ;   in Loop: Header=BB1493_1384 Depth=1
	v_mad_u64_u32 v[14:15], s[12:13], v64, v103, v[8:9]
	v_mul_lo_u32 v16, v64, v102
	v_mul_lo_u32 v17, v65, v103
	v_add3_u32 v15, v17, v15, v16
	v_mad_u64_u32 v[16:17], s[12:13], v64, v101, v[8:9]
	v_mul_lo_u32 v18, v64, v100
	v_mul_lo_u32 v19, v65, v101
	v_add3_u32 v17, v19, v17, v18
	s_mov_b64 s[52:53], 0
	v_mov_b64_e32 v[18:19], v[6:7]
                                        ; implicit-def: $sgpr54_sgpr55
                                        ; implicit-def: $sgpr56_sgpr57
                                        ; implicit-def: $sgpr16_sgpr17
                                        ; implicit-def: $sgpr58_sgpr59
                                        ; implicit-def: $sgpr60_sgpr61
	s_branch .LBB1493_1452
.LBB1493_1451:                          ;   in Loop: Header=BB1493_1452 Depth=2
	s_or_b64 exec, exec, s[62:63]
	s_and_b64 s[12:13], exec, s[56:57]
	s_or_b64 s[52:53], s[12:13], s[52:53]
	s_andn2_b64 s[12:13], s[60:61], exec
	s_and_b64 s[18:19], s[58:59], exec
	s_or_b64 s[60:61], s[12:13], s[18:19]
	s_andn2_b64 s[12:13], s[54:55], exec
	s_and_b64 s[18:19], s[16:17], exec
	s_or_b64 s[54:55], s[12:13], s[18:19]
	s_andn2_b64 exec, exec, s[52:53]
	s_cbranch_execz .LBB1493_1454
.LBB1493_1452:                          ;   Parent Loop BB1493_1384 Depth=1
                                        ; =>  This Inner Loop Header: Depth=2
	flat_load_dword v22, v[16:17]
	flat_load_dword v23, v[14:15]
	s_andn2_b64 s[62:63], s[16:17], exec
	s_andn2_b64 s[58:59], s[58:59], exec
	s_or_b64 s[56:57], s[56:57], exec
	s_waitcnt vmcnt(0) lgkmcnt(0)
	v_cmp_le_u32_e64 s[16:17], v22, v23
	v_cmp_lt_u32_e64 s[12:13], v22, v23
	s_and_b64 s[16:17], s[16:17], s[60:61]
	s_or_b64 s[64:65], s[12:13], s[16:17]
	s_and_b64 s[12:13], s[64:65], exec
	v_cmp_eq_u32_e64 s[18:19], v22, v23
	s_or_b64 s[16:17], s[62:63], s[12:13]
	s_and_saveexec_b64 s[62:63], s[18:19]
	s_cbranch_execz .LBB1493_1451
; %bb.1453:                             ;   in Loop: Header=BB1493_1452 Depth=2
	v_lshl_add_u64 v[18:19], v[18:19], 0, -1
	v_cmp_eq_u64_e64 s[12:13], 0, v[18:19]
	s_andn2_b64 s[18:19], s[58:59], exec
	s_and_b64 s[58:59], s[64:65], exec
	s_or_b64 s[58:59], s[18:19], s[58:59]
	s_andn2_b64 s[18:19], s[56:57], exec
	s_and_b64 s[12:13], s[12:13], exec
	v_lshl_add_u64 v[14:15], v[14:15], 0, 4
	v_lshl_add_u64 v[16:17], v[16:17], 0, 4
	s_andn2_b64 s[16:17], s[16:17], exec
	s_or_b64 s[56:57], s[18:19], s[12:13]
                                        ; implicit-def: $sgpr60_sgpr61
	s_branch .LBB1493_1451
.LBB1493_1454:                          ;   in Loop: Header=BB1493_1384 Depth=1
	s_or_b64 exec, exec, s[52:53]
	s_xor_b64 s[12:13], s[54:55], -1
	s_orn2_b64 s[12:13], s[12:13], exec
.LBB1493_1455:                          ;   in Loop: Header=BB1493_1384 Depth=1
	s_or_b64 exec, exec, s[50:51]
	s_and_b64 s[16:17], s[12:13], exec
.LBB1493_1456:                          ;   in Loop: Header=BB1493_1384 Depth=1
	s_or_b64 exec, exec, s[46:47]
	s_orn2_b64 s[46:47], s[16:17], exec
.LBB1493_1457:                          ;   in Loop: Header=BB1493_1384 Depth=1
	s_or_b64 exec, exec, s[48:49]
	v_cndmask_b32_e64 v14, v20, v21, s[46:47]
	v_cndmask_b32_e64 v15, v1, v70, s[46:47]
	v_add_u32_e32 v16, 1, v14
	v_add_u32_e32 v14, -1, v15
	v_min_u32_e32 v66, v16, v14
	v_lshl_add_u64 v[14:15], v[66:67], 3, v[10:11]
	flat_load_dwordx2 v[14:15], v[14:15]
	v_cndmask_b32_e64 v22, v16, v20, s[46:47]
	v_cndmask_b32_e64 v20, v21, v16, s[46:47]
	v_cmp_lt_u32_e64 s[12:13], v22, v1
	s_waitcnt vmcnt(0) lgkmcnt(0)
	v_cndmask_b32_e64 v112, v15, v100, s[46:47]
	v_cndmask_b32_e64 v113, v14, v101, s[46:47]
	;; [unrolled: 1-line block ×4, first 2 shown]
	s_and_saveexec_b64 s[48:49], s[12:13]
	s_cbranch_execz .LBB1493_1467
; %bb.1458:                             ;   in Loop: Header=BB1493_1384 Depth=1
	v_cmp_lt_u32_e64 s[12:13], v20, v70
	s_mov_b64 s[16:17], 0
	s_and_saveexec_b64 s[44:45], s[12:13]
	s_cbranch_execz .LBB1493_1466
; %bb.1459:                             ;   in Loop: Header=BB1493_1384 Depth=1
	s_mov_b64 s[12:13], -1
	s_and_saveexec_b64 s[50:51], s[8:9]
	s_cbranch_execz .LBB1493_1465
; %bb.1460:                             ;   in Loop: Header=BB1493_1384 Depth=1
	v_mad_u64_u32 v[14:15], s[12:13], v64, v115, v[8:9]
	v_mul_lo_u32 v16, v64, v114
	v_mul_lo_u32 v17, v65, v115
	v_add3_u32 v15, v17, v15, v16
	v_mad_u64_u32 v[16:17], s[12:13], v64, v113, v[8:9]
	v_mul_lo_u32 v18, v64, v112
	v_mul_lo_u32 v19, v65, v113
	v_add3_u32 v17, v19, v17, v18
	s_mov_b64 s[52:53], 0
	v_mov_b64_e32 v[18:19], v[6:7]
                                        ; implicit-def: $sgpr54_sgpr55
                                        ; implicit-def: $sgpr56_sgpr57
                                        ; implicit-def: $sgpr16_sgpr17
                                        ; implicit-def: $sgpr58_sgpr59
                                        ; implicit-def: $sgpr60_sgpr61
	s_branch .LBB1493_1462
.LBB1493_1461:                          ;   in Loop: Header=BB1493_1462 Depth=2
	s_or_b64 exec, exec, s[62:63]
	s_and_b64 s[12:13], exec, s[56:57]
	s_or_b64 s[52:53], s[12:13], s[52:53]
	s_andn2_b64 s[12:13], s[60:61], exec
	s_and_b64 s[18:19], s[58:59], exec
	s_or_b64 s[60:61], s[12:13], s[18:19]
	s_andn2_b64 s[12:13], s[54:55], exec
	s_and_b64 s[18:19], s[16:17], exec
	s_or_b64 s[54:55], s[12:13], s[18:19]
	s_andn2_b64 exec, exec, s[52:53]
	s_cbranch_execz .LBB1493_1464
.LBB1493_1462:                          ;   Parent Loop BB1493_1384 Depth=1
                                        ; =>  This Inner Loop Header: Depth=2
	flat_load_dword v21, v[16:17]
	flat_load_dword v23, v[14:15]
	s_andn2_b64 s[62:63], s[16:17], exec
	s_andn2_b64 s[58:59], s[58:59], exec
	s_or_b64 s[56:57], s[56:57], exec
	s_waitcnt vmcnt(0) lgkmcnt(0)
	v_cmp_le_u32_e64 s[16:17], v21, v23
	v_cmp_lt_u32_e64 s[12:13], v21, v23
	s_and_b64 s[16:17], s[16:17], s[60:61]
	s_or_b64 s[64:65], s[12:13], s[16:17]
	s_and_b64 s[12:13], s[64:65], exec
	v_cmp_eq_u32_e64 s[18:19], v21, v23
	s_or_b64 s[16:17], s[62:63], s[12:13]
	s_and_saveexec_b64 s[62:63], s[18:19]
	s_cbranch_execz .LBB1493_1461
; %bb.1463:                             ;   in Loop: Header=BB1493_1462 Depth=2
	v_lshl_add_u64 v[18:19], v[18:19], 0, -1
	v_cmp_eq_u64_e64 s[12:13], 0, v[18:19]
	s_andn2_b64 s[18:19], s[58:59], exec
	s_and_b64 s[58:59], s[64:65], exec
	s_or_b64 s[58:59], s[18:19], s[58:59]
	s_andn2_b64 s[18:19], s[56:57], exec
	s_and_b64 s[12:13], s[12:13], exec
	v_lshl_add_u64 v[14:15], v[14:15], 0, 4
	v_lshl_add_u64 v[16:17], v[16:17], 0, 4
	s_andn2_b64 s[16:17], s[16:17], exec
	s_or_b64 s[56:57], s[18:19], s[12:13]
                                        ; implicit-def: $sgpr60_sgpr61
	s_branch .LBB1493_1461
.LBB1493_1464:                          ;   in Loop: Header=BB1493_1384 Depth=1
	s_or_b64 exec, exec, s[52:53]
	s_xor_b64 s[12:13], s[54:55], -1
	s_orn2_b64 s[12:13], s[12:13], exec
.LBB1493_1465:                          ;   in Loop: Header=BB1493_1384 Depth=1
	s_or_b64 exec, exec, s[50:51]
	s_and_b64 s[16:17], s[12:13], exec
.LBB1493_1466:                          ;   in Loop: Header=BB1493_1384 Depth=1
	s_or_b64 exec, exec, s[44:45]
	s_orn2_b64 s[44:45], s[16:17], exec
.LBB1493_1467:                          ;   in Loop: Header=BB1493_1384 Depth=1
	s_or_b64 exec, exec, s[48:49]
	v_cndmask_b32_e64 v14, v22, v20, s[44:45]
	v_cndmask_b32_e64 v15, v1, v70, s[44:45]
	v_add_u32_e32 v18, 1, v14
	v_add_u32_e32 v14, -1, v15
	v_min_u32_e32 v66, v18, v14
	v_lshl_add_u64 v[14:15], v[66:67], 3, v[10:11]
	flat_load_dwordx2 v[16:17], v[14:15]
	v_cndmask_b32_e64 v19, v18, v22, s[44:45]
	v_cmp_lt_u32_e64 s[12:13], v19, v1
	s_waitcnt vmcnt(0) lgkmcnt(0)
	v_cndmask_b32_e64 v15, v114, v17, s[44:45]
	v_cndmask_b32_e64 v14, v115, v16, s[44:45]
	s_and_saveexec_b64 s[48:49], s[12:13]
	s_cbranch_execz .LBB1493_1382
; %bb.1468:                             ;   in Loop: Header=BB1493_1384 Depth=1
	v_cndmask_b32_e64 v1, v20, v18, s[44:45]
	v_cndmask_b32_e64 v17, v17, v112, s[44:45]
	;; [unrolled: 1-line block ×3, first 2 shown]
	v_cmp_lt_u32_e64 s[12:13], v1, v70
	s_and_saveexec_b64 s[50:51], s[12:13]
	s_cbranch_execz .LBB1493_1381
; %bb.1469:                             ;   in Loop: Header=BB1493_1384 Depth=1
	s_and_saveexec_b64 s[52:53], s[8:9]
	s_cbranch_execz .LBB1493_1380
; %bb.1470:                             ;   in Loop: Header=BB1493_1384 Depth=1
	v_mad_u64_u32 v[18:19], s[12:13], v64, v14, v[8:9]
	v_mul_lo_u32 v1, v64, v15
	v_mul_lo_u32 v20, v65, v14
	v_add3_u32 v19, v20, v19, v1
	v_mad_u64_u32 v[20:21], s[12:13], v64, v16, v[8:9]
	v_mul_lo_u32 v1, v64, v17
	v_mul_lo_u32 v22, v65, v16
	v_add3_u32 v21, v22, v21, v1
	s_mov_b64 s[54:55], 0
	v_mov_b64_e32 v[22:23], v[6:7]
                                        ; implicit-def: $sgpr56_sgpr57
                                        ; implicit-def: $sgpr58_sgpr59
                                        ; implicit-def: $sgpr16_sgpr17
                                        ; implicit-def: $sgpr60_sgpr61
                                        ; implicit-def: $sgpr62_sgpr63
	s_branch .LBB1493_1472
.LBB1493_1471:                          ;   in Loop: Header=BB1493_1472 Depth=2
	s_or_b64 exec, exec, s[64:65]
	s_and_b64 s[12:13], exec, s[58:59]
	s_or_b64 s[54:55], s[12:13], s[54:55]
	s_andn2_b64 s[12:13], s[62:63], exec
	s_and_b64 s[18:19], s[60:61], exec
	s_or_b64 s[62:63], s[12:13], s[18:19]
	s_andn2_b64 s[12:13], s[56:57], exec
	s_and_b64 s[18:19], s[16:17], exec
	s_or_b64 s[56:57], s[12:13], s[18:19]
	s_andn2_b64 exec, exec, s[54:55]
	s_cbranch_execz .LBB1493_1379
.LBB1493_1472:                          ;   Parent Loop BB1493_1384 Depth=1
                                        ; =>  This Inner Loop Header: Depth=2
	flat_load_dword v1, v[20:21]
	flat_load_dword v66, v[18:19]
	s_andn2_b64 s[64:65], s[16:17], exec
	s_andn2_b64 s[60:61], s[60:61], exec
	s_or_b64 s[58:59], s[58:59], exec
	s_waitcnt vmcnt(0) lgkmcnt(0)
	v_cmp_le_u32_e64 s[16:17], v1, v66
	v_cmp_lt_u32_e64 s[12:13], v1, v66
	s_and_b64 s[16:17], s[16:17], s[62:63]
	s_or_b64 s[66:67], s[12:13], s[16:17]
	s_and_b64 s[12:13], s[66:67], exec
	v_cmp_eq_u32_e64 s[18:19], v1, v66
	s_or_b64 s[16:17], s[64:65], s[12:13]
	s_and_saveexec_b64 s[64:65], s[18:19]
	s_cbranch_execz .LBB1493_1471
; %bb.1473:                             ;   in Loop: Header=BB1493_1472 Depth=2
	v_lshl_add_u64 v[22:23], v[22:23], 0, -1
	v_cmp_eq_u64_e64 s[12:13], 0, v[22:23]
	s_andn2_b64 s[18:19], s[60:61], exec
	s_and_b64 s[60:61], s[66:67], exec
	s_or_b64 s[60:61], s[18:19], s[60:61]
	s_andn2_b64 s[18:19], s[58:59], exec
	s_and_b64 s[12:13], s[12:13], exec
	v_lshl_add_u64 v[18:19], v[18:19], 0, 4
	v_lshl_add_u64 v[20:21], v[20:21], 0, 4
	s_andn2_b64 s[16:17], s[16:17], exec
	s_or_b64 s[58:59], s[18:19], s[12:13]
                                        ; implicit-def: $sgpr62_sgpr63
	s_branch .LBB1493_1471
.LBB1493_1474:
	s_or_b64 exec, exec, s[22:23]
.LBB1493_1475:
	s_or_b64 exec, exec, s[20:21]
	s_barrier
	flat_store_dwordx4 v[54:55], v[24:27]
	flat_store_dwordx4 v[54:55], v[20:23] offset:16
	flat_store_dwordx4 v[54:55], v[16:19] offset:32
	;; [unrolled: 1-line block ×3, first 2 shown]
	s_waitcnt lgkmcnt(0)
	s_barrier
	flat_load_dwordx2 v[18:19], v[32:33] offset:2048
	flat_load_dwordx2 v[16:17], v[34:35]
	flat_load_dwordx2 v[14:15], v[36:37]
	;; [unrolled: 1-line block ×6, first 2 shown]
	v_mov_b32_e32 v31, 0
	v_lshl_add_u64 v[8:9], v[4:5], 0, v[30:31]
	s_and_saveexec_b64 s[8:9], vcc
	s_cbranch_execnz .LBB1493_1484
; %bb.1476:
	s_or_b64 exec, exec, s[8:9]
	s_and_saveexec_b64 s[8:9], s[0:1]
	s_cbranch_execnz .LBB1493_1485
.LBB1493_1477:
	s_or_b64 exec, exec, s[8:9]
	s_and_saveexec_b64 s[0:1], s[2:3]
	s_cbranch_execnz .LBB1493_1486
.LBB1493_1478:
	s_or_b64 exec, exec, s[0:1]
	s_and_saveexec_b64 s[0:1], s[4:5]
	s_cbranch_execnz .LBB1493_1487
.LBB1493_1479:
	s_or_b64 exec, exec, s[0:1]
	s_and_saveexec_b64 s[0:1], s[6:7]
	s_cbranch_execnz .LBB1493_1488
.LBB1493_1480:
	s_or_b64 exec, exec, s[0:1]
	s_and_saveexec_b64 s[0:1], s[30:31]
	s_cbranch_execnz .LBB1493_1489
.LBB1493_1481:
	s_or_b64 exec, exec, s[0:1]
	s_and_saveexec_b64 s[0:1], s[10:11]
	s_cbranch_execz .LBB1493_1483
.LBB1493_1482:
	v_add_co_u32_e32 v2, vcc, 0x3000, v8
	s_nop 1
	v_addc_co_u32_e32 v3, vcc, 0, v9, vcc
	s_waitcnt vmcnt(0) lgkmcnt(0)
	flat_store_dwordx2 v[2:3], v[0:1]
.LBB1493_1483:
	s_or_b64 exec, exec, s[0:1]
	s_andn2_b64 s[0:1], s[38:39], exec
	s_and_b64 s[2:3], s[14:15], exec
	s_or_b64 s[38:39], s[0:1], s[2:3]
	s_or_b64 exec, exec, s[40:41]
	s_and_saveexec_b64 s[0:1], s[38:39]
	s_cbranch_execnz .LBB1493_3
	s_branch .LBB1493_4
.LBB1493_1484:
	flat_load_dwordx2 v[2:3], v[2:3]
	s_waitcnt vmcnt(0) lgkmcnt(0)
	flat_store_dwordx2 v[8:9], v[2:3]
	s_or_b64 exec, exec, s[8:9]
	s_and_saveexec_b64 s[8:9], s[0:1]
	s_cbranch_execz .LBB1493_1477
.LBB1493_1485:
	s_waitcnt vmcnt(0) lgkmcnt(0)
	flat_store_dwordx2 v[8:9], v[18:19] offset:2048
	s_or_b64 exec, exec, s[8:9]
	s_and_saveexec_b64 s[0:1], s[2:3]
	s_cbranch_execz .LBB1493_1478
.LBB1493_1486:
	v_add_co_u32_e32 v2, vcc, 0x1000, v8
	s_nop 1
	v_addc_co_u32_e32 v3, vcc, 0, v9, vcc
	s_waitcnt vmcnt(0) lgkmcnt(0)
	flat_store_dwordx2 v[2:3], v[16:17]
	s_or_b64 exec, exec, s[0:1]
	s_and_saveexec_b64 s[0:1], s[4:5]
	s_cbranch_execz .LBB1493_1479
.LBB1493_1487:
	v_add_co_u32_e32 v2, vcc, 0x1000, v8
	s_nop 1
	v_addc_co_u32_e32 v3, vcc, 0, v9, vcc
	s_waitcnt vmcnt(0) lgkmcnt(0)
	flat_store_dwordx2 v[2:3], v[14:15] offset:2048
	s_or_b64 exec, exec, s[0:1]
	s_and_saveexec_b64 s[0:1], s[6:7]
	s_cbranch_execz .LBB1493_1480
.LBB1493_1488:
	v_add_co_u32_e32 v2, vcc, 0x2000, v8
	s_nop 1
	v_addc_co_u32_e32 v3, vcc, 0, v9, vcc
	s_waitcnt vmcnt(0) lgkmcnt(0)
	flat_store_dwordx2 v[2:3], v[10:11]
	s_or_b64 exec, exec, s[0:1]
	s_and_saveexec_b64 s[0:1], s[30:31]
	s_cbranch_execz .LBB1493_1481
.LBB1493_1489:
	v_add_co_u32_e32 v2, vcc, 0x2000, v8
	s_nop 1
	v_addc_co_u32_e32 v3, vcc, 0, v9, vcc
	s_waitcnt vmcnt(0) lgkmcnt(0)
	flat_store_dwordx2 v[2:3], v[6:7] offset:2048
	s_or_b64 exec, exec, s[0:1]
	s_and_saveexec_b64 s[0:1], s[10:11]
	s_cbranch_execnz .LBB1493_1482
	s_branch .LBB1493_1483
.Lfunc_end1493:
	.size	_ZN7rocprim17ROCPRIM_400000_NS6detail15block_sort_implIlNS0_10empty_typeELj256ELj8ELNS0_4arch9wavefront6targetE1EvE4sortIPlS9_PS3_SA_ZN2at6native12_GLOBAL__N_124unique_dim_cuda_templateIjEESt5tupleIJNSB_6TensorESG_SG_EERKSG_lbbbEUlllE_EEvjbT_T0_T1_T2_T3_RNS7_12storage_typeE, .Lfunc_end1493-_ZN7rocprim17ROCPRIM_400000_NS6detail15block_sort_implIlNS0_10empty_typeELj256ELj8ELNS0_4arch9wavefront6targetE1EvE4sortIPlS9_PS3_SA_ZN2at6native12_GLOBAL__N_124unique_dim_cuda_templateIjEESt5tupleIJNSB_6TensorESG_SG_EERKSG_lbbbEUlllE_EEvjbT_T0_T1_T2_T3_RNS7_12storage_typeE
                                        ; -- End function
	.section	.AMDGPU.csdata,"",@progbits
; Function info:
; codeLenInByte = 67096
; NumSgprs: 75
; NumVgprs: 129
; NumAgprs: 0
; TotalNumVgprs: 129
; ScratchSize: 8
; MemoryBound: 1
	.section	.text._ZN7rocprim17ROCPRIM_400000_NS6detail17trampoline_kernelINS0_14default_configENS1_37merge_sort_block_sort_config_selectorIlNS0_10empty_typeEEEZNS1_21merge_sort_block_sortIS3_PlS8_PS5_S9_ZN2at6native12_GLOBAL__N_124unique_dim_cuda_templateIjEESt5tupleIJNSA_6TensorESF_SF_EERKSF_lbbbEUlllE_EE10hipError_tT0_T1_T2_T3_mRjT4_P12ihipStream_tbNS1_7vsmem_tEEUlT_E_NS1_11comp_targetILNS1_3genE5ELNS1_11target_archE942ELNS1_3gpuE9ELNS1_3repE0EEENS1_30default_config_static_selectorELNS0_4arch9wavefront6targetE1EEEvSM_,"axG",@progbits,_ZN7rocprim17ROCPRIM_400000_NS6detail17trampoline_kernelINS0_14default_configENS1_37merge_sort_block_sort_config_selectorIlNS0_10empty_typeEEEZNS1_21merge_sort_block_sortIS3_PlS8_PS5_S9_ZN2at6native12_GLOBAL__N_124unique_dim_cuda_templateIjEESt5tupleIJNSA_6TensorESF_SF_EERKSF_lbbbEUlllE_EE10hipError_tT0_T1_T2_T3_mRjT4_P12ihipStream_tbNS1_7vsmem_tEEUlT_E_NS1_11comp_targetILNS1_3genE5ELNS1_11target_archE942ELNS1_3gpuE9ELNS1_3repE0EEENS1_30default_config_static_selectorELNS0_4arch9wavefront6targetE1EEEvSM_,comdat
	.globl	_ZN7rocprim17ROCPRIM_400000_NS6detail17trampoline_kernelINS0_14default_configENS1_37merge_sort_block_sort_config_selectorIlNS0_10empty_typeEEEZNS1_21merge_sort_block_sortIS3_PlS8_PS5_S9_ZN2at6native12_GLOBAL__N_124unique_dim_cuda_templateIjEESt5tupleIJNSA_6TensorESF_SF_EERKSF_lbbbEUlllE_EE10hipError_tT0_T1_T2_T3_mRjT4_P12ihipStream_tbNS1_7vsmem_tEEUlT_E_NS1_11comp_targetILNS1_3genE5ELNS1_11target_archE942ELNS1_3gpuE9ELNS1_3repE0EEENS1_30default_config_static_selectorELNS0_4arch9wavefront6targetE1EEEvSM_ ; -- Begin function _ZN7rocprim17ROCPRIM_400000_NS6detail17trampoline_kernelINS0_14default_configENS1_37merge_sort_block_sort_config_selectorIlNS0_10empty_typeEEEZNS1_21merge_sort_block_sortIS3_PlS8_PS5_S9_ZN2at6native12_GLOBAL__N_124unique_dim_cuda_templateIjEESt5tupleIJNSA_6TensorESF_SF_EERKSF_lbbbEUlllE_EE10hipError_tT0_T1_T2_T3_mRjT4_P12ihipStream_tbNS1_7vsmem_tEEUlT_E_NS1_11comp_targetILNS1_3genE5ELNS1_11target_archE942ELNS1_3gpuE9ELNS1_3repE0EEENS1_30default_config_static_selectorELNS0_4arch9wavefront6targetE1EEEvSM_
	.p2align	8
	.type	_ZN7rocprim17ROCPRIM_400000_NS6detail17trampoline_kernelINS0_14default_configENS1_37merge_sort_block_sort_config_selectorIlNS0_10empty_typeEEEZNS1_21merge_sort_block_sortIS3_PlS8_PS5_S9_ZN2at6native12_GLOBAL__N_124unique_dim_cuda_templateIjEESt5tupleIJNSA_6TensorESF_SF_EERKSF_lbbbEUlllE_EE10hipError_tT0_T1_T2_T3_mRjT4_P12ihipStream_tbNS1_7vsmem_tEEUlT_E_NS1_11comp_targetILNS1_3genE5ELNS1_11target_archE942ELNS1_3gpuE9ELNS1_3repE0EEENS1_30default_config_static_selectorELNS0_4arch9wavefront6targetE1EEEvSM_,@function
_ZN7rocprim17ROCPRIM_400000_NS6detail17trampoline_kernelINS0_14default_configENS1_37merge_sort_block_sort_config_selectorIlNS0_10empty_typeEEEZNS1_21merge_sort_block_sortIS3_PlS8_PS5_S9_ZN2at6native12_GLOBAL__N_124unique_dim_cuda_templateIjEESt5tupleIJNSA_6TensorESF_SF_EERKSF_lbbbEUlllE_EE10hipError_tT0_T1_T2_T3_mRjT4_P12ihipStream_tbNS1_7vsmem_tEEUlT_E_NS1_11comp_targetILNS1_3genE5ELNS1_11target_archE942ELNS1_3gpuE9ELNS1_3repE0EEENS1_30default_config_static_selectorELNS0_4arch9wavefront6targetE1EEEvSM_: ; @_ZN7rocprim17ROCPRIM_400000_NS6detail17trampoline_kernelINS0_14default_configENS1_37merge_sort_block_sort_config_selectorIlNS0_10empty_typeEEEZNS1_21merge_sort_block_sortIS3_PlS8_PS5_S9_ZN2at6native12_GLOBAL__N_124unique_dim_cuda_templateIjEESt5tupleIJNSA_6TensorESF_SF_EERKSF_lbbbEUlllE_EE10hipError_tT0_T1_T2_T3_mRjT4_P12ihipStream_tbNS1_7vsmem_tEEUlT_E_NS1_11comp_targetILNS1_3genE5ELNS1_11target_archE942ELNS1_3gpuE9ELNS1_3repE0EEENS1_30default_config_static_selectorELNS0_4arch9wavefront6targetE1EEEvSM_
; %bb.0:
	s_load_dwordx2 s[6:7], s[0:1], 0x48
	s_load_dword s5, s[0:1], 0x0
	s_mov_b32 s32, 0
	s_waitcnt lgkmcnt(0)
	s_mul_i32 s4, s7, s4
	s_add_i32 s4, s4, s3
	s_mul_i32 s4, s4, s6
	s_add_i32 s4, s4, s2
	s_cmp_ge_u32 s4, s5
	s_cbranch_scc1 .LBB1494_2
; %bb.1:
	s_load_dwordx4 s[8:11], s[0:1], 0x18
	s_load_dwordx2 s[6:7], s[0:1], 0x8
	s_load_dwordx4 s[16:19], s[0:1], 0x38
	s_mov_b32 s5, 0
	s_lshl_b64 s[12:13], s[4:5], 14
	s_waitcnt lgkmcnt(0)
	s_add_u32 s10, s10, s12
	s_addc_u32 s11, s11, s13
	s_add_u32 s14, s8, s12
	s_addc_u32 s15, s9, s13
	s_lshr_b64 s[8:9], s[6:7], 11
	s_cmp_eq_u64 s[8:9], s[4:5]
	s_cselect_b64 s[8:9], -1, 0
	s_lshl_b32 s4, s4, 11
	s_sub_i32 s6, s6, s4
	v_cndmask_b32_e64 v1, 0, 1, s[8:9]
	s_add_u32 s8, s0, 0x48
	s_addc_u32 s9, s1, 0
	s_mov_b64 s[0:1], src_shared_base
	s_mov_b32 s12, s2
	s_mov_b32 s13, s3
	v_mov_b32_e32 v31, v0
	v_mov_b32_e32 v0, s6
	;; [unrolled: 1-line block ×12, first 2 shown]
	s_getpc_b64 s[4:5]
	s_add_u32 s4, s4, _ZN7rocprim17ROCPRIM_400000_NS6detail15block_sort_implIlNS0_10empty_typeELj256ELj8ELNS0_4arch9wavefront6targetE1EvE4sortIPlS9_PS3_SA_ZN2at6native12_GLOBAL__N_124unique_dim_cuda_templateIjEESt5tupleIJNSB_6TensorESG_SG_EERKSG_lbbbEUlllE_EEvjbT_T0_T1_T2_T3_RNS7_12storage_typeE@rel32@lo+4
	s_addc_u32 s5, s5, _ZN7rocprim17ROCPRIM_400000_NS6detail15block_sort_implIlNS0_10empty_typeELj256ELj8ELNS0_4arch9wavefront6targetE1EvE4sortIPlS9_PS3_SA_ZN2at6native12_GLOBAL__N_124unique_dim_cuda_templateIjEESt5tupleIJNSB_6TensorESG_SG_EERKSG_lbbbEUlllE_EEvjbT_T0_T1_T2_T3_RNS7_12storage_typeE@rel32@hi+12
	s_swappc_b64 s[30:31], s[4:5]
.LBB1494_2:
	s_endpgm
	.section	.rodata,"a",@progbits
	.p2align	6, 0x0
	.amdhsa_kernel _ZN7rocprim17ROCPRIM_400000_NS6detail17trampoline_kernelINS0_14default_configENS1_37merge_sort_block_sort_config_selectorIlNS0_10empty_typeEEEZNS1_21merge_sort_block_sortIS3_PlS8_PS5_S9_ZN2at6native12_GLOBAL__N_124unique_dim_cuda_templateIjEESt5tupleIJNSA_6TensorESF_SF_EERKSF_lbbbEUlllE_EE10hipError_tT0_T1_T2_T3_mRjT4_P12ihipStream_tbNS1_7vsmem_tEEUlT_E_NS1_11comp_targetILNS1_3genE5ELNS1_11target_archE942ELNS1_3gpuE9ELNS1_3repE0EEENS1_30default_config_static_selectorELNS0_4arch9wavefront6targetE1EEEvSM_
		.amdhsa_group_segment_fixed_size 16896
		.amdhsa_private_segment_fixed_size 8
		.amdhsa_kernarg_size 328
		.amdhsa_user_sgpr_count 2
		.amdhsa_user_sgpr_dispatch_ptr 0
		.amdhsa_user_sgpr_queue_ptr 0
		.amdhsa_user_sgpr_kernarg_segment_ptr 1
		.amdhsa_user_sgpr_dispatch_id 0
		.amdhsa_user_sgpr_kernarg_preload_length 0
		.amdhsa_user_sgpr_kernarg_preload_offset 0
		.amdhsa_user_sgpr_private_segment_size 0
		.amdhsa_uses_dynamic_stack 0
		.amdhsa_enable_private_segment 1
		.amdhsa_system_sgpr_workgroup_id_x 1
		.amdhsa_system_sgpr_workgroup_id_y 1
		.amdhsa_system_sgpr_workgroup_id_z 1
		.amdhsa_system_sgpr_workgroup_info 0
		.amdhsa_system_vgpr_workitem_id 2
		.amdhsa_next_free_vgpr 129
		.amdhsa_next_free_sgpr 69
		.amdhsa_accum_offset 132
		.amdhsa_reserve_vcc 1
		.amdhsa_float_round_mode_32 0
		.amdhsa_float_round_mode_16_64 0
		.amdhsa_float_denorm_mode_32 3
		.amdhsa_float_denorm_mode_16_64 3
		.amdhsa_dx10_clamp 1
		.amdhsa_ieee_mode 1
		.amdhsa_fp16_overflow 0
		.amdhsa_tg_split 0
		.amdhsa_exception_fp_ieee_invalid_op 0
		.amdhsa_exception_fp_denorm_src 0
		.amdhsa_exception_fp_ieee_div_zero 0
		.amdhsa_exception_fp_ieee_overflow 0
		.amdhsa_exception_fp_ieee_underflow 0
		.amdhsa_exception_fp_ieee_inexact 0
		.amdhsa_exception_int_div_zero 0
	.end_amdhsa_kernel
	.section	.text._ZN7rocprim17ROCPRIM_400000_NS6detail17trampoline_kernelINS0_14default_configENS1_37merge_sort_block_sort_config_selectorIlNS0_10empty_typeEEEZNS1_21merge_sort_block_sortIS3_PlS8_PS5_S9_ZN2at6native12_GLOBAL__N_124unique_dim_cuda_templateIjEESt5tupleIJNSA_6TensorESF_SF_EERKSF_lbbbEUlllE_EE10hipError_tT0_T1_T2_T3_mRjT4_P12ihipStream_tbNS1_7vsmem_tEEUlT_E_NS1_11comp_targetILNS1_3genE5ELNS1_11target_archE942ELNS1_3gpuE9ELNS1_3repE0EEENS1_30default_config_static_selectorELNS0_4arch9wavefront6targetE1EEEvSM_,"axG",@progbits,_ZN7rocprim17ROCPRIM_400000_NS6detail17trampoline_kernelINS0_14default_configENS1_37merge_sort_block_sort_config_selectorIlNS0_10empty_typeEEEZNS1_21merge_sort_block_sortIS3_PlS8_PS5_S9_ZN2at6native12_GLOBAL__N_124unique_dim_cuda_templateIjEESt5tupleIJNSA_6TensorESF_SF_EERKSF_lbbbEUlllE_EE10hipError_tT0_T1_T2_T3_mRjT4_P12ihipStream_tbNS1_7vsmem_tEEUlT_E_NS1_11comp_targetILNS1_3genE5ELNS1_11target_archE942ELNS1_3gpuE9ELNS1_3repE0EEENS1_30default_config_static_selectorELNS0_4arch9wavefront6targetE1EEEvSM_,comdat
.Lfunc_end1494:
	.size	_ZN7rocprim17ROCPRIM_400000_NS6detail17trampoline_kernelINS0_14default_configENS1_37merge_sort_block_sort_config_selectorIlNS0_10empty_typeEEEZNS1_21merge_sort_block_sortIS3_PlS8_PS5_S9_ZN2at6native12_GLOBAL__N_124unique_dim_cuda_templateIjEESt5tupleIJNSA_6TensorESF_SF_EERKSF_lbbbEUlllE_EE10hipError_tT0_T1_T2_T3_mRjT4_P12ihipStream_tbNS1_7vsmem_tEEUlT_E_NS1_11comp_targetILNS1_3genE5ELNS1_11target_archE942ELNS1_3gpuE9ELNS1_3repE0EEENS1_30default_config_static_selectorELNS0_4arch9wavefront6targetE1EEEvSM_, .Lfunc_end1494-_ZN7rocprim17ROCPRIM_400000_NS6detail17trampoline_kernelINS0_14default_configENS1_37merge_sort_block_sort_config_selectorIlNS0_10empty_typeEEEZNS1_21merge_sort_block_sortIS3_PlS8_PS5_S9_ZN2at6native12_GLOBAL__N_124unique_dim_cuda_templateIjEESt5tupleIJNSA_6TensorESF_SF_EERKSF_lbbbEUlllE_EE10hipError_tT0_T1_T2_T3_mRjT4_P12ihipStream_tbNS1_7vsmem_tEEUlT_E_NS1_11comp_targetILNS1_3genE5ELNS1_11target_archE942ELNS1_3gpuE9ELNS1_3repE0EEENS1_30default_config_static_selectorELNS0_4arch9wavefront6targetE1EEEvSM_
                                        ; -- End function
	.section	.AMDGPU.csdata,"",@progbits
; Kernel info:
; codeLenInByte = 228
; NumSgprs: 75
; NumVgprs: 129
; NumAgprs: 0
; TotalNumVgprs: 129
; ScratchSize: 8
; MemoryBound: 0
; FloatMode: 240
; IeeeMode: 1
; LDSByteSize: 16896 bytes/workgroup (compile time only)
; SGPRBlocks: 9
; VGPRBlocks: 16
; NumSGPRsForWavesPerEU: 75
; NumVGPRsForWavesPerEU: 129
; AccumOffset: 132
; Occupancy: 3
; WaveLimiterHint : 1
; COMPUTE_PGM_RSRC2:SCRATCH_EN: 1
; COMPUTE_PGM_RSRC2:USER_SGPR: 2
; COMPUTE_PGM_RSRC2:TRAP_HANDLER: 0
; COMPUTE_PGM_RSRC2:TGID_X_EN: 1
; COMPUTE_PGM_RSRC2:TGID_Y_EN: 1
; COMPUTE_PGM_RSRC2:TGID_Z_EN: 1
; COMPUTE_PGM_RSRC2:TIDIG_COMP_CNT: 2
; COMPUTE_PGM_RSRC3_GFX90A:ACCUM_OFFSET: 32
; COMPUTE_PGM_RSRC3_GFX90A:TG_SPLIT: 0
	.section	.text._ZN7rocprim17ROCPRIM_400000_NS6detail17trampoline_kernelINS0_14default_configENS1_37merge_sort_block_sort_config_selectorIlNS0_10empty_typeEEEZNS1_21merge_sort_block_sortIS3_PlS8_PS5_S9_ZN2at6native12_GLOBAL__N_124unique_dim_cuda_templateIjEESt5tupleIJNSA_6TensorESF_SF_EERKSF_lbbbEUlllE_EE10hipError_tT0_T1_T2_T3_mRjT4_P12ihipStream_tbNS1_7vsmem_tEEUlT_E_NS1_11comp_targetILNS1_3genE4ELNS1_11target_archE910ELNS1_3gpuE8ELNS1_3repE0EEENS1_30default_config_static_selectorELNS0_4arch9wavefront6targetE1EEEvSM_,"axG",@progbits,_ZN7rocprim17ROCPRIM_400000_NS6detail17trampoline_kernelINS0_14default_configENS1_37merge_sort_block_sort_config_selectorIlNS0_10empty_typeEEEZNS1_21merge_sort_block_sortIS3_PlS8_PS5_S9_ZN2at6native12_GLOBAL__N_124unique_dim_cuda_templateIjEESt5tupleIJNSA_6TensorESF_SF_EERKSF_lbbbEUlllE_EE10hipError_tT0_T1_T2_T3_mRjT4_P12ihipStream_tbNS1_7vsmem_tEEUlT_E_NS1_11comp_targetILNS1_3genE4ELNS1_11target_archE910ELNS1_3gpuE8ELNS1_3repE0EEENS1_30default_config_static_selectorELNS0_4arch9wavefront6targetE1EEEvSM_,comdat
	.globl	_ZN7rocprim17ROCPRIM_400000_NS6detail17trampoline_kernelINS0_14default_configENS1_37merge_sort_block_sort_config_selectorIlNS0_10empty_typeEEEZNS1_21merge_sort_block_sortIS3_PlS8_PS5_S9_ZN2at6native12_GLOBAL__N_124unique_dim_cuda_templateIjEESt5tupleIJNSA_6TensorESF_SF_EERKSF_lbbbEUlllE_EE10hipError_tT0_T1_T2_T3_mRjT4_P12ihipStream_tbNS1_7vsmem_tEEUlT_E_NS1_11comp_targetILNS1_3genE4ELNS1_11target_archE910ELNS1_3gpuE8ELNS1_3repE0EEENS1_30default_config_static_selectorELNS0_4arch9wavefront6targetE1EEEvSM_ ; -- Begin function _ZN7rocprim17ROCPRIM_400000_NS6detail17trampoline_kernelINS0_14default_configENS1_37merge_sort_block_sort_config_selectorIlNS0_10empty_typeEEEZNS1_21merge_sort_block_sortIS3_PlS8_PS5_S9_ZN2at6native12_GLOBAL__N_124unique_dim_cuda_templateIjEESt5tupleIJNSA_6TensorESF_SF_EERKSF_lbbbEUlllE_EE10hipError_tT0_T1_T2_T3_mRjT4_P12ihipStream_tbNS1_7vsmem_tEEUlT_E_NS1_11comp_targetILNS1_3genE4ELNS1_11target_archE910ELNS1_3gpuE8ELNS1_3repE0EEENS1_30default_config_static_selectorELNS0_4arch9wavefront6targetE1EEEvSM_
	.p2align	8
	.type	_ZN7rocprim17ROCPRIM_400000_NS6detail17trampoline_kernelINS0_14default_configENS1_37merge_sort_block_sort_config_selectorIlNS0_10empty_typeEEEZNS1_21merge_sort_block_sortIS3_PlS8_PS5_S9_ZN2at6native12_GLOBAL__N_124unique_dim_cuda_templateIjEESt5tupleIJNSA_6TensorESF_SF_EERKSF_lbbbEUlllE_EE10hipError_tT0_T1_T2_T3_mRjT4_P12ihipStream_tbNS1_7vsmem_tEEUlT_E_NS1_11comp_targetILNS1_3genE4ELNS1_11target_archE910ELNS1_3gpuE8ELNS1_3repE0EEENS1_30default_config_static_selectorELNS0_4arch9wavefront6targetE1EEEvSM_,@function
_ZN7rocprim17ROCPRIM_400000_NS6detail17trampoline_kernelINS0_14default_configENS1_37merge_sort_block_sort_config_selectorIlNS0_10empty_typeEEEZNS1_21merge_sort_block_sortIS3_PlS8_PS5_S9_ZN2at6native12_GLOBAL__N_124unique_dim_cuda_templateIjEESt5tupleIJNSA_6TensorESF_SF_EERKSF_lbbbEUlllE_EE10hipError_tT0_T1_T2_T3_mRjT4_P12ihipStream_tbNS1_7vsmem_tEEUlT_E_NS1_11comp_targetILNS1_3genE4ELNS1_11target_archE910ELNS1_3gpuE8ELNS1_3repE0EEENS1_30default_config_static_selectorELNS0_4arch9wavefront6targetE1EEEvSM_: ; @_ZN7rocprim17ROCPRIM_400000_NS6detail17trampoline_kernelINS0_14default_configENS1_37merge_sort_block_sort_config_selectorIlNS0_10empty_typeEEEZNS1_21merge_sort_block_sortIS3_PlS8_PS5_S9_ZN2at6native12_GLOBAL__N_124unique_dim_cuda_templateIjEESt5tupleIJNSA_6TensorESF_SF_EERKSF_lbbbEUlllE_EE10hipError_tT0_T1_T2_T3_mRjT4_P12ihipStream_tbNS1_7vsmem_tEEUlT_E_NS1_11comp_targetILNS1_3genE4ELNS1_11target_archE910ELNS1_3gpuE8ELNS1_3repE0EEENS1_30default_config_static_selectorELNS0_4arch9wavefront6targetE1EEEvSM_
; %bb.0:
	.section	.rodata,"a",@progbits
	.p2align	6, 0x0
	.amdhsa_kernel _ZN7rocprim17ROCPRIM_400000_NS6detail17trampoline_kernelINS0_14default_configENS1_37merge_sort_block_sort_config_selectorIlNS0_10empty_typeEEEZNS1_21merge_sort_block_sortIS3_PlS8_PS5_S9_ZN2at6native12_GLOBAL__N_124unique_dim_cuda_templateIjEESt5tupleIJNSA_6TensorESF_SF_EERKSF_lbbbEUlllE_EE10hipError_tT0_T1_T2_T3_mRjT4_P12ihipStream_tbNS1_7vsmem_tEEUlT_E_NS1_11comp_targetILNS1_3genE4ELNS1_11target_archE910ELNS1_3gpuE8ELNS1_3repE0EEENS1_30default_config_static_selectorELNS0_4arch9wavefront6targetE1EEEvSM_
		.amdhsa_group_segment_fixed_size 0
		.amdhsa_private_segment_fixed_size 0
		.amdhsa_kernarg_size 72
		.amdhsa_user_sgpr_count 2
		.amdhsa_user_sgpr_dispatch_ptr 0
		.amdhsa_user_sgpr_queue_ptr 0
		.amdhsa_user_sgpr_kernarg_segment_ptr 1
		.amdhsa_user_sgpr_dispatch_id 0
		.amdhsa_user_sgpr_kernarg_preload_length 0
		.amdhsa_user_sgpr_kernarg_preload_offset 0
		.amdhsa_user_sgpr_private_segment_size 0
		.amdhsa_uses_dynamic_stack 0
		.amdhsa_enable_private_segment 0
		.amdhsa_system_sgpr_workgroup_id_x 1
		.amdhsa_system_sgpr_workgroup_id_y 0
		.amdhsa_system_sgpr_workgroup_id_z 0
		.amdhsa_system_sgpr_workgroup_info 0
		.amdhsa_system_vgpr_workitem_id 0
		.amdhsa_next_free_vgpr 1
		.amdhsa_next_free_sgpr 0
		.amdhsa_accum_offset 4
		.amdhsa_reserve_vcc 0
		.amdhsa_float_round_mode_32 0
		.amdhsa_float_round_mode_16_64 0
		.amdhsa_float_denorm_mode_32 3
		.amdhsa_float_denorm_mode_16_64 3
		.amdhsa_dx10_clamp 1
		.amdhsa_ieee_mode 1
		.amdhsa_fp16_overflow 0
		.amdhsa_tg_split 0
		.amdhsa_exception_fp_ieee_invalid_op 0
		.amdhsa_exception_fp_denorm_src 0
		.amdhsa_exception_fp_ieee_div_zero 0
		.amdhsa_exception_fp_ieee_overflow 0
		.amdhsa_exception_fp_ieee_underflow 0
		.amdhsa_exception_fp_ieee_inexact 0
		.amdhsa_exception_int_div_zero 0
	.end_amdhsa_kernel
	.section	.text._ZN7rocprim17ROCPRIM_400000_NS6detail17trampoline_kernelINS0_14default_configENS1_37merge_sort_block_sort_config_selectorIlNS0_10empty_typeEEEZNS1_21merge_sort_block_sortIS3_PlS8_PS5_S9_ZN2at6native12_GLOBAL__N_124unique_dim_cuda_templateIjEESt5tupleIJNSA_6TensorESF_SF_EERKSF_lbbbEUlllE_EE10hipError_tT0_T1_T2_T3_mRjT4_P12ihipStream_tbNS1_7vsmem_tEEUlT_E_NS1_11comp_targetILNS1_3genE4ELNS1_11target_archE910ELNS1_3gpuE8ELNS1_3repE0EEENS1_30default_config_static_selectorELNS0_4arch9wavefront6targetE1EEEvSM_,"axG",@progbits,_ZN7rocprim17ROCPRIM_400000_NS6detail17trampoline_kernelINS0_14default_configENS1_37merge_sort_block_sort_config_selectorIlNS0_10empty_typeEEEZNS1_21merge_sort_block_sortIS3_PlS8_PS5_S9_ZN2at6native12_GLOBAL__N_124unique_dim_cuda_templateIjEESt5tupleIJNSA_6TensorESF_SF_EERKSF_lbbbEUlllE_EE10hipError_tT0_T1_T2_T3_mRjT4_P12ihipStream_tbNS1_7vsmem_tEEUlT_E_NS1_11comp_targetILNS1_3genE4ELNS1_11target_archE910ELNS1_3gpuE8ELNS1_3repE0EEENS1_30default_config_static_selectorELNS0_4arch9wavefront6targetE1EEEvSM_,comdat
.Lfunc_end1495:
	.size	_ZN7rocprim17ROCPRIM_400000_NS6detail17trampoline_kernelINS0_14default_configENS1_37merge_sort_block_sort_config_selectorIlNS0_10empty_typeEEEZNS1_21merge_sort_block_sortIS3_PlS8_PS5_S9_ZN2at6native12_GLOBAL__N_124unique_dim_cuda_templateIjEESt5tupleIJNSA_6TensorESF_SF_EERKSF_lbbbEUlllE_EE10hipError_tT0_T1_T2_T3_mRjT4_P12ihipStream_tbNS1_7vsmem_tEEUlT_E_NS1_11comp_targetILNS1_3genE4ELNS1_11target_archE910ELNS1_3gpuE8ELNS1_3repE0EEENS1_30default_config_static_selectorELNS0_4arch9wavefront6targetE1EEEvSM_, .Lfunc_end1495-_ZN7rocprim17ROCPRIM_400000_NS6detail17trampoline_kernelINS0_14default_configENS1_37merge_sort_block_sort_config_selectorIlNS0_10empty_typeEEEZNS1_21merge_sort_block_sortIS3_PlS8_PS5_S9_ZN2at6native12_GLOBAL__N_124unique_dim_cuda_templateIjEESt5tupleIJNSA_6TensorESF_SF_EERKSF_lbbbEUlllE_EE10hipError_tT0_T1_T2_T3_mRjT4_P12ihipStream_tbNS1_7vsmem_tEEUlT_E_NS1_11comp_targetILNS1_3genE4ELNS1_11target_archE910ELNS1_3gpuE8ELNS1_3repE0EEENS1_30default_config_static_selectorELNS0_4arch9wavefront6targetE1EEEvSM_
                                        ; -- End function
	.section	.AMDGPU.csdata,"",@progbits
; Kernel info:
; codeLenInByte = 0
; NumSgprs: 6
; NumVgprs: 0
; NumAgprs: 0
; TotalNumVgprs: 0
; ScratchSize: 0
; MemoryBound: 0
; FloatMode: 240
; IeeeMode: 1
; LDSByteSize: 0 bytes/workgroup (compile time only)
; SGPRBlocks: 0
; VGPRBlocks: 0
; NumSGPRsForWavesPerEU: 6
; NumVGPRsForWavesPerEU: 1
; AccumOffset: 4
; Occupancy: 8
; WaveLimiterHint : 0
; COMPUTE_PGM_RSRC2:SCRATCH_EN: 0
; COMPUTE_PGM_RSRC2:USER_SGPR: 2
; COMPUTE_PGM_RSRC2:TRAP_HANDLER: 0
; COMPUTE_PGM_RSRC2:TGID_X_EN: 1
; COMPUTE_PGM_RSRC2:TGID_Y_EN: 0
; COMPUTE_PGM_RSRC2:TGID_Z_EN: 0
; COMPUTE_PGM_RSRC2:TIDIG_COMP_CNT: 0
; COMPUTE_PGM_RSRC3_GFX90A:ACCUM_OFFSET: 0
; COMPUTE_PGM_RSRC3_GFX90A:TG_SPLIT: 0
	.section	.text._ZN7rocprim17ROCPRIM_400000_NS6detail17trampoline_kernelINS0_14default_configENS1_37merge_sort_block_sort_config_selectorIlNS0_10empty_typeEEEZNS1_21merge_sort_block_sortIS3_PlS8_PS5_S9_ZN2at6native12_GLOBAL__N_124unique_dim_cuda_templateIjEESt5tupleIJNSA_6TensorESF_SF_EERKSF_lbbbEUlllE_EE10hipError_tT0_T1_T2_T3_mRjT4_P12ihipStream_tbNS1_7vsmem_tEEUlT_E_NS1_11comp_targetILNS1_3genE3ELNS1_11target_archE908ELNS1_3gpuE7ELNS1_3repE0EEENS1_30default_config_static_selectorELNS0_4arch9wavefront6targetE1EEEvSM_,"axG",@progbits,_ZN7rocprim17ROCPRIM_400000_NS6detail17trampoline_kernelINS0_14default_configENS1_37merge_sort_block_sort_config_selectorIlNS0_10empty_typeEEEZNS1_21merge_sort_block_sortIS3_PlS8_PS5_S9_ZN2at6native12_GLOBAL__N_124unique_dim_cuda_templateIjEESt5tupleIJNSA_6TensorESF_SF_EERKSF_lbbbEUlllE_EE10hipError_tT0_T1_T2_T3_mRjT4_P12ihipStream_tbNS1_7vsmem_tEEUlT_E_NS1_11comp_targetILNS1_3genE3ELNS1_11target_archE908ELNS1_3gpuE7ELNS1_3repE0EEENS1_30default_config_static_selectorELNS0_4arch9wavefront6targetE1EEEvSM_,comdat
	.globl	_ZN7rocprim17ROCPRIM_400000_NS6detail17trampoline_kernelINS0_14default_configENS1_37merge_sort_block_sort_config_selectorIlNS0_10empty_typeEEEZNS1_21merge_sort_block_sortIS3_PlS8_PS5_S9_ZN2at6native12_GLOBAL__N_124unique_dim_cuda_templateIjEESt5tupleIJNSA_6TensorESF_SF_EERKSF_lbbbEUlllE_EE10hipError_tT0_T1_T2_T3_mRjT4_P12ihipStream_tbNS1_7vsmem_tEEUlT_E_NS1_11comp_targetILNS1_3genE3ELNS1_11target_archE908ELNS1_3gpuE7ELNS1_3repE0EEENS1_30default_config_static_selectorELNS0_4arch9wavefront6targetE1EEEvSM_ ; -- Begin function _ZN7rocprim17ROCPRIM_400000_NS6detail17trampoline_kernelINS0_14default_configENS1_37merge_sort_block_sort_config_selectorIlNS0_10empty_typeEEEZNS1_21merge_sort_block_sortIS3_PlS8_PS5_S9_ZN2at6native12_GLOBAL__N_124unique_dim_cuda_templateIjEESt5tupleIJNSA_6TensorESF_SF_EERKSF_lbbbEUlllE_EE10hipError_tT0_T1_T2_T3_mRjT4_P12ihipStream_tbNS1_7vsmem_tEEUlT_E_NS1_11comp_targetILNS1_3genE3ELNS1_11target_archE908ELNS1_3gpuE7ELNS1_3repE0EEENS1_30default_config_static_selectorELNS0_4arch9wavefront6targetE1EEEvSM_
	.p2align	8
	.type	_ZN7rocprim17ROCPRIM_400000_NS6detail17trampoline_kernelINS0_14default_configENS1_37merge_sort_block_sort_config_selectorIlNS0_10empty_typeEEEZNS1_21merge_sort_block_sortIS3_PlS8_PS5_S9_ZN2at6native12_GLOBAL__N_124unique_dim_cuda_templateIjEESt5tupleIJNSA_6TensorESF_SF_EERKSF_lbbbEUlllE_EE10hipError_tT0_T1_T2_T3_mRjT4_P12ihipStream_tbNS1_7vsmem_tEEUlT_E_NS1_11comp_targetILNS1_3genE3ELNS1_11target_archE908ELNS1_3gpuE7ELNS1_3repE0EEENS1_30default_config_static_selectorELNS0_4arch9wavefront6targetE1EEEvSM_,@function
_ZN7rocprim17ROCPRIM_400000_NS6detail17trampoline_kernelINS0_14default_configENS1_37merge_sort_block_sort_config_selectorIlNS0_10empty_typeEEEZNS1_21merge_sort_block_sortIS3_PlS8_PS5_S9_ZN2at6native12_GLOBAL__N_124unique_dim_cuda_templateIjEESt5tupleIJNSA_6TensorESF_SF_EERKSF_lbbbEUlllE_EE10hipError_tT0_T1_T2_T3_mRjT4_P12ihipStream_tbNS1_7vsmem_tEEUlT_E_NS1_11comp_targetILNS1_3genE3ELNS1_11target_archE908ELNS1_3gpuE7ELNS1_3repE0EEENS1_30default_config_static_selectorELNS0_4arch9wavefront6targetE1EEEvSM_: ; @_ZN7rocprim17ROCPRIM_400000_NS6detail17trampoline_kernelINS0_14default_configENS1_37merge_sort_block_sort_config_selectorIlNS0_10empty_typeEEEZNS1_21merge_sort_block_sortIS3_PlS8_PS5_S9_ZN2at6native12_GLOBAL__N_124unique_dim_cuda_templateIjEESt5tupleIJNSA_6TensorESF_SF_EERKSF_lbbbEUlllE_EE10hipError_tT0_T1_T2_T3_mRjT4_P12ihipStream_tbNS1_7vsmem_tEEUlT_E_NS1_11comp_targetILNS1_3genE3ELNS1_11target_archE908ELNS1_3gpuE7ELNS1_3repE0EEENS1_30default_config_static_selectorELNS0_4arch9wavefront6targetE1EEEvSM_
; %bb.0:
	.section	.rodata,"a",@progbits
	.p2align	6, 0x0
	.amdhsa_kernel _ZN7rocprim17ROCPRIM_400000_NS6detail17trampoline_kernelINS0_14default_configENS1_37merge_sort_block_sort_config_selectorIlNS0_10empty_typeEEEZNS1_21merge_sort_block_sortIS3_PlS8_PS5_S9_ZN2at6native12_GLOBAL__N_124unique_dim_cuda_templateIjEESt5tupleIJNSA_6TensorESF_SF_EERKSF_lbbbEUlllE_EE10hipError_tT0_T1_T2_T3_mRjT4_P12ihipStream_tbNS1_7vsmem_tEEUlT_E_NS1_11comp_targetILNS1_3genE3ELNS1_11target_archE908ELNS1_3gpuE7ELNS1_3repE0EEENS1_30default_config_static_selectorELNS0_4arch9wavefront6targetE1EEEvSM_
		.amdhsa_group_segment_fixed_size 0
		.amdhsa_private_segment_fixed_size 0
		.amdhsa_kernarg_size 72
		.amdhsa_user_sgpr_count 2
		.amdhsa_user_sgpr_dispatch_ptr 0
		.amdhsa_user_sgpr_queue_ptr 0
		.amdhsa_user_sgpr_kernarg_segment_ptr 1
		.amdhsa_user_sgpr_dispatch_id 0
		.amdhsa_user_sgpr_kernarg_preload_length 0
		.amdhsa_user_sgpr_kernarg_preload_offset 0
		.amdhsa_user_sgpr_private_segment_size 0
		.amdhsa_uses_dynamic_stack 0
		.amdhsa_enable_private_segment 0
		.amdhsa_system_sgpr_workgroup_id_x 1
		.amdhsa_system_sgpr_workgroup_id_y 0
		.amdhsa_system_sgpr_workgroup_id_z 0
		.amdhsa_system_sgpr_workgroup_info 0
		.amdhsa_system_vgpr_workitem_id 0
		.amdhsa_next_free_vgpr 1
		.amdhsa_next_free_sgpr 0
		.amdhsa_accum_offset 4
		.amdhsa_reserve_vcc 0
		.amdhsa_float_round_mode_32 0
		.amdhsa_float_round_mode_16_64 0
		.amdhsa_float_denorm_mode_32 3
		.amdhsa_float_denorm_mode_16_64 3
		.amdhsa_dx10_clamp 1
		.amdhsa_ieee_mode 1
		.amdhsa_fp16_overflow 0
		.amdhsa_tg_split 0
		.amdhsa_exception_fp_ieee_invalid_op 0
		.amdhsa_exception_fp_denorm_src 0
		.amdhsa_exception_fp_ieee_div_zero 0
		.amdhsa_exception_fp_ieee_overflow 0
		.amdhsa_exception_fp_ieee_underflow 0
		.amdhsa_exception_fp_ieee_inexact 0
		.amdhsa_exception_int_div_zero 0
	.end_amdhsa_kernel
	.section	.text._ZN7rocprim17ROCPRIM_400000_NS6detail17trampoline_kernelINS0_14default_configENS1_37merge_sort_block_sort_config_selectorIlNS0_10empty_typeEEEZNS1_21merge_sort_block_sortIS3_PlS8_PS5_S9_ZN2at6native12_GLOBAL__N_124unique_dim_cuda_templateIjEESt5tupleIJNSA_6TensorESF_SF_EERKSF_lbbbEUlllE_EE10hipError_tT0_T1_T2_T3_mRjT4_P12ihipStream_tbNS1_7vsmem_tEEUlT_E_NS1_11comp_targetILNS1_3genE3ELNS1_11target_archE908ELNS1_3gpuE7ELNS1_3repE0EEENS1_30default_config_static_selectorELNS0_4arch9wavefront6targetE1EEEvSM_,"axG",@progbits,_ZN7rocprim17ROCPRIM_400000_NS6detail17trampoline_kernelINS0_14default_configENS1_37merge_sort_block_sort_config_selectorIlNS0_10empty_typeEEEZNS1_21merge_sort_block_sortIS3_PlS8_PS5_S9_ZN2at6native12_GLOBAL__N_124unique_dim_cuda_templateIjEESt5tupleIJNSA_6TensorESF_SF_EERKSF_lbbbEUlllE_EE10hipError_tT0_T1_T2_T3_mRjT4_P12ihipStream_tbNS1_7vsmem_tEEUlT_E_NS1_11comp_targetILNS1_3genE3ELNS1_11target_archE908ELNS1_3gpuE7ELNS1_3repE0EEENS1_30default_config_static_selectorELNS0_4arch9wavefront6targetE1EEEvSM_,comdat
.Lfunc_end1496:
	.size	_ZN7rocprim17ROCPRIM_400000_NS6detail17trampoline_kernelINS0_14default_configENS1_37merge_sort_block_sort_config_selectorIlNS0_10empty_typeEEEZNS1_21merge_sort_block_sortIS3_PlS8_PS5_S9_ZN2at6native12_GLOBAL__N_124unique_dim_cuda_templateIjEESt5tupleIJNSA_6TensorESF_SF_EERKSF_lbbbEUlllE_EE10hipError_tT0_T1_T2_T3_mRjT4_P12ihipStream_tbNS1_7vsmem_tEEUlT_E_NS1_11comp_targetILNS1_3genE3ELNS1_11target_archE908ELNS1_3gpuE7ELNS1_3repE0EEENS1_30default_config_static_selectorELNS0_4arch9wavefront6targetE1EEEvSM_, .Lfunc_end1496-_ZN7rocprim17ROCPRIM_400000_NS6detail17trampoline_kernelINS0_14default_configENS1_37merge_sort_block_sort_config_selectorIlNS0_10empty_typeEEEZNS1_21merge_sort_block_sortIS3_PlS8_PS5_S9_ZN2at6native12_GLOBAL__N_124unique_dim_cuda_templateIjEESt5tupleIJNSA_6TensorESF_SF_EERKSF_lbbbEUlllE_EE10hipError_tT0_T1_T2_T3_mRjT4_P12ihipStream_tbNS1_7vsmem_tEEUlT_E_NS1_11comp_targetILNS1_3genE3ELNS1_11target_archE908ELNS1_3gpuE7ELNS1_3repE0EEENS1_30default_config_static_selectorELNS0_4arch9wavefront6targetE1EEEvSM_
                                        ; -- End function
	.section	.AMDGPU.csdata,"",@progbits
; Kernel info:
; codeLenInByte = 0
; NumSgprs: 6
; NumVgprs: 0
; NumAgprs: 0
; TotalNumVgprs: 0
; ScratchSize: 0
; MemoryBound: 0
; FloatMode: 240
; IeeeMode: 1
; LDSByteSize: 0 bytes/workgroup (compile time only)
; SGPRBlocks: 0
; VGPRBlocks: 0
; NumSGPRsForWavesPerEU: 6
; NumVGPRsForWavesPerEU: 1
; AccumOffset: 4
; Occupancy: 8
; WaveLimiterHint : 0
; COMPUTE_PGM_RSRC2:SCRATCH_EN: 0
; COMPUTE_PGM_RSRC2:USER_SGPR: 2
; COMPUTE_PGM_RSRC2:TRAP_HANDLER: 0
; COMPUTE_PGM_RSRC2:TGID_X_EN: 1
; COMPUTE_PGM_RSRC2:TGID_Y_EN: 0
; COMPUTE_PGM_RSRC2:TGID_Z_EN: 0
; COMPUTE_PGM_RSRC2:TIDIG_COMP_CNT: 0
; COMPUTE_PGM_RSRC3_GFX90A:ACCUM_OFFSET: 0
; COMPUTE_PGM_RSRC3_GFX90A:TG_SPLIT: 0
	.section	.text._ZN7rocprim17ROCPRIM_400000_NS6detail17trampoline_kernelINS0_14default_configENS1_37merge_sort_block_sort_config_selectorIlNS0_10empty_typeEEEZNS1_21merge_sort_block_sortIS3_PlS8_PS5_S9_ZN2at6native12_GLOBAL__N_124unique_dim_cuda_templateIjEESt5tupleIJNSA_6TensorESF_SF_EERKSF_lbbbEUlllE_EE10hipError_tT0_T1_T2_T3_mRjT4_P12ihipStream_tbNS1_7vsmem_tEEUlT_E_NS1_11comp_targetILNS1_3genE2ELNS1_11target_archE906ELNS1_3gpuE6ELNS1_3repE0EEENS1_30default_config_static_selectorELNS0_4arch9wavefront6targetE1EEEvSM_,"axG",@progbits,_ZN7rocprim17ROCPRIM_400000_NS6detail17trampoline_kernelINS0_14default_configENS1_37merge_sort_block_sort_config_selectorIlNS0_10empty_typeEEEZNS1_21merge_sort_block_sortIS3_PlS8_PS5_S9_ZN2at6native12_GLOBAL__N_124unique_dim_cuda_templateIjEESt5tupleIJNSA_6TensorESF_SF_EERKSF_lbbbEUlllE_EE10hipError_tT0_T1_T2_T3_mRjT4_P12ihipStream_tbNS1_7vsmem_tEEUlT_E_NS1_11comp_targetILNS1_3genE2ELNS1_11target_archE906ELNS1_3gpuE6ELNS1_3repE0EEENS1_30default_config_static_selectorELNS0_4arch9wavefront6targetE1EEEvSM_,comdat
	.globl	_ZN7rocprim17ROCPRIM_400000_NS6detail17trampoline_kernelINS0_14default_configENS1_37merge_sort_block_sort_config_selectorIlNS0_10empty_typeEEEZNS1_21merge_sort_block_sortIS3_PlS8_PS5_S9_ZN2at6native12_GLOBAL__N_124unique_dim_cuda_templateIjEESt5tupleIJNSA_6TensorESF_SF_EERKSF_lbbbEUlllE_EE10hipError_tT0_T1_T2_T3_mRjT4_P12ihipStream_tbNS1_7vsmem_tEEUlT_E_NS1_11comp_targetILNS1_3genE2ELNS1_11target_archE906ELNS1_3gpuE6ELNS1_3repE0EEENS1_30default_config_static_selectorELNS0_4arch9wavefront6targetE1EEEvSM_ ; -- Begin function _ZN7rocprim17ROCPRIM_400000_NS6detail17trampoline_kernelINS0_14default_configENS1_37merge_sort_block_sort_config_selectorIlNS0_10empty_typeEEEZNS1_21merge_sort_block_sortIS3_PlS8_PS5_S9_ZN2at6native12_GLOBAL__N_124unique_dim_cuda_templateIjEESt5tupleIJNSA_6TensorESF_SF_EERKSF_lbbbEUlllE_EE10hipError_tT0_T1_T2_T3_mRjT4_P12ihipStream_tbNS1_7vsmem_tEEUlT_E_NS1_11comp_targetILNS1_3genE2ELNS1_11target_archE906ELNS1_3gpuE6ELNS1_3repE0EEENS1_30default_config_static_selectorELNS0_4arch9wavefront6targetE1EEEvSM_
	.p2align	8
	.type	_ZN7rocprim17ROCPRIM_400000_NS6detail17trampoline_kernelINS0_14default_configENS1_37merge_sort_block_sort_config_selectorIlNS0_10empty_typeEEEZNS1_21merge_sort_block_sortIS3_PlS8_PS5_S9_ZN2at6native12_GLOBAL__N_124unique_dim_cuda_templateIjEESt5tupleIJNSA_6TensorESF_SF_EERKSF_lbbbEUlllE_EE10hipError_tT0_T1_T2_T3_mRjT4_P12ihipStream_tbNS1_7vsmem_tEEUlT_E_NS1_11comp_targetILNS1_3genE2ELNS1_11target_archE906ELNS1_3gpuE6ELNS1_3repE0EEENS1_30default_config_static_selectorELNS0_4arch9wavefront6targetE1EEEvSM_,@function
_ZN7rocprim17ROCPRIM_400000_NS6detail17trampoline_kernelINS0_14default_configENS1_37merge_sort_block_sort_config_selectorIlNS0_10empty_typeEEEZNS1_21merge_sort_block_sortIS3_PlS8_PS5_S9_ZN2at6native12_GLOBAL__N_124unique_dim_cuda_templateIjEESt5tupleIJNSA_6TensorESF_SF_EERKSF_lbbbEUlllE_EE10hipError_tT0_T1_T2_T3_mRjT4_P12ihipStream_tbNS1_7vsmem_tEEUlT_E_NS1_11comp_targetILNS1_3genE2ELNS1_11target_archE906ELNS1_3gpuE6ELNS1_3repE0EEENS1_30default_config_static_selectorELNS0_4arch9wavefront6targetE1EEEvSM_: ; @_ZN7rocprim17ROCPRIM_400000_NS6detail17trampoline_kernelINS0_14default_configENS1_37merge_sort_block_sort_config_selectorIlNS0_10empty_typeEEEZNS1_21merge_sort_block_sortIS3_PlS8_PS5_S9_ZN2at6native12_GLOBAL__N_124unique_dim_cuda_templateIjEESt5tupleIJNSA_6TensorESF_SF_EERKSF_lbbbEUlllE_EE10hipError_tT0_T1_T2_T3_mRjT4_P12ihipStream_tbNS1_7vsmem_tEEUlT_E_NS1_11comp_targetILNS1_3genE2ELNS1_11target_archE906ELNS1_3gpuE6ELNS1_3repE0EEENS1_30default_config_static_selectorELNS0_4arch9wavefront6targetE1EEEvSM_
; %bb.0:
	.section	.rodata,"a",@progbits
	.p2align	6, 0x0
	.amdhsa_kernel _ZN7rocprim17ROCPRIM_400000_NS6detail17trampoline_kernelINS0_14default_configENS1_37merge_sort_block_sort_config_selectorIlNS0_10empty_typeEEEZNS1_21merge_sort_block_sortIS3_PlS8_PS5_S9_ZN2at6native12_GLOBAL__N_124unique_dim_cuda_templateIjEESt5tupleIJNSA_6TensorESF_SF_EERKSF_lbbbEUlllE_EE10hipError_tT0_T1_T2_T3_mRjT4_P12ihipStream_tbNS1_7vsmem_tEEUlT_E_NS1_11comp_targetILNS1_3genE2ELNS1_11target_archE906ELNS1_3gpuE6ELNS1_3repE0EEENS1_30default_config_static_selectorELNS0_4arch9wavefront6targetE1EEEvSM_
		.amdhsa_group_segment_fixed_size 0
		.amdhsa_private_segment_fixed_size 0
		.amdhsa_kernarg_size 72
		.amdhsa_user_sgpr_count 2
		.amdhsa_user_sgpr_dispatch_ptr 0
		.amdhsa_user_sgpr_queue_ptr 0
		.amdhsa_user_sgpr_kernarg_segment_ptr 1
		.amdhsa_user_sgpr_dispatch_id 0
		.amdhsa_user_sgpr_kernarg_preload_length 0
		.amdhsa_user_sgpr_kernarg_preload_offset 0
		.amdhsa_user_sgpr_private_segment_size 0
		.amdhsa_uses_dynamic_stack 0
		.amdhsa_enable_private_segment 0
		.amdhsa_system_sgpr_workgroup_id_x 1
		.amdhsa_system_sgpr_workgroup_id_y 0
		.amdhsa_system_sgpr_workgroup_id_z 0
		.amdhsa_system_sgpr_workgroup_info 0
		.amdhsa_system_vgpr_workitem_id 0
		.amdhsa_next_free_vgpr 1
		.amdhsa_next_free_sgpr 0
		.amdhsa_accum_offset 4
		.amdhsa_reserve_vcc 0
		.amdhsa_float_round_mode_32 0
		.amdhsa_float_round_mode_16_64 0
		.amdhsa_float_denorm_mode_32 3
		.amdhsa_float_denorm_mode_16_64 3
		.amdhsa_dx10_clamp 1
		.amdhsa_ieee_mode 1
		.amdhsa_fp16_overflow 0
		.amdhsa_tg_split 0
		.amdhsa_exception_fp_ieee_invalid_op 0
		.amdhsa_exception_fp_denorm_src 0
		.amdhsa_exception_fp_ieee_div_zero 0
		.amdhsa_exception_fp_ieee_overflow 0
		.amdhsa_exception_fp_ieee_underflow 0
		.amdhsa_exception_fp_ieee_inexact 0
		.amdhsa_exception_int_div_zero 0
	.end_amdhsa_kernel
	.section	.text._ZN7rocprim17ROCPRIM_400000_NS6detail17trampoline_kernelINS0_14default_configENS1_37merge_sort_block_sort_config_selectorIlNS0_10empty_typeEEEZNS1_21merge_sort_block_sortIS3_PlS8_PS5_S9_ZN2at6native12_GLOBAL__N_124unique_dim_cuda_templateIjEESt5tupleIJNSA_6TensorESF_SF_EERKSF_lbbbEUlllE_EE10hipError_tT0_T1_T2_T3_mRjT4_P12ihipStream_tbNS1_7vsmem_tEEUlT_E_NS1_11comp_targetILNS1_3genE2ELNS1_11target_archE906ELNS1_3gpuE6ELNS1_3repE0EEENS1_30default_config_static_selectorELNS0_4arch9wavefront6targetE1EEEvSM_,"axG",@progbits,_ZN7rocprim17ROCPRIM_400000_NS6detail17trampoline_kernelINS0_14default_configENS1_37merge_sort_block_sort_config_selectorIlNS0_10empty_typeEEEZNS1_21merge_sort_block_sortIS3_PlS8_PS5_S9_ZN2at6native12_GLOBAL__N_124unique_dim_cuda_templateIjEESt5tupleIJNSA_6TensorESF_SF_EERKSF_lbbbEUlllE_EE10hipError_tT0_T1_T2_T3_mRjT4_P12ihipStream_tbNS1_7vsmem_tEEUlT_E_NS1_11comp_targetILNS1_3genE2ELNS1_11target_archE906ELNS1_3gpuE6ELNS1_3repE0EEENS1_30default_config_static_selectorELNS0_4arch9wavefront6targetE1EEEvSM_,comdat
.Lfunc_end1497:
	.size	_ZN7rocprim17ROCPRIM_400000_NS6detail17trampoline_kernelINS0_14default_configENS1_37merge_sort_block_sort_config_selectorIlNS0_10empty_typeEEEZNS1_21merge_sort_block_sortIS3_PlS8_PS5_S9_ZN2at6native12_GLOBAL__N_124unique_dim_cuda_templateIjEESt5tupleIJNSA_6TensorESF_SF_EERKSF_lbbbEUlllE_EE10hipError_tT0_T1_T2_T3_mRjT4_P12ihipStream_tbNS1_7vsmem_tEEUlT_E_NS1_11comp_targetILNS1_3genE2ELNS1_11target_archE906ELNS1_3gpuE6ELNS1_3repE0EEENS1_30default_config_static_selectorELNS0_4arch9wavefront6targetE1EEEvSM_, .Lfunc_end1497-_ZN7rocprim17ROCPRIM_400000_NS6detail17trampoline_kernelINS0_14default_configENS1_37merge_sort_block_sort_config_selectorIlNS0_10empty_typeEEEZNS1_21merge_sort_block_sortIS3_PlS8_PS5_S9_ZN2at6native12_GLOBAL__N_124unique_dim_cuda_templateIjEESt5tupleIJNSA_6TensorESF_SF_EERKSF_lbbbEUlllE_EE10hipError_tT0_T1_T2_T3_mRjT4_P12ihipStream_tbNS1_7vsmem_tEEUlT_E_NS1_11comp_targetILNS1_3genE2ELNS1_11target_archE906ELNS1_3gpuE6ELNS1_3repE0EEENS1_30default_config_static_selectorELNS0_4arch9wavefront6targetE1EEEvSM_
                                        ; -- End function
	.section	.AMDGPU.csdata,"",@progbits
; Kernel info:
; codeLenInByte = 0
; NumSgprs: 6
; NumVgprs: 0
; NumAgprs: 0
; TotalNumVgprs: 0
; ScratchSize: 0
; MemoryBound: 0
; FloatMode: 240
; IeeeMode: 1
; LDSByteSize: 0 bytes/workgroup (compile time only)
; SGPRBlocks: 0
; VGPRBlocks: 0
; NumSGPRsForWavesPerEU: 6
; NumVGPRsForWavesPerEU: 1
; AccumOffset: 4
; Occupancy: 8
; WaveLimiterHint : 0
; COMPUTE_PGM_RSRC2:SCRATCH_EN: 0
; COMPUTE_PGM_RSRC2:USER_SGPR: 2
; COMPUTE_PGM_RSRC2:TRAP_HANDLER: 0
; COMPUTE_PGM_RSRC2:TGID_X_EN: 1
; COMPUTE_PGM_RSRC2:TGID_Y_EN: 0
; COMPUTE_PGM_RSRC2:TGID_Z_EN: 0
; COMPUTE_PGM_RSRC2:TIDIG_COMP_CNT: 0
; COMPUTE_PGM_RSRC3_GFX90A:ACCUM_OFFSET: 0
; COMPUTE_PGM_RSRC3_GFX90A:TG_SPLIT: 0
	.section	.text._ZN7rocprim17ROCPRIM_400000_NS6detail17trampoline_kernelINS0_14default_configENS1_37merge_sort_block_sort_config_selectorIlNS0_10empty_typeEEEZNS1_21merge_sort_block_sortIS3_PlS8_PS5_S9_ZN2at6native12_GLOBAL__N_124unique_dim_cuda_templateIjEESt5tupleIJNSA_6TensorESF_SF_EERKSF_lbbbEUlllE_EE10hipError_tT0_T1_T2_T3_mRjT4_P12ihipStream_tbNS1_7vsmem_tEEUlT_E_NS1_11comp_targetILNS1_3genE10ELNS1_11target_archE1201ELNS1_3gpuE5ELNS1_3repE0EEENS1_30default_config_static_selectorELNS0_4arch9wavefront6targetE1EEEvSM_,"axG",@progbits,_ZN7rocprim17ROCPRIM_400000_NS6detail17trampoline_kernelINS0_14default_configENS1_37merge_sort_block_sort_config_selectorIlNS0_10empty_typeEEEZNS1_21merge_sort_block_sortIS3_PlS8_PS5_S9_ZN2at6native12_GLOBAL__N_124unique_dim_cuda_templateIjEESt5tupleIJNSA_6TensorESF_SF_EERKSF_lbbbEUlllE_EE10hipError_tT0_T1_T2_T3_mRjT4_P12ihipStream_tbNS1_7vsmem_tEEUlT_E_NS1_11comp_targetILNS1_3genE10ELNS1_11target_archE1201ELNS1_3gpuE5ELNS1_3repE0EEENS1_30default_config_static_selectorELNS0_4arch9wavefront6targetE1EEEvSM_,comdat
	.globl	_ZN7rocprim17ROCPRIM_400000_NS6detail17trampoline_kernelINS0_14default_configENS1_37merge_sort_block_sort_config_selectorIlNS0_10empty_typeEEEZNS1_21merge_sort_block_sortIS3_PlS8_PS5_S9_ZN2at6native12_GLOBAL__N_124unique_dim_cuda_templateIjEESt5tupleIJNSA_6TensorESF_SF_EERKSF_lbbbEUlllE_EE10hipError_tT0_T1_T2_T3_mRjT4_P12ihipStream_tbNS1_7vsmem_tEEUlT_E_NS1_11comp_targetILNS1_3genE10ELNS1_11target_archE1201ELNS1_3gpuE5ELNS1_3repE0EEENS1_30default_config_static_selectorELNS0_4arch9wavefront6targetE1EEEvSM_ ; -- Begin function _ZN7rocprim17ROCPRIM_400000_NS6detail17trampoline_kernelINS0_14default_configENS1_37merge_sort_block_sort_config_selectorIlNS0_10empty_typeEEEZNS1_21merge_sort_block_sortIS3_PlS8_PS5_S9_ZN2at6native12_GLOBAL__N_124unique_dim_cuda_templateIjEESt5tupleIJNSA_6TensorESF_SF_EERKSF_lbbbEUlllE_EE10hipError_tT0_T1_T2_T3_mRjT4_P12ihipStream_tbNS1_7vsmem_tEEUlT_E_NS1_11comp_targetILNS1_3genE10ELNS1_11target_archE1201ELNS1_3gpuE5ELNS1_3repE0EEENS1_30default_config_static_selectorELNS0_4arch9wavefront6targetE1EEEvSM_
	.p2align	8
	.type	_ZN7rocprim17ROCPRIM_400000_NS6detail17trampoline_kernelINS0_14default_configENS1_37merge_sort_block_sort_config_selectorIlNS0_10empty_typeEEEZNS1_21merge_sort_block_sortIS3_PlS8_PS5_S9_ZN2at6native12_GLOBAL__N_124unique_dim_cuda_templateIjEESt5tupleIJNSA_6TensorESF_SF_EERKSF_lbbbEUlllE_EE10hipError_tT0_T1_T2_T3_mRjT4_P12ihipStream_tbNS1_7vsmem_tEEUlT_E_NS1_11comp_targetILNS1_3genE10ELNS1_11target_archE1201ELNS1_3gpuE5ELNS1_3repE0EEENS1_30default_config_static_selectorELNS0_4arch9wavefront6targetE1EEEvSM_,@function
_ZN7rocprim17ROCPRIM_400000_NS6detail17trampoline_kernelINS0_14default_configENS1_37merge_sort_block_sort_config_selectorIlNS0_10empty_typeEEEZNS1_21merge_sort_block_sortIS3_PlS8_PS5_S9_ZN2at6native12_GLOBAL__N_124unique_dim_cuda_templateIjEESt5tupleIJNSA_6TensorESF_SF_EERKSF_lbbbEUlllE_EE10hipError_tT0_T1_T2_T3_mRjT4_P12ihipStream_tbNS1_7vsmem_tEEUlT_E_NS1_11comp_targetILNS1_3genE10ELNS1_11target_archE1201ELNS1_3gpuE5ELNS1_3repE0EEENS1_30default_config_static_selectorELNS0_4arch9wavefront6targetE1EEEvSM_: ; @_ZN7rocprim17ROCPRIM_400000_NS6detail17trampoline_kernelINS0_14default_configENS1_37merge_sort_block_sort_config_selectorIlNS0_10empty_typeEEEZNS1_21merge_sort_block_sortIS3_PlS8_PS5_S9_ZN2at6native12_GLOBAL__N_124unique_dim_cuda_templateIjEESt5tupleIJNSA_6TensorESF_SF_EERKSF_lbbbEUlllE_EE10hipError_tT0_T1_T2_T3_mRjT4_P12ihipStream_tbNS1_7vsmem_tEEUlT_E_NS1_11comp_targetILNS1_3genE10ELNS1_11target_archE1201ELNS1_3gpuE5ELNS1_3repE0EEENS1_30default_config_static_selectorELNS0_4arch9wavefront6targetE1EEEvSM_
; %bb.0:
	.section	.rodata,"a",@progbits
	.p2align	6, 0x0
	.amdhsa_kernel _ZN7rocprim17ROCPRIM_400000_NS6detail17trampoline_kernelINS0_14default_configENS1_37merge_sort_block_sort_config_selectorIlNS0_10empty_typeEEEZNS1_21merge_sort_block_sortIS3_PlS8_PS5_S9_ZN2at6native12_GLOBAL__N_124unique_dim_cuda_templateIjEESt5tupleIJNSA_6TensorESF_SF_EERKSF_lbbbEUlllE_EE10hipError_tT0_T1_T2_T3_mRjT4_P12ihipStream_tbNS1_7vsmem_tEEUlT_E_NS1_11comp_targetILNS1_3genE10ELNS1_11target_archE1201ELNS1_3gpuE5ELNS1_3repE0EEENS1_30default_config_static_selectorELNS0_4arch9wavefront6targetE1EEEvSM_
		.amdhsa_group_segment_fixed_size 0
		.amdhsa_private_segment_fixed_size 0
		.amdhsa_kernarg_size 72
		.amdhsa_user_sgpr_count 2
		.amdhsa_user_sgpr_dispatch_ptr 0
		.amdhsa_user_sgpr_queue_ptr 0
		.amdhsa_user_sgpr_kernarg_segment_ptr 1
		.amdhsa_user_sgpr_dispatch_id 0
		.amdhsa_user_sgpr_kernarg_preload_length 0
		.amdhsa_user_sgpr_kernarg_preload_offset 0
		.amdhsa_user_sgpr_private_segment_size 0
		.amdhsa_uses_dynamic_stack 0
		.amdhsa_enable_private_segment 0
		.amdhsa_system_sgpr_workgroup_id_x 1
		.amdhsa_system_sgpr_workgroup_id_y 0
		.amdhsa_system_sgpr_workgroup_id_z 0
		.amdhsa_system_sgpr_workgroup_info 0
		.amdhsa_system_vgpr_workitem_id 0
		.amdhsa_next_free_vgpr 1
		.amdhsa_next_free_sgpr 0
		.amdhsa_accum_offset 4
		.amdhsa_reserve_vcc 0
		.amdhsa_float_round_mode_32 0
		.amdhsa_float_round_mode_16_64 0
		.amdhsa_float_denorm_mode_32 3
		.amdhsa_float_denorm_mode_16_64 3
		.amdhsa_dx10_clamp 1
		.amdhsa_ieee_mode 1
		.amdhsa_fp16_overflow 0
		.amdhsa_tg_split 0
		.amdhsa_exception_fp_ieee_invalid_op 0
		.amdhsa_exception_fp_denorm_src 0
		.amdhsa_exception_fp_ieee_div_zero 0
		.amdhsa_exception_fp_ieee_overflow 0
		.amdhsa_exception_fp_ieee_underflow 0
		.amdhsa_exception_fp_ieee_inexact 0
		.amdhsa_exception_int_div_zero 0
	.end_amdhsa_kernel
	.section	.text._ZN7rocprim17ROCPRIM_400000_NS6detail17trampoline_kernelINS0_14default_configENS1_37merge_sort_block_sort_config_selectorIlNS0_10empty_typeEEEZNS1_21merge_sort_block_sortIS3_PlS8_PS5_S9_ZN2at6native12_GLOBAL__N_124unique_dim_cuda_templateIjEESt5tupleIJNSA_6TensorESF_SF_EERKSF_lbbbEUlllE_EE10hipError_tT0_T1_T2_T3_mRjT4_P12ihipStream_tbNS1_7vsmem_tEEUlT_E_NS1_11comp_targetILNS1_3genE10ELNS1_11target_archE1201ELNS1_3gpuE5ELNS1_3repE0EEENS1_30default_config_static_selectorELNS0_4arch9wavefront6targetE1EEEvSM_,"axG",@progbits,_ZN7rocprim17ROCPRIM_400000_NS6detail17trampoline_kernelINS0_14default_configENS1_37merge_sort_block_sort_config_selectorIlNS0_10empty_typeEEEZNS1_21merge_sort_block_sortIS3_PlS8_PS5_S9_ZN2at6native12_GLOBAL__N_124unique_dim_cuda_templateIjEESt5tupleIJNSA_6TensorESF_SF_EERKSF_lbbbEUlllE_EE10hipError_tT0_T1_T2_T3_mRjT4_P12ihipStream_tbNS1_7vsmem_tEEUlT_E_NS1_11comp_targetILNS1_3genE10ELNS1_11target_archE1201ELNS1_3gpuE5ELNS1_3repE0EEENS1_30default_config_static_selectorELNS0_4arch9wavefront6targetE1EEEvSM_,comdat
.Lfunc_end1498:
	.size	_ZN7rocprim17ROCPRIM_400000_NS6detail17trampoline_kernelINS0_14default_configENS1_37merge_sort_block_sort_config_selectorIlNS0_10empty_typeEEEZNS1_21merge_sort_block_sortIS3_PlS8_PS5_S9_ZN2at6native12_GLOBAL__N_124unique_dim_cuda_templateIjEESt5tupleIJNSA_6TensorESF_SF_EERKSF_lbbbEUlllE_EE10hipError_tT0_T1_T2_T3_mRjT4_P12ihipStream_tbNS1_7vsmem_tEEUlT_E_NS1_11comp_targetILNS1_3genE10ELNS1_11target_archE1201ELNS1_3gpuE5ELNS1_3repE0EEENS1_30default_config_static_selectorELNS0_4arch9wavefront6targetE1EEEvSM_, .Lfunc_end1498-_ZN7rocprim17ROCPRIM_400000_NS6detail17trampoline_kernelINS0_14default_configENS1_37merge_sort_block_sort_config_selectorIlNS0_10empty_typeEEEZNS1_21merge_sort_block_sortIS3_PlS8_PS5_S9_ZN2at6native12_GLOBAL__N_124unique_dim_cuda_templateIjEESt5tupleIJNSA_6TensorESF_SF_EERKSF_lbbbEUlllE_EE10hipError_tT0_T1_T2_T3_mRjT4_P12ihipStream_tbNS1_7vsmem_tEEUlT_E_NS1_11comp_targetILNS1_3genE10ELNS1_11target_archE1201ELNS1_3gpuE5ELNS1_3repE0EEENS1_30default_config_static_selectorELNS0_4arch9wavefront6targetE1EEEvSM_
                                        ; -- End function
	.section	.AMDGPU.csdata,"",@progbits
; Kernel info:
; codeLenInByte = 0
; NumSgprs: 6
; NumVgprs: 0
; NumAgprs: 0
; TotalNumVgprs: 0
; ScratchSize: 0
; MemoryBound: 0
; FloatMode: 240
; IeeeMode: 1
; LDSByteSize: 0 bytes/workgroup (compile time only)
; SGPRBlocks: 0
; VGPRBlocks: 0
; NumSGPRsForWavesPerEU: 6
; NumVGPRsForWavesPerEU: 1
; AccumOffset: 4
; Occupancy: 8
; WaveLimiterHint : 0
; COMPUTE_PGM_RSRC2:SCRATCH_EN: 0
; COMPUTE_PGM_RSRC2:USER_SGPR: 2
; COMPUTE_PGM_RSRC2:TRAP_HANDLER: 0
; COMPUTE_PGM_RSRC2:TGID_X_EN: 1
; COMPUTE_PGM_RSRC2:TGID_Y_EN: 0
; COMPUTE_PGM_RSRC2:TGID_Z_EN: 0
; COMPUTE_PGM_RSRC2:TIDIG_COMP_CNT: 0
; COMPUTE_PGM_RSRC3_GFX90A:ACCUM_OFFSET: 0
; COMPUTE_PGM_RSRC3_GFX90A:TG_SPLIT: 0
	.section	.text._ZN7rocprim17ROCPRIM_400000_NS6detail17trampoline_kernelINS0_14default_configENS1_37merge_sort_block_sort_config_selectorIlNS0_10empty_typeEEEZNS1_21merge_sort_block_sortIS3_PlS8_PS5_S9_ZN2at6native12_GLOBAL__N_124unique_dim_cuda_templateIjEESt5tupleIJNSA_6TensorESF_SF_EERKSF_lbbbEUlllE_EE10hipError_tT0_T1_T2_T3_mRjT4_P12ihipStream_tbNS1_7vsmem_tEEUlT_E_NS1_11comp_targetILNS1_3genE10ELNS1_11target_archE1200ELNS1_3gpuE4ELNS1_3repE0EEENS1_30default_config_static_selectorELNS0_4arch9wavefront6targetE1EEEvSM_,"axG",@progbits,_ZN7rocprim17ROCPRIM_400000_NS6detail17trampoline_kernelINS0_14default_configENS1_37merge_sort_block_sort_config_selectorIlNS0_10empty_typeEEEZNS1_21merge_sort_block_sortIS3_PlS8_PS5_S9_ZN2at6native12_GLOBAL__N_124unique_dim_cuda_templateIjEESt5tupleIJNSA_6TensorESF_SF_EERKSF_lbbbEUlllE_EE10hipError_tT0_T1_T2_T3_mRjT4_P12ihipStream_tbNS1_7vsmem_tEEUlT_E_NS1_11comp_targetILNS1_3genE10ELNS1_11target_archE1200ELNS1_3gpuE4ELNS1_3repE0EEENS1_30default_config_static_selectorELNS0_4arch9wavefront6targetE1EEEvSM_,comdat
	.globl	_ZN7rocprim17ROCPRIM_400000_NS6detail17trampoline_kernelINS0_14default_configENS1_37merge_sort_block_sort_config_selectorIlNS0_10empty_typeEEEZNS1_21merge_sort_block_sortIS3_PlS8_PS5_S9_ZN2at6native12_GLOBAL__N_124unique_dim_cuda_templateIjEESt5tupleIJNSA_6TensorESF_SF_EERKSF_lbbbEUlllE_EE10hipError_tT0_T1_T2_T3_mRjT4_P12ihipStream_tbNS1_7vsmem_tEEUlT_E_NS1_11comp_targetILNS1_3genE10ELNS1_11target_archE1200ELNS1_3gpuE4ELNS1_3repE0EEENS1_30default_config_static_selectorELNS0_4arch9wavefront6targetE1EEEvSM_ ; -- Begin function _ZN7rocprim17ROCPRIM_400000_NS6detail17trampoline_kernelINS0_14default_configENS1_37merge_sort_block_sort_config_selectorIlNS0_10empty_typeEEEZNS1_21merge_sort_block_sortIS3_PlS8_PS5_S9_ZN2at6native12_GLOBAL__N_124unique_dim_cuda_templateIjEESt5tupleIJNSA_6TensorESF_SF_EERKSF_lbbbEUlllE_EE10hipError_tT0_T1_T2_T3_mRjT4_P12ihipStream_tbNS1_7vsmem_tEEUlT_E_NS1_11comp_targetILNS1_3genE10ELNS1_11target_archE1200ELNS1_3gpuE4ELNS1_3repE0EEENS1_30default_config_static_selectorELNS0_4arch9wavefront6targetE1EEEvSM_
	.p2align	8
	.type	_ZN7rocprim17ROCPRIM_400000_NS6detail17trampoline_kernelINS0_14default_configENS1_37merge_sort_block_sort_config_selectorIlNS0_10empty_typeEEEZNS1_21merge_sort_block_sortIS3_PlS8_PS5_S9_ZN2at6native12_GLOBAL__N_124unique_dim_cuda_templateIjEESt5tupleIJNSA_6TensorESF_SF_EERKSF_lbbbEUlllE_EE10hipError_tT0_T1_T2_T3_mRjT4_P12ihipStream_tbNS1_7vsmem_tEEUlT_E_NS1_11comp_targetILNS1_3genE10ELNS1_11target_archE1200ELNS1_3gpuE4ELNS1_3repE0EEENS1_30default_config_static_selectorELNS0_4arch9wavefront6targetE1EEEvSM_,@function
_ZN7rocprim17ROCPRIM_400000_NS6detail17trampoline_kernelINS0_14default_configENS1_37merge_sort_block_sort_config_selectorIlNS0_10empty_typeEEEZNS1_21merge_sort_block_sortIS3_PlS8_PS5_S9_ZN2at6native12_GLOBAL__N_124unique_dim_cuda_templateIjEESt5tupleIJNSA_6TensorESF_SF_EERKSF_lbbbEUlllE_EE10hipError_tT0_T1_T2_T3_mRjT4_P12ihipStream_tbNS1_7vsmem_tEEUlT_E_NS1_11comp_targetILNS1_3genE10ELNS1_11target_archE1200ELNS1_3gpuE4ELNS1_3repE0EEENS1_30default_config_static_selectorELNS0_4arch9wavefront6targetE1EEEvSM_: ; @_ZN7rocprim17ROCPRIM_400000_NS6detail17trampoline_kernelINS0_14default_configENS1_37merge_sort_block_sort_config_selectorIlNS0_10empty_typeEEEZNS1_21merge_sort_block_sortIS3_PlS8_PS5_S9_ZN2at6native12_GLOBAL__N_124unique_dim_cuda_templateIjEESt5tupleIJNSA_6TensorESF_SF_EERKSF_lbbbEUlllE_EE10hipError_tT0_T1_T2_T3_mRjT4_P12ihipStream_tbNS1_7vsmem_tEEUlT_E_NS1_11comp_targetILNS1_3genE10ELNS1_11target_archE1200ELNS1_3gpuE4ELNS1_3repE0EEENS1_30default_config_static_selectorELNS0_4arch9wavefront6targetE1EEEvSM_
; %bb.0:
	.section	.rodata,"a",@progbits
	.p2align	6, 0x0
	.amdhsa_kernel _ZN7rocprim17ROCPRIM_400000_NS6detail17trampoline_kernelINS0_14default_configENS1_37merge_sort_block_sort_config_selectorIlNS0_10empty_typeEEEZNS1_21merge_sort_block_sortIS3_PlS8_PS5_S9_ZN2at6native12_GLOBAL__N_124unique_dim_cuda_templateIjEESt5tupleIJNSA_6TensorESF_SF_EERKSF_lbbbEUlllE_EE10hipError_tT0_T1_T2_T3_mRjT4_P12ihipStream_tbNS1_7vsmem_tEEUlT_E_NS1_11comp_targetILNS1_3genE10ELNS1_11target_archE1200ELNS1_3gpuE4ELNS1_3repE0EEENS1_30default_config_static_selectorELNS0_4arch9wavefront6targetE1EEEvSM_
		.amdhsa_group_segment_fixed_size 0
		.amdhsa_private_segment_fixed_size 0
		.amdhsa_kernarg_size 72
		.amdhsa_user_sgpr_count 2
		.amdhsa_user_sgpr_dispatch_ptr 0
		.amdhsa_user_sgpr_queue_ptr 0
		.amdhsa_user_sgpr_kernarg_segment_ptr 1
		.amdhsa_user_sgpr_dispatch_id 0
		.amdhsa_user_sgpr_kernarg_preload_length 0
		.amdhsa_user_sgpr_kernarg_preload_offset 0
		.amdhsa_user_sgpr_private_segment_size 0
		.amdhsa_uses_dynamic_stack 0
		.amdhsa_enable_private_segment 0
		.amdhsa_system_sgpr_workgroup_id_x 1
		.amdhsa_system_sgpr_workgroup_id_y 0
		.amdhsa_system_sgpr_workgroup_id_z 0
		.amdhsa_system_sgpr_workgroup_info 0
		.amdhsa_system_vgpr_workitem_id 0
		.amdhsa_next_free_vgpr 1
		.amdhsa_next_free_sgpr 0
		.amdhsa_accum_offset 4
		.amdhsa_reserve_vcc 0
		.amdhsa_float_round_mode_32 0
		.amdhsa_float_round_mode_16_64 0
		.amdhsa_float_denorm_mode_32 3
		.amdhsa_float_denorm_mode_16_64 3
		.amdhsa_dx10_clamp 1
		.amdhsa_ieee_mode 1
		.amdhsa_fp16_overflow 0
		.amdhsa_tg_split 0
		.amdhsa_exception_fp_ieee_invalid_op 0
		.amdhsa_exception_fp_denorm_src 0
		.amdhsa_exception_fp_ieee_div_zero 0
		.amdhsa_exception_fp_ieee_overflow 0
		.amdhsa_exception_fp_ieee_underflow 0
		.amdhsa_exception_fp_ieee_inexact 0
		.amdhsa_exception_int_div_zero 0
	.end_amdhsa_kernel
	.section	.text._ZN7rocprim17ROCPRIM_400000_NS6detail17trampoline_kernelINS0_14default_configENS1_37merge_sort_block_sort_config_selectorIlNS0_10empty_typeEEEZNS1_21merge_sort_block_sortIS3_PlS8_PS5_S9_ZN2at6native12_GLOBAL__N_124unique_dim_cuda_templateIjEESt5tupleIJNSA_6TensorESF_SF_EERKSF_lbbbEUlllE_EE10hipError_tT0_T1_T2_T3_mRjT4_P12ihipStream_tbNS1_7vsmem_tEEUlT_E_NS1_11comp_targetILNS1_3genE10ELNS1_11target_archE1200ELNS1_3gpuE4ELNS1_3repE0EEENS1_30default_config_static_selectorELNS0_4arch9wavefront6targetE1EEEvSM_,"axG",@progbits,_ZN7rocprim17ROCPRIM_400000_NS6detail17trampoline_kernelINS0_14default_configENS1_37merge_sort_block_sort_config_selectorIlNS0_10empty_typeEEEZNS1_21merge_sort_block_sortIS3_PlS8_PS5_S9_ZN2at6native12_GLOBAL__N_124unique_dim_cuda_templateIjEESt5tupleIJNSA_6TensorESF_SF_EERKSF_lbbbEUlllE_EE10hipError_tT0_T1_T2_T3_mRjT4_P12ihipStream_tbNS1_7vsmem_tEEUlT_E_NS1_11comp_targetILNS1_3genE10ELNS1_11target_archE1200ELNS1_3gpuE4ELNS1_3repE0EEENS1_30default_config_static_selectorELNS0_4arch9wavefront6targetE1EEEvSM_,comdat
.Lfunc_end1499:
	.size	_ZN7rocprim17ROCPRIM_400000_NS6detail17trampoline_kernelINS0_14default_configENS1_37merge_sort_block_sort_config_selectorIlNS0_10empty_typeEEEZNS1_21merge_sort_block_sortIS3_PlS8_PS5_S9_ZN2at6native12_GLOBAL__N_124unique_dim_cuda_templateIjEESt5tupleIJNSA_6TensorESF_SF_EERKSF_lbbbEUlllE_EE10hipError_tT0_T1_T2_T3_mRjT4_P12ihipStream_tbNS1_7vsmem_tEEUlT_E_NS1_11comp_targetILNS1_3genE10ELNS1_11target_archE1200ELNS1_3gpuE4ELNS1_3repE0EEENS1_30default_config_static_selectorELNS0_4arch9wavefront6targetE1EEEvSM_, .Lfunc_end1499-_ZN7rocprim17ROCPRIM_400000_NS6detail17trampoline_kernelINS0_14default_configENS1_37merge_sort_block_sort_config_selectorIlNS0_10empty_typeEEEZNS1_21merge_sort_block_sortIS3_PlS8_PS5_S9_ZN2at6native12_GLOBAL__N_124unique_dim_cuda_templateIjEESt5tupleIJNSA_6TensorESF_SF_EERKSF_lbbbEUlllE_EE10hipError_tT0_T1_T2_T3_mRjT4_P12ihipStream_tbNS1_7vsmem_tEEUlT_E_NS1_11comp_targetILNS1_3genE10ELNS1_11target_archE1200ELNS1_3gpuE4ELNS1_3repE0EEENS1_30default_config_static_selectorELNS0_4arch9wavefront6targetE1EEEvSM_
                                        ; -- End function
	.section	.AMDGPU.csdata,"",@progbits
; Kernel info:
; codeLenInByte = 0
; NumSgprs: 6
; NumVgprs: 0
; NumAgprs: 0
; TotalNumVgprs: 0
; ScratchSize: 0
; MemoryBound: 0
; FloatMode: 240
; IeeeMode: 1
; LDSByteSize: 0 bytes/workgroup (compile time only)
; SGPRBlocks: 0
; VGPRBlocks: 0
; NumSGPRsForWavesPerEU: 6
; NumVGPRsForWavesPerEU: 1
; AccumOffset: 4
; Occupancy: 8
; WaveLimiterHint : 0
; COMPUTE_PGM_RSRC2:SCRATCH_EN: 0
; COMPUTE_PGM_RSRC2:USER_SGPR: 2
; COMPUTE_PGM_RSRC2:TRAP_HANDLER: 0
; COMPUTE_PGM_RSRC2:TGID_X_EN: 1
; COMPUTE_PGM_RSRC2:TGID_Y_EN: 0
; COMPUTE_PGM_RSRC2:TGID_Z_EN: 0
; COMPUTE_PGM_RSRC2:TIDIG_COMP_CNT: 0
; COMPUTE_PGM_RSRC3_GFX90A:ACCUM_OFFSET: 0
; COMPUTE_PGM_RSRC3_GFX90A:TG_SPLIT: 0
	.section	.text._ZN7rocprim17ROCPRIM_400000_NS6detail17trampoline_kernelINS0_14default_configENS1_37merge_sort_block_sort_config_selectorIlNS0_10empty_typeEEEZNS1_21merge_sort_block_sortIS3_PlS8_PS5_S9_ZN2at6native12_GLOBAL__N_124unique_dim_cuda_templateIjEESt5tupleIJNSA_6TensorESF_SF_EERKSF_lbbbEUlllE_EE10hipError_tT0_T1_T2_T3_mRjT4_P12ihipStream_tbNS1_7vsmem_tEEUlT_E_NS1_11comp_targetILNS1_3genE9ELNS1_11target_archE1100ELNS1_3gpuE3ELNS1_3repE0EEENS1_30default_config_static_selectorELNS0_4arch9wavefront6targetE1EEEvSM_,"axG",@progbits,_ZN7rocprim17ROCPRIM_400000_NS6detail17trampoline_kernelINS0_14default_configENS1_37merge_sort_block_sort_config_selectorIlNS0_10empty_typeEEEZNS1_21merge_sort_block_sortIS3_PlS8_PS5_S9_ZN2at6native12_GLOBAL__N_124unique_dim_cuda_templateIjEESt5tupleIJNSA_6TensorESF_SF_EERKSF_lbbbEUlllE_EE10hipError_tT0_T1_T2_T3_mRjT4_P12ihipStream_tbNS1_7vsmem_tEEUlT_E_NS1_11comp_targetILNS1_3genE9ELNS1_11target_archE1100ELNS1_3gpuE3ELNS1_3repE0EEENS1_30default_config_static_selectorELNS0_4arch9wavefront6targetE1EEEvSM_,comdat
	.globl	_ZN7rocprim17ROCPRIM_400000_NS6detail17trampoline_kernelINS0_14default_configENS1_37merge_sort_block_sort_config_selectorIlNS0_10empty_typeEEEZNS1_21merge_sort_block_sortIS3_PlS8_PS5_S9_ZN2at6native12_GLOBAL__N_124unique_dim_cuda_templateIjEESt5tupleIJNSA_6TensorESF_SF_EERKSF_lbbbEUlllE_EE10hipError_tT0_T1_T2_T3_mRjT4_P12ihipStream_tbNS1_7vsmem_tEEUlT_E_NS1_11comp_targetILNS1_3genE9ELNS1_11target_archE1100ELNS1_3gpuE3ELNS1_3repE0EEENS1_30default_config_static_selectorELNS0_4arch9wavefront6targetE1EEEvSM_ ; -- Begin function _ZN7rocprim17ROCPRIM_400000_NS6detail17trampoline_kernelINS0_14default_configENS1_37merge_sort_block_sort_config_selectorIlNS0_10empty_typeEEEZNS1_21merge_sort_block_sortIS3_PlS8_PS5_S9_ZN2at6native12_GLOBAL__N_124unique_dim_cuda_templateIjEESt5tupleIJNSA_6TensorESF_SF_EERKSF_lbbbEUlllE_EE10hipError_tT0_T1_T2_T3_mRjT4_P12ihipStream_tbNS1_7vsmem_tEEUlT_E_NS1_11comp_targetILNS1_3genE9ELNS1_11target_archE1100ELNS1_3gpuE3ELNS1_3repE0EEENS1_30default_config_static_selectorELNS0_4arch9wavefront6targetE1EEEvSM_
	.p2align	8
	.type	_ZN7rocprim17ROCPRIM_400000_NS6detail17trampoline_kernelINS0_14default_configENS1_37merge_sort_block_sort_config_selectorIlNS0_10empty_typeEEEZNS1_21merge_sort_block_sortIS3_PlS8_PS5_S9_ZN2at6native12_GLOBAL__N_124unique_dim_cuda_templateIjEESt5tupleIJNSA_6TensorESF_SF_EERKSF_lbbbEUlllE_EE10hipError_tT0_T1_T2_T3_mRjT4_P12ihipStream_tbNS1_7vsmem_tEEUlT_E_NS1_11comp_targetILNS1_3genE9ELNS1_11target_archE1100ELNS1_3gpuE3ELNS1_3repE0EEENS1_30default_config_static_selectorELNS0_4arch9wavefront6targetE1EEEvSM_,@function
_ZN7rocprim17ROCPRIM_400000_NS6detail17trampoline_kernelINS0_14default_configENS1_37merge_sort_block_sort_config_selectorIlNS0_10empty_typeEEEZNS1_21merge_sort_block_sortIS3_PlS8_PS5_S9_ZN2at6native12_GLOBAL__N_124unique_dim_cuda_templateIjEESt5tupleIJNSA_6TensorESF_SF_EERKSF_lbbbEUlllE_EE10hipError_tT0_T1_T2_T3_mRjT4_P12ihipStream_tbNS1_7vsmem_tEEUlT_E_NS1_11comp_targetILNS1_3genE9ELNS1_11target_archE1100ELNS1_3gpuE3ELNS1_3repE0EEENS1_30default_config_static_selectorELNS0_4arch9wavefront6targetE1EEEvSM_: ; @_ZN7rocprim17ROCPRIM_400000_NS6detail17trampoline_kernelINS0_14default_configENS1_37merge_sort_block_sort_config_selectorIlNS0_10empty_typeEEEZNS1_21merge_sort_block_sortIS3_PlS8_PS5_S9_ZN2at6native12_GLOBAL__N_124unique_dim_cuda_templateIjEESt5tupleIJNSA_6TensorESF_SF_EERKSF_lbbbEUlllE_EE10hipError_tT0_T1_T2_T3_mRjT4_P12ihipStream_tbNS1_7vsmem_tEEUlT_E_NS1_11comp_targetILNS1_3genE9ELNS1_11target_archE1100ELNS1_3gpuE3ELNS1_3repE0EEENS1_30default_config_static_selectorELNS0_4arch9wavefront6targetE1EEEvSM_
; %bb.0:
	.section	.rodata,"a",@progbits
	.p2align	6, 0x0
	.amdhsa_kernel _ZN7rocprim17ROCPRIM_400000_NS6detail17trampoline_kernelINS0_14default_configENS1_37merge_sort_block_sort_config_selectorIlNS0_10empty_typeEEEZNS1_21merge_sort_block_sortIS3_PlS8_PS5_S9_ZN2at6native12_GLOBAL__N_124unique_dim_cuda_templateIjEESt5tupleIJNSA_6TensorESF_SF_EERKSF_lbbbEUlllE_EE10hipError_tT0_T1_T2_T3_mRjT4_P12ihipStream_tbNS1_7vsmem_tEEUlT_E_NS1_11comp_targetILNS1_3genE9ELNS1_11target_archE1100ELNS1_3gpuE3ELNS1_3repE0EEENS1_30default_config_static_selectorELNS0_4arch9wavefront6targetE1EEEvSM_
		.amdhsa_group_segment_fixed_size 0
		.amdhsa_private_segment_fixed_size 0
		.amdhsa_kernarg_size 72
		.amdhsa_user_sgpr_count 2
		.amdhsa_user_sgpr_dispatch_ptr 0
		.amdhsa_user_sgpr_queue_ptr 0
		.amdhsa_user_sgpr_kernarg_segment_ptr 1
		.amdhsa_user_sgpr_dispatch_id 0
		.amdhsa_user_sgpr_kernarg_preload_length 0
		.amdhsa_user_sgpr_kernarg_preload_offset 0
		.amdhsa_user_sgpr_private_segment_size 0
		.amdhsa_uses_dynamic_stack 0
		.amdhsa_enable_private_segment 0
		.amdhsa_system_sgpr_workgroup_id_x 1
		.amdhsa_system_sgpr_workgroup_id_y 0
		.amdhsa_system_sgpr_workgroup_id_z 0
		.amdhsa_system_sgpr_workgroup_info 0
		.amdhsa_system_vgpr_workitem_id 0
		.amdhsa_next_free_vgpr 1
		.amdhsa_next_free_sgpr 0
		.amdhsa_accum_offset 4
		.amdhsa_reserve_vcc 0
		.amdhsa_float_round_mode_32 0
		.amdhsa_float_round_mode_16_64 0
		.amdhsa_float_denorm_mode_32 3
		.amdhsa_float_denorm_mode_16_64 3
		.amdhsa_dx10_clamp 1
		.amdhsa_ieee_mode 1
		.amdhsa_fp16_overflow 0
		.amdhsa_tg_split 0
		.amdhsa_exception_fp_ieee_invalid_op 0
		.amdhsa_exception_fp_denorm_src 0
		.amdhsa_exception_fp_ieee_div_zero 0
		.amdhsa_exception_fp_ieee_overflow 0
		.amdhsa_exception_fp_ieee_underflow 0
		.amdhsa_exception_fp_ieee_inexact 0
		.amdhsa_exception_int_div_zero 0
	.end_amdhsa_kernel
	.section	.text._ZN7rocprim17ROCPRIM_400000_NS6detail17trampoline_kernelINS0_14default_configENS1_37merge_sort_block_sort_config_selectorIlNS0_10empty_typeEEEZNS1_21merge_sort_block_sortIS3_PlS8_PS5_S9_ZN2at6native12_GLOBAL__N_124unique_dim_cuda_templateIjEESt5tupleIJNSA_6TensorESF_SF_EERKSF_lbbbEUlllE_EE10hipError_tT0_T1_T2_T3_mRjT4_P12ihipStream_tbNS1_7vsmem_tEEUlT_E_NS1_11comp_targetILNS1_3genE9ELNS1_11target_archE1100ELNS1_3gpuE3ELNS1_3repE0EEENS1_30default_config_static_selectorELNS0_4arch9wavefront6targetE1EEEvSM_,"axG",@progbits,_ZN7rocprim17ROCPRIM_400000_NS6detail17trampoline_kernelINS0_14default_configENS1_37merge_sort_block_sort_config_selectorIlNS0_10empty_typeEEEZNS1_21merge_sort_block_sortIS3_PlS8_PS5_S9_ZN2at6native12_GLOBAL__N_124unique_dim_cuda_templateIjEESt5tupleIJNSA_6TensorESF_SF_EERKSF_lbbbEUlllE_EE10hipError_tT0_T1_T2_T3_mRjT4_P12ihipStream_tbNS1_7vsmem_tEEUlT_E_NS1_11comp_targetILNS1_3genE9ELNS1_11target_archE1100ELNS1_3gpuE3ELNS1_3repE0EEENS1_30default_config_static_selectorELNS0_4arch9wavefront6targetE1EEEvSM_,comdat
.Lfunc_end1500:
	.size	_ZN7rocprim17ROCPRIM_400000_NS6detail17trampoline_kernelINS0_14default_configENS1_37merge_sort_block_sort_config_selectorIlNS0_10empty_typeEEEZNS1_21merge_sort_block_sortIS3_PlS8_PS5_S9_ZN2at6native12_GLOBAL__N_124unique_dim_cuda_templateIjEESt5tupleIJNSA_6TensorESF_SF_EERKSF_lbbbEUlllE_EE10hipError_tT0_T1_T2_T3_mRjT4_P12ihipStream_tbNS1_7vsmem_tEEUlT_E_NS1_11comp_targetILNS1_3genE9ELNS1_11target_archE1100ELNS1_3gpuE3ELNS1_3repE0EEENS1_30default_config_static_selectorELNS0_4arch9wavefront6targetE1EEEvSM_, .Lfunc_end1500-_ZN7rocprim17ROCPRIM_400000_NS6detail17trampoline_kernelINS0_14default_configENS1_37merge_sort_block_sort_config_selectorIlNS0_10empty_typeEEEZNS1_21merge_sort_block_sortIS3_PlS8_PS5_S9_ZN2at6native12_GLOBAL__N_124unique_dim_cuda_templateIjEESt5tupleIJNSA_6TensorESF_SF_EERKSF_lbbbEUlllE_EE10hipError_tT0_T1_T2_T3_mRjT4_P12ihipStream_tbNS1_7vsmem_tEEUlT_E_NS1_11comp_targetILNS1_3genE9ELNS1_11target_archE1100ELNS1_3gpuE3ELNS1_3repE0EEENS1_30default_config_static_selectorELNS0_4arch9wavefront6targetE1EEEvSM_
                                        ; -- End function
	.section	.AMDGPU.csdata,"",@progbits
; Kernel info:
; codeLenInByte = 0
; NumSgprs: 6
; NumVgprs: 0
; NumAgprs: 0
; TotalNumVgprs: 0
; ScratchSize: 0
; MemoryBound: 0
; FloatMode: 240
; IeeeMode: 1
; LDSByteSize: 0 bytes/workgroup (compile time only)
; SGPRBlocks: 0
; VGPRBlocks: 0
; NumSGPRsForWavesPerEU: 6
; NumVGPRsForWavesPerEU: 1
; AccumOffset: 4
; Occupancy: 8
; WaveLimiterHint : 0
; COMPUTE_PGM_RSRC2:SCRATCH_EN: 0
; COMPUTE_PGM_RSRC2:USER_SGPR: 2
; COMPUTE_PGM_RSRC2:TRAP_HANDLER: 0
; COMPUTE_PGM_RSRC2:TGID_X_EN: 1
; COMPUTE_PGM_RSRC2:TGID_Y_EN: 0
; COMPUTE_PGM_RSRC2:TGID_Z_EN: 0
; COMPUTE_PGM_RSRC2:TIDIG_COMP_CNT: 0
; COMPUTE_PGM_RSRC3_GFX90A:ACCUM_OFFSET: 0
; COMPUTE_PGM_RSRC3_GFX90A:TG_SPLIT: 0
	.section	.text._ZN7rocprim17ROCPRIM_400000_NS6detail17trampoline_kernelINS0_14default_configENS1_37merge_sort_block_sort_config_selectorIlNS0_10empty_typeEEEZNS1_21merge_sort_block_sortIS3_PlS8_PS5_S9_ZN2at6native12_GLOBAL__N_124unique_dim_cuda_templateIjEESt5tupleIJNSA_6TensorESF_SF_EERKSF_lbbbEUlllE_EE10hipError_tT0_T1_T2_T3_mRjT4_P12ihipStream_tbNS1_7vsmem_tEEUlT_E_NS1_11comp_targetILNS1_3genE8ELNS1_11target_archE1030ELNS1_3gpuE2ELNS1_3repE0EEENS1_30default_config_static_selectorELNS0_4arch9wavefront6targetE1EEEvSM_,"axG",@progbits,_ZN7rocprim17ROCPRIM_400000_NS6detail17trampoline_kernelINS0_14default_configENS1_37merge_sort_block_sort_config_selectorIlNS0_10empty_typeEEEZNS1_21merge_sort_block_sortIS3_PlS8_PS5_S9_ZN2at6native12_GLOBAL__N_124unique_dim_cuda_templateIjEESt5tupleIJNSA_6TensorESF_SF_EERKSF_lbbbEUlllE_EE10hipError_tT0_T1_T2_T3_mRjT4_P12ihipStream_tbNS1_7vsmem_tEEUlT_E_NS1_11comp_targetILNS1_3genE8ELNS1_11target_archE1030ELNS1_3gpuE2ELNS1_3repE0EEENS1_30default_config_static_selectorELNS0_4arch9wavefront6targetE1EEEvSM_,comdat
	.globl	_ZN7rocprim17ROCPRIM_400000_NS6detail17trampoline_kernelINS0_14default_configENS1_37merge_sort_block_sort_config_selectorIlNS0_10empty_typeEEEZNS1_21merge_sort_block_sortIS3_PlS8_PS5_S9_ZN2at6native12_GLOBAL__N_124unique_dim_cuda_templateIjEESt5tupleIJNSA_6TensorESF_SF_EERKSF_lbbbEUlllE_EE10hipError_tT0_T1_T2_T3_mRjT4_P12ihipStream_tbNS1_7vsmem_tEEUlT_E_NS1_11comp_targetILNS1_3genE8ELNS1_11target_archE1030ELNS1_3gpuE2ELNS1_3repE0EEENS1_30default_config_static_selectorELNS0_4arch9wavefront6targetE1EEEvSM_ ; -- Begin function _ZN7rocprim17ROCPRIM_400000_NS6detail17trampoline_kernelINS0_14default_configENS1_37merge_sort_block_sort_config_selectorIlNS0_10empty_typeEEEZNS1_21merge_sort_block_sortIS3_PlS8_PS5_S9_ZN2at6native12_GLOBAL__N_124unique_dim_cuda_templateIjEESt5tupleIJNSA_6TensorESF_SF_EERKSF_lbbbEUlllE_EE10hipError_tT0_T1_T2_T3_mRjT4_P12ihipStream_tbNS1_7vsmem_tEEUlT_E_NS1_11comp_targetILNS1_3genE8ELNS1_11target_archE1030ELNS1_3gpuE2ELNS1_3repE0EEENS1_30default_config_static_selectorELNS0_4arch9wavefront6targetE1EEEvSM_
	.p2align	8
	.type	_ZN7rocprim17ROCPRIM_400000_NS6detail17trampoline_kernelINS0_14default_configENS1_37merge_sort_block_sort_config_selectorIlNS0_10empty_typeEEEZNS1_21merge_sort_block_sortIS3_PlS8_PS5_S9_ZN2at6native12_GLOBAL__N_124unique_dim_cuda_templateIjEESt5tupleIJNSA_6TensorESF_SF_EERKSF_lbbbEUlllE_EE10hipError_tT0_T1_T2_T3_mRjT4_P12ihipStream_tbNS1_7vsmem_tEEUlT_E_NS1_11comp_targetILNS1_3genE8ELNS1_11target_archE1030ELNS1_3gpuE2ELNS1_3repE0EEENS1_30default_config_static_selectorELNS0_4arch9wavefront6targetE1EEEvSM_,@function
_ZN7rocprim17ROCPRIM_400000_NS6detail17trampoline_kernelINS0_14default_configENS1_37merge_sort_block_sort_config_selectorIlNS0_10empty_typeEEEZNS1_21merge_sort_block_sortIS3_PlS8_PS5_S9_ZN2at6native12_GLOBAL__N_124unique_dim_cuda_templateIjEESt5tupleIJNSA_6TensorESF_SF_EERKSF_lbbbEUlllE_EE10hipError_tT0_T1_T2_T3_mRjT4_P12ihipStream_tbNS1_7vsmem_tEEUlT_E_NS1_11comp_targetILNS1_3genE8ELNS1_11target_archE1030ELNS1_3gpuE2ELNS1_3repE0EEENS1_30default_config_static_selectorELNS0_4arch9wavefront6targetE1EEEvSM_: ; @_ZN7rocprim17ROCPRIM_400000_NS6detail17trampoline_kernelINS0_14default_configENS1_37merge_sort_block_sort_config_selectorIlNS0_10empty_typeEEEZNS1_21merge_sort_block_sortIS3_PlS8_PS5_S9_ZN2at6native12_GLOBAL__N_124unique_dim_cuda_templateIjEESt5tupleIJNSA_6TensorESF_SF_EERKSF_lbbbEUlllE_EE10hipError_tT0_T1_T2_T3_mRjT4_P12ihipStream_tbNS1_7vsmem_tEEUlT_E_NS1_11comp_targetILNS1_3genE8ELNS1_11target_archE1030ELNS1_3gpuE2ELNS1_3repE0EEENS1_30default_config_static_selectorELNS0_4arch9wavefront6targetE1EEEvSM_
; %bb.0:
	.section	.rodata,"a",@progbits
	.p2align	6, 0x0
	.amdhsa_kernel _ZN7rocprim17ROCPRIM_400000_NS6detail17trampoline_kernelINS0_14default_configENS1_37merge_sort_block_sort_config_selectorIlNS0_10empty_typeEEEZNS1_21merge_sort_block_sortIS3_PlS8_PS5_S9_ZN2at6native12_GLOBAL__N_124unique_dim_cuda_templateIjEESt5tupleIJNSA_6TensorESF_SF_EERKSF_lbbbEUlllE_EE10hipError_tT0_T1_T2_T3_mRjT4_P12ihipStream_tbNS1_7vsmem_tEEUlT_E_NS1_11comp_targetILNS1_3genE8ELNS1_11target_archE1030ELNS1_3gpuE2ELNS1_3repE0EEENS1_30default_config_static_selectorELNS0_4arch9wavefront6targetE1EEEvSM_
		.amdhsa_group_segment_fixed_size 0
		.amdhsa_private_segment_fixed_size 0
		.amdhsa_kernarg_size 72
		.amdhsa_user_sgpr_count 2
		.amdhsa_user_sgpr_dispatch_ptr 0
		.amdhsa_user_sgpr_queue_ptr 0
		.amdhsa_user_sgpr_kernarg_segment_ptr 1
		.amdhsa_user_sgpr_dispatch_id 0
		.amdhsa_user_sgpr_kernarg_preload_length 0
		.amdhsa_user_sgpr_kernarg_preload_offset 0
		.amdhsa_user_sgpr_private_segment_size 0
		.amdhsa_uses_dynamic_stack 0
		.amdhsa_enable_private_segment 0
		.amdhsa_system_sgpr_workgroup_id_x 1
		.amdhsa_system_sgpr_workgroup_id_y 0
		.amdhsa_system_sgpr_workgroup_id_z 0
		.amdhsa_system_sgpr_workgroup_info 0
		.amdhsa_system_vgpr_workitem_id 0
		.amdhsa_next_free_vgpr 1
		.amdhsa_next_free_sgpr 0
		.amdhsa_accum_offset 4
		.amdhsa_reserve_vcc 0
		.amdhsa_float_round_mode_32 0
		.amdhsa_float_round_mode_16_64 0
		.amdhsa_float_denorm_mode_32 3
		.amdhsa_float_denorm_mode_16_64 3
		.amdhsa_dx10_clamp 1
		.amdhsa_ieee_mode 1
		.amdhsa_fp16_overflow 0
		.amdhsa_tg_split 0
		.amdhsa_exception_fp_ieee_invalid_op 0
		.amdhsa_exception_fp_denorm_src 0
		.amdhsa_exception_fp_ieee_div_zero 0
		.amdhsa_exception_fp_ieee_overflow 0
		.amdhsa_exception_fp_ieee_underflow 0
		.amdhsa_exception_fp_ieee_inexact 0
		.amdhsa_exception_int_div_zero 0
	.end_amdhsa_kernel
	.section	.text._ZN7rocprim17ROCPRIM_400000_NS6detail17trampoline_kernelINS0_14default_configENS1_37merge_sort_block_sort_config_selectorIlNS0_10empty_typeEEEZNS1_21merge_sort_block_sortIS3_PlS8_PS5_S9_ZN2at6native12_GLOBAL__N_124unique_dim_cuda_templateIjEESt5tupleIJNSA_6TensorESF_SF_EERKSF_lbbbEUlllE_EE10hipError_tT0_T1_T2_T3_mRjT4_P12ihipStream_tbNS1_7vsmem_tEEUlT_E_NS1_11comp_targetILNS1_3genE8ELNS1_11target_archE1030ELNS1_3gpuE2ELNS1_3repE0EEENS1_30default_config_static_selectorELNS0_4arch9wavefront6targetE1EEEvSM_,"axG",@progbits,_ZN7rocprim17ROCPRIM_400000_NS6detail17trampoline_kernelINS0_14default_configENS1_37merge_sort_block_sort_config_selectorIlNS0_10empty_typeEEEZNS1_21merge_sort_block_sortIS3_PlS8_PS5_S9_ZN2at6native12_GLOBAL__N_124unique_dim_cuda_templateIjEESt5tupleIJNSA_6TensorESF_SF_EERKSF_lbbbEUlllE_EE10hipError_tT0_T1_T2_T3_mRjT4_P12ihipStream_tbNS1_7vsmem_tEEUlT_E_NS1_11comp_targetILNS1_3genE8ELNS1_11target_archE1030ELNS1_3gpuE2ELNS1_3repE0EEENS1_30default_config_static_selectorELNS0_4arch9wavefront6targetE1EEEvSM_,comdat
.Lfunc_end1501:
	.size	_ZN7rocprim17ROCPRIM_400000_NS6detail17trampoline_kernelINS0_14default_configENS1_37merge_sort_block_sort_config_selectorIlNS0_10empty_typeEEEZNS1_21merge_sort_block_sortIS3_PlS8_PS5_S9_ZN2at6native12_GLOBAL__N_124unique_dim_cuda_templateIjEESt5tupleIJNSA_6TensorESF_SF_EERKSF_lbbbEUlllE_EE10hipError_tT0_T1_T2_T3_mRjT4_P12ihipStream_tbNS1_7vsmem_tEEUlT_E_NS1_11comp_targetILNS1_3genE8ELNS1_11target_archE1030ELNS1_3gpuE2ELNS1_3repE0EEENS1_30default_config_static_selectorELNS0_4arch9wavefront6targetE1EEEvSM_, .Lfunc_end1501-_ZN7rocprim17ROCPRIM_400000_NS6detail17trampoline_kernelINS0_14default_configENS1_37merge_sort_block_sort_config_selectorIlNS0_10empty_typeEEEZNS1_21merge_sort_block_sortIS3_PlS8_PS5_S9_ZN2at6native12_GLOBAL__N_124unique_dim_cuda_templateIjEESt5tupleIJNSA_6TensorESF_SF_EERKSF_lbbbEUlllE_EE10hipError_tT0_T1_T2_T3_mRjT4_P12ihipStream_tbNS1_7vsmem_tEEUlT_E_NS1_11comp_targetILNS1_3genE8ELNS1_11target_archE1030ELNS1_3gpuE2ELNS1_3repE0EEENS1_30default_config_static_selectorELNS0_4arch9wavefront6targetE1EEEvSM_
                                        ; -- End function
	.section	.AMDGPU.csdata,"",@progbits
; Kernel info:
; codeLenInByte = 0
; NumSgprs: 6
; NumVgprs: 0
; NumAgprs: 0
; TotalNumVgprs: 0
; ScratchSize: 0
; MemoryBound: 0
; FloatMode: 240
; IeeeMode: 1
; LDSByteSize: 0 bytes/workgroup (compile time only)
; SGPRBlocks: 0
; VGPRBlocks: 0
; NumSGPRsForWavesPerEU: 6
; NumVGPRsForWavesPerEU: 1
; AccumOffset: 4
; Occupancy: 8
; WaveLimiterHint : 0
; COMPUTE_PGM_RSRC2:SCRATCH_EN: 0
; COMPUTE_PGM_RSRC2:USER_SGPR: 2
; COMPUTE_PGM_RSRC2:TRAP_HANDLER: 0
; COMPUTE_PGM_RSRC2:TGID_X_EN: 1
; COMPUTE_PGM_RSRC2:TGID_Y_EN: 0
; COMPUTE_PGM_RSRC2:TGID_Z_EN: 0
; COMPUTE_PGM_RSRC2:TIDIG_COMP_CNT: 0
; COMPUTE_PGM_RSRC3_GFX90A:ACCUM_OFFSET: 0
; COMPUTE_PGM_RSRC3_GFX90A:TG_SPLIT: 0
	.section	.text._ZN7rocprim17ROCPRIM_400000_NS6detail17trampoline_kernelINS0_14default_configENS1_38merge_sort_block_merge_config_selectorIlNS0_10empty_typeEEEZZNS1_27merge_sort_block_merge_implIS3_PlPS5_mZN2at6native12_GLOBAL__N_124unique_dim_cuda_templateIjEESt5tupleIJNSA_6TensorESF_SF_EERKSF_lbbbEUlllE_EE10hipError_tT0_T1_T2_jT3_P12ihipStream_tbPNSt15iterator_traitsISL_E10value_typeEPNSR_ISM_E10value_typeEPSN_NS1_7vsmem_tEENKUlT_SL_SM_SN_E_clIS8_S8_S9_S9_EESK_S10_SL_SM_SN_EUlS10_E_NS1_11comp_targetILNS1_3genE0ELNS1_11target_archE4294967295ELNS1_3gpuE0ELNS1_3repE0EEENS1_48merge_mergepath_partition_config_static_selectorELNS0_4arch9wavefront6targetE1EEEvSM_,"axG",@progbits,_ZN7rocprim17ROCPRIM_400000_NS6detail17trampoline_kernelINS0_14default_configENS1_38merge_sort_block_merge_config_selectorIlNS0_10empty_typeEEEZZNS1_27merge_sort_block_merge_implIS3_PlPS5_mZN2at6native12_GLOBAL__N_124unique_dim_cuda_templateIjEESt5tupleIJNSA_6TensorESF_SF_EERKSF_lbbbEUlllE_EE10hipError_tT0_T1_T2_jT3_P12ihipStream_tbPNSt15iterator_traitsISL_E10value_typeEPNSR_ISM_E10value_typeEPSN_NS1_7vsmem_tEENKUlT_SL_SM_SN_E_clIS8_S8_S9_S9_EESK_S10_SL_SM_SN_EUlS10_E_NS1_11comp_targetILNS1_3genE0ELNS1_11target_archE4294967295ELNS1_3gpuE0ELNS1_3repE0EEENS1_48merge_mergepath_partition_config_static_selectorELNS0_4arch9wavefront6targetE1EEEvSM_,comdat
	.globl	_ZN7rocprim17ROCPRIM_400000_NS6detail17trampoline_kernelINS0_14default_configENS1_38merge_sort_block_merge_config_selectorIlNS0_10empty_typeEEEZZNS1_27merge_sort_block_merge_implIS3_PlPS5_mZN2at6native12_GLOBAL__N_124unique_dim_cuda_templateIjEESt5tupleIJNSA_6TensorESF_SF_EERKSF_lbbbEUlllE_EE10hipError_tT0_T1_T2_jT3_P12ihipStream_tbPNSt15iterator_traitsISL_E10value_typeEPNSR_ISM_E10value_typeEPSN_NS1_7vsmem_tEENKUlT_SL_SM_SN_E_clIS8_S8_S9_S9_EESK_S10_SL_SM_SN_EUlS10_E_NS1_11comp_targetILNS1_3genE0ELNS1_11target_archE4294967295ELNS1_3gpuE0ELNS1_3repE0EEENS1_48merge_mergepath_partition_config_static_selectorELNS0_4arch9wavefront6targetE1EEEvSM_ ; -- Begin function _ZN7rocprim17ROCPRIM_400000_NS6detail17trampoline_kernelINS0_14default_configENS1_38merge_sort_block_merge_config_selectorIlNS0_10empty_typeEEEZZNS1_27merge_sort_block_merge_implIS3_PlPS5_mZN2at6native12_GLOBAL__N_124unique_dim_cuda_templateIjEESt5tupleIJNSA_6TensorESF_SF_EERKSF_lbbbEUlllE_EE10hipError_tT0_T1_T2_jT3_P12ihipStream_tbPNSt15iterator_traitsISL_E10value_typeEPNSR_ISM_E10value_typeEPSN_NS1_7vsmem_tEENKUlT_SL_SM_SN_E_clIS8_S8_S9_S9_EESK_S10_SL_SM_SN_EUlS10_E_NS1_11comp_targetILNS1_3genE0ELNS1_11target_archE4294967295ELNS1_3gpuE0ELNS1_3repE0EEENS1_48merge_mergepath_partition_config_static_selectorELNS0_4arch9wavefront6targetE1EEEvSM_
	.p2align	8
	.type	_ZN7rocprim17ROCPRIM_400000_NS6detail17trampoline_kernelINS0_14default_configENS1_38merge_sort_block_merge_config_selectorIlNS0_10empty_typeEEEZZNS1_27merge_sort_block_merge_implIS3_PlPS5_mZN2at6native12_GLOBAL__N_124unique_dim_cuda_templateIjEESt5tupleIJNSA_6TensorESF_SF_EERKSF_lbbbEUlllE_EE10hipError_tT0_T1_T2_jT3_P12ihipStream_tbPNSt15iterator_traitsISL_E10value_typeEPNSR_ISM_E10value_typeEPSN_NS1_7vsmem_tEENKUlT_SL_SM_SN_E_clIS8_S8_S9_S9_EESK_S10_SL_SM_SN_EUlS10_E_NS1_11comp_targetILNS1_3genE0ELNS1_11target_archE4294967295ELNS1_3gpuE0ELNS1_3repE0EEENS1_48merge_mergepath_partition_config_static_selectorELNS0_4arch9wavefront6targetE1EEEvSM_,@function
_ZN7rocprim17ROCPRIM_400000_NS6detail17trampoline_kernelINS0_14default_configENS1_38merge_sort_block_merge_config_selectorIlNS0_10empty_typeEEEZZNS1_27merge_sort_block_merge_implIS3_PlPS5_mZN2at6native12_GLOBAL__N_124unique_dim_cuda_templateIjEESt5tupleIJNSA_6TensorESF_SF_EERKSF_lbbbEUlllE_EE10hipError_tT0_T1_T2_jT3_P12ihipStream_tbPNSt15iterator_traitsISL_E10value_typeEPNSR_ISM_E10value_typeEPSN_NS1_7vsmem_tEENKUlT_SL_SM_SN_E_clIS8_S8_S9_S9_EESK_S10_SL_SM_SN_EUlS10_E_NS1_11comp_targetILNS1_3genE0ELNS1_11target_archE4294967295ELNS1_3gpuE0ELNS1_3repE0EEENS1_48merge_mergepath_partition_config_static_selectorELNS0_4arch9wavefront6targetE1EEEvSM_: ; @_ZN7rocprim17ROCPRIM_400000_NS6detail17trampoline_kernelINS0_14default_configENS1_38merge_sort_block_merge_config_selectorIlNS0_10empty_typeEEEZZNS1_27merge_sort_block_merge_implIS3_PlPS5_mZN2at6native12_GLOBAL__N_124unique_dim_cuda_templateIjEESt5tupleIJNSA_6TensorESF_SF_EERKSF_lbbbEUlllE_EE10hipError_tT0_T1_T2_jT3_P12ihipStream_tbPNSt15iterator_traitsISL_E10value_typeEPNSR_ISM_E10value_typeEPSN_NS1_7vsmem_tEENKUlT_SL_SM_SN_E_clIS8_S8_S9_S9_EESK_S10_SL_SM_SN_EUlS10_E_NS1_11comp_targetILNS1_3genE0ELNS1_11target_archE4294967295ELNS1_3gpuE0ELNS1_3repE0EEENS1_48merge_mergepath_partition_config_static_selectorELNS0_4arch9wavefront6targetE1EEEvSM_
; %bb.0:
	.section	.rodata,"a",@progbits
	.p2align	6, 0x0
	.amdhsa_kernel _ZN7rocprim17ROCPRIM_400000_NS6detail17trampoline_kernelINS0_14default_configENS1_38merge_sort_block_merge_config_selectorIlNS0_10empty_typeEEEZZNS1_27merge_sort_block_merge_implIS3_PlPS5_mZN2at6native12_GLOBAL__N_124unique_dim_cuda_templateIjEESt5tupleIJNSA_6TensorESF_SF_EERKSF_lbbbEUlllE_EE10hipError_tT0_T1_T2_jT3_P12ihipStream_tbPNSt15iterator_traitsISL_E10value_typeEPNSR_ISM_E10value_typeEPSN_NS1_7vsmem_tEENKUlT_SL_SM_SN_E_clIS8_S8_S9_S9_EESK_S10_SL_SM_SN_EUlS10_E_NS1_11comp_targetILNS1_3genE0ELNS1_11target_archE4294967295ELNS1_3gpuE0ELNS1_3repE0EEENS1_48merge_mergepath_partition_config_static_selectorELNS0_4arch9wavefront6targetE1EEEvSM_
		.amdhsa_group_segment_fixed_size 0
		.amdhsa_private_segment_fixed_size 0
		.amdhsa_kernarg_size 56
		.amdhsa_user_sgpr_count 2
		.amdhsa_user_sgpr_dispatch_ptr 0
		.amdhsa_user_sgpr_queue_ptr 0
		.amdhsa_user_sgpr_kernarg_segment_ptr 1
		.amdhsa_user_sgpr_dispatch_id 0
		.amdhsa_user_sgpr_kernarg_preload_length 0
		.amdhsa_user_sgpr_kernarg_preload_offset 0
		.amdhsa_user_sgpr_private_segment_size 0
		.amdhsa_uses_dynamic_stack 0
		.amdhsa_enable_private_segment 0
		.amdhsa_system_sgpr_workgroup_id_x 1
		.amdhsa_system_sgpr_workgroup_id_y 0
		.amdhsa_system_sgpr_workgroup_id_z 0
		.amdhsa_system_sgpr_workgroup_info 0
		.amdhsa_system_vgpr_workitem_id 0
		.amdhsa_next_free_vgpr 1
		.amdhsa_next_free_sgpr 0
		.amdhsa_accum_offset 4
		.amdhsa_reserve_vcc 0
		.amdhsa_float_round_mode_32 0
		.amdhsa_float_round_mode_16_64 0
		.amdhsa_float_denorm_mode_32 3
		.amdhsa_float_denorm_mode_16_64 3
		.amdhsa_dx10_clamp 1
		.amdhsa_ieee_mode 1
		.amdhsa_fp16_overflow 0
		.amdhsa_tg_split 0
		.amdhsa_exception_fp_ieee_invalid_op 0
		.amdhsa_exception_fp_denorm_src 0
		.amdhsa_exception_fp_ieee_div_zero 0
		.amdhsa_exception_fp_ieee_overflow 0
		.amdhsa_exception_fp_ieee_underflow 0
		.amdhsa_exception_fp_ieee_inexact 0
		.amdhsa_exception_int_div_zero 0
	.end_amdhsa_kernel
	.section	.text._ZN7rocprim17ROCPRIM_400000_NS6detail17trampoline_kernelINS0_14default_configENS1_38merge_sort_block_merge_config_selectorIlNS0_10empty_typeEEEZZNS1_27merge_sort_block_merge_implIS3_PlPS5_mZN2at6native12_GLOBAL__N_124unique_dim_cuda_templateIjEESt5tupleIJNSA_6TensorESF_SF_EERKSF_lbbbEUlllE_EE10hipError_tT0_T1_T2_jT3_P12ihipStream_tbPNSt15iterator_traitsISL_E10value_typeEPNSR_ISM_E10value_typeEPSN_NS1_7vsmem_tEENKUlT_SL_SM_SN_E_clIS8_S8_S9_S9_EESK_S10_SL_SM_SN_EUlS10_E_NS1_11comp_targetILNS1_3genE0ELNS1_11target_archE4294967295ELNS1_3gpuE0ELNS1_3repE0EEENS1_48merge_mergepath_partition_config_static_selectorELNS0_4arch9wavefront6targetE1EEEvSM_,"axG",@progbits,_ZN7rocprim17ROCPRIM_400000_NS6detail17trampoline_kernelINS0_14default_configENS1_38merge_sort_block_merge_config_selectorIlNS0_10empty_typeEEEZZNS1_27merge_sort_block_merge_implIS3_PlPS5_mZN2at6native12_GLOBAL__N_124unique_dim_cuda_templateIjEESt5tupleIJNSA_6TensorESF_SF_EERKSF_lbbbEUlllE_EE10hipError_tT0_T1_T2_jT3_P12ihipStream_tbPNSt15iterator_traitsISL_E10value_typeEPNSR_ISM_E10value_typeEPSN_NS1_7vsmem_tEENKUlT_SL_SM_SN_E_clIS8_S8_S9_S9_EESK_S10_SL_SM_SN_EUlS10_E_NS1_11comp_targetILNS1_3genE0ELNS1_11target_archE4294967295ELNS1_3gpuE0ELNS1_3repE0EEENS1_48merge_mergepath_partition_config_static_selectorELNS0_4arch9wavefront6targetE1EEEvSM_,comdat
.Lfunc_end1502:
	.size	_ZN7rocprim17ROCPRIM_400000_NS6detail17trampoline_kernelINS0_14default_configENS1_38merge_sort_block_merge_config_selectorIlNS0_10empty_typeEEEZZNS1_27merge_sort_block_merge_implIS3_PlPS5_mZN2at6native12_GLOBAL__N_124unique_dim_cuda_templateIjEESt5tupleIJNSA_6TensorESF_SF_EERKSF_lbbbEUlllE_EE10hipError_tT0_T1_T2_jT3_P12ihipStream_tbPNSt15iterator_traitsISL_E10value_typeEPNSR_ISM_E10value_typeEPSN_NS1_7vsmem_tEENKUlT_SL_SM_SN_E_clIS8_S8_S9_S9_EESK_S10_SL_SM_SN_EUlS10_E_NS1_11comp_targetILNS1_3genE0ELNS1_11target_archE4294967295ELNS1_3gpuE0ELNS1_3repE0EEENS1_48merge_mergepath_partition_config_static_selectorELNS0_4arch9wavefront6targetE1EEEvSM_, .Lfunc_end1502-_ZN7rocprim17ROCPRIM_400000_NS6detail17trampoline_kernelINS0_14default_configENS1_38merge_sort_block_merge_config_selectorIlNS0_10empty_typeEEEZZNS1_27merge_sort_block_merge_implIS3_PlPS5_mZN2at6native12_GLOBAL__N_124unique_dim_cuda_templateIjEESt5tupleIJNSA_6TensorESF_SF_EERKSF_lbbbEUlllE_EE10hipError_tT0_T1_T2_jT3_P12ihipStream_tbPNSt15iterator_traitsISL_E10value_typeEPNSR_ISM_E10value_typeEPSN_NS1_7vsmem_tEENKUlT_SL_SM_SN_E_clIS8_S8_S9_S9_EESK_S10_SL_SM_SN_EUlS10_E_NS1_11comp_targetILNS1_3genE0ELNS1_11target_archE4294967295ELNS1_3gpuE0ELNS1_3repE0EEENS1_48merge_mergepath_partition_config_static_selectorELNS0_4arch9wavefront6targetE1EEEvSM_
                                        ; -- End function
	.section	.AMDGPU.csdata,"",@progbits
; Kernel info:
; codeLenInByte = 0
; NumSgprs: 6
; NumVgprs: 0
; NumAgprs: 0
; TotalNumVgprs: 0
; ScratchSize: 0
; MemoryBound: 0
; FloatMode: 240
; IeeeMode: 1
; LDSByteSize: 0 bytes/workgroup (compile time only)
; SGPRBlocks: 0
; VGPRBlocks: 0
; NumSGPRsForWavesPerEU: 6
; NumVGPRsForWavesPerEU: 1
; AccumOffset: 4
; Occupancy: 8
; WaveLimiterHint : 0
; COMPUTE_PGM_RSRC2:SCRATCH_EN: 0
; COMPUTE_PGM_RSRC2:USER_SGPR: 2
; COMPUTE_PGM_RSRC2:TRAP_HANDLER: 0
; COMPUTE_PGM_RSRC2:TGID_X_EN: 1
; COMPUTE_PGM_RSRC2:TGID_Y_EN: 0
; COMPUTE_PGM_RSRC2:TGID_Z_EN: 0
; COMPUTE_PGM_RSRC2:TIDIG_COMP_CNT: 0
; COMPUTE_PGM_RSRC3_GFX90A:ACCUM_OFFSET: 0
; COMPUTE_PGM_RSRC3_GFX90A:TG_SPLIT: 0
	.section	.text._ZN7rocprim17ROCPRIM_400000_NS6detail17trampoline_kernelINS0_14default_configENS1_38merge_sort_block_merge_config_selectorIlNS0_10empty_typeEEEZZNS1_27merge_sort_block_merge_implIS3_PlPS5_mZN2at6native12_GLOBAL__N_124unique_dim_cuda_templateIjEESt5tupleIJNSA_6TensorESF_SF_EERKSF_lbbbEUlllE_EE10hipError_tT0_T1_T2_jT3_P12ihipStream_tbPNSt15iterator_traitsISL_E10value_typeEPNSR_ISM_E10value_typeEPSN_NS1_7vsmem_tEENKUlT_SL_SM_SN_E_clIS8_S8_S9_S9_EESK_S10_SL_SM_SN_EUlS10_E_NS1_11comp_targetILNS1_3genE10ELNS1_11target_archE1201ELNS1_3gpuE5ELNS1_3repE0EEENS1_48merge_mergepath_partition_config_static_selectorELNS0_4arch9wavefront6targetE1EEEvSM_,"axG",@progbits,_ZN7rocprim17ROCPRIM_400000_NS6detail17trampoline_kernelINS0_14default_configENS1_38merge_sort_block_merge_config_selectorIlNS0_10empty_typeEEEZZNS1_27merge_sort_block_merge_implIS3_PlPS5_mZN2at6native12_GLOBAL__N_124unique_dim_cuda_templateIjEESt5tupleIJNSA_6TensorESF_SF_EERKSF_lbbbEUlllE_EE10hipError_tT0_T1_T2_jT3_P12ihipStream_tbPNSt15iterator_traitsISL_E10value_typeEPNSR_ISM_E10value_typeEPSN_NS1_7vsmem_tEENKUlT_SL_SM_SN_E_clIS8_S8_S9_S9_EESK_S10_SL_SM_SN_EUlS10_E_NS1_11comp_targetILNS1_3genE10ELNS1_11target_archE1201ELNS1_3gpuE5ELNS1_3repE0EEENS1_48merge_mergepath_partition_config_static_selectorELNS0_4arch9wavefront6targetE1EEEvSM_,comdat
	.globl	_ZN7rocprim17ROCPRIM_400000_NS6detail17trampoline_kernelINS0_14default_configENS1_38merge_sort_block_merge_config_selectorIlNS0_10empty_typeEEEZZNS1_27merge_sort_block_merge_implIS3_PlPS5_mZN2at6native12_GLOBAL__N_124unique_dim_cuda_templateIjEESt5tupleIJNSA_6TensorESF_SF_EERKSF_lbbbEUlllE_EE10hipError_tT0_T1_T2_jT3_P12ihipStream_tbPNSt15iterator_traitsISL_E10value_typeEPNSR_ISM_E10value_typeEPSN_NS1_7vsmem_tEENKUlT_SL_SM_SN_E_clIS8_S8_S9_S9_EESK_S10_SL_SM_SN_EUlS10_E_NS1_11comp_targetILNS1_3genE10ELNS1_11target_archE1201ELNS1_3gpuE5ELNS1_3repE0EEENS1_48merge_mergepath_partition_config_static_selectorELNS0_4arch9wavefront6targetE1EEEvSM_ ; -- Begin function _ZN7rocprim17ROCPRIM_400000_NS6detail17trampoline_kernelINS0_14default_configENS1_38merge_sort_block_merge_config_selectorIlNS0_10empty_typeEEEZZNS1_27merge_sort_block_merge_implIS3_PlPS5_mZN2at6native12_GLOBAL__N_124unique_dim_cuda_templateIjEESt5tupleIJNSA_6TensorESF_SF_EERKSF_lbbbEUlllE_EE10hipError_tT0_T1_T2_jT3_P12ihipStream_tbPNSt15iterator_traitsISL_E10value_typeEPNSR_ISM_E10value_typeEPSN_NS1_7vsmem_tEENKUlT_SL_SM_SN_E_clIS8_S8_S9_S9_EESK_S10_SL_SM_SN_EUlS10_E_NS1_11comp_targetILNS1_3genE10ELNS1_11target_archE1201ELNS1_3gpuE5ELNS1_3repE0EEENS1_48merge_mergepath_partition_config_static_selectorELNS0_4arch9wavefront6targetE1EEEvSM_
	.p2align	8
	.type	_ZN7rocprim17ROCPRIM_400000_NS6detail17trampoline_kernelINS0_14default_configENS1_38merge_sort_block_merge_config_selectorIlNS0_10empty_typeEEEZZNS1_27merge_sort_block_merge_implIS3_PlPS5_mZN2at6native12_GLOBAL__N_124unique_dim_cuda_templateIjEESt5tupleIJNSA_6TensorESF_SF_EERKSF_lbbbEUlllE_EE10hipError_tT0_T1_T2_jT3_P12ihipStream_tbPNSt15iterator_traitsISL_E10value_typeEPNSR_ISM_E10value_typeEPSN_NS1_7vsmem_tEENKUlT_SL_SM_SN_E_clIS8_S8_S9_S9_EESK_S10_SL_SM_SN_EUlS10_E_NS1_11comp_targetILNS1_3genE10ELNS1_11target_archE1201ELNS1_3gpuE5ELNS1_3repE0EEENS1_48merge_mergepath_partition_config_static_selectorELNS0_4arch9wavefront6targetE1EEEvSM_,@function
_ZN7rocprim17ROCPRIM_400000_NS6detail17trampoline_kernelINS0_14default_configENS1_38merge_sort_block_merge_config_selectorIlNS0_10empty_typeEEEZZNS1_27merge_sort_block_merge_implIS3_PlPS5_mZN2at6native12_GLOBAL__N_124unique_dim_cuda_templateIjEESt5tupleIJNSA_6TensorESF_SF_EERKSF_lbbbEUlllE_EE10hipError_tT0_T1_T2_jT3_P12ihipStream_tbPNSt15iterator_traitsISL_E10value_typeEPNSR_ISM_E10value_typeEPSN_NS1_7vsmem_tEENKUlT_SL_SM_SN_E_clIS8_S8_S9_S9_EESK_S10_SL_SM_SN_EUlS10_E_NS1_11comp_targetILNS1_3genE10ELNS1_11target_archE1201ELNS1_3gpuE5ELNS1_3repE0EEENS1_48merge_mergepath_partition_config_static_selectorELNS0_4arch9wavefront6targetE1EEEvSM_: ; @_ZN7rocprim17ROCPRIM_400000_NS6detail17trampoline_kernelINS0_14default_configENS1_38merge_sort_block_merge_config_selectorIlNS0_10empty_typeEEEZZNS1_27merge_sort_block_merge_implIS3_PlPS5_mZN2at6native12_GLOBAL__N_124unique_dim_cuda_templateIjEESt5tupleIJNSA_6TensorESF_SF_EERKSF_lbbbEUlllE_EE10hipError_tT0_T1_T2_jT3_P12ihipStream_tbPNSt15iterator_traitsISL_E10value_typeEPNSR_ISM_E10value_typeEPSN_NS1_7vsmem_tEENKUlT_SL_SM_SN_E_clIS8_S8_S9_S9_EESK_S10_SL_SM_SN_EUlS10_E_NS1_11comp_targetILNS1_3genE10ELNS1_11target_archE1201ELNS1_3gpuE5ELNS1_3repE0EEENS1_48merge_mergepath_partition_config_static_selectorELNS0_4arch9wavefront6targetE1EEEvSM_
; %bb.0:
	.section	.rodata,"a",@progbits
	.p2align	6, 0x0
	.amdhsa_kernel _ZN7rocprim17ROCPRIM_400000_NS6detail17trampoline_kernelINS0_14default_configENS1_38merge_sort_block_merge_config_selectorIlNS0_10empty_typeEEEZZNS1_27merge_sort_block_merge_implIS3_PlPS5_mZN2at6native12_GLOBAL__N_124unique_dim_cuda_templateIjEESt5tupleIJNSA_6TensorESF_SF_EERKSF_lbbbEUlllE_EE10hipError_tT0_T1_T2_jT3_P12ihipStream_tbPNSt15iterator_traitsISL_E10value_typeEPNSR_ISM_E10value_typeEPSN_NS1_7vsmem_tEENKUlT_SL_SM_SN_E_clIS8_S8_S9_S9_EESK_S10_SL_SM_SN_EUlS10_E_NS1_11comp_targetILNS1_3genE10ELNS1_11target_archE1201ELNS1_3gpuE5ELNS1_3repE0EEENS1_48merge_mergepath_partition_config_static_selectorELNS0_4arch9wavefront6targetE1EEEvSM_
		.amdhsa_group_segment_fixed_size 0
		.amdhsa_private_segment_fixed_size 0
		.amdhsa_kernarg_size 56
		.amdhsa_user_sgpr_count 2
		.amdhsa_user_sgpr_dispatch_ptr 0
		.amdhsa_user_sgpr_queue_ptr 0
		.amdhsa_user_sgpr_kernarg_segment_ptr 1
		.amdhsa_user_sgpr_dispatch_id 0
		.amdhsa_user_sgpr_kernarg_preload_length 0
		.amdhsa_user_sgpr_kernarg_preload_offset 0
		.amdhsa_user_sgpr_private_segment_size 0
		.amdhsa_uses_dynamic_stack 0
		.amdhsa_enable_private_segment 0
		.amdhsa_system_sgpr_workgroup_id_x 1
		.amdhsa_system_sgpr_workgroup_id_y 0
		.amdhsa_system_sgpr_workgroup_id_z 0
		.amdhsa_system_sgpr_workgroup_info 0
		.amdhsa_system_vgpr_workitem_id 0
		.amdhsa_next_free_vgpr 1
		.amdhsa_next_free_sgpr 0
		.amdhsa_accum_offset 4
		.amdhsa_reserve_vcc 0
		.amdhsa_float_round_mode_32 0
		.amdhsa_float_round_mode_16_64 0
		.amdhsa_float_denorm_mode_32 3
		.amdhsa_float_denorm_mode_16_64 3
		.amdhsa_dx10_clamp 1
		.amdhsa_ieee_mode 1
		.amdhsa_fp16_overflow 0
		.amdhsa_tg_split 0
		.amdhsa_exception_fp_ieee_invalid_op 0
		.amdhsa_exception_fp_denorm_src 0
		.amdhsa_exception_fp_ieee_div_zero 0
		.amdhsa_exception_fp_ieee_overflow 0
		.amdhsa_exception_fp_ieee_underflow 0
		.amdhsa_exception_fp_ieee_inexact 0
		.amdhsa_exception_int_div_zero 0
	.end_amdhsa_kernel
	.section	.text._ZN7rocprim17ROCPRIM_400000_NS6detail17trampoline_kernelINS0_14default_configENS1_38merge_sort_block_merge_config_selectorIlNS0_10empty_typeEEEZZNS1_27merge_sort_block_merge_implIS3_PlPS5_mZN2at6native12_GLOBAL__N_124unique_dim_cuda_templateIjEESt5tupleIJNSA_6TensorESF_SF_EERKSF_lbbbEUlllE_EE10hipError_tT0_T1_T2_jT3_P12ihipStream_tbPNSt15iterator_traitsISL_E10value_typeEPNSR_ISM_E10value_typeEPSN_NS1_7vsmem_tEENKUlT_SL_SM_SN_E_clIS8_S8_S9_S9_EESK_S10_SL_SM_SN_EUlS10_E_NS1_11comp_targetILNS1_3genE10ELNS1_11target_archE1201ELNS1_3gpuE5ELNS1_3repE0EEENS1_48merge_mergepath_partition_config_static_selectorELNS0_4arch9wavefront6targetE1EEEvSM_,"axG",@progbits,_ZN7rocprim17ROCPRIM_400000_NS6detail17trampoline_kernelINS0_14default_configENS1_38merge_sort_block_merge_config_selectorIlNS0_10empty_typeEEEZZNS1_27merge_sort_block_merge_implIS3_PlPS5_mZN2at6native12_GLOBAL__N_124unique_dim_cuda_templateIjEESt5tupleIJNSA_6TensorESF_SF_EERKSF_lbbbEUlllE_EE10hipError_tT0_T1_T2_jT3_P12ihipStream_tbPNSt15iterator_traitsISL_E10value_typeEPNSR_ISM_E10value_typeEPSN_NS1_7vsmem_tEENKUlT_SL_SM_SN_E_clIS8_S8_S9_S9_EESK_S10_SL_SM_SN_EUlS10_E_NS1_11comp_targetILNS1_3genE10ELNS1_11target_archE1201ELNS1_3gpuE5ELNS1_3repE0EEENS1_48merge_mergepath_partition_config_static_selectorELNS0_4arch9wavefront6targetE1EEEvSM_,comdat
.Lfunc_end1503:
	.size	_ZN7rocprim17ROCPRIM_400000_NS6detail17trampoline_kernelINS0_14default_configENS1_38merge_sort_block_merge_config_selectorIlNS0_10empty_typeEEEZZNS1_27merge_sort_block_merge_implIS3_PlPS5_mZN2at6native12_GLOBAL__N_124unique_dim_cuda_templateIjEESt5tupleIJNSA_6TensorESF_SF_EERKSF_lbbbEUlllE_EE10hipError_tT0_T1_T2_jT3_P12ihipStream_tbPNSt15iterator_traitsISL_E10value_typeEPNSR_ISM_E10value_typeEPSN_NS1_7vsmem_tEENKUlT_SL_SM_SN_E_clIS8_S8_S9_S9_EESK_S10_SL_SM_SN_EUlS10_E_NS1_11comp_targetILNS1_3genE10ELNS1_11target_archE1201ELNS1_3gpuE5ELNS1_3repE0EEENS1_48merge_mergepath_partition_config_static_selectorELNS0_4arch9wavefront6targetE1EEEvSM_, .Lfunc_end1503-_ZN7rocprim17ROCPRIM_400000_NS6detail17trampoline_kernelINS0_14default_configENS1_38merge_sort_block_merge_config_selectorIlNS0_10empty_typeEEEZZNS1_27merge_sort_block_merge_implIS3_PlPS5_mZN2at6native12_GLOBAL__N_124unique_dim_cuda_templateIjEESt5tupleIJNSA_6TensorESF_SF_EERKSF_lbbbEUlllE_EE10hipError_tT0_T1_T2_jT3_P12ihipStream_tbPNSt15iterator_traitsISL_E10value_typeEPNSR_ISM_E10value_typeEPSN_NS1_7vsmem_tEENKUlT_SL_SM_SN_E_clIS8_S8_S9_S9_EESK_S10_SL_SM_SN_EUlS10_E_NS1_11comp_targetILNS1_3genE10ELNS1_11target_archE1201ELNS1_3gpuE5ELNS1_3repE0EEENS1_48merge_mergepath_partition_config_static_selectorELNS0_4arch9wavefront6targetE1EEEvSM_
                                        ; -- End function
	.section	.AMDGPU.csdata,"",@progbits
; Kernel info:
; codeLenInByte = 0
; NumSgprs: 6
; NumVgprs: 0
; NumAgprs: 0
; TotalNumVgprs: 0
; ScratchSize: 0
; MemoryBound: 0
; FloatMode: 240
; IeeeMode: 1
; LDSByteSize: 0 bytes/workgroup (compile time only)
; SGPRBlocks: 0
; VGPRBlocks: 0
; NumSGPRsForWavesPerEU: 6
; NumVGPRsForWavesPerEU: 1
; AccumOffset: 4
; Occupancy: 8
; WaveLimiterHint : 0
; COMPUTE_PGM_RSRC2:SCRATCH_EN: 0
; COMPUTE_PGM_RSRC2:USER_SGPR: 2
; COMPUTE_PGM_RSRC2:TRAP_HANDLER: 0
; COMPUTE_PGM_RSRC2:TGID_X_EN: 1
; COMPUTE_PGM_RSRC2:TGID_Y_EN: 0
; COMPUTE_PGM_RSRC2:TGID_Z_EN: 0
; COMPUTE_PGM_RSRC2:TIDIG_COMP_CNT: 0
; COMPUTE_PGM_RSRC3_GFX90A:ACCUM_OFFSET: 0
; COMPUTE_PGM_RSRC3_GFX90A:TG_SPLIT: 0
	.section	.text._ZN7rocprim17ROCPRIM_400000_NS6detail17trampoline_kernelINS0_14default_configENS1_38merge_sort_block_merge_config_selectorIlNS0_10empty_typeEEEZZNS1_27merge_sort_block_merge_implIS3_PlPS5_mZN2at6native12_GLOBAL__N_124unique_dim_cuda_templateIjEESt5tupleIJNSA_6TensorESF_SF_EERKSF_lbbbEUlllE_EE10hipError_tT0_T1_T2_jT3_P12ihipStream_tbPNSt15iterator_traitsISL_E10value_typeEPNSR_ISM_E10value_typeEPSN_NS1_7vsmem_tEENKUlT_SL_SM_SN_E_clIS8_S8_S9_S9_EESK_S10_SL_SM_SN_EUlS10_E_NS1_11comp_targetILNS1_3genE5ELNS1_11target_archE942ELNS1_3gpuE9ELNS1_3repE0EEENS1_48merge_mergepath_partition_config_static_selectorELNS0_4arch9wavefront6targetE1EEEvSM_,"axG",@progbits,_ZN7rocprim17ROCPRIM_400000_NS6detail17trampoline_kernelINS0_14default_configENS1_38merge_sort_block_merge_config_selectorIlNS0_10empty_typeEEEZZNS1_27merge_sort_block_merge_implIS3_PlPS5_mZN2at6native12_GLOBAL__N_124unique_dim_cuda_templateIjEESt5tupleIJNSA_6TensorESF_SF_EERKSF_lbbbEUlllE_EE10hipError_tT0_T1_T2_jT3_P12ihipStream_tbPNSt15iterator_traitsISL_E10value_typeEPNSR_ISM_E10value_typeEPSN_NS1_7vsmem_tEENKUlT_SL_SM_SN_E_clIS8_S8_S9_S9_EESK_S10_SL_SM_SN_EUlS10_E_NS1_11comp_targetILNS1_3genE5ELNS1_11target_archE942ELNS1_3gpuE9ELNS1_3repE0EEENS1_48merge_mergepath_partition_config_static_selectorELNS0_4arch9wavefront6targetE1EEEvSM_,comdat
	.globl	_ZN7rocprim17ROCPRIM_400000_NS6detail17trampoline_kernelINS0_14default_configENS1_38merge_sort_block_merge_config_selectorIlNS0_10empty_typeEEEZZNS1_27merge_sort_block_merge_implIS3_PlPS5_mZN2at6native12_GLOBAL__N_124unique_dim_cuda_templateIjEESt5tupleIJNSA_6TensorESF_SF_EERKSF_lbbbEUlllE_EE10hipError_tT0_T1_T2_jT3_P12ihipStream_tbPNSt15iterator_traitsISL_E10value_typeEPNSR_ISM_E10value_typeEPSN_NS1_7vsmem_tEENKUlT_SL_SM_SN_E_clIS8_S8_S9_S9_EESK_S10_SL_SM_SN_EUlS10_E_NS1_11comp_targetILNS1_3genE5ELNS1_11target_archE942ELNS1_3gpuE9ELNS1_3repE0EEENS1_48merge_mergepath_partition_config_static_selectorELNS0_4arch9wavefront6targetE1EEEvSM_ ; -- Begin function _ZN7rocprim17ROCPRIM_400000_NS6detail17trampoline_kernelINS0_14default_configENS1_38merge_sort_block_merge_config_selectorIlNS0_10empty_typeEEEZZNS1_27merge_sort_block_merge_implIS3_PlPS5_mZN2at6native12_GLOBAL__N_124unique_dim_cuda_templateIjEESt5tupleIJNSA_6TensorESF_SF_EERKSF_lbbbEUlllE_EE10hipError_tT0_T1_T2_jT3_P12ihipStream_tbPNSt15iterator_traitsISL_E10value_typeEPNSR_ISM_E10value_typeEPSN_NS1_7vsmem_tEENKUlT_SL_SM_SN_E_clIS8_S8_S9_S9_EESK_S10_SL_SM_SN_EUlS10_E_NS1_11comp_targetILNS1_3genE5ELNS1_11target_archE942ELNS1_3gpuE9ELNS1_3repE0EEENS1_48merge_mergepath_partition_config_static_selectorELNS0_4arch9wavefront6targetE1EEEvSM_
	.p2align	8
	.type	_ZN7rocprim17ROCPRIM_400000_NS6detail17trampoline_kernelINS0_14default_configENS1_38merge_sort_block_merge_config_selectorIlNS0_10empty_typeEEEZZNS1_27merge_sort_block_merge_implIS3_PlPS5_mZN2at6native12_GLOBAL__N_124unique_dim_cuda_templateIjEESt5tupleIJNSA_6TensorESF_SF_EERKSF_lbbbEUlllE_EE10hipError_tT0_T1_T2_jT3_P12ihipStream_tbPNSt15iterator_traitsISL_E10value_typeEPNSR_ISM_E10value_typeEPSN_NS1_7vsmem_tEENKUlT_SL_SM_SN_E_clIS8_S8_S9_S9_EESK_S10_SL_SM_SN_EUlS10_E_NS1_11comp_targetILNS1_3genE5ELNS1_11target_archE942ELNS1_3gpuE9ELNS1_3repE0EEENS1_48merge_mergepath_partition_config_static_selectorELNS0_4arch9wavefront6targetE1EEEvSM_,@function
_ZN7rocprim17ROCPRIM_400000_NS6detail17trampoline_kernelINS0_14default_configENS1_38merge_sort_block_merge_config_selectorIlNS0_10empty_typeEEEZZNS1_27merge_sort_block_merge_implIS3_PlPS5_mZN2at6native12_GLOBAL__N_124unique_dim_cuda_templateIjEESt5tupleIJNSA_6TensorESF_SF_EERKSF_lbbbEUlllE_EE10hipError_tT0_T1_T2_jT3_P12ihipStream_tbPNSt15iterator_traitsISL_E10value_typeEPNSR_ISM_E10value_typeEPSN_NS1_7vsmem_tEENKUlT_SL_SM_SN_E_clIS8_S8_S9_S9_EESK_S10_SL_SM_SN_EUlS10_E_NS1_11comp_targetILNS1_3genE5ELNS1_11target_archE942ELNS1_3gpuE9ELNS1_3repE0EEENS1_48merge_mergepath_partition_config_static_selectorELNS0_4arch9wavefront6targetE1EEEvSM_: ; @_ZN7rocprim17ROCPRIM_400000_NS6detail17trampoline_kernelINS0_14default_configENS1_38merge_sort_block_merge_config_selectorIlNS0_10empty_typeEEEZZNS1_27merge_sort_block_merge_implIS3_PlPS5_mZN2at6native12_GLOBAL__N_124unique_dim_cuda_templateIjEESt5tupleIJNSA_6TensorESF_SF_EERKSF_lbbbEUlllE_EE10hipError_tT0_T1_T2_jT3_P12ihipStream_tbPNSt15iterator_traitsISL_E10value_typeEPNSR_ISM_E10value_typeEPSN_NS1_7vsmem_tEENKUlT_SL_SM_SN_E_clIS8_S8_S9_S9_EESK_S10_SL_SM_SN_EUlS10_E_NS1_11comp_targetILNS1_3genE5ELNS1_11target_archE942ELNS1_3gpuE9ELNS1_3repE0EEENS1_48merge_mergepath_partition_config_static_selectorELNS0_4arch9wavefront6targetE1EEEvSM_
; %bb.0:
	s_load_dword s3, s[0:1], 0x0
	v_lshl_or_b32 v0, s2, 7, v0
	s_waitcnt lgkmcnt(0)
	v_cmp_gt_u32_e32 vcc, s3, v0
	s_and_saveexec_b64 s[2:3], vcc
	s_cbranch_execz .LBB1504_12
; %bb.1:
	s_load_dwordx4 s[12:15], s[0:1], 0x8
	s_load_dwordx8 s[4:11], s[0:1], 0x18
	v_mov_b32_e32 v5, 0
	v_mov_b32_e32 v7, v5
	s_waitcnt lgkmcnt(0)
	v_mov_b32_e32 v1, s12
	v_alignbit_b32 v1, s13, v1, 9
	v_and_b32_e32 v1, -2, v1
	v_add_u32_e32 v2, -1, v1
	v_sub_u32_e32 v1, 0, v1
	v_and_b32_e32 v4, v0, v1
	v_lshlrev_b64 v[8:9], 10, v[4:5]
	v_mov_b32_e32 v1, s15
	v_cmp_lt_u64_e32 vcc, s[14:15], v[8:9]
	v_mov_b32_e32 v4, s14
	v_and_b32_e32 v6, v2, v0
	v_cndmask_b32_e32 v3, v9, v1, vcc
	v_cndmask_b32_e32 v2, v8, v4, vcc
	v_lshl_add_u64 v[8:9], v[8:9], 0, s[12:13]
	v_cmp_lt_u64_e32 vcc, s[14:15], v[8:9]
	s_nop 1
	v_cndmask_b32_e32 v11, v9, v1, vcc
	v_cndmask_b32_e32 v10, v8, v4, vcc
	v_lshl_add_u64 v[8:9], v[10:11], 0, s[12:13]
	v_cmp_lt_u64_e32 vcc, s[14:15], v[8:9]
	s_nop 1
	v_cndmask_b32_e32 v14, v8, v4, vcc
	v_cndmask_b32_e32 v1, v9, v1, vcc
	v_sub_co_u32_e32 v8, vcc, v14, v2
	v_lshlrev_b64 v[4:5], 10, v[6:7]
	s_nop 0
	v_subb_co_u32_e32 v9, vcc, v1, v3, vcc
	v_cmp_lt_u64_e32 vcc, v[8:9], v[4:5]
	s_nop 1
	v_cndmask_b32_e32 v13, v5, v9, vcc
	v_cndmask_b32_e32 v12, v4, v8, vcc
	v_sub_co_u32_e32 v6, vcc, v10, v2
	s_nop 1
	v_subb_co_u32_e32 v7, vcc, v11, v3, vcc
	v_sub_co_u32_e32 v4, vcc, v10, v14
	s_nop 1
	v_subb_co_u32_e32 v5, vcc, v11, v1, vcc
	v_lshl_add_u64 v[4:5], v[12:13], 0, v[4:5]
	v_cmp_gt_u64_e32 vcc, v[4:5], v[12:13]
	s_nop 1
	v_cndmask_b32_e64 v5, v5, 0, vcc
	v_cndmask_b32_e64 v4, v4, 0, vcc
	v_cmp_lt_u64_e32 vcc, v[12:13], v[6:7]
	s_nop 1
	v_cndmask_b32_e32 v7, v7, v13, vcc
	v_cndmask_b32_e32 v6, v6, v12, vcc
	v_cmp_lt_u64_e32 vcc, v[4:5], v[6:7]
	s_and_saveexec_b64 s[12:13], vcc
	s_cbranch_execz .LBB1504_11
; %bb.2:
	v_cmp_gt_i64_e64 s[0:1], s[6:7], 0
	v_lshl_add_u64 v[10:11], v[10:11], 3, s[4:5]
	v_lshl_add_u64 v[8:9], v[2:3], 3, s[4:5]
	v_cndmask_b32_e64 v1, 0, 1, s[0:1]
	v_lshl_add_u64 v[10:11], v[12:13], 3, v[10:11]
	s_mov_b64 s[14:15], 0
	s_lshl_b64 s[16:17], s[6:7], 2
	v_cmp_ne_u32_e64 s[0:1], 1, v1
	s_branch .LBB1504_5
.LBB1504_3:                             ;   in Loop: Header=BB1504_5 Depth=1
	s_or_b64 exec, exec, s[20:21]
.LBB1504_4:                             ;   in Loop: Header=BB1504_5 Depth=1
	v_lshl_add_u64 v[14:15], v[12:13], 0, 1
	v_cndmask_b32_e64 v7, v7, v13, s[18:19]
	v_cndmask_b32_e64 v6, v6, v12, s[18:19]
	;; [unrolled: 1-line block ×4, first 2 shown]
	v_cmp_ge_u64_e32 vcc, v[4:5], v[6:7]
	s_or_b64 s[14:15], vcc, s[14:15]
	s_andn2_b64 exec, exec, s[14:15]
	s_cbranch_execz .LBB1504_10
.LBB1504_5:                             ; =>This Loop Header: Depth=1
                                        ;     Child Loop BB1504_8 Depth 2
	v_lshl_add_u64 v[12:13], v[6:7], 0, v[4:5]
	v_lshrrev_b64 v[12:13], 1, v[12:13]
	s_and_b64 vcc, exec, s[0:1]
	s_mov_b64 s[18:19], 0
	s_cbranch_vccnz .LBB1504_4
; %bb.6:                                ;   in Loop: Header=BB1504_5 Depth=1
	v_not_b32_e32 v15, v13
	v_not_b32_e32 v14, v12
	v_lshl_add_u64 v[14:15], v[14:15], 3, v[10:11]
	v_lshl_add_u64 v[16:17], v[12:13], 3, v[8:9]
	global_load_dwordx2 v[14:15], v[14:15], off
	v_mov_b64_e32 v[18:19], s[8:9]
	global_load_dwordx2 v[16:17], v[16:17], off
	s_mov_b64 s[20:21], 0
	s_mov_b64 s[26:27], s[6:7]
                                        ; implicit-def: $sgpr18_sgpr19
                                        ; implicit-def: $sgpr22_sgpr23
                                        ; implicit-def: $sgpr24_sgpr25
                                        ; implicit-def: $sgpr2_sgpr3
                                        ; implicit-def: $sgpr28_sgpr29
	s_waitcnt vmcnt(1)
	v_mul_lo_u32 v1, s16, v15
	v_mul_lo_u32 v20, s17, v14
	v_mad_u64_u32 v[14:15], s[4:5], s16, v14, v[18:19]
	s_waitcnt vmcnt(0)
	v_mul_lo_u32 v21, s16, v17
	v_mul_lo_u32 v22, s17, v16
	v_mad_u64_u32 v[16:17], s[4:5], s16, v16, v[18:19]
	v_add3_u32 v15, v20, v15, v1
	v_add3_u32 v17, v22, v17, v21
	s_branch .LBB1504_8
.LBB1504_7:                             ;   in Loop: Header=BB1504_8 Depth=2
	s_or_b64 exec, exec, s[30:31]
	s_and_b64 s[4:5], exec, s[22:23]
	s_or_b64 s[20:21], s[4:5], s[20:21]
	s_andn2_b64 s[4:5], s[28:29], exec
	s_and_b64 s[28:29], s[24:25], exec
	s_or_b64 s[28:29], s[4:5], s[28:29]
	s_andn2_b64 s[4:5], s[18:19], exec
	s_and_b64 s[18:19], s[2:3], exec
	s_or_b64 s[18:19], s[4:5], s[18:19]
	s_andn2_b64 exec, exec, s[20:21]
	s_cbranch_execz .LBB1504_3
.LBB1504_8:                             ;   Parent Loop BB1504_5 Depth=1
                                        ; =>  This Inner Loop Header: Depth=2
	global_load_dword v1, v[14:15], off
	global_load_dword v18, v[16:17], off
	s_andn2_b64 s[30:31], s[2:3], exec
	s_andn2_b64 s[24:25], s[24:25], exec
	s_or_b64 s[22:23], s[22:23], exec
	s_waitcnt vmcnt(0)
	v_cmp_le_u32_e64 s[2:3], v1, v18
	v_cmp_lt_u32_e32 vcc, v1, v18
	s_and_b64 s[2:3], s[2:3], s[28:29]
	s_or_b64 s[34:35], vcc, s[2:3]
	s_and_b64 s[2:3], s[34:35], exec
	v_cmp_eq_u32_e64 s[4:5], v1, v18
	s_or_b64 s[2:3], s[30:31], s[2:3]
	s_and_saveexec_b64 s[30:31], s[4:5]
	s_cbranch_execz .LBB1504_7
; %bb.9:                                ;   in Loop: Header=BB1504_8 Depth=2
	s_add_u32 s26, s26, -1
	s_addc_u32 s27, s27, -1
	s_cmp_eq_u64 s[26:27], 0
	s_cselect_b64 s[4:5], -1, 0
	s_andn2_b64 s[24:25], s[24:25], exec
	s_and_b64 s[28:29], s[34:35], exec
	s_andn2_b64 s[22:23], s[22:23], exec
	s_and_b64 s[4:5], s[4:5], exec
	v_lshl_add_u64 v[14:15], v[14:15], 0, 4
	v_lshl_add_u64 v[16:17], v[16:17], 0, 4
	s_andn2_b64 s[2:3], s[2:3], exec
	s_or_b64 s[24:25], s[24:25], s[28:29]
	s_or_b64 s[22:23], s[22:23], s[4:5]
                                        ; implicit-def: $sgpr28_sgpr29
	s_branch .LBB1504_7
.LBB1504_10:
	s_or_b64 exec, exec, s[14:15]
.LBB1504_11:
	s_or_b64 exec, exec, s[12:13]
	v_mov_b32_e32 v6, s10
	v_mov_b32_e32 v7, s11
	;; [unrolled: 1-line block ×3, first 2 shown]
	v_lshl_add_u64 v[2:3], v[4:5], 0, v[2:3]
	v_lshl_add_u64 v[0:1], v[0:1], 3, v[6:7]
	global_store_dwordx2 v[0:1], v[2:3], off
.LBB1504_12:
	s_endpgm
	.section	.rodata,"a",@progbits
	.p2align	6, 0x0
	.amdhsa_kernel _ZN7rocprim17ROCPRIM_400000_NS6detail17trampoline_kernelINS0_14default_configENS1_38merge_sort_block_merge_config_selectorIlNS0_10empty_typeEEEZZNS1_27merge_sort_block_merge_implIS3_PlPS5_mZN2at6native12_GLOBAL__N_124unique_dim_cuda_templateIjEESt5tupleIJNSA_6TensorESF_SF_EERKSF_lbbbEUlllE_EE10hipError_tT0_T1_T2_jT3_P12ihipStream_tbPNSt15iterator_traitsISL_E10value_typeEPNSR_ISM_E10value_typeEPSN_NS1_7vsmem_tEENKUlT_SL_SM_SN_E_clIS8_S8_S9_S9_EESK_S10_SL_SM_SN_EUlS10_E_NS1_11comp_targetILNS1_3genE5ELNS1_11target_archE942ELNS1_3gpuE9ELNS1_3repE0EEENS1_48merge_mergepath_partition_config_static_selectorELNS0_4arch9wavefront6targetE1EEEvSM_
		.amdhsa_group_segment_fixed_size 0
		.amdhsa_private_segment_fixed_size 0
		.amdhsa_kernarg_size 56
		.amdhsa_user_sgpr_count 2
		.amdhsa_user_sgpr_dispatch_ptr 0
		.amdhsa_user_sgpr_queue_ptr 0
		.amdhsa_user_sgpr_kernarg_segment_ptr 1
		.amdhsa_user_sgpr_dispatch_id 0
		.amdhsa_user_sgpr_kernarg_preload_length 0
		.amdhsa_user_sgpr_kernarg_preload_offset 0
		.amdhsa_user_sgpr_private_segment_size 0
		.amdhsa_uses_dynamic_stack 0
		.amdhsa_enable_private_segment 0
		.amdhsa_system_sgpr_workgroup_id_x 1
		.amdhsa_system_sgpr_workgroup_id_y 0
		.amdhsa_system_sgpr_workgroup_id_z 0
		.amdhsa_system_sgpr_workgroup_info 0
		.amdhsa_system_vgpr_workitem_id 0
		.amdhsa_next_free_vgpr 23
		.amdhsa_next_free_sgpr 36
		.amdhsa_accum_offset 24
		.amdhsa_reserve_vcc 1
		.amdhsa_float_round_mode_32 0
		.amdhsa_float_round_mode_16_64 0
		.amdhsa_float_denorm_mode_32 3
		.amdhsa_float_denorm_mode_16_64 3
		.amdhsa_dx10_clamp 1
		.amdhsa_ieee_mode 1
		.amdhsa_fp16_overflow 0
		.amdhsa_tg_split 0
		.amdhsa_exception_fp_ieee_invalid_op 0
		.amdhsa_exception_fp_denorm_src 0
		.amdhsa_exception_fp_ieee_div_zero 0
		.amdhsa_exception_fp_ieee_overflow 0
		.amdhsa_exception_fp_ieee_underflow 0
		.amdhsa_exception_fp_ieee_inexact 0
		.amdhsa_exception_int_div_zero 0
	.end_amdhsa_kernel
	.section	.text._ZN7rocprim17ROCPRIM_400000_NS6detail17trampoline_kernelINS0_14default_configENS1_38merge_sort_block_merge_config_selectorIlNS0_10empty_typeEEEZZNS1_27merge_sort_block_merge_implIS3_PlPS5_mZN2at6native12_GLOBAL__N_124unique_dim_cuda_templateIjEESt5tupleIJNSA_6TensorESF_SF_EERKSF_lbbbEUlllE_EE10hipError_tT0_T1_T2_jT3_P12ihipStream_tbPNSt15iterator_traitsISL_E10value_typeEPNSR_ISM_E10value_typeEPSN_NS1_7vsmem_tEENKUlT_SL_SM_SN_E_clIS8_S8_S9_S9_EESK_S10_SL_SM_SN_EUlS10_E_NS1_11comp_targetILNS1_3genE5ELNS1_11target_archE942ELNS1_3gpuE9ELNS1_3repE0EEENS1_48merge_mergepath_partition_config_static_selectorELNS0_4arch9wavefront6targetE1EEEvSM_,"axG",@progbits,_ZN7rocprim17ROCPRIM_400000_NS6detail17trampoline_kernelINS0_14default_configENS1_38merge_sort_block_merge_config_selectorIlNS0_10empty_typeEEEZZNS1_27merge_sort_block_merge_implIS3_PlPS5_mZN2at6native12_GLOBAL__N_124unique_dim_cuda_templateIjEESt5tupleIJNSA_6TensorESF_SF_EERKSF_lbbbEUlllE_EE10hipError_tT0_T1_T2_jT3_P12ihipStream_tbPNSt15iterator_traitsISL_E10value_typeEPNSR_ISM_E10value_typeEPSN_NS1_7vsmem_tEENKUlT_SL_SM_SN_E_clIS8_S8_S9_S9_EESK_S10_SL_SM_SN_EUlS10_E_NS1_11comp_targetILNS1_3genE5ELNS1_11target_archE942ELNS1_3gpuE9ELNS1_3repE0EEENS1_48merge_mergepath_partition_config_static_selectorELNS0_4arch9wavefront6targetE1EEEvSM_,comdat
.Lfunc_end1504:
	.size	_ZN7rocprim17ROCPRIM_400000_NS6detail17trampoline_kernelINS0_14default_configENS1_38merge_sort_block_merge_config_selectorIlNS0_10empty_typeEEEZZNS1_27merge_sort_block_merge_implIS3_PlPS5_mZN2at6native12_GLOBAL__N_124unique_dim_cuda_templateIjEESt5tupleIJNSA_6TensorESF_SF_EERKSF_lbbbEUlllE_EE10hipError_tT0_T1_T2_jT3_P12ihipStream_tbPNSt15iterator_traitsISL_E10value_typeEPNSR_ISM_E10value_typeEPSN_NS1_7vsmem_tEENKUlT_SL_SM_SN_E_clIS8_S8_S9_S9_EESK_S10_SL_SM_SN_EUlS10_E_NS1_11comp_targetILNS1_3genE5ELNS1_11target_archE942ELNS1_3gpuE9ELNS1_3repE0EEENS1_48merge_mergepath_partition_config_static_selectorELNS0_4arch9wavefront6targetE1EEEvSM_, .Lfunc_end1504-_ZN7rocprim17ROCPRIM_400000_NS6detail17trampoline_kernelINS0_14default_configENS1_38merge_sort_block_merge_config_selectorIlNS0_10empty_typeEEEZZNS1_27merge_sort_block_merge_implIS3_PlPS5_mZN2at6native12_GLOBAL__N_124unique_dim_cuda_templateIjEESt5tupleIJNSA_6TensorESF_SF_EERKSF_lbbbEUlllE_EE10hipError_tT0_T1_T2_jT3_P12ihipStream_tbPNSt15iterator_traitsISL_E10value_typeEPNSR_ISM_E10value_typeEPSN_NS1_7vsmem_tEENKUlT_SL_SM_SN_E_clIS8_S8_S9_S9_EESK_S10_SL_SM_SN_EUlS10_E_NS1_11comp_targetILNS1_3genE5ELNS1_11target_archE942ELNS1_3gpuE9ELNS1_3repE0EEENS1_48merge_mergepath_partition_config_static_selectorELNS0_4arch9wavefront6targetE1EEEvSM_
                                        ; -- End function
	.section	.AMDGPU.csdata,"",@progbits
; Kernel info:
; codeLenInByte = 796
; NumSgprs: 42
; NumVgprs: 23
; NumAgprs: 0
; TotalNumVgprs: 23
; ScratchSize: 0
; MemoryBound: 0
; FloatMode: 240
; IeeeMode: 1
; LDSByteSize: 0 bytes/workgroup (compile time only)
; SGPRBlocks: 5
; VGPRBlocks: 2
; NumSGPRsForWavesPerEU: 42
; NumVGPRsForWavesPerEU: 23
; AccumOffset: 24
; Occupancy: 8
; WaveLimiterHint : 0
; COMPUTE_PGM_RSRC2:SCRATCH_EN: 0
; COMPUTE_PGM_RSRC2:USER_SGPR: 2
; COMPUTE_PGM_RSRC2:TRAP_HANDLER: 0
; COMPUTE_PGM_RSRC2:TGID_X_EN: 1
; COMPUTE_PGM_RSRC2:TGID_Y_EN: 0
; COMPUTE_PGM_RSRC2:TGID_Z_EN: 0
; COMPUTE_PGM_RSRC2:TIDIG_COMP_CNT: 0
; COMPUTE_PGM_RSRC3_GFX90A:ACCUM_OFFSET: 5
; COMPUTE_PGM_RSRC3_GFX90A:TG_SPLIT: 0
	.section	.text._ZN7rocprim17ROCPRIM_400000_NS6detail17trampoline_kernelINS0_14default_configENS1_38merge_sort_block_merge_config_selectorIlNS0_10empty_typeEEEZZNS1_27merge_sort_block_merge_implIS3_PlPS5_mZN2at6native12_GLOBAL__N_124unique_dim_cuda_templateIjEESt5tupleIJNSA_6TensorESF_SF_EERKSF_lbbbEUlllE_EE10hipError_tT0_T1_T2_jT3_P12ihipStream_tbPNSt15iterator_traitsISL_E10value_typeEPNSR_ISM_E10value_typeEPSN_NS1_7vsmem_tEENKUlT_SL_SM_SN_E_clIS8_S8_S9_S9_EESK_S10_SL_SM_SN_EUlS10_E_NS1_11comp_targetILNS1_3genE4ELNS1_11target_archE910ELNS1_3gpuE8ELNS1_3repE0EEENS1_48merge_mergepath_partition_config_static_selectorELNS0_4arch9wavefront6targetE1EEEvSM_,"axG",@progbits,_ZN7rocprim17ROCPRIM_400000_NS6detail17trampoline_kernelINS0_14default_configENS1_38merge_sort_block_merge_config_selectorIlNS0_10empty_typeEEEZZNS1_27merge_sort_block_merge_implIS3_PlPS5_mZN2at6native12_GLOBAL__N_124unique_dim_cuda_templateIjEESt5tupleIJNSA_6TensorESF_SF_EERKSF_lbbbEUlllE_EE10hipError_tT0_T1_T2_jT3_P12ihipStream_tbPNSt15iterator_traitsISL_E10value_typeEPNSR_ISM_E10value_typeEPSN_NS1_7vsmem_tEENKUlT_SL_SM_SN_E_clIS8_S8_S9_S9_EESK_S10_SL_SM_SN_EUlS10_E_NS1_11comp_targetILNS1_3genE4ELNS1_11target_archE910ELNS1_3gpuE8ELNS1_3repE0EEENS1_48merge_mergepath_partition_config_static_selectorELNS0_4arch9wavefront6targetE1EEEvSM_,comdat
	.globl	_ZN7rocprim17ROCPRIM_400000_NS6detail17trampoline_kernelINS0_14default_configENS1_38merge_sort_block_merge_config_selectorIlNS0_10empty_typeEEEZZNS1_27merge_sort_block_merge_implIS3_PlPS5_mZN2at6native12_GLOBAL__N_124unique_dim_cuda_templateIjEESt5tupleIJNSA_6TensorESF_SF_EERKSF_lbbbEUlllE_EE10hipError_tT0_T1_T2_jT3_P12ihipStream_tbPNSt15iterator_traitsISL_E10value_typeEPNSR_ISM_E10value_typeEPSN_NS1_7vsmem_tEENKUlT_SL_SM_SN_E_clIS8_S8_S9_S9_EESK_S10_SL_SM_SN_EUlS10_E_NS1_11comp_targetILNS1_3genE4ELNS1_11target_archE910ELNS1_3gpuE8ELNS1_3repE0EEENS1_48merge_mergepath_partition_config_static_selectorELNS0_4arch9wavefront6targetE1EEEvSM_ ; -- Begin function _ZN7rocprim17ROCPRIM_400000_NS6detail17trampoline_kernelINS0_14default_configENS1_38merge_sort_block_merge_config_selectorIlNS0_10empty_typeEEEZZNS1_27merge_sort_block_merge_implIS3_PlPS5_mZN2at6native12_GLOBAL__N_124unique_dim_cuda_templateIjEESt5tupleIJNSA_6TensorESF_SF_EERKSF_lbbbEUlllE_EE10hipError_tT0_T1_T2_jT3_P12ihipStream_tbPNSt15iterator_traitsISL_E10value_typeEPNSR_ISM_E10value_typeEPSN_NS1_7vsmem_tEENKUlT_SL_SM_SN_E_clIS8_S8_S9_S9_EESK_S10_SL_SM_SN_EUlS10_E_NS1_11comp_targetILNS1_3genE4ELNS1_11target_archE910ELNS1_3gpuE8ELNS1_3repE0EEENS1_48merge_mergepath_partition_config_static_selectorELNS0_4arch9wavefront6targetE1EEEvSM_
	.p2align	8
	.type	_ZN7rocprim17ROCPRIM_400000_NS6detail17trampoline_kernelINS0_14default_configENS1_38merge_sort_block_merge_config_selectorIlNS0_10empty_typeEEEZZNS1_27merge_sort_block_merge_implIS3_PlPS5_mZN2at6native12_GLOBAL__N_124unique_dim_cuda_templateIjEESt5tupleIJNSA_6TensorESF_SF_EERKSF_lbbbEUlllE_EE10hipError_tT0_T1_T2_jT3_P12ihipStream_tbPNSt15iterator_traitsISL_E10value_typeEPNSR_ISM_E10value_typeEPSN_NS1_7vsmem_tEENKUlT_SL_SM_SN_E_clIS8_S8_S9_S9_EESK_S10_SL_SM_SN_EUlS10_E_NS1_11comp_targetILNS1_3genE4ELNS1_11target_archE910ELNS1_3gpuE8ELNS1_3repE0EEENS1_48merge_mergepath_partition_config_static_selectorELNS0_4arch9wavefront6targetE1EEEvSM_,@function
_ZN7rocprim17ROCPRIM_400000_NS6detail17trampoline_kernelINS0_14default_configENS1_38merge_sort_block_merge_config_selectorIlNS0_10empty_typeEEEZZNS1_27merge_sort_block_merge_implIS3_PlPS5_mZN2at6native12_GLOBAL__N_124unique_dim_cuda_templateIjEESt5tupleIJNSA_6TensorESF_SF_EERKSF_lbbbEUlllE_EE10hipError_tT0_T1_T2_jT3_P12ihipStream_tbPNSt15iterator_traitsISL_E10value_typeEPNSR_ISM_E10value_typeEPSN_NS1_7vsmem_tEENKUlT_SL_SM_SN_E_clIS8_S8_S9_S9_EESK_S10_SL_SM_SN_EUlS10_E_NS1_11comp_targetILNS1_3genE4ELNS1_11target_archE910ELNS1_3gpuE8ELNS1_3repE0EEENS1_48merge_mergepath_partition_config_static_selectorELNS0_4arch9wavefront6targetE1EEEvSM_: ; @_ZN7rocprim17ROCPRIM_400000_NS6detail17trampoline_kernelINS0_14default_configENS1_38merge_sort_block_merge_config_selectorIlNS0_10empty_typeEEEZZNS1_27merge_sort_block_merge_implIS3_PlPS5_mZN2at6native12_GLOBAL__N_124unique_dim_cuda_templateIjEESt5tupleIJNSA_6TensorESF_SF_EERKSF_lbbbEUlllE_EE10hipError_tT0_T1_T2_jT3_P12ihipStream_tbPNSt15iterator_traitsISL_E10value_typeEPNSR_ISM_E10value_typeEPSN_NS1_7vsmem_tEENKUlT_SL_SM_SN_E_clIS8_S8_S9_S9_EESK_S10_SL_SM_SN_EUlS10_E_NS1_11comp_targetILNS1_3genE4ELNS1_11target_archE910ELNS1_3gpuE8ELNS1_3repE0EEENS1_48merge_mergepath_partition_config_static_selectorELNS0_4arch9wavefront6targetE1EEEvSM_
; %bb.0:
	.section	.rodata,"a",@progbits
	.p2align	6, 0x0
	.amdhsa_kernel _ZN7rocprim17ROCPRIM_400000_NS6detail17trampoline_kernelINS0_14default_configENS1_38merge_sort_block_merge_config_selectorIlNS0_10empty_typeEEEZZNS1_27merge_sort_block_merge_implIS3_PlPS5_mZN2at6native12_GLOBAL__N_124unique_dim_cuda_templateIjEESt5tupleIJNSA_6TensorESF_SF_EERKSF_lbbbEUlllE_EE10hipError_tT0_T1_T2_jT3_P12ihipStream_tbPNSt15iterator_traitsISL_E10value_typeEPNSR_ISM_E10value_typeEPSN_NS1_7vsmem_tEENKUlT_SL_SM_SN_E_clIS8_S8_S9_S9_EESK_S10_SL_SM_SN_EUlS10_E_NS1_11comp_targetILNS1_3genE4ELNS1_11target_archE910ELNS1_3gpuE8ELNS1_3repE0EEENS1_48merge_mergepath_partition_config_static_selectorELNS0_4arch9wavefront6targetE1EEEvSM_
		.amdhsa_group_segment_fixed_size 0
		.amdhsa_private_segment_fixed_size 0
		.amdhsa_kernarg_size 56
		.amdhsa_user_sgpr_count 2
		.amdhsa_user_sgpr_dispatch_ptr 0
		.amdhsa_user_sgpr_queue_ptr 0
		.amdhsa_user_sgpr_kernarg_segment_ptr 1
		.amdhsa_user_sgpr_dispatch_id 0
		.amdhsa_user_sgpr_kernarg_preload_length 0
		.amdhsa_user_sgpr_kernarg_preload_offset 0
		.amdhsa_user_sgpr_private_segment_size 0
		.amdhsa_uses_dynamic_stack 0
		.amdhsa_enable_private_segment 0
		.amdhsa_system_sgpr_workgroup_id_x 1
		.amdhsa_system_sgpr_workgroup_id_y 0
		.amdhsa_system_sgpr_workgroup_id_z 0
		.amdhsa_system_sgpr_workgroup_info 0
		.amdhsa_system_vgpr_workitem_id 0
		.amdhsa_next_free_vgpr 1
		.amdhsa_next_free_sgpr 0
		.amdhsa_accum_offset 4
		.amdhsa_reserve_vcc 0
		.amdhsa_float_round_mode_32 0
		.amdhsa_float_round_mode_16_64 0
		.amdhsa_float_denorm_mode_32 3
		.amdhsa_float_denorm_mode_16_64 3
		.amdhsa_dx10_clamp 1
		.amdhsa_ieee_mode 1
		.amdhsa_fp16_overflow 0
		.amdhsa_tg_split 0
		.amdhsa_exception_fp_ieee_invalid_op 0
		.amdhsa_exception_fp_denorm_src 0
		.amdhsa_exception_fp_ieee_div_zero 0
		.amdhsa_exception_fp_ieee_overflow 0
		.amdhsa_exception_fp_ieee_underflow 0
		.amdhsa_exception_fp_ieee_inexact 0
		.amdhsa_exception_int_div_zero 0
	.end_amdhsa_kernel
	.section	.text._ZN7rocprim17ROCPRIM_400000_NS6detail17trampoline_kernelINS0_14default_configENS1_38merge_sort_block_merge_config_selectorIlNS0_10empty_typeEEEZZNS1_27merge_sort_block_merge_implIS3_PlPS5_mZN2at6native12_GLOBAL__N_124unique_dim_cuda_templateIjEESt5tupleIJNSA_6TensorESF_SF_EERKSF_lbbbEUlllE_EE10hipError_tT0_T1_T2_jT3_P12ihipStream_tbPNSt15iterator_traitsISL_E10value_typeEPNSR_ISM_E10value_typeEPSN_NS1_7vsmem_tEENKUlT_SL_SM_SN_E_clIS8_S8_S9_S9_EESK_S10_SL_SM_SN_EUlS10_E_NS1_11comp_targetILNS1_3genE4ELNS1_11target_archE910ELNS1_3gpuE8ELNS1_3repE0EEENS1_48merge_mergepath_partition_config_static_selectorELNS0_4arch9wavefront6targetE1EEEvSM_,"axG",@progbits,_ZN7rocprim17ROCPRIM_400000_NS6detail17trampoline_kernelINS0_14default_configENS1_38merge_sort_block_merge_config_selectorIlNS0_10empty_typeEEEZZNS1_27merge_sort_block_merge_implIS3_PlPS5_mZN2at6native12_GLOBAL__N_124unique_dim_cuda_templateIjEESt5tupleIJNSA_6TensorESF_SF_EERKSF_lbbbEUlllE_EE10hipError_tT0_T1_T2_jT3_P12ihipStream_tbPNSt15iterator_traitsISL_E10value_typeEPNSR_ISM_E10value_typeEPSN_NS1_7vsmem_tEENKUlT_SL_SM_SN_E_clIS8_S8_S9_S9_EESK_S10_SL_SM_SN_EUlS10_E_NS1_11comp_targetILNS1_3genE4ELNS1_11target_archE910ELNS1_3gpuE8ELNS1_3repE0EEENS1_48merge_mergepath_partition_config_static_selectorELNS0_4arch9wavefront6targetE1EEEvSM_,comdat
.Lfunc_end1505:
	.size	_ZN7rocprim17ROCPRIM_400000_NS6detail17trampoline_kernelINS0_14default_configENS1_38merge_sort_block_merge_config_selectorIlNS0_10empty_typeEEEZZNS1_27merge_sort_block_merge_implIS3_PlPS5_mZN2at6native12_GLOBAL__N_124unique_dim_cuda_templateIjEESt5tupleIJNSA_6TensorESF_SF_EERKSF_lbbbEUlllE_EE10hipError_tT0_T1_T2_jT3_P12ihipStream_tbPNSt15iterator_traitsISL_E10value_typeEPNSR_ISM_E10value_typeEPSN_NS1_7vsmem_tEENKUlT_SL_SM_SN_E_clIS8_S8_S9_S9_EESK_S10_SL_SM_SN_EUlS10_E_NS1_11comp_targetILNS1_3genE4ELNS1_11target_archE910ELNS1_3gpuE8ELNS1_3repE0EEENS1_48merge_mergepath_partition_config_static_selectorELNS0_4arch9wavefront6targetE1EEEvSM_, .Lfunc_end1505-_ZN7rocprim17ROCPRIM_400000_NS6detail17trampoline_kernelINS0_14default_configENS1_38merge_sort_block_merge_config_selectorIlNS0_10empty_typeEEEZZNS1_27merge_sort_block_merge_implIS3_PlPS5_mZN2at6native12_GLOBAL__N_124unique_dim_cuda_templateIjEESt5tupleIJNSA_6TensorESF_SF_EERKSF_lbbbEUlllE_EE10hipError_tT0_T1_T2_jT3_P12ihipStream_tbPNSt15iterator_traitsISL_E10value_typeEPNSR_ISM_E10value_typeEPSN_NS1_7vsmem_tEENKUlT_SL_SM_SN_E_clIS8_S8_S9_S9_EESK_S10_SL_SM_SN_EUlS10_E_NS1_11comp_targetILNS1_3genE4ELNS1_11target_archE910ELNS1_3gpuE8ELNS1_3repE0EEENS1_48merge_mergepath_partition_config_static_selectorELNS0_4arch9wavefront6targetE1EEEvSM_
                                        ; -- End function
	.section	.AMDGPU.csdata,"",@progbits
; Kernel info:
; codeLenInByte = 0
; NumSgprs: 6
; NumVgprs: 0
; NumAgprs: 0
; TotalNumVgprs: 0
; ScratchSize: 0
; MemoryBound: 0
; FloatMode: 240
; IeeeMode: 1
; LDSByteSize: 0 bytes/workgroup (compile time only)
; SGPRBlocks: 0
; VGPRBlocks: 0
; NumSGPRsForWavesPerEU: 6
; NumVGPRsForWavesPerEU: 1
; AccumOffset: 4
; Occupancy: 8
; WaveLimiterHint : 0
; COMPUTE_PGM_RSRC2:SCRATCH_EN: 0
; COMPUTE_PGM_RSRC2:USER_SGPR: 2
; COMPUTE_PGM_RSRC2:TRAP_HANDLER: 0
; COMPUTE_PGM_RSRC2:TGID_X_EN: 1
; COMPUTE_PGM_RSRC2:TGID_Y_EN: 0
; COMPUTE_PGM_RSRC2:TGID_Z_EN: 0
; COMPUTE_PGM_RSRC2:TIDIG_COMP_CNT: 0
; COMPUTE_PGM_RSRC3_GFX90A:ACCUM_OFFSET: 0
; COMPUTE_PGM_RSRC3_GFX90A:TG_SPLIT: 0
	.section	.text._ZN7rocprim17ROCPRIM_400000_NS6detail17trampoline_kernelINS0_14default_configENS1_38merge_sort_block_merge_config_selectorIlNS0_10empty_typeEEEZZNS1_27merge_sort_block_merge_implIS3_PlPS5_mZN2at6native12_GLOBAL__N_124unique_dim_cuda_templateIjEESt5tupleIJNSA_6TensorESF_SF_EERKSF_lbbbEUlllE_EE10hipError_tT0_T1_T2_jT3_P12ihipStream_tbPNSt15iterator_traitsISL_E10value_typeEPNSR_ISM_E10value_typeEPSN_NS1_7vsmem_tEENKUlT_SL_SM_SN_E_clIS8_S8_S9_S9_EESK_S10_SL_SM_SN_EUlS10_E_NS1_11comp_targetILNS1_3genE3ELNS1_11target_archE908ELNS1_3gpuE7ELNS1_3repE0EEENS1_48merge_mergepath_partition_config_static_selectorELNS0_4arch9wavefront6targetE1EEEvSM_,"axG",@progbits,_ZN7rocprim17ROCPRIM_400000_NS6detail17trampoline_kernelINS0_14default_configENS1_38merge_sort_block_merge_config_selectorIlNS0_10empty_typeEEEZZNS1_27merge_sort_block_merge_implIS3_PlPS5_mZN2at6native12_GLOBAL__N_124unique_dim_cuda_templateIjEESt5tupleIJNSA_6TensorESF_SF_EERKSF_lbbbEUlllE_EE10hipError_tT0_T1_T2_jT3_P12ihipStream_tbPNSt15iterator_traitsISL_E10value_typeEPNSR_ISM_E10value_typeEPSN_NS1_7vsmem_tEENKUlT_SL_SM_SN_E_clIS8_S8_S9_S9_EESK_S10_SL_SM_SN_EUlS10_E_NS1_11comp_targetILNS1_3genE3ELNS1_11target_archE908ELNS1_3gpuE7ELNS1_3repE0EEENS1_48merge_mergepath_partition_config_static_selectorELNS0_4arch9wavefront6targetE1EEEvSM_,comdat
	.globl	_ZN7rocprim17ROCPRIM_400000_NS6detail17trampoline_kernelINS0_14default_configENS1_38merge_sort_block_merge_config_selectorIlNS0_10empty_typeEEEZZNS1_27merge_sort_block_merge_implIS3_PlPS5_mZN2at6native12_GLOBAL__N_124unique_dim_cuda_templateIjEESt5tupleIJNSA_6TensorESF_SF_EERKSF_lbbbEUlllE_EE10hipError_tT0_T1_T2_jT3_P12ihipStream_tbPNSt15iterator_traitsISL_E10value_typeEPNSR_ISM_E10value_typeEPSN_NS1_7vsmem_tEENKUlT_SL_SM_SN_E_clIS8_S8_S9_S9_EESK_S10_SL_SM_SN_EUlS10_E_NS1_11comp_targetILNS1_3genE3ELNS1_11target_archE908ELNS1_3gpuE7ELNS1_3repE0EEENS1_48merge_mergepath_partition_config_static_selectorELNS0_4arch9wavefront6targetE1EEEvSM_ ; -- Begin function _ZN7rocprim17ROCPRIM_400000_NS6detail17trampoline_kernelINS0_14default_configENS1_38merge_sort_block_merge_config_selectorIlNS0_10empty_typeEEEZZNS1_27merge_sort_block_merge_implIS3_PlPS5_mZN2at6native12_GLOBAL__N_124unique_dim_cuda_templateIjEESt5tupleIJNSA_6TensorESF_SF_EERKSF_lbbbEUlllE_EE10hipError_tT0_T1_T2_jT3_P12ihipStream_tbPNSt15iterator_traitsISL_E10value_typeEPNSR_ISM_E10value_typeEPSN_NS1_7vsmem_tEENKUlT_SL_SM_SN_E_clIS8_S8_S9_S9_EESK_S10_SL_SM_SN_EUlS10_E_NS1_11comp_targetILNS1_3genE3ELNS1_11target_archE908ELNS1_3gpuE7ELNS1_3repE0EEENS1_48merge_mergepath_partition_config_static_selectorELNS0_4arch9wavefront6targetE1EEEvSM_
	.p2align	8
	.type	_ZN7rocprim17ROCPRIM_400000_NS6detail17trampoline_kernelINS0_14default_configENS1_38merge_sort_block_merge_config_selectorIlNS0_10empty_typeEEEZZNS1_27merge_sort_block_merge_implIS3_PlPS5_mZN2at6native12_GLOBAL__N_124unique_dim_cuda_templateIjEESt5tupleIJNSA_6TensorESF_SF_EERKSF_lbbbEUlllE_EE10hipError_tT0_T1_T2_jT3_P12ihipStream_tbPNSt15iterator_traitsISL_E10value_typeEPNSR_ISM_E10value_typeEPSN_NS1_7vsmem_tEENKUlT_SL_SM_SN_E_clIS8_S8_S9_S9_EESK_S10_SL_SM_SN_EUlS10_E_NS1_11comp_targetILNS1_3genE3ELNS1_11target_archE908ELNS1_3gpuE7ELNS1_3repE0EEENS1_48merge_mergepath_partition_config_static_selectorELNS0_4arch9wavefront6targetE1EEEvSM_,@function
_ZN7rocprim17ROCPRIM_400000_NS6detail17trampoline_kernelINS0_14default_configENS1_38merge_sort_block_merge_config_selectorIlNS0_10empty_typeEEEZZNS1_27merge_sort_block_merge_implIS3_PlPS5_mZN2at6native12_GLOBAL__N_124unique_dim_cuda_templateIjEESt5tupleIJNSA_6TensorESF_SF_EERKSF_lbbbEUlllE_EE10hipError_tT0_T1_T2_jT3_P12ihipStream_tbPNSt15iterator_traitsISL_E10value_typeEPNSR_ISM_E10value_typeEPSN_NS1_7vsmem_tEENKUlT_SL_SM_SN_E_clIS8_S8_S9_S9_EESK_S10_SL_SM_SN_EUlS10_E_NS1_11comp_targetILNS1_3genE3ELNS1_11target_archE908ELNS1_3gpuE7ELNS1_3repE0EEENS1_48merge_mergepath_partition_config_static_selectorELNS0_4arch9wavefront6targetE1EEEvSM_: ; @_ZN7rocprim17ROCPRIM_400000_NS6detail17trampoline_kernelINS0_14default_configENS1_38merge_sort_block_merge_config_selectorIlNS0_10empty_typeEEEZZNS1_27merge_sort_block_merge_implIS3_PlPS5_mZN2at6native12_GLOBAL__N_124unique_dim_cuda_templateIjEESt5tupleIJNSA_6TensorESF_SF_EERKSF_lbbbEUlllE_EE10hipError_tT0_T1_T2_jT3_P12ihipStream_tbPNSt15iterator_traitsISL_E10value_typeEPNSR_ISM_E10value_typeEPSN_NS1_7vsmem_tEENKUlT_SL_SM_SN_E_clIS8_S8_S9_S9_EESK_S10_SL_SM_SN_EUlS10_E_NS1_11comp_targetILNS1_3genE3ELNS1_11target_archE908ELNS1_3gpuE7ELNS1_3repE0EEENS1_48merge_mergepath_partition_config_static_selectorELNS0_4arch9wavefront6targetE1EEEvSM_
; %bb.0:
	.section	.rodata,"a",@progbits
	.p2align	6, 0x0
	.amdhsa_kernel _ZN7rocprim17ROCPRIM_400000_NS6detail17trampoline_kernelINS0_14default_configENS1_38merge_sort_block_merge_config_selectorIlNS0_10empty_typeEEEZZNS1_27merge_sort_block_merge_implIS3_PlPS5_mZN2at6native12_GLOBAL__N_124unique_dim_cuda_templateIjEESt5tupleIJNSA_6TensorESF_SF_EERKSF_lbbbEUlllE_EE10hipError_tT0_T1_T2_jT3_P12ihipStream_tbPNSt15iterator_traitsISL_E10value_typeEPNSR_ISM_E10value_typeEPSN_NS1_7vsmem_tEENKUlT_SL_SM_SN_E_clIS8_S8_S9_S9_EESK_S10_SL_SM_SN_EUlS10_E_NS1_11comp_targetILNS1_3genE3ELNS1_11target_archE908ELNS1_3gpuE7ELNS1_3repE0EEENS1_48merge_mergepath_partition_config_static_selectorELNS0_4arch9wavefront6targetE1EEEvSM_
		.amdhsa_group_segment_fixed_size 0
		.amdhsa_private_segment_fixed_size 0
		.amdhsa_kernarg_size 56
		.amdhsa_user_sgpr_count 2
		.amdhsa_user_sgpr_dispatch_ptr 0
		.amdhsa_user_sgpr_queue_ptr 0
		.amdhsa_user_sgpr_kernarg_segment_ptr 1
		.amdhsa_user_sgpr_dispatch_id 0
		.amdhsa_user_sgpr_kernarg_preload_length 0
		.amdhsa_user_sgpr_kernarg_preload_offset 0
		.amdhsa_user_sgpr_private_segment_size 0
		.amdhsa_uses_dynamic_stack 0
		.amdhsa_enable_private_segment 0
		.amdhsa_system_sgpr_workgroup_id_x 1
		.amdhsa_system_sgpr_workgroup_id_y 0
		.amdhsa_system_sgpr_workgroup_id_z 0
		.amdhsa_system_sgpr_workgroup_info 0
		.amdhsa_system_vgpr_workitem_id 0
		.amdhsa_next_free_vgpr 1
		.amdhsa_next_free_sgpr 0
		.amdhsa_accum_offset 4
		.amdhsa_reserve_vcc 0
		.amdhsa_float_round_mode_32 0
		.amdhsa_float_round_mode_16_64 0
		.amdhsa_float_denorm_mode_32 3
		.amdhsa_float_denorm_mode_16_64 3
		.amdhsa_dx10_clamp 1
		.amdhsa_ieee_mode 1
		.amdhsa_fp16_overflow 0
		.amdhsa_tg_split 0
		.amdhsa_exception_fp_ieee_invalid_op 0
		.amdhsa_exception_fp_denorm_src 0
		.amdhsa_exception_fp_ieee_div_zero 0
		.amdhsa_exception_fp_ieee_overflow 0
		.amdhsa_exception_fp_ieee_underflow 0
		.amdhsa_exception_fp_ieee_inexact 0
		.amdhsa_exception_int_div_zero 0
	.end_amdhsa_kernel
	.section	.text._ZN7rocprim17ROCPRIM_400000_NS6detail17trampoline_kernelINS0_14default_configENS1_38merge_sort_block_merge_config_selectorIlNS0_10empty_typeEEEZZNS1_27merge_sort_block_merge_implIS3_PlPS5_mZN2at6native12_GLOBAL__N_124unique_dim_cuda_templateIjEESt5tupleIJNSA_6TensorESF_SF_EERKSF_lbbbEUlllE_EE10hipError_tT0_T1_T2_jT3_P12ihipStream_tbPNSt15iterator_traitsISL_E10value_typeEPNSR_ISM_E10value_typeEPSN_NS1_7vsmem_tEENKUlT_SL_SM_SN_E_clIS8_S8_S9_S9_EESK_S10_SL_SM_SN_EUlS10_E_NS1_11comp_targetILNS1_3genE3ELNS1_11target_archE908ELNS1_3gpuE7ELNS1_3repE0EEENS1_48merge_mergepath_partition_config_static_selectorELNS0_4arch9wavefront6targetE1EEEvSM_,"axG",@progbits,_ZN7rocprim17ROCPRIM_400000_NS6detail17trampoline_kernelINS0_14default_configENS1_38merge_sort_block_merge_config_selectorIlNS0_10empty_typeEEEZZNS1_27merge_sort_block_merge_implIS3_PlPS5_mZN2at6native12_GLOBAL__N_124unique_dim_cuda_templateIjEESt5tupleIJNSA_6TensorESF_SF_EERKSF_lbbbEUlllE_EE10hipError_tT0_T1_T2_jT3_P12ihipStream_tbPNSt15iterator_traitsISL_E10value_typeEPNSR_ISM_E10value_typeEPSN_NS1_7vsmem_tEENKUlT_SL_SM_SN_E_clIS8_S8_S9_S9_EESK_S10_SL_SM_SN_EUlS10_E_NS1_11comp_targetILNS1_3genE3ELNS1_11target_archE908ELNS1_3gpuE7ELNS1_3repE0EEENS1_48merge_mergepath_partition_config_static_selectorELNS0_4arch9wavefront6targetE1EEEvSM_,comdat
.Lfunc_end1506:
	.size	_ZN7rocprim17ROCPRIM_400000_NS6detail17trampoline_kernelINS0_14default_configENS1_38merge_sort_block_merge_config_selectorIlNS0_10empty_typeEEEZZNS1_27merge_sort_block_merge_implIS3_PlPS5_mZN2at6native12_GLOBAL__N_124unique_dim_cuda_templateIjEESt5tupleIJNSA_6TensorESF_SF_EERKSF_lbbbEUlllE_EE10hipError_tT0_T1_T2_jT3_P12ihipStream_tbPNSt15iterator_traitsISL_E10value_typeEPNSR_ISM_E10value_typeEPSN_NS1_7vsmem_tEENKUlT_SL_SM_SN_E_clIS8_S8_S9_S9_EESK_S10_SL_SM_SN_EUlS10_E_NS1_11comp_targetILNS1_3genE3ELNS1_11target_archE908ELNS1_3gpuE7ELNS1_3repE0EEENS1_48merge_mergepath_partition_config_static_selectorELNS0_4arch9wavefront6targetE1EEEvSM_, .Lfunc_end1506-_ZN7rocprim17ROCPRIM_400000_NS6detail17trampoline_kernelINS0_14default_configENS1_38merge_sort_block_merge_config_selectorIlNS0_10empty_typeEEEZZNS1_27merge_sort_block_merge_implIS3_PlPS5_mZN2at6native12_GLOBAL__N_124unique_dim_cuda_templateIjEESt5tupleIJNSA_6TensorESF_SF_EERKSF_lbbbEUlllE_EE10hipError_tT0_T1_T2_jT3_P12ihipStream_tbPNSt15iterator_traitsISL_E10value_typeEPNSR_ISM_E10value_typeEPSN_NS1_7vsmem_tEENKUlT_SL_SM_SN_E_clIS8_S8_S9_S9_EESK_S10_SL_SM_SN_EUlS10_E_NS1_11comp_targetILNS1_3genE3ELNS1_11target_archE908ELNS1_3gpuE7ELNS1_3repE0EEENS1_48merge_mergepath_partition_config_static_selectorELNS0_4arch9wavefront6targetE1EEEvSM_
                                        ; -- End function
	.section	.AMDGPU.csdata,"",@progbits
; Kernel info:
; codeLenInByte = 0
; NumSgprs: 6
; NumVgprs: 0
; NumAgprs: 0
; TotalNumVgprs: 0
; ScratchSize: 0
; MemoryBound: 0
; FloatMode: 240
; IeeeMode: 1
; LDSByteSize: 0 bytes/workgroup (compile time only)
; SGPRBlocks: 0
; VGPRBlocks: 0
; NumSGPRsForWavesPerEU: 6
; NumVGPRsForWavesPerEU: 1
; AccumOffset: 4
; Occupancy: 8
; WaveLimiterHint : 0
; COMPUTE_PGM_RSRC2:SCRATCH_EN: 0
; COMPUTE_PGM_RSRC2:USER_SGPR: 2
; COMPUTE_PGM_RSRC2:TRAP_HANDLER: 0
; COMPUTE_PGM_RSRC2:TGID_X_EN: 1
; COMPUTE_PGM_RSRC2:TGID_Y_EN: 0
; COMPUTE_PGM_RSRC2:TGID_Z_EN: 0
; COMPUTE_PGM_RSRC2:TIDIG_COMP_CNT: 0
; COMPUTE_PGM_RSRC3_GFX90A:ACCUM_OFFSET: 0
; COMPUTE_PGM_RSRC3_GFX90A:TG_SPLIT: 0
	.section	.text._ZN7rocprim17ROCPRIM_400000_NS6detail17trampoline_kernelINS0_14default_configENS1_38merge_sort_block_merge_config_selectorIlNS0_10empty_typeEEEZZNS1_27merge_sort_block_merge_implIS3_PlPS5_mZN2at6native12_GLOBAL__N_124unique_dim_cuda_templateIjEESt5tupleIJNSA_6TensorESF_SF_EERKSF_lbbbEUlllE_EE10hipError_tT0_T1_T2_jT3_P12ihipStream_tbPNSt15iterator_traitsISL_E10value_typeEPNSR_ISM_E10value_typeEPSN_NS1_7vsmem_tEENKUlT_SL_SM_SN_E_clIS8_S8_S9_S9_EESK_S10_SL_SM_SN_EUlS10_E_NS1_11comp_targetILNS1_3genE2ELNS1_11target_archE906ELNS1_3gpuE6ELNS1_3repE0EEENS1_48merge_mergepath_partition_config_static_selectorELNS0_4arch9wavefront6targetE1EEEvSM_,"axG",@progbits,_ZN7rocprim17ROCPRIM_400000_NS6detail17trampoline_kernelINS0_14default_configENS1_38merge_sort_block_merge_config_selectorIlNS0_10empty_typeEEEZZNS1_27merge_sort_block_merge_implIS3_PlPS5_mZN2at6native12_GLOBAL__N_124unique_dim_cuda_templateIjEESt5tupleIJNSA_6TensorESF_SF_EERKSF_lbbbEUlllE_EE10hipError_tT0_T1_T2_jT3_P12ihipStream_tbPNSt15iterator_traitsISL_E10value_typeEPNSR_ISM_E10value_typeEPSN_NS1_7vsmem_tEENKUlT_SL_SM_SN_E_clIS8_S8_S9_S9_EESK_S10_SL_SM_SN_EUlS10_E_NS1_11comp_targetILNS1_3genE2ELNS1_11target_archE906ELNS1_3gpuE6ELNS1_3repE0EEENS1_48merge_mergepath_partition_config_static_selectorELNS0_4arch9wavefront6targetE1EEEvSM_,comdat
	.globl	_ZN7rocprim17ROCPRIM_400000_NS6detail17trampoline_kernelINS0_14default_configENS1_38merge_sort_block_merge_config_selectorIlNS0_10empty_typeEEEZZNS1_27merge_sort_block_merge_implIS3_PlPS5_mZN2at6native12_GLOBAL__N_124unique_dim_cuda_templateIjEESt5tupleIJNSA_6TensorESF_SF_EERKSF_lbbbEUlllE_EE10hipError_tT0_T1_T2_jT3_P12ihipStream_tbPNSt15iterator_traitsISL_E10value_typeEPNSR_ISM_E10value_typeEPSN_NS1_7vsmem_tEENKUlT_SL_SM_SN_E_clIS8_S8_S9_S9_EESK_S10_SL_SM_SN_EUlS10_E_NS1_11comp_targetILNS1_3genE2ELNS1_11target_archE906ELNS1_3gpuE6ELNS1_3repE0EEENS1_48merge_mergepath_partition_config_static_selectorELNS0_4arch9wavefront6targetE1EEEvSM_ ; -- Begin function _ZN7rocprim17ROCPRIM_400000_NS6detail17trampoline_kernelINS0_14default_configENS1_38merge_sort_block_merge_config_selectorIlNS0_10empty_typeEEEZZNS1_27merge_sort_block_merge_implIS3_PlPS5_mZN2at6native12_GLOBAL__N_124unique_dim_cuda_templateIjEESt5tupleIJNSA_6TensorESF_SF_EERKSF_lbbbEUlllE_EE10hipError_tT0_T1_T2_jT3_P12ihipStream_tbPNSt15iterator_traitsISL_E10value_typeEPNSR_ISM_E10value_typeEPSN_NS1_7vsmem_tEENKUlT_SL_SM_SN_E_clIS8_S8_S9_S9_EESK_S10_SL_SM_SN_EUlS10_E_NS1_11comp_targetILNS1_3genE2ELNS1_11target_archE906ELNS1_3gpuE6ELNS1_3repE0EEENS1_48merge_mergepath_partition_config_static_selectorELNS0_4arch9wavefront6targetE1EEEvSM_
	.p2align	8
	.type	_ZN7rocprim17ROCPRIM_400000_NS6detail17trampoline_kernelINS0_14default_configENS1_38merge_sort_block_merge_config_selectorIlNS0_10empty_typeEEEZZNS1_27merge_sort_block_merge_implIS3_PlPS5_mZN2at6native12_GLOBAL__N_124unique_dim_cuda_templateIjEESt5tupleIJNSA_6TensorESF_SF_EERKSF_lbbbEUlllE_EE10hipError_tT0_T1_T2_jT3_P12ihipStream_tbPNSt15iterator_traitsISL_E10value_typeEPNSR_ISM_E10value_typeEPSN_NS1_7vsmem_tEENKUlT_SL_SM_SN_E_clIS8_S8_S9_S9_EESK_S10_SL_SM_SN_EUlS10_E_NS1_11comp_targetILNS1_3genE2ELNS1_11target_archE906ELNS1_3gpuE6ELNS1_3repE0EEENS1_48merge_mergepath_partition_config_static_selectorELNS0_4arch9wavefront6targetE1EEEvSM_,@function
_ZN7rocprim17ROCPRIM_400000_NS6detail17trampoline_kernelINS0_14default_configENS1_38merge_sort_block_merge_config_selectorIlNS0_10empty_typeEEEZZNS1_27merge_sort_block_merge_implIS3_PlPS5_mZN2at6native12_GLOBAL__N_124unique_dim_cuda_templateIjEESt5tupleIJNSA_6TensorESF_SF_EERKSF_lbbbEUlllE_EE10hipError_tT0_T1_T2_jT3_P12ihipStream_tbPNSt15iterator_traitsISL_E10value_typeEPNSR_ISM_E10value_typeEPSN_NS1_7vsmem_tEENKUlT_SL_SM_SN_E_clIS8_S8_S9_S9_EESK_S10_SL_SM_SN_EUlS10_E_NS1_11comp_targetILNS1_3genE2ELNS1_11target_archE906ELNS1_3gpuE6ELNS1_3repE0EEENS1_48merge_mergepath_partition_config_static_selectorELNS0_4arch9wavefront6targetE1EEEvSM_: ; @_ZN7rocprim17ROCPRIM_400000_NS6detail17trampoline_kernelINS0_14default_configENS1_38merge_sort_block_merge_config_selectorIlNS0_10empty_typeEEEZZNS1_27merge_sort_block_merge_implIS3_PlPS5_mZN2at6native12_GLOBAL__N_124unique_dim_cuda_templateIjEESt5tupleIJNSA_6TensorESF_SF_EERKSF_lbbbEUlllE_EE10hipError_tT0_T1_T2_jT3_P12ihipStream_tbPNSt15iterator_traitsISL_E10value_typeEPNSR_ISM_E10value_typeEPSN_NS1_7vsmem_tEENKUlT_SL_SM_SN_E_clIS8_S8_S9_S9_EESK_S10_SL_SM_SN_EUlS10_E_NS1_11comp_targetILNS1_3genE2ELNS1_11target_archE906ELNS1_3gpuE6ELNS1_3repE0EEENS1_48merge_mergepath_partition_config_static_selectorELNS0_4arch9wavefront6targetE1EEEvSM_
; %bb.0:
	.section	.rodata,"a",@progbits
	.p2align	6, 0x0
	.amdhsa_kernel _ZN7rocprim17ROCPRIM_400000_NS6detail17trampoline_kernelINS0_14default_configENS1_38merge_sort_block_merge_config_selectorIlNS0_10empty_typeEEEZZNS1_27merge_sort_block_merge_implIS3_PlPS5_mZN2at6native12_GLOBAL__N_124unique_dim_cuda_templateIjEESt5tupleIJNSA_6TensorESF_SF_EERKSF_lbbbEUlllE_EE10hipError_tT0_T1_T2_jT3_P12ihipStream_tbPNSt15iterator_traitsISL_E10value_typeEPNSR_ISM_E10value_typeEPSN_NS1_7vsmem_tEENKUlT_SL_SM_SN_E_clIS8_S8_S9_S9_EESK_S10_SL_SM_SN_EUlS10_E_NS1_11comp_targetILNS1_3genE2ELNS1_11target_archE906ELNS1_3gpuE6ELNS1_3repE0EEENS1_48merge_mergepath_partition_config_static_selectorELNS0_4arch9wavefront6targetE1EEEvSM_
		.amdhsa_group_segment_fixed_size 0
		.amdhsa_private_segment_fixed_size 0
		.amdhsa_kernarg_size 56
		.amdhsa_user_sgpr_count 2
		.amdhsa_user_sgpr_dispatch_ptr 0
		.amdhsa_user_sgpr_queue_ptr 0
		.amdhsa_user_sgpr_kernarg_segment_ptr 1
		.amdhsa_user_sgpr_dispatch_id 0
		.amdhsa_user_sgpr_kernarg_preload_length 0
		.amdhsa_user_sgpr_kernarg_preload_offset 0
		.amdhsa_user_sgpr_private_segment_size 0
		.amdhsa_uses_dynamic_stack 0
		.amdhsa_enable_private_segment 0
		.amdhsa_system_sgpr_workgroup_id_x 1
		.amdhsa_system_sgpr_workgroup_id_y 0
		.amdhsa_system_sgpr_workgroup_id_z 0
		.amdhsa_system_sgpr_workgroup_info 0
		.amdhsa_system_vgpr_workitem_id 0
		.amdhsa_next_free_vgpr 1
		.amdhsa_next_free_sgpr 0
		.amdhsa_accum_offset 4
		.amdhsa_reserve_vcc 0
		.amdhsa_float_round_mode_32 0
		.amdhsa_float_round_mode_16_64 0
		.amdhsa_float_denorm_mode_32 3
		.amdhsa_float_denorm_mode_16_64 3
		.amdhsa_dx10_clamp 1
		.amdhsa_ieee_mode 1
		.amdhsa_fp16_overflow 0
		.amdhsa_tg_split 0
		.amdhsa_exception_fp_ieee_invalid_op 0
		.amdhsa_exception_fp_denorm_src 0
		.amdhsa_exception_fp_ieee_div_zero 0
		.amdhsa_exception_fp_ieee_overflow 0
		.amdhsa_exception_fp_ieee_underflow 0
		.amdhsa_exception_fp_ieee_inexact 0
		.amdhsa_exception_int_div_zero 0
	.end_amdhsa_kernel
	.section	.text._ZN7rocprim17ROCPRIM_400000_NS6detail17trampoline_kernelINS0_14default_configENS1_38merge_sort_block_merge_config_selectorIlNS0_10empty_typeEEEZZNS1_27merge_sort_block_merge_implIS3_PlPS5_mZN2at6native12_GLOBAL__N_124unique_dim_cuda_templateIjEESt5tupleIJNSA_6TensorESF_SF_EERKSF_lbbbEUlllE_EE10hipError_tT0_T1_T2_jT3_P12ihipStream_tbPNSt15iterator_traitsISL_E10value_typeEPNSR_ISM_E10value_typeEPSN_NS1_7vsmem_tEENKUlT_SL_SM_SN_E_clIS8_S8_S9_S9_EESK_S10_SL_SM_SN_EUlS10_E_NS1_11comp_targetILNS1_3genE2ELNS1_11target_archE906ELNS1_3gpuE6ELNS1_3repE0EEENS1_48merge_mergepath_partition_config_static_selectorELNS0_4arch9wavefront6targetE1EEEvSM_,"axG",@progbits,_ZN7rocprim17ROCPRIM_400000_NS6detail17trampoline_kernelINS0_14default_configENS1_38merge_sort_block_merge_config_selectorIlNS0_10empty_typeEEEZZNS1_27merge_sort_block_merge_implIS3_PlPS5_mZN2at6native12_GLOBAL__N_124unique_dim_cuda_templateIjEESt5tupleIJNSA_6TensorESF_SF_EERKSF_lbbbEUlllE_EE10hipError_tT0_T1_T2_jT3_P12ihipStream_tbPNSt15iterator_traitsISL_E10value_typeEPNSR_ISM_E10value_typeEPSN_NS1_7vsmem_tEENKUlT_SL_SM_SN_E_clIS8_S8_S9_S9_EESK_S10_SL_SM_SN_EUlS10_E_NS1_11comp_targetILNS1_3genE2ELNS1_11target_archE906ELNS1_3gpuE6ELNS1_3repE0EEENS1_48merge_mergepath_partition_config_static_selectorELNS0_4arch9wavefront6targetE1EEEvSM_,comdat
.Lfunc_end1507:
	.size	_ZN7rocprim17ROCPRIM_400000_NS6detail17trampoline_kernelINS0_14default_configENS1_38merge_sort_block_merge_config_selectorIlNS0_10empty_typeEEEZZNS1_27merge_sort_block_merge_implIS3_PlPS5_mZN2at6native12_GLOBAL__N_124unique_dim_cuda_templateIjEESt5tupleIJNSA_6TensorESF_SF_EERKSF_lbbbEUlllE_EE10hipError_tT0_T1_T2_jT3_P12ihipStream_tbPNSt15iterator_traitsISL_E10value_typeEPNSR_ISM_E10value_typeEPSN_NS1_7vsmem_tEENKUlT_SL_SM_SN_E_clIS8_S8_S9_S9_EESK_S10_SL_SM_SN_EUlS10_E_NS1_11comp_targetILNS1_3genE2ELNS1_11target_archE906ELNS1_3gpuE6ELNS1_3repE0EEENS1_48merge_mergepath_partition_config_static_selectorELNS0_4arch9wavefront6targetE1EEEvSM_, .Lfunc_end1507-_ZN7rocprim17ROCPRIM_400000_NS6detail17trampoline_kernelINS0_14default_configENS1_38merge_sort_block_merge_config_selectorIlNS0_10empty_typeEEEZZNS1_27merge_sort_block_merge_implIS3_PlPS5_mZN2at6native12_GLOBAL__N_124unique_dim_cuda_templateIjEESt5tupleIJNSA_6TensorESF_SF_EERKSF_lbbbEUlllE_EE10hipError_tT0_T1_T2_jT3_P12ihipStream_tbPNSt15iterator_traitsISL_E10value_typeEPNSR_ISM_E10value_typeEPSN_NS1_7vsmem_tEENKUlT_SL_SM_SN_E_clIS8_S8_S9_S9_EESK_S10_SL_SM_SN_EUlS10_E_NS1_11comp_targetILNS1_3genE2ELNS1_11target_archE906ELNS1_3gpuE6ELNS1_3repE0EEENS1_48merge_mergepath_partition_config_static_selectorELNS0_4arch9wavefront6targetE1EEEvSM_
                                        ; -- End function
	.section	.AMDGPU.csdata,"",@progbits
; Kernel info:
; codeLenInByte = 0
; NumSgprs: 6
; NumVgprs: 0
; NumAgprs: 0
; TotalNumVgprs: 0
; ScratchSize: 0
; MemoryBound: 0
; FloatMode: 240
; IeeeMode: 1
; LDSByteSize: 0 bytes/workgroup (compile time only)
; SGPRBlocks: 0
; VGPRBlocks: 0
; NumSGPRsForWavesPerEU: 6
; NumVGPRsForWavesPerEU: 1
; AccumOffset: 4
; Occupancy: 8
; WaveLimiterHint : 0
; COMPUTE_PGM_RSRC2:SCRATCH_EN: 0
; COMPUTE_PGM_RSRC2:USER_SGPR: 2
; COMPUTE_PGM_RSRC2:TRAP_HANDLER: 0
; COMPUTE_PGM_RSRC2:TGID_X_EN: 1
; COMPUTE_PGM_RSRC2:TGID_Y_EN: 0
; COMPUTE_PGM_RSRC2:TGID_Z_EN: 0
; COMPUTE_PGM_RSRC2:TIDIG_COMP_CNT: 0
; COMPUTE_PGM_RSRC3_GFX90A:ACCUM_OFFSET: 0
; COMPUTE_PGM_RSRC3_GFX90A:TG_SPLIT: 0
	.section	.text._ZN7rocprim17ROCPRIM_400000_NS6detail17trampoline_kernelINS0_14default_configENS1_38merge_sort_block_merge_config_selectorIlNS0_10empty_typeEEEZZNS1_27merge_sort_block_merge_implIS3_PlPS5_mZN2at6native12_GLOBAL__N_124unique_dim_cuda_templateIjEESt5tupleIJNSA_6TensorESF_SF_EERKSF_lbbbEUlllE_EE10hipError_tT0_T1_T2_jT3_P12ihipStream_tbPNSt15iterator_traitsISL_E10value_typeEPNSR_ISM_E10value_typeEPSN_NS1_7vsmem_tEENKUlT_SL_SM_SN_E_clIS8_S8_S9_S9_EESK_S10_SL_SM_SN_EUlS10_E_NS1_11comp_targetILNS1_3genE9ELNS1_11target_archE1100ELNS1_3gpuE3ELNS1_3repE0EEENS1_48merge_mergepath_partition_config_static_selectorELNS0_4arch9wavefront6targetE1EEEvSM_,"axG",@progbits,_ZN7rocprim17ROCPRIM_400000_NS6detail17trampoline_kernelINS0_14default_configENS1_38merge_sort_block_merge_config_selectorIlNS0_10empty_typeEEEZZNS1_27merge_sort_block_merge_implIS3_PlPS5_mZN2at6native12_GLOBAL__N_124unique_dim_cuda_templateIjEESt5tupleIJNSA_6TensorESF_SF_EERKSF_lbbbEUlllE_EE10hipError_tT0_T1_T2_jT3_P12ihipStream_tbPNSt15iterator_traitsISL_E10value_typeEPNSR_ISM_E10value_typeEPSN_NS1_7vsmem_tEENKUlT_SL_SM_SN_E_clIS8_S8_S9_S9_EESK_S10_SL_SM_SN_EUlS10_E_NS1_11comp_targetILNS1_3genE9ELNS1_11target_archE1100ELNS1_3gpuE3ELNS1_3repE0EEENS1_48merge_mergepath_partition_config_static_selectorELNS0_4arch9wavefront6targetE1EEEvSM_,comdat
	.globl	_ZN7rocprim17ROCPRIM_400000_NS6detail17trampoline_kernelINS0_14default_configENS1_38merge_sort_block_merge_config_selectorIlNS0_10empty_typeEEEZZNS1_27merge_sort_block_merge_implIS3_PlPS5_mZN2at6native12_GLOBAL__N_124unique_dim_cuda_templateIjEESt5tupleIJNSA_6TensorESF_SF_EERKSF_lbbbEUlllE_EE10hipError_tT0_T1_T2_jT3_P12ihipStream_tbPNSt15iterator_traitsISL_E10value_typeEPNSR_ISM_E10value_typeEPSN_NS1_7vsmem_tEENKUlT_SL_SM_SN_E_clIS8_S8_S9_S9_EESK_S10_SL_SM_SN_EUlS10_E_NS1_11comp_targetILNS1_3genE9ELNS1_11target_archE1100ELNS1_3gpuE3ELNS1_3repE0EEENS1_48merge_mergepath_partition_config_static_selectorELNS0_4arch9wavefront6targetE1EEEvSM_ ; -- Begin function _ZN7rocprim17ROCPRIM_400000_NS6detail17trampoline_kernelINS0_14default_configENS1_38merge_sort_block_merge_config_selectorIlNS0_10empty_typeEEEZZNS1_27merge_sort_block_merge_implIS3_PlPS5_mZN2at6native12_GLOBAL__N_124unique_dim_cuda_templateIjEESt5tupleIJNSA_6TensorESF_SF_EERKSF_lbbbEUlllE_EE10hipError_tT0_T1_T2_jT3_P12ihipStream_tbPNSt15iterator_traitsISL_E10value_typeEPNSR_ISM_E10value_typeEPSN_NS1_7vsmem_tEENKUlT_SL_SM_SN_E_clIS8_S8_S9_S9_EESK_S10_SL_SM_SN_EUlS10_E_NS1_11comp_targetILNS1_3genE9ELNS1_11target_archE1100ELNS1_3gpuE3ELNS1_3repE0EEENS1_48merge_mergepath_partition_config_static_selectorELNS0_4arch9wavefront6targetE1EEEvSM_
	.p2align	8
	.type	_ZN7rocprim17ROCPRIM_400000_NS6detail17trampoline_kernelINS0_14default_configENS1_38merge_sort_block_merge_config_selectorIlNS0_10empty_typeEEEZZNS1_27merge_sort_block_merge_implIS3_PlPS5_mZN2at6native12_GLOBAL__N_124unique_dim_cuda_templateIjEESt5tupleIJNSA_6TensorESF_SF_EERKSF_lbbbEUlllE_EE10hipError_tT0_T1_T2_jT3_P12ihipStream_tbPNSt15iterator_traitsISL_E10value_typeEPNSR_ISM_E10value_typeEPSN_NS1_7vsmem_tEENKUlT_SL_SM_SN_E_clIS8_S8_S9_S9_EESK_S10_SL_SM_SN_EUlS10_E_NS1_11comp_targetILNS1_3genE9ELNS1_11target_archE1100ELNS1_3gpuE3ELNS1_3repE0EEENS1_48merge_mergepath_partition_config_static_selectorELNS0_4arch9wavefront6targetE1EEEvSM_,@function
_ZN7rocprim17ROCPRIM_400000_NS6detail17trampoline_kernelINS0_14default_configENS1_38merge_sort_block_merge_config_selectorIlNS0_10empty_typeEEEZZNS1_27merge_sort_block_merge_implIS3_PlPS5_mZN2at6native12_GLOBAL__N_124unique_dim_cuda_templateIjEESt5tupleIJNSA_6TensorESF_SF_EERKSF_lbbbEUlllE_EE10hipError_tT0_T1_T2_jT3_P12ihipStream_tbPNSt15iterator_traitsISL_E10value_typeEPNSR_ISM_E10value_typeEPSN_NS1_7vsmem_tEENKUlT_SL_SM_SN_E_clIS8_S8_S9_S9_EESK_S10_SL_SM_SN_EUlS10_E_NS1_11comp_targetILNS1_3genE9ELNS1_11target_archE1100ELNS1_3gpuE3ELNS1_3repE0EEENS1_48merge_mergepath_partition_config_static_selectorELNS0_4arch9wavefront6targetE1EEEvSM_: ; @_ZN7rocprim17ROCPRIM_400000_NS6detail17trampoline_kernelINS0_14default_configENS1_38merge_sort_block_merge_config_selectorIlNS0_10empty_typeEEEZZNS1_27merge_sort_block_merge_implIS3_PlPS5_mZN2at6native12_GLOBAL__N_124unique_dim_cuda_templateIjEESt5tupleIJNSA_6TensorESF_SF_EERKSF_lbbbEUlllE_EE10hipError_tT0_T1_T2_jT3_P12ihipStream_tbPNSt15iterator_traitsISL_E10value_typeEPNSR_ISM_E10value_typeEPSN_NS1_7vsmem_tEENKUlT_SL_SM_SN_E_clIS8_S8_S9_S9_EESK_S10_SL_SM_SN_EUlS10_E_NS1_11comp_targetILNS1_3genE9ELNS1_11target_archE1100ELNS1_3gpuE3ELNS1_3repE0EEENS1_48merge_mergepath_partition_config_static_selectorELNS0_4arch9wavefront6targetE1EEEvSM_
; %bb.0:
	.section	.rodata,"a",@progbits
	.p2align	6, 0x0
	.amdhsa_kernel _ZN7rocprim17ROCPRIM_400000_NS6detail17trampoline_kernelINS0_14default_configENS1_38merge_sort_block_merge_config_selectorIlNS0_10empty_typeEEEZZNS1_27merge_sort_block_merge_implIS3_PlPS5_mZN2at6native12_GLOBAL__N_124unique_dim_cuda_templateIjEESt5tupleIJNSA_6TensorESF_SF_EERKSF_lbbbEUlllE_EE10hipError_tT0_T1_T2_jT3_P12ihipStream_tbPNSt15iterator_traitsISL_E10value_typeEPNSR_ISM_E10value_typeEPSN_NS1_7vsmem_tEENKUlT_SL_SM_SN_E_clIS8_S8_S9_S9_EESK_S10_SL_SM_SN_EUlS10_E_NS1_11comp_targetILNS1_3genE9ELNS1_11target_archE1100ELNS1_3gpuE3ELNS1_3repE0EEENS1_48merge_mergepath_partition_config_static_selectorELNS0_4arch9wavefront6targetE1EEEvSM_
		.amdhsa_group_segment_fixed_size 0
		.amdhsa_private_segment_fixed_size 0
		.amdhsa_kernarg_size 56
		.amdhsa_user_sgpr_count 2
		.amdhsa_user_sgpr_dispatch_ptr 0
		.amdhsa_user_sgpr_queue_ptr 0
		.amdhsa_user_sgpr_kernarg_segment_ptr 1
		.amdhsa_user_sgpr_dispatch_id 0
		.amdhsa_user_sgpr_kernarg_preload_length 0
		.amdhsa_user_sgpr_kernarg_preload_offset 0
		.amdhsa_user_sgpr_private_segment_size 0
		.amdhsa_uses_dynamic_stack 0
		.amdhsa_enable_private_segment 0
		.amdhsa_system_sgpr_workgroup_id_x 1
		.amdhsa_system_sgpr_workgroup_id_y 0
		.amdhsa_system_sgpr_workgroup_id_z 0
		.amdhsa_system_sgpr_workgroup_info 0
		.amdhsa_system_vgpr_workitem_id 0
		.amdhsa_next_free_vgpr 1
		.amdhsa_next_free_sgpr 0
		.amdhsa_accum_offset 4
		.amdhsa_reserve_vcc 0
		.amdhsa_float_round_mode_32 0
		.amdhsa_float_round_mode_16_64 0
		.amdhsa_float_denorm_mode_32 3
		.amdhsa_float_denorm_mode_16_64 3
		.amdhsa_dx10_clamp 1
		.amdhsa_ieee_mode 1
		.amdhsa_fp16_overflow 0
		.amdhsa_tg_split 0
		.amdhsa_exception_fp_ieee_invalid_op 0
		.amdhsa_exception_fp_denorm_src 0
		.amdhsa_exception_fp_ieee_div_zero 0
		.amdhsa_exception_fp_ieee_overflow 0
		.amdhsa_exception_fp_ieee_underflow 0
		.amdhsa_exception_fp_ieee_inexact 0
		.amdhsa_exception_int_div_zero 0
	.end_amdhsa_kernel
	.section	.text._ZN7rocprim17ROCPRIM_400000_NS6detail17trampoline_kernelINS0_14default_configENS1_38merge_sort_block_merge_config_selectorIlNS0_10empty_typeEEEZZNS1_27merge_sort_block_merge_implIS3_PlPS5_mZN2at6native12_GLOBAL__N_124unique_dim_cuda_templateIjEESt5tupleIJNSA_6TensorESF_SF_EERKSF_lbbbEUlllE_EE10hipError_tT0_T1_T2_jT3_P12ihipStream_tbPNSt15iterator_traitsISL_E10value_typeEPNSR_ISM_E10value_typeEPSN_NS1_7vsmem_tEENKUlT_SL_SM_SN_E_clIS8_S8_S9_S9_EESK_S10_SL_SM_SN_EUlS10_E_NS1_11comp_targetILNS1_3genE9ELNS1_11target_archE1100ELNS1_3gpuE3ELNS1_3repE0EEENS1_48merge_mergepath_partition_config_static_selectorELNS0_4arch9wavefront6targetE1EEEvSM_,"axG",@progbits,_ZN7rocprim17ROCPRIM_400000_NS6detail17trampoline_kernelINS0_14default_configENS1_38merge_sort_block_merge_config_selectorIlNS0_10empty_typeEEEZZNS1_27merge_sort_block_merge_implIS3_PlPS5_mZN2at6native12_GLOBAL__N_124unique_dim_cuda_templateIjEESt5tupleIJNSA_6TensorESF_SF_EERKSF_lbbbEUlllE_EE10hipError_tT0_T1_T2_jT3_P12ihipStream_tbPNSt15iterator_traitsISL_E10value_typeEPNSR_ISM_E10value_typeEPSN_NS1_7vsmem_tEENKUlT_SL_SM_SN_E_clIS8_S8_S9_S9_EESK_S10_SL_SM_SN_EUlS10_E_NS1_11comp_targetILNS1_3genE9ELNS1_11target_archE1100ELNS1_3gpuE3ELNS1_3repE0EEENS1_48merge_mergepath_partition_config_static_selectorELNS0_4arch9wavefront6targetE1EEEvSM_,comdat
.Lfunc_end1508:
	.size	_ZN7rocprim17ROCPRIM_400000_NS6detail17trampoline_kernelINS0_14default_configENS1_38merge_sort_block_merge_config_selectorIlNS0_10empty_typeEEEZZNS1_27merge_sort_block_merge_implIS3_PlPS5_mZN2at6native12_GLOBAL__N_124unique_dim_cuda_templateIjEESt5tupleIJNSA_6TensorESF_SF_EERKSF_lbbbEUlllE_EE10hipError_tT0_T1_T2_jT3_P12ihipStream_tbPNSt15iterator_traitsISL_E10value_typeEPNSR_ISM_E10value_typeEPSN_NS1_7vsmem_tEENKUlT_SL_SM_SN_E_clIS8_S8_S9_S9_EESK_S10_SL_SM_SN_EUlS10_E_NS1_11comp_targetILNS1_3genE9ELNS1_11target_archE1100ELNS1_3gpuE3ELNS1_3repE0EEENS1_48merge_mergepath_partition_config_static_selectorELNS0_4arch9wavefront6targetE1EEEvSM_, .Lfunc_end1508-_ZN7rocprim17ROCPRIM_400000_NS6detail17trampoline_kernelINS0_14default_configENS1_38merge_sort_block_merge_config_selectorIlNS0_10empty_typeEEEZZNS1_27merge_sort_block_merge_implIS3_PlPS5_mZN2at6native12_GLOBAL__N_124unique_dim_cuda_templateIjEESt5tupleIJNSA_6TensorESF_SF_EERKSF_lbbbEUlllE_EE10hipError_tT0_T1_T2_jT3_P12ihipStream_tbPNSt15iterator_traitsISL_E10value_typeEPNSR_ISM_E10value_typeEPSN_NS1_7vsmem_tEENKUlT_SL_SM_SN_E_clIS8_S8_S9_S9_EESK_S10_SL_SM_SN_EUlS10_E_NS1_11comp_targetILNS1_3genE9ELNS1_11target_archE1100ELNS1_3gpuE3ELNS1_3repE0EEENS1_48merge_mergepath_partition_config_static_selectorELNS0_4arch9wavefront6targetE1EEEvSM_
                                        ; -- End function
	.section	.AMDGPU.csdata,"",@progbits
; Kernel info:
; codeLenInByte = 0
; NumSgprs: 6
; NumVgprs: 0
; NumAgprs: 0
; TotalNumVgprs: 0
; ScratchSize: 0
; MemoryBound: 0
; FloatMode: 240
; IeeeMode: 1
; LDSByteSize: 0 bytes/workgroup (compile time only)
; SGPRBlocks: 0
; VGPRBlocks: 0
; NumSGPRsForWavesPerEU: 6
; NumVGPRsForWavesPerEU: 1
; AccumOffset: 4
; Occupancy: 8
; WaveLimiterHint : 0
; COMPUTE_PGM_RSRC2:SCRATCH_EN: 0
; COMPUTE_PGM_RSRC2:USER_SGPR: 2
; COMPUTE_PGM_RSRC2:TRAP_HANDLER: 0
; COMPUTE_PGM_RSRC2:TGID_X_EN: 1
; COMPUTE_PGM_RSRC2:TGID_Y_EN: 0
; COMPUTE_PGM_RSRC2:TGID_Z_EN: 0
; COMPUTE_PGM_RSRC2:TIDIG_COMP_CNT: 0
; COMPUTE_PGM_RSRC3_GFX90A:ACCUM_OFFSET: 0
; COMPUTE_PGM_RSRC3_GFX90A:TG_SPLIT: 0
	.section	.text._ZN7rocprim17ROCPRIM_400000_NS6detail17trampoline_kernelINS0_14default_configENS1_38merge_sort_block_merge_config_selectorIlNS0_10empty_typeEEEZZNS1_27merge_sort_block_merge_implIS3_PlPS5_mZN2at6native12_GLOBAL__N_124unique_dim_cuda_templateIjEESt5tupleIJNSA_6TensorESF_SF_EERKSF_lbbbEUlllE_EE10hipError_tT0_T1_T2_jT3_P12ihipStream_tbPNSt15iterator_traitsISL_E10value_typeEPNSR_ISM_E10value_typeEPSN_NS1_7vsmem_tEENKUlT_SL_SM_SN_E_clIS8_S8_S9_S9_EESK_S10_SL_SM_SN_EUlS10_E_NS1_11comp_targetILNS1_3genE8ELNS1_11target_archE1030ELNS1_3gpuE2ELNS1_3repE0EEENS1_48merge_mergepath_partition_config_static_selectorELNS0_4arch9wavefront6targetE1EEEvSM_,"axG",@progbits,_ZN7rocprim17ROCPRIM_400000_NS6detail17trampoline_kernelINS0_14default_configENS1_38merge_sort_block_merge_config_selectorIlNS0_10empty_typeEEEZZNS1_27merge_sort_block_merge_implIS3_PlPS5_mZN2at6native12_GLOBAL__N_124unique_dim_cuda_templateIjEESt5tupleIJNSA_6TensorESF_SF_EERKSF_lbbbEUlllE_EE10hipError_tT0_T1_T2_jT3_P12ihipStream_tbPNSt15iterator_traitsISL_E10value_typeEPNSR_ISM_E10value_typeEPSN_NS1_7vsmem_tEENKUlT_SL_SM_SN_E_clIS8_S8_S9_S9_EESK_S10_SL_SM_SN_EUlS10_E_NS1_11comp_targetILNS1_3genE8ELNS1_11target_archE1030ELNS1_3gpuE2ELNS1_3repE0EEENS1_48merge_mergepath_partition_config_static_selectorELNS0_4arch9wavefront6targetE1EEEvSM_,comdat
	.globl	_ZN7rocprim17ROCPRIM_400000_NS6detail17trampoline_kernelINS0_14default_configENS1_38merge_sort_block_merge_config_selectorIlNS0_10empty_typeEEEZZNS1_27merge_sort_block_merge_implIS3_PlPS5_mZN2at6native12_GLOBAL__N_124unique_dim_cuda_templateIjEESt5tupleIJNSA_6TensorESF_SF_EERKSF_lbbbEUlllE_EE10hipError_tT0_T1_T2_jT3_P12ihipStream_tbPNSt15iterator_traitsISL_E10value_typeEPNSR_ISM_E10value_typeEPSN_NS1_7vsmem_tEENKUlT_SL_SM_SN_E_clIS8_S8_S9_S9_EESK_S10_SL_SM_SN_EUlS10_E_NS1_11comp_targetILNS1_3genE8ELNS1_11target_archE1030ELNS1_3gpuE2ELNS1_3repE0EEENS1_48merge_mergepath_partition_config_static_selectorELNS0_4arch9wavefront6targetE1EEEvSM_ ; -- Begin function _ZN7rocprim17ROCPRIM_400000_NS6detail17trampoline_kernelINS0_14default_configENS1_38merge_sort_block_merge_config_selectorIlNS0_10empty_typeEEEZZNS1_27merge_sort_block_merge_implIS3_PlPS5_mZN2at6native12_GLOBAL__N_124unique_dim_cuda_templateIjEESt5tupleIJNSA_6TensorESF_SF_EERKSF_lbbbEUlllE_EE10hipError_tT0_T1_T2_jT3_P12ihipStream_tbPNSt15iterator_traitsISL_E10value_typeEPNSR_ISM_E10value_typeEPSN_NS1_7vsmem_tEENKUlT_SL_SM_SN_E_clIS8_S8_S9_S9_EESK_S10_SL_SM_SN_EUlS10_E_NS1_11comp_targetILNS1_3genE8ELNS1_11target_archE1030ELNS1_3gpuE2ELNS1_3repE0EEENS1_48merge_mergepath_partition_config_static_selectorELNS0_4arch9wavefront6targetE1EEEvSM_
	.p2align	8
	.type	_ZN7rocprim17ROCPRIM_400000_NS6detail17trampoline_kernelINS0_14default_configENS1_38merge_sort_block_merge_config_selectorIlNS0_10empty_typeEEEZZNS1_27merge_sort_block_merge_implIS3_PlPS5_mZN2at6native12_GLOBAL__N_124unique_dim_cuda_templateIjEESt5tupleIJNSA_6TensorESF_SF_EERKSF_lbbbEUlllE_EE10hipError_tT0_T1_T2_jT3_P12ihipStream_tbPNSt15iterator_traitsISL_E10value_typeEPNSR_ISM_E10value_typeEPSN_NS1_7vsmem_tEENKUlT_SL_SM_SN_E_clIS8_S8_S9_S9_EESK_S10_SL_SM_SN_EUlS10_E_NS1_11comp_targetILNS1_3genE8ELNS1_11target_archE1030ELNS1_3gpuE2ELNS1_3repE0EEENS1_48merge_mergepath_partition_config_static_selectorELNS0_4arch9wavefront6targetE1EEEvSM_,@function
_ZN7rocprim17ROCPRIM_400000_NS6detail17trampoline_kernelINS0_14default_configENS1_38merge_sort_block_merge_config_selectorIlNS0_10empty_typeEEEZZNS1_27merge_sort_block_merge_implIS3_PlPS5_mZN2at6native12_GLOBAL__N_124unique_dim_cuda_templateIjEESt5tupleIJNSA_6TensorESF_SF_EERKSF_lbbbEUlllE_EE10hipError_tT0_T1_T2_jT3_P12ihipStream_tbPNSt15iterator_traitsISL_E10value_typeEPNSR_ISM_E10value_typeEPSN_NS1_7vsmem_tEENKUlT_SL_SM_SN_E_clIS8_S8_S9_S9_EESK_S10_SL_SM_SN_EUlS10_E_NS1_11comp_targetILNS1_3genE8ELNS1_11target_archE1030ELNS1_3gpuE2ELNS1_3repE0EEENS1_48merge_mergepath_partition_config_static_selectorELNS0_4arch9wavefront6targetE1EEEvSM_: ; @_ZN7rocprim17ROCPRIM_400000_NS6detail17trampoline_kernelINS0_14default_configENS1_38merge_sort_block_merge_config_selectorIlNS0_10empty_typeEEEZZNS1_27merge_sort_block_merge_implIS3_PlPS5_mZN2at6native12_GLOBAL__N_124unique_dim_cuda_templateIjEESt5tupleIJNSA_6TensorESF_SF_EERKSF_lbbbEUlllE_EE10hipError_tT0_T1_T2_jT3_P12ihipStream_tbPNSt15iterator_traitsISL_E10value_typeEPNSR_ISM_E10value_typeEPSN_NS1_7vsmem_tEENKUlT_SL_SM_SN_E_clIS8_S8_S9_S9_EESK_S10_SL_SM_SN_EUlS10_E_NS1_11comp_targetILNS1_3genE8ELNS1_11target_archE1030ELNS1_3gpuE2ELNS1_3repE0EEENS1_48merge_mergepath_partition_config_static_selectorELNS0_4arch9wavefront6targetE1EEEvSM_
; %bb.0:
	.section	.rodata,"a",@progbits
	.p2align	6, 0x0
	.amdhsa_kernel _ZN7rocprim17ROCPRIM_400000_NS6detail17trampoline_kernelINS0_14default_configENS1_38merge_sort_block_merge_config_selectorIlNS0_10empty_typeEEEZZNS1_27merge_sort_block_merge_implIS3_PlPS5_mZN2at6native12_GLOBAL__N_124unique_dim_cuda_templateIjEESt5tupleIJNSA_6TensorESF_SF_EERKSF_lbbbEUlllE_EE10hipError_tT0_T1_T2_jT3_P12ihipStream_tbPNSt15iterator_traitsISL_E10value_typeEPNSR_ISM_E10value_typeEPSN_NS1_7vsmem_tEENKUlT_SL_SM_SN_E_clIS8_S8_S9_S9_EESK_S10_SL_SM_SN_EUlS10_E_NS1_11comp_targetILNS1_3genE8ELNS1_11target_archE1030ELNS1_3gpuE2ELNS1_3repE0EEENS1_48merge_mergepath_partition_config_static_selectorELNS0_4arch9wavefront6targetE1EEEvSM_
		.amdhsa_group_segment_fixed_size 0
		.amdhsa_private_segment_fixed_size 0
		.amdhsa_kernarg_size 56
		.amdhsa_user_sgpr_count 2
		.amdhsa_user_sgpr_dispatch_ptr 0
		.amdhsa_user_sgpr_queue_ptr 0
		.amdhsa_user_sgpr_kernarg_segment_ptr 1
		.amdhsa_user_sgpr_dispatch_id 0
		.amdhsa_user_sgpr_kernarg_preload_length 0
		.amdhsa_user_sgpr_kernarg_preload_offset 0
		.amdhsa_user_sgpr_private_segment_size 0
		.amdhsa_uses_dynamic_stack 0
		.amdhsa_enable_private_segment 0
		.amdhsa_system_sgpr_workgroup_id_x 1
		.amdhsa_system_sgpr_workgroup_id_y 0
		.amdhsa_system_sgpr_workgroup_id_z 0
		.amdhsa_system_sgpr_workgroup_info 0
		.amdhsa_system_vgpr_workitem_id 0
		.amdhsa_next_free_vgpr 1
		.amdhsa_next_free_sgpr 0
		.amdhsa_accum_offset 4
		.amdhsa_reserve_vcc 0
		.amdhsa_float_round_mode_32 0
		.amdhsa_float_round_mode_16_64 0
		.amdhsa_float_denorm_mode_32 3
		.amdhsa_float_denorm_mode_16_64 3
		.amdhsa_dx10_clamp 1
		.amdhsa_ieee_mode 1
		.amdhsa_fp16_overflow 0
		.amdhsa_tg_split 0
		.amdhsa_exception_fp_ieee_invalid_op 0
		.amdhsa_exception_fp_denorm_src 0
		.amdhsa_exception_fp_ieee_div_zero 0
		.amdhsa_exception_fp_ieee_overflow 0
		.amdhsa_exception_fp_ieee_underflow 0
		.amdhsa_exception_fp_ieee_inexact 0
		.amdhsa_exception_int_div_zero 0
	.end_amdhsa_kernel
	.section	.text._ZN7rocprim17ROCPRIM_400000_NS6detail17trampoline_kernelINS0_14default_configENS1_38merge_sort_block_merge_config_selectorIlNS0_10empty_typeEEEZZNS1_27merge_sort_block_merge_implIS3_PlPS5_mZN2at6native12_GLOBAL__N_124unique_dim_cuda_templateIjEESt5tupleIJNSA_6TensorESF_SF_EERKSF_lbbbEUlllE_EE10hipError_tT0_T1_T2_jT3_P12ihipStream_tbPNSt15iterator_traitsISL_E10value_typeEPNSR_ISM_E10value_typeEPSN_NS1_7vsmem_tEENKUlT_SL_SM_SN_E_clIS8_S8_S9_S9_EESK_S10_SL_SM_SN_EUlS10_E_NS1_11comp_targetILNS1_3genE8ELNS1_11target_archE1030ELNS1_3gpuE2ELNS1_3repE0EEENS1_48merge_mergepath_partition_config_static_selectorELNS0_4arch9wavefront6targetE1EEEvSM_,"axG",@progbits,_ZN7rocprim17ROCPRIM_400000_NS6detail17trampoline_kernelINS0_14default_configENS1_38merge_sort_block_merge_config_selectorIlNS0_10empty_typeEEEZZNS1_27merge_sort_block_merge_implIS3_PlPS5_mZN2at6native12_GLOBAL__N_124unique_dim_cuda_templateIjEESt5tupleIJNSA_6TensorESF_SF_EERKSF_lbbbEUlllE_EE10hipError_tT0_T1_T2_jT3_P12ihipStream_tbPNSt15iterator_traitsISL_E10value_typeEPNSR_ISM_E10value_typeEPSN_NS1_7vsmem_tEENKUlT_SL_SM_SN_E_clIS8_S8_S9_S9_EESK_S10_SL_SM_SN_EUlS10_E_NS1_11comp_targetILNS1_3genE8ELNS1_11target_archE1030ELNS1_3gpuE2ELNS1_3repE0EEENS1_48merge_mergepath_partition_config_static_selectorELNS0_4arch9wavefront6targetE1EEEvSM_,comdat
.Lfunc_end1509:
	.size	_ZN7rocprim17ROCPRIM_400000_NS6detail17trampoline_kernelINS0_14default_configENS1_38merge_sort_block_merge_config_selectorIlNS0_10empty_typeEEEZZNS1_27merge_sort_block_merge_implIS3_PlPS5_mZN2at6native12_GLOBAL__N_124unique_dim_cuda_templateIjEESt5tupleIJNSA_6TensorESF_SF_EERKSF_lbbbEUlllE_EE10hipError_tT0_T1_T2_jT3_P12ihipStream_tbPNSt15iterator_traitsISL_E10value_typeEPNSR_ISM_E10value_typeEPSN_NS1_7vsmem_tEENKUlT_SL_SM_SN_E_clIS8_S8_S9_S9_EESK_S10_SL_SM_SN_EUlS10_E_NS1_11comp_targetILNS1_3genE8ELNS1_11target_archE1030ELNS1_3gpuE2ELNS1_3repE0EEENS1_48merge_mergepath_partition_config_static_selectorELNS0_4arch9wavefront6targetE1EEEvSM_, .Lfunc_end1509-_ZN7rocprim17ROCPRIM_400000_NS6detail17trampoline_kernelINS0_14default_configENS1_38merge_sort_block_merge_config_selectorIlNS0_10empty_typeEEEZZNS1_27merge_sort_block_merge_implIS3_PlPS5_mZN2at6native12_GLOBAL__N_124unique_dim_cuda_templateIjEESt5tupleIJNSA_6TensorESF_SF_EERKSF_lbbbEUlllE_EE10hipError_tT0_T1_T2_jT3_P12ihipStream_tbPNSt15iterator_traitsISL_E10value_typeEPNSR_ISM_E10value_typeEPSN_NS1_7vsmem_tEENKUlT_SL_SM_SN_E_clIS8_S8_S9_S9_EESK_S10_SL_SM_SN_EUlS10_E_NS1_11comp_targetILNS1_3genE8ELNS1_11target_archE1030ELNS1_3gpuE2ELNS1_3repE0EEENS1_48merge_mergepath_partition_config_static_selectorELNS0_4arch9wavefront6targetE1EEEvSM_
                                        ; -- End function
	.section	.AMDGPU.csdata,"",@progbits
; Kernel info:
; codeLenInByte = 0
; NumSgprs: 6
; NumVgprs: 0
; NumAgprs: 0
; TotalNumVgprs: 0
; ScratchSize: 0
; MemoryBound: 0
; FloatMode: 240
; IeeeMode: 1
; LDSByteSize: 0 bytes/workgroup (compile time only)
; SGPRBlocks: 0
; VGPRBlocks: 0
; NumSGPRsForWavesPerEU: 6
; NumVGPRsForWavesPerEU: 1
; AccumOffset: 4
; Occupancy: 8
; WaveLimiterHint : 0
; COMPUTE_PGM_RSRC2:SCRATCH_EN: 0
; COMPUTE_PGM_RSRC2:USER_SGPR: 2
; COMPUTE_PGM_RSRC2:TRAP_HANDLER: 0
; COMPUTE_PGM_RSRC2:TGID_X_EN: 1
; COMPUTE_PGM_RSRC2:TGID_Y_EN: 0
; COMPUTE_PGM_RSRC2:TGID_Z_EN: 0
; COMPUTE_PGM_RSRC2:TIDIG_COMP_CNT: 0
; COMPUTE_PGM_RSRC3_GFX90A:ACCUM_OFFSET: 0
; COMPUTE_PGM_RSRC3_GFX90A:TG_SPLIT: 0
	.section	.text._ZN7rocprim17ROCPRIM_400000_NS6detail17trampoline_kernelINS0_14default_configENS1_38merge_sort_block_merge_config_selectorIlNS0_10empty_typeEEEZZNS1_27merge_sort_block_merge_implIS3_PlPS5_mZN2at6native12_GLOBAL__N_124unique_dim_cuda_templateIjEESt5tupleIJNSA_6TensorESF_SF_EERKSF_lbbbEUlllE_EE10hipError_tT0_T1_T2_jT3_P12ihipStream_tbPNSt15iterator_traitsISL_E10value_typeEPNSR_ISM_E10value_typeEPSN_NS1_7vsmem_tEENKUlT_SL_SM_SN_E_clIS8_S8_S9_S9_EESK_S10_SL_SM_SN_EUlS10_E0_NS1_11comp_targetILNS1_3genE0ELNS1_11target_archE4294967295ELNS1_3gpuE0ELNS1_3repE0EEENS1_38merge_mergepath_config_static_selectorELNS0_4arch9wavefront6targetE1EEEvSM_,"axG",@progbits,_ZN7rocprim17ROCPRIM_400000_NS6detail17trampoline_kernelINS0_14default_configENS1_38merge_sort_block_merge_config_selectorIlNS0_10empty_typeEEEZZNS1_27merge_sort_block_merge_implIS3_PlPS5_mZN2at6native12_GLOBAL__N_124unique_dim_cuda_templateIjEESt5tupleIJNSA_6TensorESF_SF_EERKSF_lbbbEUlllE_EE10hipError_tT0_T1_T2_jT3_P12ihipStream_tbPNSt15iterator_traitsISL_E10value_typeEPNSR_ISM_E10value_typeEPSN_NS1_7vsmem_tEENKUlT_SL_SM_SN_E_clIS8_S8_S9_S9_EESK_S10_SL_SM_SN_EUlS10_E0_NS1_11comp_targetILNS1_3genE0ELNS1_11target_archE4294967295ELNS1_3gpuE0ELNS1_3repE0EEENS1_38merge_mergepath_config_static_selectorELNS0_4arch9wavefront6targetE1EEEvSM_,comdat
	.globl	_ZN7rocprim17ROCPRIM_400000_NS6detail17trampoline_kernelINS0_14default_configENS1_38merge_sort_block_merge_config_selectorIlNS0_10empty_typeEEEZZNS1_27merge_sort_block_merge_implIS3_PlPS5_mZN2at6native12_GLOBAL__N_124unique_dim_cuda_templateIjEESt5tupleIJNSA_6TensorESF_SF_EERKSF_lbbbEUlllE_EE10hipError_tT0_T1_T2_jT3_P12ihipStream_tbPNSt15iterator_traitsISL_E10value_typeEPNSR_ISM_E10value_typeEPSN_NS1_7vsmem_tEENKUlT_SL_SM_SN_E_clIS8_S8_S9_S9_EESK_S10_SL_SM_SN_EUlS10_E0_NS1_11comp_targetILNS1_3genE0ELNS1_11target_archE4294967295ELNS1_3gpuE0ELNS1_3repE0EEENS1_38merge_mergepath_config_static_selectorELNS0_4arch9wavefront6targetE1EEEvSM_ ; -- Begin function _ZN7rocprim17ROCPRIM_400000_NS6detail17trampoline_kernelINS0_14default_configENS1_38merge_sort_block_merge_config_selectorIlNS0_10empty_typeEEEZZNS1_27merge_sort_block_merge_implIS3_PlPS5_mZN2at6native12_GLOBAL__N_124unique_dim_cuda_templateIjEESt5tupleIJNSA_6TensorESF_SF_EERKSF_lbbbEUlllE_EE10hipError_tT0_T1_T2_jT3_P12ihipStream_tbPNSt15iterator_traitsISL_E10value_typeEPNSR_ISM_E10value_typeEPSN_NS1_7vsmem_tEENKUlT_SL_SM_SN_E_clIS8_S8_S9_S9_EESK_S10_SL_SM_SN_EUlS10_E0_NS1_11comp_targetILNS1_3genE0ELNS1_11target_archE4294967295ELNS1_3gpuE0ELNS1_3repE0EEENS1_38merge_mergepath_config_static_selectorELNS0_4arch9wavefront6targetE1EEEvSM_
	.p2align	8
	.type	_ZN7rocprim17ROCPRIM_400000_NS6detail17trampoline_kernelINS0_14default_configENS1_38merge_sort_block_merge_config_selectorIlNS0_10empty_typeEEEZZNS1_27merge_sort_block_merge_implIS3_PlPS5_mZN2at6native12_GLOBAL__N_124unique_dim_cuda_templateIjEESt5tupleIJNSA_6TensorESF_SF_EERKSF_lbbbEUlllE_EE10hipError_tT0_T1_T2_jT3_P12ihipStream_tbPNSt15iterator_traitsISL_E10value_typeEPNSR_ISM_E10value_typeEPSN_NS1_7vsmem_tEENKUlT_SL_SM_SN_E_clIS8_S8_S9_S9_EESK_S10_SL_SM_SN_EUlS10_E0_NS1_11comp_targetILNS1_3genE0ELNS1_11target_archE4294967295ELNS1_3gpuE0ELNS1_3repE0EEENS1_38merge_mergepath_config_static_selectorELNS0_4arch9wavefront6targetE1EEEvSM_,@function
_ZN7rocprim17ROCPRIM_400000_NS6detail17trampoline_kernelINS0_14default_configENS1_38merge_sort_block_merge_config_selectorIlNS0_10empty_typeEEEZZNS1_27merge_sort_block_merge_implIS3_PlPS5_mZN2at6native12_GLOBAL__N_124unique_dim_cuda_templateIjEESt5tupleIJNSA_6TensorESF_SF_EERKSF_lbbbEUlllE_EE10hipError_tT0_T1_T2_jT3_P12ihipStream_tbPNSt15iterator_traitsISL_E10value_typeEPNSR_ISM_E10value_typeEPSN_NS1_7vsmem_tEENKUlT_SL_SM_SN_E_clIS8_S8_S9_S9_EESK_S10_SL_SM_SN_EUlS10_E0_NS1_11comp_targetILNS1_3genE0ELNS1_11target_archE4294967295ELNS1_3gpuE0ELNS1_3repE0EEENS1_38merge_mergepath_config_static_selectorELNS0_4arch9wavefront6targetE1EEEvSM_: ; @_ZN7rocprim17ROCPRIM_400000_NS6detail17trampoline_kernelINS0_14default_configENS1_38merge_sort_block_merge_config_selectorIlNS0_10empty_typeEEEZZNS1_27merge_sort_block_merge_implIS3_PlPS5_mZN2at6native12_GLOBAL__N_124unique_dim_cuda_templateIjEESt5tupleIJNSA_6TensorESF_SF_EERKSF_lbbbEUlllE_EE10hipError_tT0_T1_T2_jT3_P12ihipStream_tbPNSt15iterator_traitsISL_E10value_typeEPNSR_ISM_E10value_typeEPSN_NS1_7vsmem_tEENKUlT_SL_SM_SN_E_clIS8_S8_S9_S9_EESK_S10_SL_SM_SN_EUlS10_E0_NS1_11comp_targetILNS1_3genE0ELNS1_11target_archE4294967295ELNS1_3gpuE0ELNS1_3repE0EEENS1_38merge_mergepath_config_static_selectorELNS0_4arch9wavefront6targetE1EEEvSM_
; %bb.0:
	.section	.rodata,"a",@progbits
	.p2align	6, 0x0
	.amdhsa_kernel _ZN7rocprim17ROCPRIM_400000_NS6detail17trampoline_kernelINS0_14default_configENS1_38merge_sort_block_merge_config_selectorIlNS0_10empty_typeEEEZZNS1_27merge_sort_block_merge_implIS3_PlPS5_mZN2at6native12_GLOBAL__N_124unique_dim_cuda_templateIjEESt5tupleIJNSA_6TensorESF_SF_EERKSF_lbbbEUlllE_EE10hipError_tT0_T1_T2_jT3_P12ihipStream_tbPNSt15iterator_traitsISL_E10value_typeEPNSR_ISM_E10value_typeEPSN_NS1_7vsmem_tEENKUlT_SL_SM_SN_E_clIS8_S8_S9_S9_EESK_S10_SL_SM_SN_EUlS10_E0_NS1_11comp_targetILNS1_3genE0ELNS1_11target_archE4294967295ELNS1_3gpuE0ELNS1_3repE0EEENS1_38merge_mergepath_config_static_selectorELNS0_4arch9wavefront6targetE1EEEvSM_
		.amdhsa_group_segment_fixed_size 0
		.amdhsa_private_segment_fixed_size 0
		.amdhsa_kernarg_size 88
		.amdhsa_user_sgpr_count 2
		.amdhsa_user_sgpr_dispatch_ptr 0
		.amdhsa_user_sgpr_queue_ptr 0
		.amdhsa_user_sgpr_kernarg_segment_ptr 1
		.amdhsa_user_sgpr_dispatch_id 0
		.amdhsa_user_sgpr_kernarg_preload_length 0
		.amdhsa_user_sgpr_kernarg_preload_offset 0
		.amdhsa_user_sgpr_private_segment_size 0
		.amdhsa_uses_dynamic_stack 0
		.amdhsa_enable_private_segment 0
		.amdhsa_system_sgpr_workgroup_id_x 1
		.amdhsa_system_sgpr_workgroup_id_y 0
		.amdhsa_system_sgpr_workgroup_id_z 0
		.amdhsa_system_sgpr_workgroup_info 0
		.amdhsa_system_vgpr_workitem_id 0
		.amdhsa_next_free_vgpr 1
		.amdhsa_next_free_sgpr 0
		.amdhsa_accum_offset 4
		.amdhsa_reserve_vcc 0
		.amdhsa_float_round_mode_32 0
		.amdhsa_float_round_mode_16_64 0
		.amdhsa_float_denorm_mode_32 3
		.amdhsa_float_denorm_mode_16_64 3
		.amdhsa_dx10_clamp 1
		.amdhsa_ieee_mode 1
		.amdhsa_fp16_overflow 0
		.amdhsa_tg_split 0
		.amdhsa_exception_fp_ieee_invalid_op 0
		.amdhsa_exception_fp_denorm_src 0
		.amdhsa_exception_fp_ieee_div_zero 0
		.amdhsa_exception_fp_ieee_overflow 0
		.amdhsa_exception_fp_ieee_underflow 0
		.amdhsa_exception_fp_ieee_inexact 0
		.amdhsa_exception_int_div_zero 0
	.end_amdhsa_kernel
	.section	.text._ZN7rocprim17ROCPRIM_400000_NS6detail17trampoline_kernelINS0_14default_configENS1_38merge_sort_block_merge_config_selectorIlNS0_10empty_typeEEEZZNS1_27merge_sort_block_merge_implIS3_PlPS5_mZN2at6native12_GLOBAL__N_124unique_dim_cuda_templateIjEESt5tupleIJNSA_6TensorESF_SF_EERKSF_lbbbEUlllE_EE10hipError_tT0_T1_T2_jT3_P12ihipStream_tbPNSt15iterator_traitsISL_E10value_typeEPNSR_ISM_E10value_typeEPSN_NS1_7vsmem_tEENKUlT_SL_SM_SN_E_clIS8_S8_S9_S9_EESK_S10_SL_SM_SN_EUlS10_E0_NS1_11comp_targetILNS1_3genE0ELNS1_11target_archE4294967295ELNS1_3gpuE0ELNS1_3repE0EEENS1_38merge_mergepath_config_static_selectorELNS0_4arch9wavefront6targetE1EEEvSM_,"axG",@progbits,_ZN7rocprim17ROCPRIM_400000_NS6detail17trampoline_kernelINS0_14default_configENS1_38merge_sort_block_merge_config_selectorIlNS0_10empty_typeEEEZZNS1_27merge_sort_block_merge_implIS3_PlPS5_mZN2at6native12_GLOBAL__N_124unique_dim_cuda_templateIjEESt5tupleIJNSA_6TensorESF_SF_EERKSF_lbbbEUlllE_EE10hipError_tT0_T1_T2_jT3_P12ihipStream_tbPNSt15iterator_traitsISL_E10value_typeEPNSR_ISM_E10value_typeEPSN_NS1_7vsmem_tEENKUlT_SL_SM_SN_E_clIS8_S8_S9_S9_EESK_S10_SL_SM_SN_EUlS10_E0_NS1_11comp_targetILNS1_3genE0ELNS1_11target_archE4294967295ELNS1_3gpuE0ELNS1_3repE0EEENS1_38merge_mergepath_config_static_selectorELNS0_4arch9wavefront6targetE1EEEvSM_,comdat
.Lfunc_end1510:
	.size	_ZN7rocprim17ROCPRIM_400000_NS6detail17trampoline_kernelINS0_14default_configENS1_38merge_sort_block_merge_config_selectorIlNS0_10empty_typeEEEZZNS1_27merge_sort_block_merge_implIS3_PlPS5_mZN2at6native12_GLOBAL__N_124unique_dim_cuda_templateIjEESt5tupleIJNSA_6TensorESF_SF_EERKSF_lbbbEUlllE_EE10hipError_tT0_T1_T2_jT3_P12ihipStream_tbPNSt15iterator_traitsISL_E10value_typeEPNSR_ISM_E10value_typeEPSN_NS1_7vsmem_tEENKUlT_SL_SM_SN_E_clIS8_S8_S9_S9_EESK_S10_SL_SM_SN_EUlS10_E0_NS1_11comp_targetILNS1_3genE0ELNS1_11target_archE4294967295ELNS1_3gpuE0ELNS1_3repE0EEENS1_38merge_mergepath_config_static_selectorELNS0_4arch9wavefront6targetE1EEEvSM_, .Lfunc_end1510-_ZN7rocprim17ROCPRIM_400000_NS6detail17trampoline_kernelINS0_14default_configENS1_38merge_sort_block_merge_config_selectorIlNS0_10empty_typeEEEZZNS1_27merge_sort_block_merge_implIS3_PlPS5_mZN2at6native12_GLOBAL__N_124unique_dim_cuda_templateIjEESt5tupleIJNSA_6TensorESF_SF_EERKSF_lbbbEUlllE_EE10hipError_tT0_T1_T2_jT3_P12ihipStream_tbPNSt15iterator_traitsISL_E10value_typeEPNSR_ISM_E10value_typeEPSN_NS1_7vsmem_tEENKUlT_SL_SM_SN_E_clIS8_S8_S9_S9_EESK_S10_SL_SM_SN_EUlS10_E0_NS1_11comp_targetILNS1_3genE0ELNS1_11target_archE4294967295ELNS1_3gpuE0ELNS1_3repE0EEENS1_38merge_mergepath_config_static_selectorELNS0_4arch9wavefront6targetE1EEEvSM_
                                        ; -- End function
	.section	.AMDGPU.csdata,"",@progbits
; Kernel info:
; codeLenInByte = 0
; NumSgprs: 6
; NumVgprs: 0
; NumAgprs: 0
; TotalNumVgprs: 0
; ScratchSize: 0
; MemoryBound: 0
; FloatMode: 240
; IeeeMode: 1
; LDSByteSize: 0 bytes/workgroup (compile time only)
; SGPRBlocks: 0
; VGPRBlocks: 0
; NumSGPRsForWavesPerEU: 6
; NumVGPRsForWavesPerEU: 1
; AccumOffset: 4
; Occupancy: 8
; WaveLimiterHint : 0
; COMPUTE_PGM_RSRC2:SCRATCH_EN: 0
; COMPUTE_PGM_RSRC2:USER_SGPR: 2
; COMPUTE_PGM_RSRC2:TRAP_HANDLER: 0
; COMPUTE_PGM_RSRC2:TGID_X_EN: 1
; COMPUTE_PGM_RSRC2:TGID_Y_EN: 0
; COMPUTE_PGM_RSRC2:TGID_Z_EN: 0
; COMPUTE_PGM_RSRC2:TIDIG_COMP_CNT: 0
; COMPUTE_PGM_RSRC3_GFX90A:ACCUM_OFFSET: 0
; COMPUTE_PGM_RSRC3_GFX90A:TG_SPLIT: 0
	.section	.text._ZN7rocprim17ROCPRIM_400000_NS6detail17trampoline_kernelINS0_14default_configENS1_38merge_sort_block_merge_config_selectorIlNS0_10empty_typeEEEZZNS1_27merge_sort_block_merge_implIS3_PlPS5_mZN2at6native12_GLOBAL__N_124unique_dim_cuda_templateIjEESt5tupleIJNSA_6TensorESF_SF_EERKSF_lbbbEUlllE_EE10hipError_tT0_T1_T2_jT3_P12ihipStream_tbPNSt15iterator_traitsISL_E10value_typeEPNSR_ISM_E10value_typeEPSN_NS1_7vsmem_tEENKUlT_SL_SM_SN_E_clIS8_S8_S9_S9_EESK_S10_SL_SM_SN_EUlS10_E0_NS1_11comp_targetILNS1_3genE10ELNS1_11target_archE1201ELNS1_3gpuE5ELNS1_3repE0EEENS1_38merge_mergepath_config_static_selectorELNS0_4arch9wavefront6targetE1EEEvSM_,"axG",@progbits,_ZN7rocprim17ROCPRIM_400000_NS6detail17trampoline_kernelINS0_14default_configENS1_38merge_sort_block_merge_config_selectorIlNS0_10empty_typeEEEZZNS1_27merge_sort_block_merge_implIS3_PlPS5_mZN2at6native12_GLOBAL__N_124unique_dim_cuda_templateIjEESt5tupleIJNSA_6TensorESF_SF_EERKSF_lbbbEUlllE_EE10hipError_tT0_T1_T2_jT3_P12ihipStream_tbPNSt15iterator_traitsISL_E10value_typeEPNSR_ISM_E10value_typeEPSN_NS1_7vsmem_tEENKUlT_SL_SM_SN_E_clIS8_S8_S9_S9_EESK_S10_SL_SM_SN_EUlS10_E0_NS1_11comp_targetILNS1_3genE10ELNS1_11target_archE1201ELNS1_3gpuE5ELNS1_3repE0EEENS1_38merge_mergepath_config_static_selectorELNS0_4arch9wavefront6targetE1EEEvSM_,comdat
	.globl	_ZN7rocprim17ROCPRIM_400000_NS6detail17trampoline_kernelINS0_14default_configENS1_38merge_sort_block_merge_config_selectorIlNS0_10empty_typeEEEZZNS1_27merge_sort_block_merge_implIS3_PlPS5_mZN2at6native12_GLOBAL__N_124unique_dim_cuda_templateIjEESt5tupleIJNSA_6TensorESF_SF_EERKSF_lbbbEUlllE_EE10hipError_tT0_T1_T2_jT3_P12ihipStream_tbPNSt15iterator_traitsISL_E10value_typeEPNSR_ISM_E10value_typeEPSN_NS1_7vsmem_tEENKUlT_SL_SM_SN_E_clIS8_S8_S9_S9_EESK_S10_SL_SM_SN_EUlS10_E0_NS1_11comp_targetILNS1_3genE10ELNS1_11target_archE1201ELNS1_3gpuE5ELNS1_3repE0EEENS1_38merge_mergepath_config_static_selectorELNS0_4arch9wavefront6targetE1EEEvSM_ ; -- Begin function _ZN7rocprim17ROCPRIM_400000_NS6detail17trampoline_kernelINS0_14default_configENS1_38merge_sort_block_merge_config_selectorIlNS0_10empty_typeEEEZZNS1_27merge_sort_block_merge_implIS3_PlPS5_mZN2at6native12_GLOBAL__N_124unique_dim_cuda_templateIjEESt5tupleIJNSA_6TensorESF_SF_EERKSF_lbbbEUlllE_EE10hipError_tT0_T1_T2_jT3_P12ihipStream_tbPNSt15iterator_traitsISL_E10value_typeEPNSR_ISM_E10value_typeEPSN_NS1_7vsmem_tEENKUlT_SL_SM_SN_E_clIS8_S8_S9_S9_EESK_S10_SL_SM_SN_EUlS10_E0_NS1_11comp_targetILNS1_3genE10ELNS1_11target_archE1201ELNS1_3gpuE5ELNS1_3repE0EEENS1_38merge_mergepath_config_static_selectorELNS0_4arch9wavefront6targetE1EEEvSM_
	.p2align	8
	.type	_ZN7rocprim17ROCPRIM_400000_NS6detail17trampoline_kernelINS0_14default_configENS1_38merge_sort_block_merge_config_selectorIlNS0_10empty_typeEEEZZNS1_27merge_sort_block_merge_implIS3_PlPS5_mZN2at6native12_GLOBAL__N_124unique_dim_cuda_templateIjEESt5tupleIJNSA_6TensorESF_SF_EERKSF_lbbbEUlllE_EE10hipError_tT0_T1_T2_jT3_P12ihipStream_tbPNSt15iterator_traitsISL_E10value_typeEPNSR_ISM_E10value_typeEPSN_NS1_7vsmem_tEENKUlT_SL_SM_SN_E_clIS8_S8_S9_S9_EESK_S10_SL_SM_SN_EUlS10_E0_NS1_11comp_targetILNS1_3genE10ELNS1_11target_archE1201ELNS1_3gpuE5ELNS1_3repE0EEENS1_38merge_mergepath_config_static_selectorELNS0_4arch9wavefront6targetE1EEEvSM_,@function
_ZN7rocprim17ROCPRIM_400000_NS6detail17trampoline_kernelINS0_14default_configENS1_38merge_sort_block_merge_config_selectorIlNS0_10empty_typeEEEZZNS1_27merge_sort_block_merge_implIS3_PlPS5_mZN2at6native12_GLOBAL__N_124unique_dim_cuda_templateIjEESt5tupleIJNSA_6TensorESF_SF_EERKSF_lbbbEUlllE_EE10hipError_tT0_T1_T2_jT3_P12ihipStream_tbPNSt15iterator_traitsISL_E10value_typeEPNSR_ISM_E10value_typeEPSN_NS1_7vsmem_tEENKUlT_SL_SM_SN_E_clIS8_S8_S9_S9_EESK_S10_SL_SM_SN_EUlS10_E0_NS1_11comp_targetILNS1_3genE10ELNS1_11target_archE1201ELNS1_3gpuE5ELNS1_3repE0EEENS1_38merge_mergepath_config_static_selectorELNS0_4arch9wavefront6targetE1EEEvSM_: ; @_ZN7rocprim17ROCPRIM_400000_NS6detail17trampoline_kernelINS0_14default_configENS1_38merge_sort_block_merge_config_selectorIlNS0_10empty_typeEEEZZNS1_27merge_sort_block_merge_implIS3_PlPS5_mZN2at6native12_GLOBAL__N_124unique_dim_cuda_templateIjEESt5tupleIJNSA_6TensorESF_SF_EERKSF_lbbbEUlllE_EE10hipError_tT0_T1_T2_jT3_P12ihipStream_tbPNSt15iterator_traitsISL_E10value_typeEPNSR_ISM_E10value_typeEPSN_NS1_7vsmem_tEENKUlT_SL_SM_SN_E_clIS8_S8_S9_S9_EESK_S10_SL_SM_SN_EUlS10_E0_NS1_11comp_targetILNS1_3genE10ELNS1_11target_archE1201ELNS1_3gpuE5ELNS1_3repE0EEENS1_38merge_mergepath_config_static_selectorELNS0_4arch9wavefront6targetE1EEEvSM_
; %bb.0:
	.section	.rodata,"a",@progbits
	.p2align	6, 0x0
	.amdhsa_kernel _ZN7rocprim17ROCPRIM_400000_NS6detail17trampoline_kernelINS0_14default_configENS1_38merge_sort_block_merge_config_selectorIlNS0_10empty_typeEEEZZNS1_27merge_sort_block_merge_implIS3_PlPS5_mZN2at6native12_GLOBAL__N_124unique_dim_cuda_templateIjEESt5tupleIJNSA_6TensorESF_SF_EERKSF_lbbbEUlllE_EE10hipError_tT0_T1_T2_jT3_P12ihipStream_tbPNSt15iterator_traitsISL_E10value_typeEPNSR_ISM_E10value_typeEPSN_NS1_7vsmem_tEENKUlT_SL_SM_SN_E_clIS8_S8_S9_S9_EESK_S10_SL_SM_SN_EUlS10_E0_NS1_11comp_targetILNS1_3genE10ELNS1_11target_archE1201ELNS1_3gpuE5ELNS1_3repE0EEENS1_38merge_mergepath_config_static_selectorELNS0_4arch9wavefront6targetE1EEEvSM_
		.amdhsa_group_segment_fixed_size 0
		.amdhsa_private_segment_fixed_size 0
		.amdhsa_kernarg_size 88
		.amdhsa_user_sgpr_count 2
		.amdhsa_user_sgpr_dispatch_ptr 0
		.amdhsa_user_sgpr_queue_ptr 0
		.amdhsa_user_sgpr_kernarg_segment_ptr 1
		.amdhsa_user_sgpr_dispatch_id 0
		.amdhsa_user_sgpr_kernarg_preload_length 0
		.amdhsa_user_sgpr_kernarg_preload_offset 0
		.amdhsa_user_sgpr_private_segment_size 0
		.amdhsa_uses_dynamic_stack 0
		.amdhsa_enable_private_segment 0
		.amdhsa_system_sgpr_workgroup_id_x 1
		.amdhsa_system_sgpr_workgroup_id_y 0
		.amdhsa_system_sgpr_workgroup_id_z 0
		.amdhsa_system_sgpr_workgroup_info 0
		.amdhsa_system_vgpr_workitem_id 0
		.amdhsa_next_free_vgpr 1
		.amdhsa_next_free_sgpr 0
		.amdhsa_accum_offset 4
		.amdhsa_reserve_vcc 0
		.amdhsa_float_round_mode_32 0
		.amdhsa_float_round_mode_16_64 0
		.amdhsa_float_denorm_mode_32 3
		.amdhsa_float_denorm_mode_16_64 3
		.amdhsa_dx10_clamp 1
		.amdhsa_ieee_mode 1
		.amdhsa_fp16_overflow 0
		.amdhsa_tg_split 0
		.amdhsa_exception_fp_ieee_invalid_op 0
		.amdhsa_exception_fp_denorm_src 0
		.amdhsa_exception_fp_ieee_div_zero 0
		.amdhsa_exception_fp_ieee_overflow 0
		.amdhsa_exception_fp_ieee_underflow 0
		.amdhsa_exception_fp_ieee_inexact 0
		.amdhsa_exception_int_div_zero 0
	.end_amdhsa_kernel
	.section	.text._ZN7rocprim17ROCPRIM_400000_NS6detail17trampoline_kernelINS0_14default_configENS1_38merge_sort_block_merge_config_selectorIlNS0_10empty_typeEEEZZNS1_27merge_sort_block_merge_implIS3_PlPS5_mZN2at6native12_GLOBAL__N_124unique_dim_cuda_templateIjEESt5tupleIJNSA_6TensorESF_SF_EERKSF_lbbbEUlllE_EE10hipError_tT0_T1_T2_jT3_P12ihipStream_tbPNSt15iterator_traitsISL_E10value_typeEPNSR_ISM_E10value_typeEPSN_NS1_7vsmem_tEENKUlT_SL_SM_SN_E_clIS8_S8_S9_S9_EESK_S10_SL_SM_SN_EUlS10_E0_NS1_11comp_targetILNS1_3genE10ELNS1_11target_archE1201ELNS1_3gpuE5ELNS1_3repE0EEENS1_38merge_mergepath_config_static_selectorELNS0_4arch9wavefront6targetE1EEEvSM_,"axG",@progbits,_ZN7rocprim17ROCPRIM_400000_NS6detail17trampoline_kernelINS0_14default_configENS1_38merge_sort_block_merge_config_selectorIlNS0_10empty_typeEEEZZNS1_27merge_sort_block_merge_implIS3_PlPS5_mZN2at6native12_GLOBAL__N_124unique_dim_cuda_templateIjEESt5tupleIJNSA_6TensorESF_SF_EERKSF_lbbbEUlllE_EE10hipError_tT0_T1_T2_jT3_P12ihipStream_tbPNSt15iterator_traitsISL_E10value_typeEPNSR_ISM_E10value_typeEPSN_NS1_7vsmem_tEENKUlT_SL_SM_SN_E_clIS8_S8_S9_S9_EESK_S10_SL_SM_SN_EUlS10_E0_NS1_11comp_targetILNS1_3genE10ELNS1_11target_archE1201ELNS1_3gpuE5ELNS1_3repE0EEENS1_38merge_mergepath_config_static_selectorELNS0_4arch9wavefront6targetE1EEEvSM_,comdat
.Lfunc_end1511:
	.size	_ZN7rocprim17ROCPRIM_400000_NS6detail17trampoline_kernelINS0_14default_configENS1_38merge_sort_block_merge_config_selectorIlNS0_10empty_typeEEEZZNS1_27merge_sort_block_merge_implIS3_PlPS5_mZN2at6native12_GLOBAL__N_124unique_dim_cuda_templateIjEESt5tupleIJNSA_6TensorESF_SF_EERKSF_lbbbEUlllE_EE10hipError_tT0_T1_T2_jT3_P12ihipStream_tbPNSt15iterator_traitsISL_E10value_typeEPNSR_ISM_E10value_typeEPSN_NS1_7vsmem_tEENKUlT_SL_SM_SN_E_clIS8_S8_S9_S9_EESK_S10_SL_SM_SN_EUlS10_E0_NS1_11comp_targetILNS1_3genE10ELNS1_11target_archE1201ELNS1_3gpuE5ELNS1_3repE0EEENS1_38merge_mergepath_config_static_selectorELNS0_4arch9wavefront6targetE1EEEvSM_, .Lfunc_end1511-_ZN7rocprim17ROCPRIM_400000_NS6detail17trampoline_kernelINS0_14default_configENS1_38merge_sort_block_merge_config_selectorIlNS0_10empty_typeEEEZZNS1_27merge_sort_block_merge_implIS3_PlPS5_mZN2at6native12_GLOBAL__N_124unique_dim_cuda_templateIjEESt5tupleIJNSA_6TensorESF_SF_EERKSF_lbbbEUlllE_EE10hipError_tT0_T1_T2_jT3_P12ihipStream_tbPNSt15iterator_traitsISL_E10value_typeEPNSR_ISM_E10value_typeEPSN_NS1_7vsmem_tEENKUlT_SL_SM_SN_E_clIS8_S8_S9_S9_EESK_S10_SL_SM_SN_EUlS10_E0_NS1_11comp_targetILNS1_3genE10ELNS1_11target_archE1201ELNS1_3gpuE5ELNS1_3repE0EEENS1_38merge_mergepath_config_static_selectorELNS0_4arch9wavefront6targetE1EEEvSM_
                                        ; -- End function
	.section	.AMDGPU.csdata,"",@progbits
; Kernel info:
; codeLenInByte = 0
; NumSgprs: 6
; NumVgprs: 0
; NumAgprs: 0
; TotalNumVgprs: 0
; ScratchSize: 0
; MemoryBound: 0
; FloatMode: 240
; IeeeMode: 1
; LDSByteSize: 0 bytes/workgroup (compile time only)
; SGPRBlocks: 0
; VGPRBlocks: 0
; NumSGPRsForWavesPerEU: 6
; NumVGPRsForWavesPerEU: 1
; AccumOffset: 4
; Occupancy: 8
; WaveLimiterHint : 0
; COMPUTE_PGM_RSRC2:SCRATCH_EN: 0
; COMPUTE_PGM_RSRC2:USER_SGPR: 2
; COMPUTE_PGM_RSRC2:TRAP_HANDLER: 0
; COMPUTE_PGM_RSRC2:TGID_X_EN: 1
; COMPUTE_PGM_RSRC2:TGID_Y_EN: 0
; COMPUTE_PGM_RSRC2:TGID_Z_EN: 0
; COMPUTE_PGM_RSRC2:TIDIG_COMP_CNT: 0
; COMPUTE_PGM_RSRC3_GFX90A:ACCUM_OFFSET: 0
; COMPUTE_PGM_RSRC3_GFX90A:TG_SPLIT: 0
	.section	.text._ZN7rocprim17ROCPRIM_400000_NS6detail17trampoline_kernelINS0_14default_configENS1_38merge_sort_block_merge_config_selectorIlNS0_10empty_typeEEEZZNS1_27merge_sort_block_merge_implIS3_PlPS5_mZN2at6native12_GLOBAL__N_124unique_dim_cuda_templateIjEESt5tupleIJNSA_6TensorESF_SF_EERKSF_lbbbEUlllE_EE10hipError_tT0_T1_T2_jT3_P12ihipStream_tbPNSt15iterator_traitsISL_E10value_typeEPNSR_ISM_E10value_typeEPSN_NS1_7vsmem_tEENKUlT_SL_SM_SN_E_clIS8_S8_S9_S9_EESK_S10_SL_SM_SN_EUlS10_E0_NS1_11comp_targetILNS1_3genE5ELNS1_11target_archE942ELNS1_3gpuE9ELNS1_3repE0EEENS1_38merge_mergepath_config_static_selectorELNS0_4arch9wavefront6targetE1EEEvSM_,"axG",@progbits,_ZN7rocprim17ROCPRIM_400000_NS6detail17trampoline_kernelINS0_14default_configENS1_38merge_sort_block_merge_config_selectorIlNS0_10empty_typeEEEZZNS1_27merge_sort_block_merge_implIS3_PlPS5_mZN2at6native12_GLOBAL__N_124unique_dim_cuda_templateIjEESt5tupleIJNSA_6TensorESF_SF_EERKSF_lbbbEUlllE_EE10hipError_tT0_T1_T2_jT3_P12ihipStream_tbPNSt15iterator_traitsISL_E10value_typeEPNSR_ISM_E10value_typeEPSN_NS1_7vsmem_tEENKUlT_SL_SM_SN_E_clIS8_S8_S9_S9_EESK_S10_SL_SM_SN_EUlS10_E0_NS1_11comp_targetILNS1_3genE5ELNS1_11target_archE942ELNS1_3gpuE9ELNS1_3repE0EEENS1_38merge_mergepath_config_static_selectorELNS0_4arch9wavefront6targetE1EEEvSM_,comdat
	.globl	_ZN7rocprim17ROCPRIM_400000_NS6detail17trampoline_kernelINS0_14default_configENS1_38merge_sort_block_merge_config_selectorIlNS0_10empty_typeEEEZZNS1_27merge_sort_block_merge_implIS3_PlPS5_mZN2at6native12_GLOBAL__N_124unique_dim_cuda_templateIjEESt5tupleIJNSA_6TensorESF_SF_EERKSF_lbbbEUlllE_EE10hipError_tT0_T1_T2_jT3_P12ihipStream_tbPNSt15iterator_traitsISL_E10value_typeEPNSR_ISM_E10value_typeEPSN_NS1_7vsmem_tEENKUlT_SL_SM_SN_E_clIS8_S8_S9_S9_EESK_S10_SL_SM_SN_EUlS10_E0_NS1_11comp_targetILNS1_3genE5ELNS1_11target_archE942ELNS1_3gpuE9ELNS1_3repE0EEENS1_38merge_mergepath_config_static_selectorELNS0_4arch9wavefront6targetE1EEEvSM_ ; -- Begin function _ZN7rocprim17ROCPRIM_400000_NS6detail17trampoline_kernelINS0_14default_configENS1_38merge_sort_block_merge_config_selectorIlNS0_10empty_typeEEEZZNS1_27merge_sort_block_merge_implIS3_PlPS5_mZN2at6native12_GLOBAL__N_124unique_dim_cuda_templateIjEESt5tupleIJNSA_6TensorESF_SF_EERKSF_lbbbEUlllE_EE10hipError_tT0_T1_T2_jT3_P12ihipStream_tbPNSt15iterator_traitsISL_E10value_typeEPNSR_ISM_E10value_typeEPSN_NS1_7vsmem_tEENKUlT_SL_SM_SN_E_clIS8_S8_S9_S9_EESK_S10_SL_SM_SN_EUlS10_E0_NS1_11comp_targetILNS1_3genE5ELNS1_11target_archE942ELNS1_3gpuE9ELNS1_3repE0EEENS1_38merge_mergepath_config_static_selectorELNS0_4arch9wavefront6targetE1EEEvSM_
	.p2align	8
	.type	_ZN7rocprim17ROCPRIM_400000_NS6detail17trampoline_kernelINS0_14default_configENS1_38merge_sort_block_merge_config_selectorIlNS0_10empty_typeEEEZZNS1_27merge_sort_block_merge_implIS3_PlPS5_mZN2at6native12_GLOBAL__N_124unique_dim_cuda_templateIjEESt5tupleIJNSA_6TensorESF_SF_EERKSF_lbbbEUlllE_EE10hipError_tT0_T1_T2_jT3_P12ihipStream_tbPNSt15iterator_traitsISL_E10value_typeEPNSR_ISM_E10value_typeEPSN_NS1_7vsmem_tEENKUlT_SL_SM_SN_E_clIS8_S8_S9_S9_EESK_S10_SL_SM_SN_EUlS10_E0_NS1_11comp_targetILNS1_3genE5ELNS1_11target_archE942ELNS1_3gpuE9ELNS1_3repE0EEENS1_38merge_mergepath_config_static_selectorELNS0_4arch9wavefront6targetE1EEEvSM_,@function
_ZN7rocprim17ROCPRIM_400000_NS6detail17trampoline_kernelINS0_14default_configENS1_38merge_sort_block_merge_config_selectorIlNS0_10empty_typeEEEZZNS1_27merge_sort_block_merge_implIS3_PlPS5_mZN2at6native12_GLOBAL__N_124unique_dim_cuda_templateIjEESt5tupleIJNSA_6TensorESF_SF_EERKSF_lbbbEUlllE_EE10hipError_tT0_T1_T2_jT3_P12ihipStream_tbPNSt15iterator_traitsISL_E10value_typeEPNSR_ISM_E10value_typeEPSN_NS1_7vsmem_tEENKUlT_SL_SM_SN_E_clIS8_S8_S9_S9_EESK_S10_SL_SM_SN_EUlS10_E0_NS1_11comp_targetILNS1_3genE5ELNS1_11target_archE942ELNS1_3gpuE9ELNS1_3repE0EEENS1_38merge_mergepath_config_static_selectorELNS0_4arch9wavefront6targetE1EEEvSM_: ; @_ZN7rocprim17ROCPRIM_400000_NS6detail17trampoline_kernelINS0_14default_configENS1_38merge_sort_block_merge_config_selectorIlNS0_10empty_typeEEEZZNS1_27merge_sort_block_merge_implIS3_PlPS5_mZN2at6native12_GLOBAL__N_124unique_dim_cuda_templateIjEESt5tupleIJNSA_6TensorESF_SF_EERKSF_lbbbEUlllE_EE10hipError_tT0_T1_T2_jT3_P12ihipStream_tbPNSt15iterator_traitsISL_E10value_typeEPNSR_ISM_E10value_typeEPSN_NS1_7vsmem_tEENKUlT_SL_SM_SN_E_clIS8_S8_S9_S9_EESK_S10_SL_SM_SN_EUlS10_E0_NS1_11comp_targetILNS1_3genE5ELNS1_11target_archE942ELNS1_3gpuE9ELNS1_3repE0EEENS1_38merge_mergepath_config_static_selectorELNS0_4arch9wavefront6targetE1EEEvSM_
; %bb.0:
	s_load_dwordx2 s[24:25], s[0:1], 0x58
	s_load_dword s5, s[0:1], 0x38
	s_add_u32 s22, s0, 0x58
	s_addc_u32 s23, s1, 0
	s_waitcnt lgkmcnt(0)
	s_mul_i32 s4, s25, s4
	s_add_i32 s3, s4, s3
	s_mul_i32 s3, s3, s24
	s_add_i32 s20, s3, s2
	s_cmp_ge_u32 s20, s5
	s_cbranch_scc1 .LBB1512_138
; %bb.1:
	s_load_dwordx2 s[4:5], s[0:1], 0x50
	s_load_dwordx4 s[12:15], s[0:1], 0x8
	s_load_dwordx4 s[8:11], s[0:1], 0x28
	s_mov_b32 s21, 0
	s_lshl_b64 s[6:7], s[20:21], 3
	s_waitcnt lgkmcnt(0)
	s_add_u32 s4, s4, s6
	s_addc_u32 s5, s5, s7
	v_mov_b32_e32 v1, s10
	v_alignbit_b32 v1, s11, v1, 9
	v_and_b32_e32 v1, -2, v1
	v_sub_u32_e32 v1, 0, v1
	s_load_dwordx4 s[16:19], s[4:5], 0x0
	v_and_b32_e32 v2, s20, v1
	v_mov_b32_e32 v3, 0
	v_lshlrev_b64 v[6:7], 10, v[2:3]
	s_lshl_b64 s[6:7], s[20:21], 10
	v_mov_b32_e32 v5, s7
	v_sub_co_u32_e32 v4, vcc, s6, v6
	v_lshlrev_b64 v[2:3], 11, v[2:3]
	s_nop 0
	v_subb_co_u32_e32 v5, vcc, v5, v7, vcc
	v_lshl_add_u64 v[8:9], v[2:3], 0, s[10:11]
	v_lshl_add_u64 v[2:3], v[8:9], 0, v[4:5]
	s_waitcnt lgkmcnt(0)
	v_mov_b32_e32 v5, s19
	v_subrev_co_u32_e32 v4, vcc, s18, v2
	s_mov_b64 s[4:5], 0x400
	s_nop 0
	v_subb_co_u32_e32 v5, vcc, v3, v5, vcc
	v_or_b32_e32 v1, s20, v1
	v_lshl_add_u64 v[10:11], v[4:5], 0, s[4:5]
	v_cmp_ne_u32_e32 vcc, -1, v1
	v_cmp_lt_u64_e64 s[4:5], s[8:9], v[10:11]
	s_cbranch_vccz .LBB1512_3
; %bb.2:
	v_mov_b32_e32 v1, s8
	v_mov_b64_e32 v[4:5], s[18:19]
	v_cndmask_b32_e64 v6, v10, v1, s[4:5]
	s_branch .LBB1512_4
.LBB1512_3:
	v_sub_co_u32_e32 v6, vcc, v8, v6
	v_mov_b32_e32 v1, s8
	s_nop 0
	v_subb_co_u32_e32 v7, vcc, v9, v7, vcc
	v_cmp_lt_u64_e32 vcc, s[8:9], v[6:7]
	s_nop 1
	v_cndmask_b32_e32 v4, v6, v1, vcc
	v_lshl_add_u64 v[6:7], v[6:7], 0, s[10:11]
	v_cmp_lt_u64_e32 vcc, s[8:9], v[6:7]
	s_nop 1
	v_cndmask_b32_e32 v6, v6, v1, vcc
.LBB1512_4:
	s_lshr_b64 s[18:19], s[8:9], 10
	s_cmp_lg_u64 s[18:19], s[20:21]
	s_cselect_b64 s[10:11], -1, 0
	s_lshl_b64 s[4:5], s[16:17], 3
	s_add_u32 s4, s12, s4
	s_addc_u32 s5, s13, s5
	s_cmp_lt_u32 s2, s24
	v_mov_b32_e32 v19, 0
	s_cselect_b32 s2, 12, 18
	global_load_dword v5, v19, s[22:23] offset:14
	s_add_u32 s2, s22, s2
	s_addc_u32 s3, s23, 0
	global_load_ushort v7, v19, s[2:3]
	v_mov_b32_e32 v8, s17
	v_subrev_co_u32_e32 v2, vcc, s16, v2
	v_mov_b32_e32 v9, s9
	s_nop 0
	v_subb_co_u32_e32 v3, vcc, v3, v8, vcc
	v_mov_b32_e32 v10, s8
	v_cmp_lt_u64_e32 vcc, s[8:9], v[2:3]
	v_subrev_u32_e32 v1, s16, v4
	s_cmp_eq_u64 s[18:19], s[20:21]
	v_cndmask_b32_e32 v3, v3, v9, vcc
	v_cndmask_b32_e32 v2, v2, v10, vcc
	v_sub_u32_e32 v25, v6, v2
	v_lshlrev_b64 v[2:3], 3, v[2:3]
	v_lshl_add_u64 v[20:21], s[12:13], 0, v[2:3]
	v_lshlrev_b32_e32 v18, 3, v0
	s_waitcnt vmcnt(1)
	v_lshrrev_b32_e32 v2, 16, v5
	v_and_b32_e32 v3, 0xffff, v5
	v_mul_lo_u32 v2, v3, v2
	s_waitcnt vmcnt(0)
	v_mul_lo_u32 v26, v2, v7
	s_cbranch_scc1 .LBB1512_6
; %bb.5:
	v_sub_u32_e32 v4, v0, v1
	v_mov_b32_e32 v5, v19
	v_add_u32_e32 v6, v26, v0
	v_lshl_add_u64 v[2:3], s[4:5], 0, v[18:19]
	v_lshl_add_u64 v[4:5], v[4:5], 3, v[20:21]
	v_cmp_lt_u32_e32 vcc, v0, v1
	v_mov_b32_e32 v7, v19
	v_sub_u32_e32 v8, v6, v1
	v_mov_b32_e32 v9, v19
	v_cndmask_b32_e32 v3, v5, v3, vcc
	v_cndmask_b32_e32 v2, v4, v2, vcc
	v_lshl_add_u64 v[4:5], v[6:7], 3, s[4:5]
	v_lshl_add_u64 v[8:9], v[8:9], 3, v[20:21]
	v_cmp_lt_u32_e32 vcc, v6, v1
	v_mov_b32_e32 v11, v19
	v_mov_b32_e32 v13, v19
	v_cndmask_b32_e32 v4, v8, v4, vcc
	v_add_u32_e32 v8, v6, v26
	v_cndmask_b32_e32 v5, v9, v5, vcc
	v_mov_b32_e32 v9, v19
	v_sub_u32_e32 v10, v8, v1
	v_lshl_add_u64 v[6:7], v[8:9], 3, s[4:5]
	v_lshl_add_u64 v[10:11], v[10:11], 3, v[20:21]
	v_cmp_lt_u32_e32 vcc, v8, v1
	v_mov_b32_e32 v15, v19
	v_mov_b32_e32 v17, v19
	v_cndmask_b32_e32 v6, v10, v6, vcc
	v_add_u32_e32 v10, v8, v26
	v_cndmask_b32_e32 v7, v11, v7, vcc
	v_mov_b32_e32 v11, v19
	v_sub_u32_e32 v12, v10, v1
	v_lshl_add_u64 v[8:9], v[10:11], 3, s[4:5]
	v_lshl_add_u64 v[12:13], v[12:13], 3, v[20:21]
	v_cmp_lt_u32_e32 vcc, v10, v1
	v_mov_b32_e32 v23, v19
	v_mov_b32_e32 v29, v19
	v_cndmask_b32_e32 v8, v12, v8, vcc
	v_add_u32_e32 v12, v10, v26
	v_cndmask_b32_e32 v9, v13, v9, vcc
	v_mov_b32_e32 v13, v19
	v_sub_u32_e32 v14, v12, v1
	v_lshl_add_u64 v[10:11], v[12:13], 3, s[4:5]
	v_lshl_add_u64 v[14:15], v[14:15], 3, v[20:21]
	v_cmp_lt_u32_e32 vcc, v12, v1
	global_load_dwordx2 v[2:3], v[2:3], off
	v_add_u32_e32 v24, v1, v25
	v_cndmask_b32_e32 v10, v14, v10, vcc
	v_add_u32_e32 v14, v12, v26
	v_cndmask_b32_e32 v11, v15, v11, vcc
	v_mov_b32_e32 v15, v19
	v_sub_u32_e32 v16, v14, v1
	v_lshl_add_u64 v[12:13], v[14:15], 3, s[4:5]
	v_lshl_add_u64 v[16:17], v[16:17], 3, v[20:21]
	v_cmp_lt_u32_e32 vcc, v14, v1
	global_load_dwordx2 v[4:5], v[4:5], off
	s_nop 0
	v_cndmask_b32_e32 v13, v17, v13, vcc
	v_cndmask_b32_e32 v12, v16, v12, vcc
	v_add_u32_e32 v16, v14, v26
	v_mov_b32_e32 v17, v19
	v_lshl_add_u64 v[14:15], v[16:17], 3, s[4:5]
	v_sub_u32_e32 v22, v16, v1
	v_cmp_lt_u32_e32 vcc, v16, v1
	v_add_u32_e32 v16, v16, v26
	v_lshl_add_u64 v[22:23], v[22:23], 3, v[20:21]
	v_sub_u32_e32 v28, v16, v1
	v_cndmask_b32_e32 v15, v23, v15, vcc
	v_cndmask_b32_e32 v14, v22, v14, vcc
	v_lshl_add_u64 v[22:23], v[16:17], 3, s[4:5]
	v_lshl_add_u64 v[28:29], v[28:29], 3, v[20:21]
	v_cmp_lt_u32_e32 vcc, v16, v1
	global_load_dwordx2 v[6:7], v[6:7], off
	s_nop 0
	v_cndmask_b32_e32 v17, v29, v23, vcc
	v_cndmask_b32_e32 v16, v28, v22, vcc
	global_load_dwordx2 v[8:9], v[8:9], off
	s_nop 0
	global_load_dwordx2 v[10:11], v[10:11], off
	s_nop 0
	;; [unrolled: 2-line block ×4, first 2 shown]
	global_load_dwordx2 v[16:17], v[16:17], off
	s_cbranch_execz .LBB1512_7
	s_branch .LBB1512_24
.LBB1512_6:
                                        ; implicit-def: $vgpr2_vgpr3_vgpr4_vgpr5_vgpr6_vgpr7_vgpr8_vgpr9_vgpr10_vgpr11_vgpr12_vgpr13_vgpr14_vgpr15_vgpr16_vgpr17
                                        ; implicit-def: $vgpr24
.LBB1512_7:
	v_add_u32_e32 v24, v1, v25
	v_cmp_lt_u32_e32 vcc, v0, v24
                                        ; implicit-def: $vgpr2_vgpr3_vgpr4_vgpr5_vgpr6_vgpr7_vgpr8_vgpr9_vgpr10_vgpr11_vgpr12_vgpr13_vgpr14_vgpr15_vgpr16_vgpr17
	s_and_saveexec_b64 s[2:3], vcc
	s_cbranch_execz .LBB1512_9
; %bb.8:
	v_mov_b32_e32 v19, 0
	s_waitcnt vmcnt(6)
	v_sub_u32_e32 v4, v0, v1
	v_mov_b32_e32 v5, v19
	v_lshl_add_u64 v[2:3], s[4:5], 0, v[18:19]
	v_lshl_add_u64 v[4:5], v[4:5], 3, v[20:21]
	v_cmp_lt_u32_e32 vcc, v0, v1
	s_nop 1
	v_cndmask_b32_e32 v3, v5, v3, vcc
	v_cndmask_b32_e32 v2, v4, v2, vcc
	global_load_dwordx2 v[2:3], v[2:3], off
.LBB1512_9:
	s_or_b64 exec, exec, s[2:3]
	v_add_u32_e32 v22, v26, v0
	v_cmp_lt_u32_e32 vcc, v22, v24
	s_and_saveexec_b64 s[2:3], vcc
	s_cbranch_execz .LBB1512_11
; %bb.10:
	v_mov_b32_e32 v23, 0
	v_sub_u32_e32 v28, v22, v1
	v_mov_b32_e32 v29, v23
	s_waitcnt vmcnt(6)
	v_lshl_add_u64 v[4:5], v[22:23], 3, s[4:5]
	v_lshl_add_u64 v[28:29], v[28:29], 3, v[20:21]
	v_cmp_lt_u32_e32 vcc, v22, v1
	s_nop 1
	v_cndmask_b32_e32 v5, v29, v5, vcc
	v_cndmask_b32_e32 v4, v28, v4, vcc
	global_load_dwordx2 v[4:5], v[4:5], off
.LBB1512_11:
	s_or_b64 exec, exec, s[2:3]
	v_add_u32_e32 v22, v22, v26
	v_cmp_lt_u32_e32 vcc, v22, v24
	s_and_saveexec_b64 s[2:3], vcc
	s_cbranch_execz .LBB1512_13
; %bb.12:
	v_mov_b32_e32 v23, 0
	v_sub_u32_e32 v28, v22, v1
	v_mov_b32_e32 v29, v23
	s_waitcnt vmcnt(5)
	v_lshl_add_u64 v[6:7], v[22:23], 3, s[4:5]
	v_lshl_add_u64 v[28:29], v[28:29], 3, v[20:21]
	v_cmp_lt_u32_e32 vcc, v22, v1
	s_nop 1
	v_cndmask_b32_e32 v7, v29, v7, vcc
	v_cndmask_b32_e32 v6, v28, v6, vcc
	global_load_dwordx2 v[6:7], v[6:7], off
.LBB1512_13:
	;; [unrolled: 18-line block ×6, first 2 shown]
	s_or_b64 exec, exec, s[2:3]
	v_add_u32_e32 v22, v22, v26
	v_cmp_lt_u32_e32 vcc, v22, v24
	s_and_saveexec_b64 s[2:3], vcc
	s_cbranch_execz .LBB1512_23
; %bb.22:
	v_mov_b32_e32 v23, 0
	s_waitcnt vmcnt(0)
	v_lshl_add_u64 v[16:17], v[22:23], 3, s[4:5]
	v_cmp_lt_u32_e32 vcc, v22, v1
	v_sub_u32_e32 v22, v22, v1
	v_lshl_add_u64 v[20:21], v[22:23], 3, v[20:21]
	v_cndmask_b32_e32 v17, v21, v17, vcc
	v_cndmask_b32_e32 v16, v20, v16, vcc
	global_load_dwordx2 v[16:17], v[16:17], off
.LBB1512_23:
	s_or_b64 exec, exec, s[2:3]
.LBB1512_24:
	s_load_dwordx4 s[16:19], s[0:1], 0x40
	v_min_u32_e32 v19, v24, v18
	v_sub_u32_e64 v25, v19, v25 clamp
	v_min_u32_e32 v26, v19, v1
	v_cmp_lt_u32_e32 vcc, v25, v26
	s_waitcnt vmcnt(0)
	ds_write2st64_b64 v18, v[2:3], v[4:5] offset1:2
	ds_write2st64_b64 v18, v[6:7], v[8:9] offset0:4 offset1:6
	ds_write2st64_b64 v18, v[10:11], v[12:13] offset0:8 offset1:10
	;; [unrolled: 1-line block ×3, first 2 shown]
	s_waitcnt lgkmcnt(0)
	s_barrier
	s_and_saveexec_b64 s[12:13], vcc
	s_cbranch_execz .LBB1512_34
; %bb.25:
	v_lshlrev_b32_e32 v20, 3, v19
	v_cmp_gt_i64_e64 s[0:1], s[16:17], 0
	v_lshl_add_u32 v27, v1, 3, v20
	s_mov_b64 s[20:21], 0
	v_cndmask_b32_e64 v20, 0, 1, s[0:1]
	s_lshl_b64 s[22:23], s[16:17], 2
	v_cmp_ne_u32_e64 s[0:1], 1, v20
	s_branch .LBB1512_28
.LBB1512_26:                            ;   in Loop: Header=BB1512_28 Depth=1
	s_or_b64 exec, exec, s[26:27]
.LBB1512_27:                            ;   in Loop: Header=BB1512_28 Depth=1
	v_add_u32_e32 v20, 1, v28
	v_cndmask_b32_e64 v26, v26, v28, s[24:25]
	v_cndmask_b32_e64 v25, v20, v25, s[24:25]
	v_cmp_ge_u32_e32 vcc, v25, v26
	s_or_b64 s[20:21], vcc, s[20:21]
	s_andn2_b64 exec, exec, s[20:21]
	s_cbranch_execz .LBB1512_33
.LBB1512_28:                            ; =>This Loop Header: Depth=1
                                        ;     Child Loop BB1512_31 Depth 2
	v_add_u32_e32 v20, v26, v25
	v_lshrrev_b32_e32 v28, 1, v20
	s_and_b64 vcc, exec, s[0:1]
	s_mov_b64 s[24:25], 0
	s_cbranch_vccnz .LBB1512_27
; %bb.29:                               ;   in Loop: Header=BB1512_28 Depth=1
	v_not_b32_e32 v20, v28
	v_lshl_add_u32 v20, v20, 3, v27
	ds_read_b64 v[20:21], v20
	v_lshlrev_b32_e32 v29, 3, v28
	ds_read_b64 v[30:31], v29
	v_mov_b64_e32 v[22:23], s[18:19]
	s_mov_b64 s[26:27], 0
	s_waitcnt lgkmcnt(1)
	v_mul_lo_u32 v29, s22, v21
	v_mul_lo_u32 v32, s23, v20
	v_mad_u64_u32 v[20:21], s[2:3], s22, v20, v[22:23]
	v_add3_u32 v21, v32, v21, v29
	s_waitcnt lgkmcnt(0)
	v_mul_lo_u32 v29, s22, v31
	v_mul_lo_u32 v31, s23, v30
	v_mad_u64_u32 v[22:23], s[2:3], s22, v30, v[22:23]
	v_add3_u32 v23, v31, v23, v29
	s_mov_b64 s[34:35], s[16:17]
                                        ; implicit-def: $sgpr24_sgpr25
                                        ; implicit-def: $sgpr28_sgpr29
                                        ; implicit-def: $sgpr30_sgpr31
                                        ; implicit-def: $sgpr2_sgpr3
                                        ; implicit-def: $sgpr36_sgpr37
	s_branch .LBB1512_31
.LBB1512_30:                            ;   in Loop: Header=BB1512_31 Depth=2
	s_or_b64 exec, exec, s[38:39]
	s_and_b64 s[4:5], exec, s[28:29]
	s_or_b64 s[26:27], s[4:5], s[26:27]
	s_andn2_b64 s[4:5], s[36:37], exec
	s_and_b64 s[36:37], s[30:31], exec
	s_or_b64 s[36:37], s[4:5], s[36:37]
	s_andn2_b64 s[4:5], s[24:25], exec
	s_and_b64 s[24:25], s[2:3], exec
	s_or_b64 s[24:25], s[4:5], s[24:25]
	s_andn2_b64 exec, exec, s[26:27]
	s_cbranch_execz .LBB1512_26
.LBB1512_31:                            ;   Parent Loop BB1512_28 Depth=1
                                        ; =>  This Inner Loop Header: Depth=2
	global_load_dword v29, v[20:21], off
	global_load_dword v30, v[22:23], off
	s_andn2_b64 s[38:39], s[2:3], exec
	s_andn2_b64 s[30:31], s[30:31], exec
	s_or_b64 s[28:29], s[28:29], exec
	s_waitcnt vmcnt(0)
	v_cmp_le_u32_e64 s[2:3], v29, v30
	v_cmp_lt_u32_e32 vcc, v29, v30
	s_and_b64 s[2:3], s[2:3], s[36:37]
	s_or_b64 s[40:41], vcc, s[2:3]
	s_and_b64 s[2:3], s[40:41], exec
	v_cmp_eq_u32_e64 s[4:5], v29, v30
	s_or_b64 s[2:3], s[38:39], s[2:3]
	s_and_saveexec_b64 s[38:39], s[4:5]
	s_cbranch_execz .LBB1512_30
; %bb.32:                               ;   in Loop: Header=BB1512_31 Depth=2
	s_add_u32 s34, s34, -1
	s_addc_u32 s35, s35, -1
	s_cmp_eq_u64 s[34:35], 0
	s_cselect_b64 s[4:5], -1, 0
	s_andn2_b64 s[30:31], s[30:31], exec
	s_and_b64 s[36:37], s[40:41], exec
	s_andn2_b64 s[28:29], s[28:29], exec
	s_and_b64 s[4:5], s[4:5], exec
	v_lshl_add_u64 v[20:21], v[20:21], 0, 4
	v_lshl_add_u64 v[22:23], v[22:23], 0, 4
	s_andn2_b64 s[2:3], s[2:3], exec
	s_or_b64 s[30:31], s[30:31], s[36:37]
	s_or_b64 s[28:29], s[28:29], s[4:5]
                                        ; implicit-def: $sgpr36_sgpr37
	s_branch .LBB1512_30
.LBB1512_33:
	s_or_b64 exec, exec, s[20:21]
.LBB1512_34:
	s_or_b64 exec, exec, s[12:13]
	v_sub_u32_e32 v19, v19, v25
	v_add_u32_e32 v21, v19, v1
	v_cmp_le_u32_e32 vcc, v25, v1
	v_cmp_le_u32_e64 s[0:1], v21, v24
	s_or_b64 s[0:1], vcc, s[0:1]
	s_and_saveexec_b64 s[4:5], s[0:1]
	s_cbranch_execz .LBB1512_124
; %bb.35:
	v_cmp_ge_u32_e32 vcc, v25, v1
	v_cmp_lt_u32_e64 s[0:1], v25, v1
                                        ; implicit-def: $vgpr2_vgpr3
	s_and_saveexec_b64 s[2:3], s[0:1]
	s_cbranch_execz .LBB1512_37
; %bb.36:
	v_lshlrev_b32_e32 v2, 3, v25
	ds_read_b64 v[2:3], v2
.LBB1512_37:
	s_or_b64 exec, exec, s[2:3]
	v_cmp_ge_u32_e64 s[20:21], v21, v24
	v_cmp_lt_u32_e64 s[0:1], v21, v24
                                        ; implicit-def: $vgpr14_vgpr15
	s_and_saveexec_b64 s[2:3], s[0:1]
	s_cbranch_execz .LBB1512_39
; %bb.38:
	v_lshlrev_b32_e32 v4, 3, v21
	ds_read_b64 v[14:15], v4
.LBB1512_39:
	s_or_b64 exec, exec, s[2:3]
	s_or_b64 s[0:1], vcc, s[20:21]
	s_mov_b64 s[24:25], 0
	v_cmp_gt_i64_e64 s[12:13], s[16:17], 0
	s_xor_b64 s[0:1], s[0:1], -1
	s_and_saveexec_b64 s[22:23], s[0:1]
	s_cbranch_execz .LBB1512_47
; %bb.40:
	s_andn2_b64 vcc, exec, s[12:13]
	s_cbranch_vccnz .LBB1512_46
; %bb.41:
	s_waitcnt lgkmcnt(0)
	v_mul_lo_u32 v6, v15, s16
	v_mul_lo_u32 v7, v14, s17
	v_mad_u64_u32 v[4:5], s[0:1], v14, s16, 0
	v_add3_u32 v5, v5, v7, v6
	v_mul_lo_u32 v8, v3, s16
	v_mul_lo_u32 v9, v2, s17
	v_mad_u64_u32 v[6:7], s[0:1], v2, s16, 0
	v_add3_u32 v7, v7, v9, v8
	v_lshl_add_u64 v[4:5], v[4:5], 2, s[18:19]
	v_lshl_add_u64 v[6:7], v[6:7], 2, s[18:19]
	s_mov_b64 s[26:27], 0
	s_mov_b64 s[34:35], s[16:17]
                                        ; implicit-def: $sgpr24_sgpr25
                                        ; implicit-def: $sgpr28_sgpr29
                                        ; implicit-def: $sgpr30_sgpr31
                                        ; implicit-def: $sgpr0_sgpr1
                                        ; implicit-def: $sgpr36_sgpr37
	s_branch .LBB1512_43
.LBB1512_42:                            ;   in Loop: Header=BB1512_43 Depth=1
	s_or_b64 exec, exec, s[38:39]
	s_and_b64 s[2:3], exec, s[28:29]
	s_or_b64 s[26:27], s[2:3], s[26:27]
	s_andn2_b64 s[2:3], s[36:37], exec
	s_and_b64 s[36:37], s[30:31], exec
	s_or_b64 s[36:37], s[2:3], s[36:37]
	s_andn2_b64 s[2:3], s[24:25], exec
	s_and_b64 s[24:25], s[0:1], exec
	s_or_b64 s[24:25], s[2:3], s[24:25]
	s_andn2_b64 exec, exec, s[26:27]
	s_cbranch_execz .LBB1512_45
.LBB1512_43:                            ; =>This Inner Loop Header: Depth=1
	global_load_dword v8, v[4:5], off
	global_load_dword v9, v[6:7], off
	s_andn2_b64 s[38:39], s[0:1], exec
	s_andn2_b64 s[30:31], s[30:31], exec
	s_or_b64 s[28:29], s[28:29], exec
	s_waitcnt vmcnt(0)
	v_cmp_le_u32_e64 s[0:1], v8, v9
	v_cmp_lt_u32_e32 vcc, v8, v9
	s_and_b64 s[0:1], s[0:1], s[36:37]
	s_or_b64 s[40:41], vcc, s[0:1]
	s_and_b64 s[0:1], s[40:41], exec
	v_cmp_eq_u32_e64 s[2:3], v8, v9
	s_or_b64 s[0:1], s[38:39], s[0:1]
	s_and_saveexec_b64 s[38:39], s[2:3]
	s_cbranch_execz .LBB1512_42
; %bb.44:                               ;   in Loop: Header=BB1512_43 Depth=1
	s_add_u32 s34, s34, -1
	s_addc_u32 s35, s35, -1
	s_cmp_eq_u64 s[34:35], 0
	s_cselect_b64 s[2:3], -1, 0
	s_andn2_b64 s[30:31], s[30:31], exec
	s_and_b64 s[36:37], s[40:41], exec
	s_andn2_b64 s[28:29], s[28:29], exec
	s_and_b64 s[2:3], s[2:3], exec
	v_lshl_add_u64 v[4:5], v[4:5], 0, 4
	v_lshl_add_u64 v[6:7], v[6:7], 0, 4
	s_andn2_b64 s[0:1], s[0:1], exec
	s_or_b64 s[30:31], s[30:31], s[36:37]
	s_or_b64 s[28:29], s[28:29], s[2:3]
                                        ; implicit-def: $sgpr36_sgpr37
	s_branch .LBB1512_42
.LBB1512_45:
	s_or_b64 exec, exec, s[26:27]
.LBB1512_46:
	s_xor_b64 s[0:1], s[24:25], -1
	s_andn2_b64 s[2:3], s[20:21], exec
	s_and_b64 s[0:1], s[0:1], exec
	s_or_b64 s[20:21], s[2:3], s[0:1]
.LBB1512_47:
	s_or_b64 exec, exec, s[22:23]
	v_cndmask_b32_e64 v4, v21, v25, s[20:21]
	v_cndmask_b32_e64 v5, v24, v1, s[20:21]
	v_add_u32_e32 v6, 1, v4
	v_add_u32_e32 v4, -1, v5
	v_min_u32_e32 v4, v6, v4
	v_lshlrev_b32_e32 v4, 3, v4
	ds_read_b64 v[4:5], v4
	v_cndmask_b32_e64 v8, v6, v21, s[20:21]
	v_cndmask_b32_e64 v9, v25, v6, s[20:21]
	v_cmp_lt_u32_e32 vcc, v8, v24
	s_mov_b64 s[24:25], -1
	s_waitcnt lgkmcnt(0)
	v_cndmask_b32_e64 v16, v5, v15, s[20:21]
	v_cndmask_b32_e64 v17, v4, v14, s[20:21]
	v_cndmask_b32_e64 v19, v3, v5, s[20:21]
	v_cndmask_b32_e64 v20, v2, v4, s[20:21]
	s_mov_b64 s[22:23], -1
	s_and_saveexec_b64 s[26:27], vcc
	s_cbranch_execz .LBB1512_58
; %bb.48:
	v_cmp_lt_u32_e32 vcc, v9, v1
	s_mov_b64 s[0:1], 0
	s_and_saveexec_b64 s[22:23], vcc
	s_cbranch_execz .LBB1512_57
; %bb.49:
	s_andn2_b64 vcc, exec, s[12:13]
	s_cbranch_vccnz .LBB1512_55
; %bb.50:
	v_mul_lo_u32 v6, v16, s16
	v_mul_lo_u32 v7, v17, s17
	v_mad_u64_u32 v[4:5], s[0:1], v17, s16, 0
	v_add3_u32 v5, v5, v7, v6
	v_mul_lo_u32 v10, v19, s16
	v_mul_lo_u32 v11, v20, s17
	v_mad_u64_u32 v[6:7], s[0:1], v20, s16, 0
	v_add3_u32 v7, v7, v11, v10
	v_lshl_add_u64 v[4:5], v[4:5], 2, s[18:19]
	v_lshl_add_u64 v[6:7], v[6:7], 2, s[18:19]
	s_mov_b64 s[30:31], 0
	s_mov_b64 s[38:39], s[16:17]
                                        ; implicit-def: $sgpr28_sgpr29
                                        ; implicit-def: $sgpr34_sgpr35
                                        ; implicit-def: $sgpr36_sgpr37
                                        ; implicit-def: $sgpr0_sgpr1
                                        ; implicit-def: $sgpr40_sgpr41
	s_branch .LBB1512_52
.LBB1512_51:                            ;   in Loop: Header=BB1512_52 Depth=1
	s_or_b64 exec, exec, s[42:43]
	s_and_b64 s[2:3], exec, s[34:35]
	s_or_b64 s[30:31], s[2:3], s[30:31]
	s_andn2_b64 s[2:3], s[40:41], exec
	s_and_b64 s[40:41], s[36:37], exec
	s_or_b64 s[40:41], s[2:3], s[40:41]
	s_andn2_b64 s[2:3], s[28:29], exec
	s_and_b64 s[28:29], s[0:1], exec
	s_or_b64 s[28:29], s[2:3], s[28:29]
	s_andn2_b64 exec, exec, s[30:31]
	s_cbranch_execz .LBB1512_54
.LBB1512_52:                            ; =>This Inner Loop Header: Depth=1
	global_load_dword v10, v[4:5], off
	global_load_dword v11, v[6:7], off
	s_andn2_b64 s[42:43], s[0:1], exec
	s_andn2_b64 s[36:37], s[36:37], exec
	s_or_b64 s[34:35], s[34:35], exec
	s_waitcnt vmcnt(0)
	v_cmp_le_u32_e64 s[0:1], v10, v11
	v_cmp_lt_u32_e32 vcc, v10, v11
	s_and_b64 s[0:1], s[0:1], s[40:41]
	s_or_b64 s[44:45], vcc, s[0:1]
	s_and_b64 s[0:1], s[44:45], exec
	v_cmp_eq_u32_e64 s[2:3], v10, v11
	s_or_b64 s[0:1], s[42:43], s[0:1]
	s_and_saveexec_b64 s[42:43], s[2:3]
	s_cbranch_execz .LBB1512_51
; %bb.53:                               ;   in Loop: Header=BB1512_52 Depth=1
	s_add_u32 s38, s38, -1
	s_addc_u32 s39, s39, -1
	s_cmp_eq_u64 s[38:39], 0
	s_cselect_b64 s[2:3], -1, 0
	s_andn2_b64 s[36:37], s[36:37], exec
	s_and_b64 s[40:41], s[44:45], exec
	s_andn2_b64 s[34:35], s[34:35], exec
	s_and_b64 s[2:3], s[2:3], exec
	v_lshl_add_u64 v[4:5], v[4:5], 0, 4
	v_lshl_add_u64 v[6:7], v[6:7], 0, 4
	s_andn2_b64 s[0:1], s[0:1], exec
	s_or_b64 s[36:37], s[36:37], s[40:41]
	s_or_b64 s[34:35], s[34:35], s[2:3]
                                        ; implicit-def: $sgpr40_sgpr41
	s_branch .LBB1512_51
.LBB1512_54:
	s_or_b64 exec, exec, s[30:31]
	s_branch .LBB1512_56
.LBB1512_55:
	s_mov_b64 s[28:29], 0
.LBB1512_56:
	s_xor_b64 s[0:1], s[28:29], -1
	s_and_b64 s[0:1], s[0:1], exec
.LBB1512_57:
	s_or_b64 exec, exec, s[22:23]
	s_orn2_b64 s[22:23], s[0:1], exec
.LBB1512_58:
	s_or_b64 exec, exec, s[26:27]
	v_cndmask_b32_e64 v4, v8, v9, s[22:23]
	v_cndmask_b32_e64 v5, v24, v1, s[22:23]
	v_add_u32_e32 v6, 1, v4
	v_add_u32_e32 v4, -1, v5
	v_min_u32_e32 v4, v6, v4
	v_lshlrev_b32_e32 v4, 3, v4
	ds_read_b64 v[4:5], v4
	v_cndmask_b32_e64 v10, v6, v8, s[22:23]
	v_cndmask_b32_e64 v11, v9, v6, s[22:23]
	v_cmp_lt_u32_e32 vcc, v10, v24
	s_waitcnt lgkmcnt(0)
	v_cndmask_b32_e64 v21, v5, v16, s[22:23]
	v_cndmask_b32_e64 v22, v4, v17, s[22:23]
	;; [unrolled: 1-line block ×4, first 2 shown]
	s_and_saveexec_b64 s[26:27], vcc
	s_cbranch_execz .LBB1512_69
; %bb.59:
	v_cmp_lt_u32_e32 vcc, v11, v1
	s_mov_b64 s[0:1], 0
	s_and_saveexec_b64 s[24:25], vcc
	s_cbranch_execz .LBB1512_68
; %bb.60:
	s_andn2_b64 vcc, exec, s[12:13]
	s_cbranch_vccnz .LBB1512_66
; %bb.61:
	v_mul_lo_u32 v6, v21, s16
	v_mul_lo_u32 v7, v22, s17
	v_mad_u64_u32 v[4:5], s[0:1], v22, s16, 0
	v_add3_u32 v5, v5, v7, v6
	v_mul_lo_u32 v8, v23, s16
	v_mul_lo_u32 v9, v25, s17
	v_mad_u64_u32 v[6:7], s[0:1], v25, s16, 0
	v_add3_u32 v7, v7, v9, v8
	v_lshl_add_u64 v[4:5], v[4:5], 2, s[18:19]
	v_lshl_add_u64 v[6:7], v[6:7], 2, s[18:19]
	s_mov_b64 s[30:31], 0
	s_mov_b64 s[38:39], s[16:17]
                                        ; implicit-def: $sgpr28_sgpr29
                                        ; implicit-def: $sgpr34_sgpr35
                                        ; implicit-def: $sgpr36_sgpr37
                                        ; implicit-def: $sgpr0_sgpr1
                                        ; implicit-def: $sgpr40_sgpr41
	s_branch .LBB1512_63
.LBB1512_62:                            ;   in Loop: Header=BB1512_63 Depth=1
	s_or_b64 exec, exec, s[42:43]
	s_and_b64 s[2:3], exec, s[34:35]
	s_or_b64 s[30:31], s[2:3], s[30:31]
	s_andn2_b64 s[2:3], s[40:41], exec
	s_and_b64 s[40:41], s[36:37], exec
	s_or_b64 s[40:41], s[2:3], s[40:41]
	s_andn2_b64 s[2:3], s[28:29], exec
	s_and_b64 s[28:29], s[0:1], exec
	s_or_b64 s[28:29], s[2:3], s[28:29]
	s_andn2_b64 exec, exec, s[30:31]
	s_cbranch_execz .LBB1512_65
.LBB1512_63:                            ; =>This Inner Loop Header: Depth=1
	global_load_dword v8, v[4:5], off
	global_load_dword v9, v[6:7], off
	s_andn2_b64 s[42:43], s[0:1], exec
	s_andn2_b64 s[36:37], s[36:37], exec
	s_or_b64 s[34:35], s[34:35], exec
	s_waitcnt vmcnt(0)
	v_cmp_le_u32_e64 s[0:1], v8, v9
	v_cmp_lt_u32_e32 vcc, v8, v9
	s_and_b64 s[0:1], s[0:1], s[40:41]
	s_or_b64 s[44:45], vcc, s[0:1]
	s_and_b64 s[0:1], s[44:45], exec
	v_cmp_eq_u32_e64 s[2:3], v8, v9
	s_or_b64 s[0:1], s[42:43], s[0:1]
	s_and_saveexec_b64 s[42:43], s[2:3]
	s_cbranch_execz .LBB1512_62
; %bb.64:                               ;   in Loop: Header=BB1512_63 Depth=1
	s_add_u32 s38, s38, -1
	s_addc_u32 s39, s39, -1
	s_cmp_eq_u64 s[38:39], 0
	s_cselect_b64 s[2:3], -1, 0
	s_andn2_b64 s[36:37], s[36:37], exec
	s_and_b64 s[40:41], s[44:45], exec
	s_andn2_b64 s[34:35], s[34:35], exec
	s_and_b64 s[2:3], s[2:3], exec
	v_lshl_add_u64 v[4:5], v[4:5], 0, 4
	v_lshl_add_u64 v[6:7], v[6:7], 0, 4
	s_andn2_b64 s[0:1], s[0:1], exec
	s_or_b64 s[36:37], s[36:37], s[40:41]
	s_or_b64 s[34:35], s[34:35], s[2:3]
                                        ; implicit-def: $sgpr40_sgpr41
	s_branch .LBB1512_62
.LBB1512_65:
	s_or_b64 exec, exec, s[30:31]
	s_branch .LBB1512_67
.LBB1512_66:
	s_mov_b64 s[28:29], 0
.LBB1512_67:
	s_xor_b64 s[0:1], s[28:29], -1
	s_and_b64 s[0:1], s[0:1], exec
.LBB1512_68:
	s_or_b64 exec, exec, s[24:25]
	s_orn2_b64 s[24:25], s[0:1], exec
.LBB1512_69:
	s_or_b64 exec, exec, s[26:27]
	v_cndmask_b32_e64 v4, v10, v11, s[24:25]
	v_cndmask_b32_e64 v5, v24, v1, s[24:25]
	v_add_u32_e32 v6, 1, v4
	v_add_u32_e32 v4, -1, v5
	v_min_u32_e32 v4, v6, v4
	v_lshlrev_b32_e32 v4, 3, v4
	ds_read_b64 v[4:5], v4
	v_cndmask_b32_e64 v12, v6, v10, s[24:25]
	v_cndmask_b32_e64 v13, v11, v6, s[24:25]
	v_cmp_lt_u32_e32 vcc, v12, v24
	s_mov_b64 s[28:29], -1
	s_waitcnt lgkmcnt(0)
	v_cndmask_b32_e64 v8, v5, v21, s[24:25]
	v_cndmask_b32_e64 v26, v4, v22, s[24:25]
	;; [unrolled: 1-line block ×4, first 2 shown]
	s_mov_b64 s[26:27], -1
	s_and_saveexec_b64 s[30:31], vcc
	s_cbranch_execz .LBB1512_80
; %bb.70:
	v_cmp_lt_u32_e32 vcc, v13, v1
	s_mov_b64 s[0:1], 0
	s_and_saveexec_b64 s[26:27], vcc
	s_cbranch_execz .LBB1512_79
; %bb.71:
	s_andn2_b64 vcc, exec, s[12:13]
	s_cbranch_vccnz .LBB1512_77
; %bb.72:
	v_mul_lo_u32 v6, v8, s16
	v_mul_lo_u32 v7, v26, s17
	v_mad_u64_u32 v[4:5], s[0:1], v26, s16, 0
	v_add3_u32 v5, v5, v7, v6
	v_mul_lo_u32 v10, v9, s16
	v_mul_lo_u32 v11, v27, s17
	v_mad_u64_u32 v[6:7], s[0:1], v27, s16, 0
	v_add3_u32 v7, v7, v11, v10
	v_lshl_add_u64 v[4:5], v[4:5], 2, s[18:19]
	v_lshl_add_u64 v[6:7], v[6:7], 2, s[18:19]
	s_mov_b64 s[34:35], 0
	s_mov_b64 s[42:43], s[16:17]
                                        ; implicit-def: $sgpr36_sgpr37
                                        ; implicit-def: $sgpr38_sgpr39
                                        ; implicit-def: $sgpr0_sgpr1
                                        ; implicit-def: $sgpr40_sgpr41
                                        ; implicit-def: $sgpr44_sgpr45
	s_branch .LBB1512_74
.LBB1512_73:                            ;   in Loop: Header=BB1512_74 Depth=1
	s_or_b64 exec, exec, s[46:47]
	s_and_b64 s[2:3], exec, s[38:39]
	s_or_b64 s[34:35], s[2:3], s[34:35]
	s_andn2_b64 s[2:3], s[44:45], exec
	s_and_b64 s[44:45], s[40:41], exec
	s_or_b64 s[44:45], s[2:3], s[44:45]
	s_andn2_b64 s[2:3], s[36:37], exec
	s_and_b64 s[36:37], s[0:1], exec
	s_or_b64 s[36:37], s[2:3], s[36:37]
	s_andn2_b64 exec, exec, s[34:35]
	s_cbranch_execz .LBB1512_76
.LBB1512_74:                            ; =>This Inner Loop Header: Depth=1
	global_load_dword v10, v[4:5], off
	global_load_dword v11, v[6:7], off
	s_andn2_b64 s[46:47], s[0:1], exec
	s_andn2_b64 s[40:41], s[40:41], exec
	s_or_b64 s[38:39], s[38:39], exec
	s_waitcnt vmcnt(0)
	v_cmp_le_u32_e64 s[0:1], v10, v11
	v_cmp_lt_u32_e32 vcc, v10, v11
	s_and_b64 s[0:1], s[0:1], s[44:45]
	s_or_b64 s[48:49], vcc, s[0:1]
	s_and_b64 s[0:1], s[48:49], exec
	v_cmp_eq_u32_e64 s[2:3], v10, v11
	s_or_b64 s[0:1], s[46:47], s[0:1]
	s_and_saveexec_b64 s[46:47], s[2:3]
	s_cbranch_execz .LBB1512_73
; %bb.75:                               ;   in Loop: Header=BB1512_74 Depth=1
	s_add_u32 s42, s42, -1
	s_addc_u32 s43, s43, -1
	s_cmp_eq_u64 s[42:43], 0
	s_cselect_b64 s[2:3], -1, 0
	s_andn2_b64 s[40:41], s[40:41], exec
	s_and_b64 s[44:45], s[48:49], exec
	s_andn2_b64 s[38:39], s[38:39], exec
	s_and_b64 s[2:3], s[2:3], exec
	v_lshl_add_u64 v[4:5], v[4:5], 0, 4
	v_lshl_add_u64 v[6:7], v[6:7], 0, 4
	s_or_b64 s[40:41], s[40:41], s[44:45]
	s_andn2_b64 s[0:1], s[0:1], exec
	s_or_b64 s[38:39], s[38:39], s[2:3]
                                        ; implicit-def: $sgpr44_sgpr45
	s_branch .LBB1512_73
.LBB1512_76:
	s_or_b64 exec, exec, s[34:35]
	s_xor_b64 s[0:1], s[36:37], -1
	s_branch .LBB1512_78
.LBB1512_77:
	s_mov_b64 s[0:1], -1
.LBB1512_78:
	s_and_b64 s[0:1], s[0:1], exec
.LBB1512_79:
	s_or_b64 exec, exec, s[26:27]
	s_orn2_b64 s[26:27], s[0:1], exec
.LBB1512_80:
	s_or_b64 exec, exec, s[30:31]
	v_cndmask_b32_e64 v4, v12, v13, s[26:27]
	v_cndmask_b32_e64 v5, v24, v1, s[26:27]
	v_add_u32_e32 v6, 1, v4
	v_add_u32_e32 v4, -1, v5
	v_min_u32_e32 v4, v6, v4
	v_lshlrev_b32_e32 v4, 3, v4
	ds_read_b64 v[4:5], v4
	v_cndmask_b32_e64 v32, v6, v12, s[26:27]
	v_cndmask_b32_e64 v33, v13, v6, s[26:27]
	v_cmp_lt_u32_e32 vcc, v32, v24
	s_waitcnt lgkmcnt(0)
	v_cndmask_b32_e64 v10, v5, v8, s[26:27]
	v_cndmask_b32_e64 v28, v4, v26, s[26:27]
	;; [unrolled: 1-line block ×4, first 2 shown]
	s_and_saveexec_b64 s[30:31], vcc
	s_cbranch_execz .LBB1512_91
; %bb.81:
	v_cmp_lt_u32_e32 vcc, v33, v1
	s_mov_b64 s[0:1], 0
	s_and_saveexec_b64 s[28:29], vcc
	s_cbranch_execz .LBB1512_90
; %bb.82:
	s_andn2_b64 vcc, exec, s[12:13]
	s_cbranch_vccnz .LBB1512_88
; %bb.83:
	v_mul_lo_u32 v6, v10, s16
	v_mul_lo_u32 v7, v28, s17
	v_mad_u64_u32 v[4:5], s[0:1], v28, s16, 0
	v_add3_u32 v5, v5, v7, v6
	v_mul_lo_u32 v12, v11, s16
	v_mul_lo_u32 v13, v29, s17
	v_mad_u64_u32 v[6:7], s[0:1], v29, s16, 0
	v_add3_u32 v7, v7, v13, v12
	v_lshl_add_u64 v[4:5], v[4:5], 2, s[18:19]
	v_lshl_add_u64 v[6:7], v[6:7], 2, s[18:19]
	s_mov_b64 s[34:35], 0
	s_mov_b64 s[42:43], s[16:17]
                                        ; implicit-def: $sgpr36_sgpr37
                                        ; implicit-def: $sgpr38_sgpr39
                                        ; implicit-def: $sgpr0_sgpr1
                                        ; implicit-def: $sgpr40_sgpr41
                                        ; implicit-def: $sgpr44_sgpr45
	s_branch .LBB1512_85
.LBB1512_84:                            ;   in Loop: Header=BB1512_85 Depth=1
	s_or_b64 exec, exec, s[46:47]
	s_and_b64 s[2:3], exec, s[38:39]
	s_or_b64 s[34:35], s[2:3], s[34:35]
	s_andn2_b64 s[2:3], s[44:45], exec
	s_and_b64 s[44:45], s[40:41], exec
	s_or_b64 s[44:45], s[2:3], s[44:45]
	s_andn2_b64 s[2:3], s[36:37], exec
	s_and_b64 s[36:37], s[0:1], exec
	s_or_b64 s[36:37], s[2:3], s[36:37]
	s_andn2_b64 exec, exec, s[34:35]
	s_cbranch_execz .LBB1512_87
.LBB1512_85:                            ; =>This Inner Loop Header: Depth=1
	global_load_dword v12, v[4:5], off
	global_load_dword v13, v[6:7], off
	s_andn2_b64 s[46:47], s[0:1], exec
	s_andn2_b64 s[40:41], s[40:41], exec
	s_or_b64 s[38:39], s[38:39], exec
	s_waitcnt vmcnt(0)
	v_cmp_le_u32_e64 s[0:1], v12, v13
	v_cmp_lt_u32_e32 vcc, v12, v13
	s_and_b64 s[0:1], s[0:1], s[44:45]
	s_or_b64 s[48:49], vcc, s[0:1]
	s_and_b64 s[0:1], s[48:49], exec
	v_cmp_eq_u32_e64 s[2:3], v12, v13
	s_or_b64 s[0:1], s[46:47], s[0:1]
	s_and_saveexec_b64 s[46:47], s[2:3]
	s_cbranch_execz .LBB1512_84
; %bb.86:                               ;   in Loop: Header=BB1512_85 Depth=1
	s_add_u32 s42, s42, -1
	s_addc_u32 s43, s43, -1
	s_cmp_eq_u64 s[42:43], 0
	s_cselect_b64 s[2:3], -1, 0
	s_andn2_b64 s[40:41], s[40:41], exec
	s_and_b64 s[44:45], s[48:49], exec
	s_andn2_b64 s[38:39], s[38:39], exec
	s_and_b64 s[2:3], s[2:3], exec
	v_lshl_add_u64 v[4:5], v[4:5], 0, 4
	v_lshl_add_u64 v[6:7], v[6:7], 0, 4
	s_or_b64 s[40:41], s[40:41], s[44:45]
	s_andn2_b64 s[0:1], s[0:1], exec
	s_or_b64 s[38:39], s[38:39], s[2:3]
                                        ; implicit-def: $sgpr44_sgpr45
	s_branch .LBB1512_84
.LBB1512_87:
	s_or_b64 exec, exec, s[34:35]
	s_xor_b64 s[0:1], s[36:37], -1
	s_branch .LBB1512_89
.LBB1512_88:
	s_mov_b64 s[0:1], -1
.LBB1512_89:
	s_and_b64 s[0:1], s[0:1], exec
.LBB1512_90:
	s_or_b64 exec, exec, s[28:29]
	s_orn2_b64 s[28:29], s[0:1], exec
.LBB1512_91:
	s_or_b64 exec, exec, s[30:31]
	v_cndmask_b32_e64 v4, v32, v33, s[28:29]
	v_cndmask_b32_e64 v5, v24, v1, s[28:29]
	v_add_u32_e32 v6, 1, v4
	v_add_u32_e32 v4, -1, v5
	v_min_u32_e32 v4, v6, v4
	v_lshlrev_b32_e32 v4, 3, v4
	ds_read_b64 v[4:5], v4
	v_cndmask_b32_e64 v34, v6, v32, s[28:29]
	v_cndmask_b32_e64 v38, v33, v6, s[28:29]
	v_cmp_lt_u32_e32 vcc, v34, v24
	s_mov_b64 s[30:31], -1
	s_waitcnt lgkmcnt(0)
	v_cndmask_b32_e64 v12, v5, v10, s[28:29]
	v_cndmask_b32_e64 v30, v4, v28, s[28:29]
	;; [unrolled: 1-line block ×4, first 2 shown]
	s_mov_b64 s[34:35], -1
	s_and_saveexec_b64 s[36:37], vcc
	s_cbranch_execz .LBB1512_102
; %bb.92:
	v_cmp_lt_u32_e32 vcc, v38, v1
	s_mov_b64 s[0:1], 0
	s_and_saveexec_b64 s[34:35], vcc
	s_cbranch_execz .LBB1512_101
; %bb.93:
	s_andn2_b64 vcc, exec, s[12:13]
	s_cbranch_vccnz .LBB1512_99
; %bb.94:
	v_mul_lo_u32 v6, v12, s16
	v_mul_lo_u32 v7, v30, s17
	v_mad_u64_u32 v[4:5], s[0:1], v30, s16, 0
	v_add3_u32 v5, v5, v7, v6
	v_mul_lo_u32 v32, v13, s16
	v_mul_lo_u32 v33, v31, s17
	v_mad_u64_u32 v[6:7], s[0:1], v31, s16, 0
	v_add3_u32 v7, v7, v33, v32
	v_lshl_add_u64 v[4:5], v[4:5], 2, s[18:19]
	v_lshl_add_u64 v[6:7], v[6:7], 2, s[18:19]
	s_mov_b64 s[38:39], 0
	s_mov_b64 s[46:47], s[16:17]
                                        ; implicit-def: $sgpr40_sgpr41
                                        ; implicit-def: $sgpr42_sgpr43
                                        ; implicit-def: $sgpr0_sgpr1
                                        ; implicit-def: $sgpr44_sgpr45
                                        ; implicit-def: $sgpr48_sgpr49
	s_branch .LBB1512_96
.LBB1512_95:                            ;   in Loop: Header=BB1512_96 Depth=1
	s_or_b64 exec, exec, s[50:51]
	s_and_b64 s[2:3], exec, s[42:43]
	s_or_b64 s[38:39], s[2:3], s[38:39]
	s_andn2_b64 s[2:3], s[48:49], exec
	s_and_b64 s[48:49], s[44:45], exec
	s_or_b64 s[48:49], s[2:3], s[48:49]
	s_andn2_b64 s[2:3], s[40:41], exec
	s_and_b64 s[40:41], s[0:1], exec
	s_or_b64 s[40:41], s[2:3], s[40:41]
	s_andn2_b64 exec, exec, s[38:39]
	s_cbranch_execz .LBB1512_98
.LBB1512_96:                            ; =>This Inner Loop Header: Depth=1
	global_load_dword v32, v[4:5], off
	global_load_dword v33, v[6:7], off
	s_andn2_b64 s[50:51], s[0:1], exec
	s_andn2_b64 s[44:45], s[44:45], exec
	s_or_b64 s[42:43], s[42:43], exec
	s_waitcnt vmcnt(0)
	v_cmp_le_u32_e64 s[0:1], v32, v33
	v_cmp_lt_u32_e32 vcc, v32, v33
	s_and_b64 s[0:1], s[0:1], s[48:49]
	s_or_b64 s[52:53], vcc, s[0:1]
	s_and_b64 s[0:1], s[52:53], exec
	v_cmp_eq_u32_e64 s[2:3], v32, v33
	s_or_b64 s[0:1], s[50:51], s[0:1]
	s_and_saveexec_b64 s[50:51], s[2:3]
	s_cbranch_execz .LBB1512_95
; %bb.97:                               ;   in Loop: Header=BB1512_96 Depth=1
	s_add_u32 s46, s46, -1
	s_addc_u32 s47, s47, -1
	s_cmp_eq_u64 s[46:47], 0
	s_cselect_b64 s[2:3], -1, 0
	s_andn2_b64 s[44:45], s[44:45], exec
	s_and_b64 s[48:49], s[52:53], exec
	s_andn2_b64 s[42:43], s[42:43], exec
	s_and_b64 s[2:3], s[2:3], exec
	v_lshl_add_u64 v[4:5], v[4:5], 0, 4
	v_lshl_add_u64 v[6:7], v[6:7], 0, 4
	s_or_b64 s[44:45], s[44:45], s[48:49]
	s_andn2_b64 s[0:1], s[0:1], exec
	s_or_b64 s[42:43], s[42:43], s[2:3]
                                        ; implicit-def: $sgpr48_sgpr49
	s_branch .LBB1512_95
.LBB1512_98:
	s_or_b64 exec, exec, s[38:39]
	s_xor_b64 s[0:1], s[40:41], -1
	s_branch .LBB1512_100
.LBB1512_99:
	s_mov_b64 s[0:1], -1
.LBB1512_100:
	s_and_b64 s[0:1], s[0:1], exec
.LBB1512_101:
	s_or_b64 exec, exec, s[34:35]
	s_orn2_b64 s[34:35], s[0:1], exec
.LBB1512_102:
	s_or_b64 exec, exec, s[36:37]
	v_cndmask_b32_e64 v4, v34, v38, s[34:35]
	v_cndmask_b32_e64 v5, v24, v1, s[34:35]
	v_add_u32_e32 v6, 1, v4
	v_add_u32_e32 v4, -1, v5
	v_min_u32_e32 v4, v6, v4
	v_lshlrev_b32_e32 v4, 3, v4
	ds_read_b64 v[4:5], v4
	v_cndmask_b32_e64 v35, v6, v34, s[34:35]
	v_cndmask_b32_e64 v34, v38, v6, s[34:35]
	v_cmp_lt_u32_e32 vcc, v35, v24
	s_waitcnt lgkmcnt(0)
	v_cndmask_b32_e64 v32, v5, v12, s[34:35]
	v_cndmask_b32_e64 v33, v4, v30, s[34:35]
	;; [unrolled: 1-line block ×4, first 2 shown]
	s_and_saveexec_b64 s[36:37], vcc
	s_cbranch_execz .LBB1512_113
; %bb.103:
	v_cmp_lt_u32_e32 vcc, v34, v1
	s_mov_b64 s[0:1], 0
	s_and_saveexec_b64 s[30:31], vcc
	s_cbranch_execz .LBB1512_112
; %bb.104:
	s_andn2_b64 vcc, exec, s[12:13]
	s_cbranch_vccnz .LBB1512_110
; %bb.105:
	v_mul_lo_u32 v6, v32, s16
	v_mul_lo_u32 v7, v33, s17
	v_mad_u64_u32 v[4:5], s[0:1], v33, s16, 0
	v_add3_u32 v5, v5, v7, v6
	v_mul_lo_u32 v38, v36, s16
	v_mul_lo_u32 v39, v37, s17
	v_mad_u64_u32 v[6:7], s[0:1], v37, s16, 0
	v_add3_u32 v7, v7, v39, v38
	v_lshl_add_u64 v[4:5], v[4:5], 2, s[18:19]
	v_lshl_add_u64 v[6:7], v[6:7], 2, s[18:19]
	s_mov_b64 s[38:39], 0
	s_mov_b64 s[46:47], s[16:17]
                                        ; implicit-def: $sgpr40_sgpr41
                                        ; implicit-def: $sgpr42_sgpr43
                                        ; implicit-def: $sgpr0_sgpr1
                                        ; implicit-def: $sgpr44_sgpr45
                                        ; implicit-def: $sgpr48_sgpr49
	s_branch .LBB1512_107
.LBB1512_106:                           ;   in Loop: Header=BB1512_107 Depth=1
	s_or_b64 exec, exec, s[50:51]
	s_and_b64 s[2:3], exec, s[42:43]
	s_or_b64 s[38:39], s[2:3], s[38:39]
	s_andn2_b64 s[2:3], s[48:49], exec
	s_and_b64 s[48:49], s[44:45], exec
	s_or_b64 s[48:49], s[2:3], s[48:49]
	s_andn2_b64 s[2:3], s[40:41], exec
	s_and_b64 s[40:41], s[0:1], exec
	s_or_b64 s[40:41], s[2:3], s[40:41]
	s_andn2_b64 exec, exec, s[38:39]
	s_cbranch_execz .LBB1512_109
.LBB1512_107:                           ; =>This Inner Loop Header: Depth=1
	global_load_dword v38, v[4:5], off
	global_load_dword v39, v[6:7], off
	s_andn2_b64 s[50:51], s[0:1], exec
	s_andn2_b64 s[44:45], s[44:45], exec
	s_or_b64 s[42:43], s[42:43], exec
	s_waitcnt vmcnt(0)
	v_cmp_le_u32_e64 s[0:1], v38, v39
	v_cmp_lt_u32_e32 vcc, v38, v39
	s_and_b64 s[0:1], s[0:1], s[48:49]
	s_or_b64 s[52:53], vcc, s[0:1]
	s_and_b64 s[0:1], s[52:53], exec
	v_cmp_eq_u32_e64 s[2:3], v38, v39
	s_or_b64 s[0:1], s[50:51], s[0:1]
	s_and_saveexec_b64 s[50:51], s[2:3]
	s_cbranch_execz .LBB1512_106
; %bb.108:                              ;   in Loop: Header=BB1512_107 Depth=1
	s_add_u32 s46, s46, -1
	s_addc_u32 s47, s47, -1
	s_cmp_eq_u64 s[46:47], 0
	s_cselect_b64 s[2:3], -1, 0
	s_andn2_b64 s[44:45], s[44:45], exec
	s_and_b64 s[48:49], s[52:53], exec
	s_andn2_b64 s[42:43], s[42:43], exec
	s_and_b64 s[2:3], s[2:3], exec
	v_lshl_add_u64 v[4:5], v[4:5], 0, 4
	v_lshl_add_u64 v[6:7], v[6:7], 0, 4
	s_or_b64 s[44:45], s[44:45], s[48:49]
	s_andn2_b64 s[0:1], s[0:1], exec
	s_or_b64 s[42:43], s[42:43], s[2:3]
                                        ; implicit-def: $sgpr48_sgpr49
	s_branch .LBB1512_106
.LBB1512_109:
	s_or_b64 exec, exec, s[38:39]
	s_xor_b64 s[0:1], s[40:41], -1
	s_branch .LBB1512_111
.LBB1512_110:
	s_mov_b64 s[0:1], -1
.LBB1512_111:
	s_and_b64 s[0:1], s[0:1], exec
.LBB1512_112:
	s_or_b64 exec, exec, s[30:31]
	s_orn2_b64 s[30:31], s[0:1], exec
.LBB1512_113:
	s_or_b64 exec, exec, s[36:37]
	v_cndmask_b32_e64 v5, v16, v19, s[22:23]
	v_cndmask_b32_e64 v4, v17, v20, s[22:23]
	;; [unrolled: 1-line block ×4, first 2 shown]
	v_add_u32_e32 v19, 1, v16
	v_add_u32_e32 v16, -1, v17
	v_min_u32_e32 v16, v19, v16
	v_lshlrev_b32_e32 v16, 3, v16
	v_cndmask_b32_e64 v7, v21, v23, s[24:25]
	ds_read_b64 v[20:21], v16
	v_cndmask_b32_e64 v6, v22, v25, s[24:25]
	v_cndmask_b32_e64 v22, v19, v35, s[30:31]
	;; [unrolled: 1-line block ×12, first 2 shown]
	s_waitcnt lgkmcnt(0)
	v_cndmask_b32_e64 v17, v36, v21, s[30:31]
	v_cndmask_b32_e64 v16, v37, v20, s[30:31]
	v_cmp_lt_u32_e32 vcc, v22, v24
	s_and_saveexec_b64 s[20:21], vcc
	s_cbranch_execz .LBB1512_123
; %bb.114:
	v_cndmask_b32_e64 v19, v34, v19, s[30:31]
	v_cndmask_b32_e64 v21, v21, v32, s[30:31]
	;; [unrolled: 1-line block ×3, first 2 shown]
	v_cmp_lt_u32_e32 vcc, v19, v1
	s_and_saveexec_b64 s[22:23], vcc
	s_cbranch_execz .LBB1512_122
; %bb.115:
	s_andn2_b64 vcc, exec, s[12:13]
	s_cbranch_vccnz .LBB1512_121
; %bb.116:
	v_mul_lo_u32 v1, v21, s16
	v_mul_lo_u32 v19, v20, s17
	v_mad_u64_u32 v[22:23], s[0:1], v20, s16, 0
	v_add3_u32 v23, v23, v19, v1
	v_mul_lo_u32 v1, v17, s16
	v_mul_lo_u32 v19, v16, s17
	v_mad_u64_u32 v[24:25], s[0:1], v16, s16, 0
	v_add3_u32 v25, v25, v19, v1
	v_lshl_add_u64 v[22:23], v[22:23], 2, s[18:19]
	v_lshl_add_u64 v[24:25], v[24:25], 2, s[18:19]
	s_mov_b64 s[12:13], 0
                                        ; implicit-def: $sgpr18_sgpr19
                                        ; implicit-def: $sgpr24_sgpr25
                                        ; implicit-def: $sgpr0_sgpr1
                                        ; implicit-def: $sgpr26_sgpr27
                                        ; implicit-def: $sgpr28_sgpr29
	s_branch .LBB1512_118
.LBB1512_117:                           ;   in Loop: Header=BB1512_118 Depth=1
	s_or_b64 exec, exec, s[30:31]
	s_and_b64 s[2:3], exec, s[24:25]
	s_or_b64 s[12:13], s[2:3], s[12:13]
	s_andn2_b64 s[2:3], s[28:29], exec
	s_and_b64 s[28:29], s[26:27], exec
	s_or_b64 s[28:29], s[2:3], s[28:29]
	s_andn2_b64 s[2:3], s[18:19], exec
	s_and_b64 s[18:19], s[0:1], exec
	s_or_b64 s[18:19], s[2:3], s[18:19]
	s_andn2_b64 exec, exec, s[12:13]
	s_cbranch_execz .LBB1512_120
.LBB1512_118:                           ; =>This Inner Loop Header: Depth=1
	global_load_dword v1, v[22:23], off
	global_load_dword v19, v[24:25], off
	s_andn2_b64 s[30:31], s[0:1], exec
	s_andn2_b64 s[26:27], s[26:27], exec
	s_or_b64 s[24:25], s[24:25], exec
	s_waitcnt vmcnt(0)
	v_cmp_le_u32_e64 s[0:1], v1, v19
	v_cmp_lt_u32_e32 vcc, v1, v19
	s_and_b64 s[0:1], s[0:1], s[28:29]
	s_or_b64 s[34:35], vcc, s[0:1]
	s_and_b64 s[0:1], s[34:35], exec
	v_cmp_eq_u32_e64 s[2:3], v1, v19
	s_or_b64 s[0:1], s[30:31], s[0:1]
	s_and_saveexec_b64 s[30:31], s[2:3]
	s_cbranch_execz .LBB1512_117
; %bb.119:                              ;   in Loop: Header=BB1512_118 Depth=1
	s_add_u32 s16, s16, -1
	s_addc_u32 s17, s17, -1
	s_cmp_eq_u64 s[16:17], 0
	s_cselect_b64 s[2:3], -1, 0
	s_andn2_b64 s[26:27], s[26:27], exec
	s_and_b64 s[28:29], s[34:35], exec
	s_andn2_b64 s[24:25], s[24:25], exec
	s_and_b64 s[2:3], s[2:3], exec
	v_lshl_add_u64 v[22:23], v[22:23], 0, 4
	v_lshl_add_u64 v[24:25], v[24:25], 0, 4
	s_or_b64 s[26:27], s[26:27], s[28:29]
	s_andn2_b64 s[0:1], s[0:1], exec
	s_or_b64 s[24:25], s[24:25], s[2:3]
                                        ; implicit-def: $sgpr28_sgpr29
	s_branch .LBB1512_117
.LBB1512_120:
	s_or_b64 exec, exec, s[12:13]
	v_cndmask_b32_e64 v17, v17, v21, s[18:19]
	v_cndmask_b32_e64 v16, v16, v20, s[18:19]
.LBB1512_121:
	v_mov_b64_e32 v[20:21], v[16:17]
.LBB1512_122:
	s_or_b64 exec, exec, s[22:23]
	v_mov_b64_e32 v[16:17], v[20:21]
.LBB1512_123:
	s_or_b64 exec, exec, s[20:21]
.LBB1512_124:
	s_or_b64 exec, exec, s[4:5]
	v_lshrrev_b32_e32 v1, 2, v0
	v_lshlrev_b32_e32 v19, 3, v18
	v_lshl_add_u32 v19, v1, 3, v19
	v_and_b32_e32 v1, 24, v1
	v_or_b32_e32 v25, 0x80, v0
	v_add_u32_e32 v26, v18, v1
	v_lshrrev_b32_e32 v1, 2, v25
	v_and_b32_e32 v1, 56, v1
	v_or_b32_e32 v24, 0x100, v0
	s_barrier
	s_barrier
	ds_write2_b64 v19, v[2:3], v[4:5] offset1:1
	ds_write2_b64 v19, v[6:7], v[8:9] offset0:2 offset1:3
	ds_write2_b64 v19, v[10:11], v[12:13] offset0:4 offset1:5
	;; [unrolled: 1-line block ×3, first 2 shown]
	v_add_u32_e32 v6, v18, v1
	v_lshrrev_b32_e32 v1, 2, v24
	v_and_b32_e32 v1, 0x58, v1
	v_or_b32_e32 v23, 0x180, v0
	v_add_u32_e32 v7, v18, v1
	v_lshrrev_b32_e32 v1, 2, v23
	v_and_b32_e32 v1, 0x78, v1
	v_or_b32_e32 v22, 0x200, v0
	;; [unrolled: 4-line block ×4, first 2 shown]
	v_add_u32_e32 v27, v18, v1
	v_lshrrev_b32_e32 v1, 2, v20
	v_and_b32_e32 v1, 0xd8, v1
	s_lshl_b64 s[0:1], s[6:7], 3
	v_add_u32_e32 v28, v18, v1
	v_or_b32_e32 v1, 0x380, v0
	s_add_u32 s0, s14, s0
	v_lshrrev_b32_e32 v2, 2, v1
	s_addc_u32 s1, s15, s1
	v_and_b32_e32 v2, 0xf8, v2
	v_mov_b32_e32 v19, 0
	v_add_u32_e32 v29, v18, v2
	v_lshl_add_u64 v[2:3], s[0:1], 0, v[18:19]
	s_and_b64 vcc, exec, s[10:11]
	s_waitcnt lgkmcnt(0)
	s_cbranch_vccz .LBB1512_126
; %bb.125:
	s_barrier
	ds_read_b64 v[10:11], v26
	ds_read_b64 v[12:13], v6 offset:1024
	ds_read_b64 v[14:15], v7 offset:2048
	;; [unrolled: 1-line block ×7, first 2 shown]
	s_waitcnt lgkmcnt(7)
	global_store_dwordx2 v[2:3], v[10:11], off
	s_waitcnt lgkmcnt(6)
	global_store_dwordx2 v[2:3], v[12:13], off offset:1024
	s_waitcnt lgkmcnt(5)
	global_store_dwordx2 v[2:3], v[14:15], off offset:2048
	;; [unrolled: 2-line block ×3, first 2 shown]
	v_add_co_u32_e32 v10, vcc, 0x1000, v2
	s_nop 1
	v_addc_co_u32_e32 v11, vcc, 0, v3, vcc
	s_waitcnt lgkmcnt(3)
	global_store_dwordx2 v[10:11], v[18:19], off
	s_waitcnt lgkmcnt(2)
	global_store_dwordx2 v[10:11], v[30:31], off offset:1024
	s_waitcnt lgkmcnt(1)
	global_store_dwordx2 v[10:11], v[32:33], off offset:2048
	s_mov_b64 s[0:1], -1
	s_cbranch_execz .LBB1512_127
	s_branch .LBB1512_136
.LBB1512_126:
	s_mov_b64 s[0:1], 0
                                        ; implicit-def: $vgpr4_vgpr5
.LBB1512_127:
	s_barrier
	s_waitcnt lgkmcnt(0)
	ds_read_b64 v[16:17], v6 offset:1024
	ds_read_b64 v[14:15], v7 offset:2048
	;; [unrolled: 1-line block ×7, first 2 shown]
	s_sub_i32 s2, s8, s6
	v_cmp_gt_u32_e32 vcc, s2, v0
	s_and_saveexec_b64 s[0:1], vcc
	s_cbranch_execnz .LBB1512_139
; %bb.128:
	s_or_b64 exec, exec, s[0:1]
	v_cmp_gt_u32_e32 vcc, s2, v25
	s_and_saveexec_b64 s[0:1], vcc
	s_cbranch_execnz .LBB1512_140
.LBB1512_129:
	s_or_b64 exec, exec, s[0:1]
	v_cmp_gt_u32_e32 vcc, s2, v24
	s_and_saveexec_b64 s[0:1], vcc
	s_cbranch_execnz .LBB1512_141
.LBB1512_130:
	s_or_b64 exec, exec, s[0:1]
	v_cmp_gt_u32_e32 vcc, s2, v23
	s_and_saveexec_b64 s[0:1], vcc
	s_cbranch_execnz .LBB1512_142
.LBB1512_131:
	s_or_b64 exec, exec, s[0:1]
	v_cmp_gt_u32_e32 vcc, s2, v22
	s_and_saveexec_b64 s[0:1], vcc
	s_cbranch_execnz .LBB1512_143
.LBB1512_132:
	s_or_b64 exec, exec, s[0:1]
	v_cmp_gt_u32_e32 vcc, s2, v21
	s_and_saveexec_b64 s[0:1], vcc
	s_cbranch_execnz .LBB1512_144
.LBB1512_133:
	s_or_b64 exec, exec, s[0:1]
	v_cmp_gt_u32_e32 vcc, s2, v20
	s_and_saveexec_b64 s[0:1], vcc
	s_cbranch_execz .LBB1512_135
.LBB1512_134:
	s_waitcnt lgkmcnt(2)
	v_add_co_u32_e32 v8, vcc, 0x1000, v2
	s_nop 1
	v_addc_co_u32_e32 v9, vcc, 0, v3, vcc
	s_waitcnt lgkmcnt(1)
	global_store_dwordx2 v[8:9], v[6:7], off offset:2048
.LBB1512_135:
	s_or_b64 exec, exec, s[0:1]
	v_cmp_gt_u32_e64 s[0:1], s2, v1
.LBB1512_136:
	s_and_saveexec_b64 s[2:3], s[0:1]
	s_cbranch_execz .LBB1512_138
; %bb.137:
	v_add_co_u32_e32 v0, vcc, 0x1000, v2
	s_nop 1
	v_addc_co_u32_e32 v1, vcc, 0, v3, vcc
	s_waitcnt lgkmcnt(0)
	global_store_dwordx2 v[0:1], v[4:5], off offset:3072
.LBB1512_138:
	s_endpgm
.LBB1512_139:
	ds_read_b64 v[18:19], v26
	s_waitcnt lgkmcnt(0)
	global_store_dwordx2 v[2:3], v[18:19], off
	s_or_b64 exec, exec, s[0:1]
	v_cmp_gt_u32_e32 vcc, s2, v25
	s_and_saveexec_b64 s[0:1], vcc
	s_cbranch_execz .LBB1512_129
.LBB1512_140:
	s_waitcnt lgkmcnt(6)
	global_store_dwordx2 v[2:3], v[16:17], off offset:1024
	s_or_b64 exec, exec, s[0:1]
	v_cmp_gt_u32_e32 vcc, s2, v24
	s_and_saveexec_b64 s[0:1], vcc
	s_cbranch_execz .LBB1512_130
.LBB1512_141:
	s_waitcnt lgkmcnt(5)
	global_store_dwordx2 v[2:3], v[14:15], off offset:2048
	s_or_b64 exec, exec, s[0:1]
	v_cmp_gt_u32_e32 vcc, s2, v23
	s_and_saveexec_b64 s[0:1], vcc
	s_cbranch_execz .LBB1512_131
.LBB1512_142:
	s_waitcnt lgkmcnt(4)
	global_store_dwordx2 v[2:3], v[12:13], off offset:3072
	s_or_b64 exec, exec, s[0:1]
	v_cmp_gt_u32_e32 vcc, s2, v22
	s_and_saveexec_b64 s[0:1], vcc
	s_cbranch_execz .LBB1512_132
.LBB1512_143:
	s_waitcnt lgkmcnt(4)
	v_add_co_u32_e32 v12, vcc, 0x1000, v2
	s_nop 1
	v_addc_co_u32_e32 v13, vcc, 0, v3, vcc
	s_waitcnt lgkmcnt(3)
	global_store_dwordx2 v[12:13], v[10:11], off
	s_or_b64 exec, exec, s[0:1]
	v_cmp_gt_u32_e32 vcc, s2, v21
	s_and_saveexec_b64 s[0:1], vcc
	s_cbranch_execz .LBB1512_133
.LBB1512_144:
	s_waitcnt lgkmcnt(3)
	v_add_co_u32_e32 v10, vcc, 0x1000, v2
	s_nop 1
	v_addc_co_u32_e32 v11, vcc, 0, v3, vcc
	s_waitcnt lgkmcnt(2)
	global_store_dwordx2 v[10:11], v[8:9], off offset:1024
	s_or_b64 exec, exec, s[0:1]
	v_cmp_gt_u32_e32 vcc, s2, v20
	s_and_saveexec_b64 s[0:1], vcc
	s_cbranch_execnz .LBB1512_134
	s_branch .LBB1512_135
	.section	.rodata,"a",@progbits
	.p2align	6, 0x0
	.amdhsa_kernel _ZN7rocprim17ROCPRIM_400000_NS6detail17trampoline_kernelINS0_14default_configENS1_38merge_sort_block_merge_config_selectorIlNS0_10empty_typeEEEZZNS1_27merge_sort_block_merge_implIS3_PlPS5_mZN2at6native12_GLOBAL__N_124unique_dim_cuda_templateIjEESt5tupleIJNSA_6TensorESF_SF_EERKSF_lbbbEUlllE_EE10hipError_tT0_T1_T2_jT3_P12ihipStream_tbPNSt15iterator_traitsISL_E10value_typeEPNSR_ISM_E10value_typeEPSN_NS1_7vsmem_tEENKUlT_SL_SM_SN_E_clIS8_S8_S9_S9_EESK_S10_SL_SM_SN_EUlS10_E0_NS1_11comp_targetILNS1_3genE5ELNS1_11target_archE942ELNS1_3gpuE9ELNS1_3repE0EEENS1_38merge_mergepath_config_static_selectorELNS0_4arch9wavefront6targetE1EEEvSM_
		.amdhsa_group_segment_fixed_size 8448
		.amdhsa_private_segment_fixed_size 0
		.amdhsa_kernarg_size 344
		.amdhsa_user_sgpr_count 2
		.amdhsa_user_sgpr_dispatch_ptr 0
		.amdhsa_user_sgpr_queue_ptr 0
		.amdhsa_user_sgpr_kernarg_segment_ptr 1
		.amdhsa_user_sgpr_dispatch_id 0
		.amdhsa_user_sgpr_kernarg_preload_length 0
		.amdhsa_user_sgpr_kernarg_preload_offset 0
		.amdhsa_user_sgpr_private_segment_size 0
		.amdhsa_uses_dynamic_stack 0
		.amdhsa_enable_private_segment 0
		.amdhsa_system_sgpr_workgroup_id_x 1
		.amdhsa_system_sgpr_workgroup_id_y 1
		.amdhsa_system_sgpr_workgroup_id_z 1
		.amdhsa_system_sgpr_workgroup_info 0
		.amdhsa_system_vgpr_workitem_id 0
		.amdhsa_next_free_vgpr 40
		.amdhsa_next_free_sgpr 54
		.amdhsa_accum_offset 40
		.amdhsa_reserve_vcc 1
		.amdhsa_float_round_mode_32 0
		.amdhsa_float_round_mode_16_64 0
		.amdhsa_float_denorm_mode_32 3
		.amdhsa_float_denorm_mode_16_64 3
		.amdhsa_dx10_clamp 1
		.amdhsa_ieee_mode 1
		.amdhsa_fp16_overflow 0
		.amdhsa_tg_split 0
		.amdhsa_exception_fp_ieee_invalid_op 0
		.amdhsa_exception_fp_denorm_src 0
		.amdhsa_exception_fp_ieee_div_zero 0
		.amdhsa_exception_fp_ieee_overflow 0
		.amdhsa_exception_fp_ieee_underflow 0
		.amdhsa_exception_fp_ieee_inexact 0
		.amdhsa_exception_int_div_zero 0
	.end_amdhsa_kernel
	.section	.text._ZN7rocprim17ROCPRIM_400000_NS6detail17trampoline_kernelINS0_14default_configENS1_38merge_sort_block_merge_config_selectorIlNS0_10empty_typeEEEZZNS1_27merge_sort_block_merge_implIS3_PlPS5_mZN2at6native12_GLOBAL__N_124unique_dim_cuda_templateIjEESt5tupleIJNSA_6TensorESF_SF_EERKSF_lbbbEUlllE_EE10hipError_tT0_T1_T2_jT3_P12ihipStream_tbPNSt15iterator_traitsISL_E10value_typeEPNSR_ISM_E10value_typeEPSN_NS1_7vsmem_tEENKUlT_SL_SM_SN_E_clIS8_S8_S9_S9_EESK_S10_SL_SM_SN_EUlS10_E0_NS1_11comp_targetILNS1_3genE5ELNS1_11target_archE942ELNS1_3gpuE9ELNS1_3repE0EEENS1_38merge_mergepath_config_static_selectorELNS0_4arch9wavefront6targetE1EEEvSM_,"axG",@progbits,_ZN7rocprim17ROCPRIM_400000_NS6detail17trampoline_kernelINS0_14default_configENS1_38merge_sort_block_merge_config_selectorIlNS0_10empty_typeEEEZZNS1_27merge_sort_block_merge_implIS3_PlPS5_mZN2at6native12_GLOBAL__N_124unique_dim_cuda_templateIjEESt5tupleIJNSA_6TensorESF_SF_EERKSF_lbbbEUlllE_EE10hipError_tT0_T1_T2_jT3_P12ihipStream_tbPNSt15iterator_traitsISL_E10value_typeEPNSR_ISM_E10value_typeEPSN_NS1_7vsmem_tEENKUlT_SL_SM_SN_E_clIS8_S8_S9_S9_EESK_S10_SL_SM_SN_EUlS10_E0_NS1_11comp_targetILNS1_3genE5ELNS1_11target_archE942ELNS1_3gpuE9ELNS1_3repE0EEENS1_38merge_mergepath_config_static_selectorELNS0_4arch9wavefront6targetE1EEEvSM_,comdat
.Lfunc_end1512:
	.size	_ZN7rocprim17ROCPRIM_400000_NS6detail17trampoline_kernelINS0_14default_configENS1_38merge_sort_block_merge_config_selectorIlNS0_10empty_typeEEEZZNS1_27merge_sort_block_merge_implIS3_PlPS5_mZN2at6native12_GLOBAL__N_124unique_dim_cuda_templateIjEESt5tupleIJNSA_6TensorESF_SF_EERKSF_lbbbEUlllE_EE10hipError_tT0_T1_T2_jT3_P12ihipStream_tbPNSt15iterator_traitsISL_E10value_typeEPNSR_ISM_E10value_typeEPSN_NS1_7vsmem_tEENKUlT_SL_SM_SN_E_clIS8_S8_S9_S9_EESK_S10_SL_SM_SN_EUlS10_E0_NS1_11comp_targetILNS1_3genE5ELNS1_11target_archE942ELNS1_3gpuE9ELNS1_3repE0EEENS1_38merge_mergepath_config_static_selectorELNS0_4arch9wavefront6targetE1EEEvSM_, .Lfunc_end1512-_ZN7rocprim17ROCPRIM_400000_NS6detail17trampoline_kernelINS0_14default_configENS1_38merge_sort_block_merge_config_selectorIlNS0_10empty_typeEEEZZNS1_27merge_sort_block_merge_implIS3_PlPS5_mZN2at6native12_GLOBAL__N_124unique_dim_cuda_templateIjEESt5tupleIJNSA_6TensorESF_SF_EERKSF_lbbbEUlllE_EE10hipError_tT0_T1_T2_jT3_P12ihipStream_tbPNSt15iterator_traitsISL_E10value_typeEPNSR_ISM_E10value_typeEPSN_NS1_7vsmem_tEENKUlT_SL_SM_SN_E_clIS8_S8_S9_S9_EESK_S10_SL_SM_SN_EUlS10_E0_NS1_11comp_targetILNS1_3genE5ELNS1_11target_archE942ELNS1_3gpuE9ELNS1_3repE0EEENS1_38merge_mergepath_config_static_selectorELNS0_4arch9wavefront6targetE1EEEvSM_
                                        ; -- End function
	.section	.AMDGPU.csdata,"",@progbits
; Kernel info:
; codeLenInByte = 6584
; NumSgprs: 60
; NumVgprs: 40
; NumAgprs: 0
; TotalNumVgprs: 40
; ScratchSize: 0
; MemoryBound: 0
; FloatMode: 240
; IeeeMode: 1
; LDSByteSize: 8448 bytes/workgroup (compile time only)
; SGPRBlocks: 7
; VGPRBlocks: 4
; NumSGPRsForWavesPerEU: 60
; NumVGPRsForWavesPerEU: 40
; AccumOffset: 40
; Occupancy: 4
; WaveLimiterHint : 1
; COMPUTE_PGM_RSRC2:SCRATCH_EN: 0
; COMPUTE_PGM_RSRC2:USER_SGPR: 2
; COMPUTE_PGM_RSRC2:TRAP_HANDLER: 0
; COMPUTE_PGM_RSRC2:TGID_X_EN: 1
; COMPUTE_PGM_RSRC2:TGID_Y_EN: 1
; COMPUTE_PGM_RSRC2:TGID_Z_EN: 1
; COMPUTE_PGM_RSRC2:TIDIG_COMP_CNT: 0
; COMPUTE_PGM_RSRC3_GFX90A:ACCUM_OFFSET: 9
; COMPUTE_PGM_RSRC3_GFX90A:TG_SPLIT: 0
	.section	.text._ZN7rocprim17ROCPRIM_400000_NS6detail17trampoline_kernelINS0_14default_configENS1_38merge_sort_block_merge_config_selectorIlNS0_10empty_typeEEEZZNS1_27merge_sort_block_merge_implIS3_PlPS5_mZN2at6native12_GLOBAL__N_124unique_dim_cuda_templateIjEESt5tupleIJNSA_6TensorESF_SF_EERKSF_lbbbEUlllE_EE10hipError_tT0_T1_T2_jT3_P12ihipStream_tbPNSt15iterator_traitsISL_E10value_typeEPNSR_ISM_E10value_typeEPSN_NS1_7vsmem_tEENKUlT_SL_SM_SN_E_clIS8_S8_S9_S9_EESK_S10_SL_SM_SN_EUlS10_E0_NS1_11comp_targetILNS1_3genE4ELNS1_11target_archE910ELNS1_3gpuE8ELNS1_3repE0EEENS1_38merge_mergepath_config_static_selectorELNS0_4arch9wavefront6targetE1EEEvSM_,"axG",@progbits,_ZN7rocprim17ROCPRIM_400000_NS6detail17trampoline_kernelINS0_14default_configENS1_38merge_sort_block_merge_config_selectorIlNS0_10empty_typeEEEZZNS1_27merge_sort_block_merge_implIS3_PlPS5_mZN2at6native12_GLOBAL__N_124unique_dim_cuda_templateIjEESt5tupleIJNSA_6TensorESF_SF_EERKSF_lbbbEUlllE_EE10hipError_tT0_T1_T2_jT3_P12ihipStream_tbPNSt15iterator_traitsISL_E10value_typeEPNSR_ISM_E10value_typeEPSN_NS1_7vsmem_tEENKUlT_SL_SM_SN_E_clIS8_S8_S9_S9_EESK_S10_SL_SM_SN_EUlS10_E0_NS1_11comp_targetILNS1_3genE4ELNS1_11target_archE910ELNS1_3gpuE8ELNS1_3repE0EEENS1_38merge_mergepath_config_static_selectorELNS0_4arch9wavefront6targetE1EEEvSM_,comdat
	.globl	_ZN7rocprim17ROCPRIM_400000_NS6detail17trampoline_kernelINS0_14default_configENS1_38merge_sort_block_merge_config_selectorIlNS0_10empty_typeEEEZZNS1_27merge_sort_block_merge_implIS3_PlPS5_mZN2at6native12_GLOBAL__N_124unique_dim_cuda_templateIjEESt5tupleIJNSA_6TensorESF_SF_EERKSF_lbbbEUlllE_EE10hipError_tT0_T1_T2_jT3_P12ihipStream_tbPNSt15iterator_traitsISL_E10value_typeEPNSR_ISM_E10value_typeEPSN_NS1_7vsmem_tEENKUlT_SL_SM_SN_E_clIS8_S8_S9_S9_EESK_S10_SL_SM_SN_EUlS10_E0_NS1_11comp_targetILNS1_3genE4ELNS1_11target_archE910ELNS1_3gpuE8ELNS1_3repE0EEENS1_38merge_mergepath_config_static_selectorELNS0_4arch9wavefront6targetE1EEEvSM_ ; -- Begin function _ZN7rocprim17ROCPRIM_400000_NS6detail17trampoline_kernelINS0_14default_configENS1_38merge_sort_block_merge_config_selectorIlNS0_10empty_typeEEEZZNS1_27merge_sort_block_merge_implIS3_PlPS5_mZN2at6native12_GLOBAL__N_124unique_dim_cuda_templateIjEESt5tupleIJNSA_6TensorESF_SF_EERKSF_lbbbEUlllE_EE10hipError_tT0_T1_T2_jT3_P12ihipStream_tbPNSt15iterator_traitsISL_E10value_typeEPNSR_ISM_E10value_typeEPSN_NS1_7vsmem_tEENKUlT_SL_SM_SN_E_clIS8_S8_S9_S9_EESK_S10_SL_SM_SN_EUlS10_E0_NS1_11comp_targetILNS1_3genE4ELNS1_11target_archE910ELNS1_3gpuE8ELNS1_3repE0EEENS1_38merge_mergepath_config_static_selectorELNS0_4arch9wavefront6targetE1EEEvSM_
	.p2align	8
	.type	_ZN7rocprim17ROCPRIM_400000_NS6detail17trampoline_kernelINS0_14default_configENS1_38merge_sort_block_merge_config_selectorIlNS0_10empty_typeEEEZZNS1_27merge_sort_block_merge_implIS3_PlPS5_mZN2at6native12_GLOBAL__N_124unique_dim_cuda_templateIjEESt5tupleIJNSA_6TensorESF_SF_EERKSF_lbbbEUlllE_EE10hipError_tT0_T1_T2_jT3_P12ihipStream_tbPNSt15iterator_traitsISL_E10value_typeEPNSR_ISM_E10value_typeEPSN_NS1_7vsmem_tEENKUlT_SL_SM_SN_E_clIS8_S8_S9_S9_EESK_S10_SL_SM_SN_EUlS10_E0_NS1_11comp_targetILNS1_3genE4ELNS1_11target_archE910ELNS1_3gpuE8ELNS1_3repE0EEENS1_38merge_mergepath_config_static_selectorELNS0_4arch9wavefront6targetE1EEEvSM_,@function
_ZN7rocprim17ROCPRIM_400000_NS6detail17trampoline_kernelINS0_14default_configENS1_38merge_sort_block_merge_config_selectorIlNS0_10empty_typeEEEZZNS1_27merge_sort_block_merge_implIS3_PlPS5_mZN2at6native12_GLOBAL__N_124unique_dim_cuda_templateIjEESt5tupleIJNSA_6TensorESF_SF_EERKSF_lbbbEUlllE_EE10hipError_tT0_T1_T2_jT3_P12ihipStream_tbPNSt15iterator_traitsISL_E10value_typeEPNSR_ISM_E10value_typeEPSN_NS1_7vsmem_tEENKUlT_SL_SM_SN_E_clIS8_S8_S9_S9_EESK_S10_SL_SM_SN_EUlS10_E0_NS1_11comp_targetILNS1_3genE4ELNS1_11target_archE910ELNS1_3gpuE8ELNS1_3repE0EEENS1_38merge_mergepath_config_static_selectorELNS0_4arch9wavefront6targetE1EEEvSM_: ; @_ZN7rocprim17ROCPRIM_400000_NS6detail17trampoline_kernelINS0_14default_configENS1_38merge_sort_block_merge_config_selectorIlNS0_10empty_typeEEEZZNS1_27merge_sort_block_merge_implIS3_PlPS5_mZN2at6native12_GLOBAL__N_124unique_dim_cuda_templateIjEESt5tupleIJNSA_6TensorESF_SF_EERKSF_lbbbEUlllE_EE10hipError_tT0_T1_T2_jT3_P12ihipStream_tbPNSt15iterator_traitsISL_E10value_typeEPNSR_ISM_E10value_typeEPSN_NS1_7vsmem_tEENKUlT_SL_SM_SN_E_clIS8_S8_S9_S9_EESK_S10_SL_SM_SN_EUlS10_E0_NS1_11comp_targetILNS1_3genE4ELNS1_11target_archE910ELNS1_3gpuE8ELNS1_3repE0EEENS1_38merge_mergepath_config_static_selectorELNS0_4arch9wavefront6targetE1EEEvSM_
; %bb.0:
	.section	.rodata,"a",@progbits
	.p2align	6, 0x0
	.amdhsa_kernel _ZN7rocprim17ROCPRIM_400000_NS6detail17trampoline_kernelINS0_14default_configENS1_38merge_sort_block_merge_config_selectorIlNS0_10empty_typeEEEZZNS1_27merge_sort_block_merge_implIS3_PlPS5_mZN2at6native12_GLOBAL__N_124unique_dim_cuda_templateIjEESt5tupleIJNSA_6TensorESF_SF_EERKSF_lbbbEUlllE_EE10hipError_tT0_T1_T2_jT3_P12ihipStream_tbPNSt15iterator_traitsISL_E10value_typeEPNSR_ISM_E10value_typeEPSN_NS1_7vsmem_tEENKUlT_SL_SM_SN_E_clIS8_S8_S9_S9_EESK_S10_SL_SM_SN_EUlS10_E0_NS1_11comp_targetILNS1_3genE4ELNS1_11target_archE910ELNS1_3gpuE8ELNS1_3repE0EEENS1_38merge_mergepath_config_static_selectorELNS0_4arch9wavefront6targetE1EEEvSM_
		.amdhsa_group_segment_fixed_size 0
		.amdhsa_private_segment_fixed_size 0
		.amdhsa_kernarg_size 88
		.amdhsa_user_sgpr_count 2
		.amdhsa_user_sgpr_dispatch_ptr 0
		.amdhsa_user_sgpr_queue_ptr 0
		.amdhsa_user_sgpr_kernarg_segment_ptr 1
		.amdhsa_user_sgpr_dispatch_id 0
		.amdhsa_user_sgpr_kernarg_preload_length 0
		.amdhsa_user_sgpr_kernarg_preload_offset 0
		.amdhsa_user_sgpr_private_segment_size 0
		.amdhsa_uses_dynamic_stack 0
		.amdhsa_enable_private_segment 0
		.amdhsa_system_sgpr_workgroup_id_x 1
		.amdhsa_system_sgpr_workgroup_id_y 0
		.amdhsa_system_sgpr_workgroup_id_z 0
		.amdhsa_system_sgpr_workgroup_info 0
		.amdhsa_system_vgpr_workitem_id 0
		.amdhsa_next_free_vgpr 1
		.amdhsa_next_free_sgpr 0
		.amdhsa_accum_offset 4
		.amdhsa_reserve_vcc 0
		.amdhsa_float_round_mode_32 0
		.amdhsa_float_round_mode_16_64 0
		.amdhsa_float_denorm_mode_32 3
		.amdhsa_float_denorm_mode_16_64 3
		.amdhsa_dx10_clamp 1
		.amdhsa_ieee_mode 1
		.amdhsa_fp16_overflow 0
		.amdhsa_tg_split 0
		.amdhsa_exception_fp_ieee_invalid_op 0
		.amdhsa_exception_fp_denorm_src 0
		.amdhsa_exception_fp_ieee_div_zero 0
		.amdhsa_exception_fp_ieee_overflow 0
		.amdhsa_exception_fp_ieee_underflow 0
		.amdhsa_exception_fp_ieee_inexact 0
		.amdhsa_exception_int_div_zero 0
	.end_amdhsa_kernel
	.section	.text._ZN7rocprim17ROCPRIM_400000_NS6detail17trampoline_kernelINS0_14default_configENS1_38merge_sort_block_merge_config_selectorIlNS0_10empty_typeEEEZZNS1_27merge_sort_block_merge_implIS3_PlPS5_mZN2at6native12_GLOBAL__N_124unique_dim_cuda_templateIjEESt5tupleIJNSA_6TensorESF_SF_EERKSF_lbbbEUlllE_EE10hipError_tT0_T1_T2_jT3_P12ihipStream_tbPNSt15iterator_traitsISL_E10value_typeEPNSR_ISM_E10value_typeEPSN_NS1_7vsmem_tEENKUlT_SL_SM_SN_E_clIS8_S8_S9_S9_EESK_S10_SL_SM_SN_EUlS10_E0_NS1_11comp_targetILNS1_3genE4ELNS1_11target_archE910ELNS1_3gpuE8ELNS1_3repE0EEENS1_38merge_mergepath_config_static_selectorELNS0_4arch9wavefront6targetE1EEEvSM_,"axG",@progbits,_ZN7rocprim17ROCPRIM_400000_NS6detail17trampoline_kernelINS0_14default_configENS1_38merge_sort_block_merge_config_selectorIlNS0_10empty_typeEEEZZNS1_27merge_sort_block_merge_implIS3_PlPS5_mZN2at6native12_GLOBAL__N_124unique_dim_cuda_templateIjEESt5tupleIJNSA_6TensorESF_SF_EERKSF_lbbbEUlllE_EE10hipError_tT0_T1_T2_jT3_P12ihipStream_tbPNSt15iterator_traitsISL_E10value_typeEPNSR_ISM_E10value_typeEPSN_NS1_7vsmem_tEENKUlT_SL_SM_SN_E_clIS8_S8_S9_S9_EESK_S10_SL_SM_SN_EUlS10_E0_NS1_11comp_targetILNS1_3genE4ELNS1_11target_archE910ELNS1_3gpuE8ELNS1_3repE0EEENS1_38merge_mergepath_config_static_selectorELNS0_4arch9wavefront6targetE1EEEvSM_,comdat
.Lfunc_end1513:
	.size	_ZN7rocprim17ROCPRIM_400000_NS6detail17trampoline_kernelINS0_14default_configENS1_38merge_sort_block_merge_config_selectorIlNS0_10empty_typeEEEZZNS1_27merge_sort_block_merge_implIS3_PlPS5_mZN2at6native12_GLOBAL__N_124unique_dim_cuda_templateIjEESt5tupleIJNSA_6TensorESF_SF_EERKSF_lbbbEUlllE_EE10hipError_tT0_T1_T2_jT3_P12ihipStream_tbPNSt15iterator_traitsISL_E10value_typeEPNSR_ISM_E10value_typeEPSN_NS1_7vsmem_tEENKUlT_SL_SM_SN_E_clIS8_S8_S9_S9_EESK_S10_SL_SM_SN_EUlS10_E0_NS1_11comp_targetILNS1_3genE4ELNS1_11target_archE910ELNS1_3gpuE8ELNS1_3repE0EEENS1_38merge_mergepath_config_static_selectorELNS0_4arch9wavefront6targetE1EEEvSM_, .Lfunc_end1513-_ZN7rocprim17ROCPRIM_400000_NS6detail17trampoline_kernelINS0_14default_configENS1_38merge_sort_block_merge_config_selectorIlNS0_10empty_typeEEEZZNS1_27merge_sort_block_merge_implIS3_PlPS5_mZN2at6native12_GLOBAL__N_124unique_dim_cuda_templateIjEESt5tupleIJNSA_6TensorESF_SF_EERKSF_lbbbEUlllE_EE10hipError_tT0_T1_T2_jT3_P12ihipStream_tbPNSt15iterator_traitsISL_E10value_typeEPNSR_ISM_E10value_typeEPSN_NS1_7vsmem_tEENKUlT_SL_SM_SN_E_clIS8_S8_S9_S9_EESK_S10_SL_SM_SN_EUlS10_E0_NS1_11comp_targetILNS1_3genE4ELNS1_11target_archE910ELNS1_3gpuE8ELNS1_3repE0EEENS1_38merge_mergepath_config_static_selectorELNS0_4arch9wavefront6targetE1EEEvSM_
                                        ; -- End function
	.section	.AMDGPU.csdata,"",@progbits
; Kernel info:
; codeLenInByte = 0
; NumSgprs: 6
; NumVgprs: 0
; NumAgprs: 0
; TotalNumVgprs: 0
; ScratchSize: 0
; MemoryBound: 0
; FloatMode: 240
; IeeeMode: 1
; LDSByteSize: 0 bytes/workgroup (compile time only)
; SGPRBlocks: 0
; VGPRBlocks: 0
; NumSGPRsForWavesPerEU: 6
; NumVGPRsForWavesPerEU: 1
; AccumOffset: 4
; Occupancy: 8
; WaveLimiterHint : 0
; COMPUTE_PGM_RSRC2:SCRATCH_EN: 0
; COMPUTE_PGM_RSRC2:USER_SGPR: 2
; COMPUTE_PGM_RSRC2:TRAP_HANDLER: 0
; COMPUTE_PGM_RSRC2:TGID_X_EN: 1
; COMPUTE_PGM_RSRC2:TGID_Y_EN: 0
; COMPUTE_PGM_RSRC2:TGID_Z_EN: 0
; COMPUTE_PGM_RSRC2:TIDIG_COMP_CNT: 0
; COMPUTE_PGM_RSRC3_GFX90A:ACCUM_OFFSET: 0
; COMPUTE_PGM_RSRC3_GFX90A:TG_SPLIT: 0
	.section	.text._ZN7rocprim17ROCPRIM_400000_NS6detail17trampoline_kernelINS0_14default_configENS1_38merge_sort_block_merge_config_selectorIlNS0_10empty_typeEEEZZNS1_27merge_sort_block_merge_implIS3_PlPS5_mZN2at6native12_GLOBAL__N_124unique_dim_cuda_templateIjEESt5tupleIJNSA_6TensorESF_SF_EERKSF_lbbbEUlllE_EE10hipError_tT0_T1_T2_jT3_P12ihipStream_tbPNSt15iterator_traitsISL_E10value_typeEPNSR_ISM_E10value_typeEPSN_NS1_7vsmem_tEENKUlT_SL_SM_SN_E_clIS8_S8_S9_S9_EESK_S10_SL_SM_SN_EUlS10_E0_NS1_11comp_targetILNS1_3genE3ELNS1_11target_archE908ELNS1_3gpuE7ELNS1_3repE0EEENS1_38merge_mergepath_config_static_selectorELNS0_4arch9wavefront6targetE1EEEvSM_,"axG",@progbits,_ZN7rocprim17ROCPRIM_400000_NS6detail17trampoline_kernelINS0_14default_configENS1_38merge_sort_block_merge_config_selectorIlNS0_10empty_typeEEEZZNS1_27merge_sort_block_merge_implIS3_PlPS5_mZN2at6native12_GLOBAL__N_124unique_dim_cuda_templateIjEESt5tupleIJNSA_6TensorESF_SF_EERKSF_lbbbEUlllE_EE10hipError_tT0_T1_T2_jT3_P12ihipStream_tbPNSt15iterator_traitsISL_E10value_typeEPNSR_ISM_E10value_typeEPSN_NS1_7vsmem_tEENKUlT_SL_SM_SN_E_clIS8_S8_S9_S9_EESK_S10_SL_SM_SN_EUlS10_E0_NS1_11comp_targetILNS1_3genE3ELNS1_11target_archE908ELNS1_3gpuE7ELNS1_3repE0EEENS1_38merge_mergepath_config_static_selectorELNS0_4arch9wavefront6targetE1EEEvSM_,comdat
	.globl	_ZN7rocprim17ROCPRIM_400000_NS6detail17trampoline_kernelINS0_14default_configENS1_38merge_sort_block_merge_config_selectorIlNS0_10empty_typeEEEZZNS1_27merge_sort_block_merge_implIS3_PlPS5_mZN2at6native12_GLOBAL__N_124unique_dim_cuda_templateIjEESt5tupleIJNSA_6TensorESF_SF_EERKSF_lbbbEUlllE_EE10hipError_tT0_T1_T2_jT3_P12ihipStream_tbPNSt15iterator_traitsISL_E10value_typeEPNSR_ISM_E10value_typeEPSN_NS1_7vsmem_tEENKUlT_SL_SM_SN_E_clIS8_S8_S9_S9_EESK_S10_SL_SM_SN_EUlS10_E0_NS1_11comp_targetILNS1_3genE3ELNS1_11target_archE908ELNS1_3gpuE7ELNS1_3repE0EEENS1_38merge_mergepath_config_static_selectorELNS0_4arch9wavefront6targetE1EEEvSM_ ; -- Begin function _ZN7rocprim17ROCPRIM_400000_NS6detail17trampoline_kernelINS0_14default_configENS1_38merge_sort_block_merge_config_selectorIlNS0_10empty_typeEEEZZNS1_27merge_sort_block_merge_implIS3_PlPS5_mZN2at6native12_GLOBAL__N_124unique_dim_cuda_templateIjEESt5tupleIJNSA_6TensorESF_SF_EERKSF_lbbbEUlllE_EE10hipError_tT0_T1_T2_jT3_P12ihipStream_tbPNSt15iterator_traitsISL_E10value_typeEPNSR_ISM_E10value_typeEPSN_NS1_7vsmem_tEENKUlT_SL_SM_SN_E_clIS8_S8_S9_S9_EESK_S10_SL_SM_SN_EUlS10_E0_NS1_11comp_targetILNS1_3genE3ELNS1_11target_archE908ELNS1_3gpuE7ELNS1_3repE0EEENS1_38merge_mergepath_config_static_selectorELNS0_4arch9wavefront6targetE1EEEvSM_
	.p2align	8
	.type	_ZN7rocprim17ROCPRIM_400000_NS6detail17trampoline_kernelINS0_14default_configENS1_38merge_sort_block_merge_config_selectorIlNS0_10empty_typeEEEZZNS1_27merge_sort_block_merge_implIS3_PlPS5_mZN2at6native12_GLOBAL__N_124unique_dim_cuda_templateIjEESt5tupleIJNSA_6TensorESF_SF_EERKSF_lbbbEUlllE_EE10hipError_tT0_T1_T2_jT3_P12ihipStream_tbPNSt15iterator_traitsISL_E10value_typeEPNSR_ISM_E10value_typeEPSN_NS1_7vsmem_tEENKUlT_SL_SM_SN_E_clIS8_S8_S9_S9_EESK_S10_SL_SM_SN_EUlS10_E0_NS1_11comp_targetILNS1_3genE3ELNS1_11target_archE908ELNS1_3gpuE7ELNS1_3repE0EEENS1_38merge_mergepath_config_static_selectorELNS0_4arch9wavefront6targetE1EEEvSM_,@function
_ZN7rocprim17ROCPRIM_400000_NS6detail17trampoline_kernelINS0_14default_configENS1_38merge_sort_block_merge_config_selectorIlNS0_10empty_typeEEEZZNS1_27merge_sort_block_merge_implIS3_PlPS5_mZN2at6native12_GLOBAL__N_124unique_dim_cuda_templateIjEESt5tupleIJNSA_6TensorESF_SF_EERKSF_lbbbEUlllE_EE10hipError_tT0_T1_T2_jT3_P12ihipStream_tbPNSt15iterator_traitsISL_E10value_typeEPNSR_ISM_E10value_typeEPSN_NS1_7vsmem_tEENKUlT_SL_SM_SN_E_clIS8_S8_S9_S9_EESK_S10_SL_SM_SN_EUlS10_E0_NS1_11comp_targetILNS1_3genE3ELNS1_11target_archE908ELNS1_3gpuE7ELNS1_3repE0EEENS1_38merge_mergepath_config_static_selectorELNS0_4arch9wavefront6targetE1EEEvSM_: ; @_ZN7rocprim17ROCPRIM_400000_NS6detail17trampoline_kernelINS0_14default_configENS1_38merge_sort_block_merge_config_selectorIlNS0_10empty_typeEEEZZNS1_27merge_sort_block_merge_implIS3_PlPS5_mZN2at6native12_GLOBAL__N_124unique_dim_cuda_templateIjEESt5tupleIJNSA_6TensorESF_SF_EERKSF_lbbbEUlllE_EE10hipError_tT0_T1_T2_jT3_P12ihipStream_tbPNSt15iterator_traitsISL_E10value_typeEPNSR_ISM_E10value_typeEPSN_NS1_7vsmem_tEENKUlT_SL_SM_SN_E_clIS8_S8_S9_S9_EESK_S10_SL_SM_SN_EUlS10_E0_NS1_11comp_targetILNS1_3genE3ELNS1_11target_archE908ELNS1_3gpuE7ELNS1_3repE0EEENS1_38merge_mergepath_config_static_selectorELNS0_4arch9wavefront6targetE1EEEvSM_
; %bb.0:
	.section	.rodata,"a",@progbits
	.p2align	6, 0x0
	.amdhsa_kernel _ZN7rocprim17ROCPRIM_400000_NS6detail17trampoline_kernelINS0_14default_configENS1_38merge_sort_block_merge_config_selectorIlNS0_10empty_typeEEEZZNS1_27merge_sort_block_merge_implIS3_PlPS5_mZN2at6native12_GLOBAL__N_124unique_dim_cuda_templateIjEESt5tupleIJNSA_6TensorESF_SF_EERKSF_lbbbEUlllE_EE10hipError_tT0_T1_T2_jT3_P12ihipStream_tbPNSt15iterator_traitsISL_E10value_typeEPNSR_ISM_E10value_typeEPSN_NS1_7vsmem_tEENKUlT_SL_SM_SN_E_clIS8_S8_S9_S9_EESK_S10_SL_SM_SN_EUlS10_E0_NS1_11comp_targetILNS1_3genE3ELNS1_11target_archE908ELNS1_3gpuE7ELNS1_3repE0EEENS1_38merge_mergepath_config_static_selectorELNS0_4arch9wavefront6targetE1EEEvSM_
		.amdhsa_group_segment_fixed_size 0
		.amdhsa_private_segment_fixed_size 0
		.amdhsa_kernarg_size 88
		.amdhsa_user_sgpr_count 2
		.amdhsa_user_sgpr_dispatch_ptr 0
		.amdhsa_user_sgpr_queue_ptr 0
		.amdhsa_user_sgpr_kernarg_segment_ptr 1
		.amdhsa_user_sgpr_dispatch_id 0
		.amdhsa_user_sgpr_kernarg_preload_length 0
		.amdhsa_user_sgpr_kernarg_preload_offset 0
		.amdhsa_user_sgpr_private_segment_size 0
		.amdhsa_uses_dynamic_stack 0
		.amdhsa_enable_private_segment 0
		.amdhsa_system_sgpr_workgroup_id_x 1
		.amdhsa_system_sgpr_workgroup_id_y 0
		.amdhsa_system_sgpr_workgroup_id_z 0
		.amdhsa_system_sgpr_workgroup_info 0
		.amdhsa_system_vgpr_workitem_id 0
		.amdhsa_next_free_vgpr 1
		.amdhsa_next_free_sgpr 0
		.amdhsa_accum_offset 4
		.amdhsa_reserve_vcc 0
		.amdhsa_float_round_mode_32 0
		.amdhsa_float_round_mode_16_64 0
		.amdhsa_float_denorm_mode_32 3
		.amdhsa_float_denorm_mode_16_64 3
		.amdhsa_dx10_clamp 1
		.amdhsa_ieee_mode 1
		.amdhsa_fp16_overflow 0
		.amdhsa_tg_split 0
		.amdhsa_exception_fp_ieee_invalid_op 0
		.amdhsa_exception_fp_denorm_src 0
		.amdhsa_exception_fp_ieee_div_zero 0
		.amdhsa_exception_fp_ieee_overflow 0
		.amdhsa_exception_fp_ieee_underflow 0
		.amdhsa_exception_fp_ieee_inexact 0
		.amdhsa_exception_int_div_zero 0
	.end_amdhsa_kernel
	.section	.text._ZN7rocprim17ROCPRIM_400000_NS6detail17trampoline_kernelINS0_14default_configENS1_38merge_sort_block_merge_config_selectorIlNS0_10empty_typeEEEZZNS1_27merge_sort_block_merge_implIS3_PlPS5_mZN2at6native12_GLOBAL__N_124unique_dim_cuda_templateIjEESt5tupleIJNSA_6TensorESF_SF_EERKSF_lbbbEUlllE_EE10hipError_tT0_T1_T2_jT3_P12ihipStream_tbPNSt15iterator_traitsISL_E10value_typeEPNSR_ISM_E10value_typeEPSN_NS1_7vsmem_tEENKUlT_SL_SM_SN_E_clIS8_S8_S9_S9_EESK_S10_SL_SM_SN_EUlS10_E0_NS1_11comp_targetILNS1_3genE3ELNS1_11target_archE908ELNS1_3gpuE7ELNS1_3repE0EEENS1_38merge_mergepath_config_static_selectorELNS0_4arch9wavefront6targetE1EEEvSM_,"axG",@progbits,_ZN7rocprim17ROCPRIM_400000_NS6detail17trampoline_kernelINS0_14default_configENS1_38merge_sort_block_merge_config_selectorIlNS0_10empty_typeEEEZZNS1_27merge_sort_block_merge_implIS3_PlPS5_mZN2at6native12_GLOBAL__N_124unique_dim_cuda_templateIjEESt5tupleIJNSA_6TensorESF_SF_EERKSF_lbbbEUlllE_EE10hipError_tT0_T1_T2_jT3_P12ihipStream_tbPNSt15iterator_traitsISL_E10value_typeEPNSR_ISM_E10value_typeEPSN_NS1_7vsmem_tEENKUlT_SL_SM_SN_E_clIS8_S8_S9_S9_EESK_S10_SL_SM_SN_EUlS10_E0_NS1_11comp_targetILNS1_3genE3ELNS1_11target_archE908ELNS1_3gpuE7ELNS1_3repE0EEENS1_38merge_mergepath_config_static_selectorELNS0_4arch9wavefront6targetE1EEEvSM_,comdat
.Lfunc_end1514:
	.size	_ZN7rocprim17ROCPRIM_400000_NS6detail17trampoline_kernelINS0_14default_configENS1_38merge_sort_block_merge_config_selectorIlNS0_10empty_typeEEEZZNS1_27merge_sort_block_merge_implIS3_PlPS5_mZN2at6native12_GLOBAL__N_124unique_dim_cuda_templateIjEESt5tupleIJNSA_6TensorESF_SF_EERKSF_lbbbEUlllE_EE10hipError_tT0_T1_T2_jT3_P12ihipStream_tbPNSt15iterator_traitsISL_E10value_typeEPNSR_ISM_E10value_typeEPSN_NS1_7vsmem_tEENKUlT_SL_SM_SN_E_clIS8_S8_S9_S9_EESK_S10_SL_SM_SN_EUlS10_E0_NS1_11comp_targetILNS1_3genE3ELNS1_11target_archE908ELNS1_3gpuE7ELNS1_3repE0EEENS1_38merge_mergepath_config_static_selectorELNS0_4arch9wavefront6targetE1EEEvSM_, .Lfunc_end1514-_ZN7rocprim17ROCPRIM_400000_NS6detail17trampoline_kernelINS0_14default_configENS1_38merge_sort_block_merge_config_selectorIlNS0_10empty_typeEEEZZNS1_27merge_sort_block_merge_implIS3_PlPS5_mZN2at6native12_GLOBAL__N_124unique_dim_cuda_templateIjEESt5tupleIJNSA_6TensorESF_SF_EERKSF_lbbbEUlllE_EE10hipError_tT0_T1_T2_jT3_P12ihipStream_tbPNSt15iterator_traitsISL_E10value_typeEPNSR_ISM_E10value_typeEPSN_NS1_7vsmem_tEENKUlT_SL_SM_SN_E_clIS8_S8_S9_S9_EESK_S10_SL_SM_SN_EUlS10_E0_NS1_11comp_targetILNS1_3genE3ELNS1_11target_archE908ELNS1_3gpuE7ELNS1_3repE0EEENS1_38merge_mergepath_config_static_selectorELNS0_4arch9wavefront6targetE1EEEvSM_
                                        ; -- End function
	.section	.AMDGPU.csdata,"",@progbits
; Kernel info:
; codeLenInByte = 0
; NumSgprs: 6
; NumVgprs: 0
; NumAgprs: 0
; TotalNumVgprs: 0
; ScratchSize: 0
; MemoryBound: 0
; FloatMode: 240
; IeeeMode: 1
; LDSByteSize: 0 bytes/workgroup (compile time only)
; SGPRBlocks: 0
; VGPRBlocks: 0
; NumSGPRsForWavesPerEU: 6
; NumVGPRsForWavesPerEU: 1
; AccumOffset: 4
; Occupancy: 8
; WaveLimiterHint : 0
; COMPUTE_PGM_RSRC2:SCRATCH_EN: 0
; COMPUTE_PGM_RSRC2:USER_SGPR: 2
; COMPUTE_PGM_RSRC2:TRAP_HANDLER: 0
; COMPUTE_PGM_RSRC2:TGID_X_EN: 1
; COMPUTE_PGM_RSRC2:TGID_Y_EN: 0
; COMPUTE_PGM_RSRC2:TGID_Z_EN: 0
; COMPUTE_PGM_RSRC2:TIDIG_COMP_CNT: 0
; COMPUTE_PGM_RSRC3_GFX90A:ACCUM_OFFSET: 0
; COMPUTE_PGM_RSRC3_GFX90A:TG_SPLIT: 0
	.section	.text._ZN7rocprim17ROCPRIM_400000_NS6detail17trampoline_kernelINS0_14default_configENS1_38merge_sort_block_merge_config_selectorIlNS0_10empty_typeEEEZZNS1_27merge_sort_block_merge_implIS3_PlPS5_mZN2at6native12_GLOBAL__N_124unique_dim_cuda_templateIjEESt5tupleIJNSA_6TensorESF_SF_EERKSF_lbbbEUlllE_EE10hipError_tT0_T1_T2_jT3_P12ihipStream_tbPNSt15iterator_traitsISL_E10value_typeEPNSR_ISM_E10value_typeEPSN_NS1_7vsmem_tEENKUlT_SL_SM_SN_E_clIS8_S8_S9_S9_EESK_S10_SL_SM_SN_EUlS10_E0_NS1_11comp_targetILNS1_3genE2ELNS1_11target_archE906ELNS1_3gpuE6ELNS1_3repE0EEENS1_38merge_mergepath_config_static_selectorELNS0_4arch9wavefront6targetE1EEEvSM_,"axG",@progbits,_ZN7rocprim17ROCPRIM_400000_NS6detail17trampoline_kernelINS0_14default_configENS1_38merge_sort_block_merge_config_selectorIlNS0_10empty_typeEEEZZNS1_27merge_sort_block_merge_implIS3_PlPS5_mZN2at6native12_GLOBAL__N_124unique_dim_cuda_templateIjEESt5tupleIJNSA_6TensorESF_SF_EERKSF_lbbbEUlllE_EE10hipError_tT0_T1_T2_jT3_P12ihipStream_tbPNSt15iterator_traitsISL_E10value_typeEPNSR_ISM_E10value_typeEPSN_NS1_7vsmem_tEENKUlT_SL_SM_SN_E_clIS8_S8_S9_S9_EESK_S10_SL_SM_SN_EUlS10_E0_NS1_11comp_targetILNS1_3genE2ELNS1_11target_archE906ELNS1_3gpuE6ELNS1_3repE0EEENS1_38merge_mergepath_config_static_selectorELNS0_4arch9wavefront6targetE1EEEvSM_,comdat
	.globl	_ZN7rocprim17ROCPRIM_400000_NS6detail17trampoline_kernelINS0_14default_configENS1_38merge_sort_block_merge_config_selectorIlNS0_10empty_typeEEEZZNS1_27merge_sort_block_merge_implIS3_PlPS5_mZN2at6native12_GLOBAL__N_124unique_dim_cuda_templateIjEESt5tupleIJNSA_6TensorESF_SF_EERKSF_lbbbEUlllE_EE10hipError_tT0_T1_T2_jT3_P12ihipStream_tbPNSt15iterator_traitsISL_E10value_typeEPNSR_ISM_E10value_typeEPSN_NS1_7vsmem_tEENKUlT_SL_SM_SN_E_clIS8_S8_S9_S9_EESK_S10_SL_SM_SN_EUlS10_E0_NS1_11comp_targetILNS1_3genE2ELNS1_11target_archE906ELNS1_3gpuE6ELNS1_3repE0EEENS1_38merge_mergepath_config_static_selectorELNS0_4arch9wavefront6targetE1EEEvSM_ ; -- Begin function _ZN7rocprim17ROCPRIM_400000_NS6detail17trampoline_kernelINS0_14default_configENS1_38merge_sort_block_merge_config_selectorIlNS0_10empty_typeEEEZZNS1_27merge_sort_block_merge_implIS3_PlPS5_mZN2at6native12_GLOBAL__N_124unique_dim_cuda_templateIjEESt5tupleIJNSA_6TensorESF_SF_EERKSF_lbbbEUlllE_EE10hipError_tT0_T1_T2_jT3_P12ihipStream_tbPNSt15iterator_traitsISL_E10value_typeEPNSR_ISM_E10value_typeEPSN_NS1_7vsmem_tEENKUlT_SL_SM_SN_E_clIS8_S8_S9_S9_EESK_S10_SL_SM_SN_EUlS10_E0_NS1_11comp_targetILNS1_3genE2ELNS1_11target_archE906ELNS1_3gpuE6ELNS1_3repE0EEENS1_38merge_mergepath_config_static_selectorELNS0_4arch9wavefront6targetE1EEEvSM_
	.p2align	8
	.type	_ZN7rocprim17ROCPRIM_400000_NS6detail17trampoline_kernelINS0_14default_configENS1_38merge_sort_block_merge_config_selectorIlNS0_10empty_typeEEEZZNS1_27merge_sort_block_merge_implIS3_PlPS5_mZN2at6native12_GLOBAL__N_124unique_dim_cuda_templateIjEESt5tupleIJNSA_6TensorESF_SF_EERKSF_lbbbEUlllE_EE10hipError_tT0_T1_T2_jT3_P12ihipStream_tbPNSt15iterator_traitsISL_E10value_typeEPNSR_ISM_E10value_typeEPSN_NS1_7vsmem_tEENKUlT_SL_SM_SN_E_clIS8_S8_S9_S9_EESK_S10_SL_SM_SN_EUlS10_E0_NS1_11comp_targetILNS1_3genE2ELNS1_11target_archE906ELNS1_3gpuE6ELNS1_3repE0EEENS1_38merge_mergepath_config_static_selectorELNS0_4arch9wavefront6targetE1EEEvSM_,@function
_ZN7rocprim17ROCPRIM_400000_NS6detail17trampoline_kernelINS0_14default_configENS1_38merge_sort_block_merge_config_selectorIlNS0_10empty_typeEEEZZNS1_27merge_sort_block_merge_implIS3_PlPS5_mZN2at6native12_GLOBAL__N_124unique_dim_cuda_templateIjEESt5tupleIJNSA_6TensorESF_SF_EERKSF_lbbbEUlllE_EE10hipError_tT0_T1_T2_jT3_P12ihipStream_tbPNSt15iterator_traitsISL_E10value_typeEPNSR_ISM_E10value_typeEPSN_NS1_7vsmem_tEENKUlT_SL_SM_SN_E_clIS8_S8_S9_S9_EESK_S10_SL_SM_SN_EUlS10_E0_NS1_11comp_targetILNS1_3genE2ELNS1_11target_archE906ELNS1_3gpuE6ELNS1_3repE0EEENS1_38merge_mergepath_config_static_selectorELNS0_4arch9wavefront6targetE1EEEvSM_: ; @_ZN7rocprim17ROCPRIM_400000_NS6detail17trampoline_kernelINS0_14default_configENS1_38merge_sort_block_merge_config_selectorIlNS0_10empty_typeEEEZZNS1_27merge_sort_block_merge_implIS3_PlPS5_mZN2at6native12_GLOBAL__N_124unique_dim_cuda_templateIjEESt5tupleIJNSA_6TensorESF_SF_EERKSF_lbbbEUlllE_EE10hipError_tT0_T1_T2_jT3_P12ihipStream_tbPNSt15iterator_traitsISL_E10value_typeEPNSR_ISM_E10value_typeEPSN_NS1_7vsmem_tEENKUlT_SL_SM_SN_E_clIS8_S8_S9_S9_EESK_S10_SL_SM_SN_EUlS10_E0_NS1_11comp_targetILNS1_3genE2ELNS1_11target_archE906ELNS1_3gpuE6ELNS1_3repE0EEENS1_38merge_mergepath_config_static_selectorELNS0_4arch9wavefront6targetE1EEEvSM_
; %bb.0:
	.section	.rodata,"a",@progbits
	.p2align	6, 0x0
	.amdhsa_kernel _ZN7rocprim17ROCPRIM_400000_NS6detail17trampoline_kernelINS0_14default_configENS1_38merge_sort_block_merge_config_selectorIlNS0_10empty_typeEEEZZNS1_27merge_sort_block_merge_implIS3_PlPS5_mZN2at6native12_GLOBAL__N_124unique_dim_cuda_templateIjEESt5tupleIJNSA_6TensorESF_SF_EERKSF_lbbbEUlllE_EE10hipError_tT0_T1_T2_jT3_P12ihipStream_tbPNSt15iterator_traitsISL_E10value_typeEPNSR_ISM_E10value_typeEPSN_NS1_7vsmem_tEENKUlT_SL_SM_SN_E_clIS8_S8_S9_S9_EESK_S10_SL_SM_SN_EUlS10_E0_NS1_11comp_targetILNS1_3genE2ELNS1_11target_archE906ELNS1_3gpuE6ELNS1_3repE0EEENS1_38merge_mergepath_config_static_selectorELNS0_4arch9wavefront6targetE1EEEvSM_
		.amdhsa_group_segment_fixed_size 0
		.amdhsa_private_segment_fixed_size 0
		.amdhsa_kernarg_size 88
		.amdhsa_user_sgpr_count 2
		.amdhsa_user_sgpr_dispatch_ptr 0
		.amdhsa_user_sgpr_queue_ptr 0
		.amdhsa_user_sgpr_kernarg_segment_ptr 1
		.amdhsa_user_sgpr_dispatch_id 0
		.amdhsa_user_sgpr_kernarg_preload_length 0
		.amdhsa_user_sgpr_kernarg_preload_offset 0
		.amdhsa_user_sgpr_private_segment_size 0
		.amdhsa_uses_dynamic_stack 0
		.amdhsa_enable_private_segment 0
		.amdhsa_system_sgpr_workgroup_id_x 1
		.amdhsa_system_sgpr_workgroup_id_y 0
		.amdhsa_system_sgpr_workgroup_id_z 0
		.amdhsa_system_sgpr_workgroup_info 0
		.amdhsa_system_vgpr_workitem_id 0
		.amdhsa_next_free_vgpr 1
		.amdhsa_next_free_sgpr 0
		.amdhsa_accum_offset 4
		.amdhsa_reserve_vcc 0
		.amdhsa_float_round_mode_32 0
		.amdhsa_float_round_mode_16_64 0
		.amdhsa_float_denorm_mode_32 3
		.amdhsa_float_denorm_mode_16_64 3
		.amdhsa_dx10_clamp 1
		.amdhsa_ieee_mode 1
		.amdhsa_fp16_overflow 0
		.amdhsa_tg_split 0
		.amdhsa_exception_fp_ieee_invalid_op 0
		.amdhsa_exception_fp_denorm_src 0
		.amdhsa_exception_fp_ieee_div_zero 0
		.amdhsa_exception_fp_ieee_overflow 0
		.amdhsa_exception_fp_ieee_underflow 0
		.amdhsa_exception_fp_ieee_inexact 0
		.amdhsa_exception_int_div_zero 0
	.end_amdhsa_kernel
	.section	.text._ZN7rocprim17ROCPRIM_400000_NS6detail17trampoline_kernelINS0_14default_configENS1_38merge_sort_block_merge_config_selectorIlNS0_10empty_typeEEEZZNS1_27merge_sort_block_merge_implIS3_PlPS5_mZN2at6native12_GLOBAL__N_124unique_dim_cuda_templateIjEESt5tupleIJNSA_6TensorESF_SF_EERKSF_lbbbEUlllE_EE10hipError_tT0_T1_T2_jT3_P12ihipStream_tbPNSt15iterator_traitsISL_E10value_typeEPNSR_ISM_E10value_typeEPSN_NS1_7vsmem_tEENKUlT_SL_SM_SN_E_clIS8_S8_S9_S9_EESK_S10_SL_SM_SN_EUlS10_E0_NS1_11comp_targetILNS1_3genE2ELNS1_11target_archE906ELNS1_3gpuE6ELNS1_3repE0EEENS1_38merge_mergepath_config_static_selectorELNS0_4arch9wavefront6targetE1EEEvSM_,"axG",@progbits,_ZN7rocprim17ROCPRIM_400000_NS6detail17trampoline_kernelINS0_14default_configENS1_38merge_sort_block_merge_config_selectorIlNS0_10empty_typeEEEZZNS1_27merge_sort_block_merge_implIS3_PlPS5_mZN2at6native12_GLOBAL__N_124unique_dim_cuda_templateIjEESt5tupleIJNSA_6TensorESF_SF_EERKSF_lbbbEUlllE_EE10hipError_tT0_T1_T2_jT3_P12ihipStream_tbPNSt15iterator_traitsISL_E10value_typeEPNSR_ISM_E10value_typeEPSN_NS1_7vsmem_tEENKUlT_SL_SM_SN_E_clIS8_S8_S9_S9_EESK_S10_SL_SM_SN_EUlS10_E0_NS1_11comp_targetILNS1_3genE2ELNS1_11target_archE906ELNS1_3gpuE6ELNS1_3repE0EEENS1_38merge_mergepath_config_static_selectorELNS0_4arch9wavefront6targetE1EEEvSM_,comdat
.Lfunc_end1515:
	.size	_ZN7rocprim17ROCPRIM_400000_NS6detail17trampoline_kernelINS0_14default_configENS1_38merge_sort_block_merge_config_selectorIlNS0_10empty_typeEEEZZNS1_27merge_sort_block_merge_implIS3_PlPS5_mZN2at6native12_GLOBAL__N_124unique_dim_cuda_templateIjEESt5tupleIJNSA_6TensorESF_SF_EERKSF_lbbbEUlllE_EE10hipError_tT0_T1_T2_jT3_P12ihipStream_tbPNSt15iterator_traitsISL_E10value_typeEPNSR_ISM_E10value_typeEPSN_NS1_7vsmem_tEENKUlT_SL_SM_SN_E_clIS8_S8_S9_S9_EESK_S10_SL_SM_SN_EUlS10_E0_NS1_11comp_targetILNS1_3genE2ELNS1_11target_archE906ELNS1_3gpuE6ELNS1_3repE0EEENS1_38merge_mergepath_config_static_selectorELNS0_4arch9wavefront6targetE1EEEvSM_, .Lfunc_end1515-_ZN7rocprim17ROCPRIM_400000_NS6detail17trampoline_kernelINS0_14default_configENS1_38merge_sort_block_merge_config_selectorIlNS0_10empty_typeEEEZZNS1_27merge_sort_block_merge_implIS3_PlPS5_mZN2at6native12_GLOBAL__N_124unique_dim_cuda_templateIjEESt5tupleIJNSA_6TensorESF_SF_EERKSF_lbbbEUlllE_EE10hipError_tT0_T1_T2_jT3_P12ihipStream_tbPNSt15iterator_traitsISL_E10value_typeEPNSR_ISM_E10value_typeEPSN_NS1_7vsmem_tEENKUlT_SL_SM_SN_E_clIS8_S8_S9_S9_EESK_S10_SL_SM_SN_EUlS10_E0_NS1_11comp_targetILNS1_3genE2ELNS1_11target_archE906ELNS1_3gpuE6ELNS1_3repE0EEENS1_38merge_mergepath_config_static_selectorELNS0_4arch9wavefront6targetE1EEEvSM_
                                        ; -- End function
	.section	.AMDGPU.csdata,"",@progbits
; Kernel info:
; codeLenInByte = 0
; NumSgprs: 6
; NumVgprs: 0
; NumAgprs: 0
; TotalNumVgprs: 0
; ScratchSize: 0
; MemoryBound: 0
; FloatMode: 240
; IeeeMode: 1
; LDSByteSize: 0 bytes/workgroup (compile time only)
; SGPRBlocks: 0
; VGPRBlocks: 0
; NumSGPRsForWavesPerEU: 6
; NumVGPRsForWavesPerEU: 1
; AccumOffset: 4
; Occupancy: 8
; WaveLimiterHint : 0
; COMPUTE_PGM_RSRC2:SCRATCH_EN: 0
; COMPUTE_PGM_RSRC2:USER_SGPR: 2
; COMPUTE_PGM_RSRC2:TRAP_HANDLER: 0
; COMPUTE_PGM_RSRC2:TGID_X_EN: 1
; COMPUTE_PGM_RSRC2:TGID_Y_EN: 0
; COMPUTE_PGM_RSRC2:TGID_Z_EN: 0
; COMPUTE_PGM_RSRC2:TIDIG_COMP_CNT: 0
; COMPUTE_PGM_RSRC3_GFX90A:ACCUM_OFFSET: 0
; COMPUTE_PGM_RSRC3_GFX90A:TG_SPLIT: 0
	.section	.text._ZN7rocprim17ROCPRIM_400000_NS6detail17trampoline_kernelINS0_14default_configENS1_38merge_sort_block_merge_config_selectorIlNS0_10empty_typeEEEZZNS1_27merge_sort_block_merge_implIS3_PlPS5_mZN2at6native12_GLOBAL__N_124unique_dim_cuda_templateIjEESt5tupleIJNSA_6TensorESF_SF_EERKSF_lbbbEUlllE_EE10hipError_tT0_T1_T2_jT3_P12ihipStream_tbPNSt15iterator_traitsISL_E10value_typeEPNSR_ISM_E10value_typeEPSN_NS1_7vsmem_tEENKUlT_SL_SM_SN_E_clIS8_S8_S9_S9_EESK_S10_SL_SM_SN_EUlS10_E0_NS1_11comp_targetILNS1_3genE9ELNS1_11target_archE1100ELNS1_3gpuE3ELNS1_3repE0EEENS1_38merge_mergepath_config_static_selectorELNS0_4arch9wavefront6targetE1EEEvSM_,"axG",@progbits,_ZN7rocprim17ROCPRIM_400000_NS6detail17trampoline_kernelINS0_14default_configENS1_38merge_sort_block_merge_config_selectorIlNS0_10empty_typeEEEZZNS1_27merge_sort_block_merge_implIS3_PlPS5_mZN2at6native12_GLOBAL__N_124unique_dim_cuda_templateIjEESt5tupleIJNSA_6TensorESF_SF_EERKSF_lbbbEUlllE_EE10hipError_tT0_T1_T2_jT3_P12ihipStream_tbPNSt15iterator_traitsISL_E10value_typeEPNSR_ISM_E10value_typeEPSN_NS1_7vsmem_tEENKUlT_SL_SM_SN_E_clIS8_S8_S9_S9_EESK_S10_SL_SM_SN_EUlS10_E0_NS1_11comp_targetILNS1_3genE9ELNS1_11target_archE1100ELNS1_3gpuE3ELNS1_3repE0EEENS1_38merge_mergepath_config_static_selectorELNS0_4arch9wavefront6targetE1EEEvSM_,comdat
	.globl	_ZN7rocprim17ROCPRIM_400000_NS6detail17trampoline_kernelINS0_14default_configENS1_38merge_sort_block_merge_config_selectorIlNS0_10empty_typeEEEZZNS1_27merge_sort_block_merge_implIS3_PlPS5_mZN2at6native12_GLOBAL__N_124unique_dim_cuda_templateIjEESt5tupleIJNSA_6TensorESF_SF_EERKSF_lbbbEUlllE_EE10hipError_tT0_T1_T2_jT3_P12ihipStream_tbPNSt15iterator_traitsISL_E10value_typeEPNSR_ISM_E10value_typeEPSN_NS1_7vsmem_tEENKUlT_SL_SM_SN_E_clIS8_S8_S9_S9_EESK_S10_SL_SM_SN_EUlS10_E0_NS1_11comp_targetILNS1_3genE9ELNS1_11target_archE1100ELNS1_3gpuE3ELNS1_3repE0EEENS1_38merge_mergepath_config_static_selectorELNS0_4arch9wavefront6targetE1EEEvSM_ ; -- Begin function _ZN7rocprim17ROCPRIM_400000_NS6detail17trampoline_kernelINS0_14default_configENS1_38merge_sort_block_merge_config_selectorIlNS0_10empty_typeEEEZZNS1_27merge_sort_block_merge_implIS3_PlPS5_mZN2at6native12_GLOBAL__N_124unique_dim_cuda_templateIjEESt5tupleIJNSA_6TensorESF_SF_EERKSF_lbbbEUlllE_EE10hipError_tT0_T1_T2_jT3_P12ihipStream_tbPNSt15iterator_traitsISL_E10value_typeEPNSR_ISM_E10value_typeEPSN_NS1_7vsmem_tEENKUlT_SL_SM_SN_E_clIS8_S8_S9_S9_EESK_S10_SL_SM_SN_EUlS10_E0_NS1_11comp_targetILNS1_3genE9ELNS1_11target_archE1100ELNS1_3gpuE3ELNS1_3repE0EEENS1_38merge_mergepath_config_static_selectorELNS0_4arch9wavefront6targetE1EEEvSM_
	.p2align	8
	.type	_ZN7rocprim17ROCPRIM_400000_NS6detail17trampoline_kernelINS0_14default_configENS1_38merge_sort_block_merge_config_selectorIlNS0_10empty_typeEEEZZNS1_27merge_sort_block_merge_implIS3_PlPS5_mZN2at6native12_GLOBAL__N_124unique_dim_cuda_templateIjEESt5tupleIJNSA_6TensorESF_SF_EERKSF_lbbbEUlllE_EE10hipError_tT0_T1_T2_jT3_P12ihipStream_tbPNSt15iterator_traitsISL_E10value_typeEPNSR_ISM_E10value_typeEPSN_NS1_7vsmem_tEENKUlT_SL_SM_SN_E_clIS8_S8_S9_S9_EESK_S10_SL_SM_SN_EUlS10_E0_NS1_11comp_targetILNS1_3genE9ELNS1_11target_archE1100ELNS1_3gpuE3ELNS1_3repE0EEENS1_38merge_mergepath_config_static_selectorELNS0_4arch9wavefront6targetE1EEEvSM_,@function
_ZN7rocprim17ROCPRIM_400000_NS6detail17trampoline_kernelINS0_14default_configENS1_38merge_sort_block_merge_config_selectorIlNS0_10empty_typeEEEZZNS1_27merge_sort_block_merge_implIS3_PlPS5_mZN2at6native12_GLOBAL__N_124unique_dim_cuda_templateIjEESt5tupleIJNSA_6TensorESF_SF_EERKSF_lbbbEUlllE_EE10hipError_tT0_T1_T2_jT3_P12ihipStream_tbPNSt15iterator_traitsISL_E10value_typeEPNSR_ISM_E10value_typeEPSN_NS1_7vsmem_tEENKUlT_SL_SM_SN_E_clIS8_S8_S9_S9_EESK_S10_SL_SM_SN_EUlS10_E0_NS1_11comp_targetILNS1_3genE9ELNS1_11target_archE1100ELNS1_3gpuE3ELNS1_3repE0EEENS1_38merge_mergepath_config_static_selectorELNS0_4arch9wavefront6targetE1EEEvSM_: ; @_ZN7rocprim17ROCPRIM_400000_NS6detail17trampoline_kernelINS0_14default_configENS1_38merge_sort_block_merge_config_selectorIlNS0_10empty_typeEEEZZNS1_27merge_sort_block_merge_implIS3_PlPS5_mZN2at6native12_GLOBAL__N_124unique_dim_cuda_templateIjEESt5tupleIJNSA_6TensorESF_SF_EERKSF_lbbbEUlllE_EE10hipError_tT0_T1_T2_jT3_P12ihipStream_tbPNSt15iterator_traitsISL_E10value_typeEPNSR_ISM_E10value_typeEPSN_NS1_7vsmem_tEENKUlT_SL_SM_SN_E_clIS8_S8_S9_S9_EESK_S10_SL_SM_SN_EUlS10_E0_NS1_11comp_targetILNS1_3genE9ELNS1_11target_archE1100ELNS1_3gpuE3ELNS1_3repE0EEENS1_38merge_mergepath_config_static_selectorELNS0_4arch9wavefront6targetE1EEEvSM_
; %bb.0:
	.section	.rodata,"a",@progbits
	.p2align	6, 0x0
	.amdhsa_kernel _ZN7rocprim17ROCPRIM_400000_NS6detail17trampoline_kernelINS0_14default_configENS1_38merge_sort_block_merge_config_selectorIlNS0_10empty_typeEEEZZNS1_27merge_sort_block_merge_implIS3_PlPS5_mZN2at6native12_GLOBAL__N_124unique_dim_cuda_templateIjEESt5tupleIJNSA_6TensorESF_SF_EERKSF_lbbbEUlllE_EE10hipError_tT0_T1_T2_jT3_P12ihipStream_tbPNSt15iterator_traitsISL_E10value_typeEPNSR_ISM_E10value_typeEPSN_NS1_7vsmem_tEENKUlT_SL_SM_SN_E_clIS8_S8_S9_S9_EESK_S10_SL_SM_SN_EUlS10_E0_NS1_11comp_targetILNS1_3genE9ELNS1_11target_archE1100ELNS1_3gpuE3ELNS1_3repE0EEENS1_38merge_mergepath_config_static_selectorELNS0_4arch9wavefront6targetE1EEEvSM_
		.amdhsa_group_segment_fixed_size 0
		.amdhsa_private_segment_fixed_size 0
		.amdhsa_kernarg_size 88
		.amdhsa_user_sgpr_count 2
		.amdhsa_user_sgpr_dispatch_ptr 0
		.amdhsa_user_sgpr_queue_ptr 0
		.amdhsa_user_sgpr_kernarg_segment_ptr 1
		.amdhsa_user_sgpr_dispatch_id 0
		.amdhsa_user_sgpr_kernarg_preload_length 0
		.amdhsa_user_sgpr_kernarg_preload_offset 0
		.amdhsa_user_sgpr_private_segment_size 0
		.amdhsa_uses_dynamic_stack 0
		.amdhsa_enable_private_segment 0
		.amdhsa_system_sgpr_workgroup_id_x 1
		.amdhsa_system_sgpr_workgroup_id_y 0
		.amdhsa_system_sgpr_workgroup_id_z 0
		.amdhsa_system_sgpr_workgroup_info 0
		.amdhsa_system_vgpr_workitem_id 0
		.amdhsa_next_free_vgpr 1
		.amdhsa_next_free_sgpr 0
		.amdhsa_accum_offset 4
		.amdhsa_reserve_vcc 0
		.amdhsa_float_round_mode_32 0
		.amdhsa_float_round_mode_16_64 0
		.amdhsa_float_denorm_mode_32 3
		.amdhsa_float_denorm_mode_16_64 3
		.amdhsa_dx10_clamp 1
		.amdhsa_ieee_mode 1
		.amdhsa_fp16_overflow 0
		.amdhsa_tg_split 0
		.amdhsa_exception_fp_ieee_invalid_op 0
		.amdhsa_exception_fp_denorm_src 0
		.amdhsa_exception_fp_ieee_div_zero 0
		.amdhsa_exception_fp_ieee_overflow 0
		.amdhsa_exception_fp_ieee_underflow 0
		.amdhsa_exception_fp_ieee_inexact 0
		.amdhsa_exception_int_div_zero 0
	.end_amdhsa_kernel
	.section	.text._ZN7rocprim17ROCPRIM_400000_NS6detail17trampoline_kernelINS0_14default_configENS1_38merge_sort_block_merge_config_selectorIlNS0_10empty_typeEEEZZNS1_27merge_sort_block_merge_implIS3_PlPS5_mZN2at6native12_GLOBAL__N_124unique_dim_cuda_templateIjEESt5tupleIJNSA_6TensorESF_SF_EERKSF_lbbbEUlllE_EE10hipError_tT0_T1_T2_jT3_P12ihipStream_tbPNSt15iterator_traitsISL_E10value_typeEPNSR_ISM_E10value_typeEPSN_NS1_7vsmem_tEENKUlT_SL_SM_SN_E_clIS8_S8_S9_S9_EESK_S10_SL_SM_SN_EUlS10_E0_NS1_11comp_targetILNS1_3genE9ELNS1_11target_archE1100ELNS1_3gpuE3ELNS1_3repE0EEENS1_38merge_mergepath_config_static_selectorELNS0_4arch9wavefront6targetE1EEEvSM_,"axG",@progbits,_ZN7rocprim17ROCPRIM_400000_NS6detail17trampoline_kernelINS0_14default_configENS1_38merge_sort_block_merge_config_selectorIlNS0_10empty_typeEEEZZNS1_27merge_sort_block_merge_implIS3_PlPS5_mZN2at6native12_GLOBAL__N_124unique_dim_cuda_templateIjEESt5tupleIJNSA_6TensorESF_SF_EERKSF_lbbbEUlllE_EE10hipError_tT0_T1_T2_jT3_P12ihipStream_tbPNSt15iterator_traitsISL_E10value_typeEPNSR_ISM_E10value_typeEPSN_NS1_7vsmem_tEENKUlT_SL_SM_SN_E_clIS8_S8_S9_S9_EESK_S10_SL_SM_SN_EUlS10_E0_NS1_11comp_targetILNS1_3genE9ELNS1_11target_archE1100ELNS1_3gpuE3ELNS1_3repE0EEENS1_38merge_mergepath_config_static_selectorELNS0_4arch9wavefront6targetE1EEEvSM_,comdat
.Lfunc_end1516:
	.size	_ZN7rocprim17ROCPRIM_400000_NS6detail17trampoline_kernelINS0_14default_configENS1_38merge_sort_block_merge_config_selectorIlNS0_10empty_typeEEEZZNS1_27merge_sort_block_merge_implIS3_PlPS5_mZN2at6native12_GLOBAL__N_124unique_dim_cuda_templateIjEESt5tupleIJNSA_6TensorESF_SF_EERKSF_lbbbEUlllE_EE10hipError_tT0_T1_T2_jT3_P12ihipStream_tbPNSt15iterator_traitsISL_E10value_typeEPNSR_ISM_E10value_typeEPSN_NS1_7vsmem_tEENKUlT_SL_SM_SN_E_clIS8_S8_S9_S9_EESK_S10_SL_SM_SN_EUlS10_E0_NS1_11comp_targetILNS1_3genE9ELNS1_11target_archE1100ELNS1_3gpuE3ELNS1_3repE0EEENS1_38merge_mergepath_config_static_selectorELNS0_4arch9wavefront6targetE1EEEvSM_, .Lfunc_end1516-_ZN7rocprim17ROCPRIM_400000_NS6detail17trampoline_kernelINS0_14default_configENS1_38merge_sort_block_merge_config_selectorIlNS0_10empty_typeEEEZZNS1_27merge_sort_block_merge_implIS3_PlPS5_mZN2at6native12_GLOBAL__N_124unique_dim_cuda_templateIjEESt5tupleIJNSA_6TensorESF_SF_EERKSF_lbbbEUlllE_EE10hipError_tT0_T1_T2_jT3_P12ihipStream_tbPNSt15iterator_traitsISL_E10value_typeEPNSR_ISM_E10value_typeEPSN_NS1_7vsmem_tEENKUlT_SL_SM_SN_E_clIS8_S8_S9_S9_EESK_S10_SL_SM_SN_EUlS10_E0_NS1_11comp_targetILNS1_3genE9ELNS1_11target_archE1100ELNS1_3gpuE3ELNS1_3repE0EEENS1_38merge_mergepath_config_static_selectorELNS0_4arch9wavefront6targetE1EEEvSM_
                                        ; -- End function
	.section	.AMDGPU.csdata,"",@progbits
; Kernel info:
; codeLenInByte = 0
; NumSgprs: 6
; NumVgprs: 0
; NumAgprs: 0
; TotalNumVgprs: 0
; ScratchSize: 0
; MemoryBound: 0
; FloatMode: 240
; IeeeMode: 1
; LDSByteSize: 0 bytes/workgroup (compile time only)
; SGPRBlocks: 0
; VGPRBlocks: 0
; NumSGPRsForWavesPerEU: 6
; NumVGPRsForWavesPerEU: 1
; AccumOffset: 4
; Occupancy: 8
; WaveLimiterHint : 0
; COMPUTE_PGM_RSRC2:SCRATCH_EN: 0
; COMPUTE_PGM_RSRC2:USER_SGPR: 2
; COMPUTE_PGM_RSRC2:TRAP_HANDLER: 0
; COMPUTE_PGM_RSRC2:TGID_X_EN: 1
; COMPUTE_PGM_RSRC2:TGID_Y_EN: 0
; COMPUTE_PGM_RSRC2:TGID_Z_EN: 0
; COMPUTE_PGM_RSRC2:TIDIG_COMP_CNT: 0
; COMPUTE_PGM_RSRC3_GFX90A:ACCUM_OFFSET: 0
; COMPUTE_PGM_RSRC3_GFX90A:TG_SPLIT: 0
	.section	.text._ZN7rocprim17ROCPRIM_400000_NS6detail17trampoline_kernelINS0_14default_configENS1_38merge_sort_block_merge_config_selectorIlNS0_10empty_typeEEEZZNS1_27merge_sort_block_merge_implIS3_PlPS5_mZN2at6native12_GLOBAL__N_124unique_dim_cuda_templateIjEESt5tupleIJNSA_6TensorESF_SF_EERKSF_lbbbEUlllE_EE10hipError_tT0_T1_T2_jT3_P12ihipStream_tbPNSt15iterator_traitsISL_E10value_typeEPNSR_ISM_E10value_typeEPSN_NS1_7vsmem_tEENKUlT_SL_SM_SN_E_clIS8_S8_S9_S9_EESK_S10_SL_SM_SN_EUlS10_E0_NS1_11comp_targetILNS1_3genE8ELNS1_11target_archE1030ELNS1_3gpuE2ELNS1_3repE0EEENS1_38merge_mergepath_config_static_selectorELNS0_4arch9wavefront6targetE1EEEvSM_,"axG",@progbits,_ZN7rocprim17ROCPRIM_400000_NS6detail17trampoline_kernelINS0_14default_configENS1_38merge_sort_block_merge_config_selectorIlNS0_10empty_typeEEEZZNS1_27merge_sort_block_merge_implIS3_PlPS5_mZN2at6native12_GLOBAL__N_124unique_dim_cuda_templateIjEESt5tupleIJNSA_6TensorESF_SF_EERKSF_lbbbEUlllE_EE10hipError_tT0_T1_T2_jT3_P12ihipStream_tbPNSt15iterator_traitsISL_E10value_typeEPNSR_ISM_E10value_typeEPSN_NS1_7vsmem_tEENKUlT_SL_SM_SN_E_clIS8_S8_S9_S9_EESK_S10_SL_SM_SN_EUlS10_E0_NS1_11comp_targetILNS1_3genE8ELNS1_11target_archE1030ELNS1_3gpuE2ELNS1_3repE0EEENS1_38merge_mergepath_config_static_selectorELNS0_4arch9wavefront6targetE1EEEvSM_,comdat
	.globl	_ZN7rocprim17ROCPRIM_400000_NS6detail17trampoline_kernelINS0_14default_configENS1_38merge_sort_block_merge_config_selectorIlNS0_10empty_typeEEEZZNS1_27merge_sort_block_merge_implIS3_PlPS5_mZN2at6native12_GLOBAL__N_124unique_dim_cuda_templateIjEESt5tupleIJNSA_6TensorESF_SF_EERKSF_lbbbEUlllE_EE10hipError_tT0_T1_T2_jT3_P12ihipStream_tbPNSt15iterator_traitsISL_E10value_typeEPNSR_ISM_E10value_typeEPSN_NS1_7vsmem_tEENKUlT_SL_SM_SN_E_clIS8_S8_S9_S9_EESK_S10_SL_SM_SN_EUlS10_E0_NS1_11comp_targetILNS1_3genE8ELNS1_11target_archE1030ELNS1_3gpuE2ELNS1_3repE0EEENS1_38merge_mergepath_config_static_selectorELNS0_4arch9wavefront6targetE1EEEvSM_ ; -- Begin function _ZN7rocprim17ROCPRIM_400000_NS6detail17trampoline_kernelINS0_14default_configENS1_38merge_sort_block_merge_config_selectorIlNS0_10empty_typeEEEZZNS1_27merge_sort_block_merge_implIS3_PlPS5_mZN2at6native12_GLOBAL__N_124unique_dim_cuda_templateIjEESt5tupleIJNSA_6TensorESF_SF_EERKSF_lbbbEUlllE_EE10hipError_tT0_T1_T2_jT3_P12ihipStream_tbPNSt15iterator_traitsISL_E10value_typeEPNSR_ISM_E10value_typeEPSN_NS1_7vsmem_tEENKUlT_SL_SM_SN_E_clIS8_S8_S9_S9_EESK_S10_SL_SM_SN_EUlS10_E0_NS1_11comp_targetILNS1_3genE8ELNS1_11target_archE1030ELNS1_3gpuE2ELNS1_3repE0EEENS1_38merge_mergepath_config_static_selectorELNS0_4arch9wavefront6targetE1EEEvSM_
	.p2align	8
	.type	_ZN7rocprim17ROCPRIM_400000_NS6detail17trampoline_kernelINS0_14default_configENS1_38merge_sort_block_merge_config_selectorIlNS0_10empty_typeEEEZZNS1_27merge_sort_block_merge_implIS3_PlPS5_mZN2at6native12_GLOBAL__N_124unique_dim_cuda_templateIjEESt5tupleIJNSA_6TensorESF_SF_EERKSF_lbbbEUlllE_EE10hipError_tT0_T1_T2_jT3_P12ihipStream_tbPNSt15iterator_traitsISL_E10value_typeEPNSR_ISM_E10value_typeEPSN_NS1_7vsmem_tEENKUlT_SL_SM_SN_E_clIS8_S8_S9_S9_EESK_S10_SL_SM_SN_EUlS10_E0_NS1_11comp_targetILNS1_3genE8ELNS1_11target_archE1030ELNS1_3gpuE2ELNS1_3repE0EEENS1_38merge_mergepath_config_static_selectorELNS0_4arch9wavefront6targetE1EEEvSM_,@function
_ZN7rocprim17ROCPRIM_400000_NS6detail17trampoline_kernelINS0_14default_configENS1_38merge_sort_block_merge_config_selectorIlNS0_10empty_typeEEEZZNS1_27merge_sort_block_merge_implIS3_PlPS5_mZN2at6native12_GLOBAL__N_124unique_dim_cuda_templateIjEESt5tupleIJNSA_6TensorESF_SF_EERKSF_lbbbEUlllE_EE10hipError_tT0_T1_T2_jT3_P12ihipStream_tbPNSt15iterator_traitsISL_E10value_typeEPNSR_ISM_E10value_typeEPSN_NS1_7vsmem_tEENKUlT_SL_SM_SN_E_clIS8_S8_S9_S9_EESK_S10_SL_SM_SN_EUlS10_E0_NS1_11comp_targetILNS1_3genE8ELNS1_11target_archE1030ELNS1_3gpuE2ELNS1_3repE0EEENS1_38merge_mergepath_config_static_selectorELNS0_4arch9wavefront6targetE1EEEvSM_: ; @_ZN7rocprim17ROCPRIM_400000_NS6detail17trampoline_kernelINS0_14default_configENS1_38merge_sort_block_merge_config_selectorIlNS0_10empty_typeEEEZZNS1_27merge_sort_block_merge_implIS3_PlPS5_mZN2at6native12_GLOBAL__N_124unique_dim_cuda_templateIjEESt5tupleIJNSA_6TensorESF_SF_EERKSF_lbbbEUlllE_EE10hipError_tT0_T1_T2_jT3_P12ihipStream_tbPNSt15iterator_traitsISL_E10value_typeEPNSR_ISM_E10value_typeEPSN_NS1_7vsmem_tEENKUlT_SL_SM_SN_E_clIS8_S8_S9_S9_EESK_S10_SL_SM_SN_EUlS10_E0_NS1_11comp_targetILNS1_3genE8ELNS1_11target_archE1030ELNS1_3gpuE2ELNS1_3repE0EEENS1_38merge_mergepath_config_static_selectorELNS0_4arch9wavefront6targetE1EEEvSM_
; %bb.0:
	.section	.rodata,"a",@progbits
	.p2align	6, 0x0
	.amdhsa_kernel _ZN7rocprim17ROCPRIM_400000_NS6detail17trampoline_kernelINS0_14default_configENS1_38merge_sort_block_merge_config_selectorIlNS0_10empty_typeEEEZZNS1_27merge_sort_block_merge_implIS3_PlPS5_mZN2at6native12_GLOBAL__N_124unique_dim_cuda_templateIjEESt5tupleIJNSA_6TensorESF_SF_EERKSF_lbbbEUlllE_EE10hipError_tT0_T1_T2_jT3_P12ihipStream_tbPNSt15iterator_traitsISL_E10value_typeEPNSR_ISM_E10value_typeEPSN_NS1_7vsmem_tEENKUlT_SL_SM_SN_E_clIS8_S8_S9_S9_EESK_S10_SL_SM_SN_EUlS10_E0_NS1_11comp_targetILNS1_3genE8ELNS1_11target_archE1030ELNS1_3gpuE2ELNS1_3repE0EEENS1_38merge_mergepath_config_static_selectorELNS0_4arch9wavefront6targetE1EEEvSM_
		.amdhsa_group_segment_fixed_size 0
		.amdhsa_private_segment_fixed_size 0
		.amdhsa_kernarg_size 88
		.amdhsa_user_sgpr_count 2
		.amdhsa_user_sgpr_dispatch_ptr 0
		.amdhsa_user_sgpr_queue_ptr 0
		.amdhsa_user_sgpr_kernarg_segment_ptr 1
		.amdhsa_user_sgpr_dispatch_id 0
		.amdhsa_user_sgpr_kernarg_preload_length 0
		.amdhsa_user_sgpr_kernarg_preload_offset 0
		.amdhsa_user_sgpr_private_segment_size 0
		.amdhsa_uses_dynamic_stack 0
		.amdhsa_enable_private_segment 0
		.amdhsa_system_sgpr_workgroup_id_x 1
		.amdhsa_system_sgpr_workgroup_id_y 0
		.amdhsa_system_sgpr_workgroup_id_z 0
		.amdhsa_system_sgpr_workgroup_info 0
		.amdhsa_system_vgpr_workitem_id 0
		.amdhsa_next_free_vgpr 1
		.amdhsa_next_free_sgpr 0
		.amdhsa_accum_offset 4
		.amdhsa_reserve_vcc 0
		.amdhsa_float_round_mode_32 0
		.amdhsa_float_round_mode_16_64 0
		.amdhsa_float_denorm_mode_32 3
		.amdhsa_float_denorm_mode_16_64 3
		.amdhsa_dx10_clamp 1
		.amdhsa_ieee_mode 1
		.amdhsa_fp16_overflow 0
		.amdhsa_tg_split 0
		.amdhsa_exception_fp_ieee_invalid_op 0
		.amdhsa_exception_fp_denorm_src 0
		.amdhsa_exception_fp_ieee_div_zero 0
		.amdhsa_exception_fp_ieee_overflow 0
		.amdhsa_exception_fp_ieee_underflow 0
		.amdhsa_exception_fp_ieee_inexact 0
		.amdhsa_exception_int_div_zero 0
	.end_amdhsa_kernel
	.section	.text._ZN7rocprim17ROCPRIM_400000_NS6detail17trampoline_kernelINS0_14default_configENS1_38merge_sort_block_merge_config_selectorIlNS0_10empty_typeEEEZZNS1_27merge_sort_block_merge_implIS3_PlPS5_mZN2at6native12_GLOBAL__N_124unique_dim_cuda_templateIjEESt5tupleIJNSA_6TensorESF_SF_EERKSF_lbbbEUlllE_EE10hipError_tT0_T1_T2_jT3_P12ihipStream_tbPNSt15iterator_traitsISL_E10value_typeEPNSR_ISM_E10value_typeEPSN_NS1_7vsmem_tEENKUlT_SL_SM_SN_E_clIS8_S8_S9_S9_EESK_S10_SL_SM_SN_EUlS10_E0_NS1_11comp_targetILNS1_3genE8ELNS1_11target_archE1030ELNS1_3gpuE2ELNS1_3repE0EEENS1_38merge_mergepath_config_static_selectorELNS0_4arch9wavefront6targetE1EEEvSM_,"axG",@progbits,_ZN7rocprim17ROCPRIM_400000_NS6detail17trampoline_kernelINS0_14default_configENS1_38merge_sort_block_merge_config_selectorIlNS0_10empty_typeEEEZZNS1_27merge_sort_block_merge_implIS3_PlPS5_mZN2at6native12_GLOBAL__N_124unique_dim_cuda_templateIjEESt5tupleIJNSA_6TensorESF_SF_EERKSF_lbbbEUlllE_EE10hipError_tT0_T1_T2_jT3_P12ihipStream_tbPNSt15iterator_traitsISL_E10value_typeEPNSR_ISM_E10value_typeEPSN_NS1_7vsmem_tEENKUlT_SL_SM_SN_E_clIS8_S8_S9_S9_EESK_S10_SL_SM_SN_EUlS10_E0_NS1_11comp_targetILNS1_3genE8ELNS1_11target_archE1030ELNS1_3gpuE2ELNS1_3repE0EEENS1_38merge_mergepath_config_static_selectorELNS0_4arch9wavefront6targetE1EEEvSM_,comdat
.Lfunc_end1517:
	.size	_ZN7rocprim17ROCPRIM_400000_NS6detail17trampoline_kernelINS0_14default_configENS1_38merge_sort_block_merge_config_selectorIlNS0_10empty_typeEEEZZNS1_27merge_sort_block_merge_implIS3_PlPS5_mZN2at6native12_GLOBAL__N_124unique_dim_cuda_templateIjEESt5tupleIJNSA_6TensorESF_SF_EERKSF_lbbbEUlllE_EE10hipError_tT0_T1_T2_jT3_P12ihipStream_tbPNSt15iterator_traitsISL_E10value_typeEPNSR_ISM_E10value_typeEPSN_NS1_7vsmem_tEENKUlT_SL_SM_SN_E_clIS8_S8_S9_S9_EESK_S10_SL_SM_SN_EUlS10_E0_NS1_11comp_targetILNS1_3genE8ELNS1_11target_archE1030ELNS1_3gpuE2ELNS1_3repE0EEENS1_38merge_mergepath_config_static_selectorELNS0_4arch9wavefront6targetE1EEEvSM_, .Lfunc_end1517-_ZN7rocprim17ROCPRIM_400000_NS6detail17trampoline_kernelINS0_14default_configENS1_38merge_sort_block_merge_config_selectorIlNS0_10empty_typeEEEZZNS1_27merge_sort_block_merge_implIS3_PlPS5_mZN2at6native12_GLOBAL__N_124unique_dim_cuda_templateIjEESt5tupleIJNSA_6TensorESF_SF_EERKSF_lbbbEUlllE_EE10hipError_tT0_T1_T2_jT3_P12ihipStream_tbPNSt15iterator_traitsISL_E10value_typeEPNSR_ISM_E10value_typeEPSN_NS1_7vsmem_tEENKUlT_SL_SM_SN_E_clIS8_S8_S9_S9_EESK_S10_SL_SM_SN_EUlS10_E0_NS1_11comp_targetILNS1_3genE8ELNS1_11target_archE1030ELNS1_3gpuE2ELNS1_3repE0EEENS1_38merge_mergepath_config_static_selectorELNS0_4arch9wavefront6targetE1EEEvSM_
                                        ; -- End function
	.section	.AMDGPU.csdata,"",@progbits
; Kernel info:
; codeLenInByte = 0
; NumSgprs: 6
; NumVgprs: 0
; NumAgprs: 0
; TotalNumVgprs: 0
; ScratchSize: 0
; MemoryBound: 0
; FloatMode: 240
; IeeeMode: 1
; LDSByteSize: 0 bytes/workgroup (compile time only)
; SGPRBlocks: 0
; VGPRBlocks: 0
; NumSGPRsForWavesPerEU: 6
; NumVGPRsForWavesPerEU: 1
; AccumOffset: 4
; Occupancy: 8
; WaveLimiterHint : 0
; COMPUTE_PGM_RSRC2:SCRATCH_EN: 0
; COMPUTE_PGM_RSRC2:USER_SGPR: 2
; COMPUTE_PGM_RSRC2:TRAP_HANDLER: 0
; COMPUTE_PGM_RSRC2:TGID_X_EN: 1
; COMPUTE_PGM_RSRC2:TGID_Y_EN: 0
; COMPUTE_PGM_RSRC2:TGID_Z_EN: 0
; COMPUTE_PGM_RSRC2:TIDIG_COMP_CNT: 0
; COMPUTE_PGM_RSRC3_GFX90A:ACCUM_OFFSET: 0
; COMPUTE_PGM_RSRC3_GFX90A:TG_SPLIT: 0
	.section	.text._ZN7rocprim17ROCPRIM_400000_NS6detail17trampoline_kernelINS0_14default_configENS1_38merge_sort_block_merge_config_selectorIlNS0_10empty_typeEEEZZNS1_27merge_sort_block_merge_implIS3_PlPS5_mZN2at6native12_GLOBAL__N_124unique_dim_cuda_templateIjEESt5tupleIJNSA_6TensorESF_SF_EERKSF_lbbbEUlllE_EE10hipError_tT0_T1_T2_jT3_P12ihipStream_tbPNSt15iterator_traitsISL_E10value_typeEPNSR_ISM_E10value_typeEPSN_NS1_7vsmem_tEENKUlT_SL_SM_SN_E_clIS8_S8_S9_S9_EESK_S10_SL_SM_SN_EUlS10_E1_NS1_11comp_targetILNS1_3genE0ELNS1_11target_archE4294967295ELNS1_3gpuE0ELNS1_3repE0EEENS1_36merge_oddeven_config_static_selectorELNS0_4arch9wavefront6targetE1EEEvSM_,"axG",@progbits,_ZN7rocprim17ROCPRIM_400000_NS6detail17trampoline_kernelINS0_14default_configENS1_38merge_sort_block_merge_config_selectorIlNS0_10empty_typeEEEZZNS1_27merge_sort_block_merge_implIS3_PlPS5_mZN2at6native12_GLOBAL__N_124unique_dim_cuda_templateIjEESt5tupleIJNSA_6TensorESF_SF_EERKSF_lbbbEUlllE_EE10hipError_tT0_T1_T2_jT3_P12ihipStream_tbPNSt15iterator_traitsISL_E10value_typeEPNSR_ISM_E10value_typeEPSN_NS1_7vsmem_tEENKUlT_SL_SM_SN_E_clIS8_S8_S9_S9_EESK_S10_SL_SM_SN_EUlS10_E1_NS1_11comp_targetILNS1_3genE0ELNS1_11target_archE4294967295ELNS1_3gpuE0ELNS1_3repE0EEENS1_36merge_oddeven_config_static_selectorELNS0_4arch9wavefront6targetE1EEEvSM_,comdat
	.globl	_ZN7rocprim17ROCPRIM_400000_NS6detail17trampoline_kernelINS0_14default_configENS1_38merge_sort_block_merge_config_selectorIlNS0_10empty_typeEEEZZNS1_27merge_sort_block_merge_implIS3_PlPS5_mZN2at6native12_GLOBAL__N_124unique_dim_cuda_templateIjEESt5tupleIJNSA_6TensorESF_SF_EERKSF_lbbbEUlllE_EE10hipError_tT0_T1_T2_jT3_P12ihipStream_tbPNSt15iterator_traitsISL_E10value_typeEPNSR_ISM_E10value_typeEPSN_NS1_7vsmem_tEENKUlT_SL_SM_SN_E_clIS8_S8_S9_S9_EESK_S10_SL_SM_SN_EUlS10_E1_NS1_11comp_targetILNS1_3genE0ELNS1_11target_archE4294967295ELNS1_3gpuE0ELNS1_3repE0EEENS1_36merge_oddeven_config_static_selectorELNS0_4arch9wavefront6targetE1EEEvSM_ ; -- Begin function _ZN7rocprim17ROCPRIM_400000_NS6detail17trampoline_kernelINS0_14default_configENS1_38merge_sort_block_merge_config_selectorIlNS0_10empty_typeEEEZZNS1_27merge_sort_block_merge_implIS3_PlPS5_mZN2at6native12_GLOBAL__N_124unique_dim_cuda_templateIjEESt5tupleIJNSA_6TensorESF_SF_EERKSF_lbbbEUlllE_EE10hipError_tT0_T1_T2_jT3_P12ihipStream_tbPNSt15iterator_traitsISL_E10value_typeEPNSR_ISM_E10value_typeEPSN_NS1_7vsmem_tEENKUlT_SL_SM_SN_E_clIS8_S8_S9_S9_EESK_S10_SL_SM_SN_EUlS10_E1_NS1_11comp_targetILNS1_3genE0ELNS1_11target_archE4294967295ELNS1_3gpuE0ELNS1_3repE0EEENS1_36merge_oddeven_config_static_selectorELNS0_4arch9wavefront6targetE1EEEvSM_
	.p2align	8
	.type	_ZN7rocprim17ROCPRIM_400000_NS6detail17trampoline_kernelINS0_14default_configENS1_38merge_sort_block_merge_config_selectorIlNS0_10empty_typeEEEZZNS1_27merge_sort_block_merge_implIS3_PlPS5_mZN2at6native12_GLOBAL__N_124unique_dim_cuda_templateIjEESt5tupleIJNSA_6TensorESF_SF_EERKSF_lbbbEUlllE_EE10hipError_tT0_T1_T2_jT3_P12ihipStream_tbPNSt15iterator_traitsISL_E10value_typeEPNSR_ISM_E10value_typeEPSN_NS1_7vsmem_tEENKUlT_SL_SM_SN_E_clIS8_S8_S9_S9_EESK_S10_SL_SM_SN_EUlS10_E1_NS1_11comp_targetILNS1_3genE0ELNS1_11target_archE4294967295ELNS1_3gpuE0ELNS1_3repE0EEENS1_36merge_oddeven_config_static_selectorELNS0_4arch9wavefront6targetE1EEEvSM_,@function
_ZN7rocprim17ROCPRIM_400000_NS6detail17trampoline_kernelINS0_14default_configENS1_38merge_sort_block_merge_config_selectorIlNS0_10empty_typeEEEZZNS1_27merge_sort_block_merge_implIS3_PlPS5_mZN2at6native12_GLOBAL__N_124unique_dim_cuda_templateIjEESt5tupleIJNSA_6TensorESF_SF_EERKSF_lbbbEUlllE_EE10hipError_tT0_T1_T2_jT3_P12ihipStream_tbPNSt15iterator_traitsISL_E10value_typeEPNSR_ISM_E10value_typeEPSN_NS1_7vsmem_tEENKUlT_SL_SM_SN_E_clIS8_S8_S9_S9_EESK_S10_SL_SM_SN_EUlS10_E1_NS1_11comp_targetILNS1_3genE0ELNS1_11target_archE4294967295ELNS1_3gpuE0ELNS1_3repE0EEENS1_36merge_oddeven_config_static_selectorELNS0_4arch9wavefront6targetE1EEEvSM_: ; @_ZN7rocprim17ROCPRIM_400000_NS6detail17trampoline_kernelINS0_14default_configENS1_38merge_sort_block_merge_config_selectorIlNS0_10empty_typeEEEZZNS1_27merge_sort_block_merge_implIS3_PlPS5_mZN2at6native12_GLOBAL__N_124unique_dim_cuda_templateIjEESt5tupleIJNSA_6TensorESF_SF_EERKSF_lbbbEUlllE_EE10hipError_tT0_T1_T2_jT3_P12ihipStream_tbPNSt15iterator_traitsISL_E10value_typeEPNSR_ISM_E10value_typeEPSN_NS1_7vsmem_tEENKUlT_SL_SM_SN_E_clIS8_S8_S9_S9_EESK_S10_SL_SM_SN_EUlS10_E1_NS1_11comp_targetILNS1_3genE0ELNS1_11target_archE4294967295ELNS1_3gpuE0ELNS1_3repE0EEENS1_36merge_oddeven_config_static_selectorELNS0_4arch9wavefront6targetE1EEEvSM_
; %bb.0:
	.section	.rodata,"a",@progbits
	.p2align	6, 0x0
	.amdhsa_kernel _ZN7rocprim17ROCPRIM_400000_NS6detail17trampoline_kernelINS0_14default_configENS1_38merge_sort_block_merge_config_selectorIlNS0_10empty_typeEEEZZNS1_27merge_sort_block_merge_implIS3_PlPS5_mZN2at6native12_GLOBAL__N_124unique_dim_cuda_templateIjEESt5tupleIJNSA_6TensorESF_SF_EERKSF_lbbbEUlllE_EE10hipError_tT0_T1_T2_jT3_P12ihipStream_tbPNSt15iterator_traitsISL_E10value_typeEPNSR_ISM_E10value_typeEPSN_NS1_7vsmem_tEENKUlT_SL_SM_SN_E_clIS8_S8_S9_S9_EESK_S10_SL_SM_SN_EUlS10_E1_NS1_11comp_targetILNS1_3genE0ELNS1_11target_archE4294967295ELNS1_3gpuE0ELNS1_3repE0EEENS1_36merge_oddeven_config_static_selectorELNS0_4arch9wavefront6targetE1EEEvSM_
		.amdhsa_group_segment_fixed_size 0
		.amdhsa_private_segment_fixed_size 0
		.amdhsa_kernarg_size 64
		.amdhsa_user_sgpr_count 2
		.amdhsa_user_sgpr_dispatch_ptr 0
		.amdhsa_user_sgpr_queue_ptr 0
		.amdhsa_user_sgpr_kernarg_segment_ptr 1
		.amdhsa_user_sgpr_dispatch_id 0
		.amdhsa_user_sgpr_kernarg_preload_length 0
		.amdhsa_user_sgpr_kernarg_preload_offset 0
		.amdhsa_user_sgpr_private_segment_size 0
		.amdhsa_uses_dynamic_stack 0
		.amdhsa_enable_private_segment 0
		.amdhsa_system_sgpr_workgroup_id_x 1
		.amdhsa_system_sgpr_workgroup_id_y 0
		.amdhsa_system_sgpr_workgroup_id_z 0
		.amdhsa_system_sgpr_workgroup_info 0
		.amdhsa_system_vgpr_workitem_id 0
		.amdhsa_next_free_vgpr 1
		.amdhsa_next_free_sgpr 0
		.amdhsa_accum_offset 4
		.amdhsa_reserve_vcc 0
		.amdhsa_float_round_mode_32 0
		.amdhsa_float_round_mode_16_64 0
		.amdhsa_float_denorm_mode_32 3
		.amdhsa_float_denorm_mode_16_64 3
		.amdhsa_dx10_clamp 1
		.amdhsa_ieee_mode 1
		.amdhsa_fp16_overflow 0
		.amdhsa_tg_split 0
		.amdhsa_exception_fp_ieee_invalid_op 0
		.amdhsa_exception_fp_denorm_src 0
		.amdhsa_exception_fp_ieee_div_zero 0
		.amdhsa_exception_fp_ieee_overflow 0
		.amdhsa_exception_fp_ieee_underflow 0
		.amdhsa_exception_fp_ieee_inexact 0
		.amdhsa_exception_int_div_zero 0
	.end_amdhsa_kernel
	.section	.text._ZN7rocprim17ROCPRIM_400000_NS6detail17trampoline_kernelINS0_14default_configENS1_38merge_sort_block_merge_config_selectorIlNS0_10empty_typeEEEZZNS1_27merge_sort_block_merge_implIS3_PlPS5_mZN2at6native12_GLOBAL__N_124unique_dim_cuda_templateIjEESt5tupleIJNSA_6TensorESF_SF_EERKSF_lbbbEUlllE_EE10hipError_tT0_T1_T2_jT3_P12ihipStream_tbPNSt15iterator_traitsISL_E10value_typeEPNSR_ISM_E10value_typeEPSN_NS1_7vsmem_tEENKUlT_SL_SM_SN_E_clIS8_S8_S9_S9_EESK_S10_SL_SM_SN_EUlS10_E1_NS1_11comp_targetILNS1_3genE0ELNS1_11target_archE4294967295ELNS1_3gpuE0ELNS1_3repE0EEENS1_36merge_oddeven_config_static_selectorELNS0_4arch9wavefront6targetE1EEEvSM_,"axG",@progbits,_ZN7rocprim17ROCPRIM_400000_NS6detail17trampoline_kernelINS0_14default_configENS1_38merge_sort_block_merge_config_selectorIlNS0_10empty_typeEEEZZNS1_27merge_sort_block_merge_implIS3_PlPS5_mZN2at6native12_GLOBAL__N_124unique_dim_cuda_templateIjEESt5tupleIJNSA_6TensorESF_SF_EERKSF_lbbbEUlllE_EE10hipError_tT0_T1_T2_jT3_P12ihipStream_tbPNSt15iterator_traitsISL_E10value_typeEPNSR_ISM_E10value_typeEPSN_NS1_7vsmem_tEENKUlT_SL_SM_SN_E_clIS8_S8_S9_S9_EESK_S10_SL_SM_SN_EUlS10_E1_NS1_11comp_targetILNS1_3genE0ELNS1_11target_archE4294967295ELNS1_3gpuE0ELNS1_3repE0EEENS1_36merge_oddeven_config_static_selectorELNS0_4arch9wavefront6targetE1EEEvSM_,comdat
.Lfunc_end1518:
	.size	_ZN7rocprim17ROCPRIM_400000_NS6detail17trampoline_kernelINS0_14default_configENS1_38merge_sort_block_merge_config_selectorIlNS0_10empty_typeEEEZZNS1_27merge_sort_block_merge_implIS3_PlPS5_mZN2at6native12_GLOBAL__N_124unique_dim_cuda_templateIjEESt5tupleIJNSA_6TensorESF_SF_EERKSF_lbbbEUlllE_EE10hipError_tT0_T1_T2_jT3_P12ihipStream_tbPNSt15iterator_traitsISL_E10value_typeEPNSR_ISM_E10value_typeEPSN_NS1_7vsmem_tEENKUlT_SL_SM_SN_E_clIS8_S8_S9_S9_EESK_S10_SL_SM_SN_EUlS10_E1_NS1_11comp_targetILNS1_3genE0ELNS1_11target_archE4294967295ELNS1_3gpuE0ELNS1_3repE0EEENS1_36merge_oddeven_config_static_selectorELNS0_4arch9wavefront6targetE1EEEvSM_, .Lfunc_end1518-_ZN7rocprim17ROCPRIM_400000_NS6detail17trampoline_kernelINS0_14default_configENS1_38merge_sort_block_merge_config_selectorIlNS0_10empty_typeEEEZZNS1_27merge_sort_block_merge_implIS3_PlPS5_mZN2at6native12_GLOBAL__N_124unique_dim_cuda_templateIjEESt5tupleIJNSA_6TensorESF_SF_EERKSF_lbbbEUlllE_EE10hipError_tT0_T1_T2_jT3_P12ihipStream_tbPNSt15iterator_traitsISL_E10value_typeEPNSR_ISM_E10value_typeEPSN_NS1_7vsmem_tEENKUlT_SL_SM_SN_E_clIS8_S8_S9_S9_EESK_S10_SL_SM_SN_EUlS10_E1_NS1_11comp_targetILNS1_3genE0ELNS1_11target_archE4294967295ELNS1_3gpuE0ELNS1_3repE0EEENS1_36merge_oddeven_config_static_selectorELNS0_4arch9wavefront6targetE1EEEvSM_
                                        ; -- End function
	.section	.AMDGPU.csdata,"",@progbits
; Kernel info:
; codeLenInByte = 0
; NumSgprs: 6
; NumVgprs: 0
; NumAgprs: 0
; TotalNumVgprs: 0
; ScratchSize: 0
; MemoryBound: 0
; FloatMode: 240
; IeeeMode: 1
; LDSByteSize: 0 bytes/workgroup (compile time only)
; SGPRBlocks: 0
; VGPRBlocks: 0
; NumSGPRsForWavesPerEU: 6
; NumVGPRsForWavesPerEU: 1
; AccumOffset: 4
; Occupancy: 8
; WaveLimiterHint : 0
; COMPUTE_PGM_RSRC2:SCRATCH_EN: 0
; COMPUTE_PGM_RSRC2:USER_SGPR: 2
; COMPUTE_PGM_RSRC2:TRAP_HANDLER: 0
; COMPUTE_PGM_RSRC2:TGID_X_EN: 1
; COMPUTE_PGM_RSRC2:TGID_Y_EN: 0
; COMPUTE_PGM_RSRC2:TGID_Z_EN: 0
; COMPUTE_PGM_RSRC2:TIDIG_COMP_CNT: 0
; COMPUTE_PGM_RSRC3_GFX90A:ACCUM_OFFSET: 0
; COMPUTE_PGM_RSRC3_GFX90A:TG_SPLIT: 0
	.section	.text._ZN7rocprim17ROCPRIM_400000_NS6detail17trampoline_kernelINS0_14default_configENS1_38merge_sort_block_merge_config_selectorIlNS0_10empty_typeEEEZZNS1_27merge_sort_block_merge_implIS3_PlPS5_mZN2at6native12_GLOBAL__N_124unique_dim_cuda_templateIjEESt5tupleIJNSA_6TensorESF_SF_EERKSF_lbbbEUlllE_EE10hipError_tT0_T1_T2_jT3_P12ihipStream_tbPNSt15iterator_traitsISL_E10value_typeEPNSR_ISM_E10value_typeEPSN_NS1_7vsmem_tEENKUlT_SL_SM_SN_E_clIS8_S8_S9_S9_EESK_S10_SL_SM_SN_EUlS10_E1_NS1_11comp_targetILNS1_3genE10ELNS1_11target_archE1201ELNS1_3gpuE5ELNS1_3repE0EEENS1_36merge_oddeven_config_static_selectorELNS0_4arch9wavefront6targetE1EEEvSM_,"axG",@progbits,_ZN7rocprim17ROCPRIM_400000_NS6detail17trampoline_kernelINS0_14default_configENS1_38merge_sort_block_merge_config_selectorIlNS0_10empty_typeEEEZZNS1_27merge_sort_block_merge_implIS3_PlPS5_mZN2at6native12_GLOBAL__N_124unique_dim_cuda_templateIjEESt5tupleIJNSA_6TensorESF_SF_EERKSF_lbbbEUlllE_EE10hipError_tT0_T1_T2_jT3_P12ihipStream_tbPNSt15iterator_traitsISL_E10value_typeEPNSR_ISM_E10value_typeEPSN_NS1_7vsmem_tEENKUlT_SL_SM_SN_E_clIS8_S8_S9_S9_EESK_S10_SL_SM_SN_EUlS10_E1_NS1_11comp_targetILNS1_3genE10ELNS1_11target_archE1201ELNS1_3gpuE5ELNS1_3repE0EEENS1_36merge_oddeven_config_static_selectorELNS0_4arch9wavefront6targetE1EEEvSM_,comdat
	.globl	_ZN7rocprim17ROCPRIM_400000_NS6detail17trampoline_kernelINS0_14default_configENS1_38merge_sort_block_merge_config_selectorIlNS0_10empty_typeEEEZZNS1_27merge_sort_block_merge_implIS3_PlPS5_mZN2at6native12_GLOBAL__N_124unique_dim_cuda_templateIjEESt5tupleIJNSA_6TensorESF_SF_EERKSF_lbbbEUlllE_EE10hipError_tT0_T1_T2_jT3_P12ihipStream_tbPNSt15iterator_traitsISL_E10value_typeEPNSR_ISM_E10value_typeEPSN_NS1_7vsmem_tEENKUlT_SL_SM_SN_E_clIS8_S8_S9_S9_EESK_S10_SL_SM_SN_EUlS10_E1_NS1_11comp_targetILNS1_3genE10ELNS1_11target_archE1201ELNS1_3gpuE5ELNS1_3repE0EEENS1_36merge_oddeven_config_static_selectorELNS0_4arch9wavefront6targetE1EEEvSM_ ; -- Begin function _ZN7rocprim17ROCPRIM_400000_NS6detail17trampoline_kernelINS0_14default_configENS1_38merge_sort_block_merge_config_selectorIlNS0_10empty_typeEEEZZNS1_27merge_sort_block_merge_implIS3_PlPS5_mZN2at6native12_GLOBAL__N_124unique_dim_cuda_templateIjEESt5tupleIJNSA_6TensorESF_SF_EERKSF_lbbbEUlllE_EE10hipError_tT0_T1_T2_jT3_P12ihipStream_tbPNSt15iterator_traitsISL_E10value_typeEPNSR_ISM_E10value_typeEPSN_NS1_7vsmem_tEENKUlT_SL_SM_SN_E_clIS8_S8_S9_S9_EESK_S10_SL_SM_SN_EUlS10_E1_NS1_11comp_targetILNS1_3genE10ELNS1_11target_archE1201ELNS1_3gpuE5ELNS1_3repE0EEENS1_36merge_oddeven_config_static_selectorELNS0_4arch9wavefront6targetE1EEEvSM_
	.p2align	8
	.type	_ZN7rocprim17ROCPRIM_400000_NS6detail17trampoline_kernelINS0_14default_configENS1_38merge_sort_block_merge_config_selectorIlNS0_10empty_typeEEEZZNS1_27merge_sort_block_merge_implIS3_PlPS5_mZN2at6native12_GLOBAL__N_124unique_dim_cuda_templateIjEESt5tupleIJNSA_6TensorESF_SF_EERKSF_lbbbEUlllE_EE10hipError_tT0_T1_T2_jT3_P12ihipStream_tbPNSt15iterator_traitsISL_E10value_typeEPNSR_ISM_E10value_typeEPSN_NS1_7vsmem_tEENKUlT_SL_SM_SN_E_clIS8_S8_S9_S9_EESK_S10_SL_SM_SN_EUlS10_E1_NS1_11comp_targetILNS1_3genE10ELNS1_11target_archE1201ELNS1_3gpuE5ELNS1_3repE0EEENS1_36merge_oddeven_config_static_selectorELNS0_4arch9wavefront6targetE1EEEvSM_,@function
_ZN7rocprim17ROCPRIM_400000_NS6detail17trampoline_kernelINS0_14default_configENS1_38merge_sort_block_merge_config_selectorIlNS0_10empty_typeEEEZZNS1_27merge_sort_block_merge_implIS3_PlPS5_mZN2at6native12_GLOBAL__N_124unique_dim_cuda_templateIjEESt5tupleIJNSA_6TensorESF_SF_EERKSF_lbbbEUlllE_EE10hipError_tT0_T1_T2_jT3_P12ihipStream_tbPNSt15iterator_traitsISL_E10value_typeEPNSR_ISM_E10value_typeEPSN_NS1_7vsmem_tEENKUlT_SL_SM_SN_E_clIS8_S8_S9_S9_EESK_S10_SL_SM_SN_EUlS10_E1_NS1_11comp_targetILNS1_3genE10ELNS1_11target_archE1201ELNS1_3gpuE5ELNS1_3repE0EEENS1_36merge_oddeven_config_static_selectorELNS0_4arch9wavefront6targetE1EEEvSM_: ; @_ZN7rocprim17ROCPRIM_400000_NS6detail17trampoline_kernelINS0_14default_configENS1_38merge_sort_block_merge_config_selectorIlNS0_10empty_typeEEEZZNS1_27merge_sort_block_merge_implIS3_PlPS5_mZN2at6native12_GLOBAL__N_124unique_dim_cuda_templateIjEESt5tupleIJNSA_6TensorESF_SF_EERKSF_lbbbEUlllE_EE10hipError_tT0_T1_T2_jT3_P12ihipStream_tbPNSt15iterator_traitsISL_E10value_typeEPNSR_ISM_E10value_typeEPSN_NS1_7vsmem_tEENKUlT_SL_SM_SN_E_clIS8_S8_S9_S9_EESK_S10_SL_SM_SN_EUlS10_E1_NS1_11comp_targetILNS1_3genE10ELNS1_11target_archE1201ELNS1_3gpuE5ELNS1_3repE0EEENS1_36merge_oddeven_config_static_selectorELNS0_4arch9wavefront6targetE1EEEvSM_
; %bb.0:
	.section	.rodata,"a",@progbits
	.p2align	6, 0x0
	.amdhsa_kernel _ZN7rocprim17ROCPRIM_400000_NS6detail17trampoline_kernelINS0_14default_configENS1_38merge_sort_block_merge_config_selectorIlNS0_10empty_typeEEEZZNS1_27merge_sort_block_merge_implIS3_PlPS5_mZN2at6native12_GLOBAL__N_124unique_dim_cuda_templateIjEESt5tupleIJNSA_6TensorESF_SF_EERKSF_lbbbEUlllE_EE10hipError_tT0_T1_T2_jT3_P12ihipStream_tbPNSt15iterator_traitsISL_E10value_typeEPNSR_ISM_E10value_typeEPSN_NS1_7vsmem_tEENKUlT_SL_SM_SN_E_clIS8_S8_S9_S9_EESK_S10_SL_SM_SN_EUlS10_E1_NS1_11comp_targetILNS1_3genE10ELNS1_11target_archE1201ELNS1_3gpuE5ELNS1_3repE0EEENS1_36merge_oddeven_config_static_selectorELNS0_4arch9wavefront6targetE1EEEvSM_
		.amdhsa_group_segment_fixed_size 0
		.amdhsa_private_segment_fixed_size 0
		.amdhsa_kernarg_size 64
		.amdhsa_user_sgpr_count 2
		.amdhsa_user_sgpr_dispatch_ptr 0
		.amdhsa_user_sgpr_queue_ptr 0
		.amdhsa_user_sgpr_kernarg_segment_ptr 1
		.amdhsa_user_sgpr_dispatch_id 0
		.amdhsa_user_sgpr_kernarg_preload_length 0
		.amdhsa_user_sgpr_kernarg_preload_offset 0
		.amdhsa_user_sgpr_private_segment_size 0
		.amdhsa_uses_dynamic_stack 0
		.amdhsa_enable_private_segment 0
		.amdhsa_system_sgpr_workgroup_id_x 1
		.amdhsa_system_sgpr_workgroup_id_y 0
		.amdhsa_system_sgpr_workgroup_id_z 0
		.amdhsa_system_sgpr_workgroup_info 0
		.amdhsa_system_vgpr_workitem_id 0
		.amdhsa_next_free_vgpr 1
		.amdhsa_next_free_sgpr 0
		.amdhsa_accum_offset 4
		.amdhsa_reserve_vcc 0
		.amdhsa_float_round_mode_32 0
		.amdhsa_float_round_mode_16_64 0
		.amdhsa_float_denorm_mode_32 3
		.amdhsa_float_denorm_mode_16_64 3
		.amdhsa_dx10_clamp 1
		.amdhsa_ieee_mode 1
		.amdhsa_fp16_overflow 0
		.amdhsa_tg_split 0
		.amdhsa_exception_fp_ieee_invalid_op 0
		.amdhsa_exception_fp_denorm_src 0
		.amdhsa_exception_fp_ieee_div_zero 0
		.amdhsa_exception_fp_ieee_overflow 0
		.amdhsa_exception_fp_ieee_underflow 0
		.amdhsa_exception_fp_ieee_inexact 0
		.amdhsa_exception_int_div_zero 0
	.end_amdhsa_kernel
	.section	.text._ZN7rocprim17ROCPRIM_400000_NS6detail17trampoline_kernelINS0_14default_configENS1_38merge_sort_block_merge_config_selectorIlNS0_10empty_typeEEEZZNS1_27merge_sort_block_merge_implIS3_PlPS5_mZN2at6native12_GLOBAL__N_124unique_dim_cuda_templateIjEESt5tupleIJNSA_6TensorESF_SF_EERKSF_lbbbEUlllE_EE10hipError_tT0_T1_T2_jT3_P12ihipStream_tbPNSt15iterator_traitsISL_E10value_typeEPNSR_ISM_E10value_typeEPSN_NS1_7vsmem_tEENKUlT_SL_SM_SN_E_clIS8_S8_S9_S9_EESK_S10_SL_SM_SN_EUlS10_E1_NS1_11comp_targetILNS1_3genE10ELNS1_11target_archE1201ELNS1_3gpuE5ELNS1_3repE0EEENS1_36merge_oddeven_config_static_selectorELNS0_4arch9wavefront6targetE1EEEvSM_,"axG",@progbits,_ZN7rocprim17ROCPRIM_400000_NS6detail17trampoline_kernelINS0_14default_configENS1_38merge_sort_block_merge_config_selectorIlNS0_10empty_typeEEEZZNS1_27merge_sort_block_merge_implIS3_PlPS5_mZN2at6native12_GLOBAL__N_124unique_dim_cuda_templateIjEESt5tupleIJNSA_6TensorESF_SF_EERKSF_lbbbEUlllE_EE10hipError_tT0_T1_T2_jT3_P12ihipStream_tbPNSt15iterator_traitsISL_E10value_typeEPNSR_ISM_E10value_typeEPSN_NS1_7vsmem_tEENKUlT_SL_SM_SN_E_clIS8_S8_S9_S9_EESK_S10_SL_SM_SN_EUlS10_E1_NS1_11comp_targetILNS1_3genE10ELNS1_11target_archE1201ELNS1_3gpuE5ELNS1_3repE0EEENS1_36merge_oddeven_config_static_selectorELNS0_4arch9wavefront6targetE1EEEvSM_,comdat
.Lfunc_end1519:
	.size	_ZN7rocprim17ROCPRIM_400000_NS6detail17trampoline_kernelINS0_14default_configENS1_38merge_sort_block_merge_config_selectorIlNS0_10empty_typeEEEZZNS1_27merge_sort_block_merge_implIS3_PlPS5_mZN2at6native12_GLOBAL__N_124unique_dim_cuda_templateIjEESt5tupleIJNSA_6TensorESF_SF_EERKSF_lbbbEUlllE_EE10hipError_tT0_T1_T2_jT3_P12ihipStream_tbPNSt15iterator_traitsISL_E10value_typeEPNSR_ISM_E10value_typeEPSN_NS1_7vsmem_tEENKUlT_SL_SM_SN_E_clIS8_S8_S9_S9_EESK_S10_SL_SM_SN_EUlS10_E1_NS1_11comp_targetILNS1_3genE10ELNS1_11target_archE1201ELNS1_3gpuE5ELNS1_3repE0EEENS1_36merge_oddeven_config_static_selectorELNS0_4arch9wavefront6targetE1EEEvSM_, .Lfunc_end1519-_ZN7rocprim17ROCPRIM_400000_NS6detail17trampoline_kernelINS0_14default_configENS1_38merge_sort_block_merge_config_selectorIlNS0_10empty_typeEEEZZNS1_27merge_sort_block_merge_implIS3_PlPS5_mZN2at6native12_GLOBAL__N_124unique_dim_cuda_templateIjEESt5tupleIJNSA_6TensorESF_SF_EERKSF_lbbbEUlllE_EE10hipError_tT0_T1_T2_jT3_P12ihipStream_tbPNSt15iterator_traitsISL_E10value_typeEPNSR_ISM_E10value_typeEPSN_NS1_7vsmem_tEENKUlT_SL_SM_SN_E_clIS8_S8_S9_S9_EESK_S10_SL_SM_SN_EUlS10_E1_NS1_11comp_targetILNS1_3genE10ELNS1_11target_archE1201ELNS1_3gpuE5ELNS1_3repE0EEENS1_36merge_oddeven_config_static_selectorELNS0_4arch9wavefront6targetE1EEEvSM_
                                        ; -- End function
	.section	.AMDGPU.csdata,"",@progbits
; Kernel info:
; codeLenInByte = 0
; NumSgprs: 6
; NumVgprs: 0
; NumAgprs: 0
; TotalNumVgprs: 0
; ScratchSize: 0
; MemoryBound: 0
; FloatMode: 240
; IeeeMode: 1
; LDSByteSize: 0 bytes/workgroup (compile time only)
; SGPRBlocks: 0
; VGPRBlocks: 0
; NumSGPRsForWavesPerEU: 6
; NumVGPRsForWavesPerEU: 1
; AccumOffset: 4
; Occupancy: 8
; WaveLimiterHint : 0
; COMPUTE_PGM_RSRC2:SCRATCH_EN: 0
; COMPUTE_PGM_RSRC2:USER_SGPR: 2
; COMPUTE_PGM_RSRC2:TRAP_HANDLER: 0
; COMPUTE_PGM_RSRC2:TGID_X_EN: 1
; COMPUTE_PGM_RSRC2:TGID_Y_EN: 0
; COMPUTE_PGM_RSRC2:TGID_Z_EN: 0
; COMPUTE_PGM_RSRC2:TIDIG_COMP_CNT: 0
; COMPUTE_PGM_RSRC3_GFX90A:ACCUM_OFFSET: 0
; COMPUTE_PGM_RSRC3_GFX90A:TG_SPLIT: 0
	.section	.text._ZN7rocprim17ROCPRIM_400000_NS6detail17trampoline_kernelINS0_14default_configENS1_38merge_sort_block_merge_config_selectorIlNS0_10empty_typeEEEZZNS1_27merge_sort_block_merge_implIS3_PlPS5_mZN2at6native12_GLOBAL__N_124unique_dim_cuda_templateIjEESt5tupleIJNSA_6TensorESF_SF_EERKSF_lbbbEUlllE_EE10hipError_tT0_T1_T2_jT3_P12ihipStream_tbPNSt15iterator_traitsISL_E10value_typeEPNSR_ISM_E10value_typeEPSN_NS1_7vsmem_tEENKUlT_SL_SM_SN_E_clIS8_S8_S9_S9_EESK_S10_SL_SM_SN_EUlS10_E1_NS1_11comp_targetILNS1_3genE5ELNS1_11target_archE942ELNS1_3gpuE9ELNS1_3repE0EEENS1_36merge_oddeven_config_static_selectorELNS0_4arch9wavefront6targetE1EEEvSM_,"axG",@progbits,_ZN7rocprim17ROCPRIM_400000_NS6detail17trampoline_kernelINS0_14default_configENS1_38merge_sort_block_merge_config_selectorIlNS0_10empty_typeEEEZZNS1_27merge_sort_block_merge_implIS3_PlPS5_mZN2at6native12_GLOBAL__N_124unique_dim_cuda_templateIjEESt5tupleIJNSA_6TensorESF_SF_EERKSF_lbbbEUlllE_EE10hipError_tT0_T1_T2_jT3_P12ihipStream_tbPNSt15iterator_traitsISL_E10value_typeEPNSR_ISM_E10value_typeEPSN_NS1_7vsmem_tEENKUlT_SL_SM_SN_E_clIS8_S8_S9_S9_EESK_S10_SL_SM_SN_EUlS10_E1_NS1_11comp_targetILNS1_3genE5ELNS1_11target_archE942ELNS1_3gpuE9ELNS1_3repE0EEENS1_36merge_oddeven_config_static_selectorELNS0_4arch9wavefront6targetE1EEEvSM_,comdat
	.globl	_ZN7rocprim17ROCPRIM_400000_NS6detail17trampoline_kernelINS0_14default_configENS1_38merge_sort_block_merge_config_selectorIlNS0_10empty_typeEEEZZNS1_27merge_sort_block_merge_implIS3_PlPS5_mZN2at6native12_GLOBAL__N_124unique_dim_cuda_templateIjEESt5tupleIJNSA_6TensorESF_SF_EERKSF_lbbbEUlllE_EE10hipError_tT0_T1_T2_jT3_P12ihipStream_tbPNSt15iterator_traitsISL_E10value_typeEPNSR_ISM_E10value_typeEPSN_NS1_7vsmem_tEENKUlT_SL_SM_SN_E_clIS8_S8_S9_S9_EESK_S10_SL_SM_SN_EUlS10_E1_NS1_11comp_targetILNS1_3genE5ELNS1_11target_archE942ELNS1_3gpuE9ELNS1_3repE0EEENS1_36merge_oddeven_config_static_selectorELNS0_4arch9wavefront6targetE1EEEvSM_ ; -- Begin function _ZN7rocprim17ROCPRIM_400000_NS6detail17trampoline_kernelINS0_14default_configENS1_38merge_sort_block_merge_config_selectorIlNS0_10empty_typeEEEZZNS1_27merge_sort_block_merge_implIS3_PlPS5_mZN2at6native12_GLOBAL__N_124unique_dim_cuda_templateIjEESt5tupleIJNSA_6TensorESF_SF_EERKSF_lbbbEUlllE_EE10hipError_tT0_T1_T2_jT3_P12ihipStream_tbPNSt15iterator_traitsISL_E10value_typeEPNSR_ISM_E10value_typeEPSN_NS1_7vsmem_tEENKUlT_SL_SM_SN_E_clIS8_S8_S9_S9_EESK_S10_SL_SM_SN_EUlS10_E1_NS1_11comp_targetILNS1_3genE5ELNS1_11target_archE942ELNS1_3gpuE9ELNS1_3repE0EEENS1_36merge_oddeven_config_static_selectorELNS0_4arch9wavefront6targetE1EEEvSM_
	.p2align	8
	.type	_ZN7rocprim17ROCPRIM_400000_NS6detail17trampoline_kernelINS0_14default_configENS1_38merge_sort_block_merge_config_selectorIlNS0_10empty_typeEEEZZNS1_27merge_sort_block_merge_implIS3_PlPS5_mZN2at6native12_GLOBAL__N_124unique_dim_cuda_templateIjEESt5tupleIJNSA_6TensorESF_SF_EERKSF_lbbbEUlllE_EE10hipError_tT0_T1_T2_jT3_P12ihipStream_tbPNSt15iterator_traitsISL_E10value_typeEPNSR_ISM_E10value_typeEPSN_NS1_7vsmem_tEENKUlT_SL_SM_SN_E_clIS8_S8_S9_S9_EESK_S10_SL_SM_SN_EUlS10_E1_NS1_11comp_targetILNS1_3genE5ELNS1_11target_archE942ELNS1_3gpuE9ELNS1_3repE0EEENS1_36merge_oddeven_config_static_selectorELNS0_4arch9wavefront6targetE1EEEvSM_,@function
_ZN7rocprim17ROCPRIM_400000_NS6detail17trampoline_kernelINS0_14default_configENS1_38merge_sort_block_merge_config_selectorIlNS0_10empty_typeEEEZZNS1_27merge_sort_block_merge_implIS3_PlPS5_mZN2at6native12_GLOBAL__N_124unique_dim_cuda_templateIjEESt5tupleIJNSA_6TensorESF_SF_EERKSF_lbbbEUlllE_EE10hipError_tT0_T1_T2_jT3_P12ihipStream_tbPNSt15iterator_traitsISL_E10value_typeEPNSR_ISM_E10value_typeEPSN_NS1_7vsmem_tEENKUlT_SL_SM_SN_E_clIS8_S8_S9_S9_EESK_S10_SL_SM_SN_EUlS10_E1_NS1_11comp_targetILNS1_3genE5ELNS1_11target_archE942ELNS1_3gpuE9ELNS1_3repE0EEENS1_36merge_oddeven_config_static_selectorELNS0_4arch9wavefront6targetE1EEEvSM_: ; @_ZN7rocprim17ROCPRIM_400000_NS6detail17trampoline_kernelINS0_14default_configENS1_38merge_sort_block_merge_config_selectorIlNS0_10empty_typeEEEZZNS1_27merge_sort_block_merge_implIS3_PlPS5_mZN2at6native12_GLOBAL__N_124unique_dim_cuda_templateIjEESt5tupleIJNSA_6TensorESF_SF_EERKSF_lbbbEUlllE_EE10hipError_tT0_T1_T2_jT3_P12ihipStream_tbPNSt15iterator_traitsISL_E10value_typeEPNSR_ISM_E10value_typeEPSN_NS1_7vsmem_tEENKUlT_SL_SM_SN_E_clIS8_S8_S9_S9_EESK_S10_SL_SM_SN_EUlS10_E1_NS1_11comp_targetILNS1_3genE5ELNS1_11target_archE942ELNS1_3gpuE9ELNS1_3repE0EEENS1_36merge_oddeven_config_static_selectorELNS0_4arch9wavefront6targetE1EEEvSM_
; %bb.0:
	s_load_dword s22, s[0:1], 0x20
	s_waitcnt lgkmcnt(0)
	s_lshr_b32 s3, s22, 8
	s_cmp_lg_u32 s2, s3
	s_cselect_b64 s[12:13], -1, 0
	s_cmp_eq_u32 s2, s3
	s_cselect_b64 s[6:7], -1, 0
	s_lshl_b32 s20, s2, 8
	s_sub_i32 s3, s22, s20
	v_cmp_gt_u32_e64 s[4:5], s3, v0
	s_or_b64 s[8:9], s[12:13], s[4:5]
	s_and_saveexec_b64 s[10:11], s[8:9]
	s_cbranch_execz .LBB1520_54
; %bb.1:
	s_load_dwordx4 s[8:11], s[0:1], 0x0
	s_load_dword s23, s[0:1], 0x28
	s_mov_b32 s21, 0
	s_lshl_b64 s[14:15], s[20:21], 3
	v_lshlrev_b32_e32 v1, 3, v0
	s_waitcnt lgkmcnt(0)
	s_add_u32 s14, s8, s14
	s_addc_u32 s15, s9, s15
	global_load_dwordx2 v[2:3], v1, s[14:15]
	s_lshr_b32 s3, s23, 8
	s_sub_i32 s14, 0, s3
	s_and_b32 s2, s2, s14
	s_and_b32 s3, s2, s3
	s_cmp_lg_u32 s3, 0
	s_cselect_b64 s[16:17], -1, 0
	s_lshl_b32 s21, s2, 8
	s_sub_i32 s2, 0, s23
	s_cmp_eq_u32 s3, 0
	s_cselect_b32 s33, s23, s2
	s_add_i32 s33, s33, s21
	s_cmp_lt_u32 s33, s22
	s_cbranch_scc1 .LBB1520_3
; %bb.2:
	v_add_u32_e32 v4, s20, v0
	v_cmp_gt_u32_e32 vcc, s22, v4
	s_or_b64 s[12:13], vcc, s[12:13]
	s_and_b64 s[18:19], s[12:13], exec
	s_cbranch_execz .LBB1520_4
	s_branch .LBB1520_52
.LBB1520_3:
	s_mov_b64 s[18:19], 0
                                        ; implicit-def: $vgpr4
.LBB1520_4:
	s_load_dwordx4 s[12:15], s[0:1], 0x30
	s_min_u32 s44, s33, s22
	s_add_i32 s0, s44, s23
	s_min_u32 s45, s0, s22
	s_min_u32 s0, s21, s44
	v_add_u32_e32 v0, s20, v0
	s_add_i32 s21, s21, s44
	v_subrev_u32_e32 v0, s21, v0
	v_add_u32_e32 v14, s0, v0
	s_and_b64 vcc, exec, s[6:7]
	s_cbranch_vccz .LBB1520_26
; %bb.5:
                                        ; implicit-def: $vgpr4
	s_and_saveexec_b64 s[20:21], s[4:5]
	s_cbranch_execz .LBB1520_29
; %bb.6:
	s_cmp_ge_u32 s33, s45
	v_mov_b32_e32 v15, s44
	s_cbranch_scc1 .LBB1520_28
; %bb.7:
	s_waitcnt vmcnt(0) lgkmcnt(0)
	v_mul_lo_u32 v0, v3, s12
	v_mul_lo_u32 v1, v2, s13
	v_mad_u64_u32 v[4:5], s[0:1], v2, s12, 0
	v_cndmask_b32_e64 v6, 0, 1, s[16:17]
	v_cmp_gt_i64_e64 s[2:3], s[12:13], 0
	v_add3_u32 v5, v5, v1, v0
	v_cmp_ne_u32_e64 s[0:1], 1, v6
	v_cndmask_b32_e64 v6, 0, 1, s[2:3]
	s_mov_b64 s[22:23], 0
	v_mov_b64_e32 v[0:1], s[14:15]
	v_lshl_add_u64 v[4:5], v[4:5], 2, s[14:15]
	s_lshl_b64 s[24:25], s[12:13], 2
	v_mov_b32_e32 v16, s45
	v_mov_b32_e32 v15, s44
	;; [unrolled: 1-line block ×3, first 2 shown]
	v_cmp_ne_u32_e64 s[2:3], 1, v6
	s_branch .LBB1520_10
.LBB1520_8:                             ;   in Loop: Header=BB1520_10 Depth=1
	s_or_b64 exec, exec, s[28:29]
.LBB1520_9:                             ;   in Loop: Header=BB1520_10 Depth=1
	s_waitcnt vmcnt(0)
	v_add_u32_e32 v8, 1, v6
	v_cndmask_b32_e64 v16, v6, v16, s[26:27]
	v_cndmask_b32_e64 v15, v15, v8, s[26:27]
	v_cmp_ge_u32_e32 vcc, v15, v16
	s_or_b64 s[22:23], vcc, s[22:23]
	s_andn2_b64 exec, exec, s[22:23]
	s_cbranch_execz .LBB1520_27
.LBB1520_10:                            ; =>This Loop Header: Depth=1
                                        ;     Child Loop BB1520_14 Depth 2
                                        ;     Child Loop BB1520_23 Depth 2
	v_add_u32_e32 v6, v15, v16
	v_lshrrev_b32_e32 v6, 1, v6
	v_lshl_add_u64 v[8:9], v[6:7], 3, s[8:9]
	global_load_dwordx2 v[8:9], v[8:9], off
	s_and_b64 vcc, exec, s[0:1]
	s_mov_b64 s[4:5], -1
                                        ; implicit-def: $sgpr26_sgpr27
	s_cbranch_vccnz .LBB1520_19
; %bb.11:                               ;   in Loop: Header=BB1520_10 Depth=1
	s_and_b64 vcc, exec, s[2:3]
	s_cbranch_vccnz .LBB1520_17
; %bb.12:                               ;   in Loop: Header=BB1520_10 Depth=1
	s_waitcnt vmcnt(0)
	v_mad_u64_u32 v[10:11], s[4:5], s24, v8, v[0:1]
	v_mul_lo_u32 v12, s24, v9
	v_mul_lo_u32 v13, s25, v8
	v_add3_u32 v11, v13, v11, v12
	s_mov_b64 s[28:29], 0
	s_mov_b64 s[36:37], s[12:13]
	v_mov_b64_e32 v[12:13], v[4:5]
                                        ; implicit-def: $sgpr26_sgpr27
                                        ; implicit-def: $sgpr30_sgpr31
                                        ; implicit-def: $sgpr34_sgpr35
                                        ; implicit-def: $sgpr4_sgpr5
                                        ; implicit-def: $sgpr38_sgpr39
	s_branch .LBB1520_14
.LBB1520_13:                            ;   in Loop: Header=BB1520_14 Depth=2
	s_or_b64 exec, exec, s[40:41]
	s_and_b64 s[6:7], exec, s[30:31]
	s_or_b64 s[28:29], s[6:7], s[28:29]
	s_andn2_b64 s[6:7], s[38:39], exec
	s_and_b64 s[38:39], s[34:35], exec
	s_or_b64 s[38:39], s[6:7], s[38:39]
	s_andn2_b64 s[6:7], s[26:27], exec
	s_and_b64 s[26:27], s[4:5], exec
	s_or_b64 s[26:27], s[6:7], s[26:27]
	s_andn2_b64 exec, exec, s[28:29]
	s_cbranch_execz .LBB1520_16
.LBB1520_14:                            ;   Parent Loop BB1520_10 Depth=1
                                        ; =>  This Inner Loop Header: Depth=2
	global_load_dword v17, v[12:13], off
	global_load_dword v18, v[10:11], off
	s_andn2_b64 s[40:41], s[4:5], exec
	s_andn2_b64 s[34:35], s[34:35], exec
	s_or_b64 s[30:31], s[30:31], exec
	s_waitcnt vmcnt(0)
	v_cmp_le_u32_e64 s[4:5], v17, v18
	v_cmp_lt_u32_e32 vcc, v17, v18
	s_and_b64 s[4:5], s[4:5], s[38:39]
	s_or_b64 s[42:43], vcc, s[4:5]
	s_and_b64 s[4:5], s[42:43], exec
	v_cmp_eq_u32_e64 s[6:7], v17, v18
	s_or_b64 s[4:5], s[40:41], s[4:5]
	s_and_saveexec_b64 s[40:41], s[6:7]
	s_cbranch_execz .LBB1520_13
; %bb.15:                               ;   in Loop: Header=BB1520_14 Depth=2
	s_add_u32 s36, s36, -1
	s_addc_u32 s37, s37, -1
	s_cmp_eq_u64 s[36:37], 0
	s_cselect_b64 s[6:7], -1, 0
	s_andn2_b64 s[34:35], s[34:35], exec
	s_and_b64 s[38:39], s[42:43], exec
	s_andn2_b64 s[30:31], s[30:31], exec
	s_and_b64 s[6:7], s[6:7], exec
	v_lshl_add_u64 v[12:13], v[12:13], 0, 4
	v_lshl_add_u64 v[10:11], v[10:11], 0, 4
	s_andn2_b64 s[4:5], s[4:5], exec
	s_or_b64 s[34:35], s[34:35], s[38:39]
	s_or_b64 s[30:31], s[30:31], s[6:7]
                                        ; implicit-def: $sgpr38_sgpr39
	s_branch .LBB1520_13
.LBB1520_16:                            ;   in Loop: Header=BB1520_10 Depth=1
	s_or_b64 exec, exec, s[28:29]
	s_branch .LBB1520_18
.LBB1520_17:                            ;   in Loop: Header=BB1520_10 Depth=1
	s_mov_b64 s[26:27], 0
.LBB1520_18:                            ;   in Loop: Header=BB1520_10 Depth=1
	s_xor_b64 s[26:27], s[26:27], -1
	s_mov_b64 s[4:5], 0
.LBB1520_19:                            ;   in Loop: Header=BB1520_10 Depth=1
	s_and_b64 vcc, exec, s[4:5]
	s_cbranch_vccz .LBB1520_9
; %bb.20:                               ;   in Loop: Header=BB1520_10 Depth=1
	s_and_b64 vcc, exec, s[2:3]
	s_cbranch_vccnz .LBB1520_25
; %bb.21:                               ;   in Loop: Header=BB1520_10 Depth=1
	s_waitcnt vmcnt(0)
	v_mad_u64_u32 v[10:11], s[4:5], s24, v8, v[0:1]
	v_mul_lo_u32 v9, s24, v9
	v_mul_lo_u32 v8, s25, v8
	v_add3_u32 v11, v8, v11, v9
	s_mov_b64 s[28:29], 0
	s_mov_b64 s[36:37], s[12:13]
	v_mov_b64_e32 v[8:9], v[4:5]
                                        ; implicit-def: $sgpr26_sgpr27
                                        ; implicit-def: $sgpr30_sgpr31
                                        ; implicit-def: $sgpr34_sgpr35
                                        ; implicit-def: $sgpr4_sgpr5
                                        ; implicit-def: $sgpr38_sgpr39
	s_branch .LBB1520_23
.LBB1520_22:                            ;   in Loop: Header=BB1520_23 Depth=2
	s_or_b64 exec, exec, s[40:41]
	s_and_b64 s[6:7], exec, s[30:31]
	s_or_b64 s[28:29], s[6:7], s[28:29]
	s_andn2_b64 s[6:7], s[38:39], exec
	s_and_b64 s[38:39], s[34:35], exec
	s_or_b64 s[38:39], s[6:7], s[38:39]
	s_andn2_b64 s[6:7], s[26:27], exec
	s_and_b64 s[26:27], s[4:5], exec
	s_or_b64 s[26:27], s[6:7], s[26:27]
	s_andn2_b64 exec, exec, s[28:29]
	s_cbranch_execz .LBB1520_8
.LBB1520_23:                            ;   Parent Loop BB1520_10 Depth=1
                                        ; =>  This Inner Loop Header: Depth=2
	global_load_dword v12, v[10:11], off
	global_load_dword v13, v[8:9], off
	s_andn2_b64 s[40:41], s[4:5], exec
	s_andn2_b64 s[34:35], s[34:35], exec
	s_or_b64 s[30:31], s[30:31], exec
	s_waitcnt vmcnt(0)
	v_cmp_le_u32_e64 s[4:5], v12, v13
	v_cmp_lt_u32_e32 vcc, v12, v13
	s_and_b64 s[4:5], s[4:5], s[38:39]
	s_or_b64 s[42:43], vcc, s[4:5]
	s_and_b64 s[4:5], s[42:43], exec
	v_cmp_eq_u32_e64 s[6:7], v12, v13
	s_or_b64 s[4:5], s[40:41], s[4:5]
	s_and_saveexec_b64 s[40:41], s[6:7]
	s_cbranch_execz .LBB1520_22
; %bb.24:                               ;   in Loop: Header=BB1520_23 Depth=2
	s_add_u32 s36, s36, -1
	s_addc_u32 s37, s37, -1
	s_cmp_eq_u64 s[36:37], 0
	s_cselect_b64 s[6:7], -1, 0
	s_andn2_b64 s[34:35], s[34:35], exec
	s_and_b64 s[38:39], s[42:43], exec
	s_andn2_b64 s[30:31], s[30:31], exec
	s_and_b64 s[6:7], s[6:7], exec
	v_lshl_add_u64 v[10:11], v[10:11], 0, 4
	v_lshl_add_u64 v[8:9], v[8:9], 0, 4
	s_andn2_b64 s[4:5], s[4:5], exec
	s_or_b64 s[34:35], s[34:35], s[38:39]
	s_or_b64 s[30:31], s[30:31], s[6:7]
                                        ; implicit-def: $sgpr38_sgpr39
	s_branch .LBB1520_22
.LBB1520_25:                            ;   in Loop: Header=BB1520_10 Depth=1
	s_mov_b64 s[26:27], 0
	s_branch .LBB1520_9
.LBB1520_26:
                                        ; implicit-def: $vgpr4
	s_cbranch_execnz .LBB1520_30
	s_branch .LBB1520_52
.LBB1520_27:
	s_or_b64 exec, exec, s[22:23]
.LBB1520_28:
	v_add_u32_e32 v4, v15, v14
	s_or_b64 s[18:19], s[18:19], exec
.LBB1520_29:
	s_or_b64 exec, exec, s[20:21]
	s_branch .LBB1520_52
.LBB1520_30:
	s_cmp_ge_u32 s33, s45
	v_mov_b32_e32 v15, s44
	s_cbranch_scc1 .LBB1520_51
; %bb.31:
	s_waitcnt vmcnt(0) lgkmcnt(0)
	v_mul_lo_u32 v0, v3, s12
	v_mul_lo_u32 v1, v2, s13
	v_mad_u64_u32 v[4:5], s[0:1], v2, s12, 0
	v_cndmask_b32_e64 v6, 0, 1, s[16:17]
	v_cmp_gt_i64_e64 s[2:3], s[12:13], 0
	v_add3_u32 v5, v5, v1, v0
	v_cmp_ne_u32_e64 s[0:1], 1, v6
	v_cndmask_b32_e64 v6, 0, 1, s[2:3]
	s_mov_b64 s[18:19], 0
	v_mov_b64_e32 v[0:1], s[14:15]
	v_lshl_add_u64 v[4:5], v[4:5], 2, s[14:15]
	s_lshl_b64 s[14:15], s[12:13], 2
	v_mov_b32_e32 v16, s45
	v_mov_b32_e32 v15, s44
	v_mov_b32_e32 v7, 0
	v_cmp_ne_u32_e64 s[2:3], 1, v6
	s_branch .LBB1520_34
.LBB1520_32:                            ;   in Loop: Header=BB1520_34 Depth=1
	s_or_b64 exec, exec, s[20:21]
.LBB1520_33:                            ;   in Loop: Header=BB1520_34 Depth=1
	s_waitcnt vmcnt(0)
	v_add_u32_e32 v8, 1, v6
	v_cndmask_b32_e64 v16, v6, v16, s[16:17]
	v_cndmask_b32_e64 v15, v15, v8, s[16:17]
	v_cmp_ge_u32_e32 vcc, v15, v16
	s_or_b64 s[18:19], vcc, s[18:19]
	s_andn2_b64 exec, exec, s[18:19]
	s_cbranch_execz .LBB1520_50
.LBB1520_34:                            ; =>This Loop Header: Depth=1
                                        ;     Child Loop BB1520_38 Depth 2
                                        ;     Child Loop BB1520_47 Depth 2
	v_add_u32_e32 v6, v15, v16
	v_lshrrev_b32_e32 v6, 1, v6
	v_lshl_add_u64 v[8:9], v[6:7], 3, s[8:9]
	global_load_dwordx2 v[8:9], v[8:9], off
	s_and_b64 vcc, exec, s[0:1]
	s_mov_b64 s[4:5], -1
                                        ; implicit-def: $sgpr16_sgpr17
	s_cbranch_vccnz .LBB1520_43
; %bb.35:                               ;   in Loop: Header=BB1520_34 Depth=1
	s_and_b64 vcc, exec, s[2:3]
	s_cbranch_vccnz .LBB1520_41
; %bb.36:                               ;   in Loop: Header=BB1520_34 Depth=1
	s_waitcnt vmcnt(0)
	v_mad_u64_u32 v[10:11], s[4:5], s14, v8, v[0:1]
	v_mul_lo_u32 v12, s14, v9
	v_mul_lo_u32 v13, s15, v8
	v_add3_u32 v11, v13, v11, v12
	s_mov_b64 s[20:21], 0
	s_mov_b64 s[26:27], s[12:13]
	v_mov_b64_e32 v[12:13], v[4:5]
                                        ; implicit-def: $sgpr16_sgpr17
                                        ; implicit-def: $sgpr22_sgpr23
                                        ; implicit-def: $sgpr24_sgpr25
                                        ; implicit-def: $sgpr4_sgpr5
                                        ; implicit-def: $sgpr28_sgpr29
	s_branch .LBB1520_38
.LBB1520_37:                            ;   in Loop: Header=BB1520_38 Depth=2
	s_or_b64 exec, exec, s[30:31]
	s_and_b64 s[6:7], exec, s[22:23]
	s_or_b64 s[20:21], s[6:7], s[20:21]
	s_andn2_b64 s[6:7], s[28:29], exec
	s_and_b64 s[28:29], s[24:25], exec
	s_or_b64 s[28:29], s[6:7], s[28:29]
	s_andn2_b64 s[6:7], s[16:17], exec
	s_and_b64 s[16:17], s[4:5], exec
	s_or_b64 s[16:17], s[6:7], s[16:17]
	s_andn2_b64 exec, exec, s[20:21]
	s_cbranch_execz .LBB1520_40
.LBB1520_38:                            ;   Parent Loop BB1520_34 Depth=1
                                        ; =>  This Inner Loop Header: Depth=2
	global_load_dword v17, v[12:13], off
	global_load_dword v18, v[10:11], off
	s_andn2_b64 s[30:31], s[4:5], exec
	s_andn2_b64 s[24:25], s[24:25], exec
	s_or_b64 s[22:23], s[22:23], exec
	s_waitcnt vmcnt(0)
	v_cmp_le_u32_e64 s[4:5], v17, v18
	v_cmp_lt_u32_e32 vcc, v17, v18
	s_and_b64 s[4:5], s[4:5], s[28:29]
	s_or_b64 s[34:35], vcc, s[4:5]
	s_and_b64 s[4:5], s[34:35], exec
	v_cmp_eq_u32_e64 s[6:7], v17, v18
	s_or_b64 s[4:5], s[30:31], s[4:5]
	s_and_saveexec_b64 s[30:31], s[6:7]
	s_cbranch_execz .LBB1520_37
; %bb.39:                               ;   in Loop: Header=BB1520_38 Depth=2
	s_add_u32 s26, s26, -1
	s_addc_u32 s27, s27, -1
	s_cmp_eq_u64 s[26:27], 0
	s_cselect_b64 s[6:7], -1, 0
	s_andn2_b64 s[24:25], s[24:25], exec
	s_and_b64 s[28:29], s[34:35], exec
	s_andn2_b64 s[22:23], s[22:23], exec
	s_and_b64 s[6:7], s[6:7], exec
	v_lshl_add_u64 v[12:13], v[12:13], 0, 4
	v_lshl_add_u64 v[10:11], v[10:11], 0, 4
	s_andn2_b64 s[4:5], s[4:5], exec
	s_or_b64 s[24:25], s[24:25], s[28:29]
	s_or_b64 s[22:23], s[22:23], s[6:7]
                                        ; implicit-def: $sgpr28_sgpr29
	s_branch .LBB1520_37
.LBB1520_40:                            ;   in Loop: Header=BB1520_34 Depth=1
	s_or_b64 exec, exec, s[20:21]
	s_branch .LBB1520_42
.LBB1520_41:                            ;   in Loop: Header=BB1520_34 Depth=1
	s_mov_b64 s[16:17], 0
.LBB1520_42:                            ;   in Loop: Header=BB1520_34 Depth=1
	s_xor_b64 s[16:17], s[16:17], -1
	s_mov_b64 s[4:5], 0
.LBB1520_43:                            ;   in Loop: Header=BB1520_34 Depth=1
	s_and_b64 vcc, exec, s[4:5]
	s_cbranch_vccz .LBB1520_33
; %bb.44:                               ;   in Loop: Header=BB1520_34 Depth=1
	s_and_b64 vcc, exec, s[2:3]
	s_cbranch_vccnz .LBB1520_49
; %bb.45:                               ;   in Loop: Header=BB1520_34 Depth=1
	s_waitcnt vmcnt(0)
	v_mad_u64_u32 v[10:11], s[4:5], s14, v8, v[0:1]
	v_mul_lo_u32 v9, s14, v9
	v_mul_lo_u32 v8, s15, v8
	v_add3_u32 v11, v8, v11, v9
	s_mov_b64 s[20:21], 0
	s_mov_b64 s[26:27], s[12:13]
	v_mov_b64_e32 v[8:9], v[4:5]
                                        ; implicit-def: $sgpr16_sgpr17
                                        ; implicit-def: $sgpr22_sgpr23
                                        ; implicit-def: $sgpr24_sgpr25
                                        ; implicit-def: $sgpr4_sgpr5
                                        ; implicit-def: $sgpr28_sgpr29
	s_branch .LBB1520_47
.LBB1520_46:                            ;   in Loop: Header=BB1520_47 Depth=2
	s_or_b64 exec, exec, s[30:31]
	s_and_b64 s[6:7], exec, s[22:23]
	s_or_b64 s[20:21], s[6:7], s[20:21]
	s_andn2_b64 s[6:7], s[28:29], exec
	s_and_b64 s[28:29], s[24:25], exec
	s_or_b64 s[28:29], s[6:7], s[28:29]
	s_andn2_b64 s[6:7], s[16:17], exec
	s_and_b64 s[16:17], s[4:5], exec
	s_or_b64 s[16:17], s[6:7], s[16:17]
	s_andn2_b64 exec, exec, s[20:21]
	s_cbranch_execz .LBB1520_32
.LBB1520_47:                            ;   Parent Loop BB1520_34 Depth=1
                                        ; =>  This Inner Loop Header: Depth=2
	global_load_dword v12, v[10:11], off
	global_load_dword v13, v[8:9], off
	s_andn2_b64 s[30:31], s[4:5], exec
	s_andn2_b64 s[24:25], s[24:25], exec
	s_or_b64 s[22:23], s[22:23], exec
	s_waitcnt vmcnt(0)
	v_cmp_le_u32_e64 s[4:5], v12, v13
	v_cmp_lt_u32_e32 vcc, v12, v13
	s_and_b64 s[4:5], s[4:5], s[28:29]
	s_or_b64 s[34:35], vcc, s[4:5]
	s_and_b64 s[4:5], s[34:35], exec
	v_cmp_eq_u32_e64 s[6:7], v12, v13
	s_or_b64 s[4:5], s[30:31], s[4:5]
	s_and_saveexec_b64 s[30:31], s[6:7]
	s_cbranch_execz .LBB1520_46
; %bb.48:                               ;   in Loop: Header=BB1520_47 Depth=2
	s_add_u32 s26, s26, -1
	s_addc_u32 s27, s27, -1
	s_cmp_eq_u64 s[26:27], 0
	s_cselect_b64 s[6:7], -1, 0
	s_andn2_b64 s[24:25], s[24:25], exec
	s_and_b64 s[28:29], s[34:35], exec
	s_andn2_b64 s[22:23], s[22:23], exec
	s_and_b64 s[6:7], s[6:7], exec
	v_lshl_add_u64 v[10:11], v[10:11], 0, 4
	v_lshl_add_u64 v[8:9], v[8:9], 0, 4
	s_andn2_b64 s[4:5], s[4:5], exec
	s_or_b64 s[24:25], s[24:25], s[28:29]
	s_or_b64 s[22:23], s[22:23], s[6:7]
                                        ; implicit-def: $sgpr28_sgpr29
	s_branch .LBB1520_46
.LBB1520_49:                            ;   in Loop: Header=BB1520_34 Depth=1
	s_mov_b64 s[16:17], 0
	s_branch .LBB1520_33
.LBB1520_50:
	s_or_b64 exec, exec, s[18:19]
.LBB1520_51:
	v_add_u32_e32 v4, v15, v14
	s_mov_b64 s[18:19], -1
.LBB1520_52:
	s_and_b64 exec, exec, s[18:19]
	s_cbranch_execz .LBB1520_54
; %bb.53:
	v_mov_b32_e32 v0, s10
	v_mov_b32_e32 v1, s11
	;; [unrolled: 1-line block ×3, first 2 shown]
	v_lshl_add_u64 v[0:1], v[4:5], 3, v[0:1]
	s_waitcnt vmcnt(0)
	global_store_dwordx2 v[0:1], v[2:3], off
.LBB1520_54:
	s_endpgm
	.section	.rodata,"a",@progbits
	.p2align	6, 0x0
	.amdhsa_kernel _ZN7rocprim17ROCPRIM_400000_NS6detail17trampoline_kernelINS0_14default_configENS1_38merge_sort_block_merge_config_selectorIlNS0_10empty_typeEEEZZNS1_27merge_sort_block_merge_implIS3_PlPS5_mZN2at6native12_GLOBAL__N_124unique_dim_cuda_templateIjEESt5tupleIJNSA_6TensorESF_SF_EERKSF_lbbbEUlllE_EE10hipError_tT0_T1_T2_jT3_P12ihipStream_tbPNSt15iterator_traitsISL_E10value_typeEPNSR_ISM_E10value_typeEPSN_NS1_7vsmem_tEENKUlT_SL_SM_SN_E_clIS8_S8_S9_S9_EESK_S10_SL_SM_SN_EUlS10_E1_NS1_11comp_targetILNS1_3genE5ELNS1_11target_archE942ELNS1_3gpuE9ELNS1_3repE0EEENS1_36merge_oddeven_config_static_selectorELNS0_4arch9wavefront6targetE1EEEvSM_
		.amdhsa_group_segment_fixed_size 0
		.amdhsa_private_segment_fixed_size 0
		.amdhsa_kernarg_size 64
		.amdhsa_user_sgpr_count 2
		.amdhsa_user_sgpr_dispatch_ptr 0
		.amdhsa_user_sgpr_queue_ptr 0
		.amdhsa_user_sgpr_kernarg_segment_ptr 1
		.amdhsa_user_sgpr_dispatch_id 0
		.amdhsa_user_sgpr_kernarg_preload_length 0
		.amdhsa_user_sgpr_kernarg_preload_offset 0
		.amdhsa_user_sgpr_private_segment_size 0
		.amdhsa_uses_dynamic_stack 0
		.amdhsa_enable_private_segment 0
		.amdhsa_system_sgpr_workgroup_id_x 1
		.amdhsa_system_sgpr_workgroup_id_y 0
		.amdhsa_system_sgpr_workgroup_id_z 0
		.amdhsa_system_sgpr_workgroup_info 0
		.amdhsa_system_vgpr_workitem_id 0
		.amdhsa_next_free_vgpr 19
		.amdhsa_next_free_sgpr 46
		.amdhsa_accum_offset 20
		.amdhsa_reserve_vcc 1
		.amdhsa_float_round_mode_32 0
		.amdhsa_float_round_mode_16_64 0
		.amdhsa_float_denorm_mode_32 3
		.amdhsa_float_denorm_mode_16_64 3
		.amdhsa_dx10_clamp 1
		.amdhsa_ieee_mode 1
		.amdhsa_fp16_overflow 0
		.amdhsa_tg_split 0
		.amdhsa_exception_fp_ieee_invalid_op 0
		.amdhsa_exception_fp_denorm_src 0
		.amdhsa_exception_fp_ieee_div_zero 0
		.amdhsa_exception_fp_ieee_overflow 0
		.amdhsa_exception_fp_ieee_underflow 0
		.amdhsa_exception_fp_ieee_inexact 0
		.amdhsa_exception_int_div_zero 0
	.end_amdhsa_kernel
	.section	.text._ZN7rocprim17ROCPRIM_400000_NS6detail17trampoline_kernelINS0_14default_configENS1_38merge_sort_block_merge_config_selectorIlNS0_10empty_typeEEEZZNS1_27merge_sort_block_merge_implIS3_PlPS5_mZN2at6native12_GLOBAL__N_124unique_dim_cuda_templateIjEESt5tupleIJNSA_6TensorESF_SF_EERKSF_lbbbEUlllE_EE10hipError_tT0_T1_T2_jT3_P12ihipStream_tbPNSt15iterator_traitsISL_E10value_typeEPNSR_ISM_E10value_typeEPSN_NS1_7vsmem_tEENKUlT_SL_SM_SN_E_clIS8_S8_S9_S9_EESK_S10_SL_SM_SN_EUlS10_E1_NS1_11comp_targetILNS1_3genE5ELNS1_11target_archE942ELNS1_3gpuE9ELNS1_3repE0EEENS1_36merge_oddeven_config_static_selectorELNS0_4arch9wavefront6targetE1EEEvSM_,"axG",@progbits,_ZN7rocprim17ROCPRIM_400000_NS6detail17trampoline_kernelINS0_14default_configENS1_38merge_sort_block_merge_config_selectorIlNS0_10empty_typeEEEZZNS1_27merge_sort_block_merge_implIS3_PlPS5_mZN2at6native12_GLOBAL__N_124unique_dim_cuda_templateIjEESt5tupleIJNSA_6TensorESF_SF_EERKSF_lbbbEUlllE_EE10hipError_tT0_T1_T2_jT3_P12ihipStream_tbPNSt15iterator_traitsISL_E10value_typeEPNSR_ISM_E10value_typeEPSN_NS1_7vsmem_tEENKUlT_SL_SM_SN_E_clIS8_S8_S9_S9_EESK_S10_SL_SM_SN_EUlS10_E1_NS1_11comp_targetILNS1_3genE5ELNS1_11target_archE942ELNS1_3gpuE9ELNS1_3repE0EEENS1_36merge_oddeven_config_static_selectorELNS0_4arch9wavefront6targetE1EEEvSM_,comdat
.Lfunc_end1520:
	.size	_ZN7rocprim17ROCPRIM_400000_NS6detail17trampoline_kernelINS0_14default_configENS1_38merge_sort_block_merge_config_selectorIlNS0_10empty_typeEEEZZNS1_27merge_sort_block_merge_implIS3_PlPS5_mZN2at6native12_GLOBAL__N_124unique_dim_cuda_templateIjEESt5tupleIJNSA_6TensorESF_SF_EERKSF_lbbbEUlllE_EE10hipError_tT0_T1_T2_jT3_P12ihipStream_tbPNSt15iterator_traitsISL_E10value_typeEPNSR_ISM_E10value_typeEPSN_NS1_7vsmem_tEENKUlT_SL_SM_SN_E_clIS8_S8_S9_S9_EESK_S10_SL_SM_SN_EUlS10_E1_NS1_11comp_targetILNS1_3genE5ELNS1_11target_archE942ELNS1_3gpuE9ELNS1_3repE0EEENS1_36merge_oddeven_config_static_selectorELNS0_4arch9wavefront6targetE1EEEvSM_, .Lfunc_end1520-_ZN7rocprim17ROCPRIM_400000_NS6detail17trampoline_kernelINS0_14default_configENS1_38merge_sort_block_merge_config_selectorIlNS0_10empty_typeEEEZZNS1_27merge_sort_block_merge_implIS3_PlPS5_mZN2at6native12_GLOBAL__N_124unique_dim_cuda_templateIjEESt5tupleIJNSA_6TensorESF_SF_EERKSF_lbbbEUlllE_EE10hipError_tT0_T1_T2_jT3_P12ihipStream_tbPNSt15iterator_traitsISL_E10value_typeEPNSR_ISM_E10value_typeEPSN_NS1_7vsmem_tEENKUlT_SL_SM_SN_E_clIS8_S8_S9_S9_EESK_S10_SL_SM_SN_EUlS10_E1_NS1_11comp_targetILNS1_3genE5ELNS1_11target_archE942ELNS1_3gpuE9ELNS1_3repE0EEENS1_36merge_oddeven_config_static_selectorELNS0_4arch9wavefront6targetE1EEEvSM_
                                        ; -- End function
	.section	.AMDGPU.csdata,"",@progbits
; Kernel info:
; codeLenInByte = 1784
; NumSgprs: 52
; NumVgprs: 19
; NumAgprs: 0
; TotalNumVgprs: 19
; ScratchSize: 0
; MemoryBound: 0
; FloatMode: 240
; IeeeMode: 1
; LDSByteSize: 0 bytes/workgroup (compile time only)
; SGPRBlocks: 6
; VGPRBlocks: 2
; NumSGPRsForWavesPerEU: 52
; NumVGPRsForWavesPerEU: 19
; AccumOffset: 20
; Occupancy: 8
; WaveLimiterHint : 0
; COMPUTE_PGM_RSRC2:SCRATCH_EN: 0
; COMPUTE_PGM_RSRC2:USER_SGPR: 2
; COMPUTE_PGM_RSRC2:TRAP_HANDLER: 0
; COMPUTE_PGM_RSRC2:TGID_X_EN: 1
; COMPUTE_PGM_RSRC2:TGID_Y_EN: 0
; COMPUTE_PGM_RSRC2:TGID_Z_EN: 0
; COMPUTE_PGM_RSRC2:TIDIG_COMP_CNT: 0
; COMPUTE_PGM_RSRC3_GFX90A:ACCUM_OFFSET: 4
; COMPUTE_PGM_RSRC3_GFX90A:TG_SPLIT: 0
	.section	.text._ZN7rocprim17ROCPRIM_400000_NS6detail17trampoline_kernelINS0_14default_configENS1_38merge_sort_block_merge_config_selectorIlNS0_10empty_typeEEEZZNS1_27merge_sort_block_merge_implIS3_PlPS5_mZN2at6native12_GLOBAL__N_124unique_dim_cuda_templateIjEESt5tupleIJNSA_6TensorESF_SF_EERKSF_lbbbEUlllE_EE10hipError_tT0_T1_T2_jT3_P12ihipStream_tbPNSt15iterator_traitsISL_E10value_typeEPNSR_ISM_E10value_typeEPSN_NS1_7vsmem_tEENKUlT_SL_SM_SN_E_clIS8_S8_S9_S9_EESK_S10_SL_SM_SN_EUlS10_E1_NS1_11comp_targetILNS1_3genE4ELNS1_11target_archE910ELNS1_3gpuE8ELNS1_3repE0EEENS1_36merge_oddeven_config_static_selectorELNS0_4arch9wavefront6targetE1EEEvSM_,"axG",@progbits,_ZN7rocprim17ROCPRIM_400000_NS6detail17trampoline_kernelINS0_14default_configENS1_38merge_sort_block_merge_config_selectorIlNS0_10empty_typeEEEZZNS1_27merge_sort_block_merge_implIS3_PlPS5_mZN2at6native12_GLOBAL__N_124unique_dim_cuda_templateIjEESt5tupleIJNSA_6TensorESF_SF_EERKSF_lbbbEUlllE_EE10hipError_tT0_T1_T2_jT3_P12ihipStream_tbPNSt15iterator_traitsISL_E10value_typeEPNSR_ISM_E10value_typeEPSN_NS1_7vsmem_tEENKUlT_SL_SM_SN_E_clIS8_S8_S9_S9_EESK_S10_SL_SM_SN_EUlS10_E1_NS1_11comp_targetILNS1_3genE4ELNS1_11target_archE910ELNS1_3gpuE8ELNS1_3repE0EEENS1_36merge_oddeven_config_static_selectorELNS0_4arch9wavefront6targetE1EEEvSM_,comdat
	.globl	_ZN7rocprim17ROCPRIM_400000_NS6detail17trampoline_kernelINS0_14default_configENS1_38merge_sort_block_merge_config_selectorIlNS0_10empty_typeEEEZZNS1_27merge_sort_block_merge_implIS3_PlPS5_mZN2at6native12_GLOBAL__N_124unique_dim_cuda_templateIjEESt5tupleIJNSA_6TensorESF_SF_EERKSF_lbbbEUlllE_EE10hipError_tT0_T1_T2_jT3_P12ihipStream_tbPNSt15iterator_traitsISL_E10value_typeEPNSR_ISM_E10value_typeEPSN_NS1_7vsmem_tEENKUlT_SL_SM_SN_E_clIS8_S8_S9_S9_EESK_S10_SL_SM_SN_EUlS10_E1_NS1_11comp_targetILNS1_3genE4ELNS1_11target_archE910ELNS1_3gpuE8ELNS1_3repE0EEENS1_36merge_oddeven_config_static_selectorELNS0_4arch9wavefront6targetE1EEEvSM_ ; -- Begin function _ZN7rocprim17ROCPRIM_400000_NS6detail17trampoline_kernelINS0_14default_configENS1_38merge_sort_block_merge_config_selectorIlNS0_10empty_typeEEEZZNS1_27merge_sort_block_merge_implIS3_PlPS5_mZN2at6native12_GLOBAL__N_124unique_dim_cuda_templateIjEESt5tupleIJNSA_6TensorESF_SF_EERKSF_lbbbEUlllE_EE10hipError_tT0_T1_T2_jT3_P12ihipStream_tbPNSt15iterator_traitsISL_E10value_typeEPNSR_ISM_E10value_typeEPSN_NS1_7vsmem_tEENKUlT_SL_SM_SN_E_clIS8_S8_S9_S9_EESK_S10_SL_SM_SN_EUlS10_E1_NS1_11comp_targetILNS1_3genE4ELNS1_11target_archE910ELNS1_3gpuE8ELNS1_3repE0EEENS1_36merge_oddeven_config_static_selectorELNS0_4arch9wavefront6targetE1EEEvSM_
	.p2align	8
	.type	_ZN7rocprim17ROCPRIM_400000_NS6detail17trampoline_kernelINS0_14default_configENS1_38merge_sort_block_merge_config_selectorIlNS0_10empty_typeEEEZZNS1_27merge_sort_block_merge_implIS3_PlPS5_mZN2at6native12_GLOBAL__N_124unique_dim_cuda_templateIjEESt5tupleIJNSA_6TensorESF_SF_EERKSF_lbbbEUlllE_EE10hipError_tT0_T1_T2_jT3_P12ihipStream_tbPNSt15iterator_traitsISL_E10value_typeEPNSR_ISM_E10value_typeEPSN_NS1_7vsmem_tEENKUlT_SL_SM_SN_E_clIS8_S8_S9_S9_EESK_S10_SL_SM_SN_EUlS10_E1_NS1_11comp_targetILNS1_3genE4ELNS1_11target_archE910ELNS1_3gpuE8ELNS1_3repE0EEENS1_36merge_oddeven_config_static_selectorELNS0_4arch9wavefront6targetE1EEEvSM_,@function
_ZN7rocprim17ROCPRIM_400000_NS6detail17trampoline_kernelINS0_14default_configENS1_38merge_sort_block_merge_config_selectorIlNS0_10empty_typeEEEZZNS1_27merge_sort_block_merge_implIS3_PlPS5_mZN2at6native12_GLOBAL__N_124unique_dim_cuda_templateIjEESt5tupleIJNSA_6TensorESF_SF_EERKSF_lbbbEUlllE_EE10hipError_tT0_T1_T2_jT3_P12ihipStream_tbPNSt15iterator_traitsISL_E10value_typeEPNSR_ISM_E10value_typeEPSN_NS1_7vsmem_tEENKUlT_SL_SM_SN_E_clIS8_S8_S9_S9_EESK_S10_SL_SM_SN_EUlS10_E1_NS1_11comp_targetILNS1_3genE4ELNS1_11target_archE910ELNS1_3gpuE8ELNS1_3repE0EEENS1_36merge_oddeven_config_static_selectorELNS0_4arch9wavefront6targetE1EEEvSM_: ; @_ZN7rocprim17ROCPRIM_400000_NS6detail17trampoline_kernelINS0_14default_configENS1_38merge_sort_block_merge_config_selectorIlNS0_10empty_typeEEEZZNS1_27merge_sort_block_merge_implIS3_PlPS5_mZN2at6native12_GLOBAL__N_124unique_dim_cuda_templateIjEESt5tupleIJNSA_6TensorESF_SF_EERKSF_lbbbEUlllE_EE10hipError_tT0_T1_T2_jT3_P12ihipStream_tbPNSt15iterator_traitsISL_E10value_typeEPNSR_ISM_E10value_typeEPSN_NS1_7vsmem_tEENKUlT_SL_SM_SN_E_clIS8_S8_S9_S9_EESK_S10_SL_SM_SN_EUlS10_E1_NS1_11comp_targetILNS1_3genE4ELNS1_11target_archE910ELNS1_3gpuE8ELNS1_3repE0EEENS1_36merge_oddeven_config_static_selectorELNS0_4arch9wavefront6targetE1EEEvSM_
; %bb.0:
	.section	.rodata,"a",@progbits
	.p2align	6, 0x0
	.amdhsa_kernel _ZN7rocprim17ROCPRIM_400000_NS6detail17trampoline_kernelINS0_14default_configENS1_38merge_sort_block_merge_config_selectorIlNS0_10empty_typeEEEZZNS1_27merge_sort_block_merge_implIS3_PlPS5_mZN2at6native12_GLOBAL__N_124unique_dim_cuda_templateIjEESt5tupleIJNSA_6TensorESF_SF_EERKSF_lbbbEUlllE_EE10hipError_tT0_T1_T2_jT3_P12ihipStream_tbPNSt15iterator_traitsISL_E10value_typeEPNSR_ISM_E10value_typeEPSN_NS1_7vsmem_tEENKUlT_SL_SM_SN_E_clIS8_S8_S9_S9_EESK_S10_SL_SM_SN_EUlS10_E1_NS1_11comp_targetILNS1_3genE4ELNS1_11target_archE910ELNS1_3gpuE8ELNS1_3repE0EEENS1_36merge_oddeven_config_static_selectorELNS0_4arch9wavefront6targetE1EEEvSM_
		.amdhsa_group_segment_fixed_size 0
		.amdhsa_private_segment_fixed_size 0
		.amdhsa_kernarg_size 64
		.amdhsa_user_sgpr_count 2
		.amdhsa_user_sgpr_dispatch_ptr 0
		.amdhsa_user_sgpr_queue_ptr 0
		.amdhsa_user_sgpr_kernarg_segment_ptr 1
		.amdhsa_user_sgpr_dispatch_id 0
		.amdhsa_user_sgpr_kernarg_preload_length 0
		.amdhsa_user_sgpr_kernarg_preload_offset 0
		.amdhsa_user_sgpr_private_segment_size 0
		.amdhsa_uses_dynamic_stack 0
		.amdhsa_enable_private_segment 0
		.amdhsa_system_sgpr_workgroup_id_x 1
		.amdhsa_system_sgpr_workgroup_id_y 0
		.amdhsa_system_sgpr_workgroup_id_z 0
		.amdhsa_system_sgpr_workgroup_info 0
		.amdhsa_system_vgpr_workitem_id 0
		.amdhsa_next_free_vgpr 1
		.amdhsa_next_free_sgpr 0
		.amdhsa_accum_offset 4
		.amdhsa_reserve_vcc 0
		.amdhsa_float_round_mode_32 0
		.amdhsa_float_round_mode_16_64 0
		.amdhsa_float_denorm_mode_32 3
		.amdhsa_float_denorm_mode_16_64 3
		.amdhsa_dx10_clamp 1
		.amdhsa_ieee_mode 1
		.amdhsa_fp16_overflow 0
		.amdhsa_tg_split 0
		.amdhsa_exception_fp_ieee_invalid_op 0
		.amdhsa_exception_fp_denorm_src 0
		.amdhsa_exception_fp_ieee_div_zero 0
		.amdhsa_exception_fp_ieee_overflow 0
		.amdhsa_exception_fp_ieee_underflow 0
		.amdhsa_exception_fp_ieee_inexact 0
		.amdhsa_exception_int_div_zero 0
	.end_amdhsa_kernel
	.section	.text._ZN7rocprim17ROCPRIM_400000_NS6detail17trampoline_kernelINS0_14default_configENS1_38merge_sort_block_merge_config_selectorIlNS0_10empty_typeEEEZZNS1_27merge_sort_block_merge_implIS3_PlPS5_mZN2at6native12_GLOBAL__N_124unique_dim_cuda_templateIjEESt5tupleIJNSA_6TensorESF_SF_EERKSF_lbbbEUlllE_EE10hipError_tT0_T1_T2_jT3_P12ihipStream_tbPNSt15iterator_traitsISL_E10value_typeEPNSR_ISM_E10value_typeEPSN_NS1_7vsmem_tEENKUlT_SL_SM_SN_E_clIS8_S8_S9_S9_EESK_S10_SL_SM_SN_EUlS10_E1_NS1_11comp_targetILNS1_3genE4ELNS1_11target_archE910ELNS1_3gpuE8ELNS1_3repE0EEENS1_36merge_oddeven_config_static_selectorELNS0_4arch9wavefront6targetE1EEEvSM_,"axG",@progbits,_ZN7rocprim17ROCPRIM_400000_NS6detail17trampoline_kernelINS0_14default_configENS1_38merge_sort_block_merge_config_selectorIlNS0_10empty_typeEEEZZNS1_27merge_sort_block_merge_implIS3_PlPS5_mZN2at6native12_GLOBAL__N_124unique_dim_cuda_templateIjEESt5tupleIJNSA_6TensorESF_SF_EERKSF_lbbbEUlllE_EE10hipError_tT0_T1_T2_jT3_P12ihipStream_tbPNSt15iterator_traitsISL_E10value_typeEPNSR_ISM_E10value_typeEPSN_NS1_7vsmem_tEENKUlT_SL_SM_SN_E_clIS8_S8_S9_S9_EESK_S10_SL_SM_SN_EUlS10_E1_NS1_11comp_targetILNS1_3genE4ELNS1_11target_archE910ELNS1_3gpuE8ELNS1_3repE0EEENS1_36merge_oddeven_config_static_selectorELNS0_4arch9wavefront6targetE1EEEvSM_,comdat
.Lfunc_end1521:
	.size	_ZN7rocprim17ROCPRIM_400000_NS6detail17trampoline_kernelINS0_14default_configENS1_38merge_sort_block_merge_config_selectorIlNS0_10empty_typeEEEZZNS1_27merge_sort_block_merge_implIS3_PlPS5_mZN2at6native12_GLOBAL__N_124unique_dim_cuda_templateIjEESt5tupleIJNSA_6TensorESF_SF_EERKSF_lbbbEUlllE_EE10hipError_tT0_T1_T2_jT3_P12ihipStream_tbPNSt15iterator_traitsISL_E10value_typeEPNSR_ISM_E10value_typeEPSN_NS1_7vsmem_tEENKUlT_SL_SM_SN_E_clIS8_S8_S9_S9_EESK_S10_SL_SM_SN_EUlS10_E1_NS1_11comp_targetILNS1_3genE4ELNS1_11target_archE910ELNS1_3gpuE8ELNS1_3repE0EEENS1_36merge_oddeven_config_static_selectorELNS0_4arch9wavefront6targetE1EEEvSM_, .Lfunc_end1521-_ZN7rocprim17ROCPRIM_400000_NS6detail17trampoline_kernelINS0_14default_configENS1_38merge_sort_block_merge_config_selectorIlNS0_10empty_typeEEEZZNS1_27merge_sort_block_merge_implIS3_PlPS5_mZN2at6native12_GLOBAL__N_124unique_dim_cuda_templateIjEESt5tupleIJNSA_6TensorESF_SF_EERKSF_lbbbEUlllE_EE10hipError_tT0_T1_T2_jT3_P12ihipStream_tbPNSt15iterator_traitsISL_E10value_typeEPNSR_ISM_E10value_typeEPSN_NS1_7vsmem_tEENKUlT_SL_SM_SN_E_clIS8_S8_S9_S9_EESK_S10_SL_SM_SN_EUlS10_E1_NS1_11comp_targetILNS1_3genE4ELNS1_11target_archE910ELNS1_3gpuE8ELNS1_3repE0EEENS1_36merge_oddeven_config_static_selectorELNS0_4arch9wavefront6targetE1EEEvSM_
                                        ; -- End function
	.section	.AMDGPU.csdata,"",@progbits
; Kernel info:
; codeLenInByte = 0
; NumSgprs: 6
; NumVgprs: 0
; NumAgprs: 0
; TotalNumVgprs: 0
; ScratchSize: 0
; MemoryBound: 0
; FloatMode: 240
; IeeeMode: 1
; LDSByteSize: 0 bytes/workgroup (compile time only)
; SGPRBlocks: 0
; VGPRBlocks: 0
; NumSGPRsForWavesPerEU: 6
; NumVGPRsForWavesPerEU: 1
; AccumOffset: 4
; Occupancy: 8
; WaveLimiterHint : 0
; COMPUTE_PGM_RSRC2:SCRATCH_EN: 0
; COMPUTE_PGM_RSRC2:USER_SGPR: 2
; COMPUTE_PGM_RSRC2:TRAP_HANDLER: 0
; COMPUTE_PGM_RSRC2:TGID_X_EN: 1
; COMPUTE_PGM_RSRC2:TGID_Y_EN: 0
; COMPUTE_PGM_RSRC2:TGID_Z_EN: 0
; COMPUTE_PGM_RSRC2:TIDIG_COMP_CNT: 0
; COMPUTE_PGM_RSRC3_GFX90A:ACCUM_OFFSET: 0
; COMPUTE_PGM_RSRC3_GFX90A:TG_SPLIT: 0
	.section	.text._ZN7rocprim17ROCPRIM_400000_NS6detail17trampoline_kernelINS0_14default_configENS1_38merge_sort_block_merge_config_selectorIlNS0_10empty_typeEEEZZNS1_27merge_sort_block_merge_implIS3_PlPS5_mZN2at6native12_GLOBAL__N_124unique_dim_cuda_templateIjEESt5tupleIJNSA_6TensorESF_SF_EERKSF_lbbbEUlllE_EE10hipError_tT0_T1_T2_jT3_P12ihipStream_tbPNSt15iterator_traitsISL_E10value_typeEPNSR_ISM_E10value_typeEPSN_NS1_7vsmem_tEENKUlT_SL_SM_SN_E_clIS8_S8_S9_S9_EESK_S10_SL_SM_SN_EUlS10_E1_NS1_11comp_targetILNS1_3genE3ELNS1_11target_archE908ELNS1_3gpuE7ELNS1_3repE0EEENS1_36merge_oddeven_config_static_selectorELNS0_4arch9wavefront6targetE1EEEvSM_,"axG",@progbits,_ZN7rocprim17ROCPRIM_400000_NS6detail17trampoline_kernelINS0_14default_configENS1_38merge_sort_block_merge_config_selectorIlNS0_10empty_typeEEEZZNS1_27merge_sort_block_merge_implIS3_PlPS5_mZN2at6native12_GLOBAL__N_124unique_dim_cuda_templateIjEESt5tupleIJNSA_6TensorESF_SF_EERKSF_lbbbEUlllE_EE10hipError_tT0_T1_T2_jT3_P12ihipStream_tbPNSt15iterator_traitsISL_E10value_typeEPNSR_ISM_E10value_typeEPSN_NS1_7vsmem_tEENKUlT_SL_SM_SN_E_clIS8_S8_S9_S9_EESK_S10_SL_SM_SN_EUlS10_E1_NS1_11comp_targetILNS1_3genE3ELNS1_11target_archE908ELNS1_3gpuE7ELNS1_3repE0EEENS1_36merge_oddeven_config_static_selectorELNS0_4arch9wavefront6targetE1EEEvSM_,comdat
	.globl	_ZN7rocprim17ROCPRIM_400000_NS6detail17trampoline_kernelINS0_14default_configENS1_38merge_sort_block_merge_config_selectorIlNS0_10empty_typeEEEZZNS1_27merge_sort_block_merge_implIS3_PlPS5_mZN2at6native12_GLOBAL__N_124unique_dim_cuda_templateIjEESt5tupleIJNSA_6TensorESF_SF_EERKSF_lbbbEUlllE_EE10hipError_tT0_T1_T2_jT3_P12ihipStream_tbPNSt15iterator_traitsISL_E10value_typeEPNSR_ISM_E10value_typeEPSN_NS1_7vsmem_tEENKUlT_SL_SM_SN_E_clIS8_S8_S9_S9_EESK_S10_SL_SM_SN_EUlS10_E1_NS1_11comp_targetILNS1_3genE3ELNS1_11target_archE908ELNS1_3gpuE7ELNS1_3repE0EEENS1_36merge_oddeven_config_static_selectorELNS0_4arch9wavefront6targetE1EEEvSM_ ; -- Begin function _ZN7rocprim17ROCPRIM_400000_NS6detail17trampoline_kernelINS0_14default_configENS1_38merge_sort_block_merge_config_selectorIlNS0_10empty_typeEEEZZNS1_27merge_sort_block_merge_implIS3_PlPS5_mZN2at6native12_GLOBAL__N_124unique_dim_cuda_templateIjEESt5tupleIJNSA_6TensorESF_SF_EERKSF_lbbbEUlllE_EE10hipError_tT0_T1_T2_jT3_P12ihipStream_tbPNSt15iterator_traitsISL_E10value_typeEPNSR_ISM_E10value_typeEPSN_NS1_7vsmem_tEENKUlT_SL_SM_SN_E_clIS8_S8_S9_S9_EESK_S10_SL_SM_SN_EUlS10_E1_NS1_11comp_targetILNS1_3genE3ELNS1_11target_archE908ELNS1_3gpuE7ELNS1_3repE0EEENS1_36merge_oddeven_config_static_selectorELNS0_4arch9wavefront6targetE1EEEvSM_
	.p2align	8
	.type	_ZN7rocprim17ROCPRIM_400000_NS6detail17trampoline_kernelINS0_14default_configENS1_38merge_sort_block_merge_config_selectorIlNS0_10empty_typeEEEZZNS1_27merge_sort_block_merge_implIS3_PlPS5_mZN2at6native12_GLOBAL__N_124unique_dim_cuda_templateIjEESt5tupleIJNSA_6TensorESF_SF_EERKSF_lbbbEUlllE_EE10hipError_tT0_T1_T2_jT3_P12ihipStream_tbPNSt15iterator_traitsISL_E10value_typeEPNSR_ISM_E10value_typeEPSN_NS1_7vsmem_tEENKUlT_SL_SM_SN_E_clIS8_S8_S9_S9_EESK_S10_SL_SM_SN_EUlS10_E1_NS1_11comp_targetILNS1_3genE3ELNS1_11target_archE908ELNS1_3gpuE7ELNS1_3repE0EEENS1_36merge_oddeven_config_static_selectorELNS0_4arch9wavefront6targetE1EEEvSM_,@function
_ZN7rocprim17ROCPRIM_400000_NS6detail17trampoline_kernelINS0_14default_configENS1_38merge_sort_block_merge_config_selectorIlNS0_10empty_typeEEEZZNS1_27merge_sort_block_merge_implIS3_PlPS5_mZN2at6native12_GLOBAL__N_124unique_dim_cuda_templateIjEESt5tupleIJNSA_6TensorESF_SF_EERKSF_lbbbEUlllE_EE10hipError_tT0_T1_T2_jT3_P12ihipStream_tbPNSt15iterator_traitsISL_E10value_typeEPNSR_ISM_E10value_typeEPSN_NS1_7vsmem_tEENKUlT_SL_SM_SN_E_clIS8_S8_S9_S9_EESK_S10_SL_SM_SN_EUlS10_E1_NS1_11comp_targetILNS1_3genE3ELNS1_11target_archE908ELNS1_3gpuE7ELNS1_3repE0EEENS1_36merge_oddeven_config_static_selectorELNS0_4arch9wavefront6targetE1EEEvSM_: ; @_ZN7rocprim17ROCPRIM_400000_NS6detail17trampoline_kernelINS0_14default_configENS1_38merge_sort_block_merge_config_selectorIlNS0_10empty_typeEEEZZNS1_27merge_sort_block_merge_implIS3_PlPS5_mZN2at6native12_GLOBAL__N_124unique_dim_cuda_templateIjEESt5tupleIJNSA_6TensorESF_SF_EERKSF_lbbbEUlllE_EE10hipError_tT0_T1_T2_jT3_P12ihipStream_tbPNSt15iterator_traitsISL_E10value_typeEPNSR_ISM_E10value_typeEPSN_NS1_7vsmem_tEENKUlT_SL_SM_SN_E_clIS8_S8_S9_S9_EESK_S10_SL_SM_SN_EUlS10_E1_NS1_11comp_targetILNS1_3genE3ELNS1_11target_archE908ELNS1_3gpuE7ELNS1_3repE0EEENS1_36merge_oddeven_config_static_selectorELNS0_4arch9wavefront6targetE1EEEvSM_
; %bb.0:
	.section	.rodata,"a",@progbits
	.p2align	6, 0x0
	.amdhsa_kernel _ZN7rocprim17ROCPRIM_400000_NS6detail17trampoline_kernelINS0_14default_configENS1_38merge_sort_block_merge_config_selectorIlNS0_10empty_typeEEEZZNS1_27merge_sort_block_merge_implIS3_PlPS5_mZN2at6native12_GLOBAL__N_124unique_dim_cuda_templateIjEESt5tupleIJNSA_6TensorESF_SF_EERKSF_lbbbEUlllE_EE10hipError_tT0_T1_T2_jT3_P12ihipStream_tbPNSt15iterator_traitsISL_E10value_typeEPNSR_ISM_E10value_typeEPSN_NS1_7vsmem_tEENKUlT_SL_SM_SN_E_clIS8_S8_S9_S9_EESK_S10_SL_SM_SN_EUlS10_E1_NS1_11comp_targetILNS1_3genE3ELNS1_11target_archE908ELNS1_3gpuE7ELNS1_3repE0EEENS1_36merge_oddeven_config_static_selectorELNS0_4arch9wavefront6targetE1EEEvSM_
		.amdhsa_group_segment_fixed_size 0
		.amdhsa_private_segment_fixed_size 0
		.amdhsa_kernarg_size 64
		.amdhsa_user_sgpr_count 2
		.amdhsa_user_sgpr_dispatch_ptr 0
		.amdhsa_user_sgpr_queue_ptr 0
		.amdhsa_user_sgpr_kernarg_segment_ptr 1
		.amdhsa_user_sgpr_dispatch_id 0
		.amdhsa_user_sgpr_kernarg_preload_length 0
		.amdhsa_user_sgpr_kernarg_preload_offset 0
		.amdhsa_user_sgpr_private_segment_size 0
		.amdhsa_uses_dynamic_stack 0
		.amdhsa_enable_private_segment 0
		.amdhsa_system_sgpr_workgroup_id_x 1
		.amdhsa_system_sgpr_workgroup_id_y 0
		.amdhsa_system_sgpr_workgroup_id_z 0
		.amdhsa_system_sgpr_workgroup_info 0
		.amdhsa_system_vgpr_workitem_id 0
		.amdhsa_next_free_vgpr 1
		.amdhsa_next_free_sgpr 0
		.amdhsa_accum_offset 4
		.amdhsa_reserve_vcc 0
		.amdhsa_float_round_mode_32 0
		.amdhsa_float_round_mode_16_64 0
		.amdhsa_float_denorm_mode_32 3
		.amdhsa_float_denorm_mode_16_64 3
		.amdhsa_dx10_clamp 1
		.amdhsa_ieee_mode 1
		.amdhsa_fp16_overflow 0
		.amdhsa_tg_split 0
		.amdhsa_exception_fp_ieee_invalid_op 0
		.amdhsa_exception_fp_denorm_src 0
		.amdhsa_exception_fp_ieee_div_zero 0
		.amdhsa_exception_fp_ieee_overflow 0
		.amdhsa_exception_fp_ieee_underflow 0
		.amdhsa_exception_fp_ieee_inexact 0
		.amdhsa_exception_int_div_zero 0
	.end_amdhsa_kernel
	.section	.text._ZN7rocprim17ROCPRIM_400000_NS6detail17trampoline_kernelINS0_14default_configENS1_38merge_sort_block_merge_config_selectorIlNS0_10empty_typeEEEZZNS1_27merge_sort_block_merge_implIS3_PlPS5_mZN2at6native12_GLOBAL__N_124unique_dim_cuda_templateIjEESt5tupleIJNSA_6TensorESF_SF_EERKSF_lbbbEUlllE_EE10hipError_tT0_T1_T2_jT3_P12ihipStream_tbPNSt15iterator_traitsISL_E10value_typeEPNSR_ISM_E10value_typeEPSN_NS1_7vsmem_tEENKUlT_SL_SM_SN_E_clIS8_S8_S9_S9_EESK_S10_SL_SM_SN_EUlS10_E1_NS1_11comp_targetILNS1_3genE3ELNS1_11target_archE908ELNS1_3gpuE7ELNS1_3repE0EEENS1_36merge_oddeven_config_static_selectorELNS0_4arch9wavefront6targetE1EEEvSM_,"axG",@progbits,_ZN7rocprim17ROCPRIM_400000_NS6detail17trampoline_kernelINS0_14default_configENS1_38merge_sort_block_merge_config_selectorIlNS0_10empty_typeEEEZZNS1_27merge_sort_block_merge_implIS3_PlPS5_mZN2at6native12_GLOBAL__N_124unique_dim_cuda_templateIjEESt5tupleIJNSA_6TensorESF_SF_EERKSF_lbbbEUlllE_EE10hipError_tT0_T1_T2_jT3_P12ihipStream_tbPNSt15iterator_traitsISL_E10value_typeEPNSR_ISM_E10value_typeEPSN_NS1_7vsmem_tEENKUlT_SL_SM_SN_E_clIS8_S8_S9_S9_EESK_S10_SL_SM_SN_EUlS10_E1_NS1_11comp_targetILNS1_3genE3ELNS1_11target_archE908ELNS1_3gpuE7ELNS1_3repE0EEENS1_36merge_oddeven_config_static_selectorELNS0_4arch9wavefront6targetE1EEEvSM_,comdat
.Lfunc_end1522:
	.size	_ZN7rocprim17ROCPRIM_400000_NS6detail17trampoline_kernelINS0_14default_configENS1_38merge_sort_block_merge_config_selectorIlNS0_10empty_typeEEEZZNS1_27merge_sort_block_merge_implIS3_PlPS5_mZN2at6native12_GLOBAL__N_124unique_dim_cuda_templateIjEESt5tupleIJNSA_6TensorESF_SF_EERKSF_lbbbEUlllE_EE10hipError_tT0_T1_T2_jT3_P12ihipStream_tbPNSt15iterator_traitsISL_E10value_typeEPNSR_ISM_E10value_typeEPSN_NS1_7vsmem_tEENKUlT_SL_SM_SN_E_clIS8_S8_S9_S9_EESK_S10_SL_SM_SN_EUlS10_E1_NS1_11comp_targetILNS1_3genE3ELNS1_11target_archE908ELNS1_3gpuE7ELNS1_3repE0EEENS1_36merge_oddeven_config_static_selectorELNS0_4arch9wavefront6targetE1EEEvSM_, .Lfunc_end1522-_ZN7rocprim17ROCPRIM_400000_NS6detail17trampoline_kernelINS0_14default_configENS1_38merge_sort_block_merge_config_selectorIlNS0_10empty_typeEEEZZNS1_27merge_sort_block_merge_implIS3_PlPS5_mZN2at6native12_GLOBAL__N_124unique_dim_cuda_templateIjEESt5tupleIJNSA_6TensorESF_SF_EERKSF_lbbbEUlllE_EE10hipError_tT0_T1_T2_jT3_P12ihipStream_tbPNSt15iterator_traitsISL_E10value_typeEPNSR_ISM_E10value_typeEPSN_NS1_7vsmem_tEENKUlT_SL_SM_SN_E_clIS8_S8_S9_S9_EESK_S10_SL_SM_SN_EUlS10_E1_NS1_11comp_targetILNS1_3genE3ELNS1_11target_archE908ELNS1_3gpuE7ELNS1_3repE0EEENS1_36merge_oddeven_config_static_selectorELNS0_4arch9wavefront6targetE1EEEvSM_
                                        ; -- End function
	.section	.AMDGPU.csdata,"",@progbits
; Kernel info:
; codeLenInByte = 0
; NumSgprs: 6
; NumVgprs: 0
; NumAgprs: 0
; TotalNumVgprs: 0
; ScratchSize: 0
; MemoryBound: 0
; FloatMode: 240
; IeeeMode: 1
; LDSByteSize: 0 bytes/workgroup (compile time only)
; SGPRBlocks: 0
; VGPRBlocks: 0
; NumSGPRsForWavesPerEU: 6
; NumVGPRsForWavesPerEU: 1
; AccumOffset: 4
; Occupancy: 8
; WaveLimiterHint : 0
; COMPUTE_PGM_RSRC2:SCRATCH_EN: 0
; COMPUTE_PGM_RSRC2:USER_SGPR: 2
; COMPUTE_PGM_RSRC2:TRAP_HANDLER: 0
; COMPUTE_PGM_RSRC2:TGID_X_EN: 1
; COMPUTE_PGM_RSRC2:TGID_Y_EN: 0
; COMPUTE_PGM_RSRC2:TGID_Z_EN: 0
; COMPUTE_PGM_RSRC2:TIDIG_COMP_CNT: 0
; COMPUTE_PGM_RSRC3_GFX90A:ACCUM_OFFSET: 0
; COMPUTE_PGM_RSRC3_GFX90A:TG_SPLIT: 0
	.section	.text._ZN7rocprim17ROCPRIM_400000_NS6detail17trampoline_kernelINS0_14default_configENS1_38merge_sort_block_merge_config_selectorIlNS0_10empty_typeEEEZZNS1_27merge_sort_block_merge_implIS3_PlPS5_mZN2at6native12_GLOBAL__N_124unique_dim_cuda_templateIjEESt5tupleIJNSA_6TensorESF_SF_EERKSF_lbbbEUlllE_EE10hipError_tT0_T1_T2_jT3_P12ihipStream_tbPNSt15iterator_traitsISL_E10value_typeEPNSR_ISM_E10value_typeEPSN_NS1_7vsmem_tEENKUlT_SL_SM_SN_E_clIS8_S8_S9_S9_EESK_S10_SL_SM_SN_EUlS10_E1_NS1_11comp_targetILNS1_3genE2ELNS1_11target_archE906ELNS1_3gpuE6ELNS1_3repE0EEENS1_36merge_oddeven_config_static_selectorELNS0_4arch9wavefront6targetE1EEEvSM_,"axG",@progbits,_ZN7rocprim17ROCPRIM_400000_NS6detail17trampoline_kernelINS0_14default_configENS1_38merge_sort_block_merge_config_selectorIlNS0_10empty_typeEEEZZNS1_27merge_sort_block_merge_implIS3_PlPS5_mZN2at6native12_GLOBAL__N_124unique_dim_cuda_templateIjEESt5tupleIJNSA_6TensorESF_SF_EERKSF_lbbbEUlllE_EE10hipError_tT0_T1_T2_jT3_P12ihipStream_tbPNSt15iterator_traitsISL_E10value_typeEPNSR_ISM_E10value_typeEPSN_NS1_7vsmem_tEENKUlT_SL_SM_SN_E_clIS8_S8_S9_S9_EESK_S10_SL_SM_SN_EUlS10_E1_NS1_11comp_targetILNS1_3genE2ELNS1_11target_archE906ELNS1_3gpuE6ELNS1_3repE0EEENS1_36merge_oddeven_config_static_selectorELNS0_4arch9wavefront6targetE1EEEvSM_,comdat
	.globl	_ZN7rocprim17ROCPRIM_400000_NS6detail17trampoline_kernelINS0_14default_configENS1_38merge_sort_block_merge_config_selectorIlNS0_10empty_typeEEEZZNS1_27merge_sort_block_merge_implIS3_PlPS5_mZN2at6native12_GLOBAL__N_124unique_dim_cuda_templateIjEESt5tupleIJNSA_6TensorESF_SF_EERKSF_lbbbEUlllE_EE10hipError_tT0_T1_T2_jT3_P12ihipStream_tbPNSt15iterator_traitsISL_E10value_typeEPNSR_ISM_E10value_typeEPSN_NS1_7vsmem_tEENKUlT_SL_SM_SN_E_clIS8_S8_S9_S9_EESK_S10_SL_SM_SN_EUlS10_E1_NS1_11comp_targetILNS1_3genE2ELNS1_11target_archE906ELNS1_3gpuE6ELNS1_3repE0EEENS1_36merge_oddeven_config_static_selectorELNS0_4arch9wavefront6targetE1EEEvSM_ ; -- Begin function _ZN7rocprim17ROCPRIM_400000_NS6detail17trampoline_kernelINS0_14default_configENS1_38merge_sort_block_merge_config_selectorIlNS0_10empty_typeEEEZZNS1_27merge_sort_block_merge_implIS3_PlPS5_mZN2at6native12_GLOBAL__N_124unique_dim_cuda_templateIjEESt5tupleIJNSA_6TensorESF_SF_EERKSF_lbbbEUlllE_EE10hipError_tT0_T1_T2_jT3_P12ihipStream_tbPNSt15iterator_traitsISL_E10value_typeEPNSR_ISM_E10value_typeEPSN_NS1_7vsmem_tEENKUlT_SL_SM_SN_E_clIS8_S8_S9_S9_EESK_S10_SL_SM_SN_EUlS10_E1_NS1_11comp_targetILNS1_3genE2ELNS1_11target_archE906ELNS1_3gpuE6ELNS1_3repE0EEENS1_36merge_oddeven_config_static_selectorELNS0_4arch9wavefront6targetE1EEEvSM_
	.p2align	8
	.type	_ZN7rocprim17ROCPRIM_400000_NS6detail17trampoline_kernelINS0_14default_configENS1_38merge_sort_block_merge_config_selectorIlNS0_10empty_typeEEEZZNS1_27merge_sort_block_merge_implIS3_PlPS5_mZN2at6native12_GLOBAL__N_124unique_dim_cuda_templateIjEESt5tupleIJNSA_6TensorESF_SF_EERKSF_lbbbEUlllE_EE10hipError_tT0_T1_T2_jT3_P12ihipStream_tbPNSt15iterator_traitsISL_E10value_typeEPNSR_ISM_E10value_typeEPSN_NS1_7vsmem_tEENKUlT_SL_SM_SN_E_clIS8_S8_S9_S9_EESK_S10_SL_SM_SN_EUlS10_E1_NS1_11comp_targetILNS1_3genE2ELNS1_11target_archE906ELNS1_3gpuE6ELNS1_3repE0EEENS1_36merge_oddeven_config_static_selectorELNS0_4arch9wavefront6targetE1EEEvSM_,@function
_ZN7rocprim17ROCPRIM_400000_NS6detail17trampoline_kernelINS0_14default_configENS1_38merge_sort_block_merge_config_selectorIlNS0_10empty_typeEEEZZNS1_27merge_sort_block_merge_implIS3_PlPS5_mZN2at6native12_GLOBAL__N_124unique_dim_cuda_templateIjEESt5tupleIJNSA_6TensorESF_SF_EERKSF_lbbbEUlllE_EE10hipError_tT0_T1_T2_jT3_P12ihipStream_tbPNSt15iterator_traitsISL_E10value_typeEPNSR_ISM_E10value_typeEPSN_NS1_7vsmem_tEENKUlT_SL_SM_SN_E_clIS8_S8_S9_S9_EESK_S10_SL_SM_SN_EUlS10_E1_NS1_11comp_targetILNS1_3genE2ELNS1_11target_archE906ELNS1_3gpuE6ELNS1_3repE0EEENS1_36merge_oddeven_config_static_selectorELNS0_4arch9wavefront6targetE1EEEvSM_: ; @_ZN7rocprim17ROCPRIM_400000_NS6detail17trampoline_kernelINS0_14default_configENS1_38merge_sort_block_merge_config_selectorIlNS0_10empty_typeEEEZZNS1_27merge_sort_block_merge_implIS3_PlPS5_mZN2at6native12_GLOBAL__N_124unique_dim_cuda_templateIjEESt5tupleIJNSA_6TensorESF_SF_EERKSF_lbbbEUlllE_EE10hipError_tT0_T1_T2_jT3_P12ihipStream_tbPNSt15iterator_traitsISL_E10value_typeEPNSR_ISM_E10value_typeEPSN_NS1_7vsmem_tEENKUlT_SL_SM_SN_E_clIS8_S8_S9_S9_EESK_S10_SL_SM_SN_EUlS10_E1_NS1_11comp_targetILNS1_3genE2ELNS1_11target_archE906ELNS1_3gpuE6ELNS1_3repE0EEENS1_36merge_oddeven_config_static_selectorELNS0_4arch9wavefront6targetE1EEEvSM_
; %bb.0:
	.section	.rodata,"a",@progbits
	.p2align	6, 0x0
	.amdhsa_kernel _ZN7rocprim17ROCPRIM_400000_NS6detail17trampoline_kernelINS0_14default_configENS1_38merge_sort_block_merge_config_selectorIlNS0_10empty_typeEEEZZNS1_27merge_sort_block_merge_implIS3_PlPS5_mZN2at6native12_GLOBAL__N_124unique_dim_cuda_templateIjEESt5tupleIJNSA_6TensorESF_SF_EERKSF_lbbbEUlllE_EE10hipError_tT0_T1_T2_jT3_P12ihipStream_tbPNSt15iterator_traitsISL_E10value_typeEPNSR_ISM_E10value_typeEPSN_NS1_7vsmem_tEENKUlT_SL_SM_SN_E_clIS8_S8_S9_S9_EESK_S10_SL_SM_SN_EUlS10_E1_NS1_11comp_targetILNS1_3genE2ELNS1_11target_archE906ELNS1_3gpuE6ELNS1_3repE0EEENS1_36merge_oddeven_config_static_selectorELNS0_4arch9wavefront6targetE1EEEvSM_
		.amdhsa_group_segment_fixed_size 0
		.amdhsa_private_segment_fixed_size 0
		.amdhsa_kernarg_size 64
		.amdhsa_user_sgpr_count 2
		.amdhsa_user_sgpr_dispatch_ptr 0
		.amdhsa_user_sgpr_queue_ptr 0
		.amdhsa_user_sgpr_kernarg_segment_ptr 1
		.amdhsa_user_sgpr_dispatch_id 0
		.amdhsa_user_sgpr_kernarg_preload_length 0
		.amdhsa_user_sgpr_kernarg_preload_offset 0
		.amdhsa_user_sgpr_private_segment_size 0
		.amdhsa_uses_dynamic_stack 0
		.amdhsa_enable_private_segment 0
		.amdhsa_system_sgpr_workgroup_id_x 1
		.amdhsa_system_sgpr_workgroup_id_y 0
		.amdhsa_system_sgpr_workgroup_id_z 0
		.amdhsa_system_sgpr_workgroup_info 0
		.amdhsa_system_vgpr_workitem_id 0
		.amdhsa_next_free_vgpr 1
		.amdhsa_next_free_sgpr 0
		.amdhsa_accum_offset 4
		.amdhsa_reserve_vcc 0
		.amdhsa_float_round_mode_32 0
		.amdhsa_float_round_mode_16_64 0
		.amdhsa_float_denorm_mode_32 3
		.amdhsa_float_denorm_mode_16_64 3
		.amdhsa_dx10_clamp 1
		.amdhsa_ieee_mode 1
		.amdhsa_fp16_overflow 0
		.amdhsa_tg_split 0
		.amdhsa_exception_fp_ieee_invalid_op 0
		.amdhsa_exception_fp_denorm_src 0
		.amdhsa_exception_fp_ieee_div_zero 0
		.amdhsa_exception_fp_ieee_overflow 0
		.amdhsa_exception_fp_ieee_underflow 0
		.amdhsa_exception_fp_ieee_inexact 0
		.amdhsa_exception_int_div_zero 0
	.end_amdhsa_kernel
	.section	.text._ZN7rocprim17ROCPRIM_400000_NS6detail17trampoline_kernelINS0_14default_configENS1_38merge_sort_block_merge_config_selectorIlNS0_10empty_typeEEEZZNS1_27merge_sort_block_merge_implIS3_PlPS5_mZN2at6native12_GLOBAL__N_124unique_dim_cuda_templateIjEESt5tupleIJNSA_6TensorESF_SF_EERKSF_lbbbEUlllE_EE10hipError_tT0_T1_T2_jT3_P12ihipStream_tbPNSt15iterator_traitsISL_E10value_typeEPNSR_ISM_E10value_typeEPSN_NS1_7vsmem_tEENKUlT_SL_SM_SN_E_clIS8_S8_S9_S9_EESK_S10_SL_SM_SN_EUlS10_E1_NS1_11comp_targetILNS1_3genE2ELNS1_11target_archE906ELNS1_3gpuE6ELNS1_3repE0EEENS1_36merge_oddeven_config_static_selectorELNS0_4arch9wavefront6targetE1EEEvSM_,"axG",@progbits,_ZN7rocprim17ROCPRIM_400000_NS6detail17trampoline_kernelINS0_14default_configENS1_38merge_sort_block_merge_config_selectorIlNS0_10empty_typeEEEZZNS1_27merge_sort_block_merge_implIS3_PlPS5_mZN2at6native12_GLOBAL__N_124unique_dim_cuda_templateIjEESt5tupleIJNSA_6TensorESF_SF_EERKSF_lbbbEUlllE_EE10hipError_tT0_T1_T2_jT3_P12ihipStream_tbPNSt15iterator_traitsISL_E10value_typeEPNSR_ISM_E10value_typeEPSN_NS1_7vsmem_tEENKUlT_SL_SM_SN_E_clIS8_S8_S9_S9_EESK_S10_SL_SM_SN_EUlS10_E1_NS1_11comp_targetILNS1_3genE2ELNS1_11target_archE906ELNS1_3gpuE6ELNS1_3repE0EEENS1_36merge_oddeven_config_static_selectorELNS0_4arch9wavefront6targetE1EEEvSM_,comdat
.Lfunc_end1523:
	.size	_ZN7rocprim17ROCPRIM_400000_NS6detail17trampoline_kernelINS0_14default_configENS1_38merge_sort_block_merge_config_selectorIlNS0_10empty_typeEEEZZNS1_27merge_sort_block_merge_implIS3_PlPS5_mZN2at6native12_GLOBAL__N_124unique_dim_cuda_templateIjEESt5tupleIJNSA_6TensorESF_SF_EERKSF_lbbbEUlllE_EE10hipError_tT0_T1_T2_jT3_P12ihipStream_tbPNSt15iterator_traitsISL_E10value_typeEPNSR_ISM_E10value_typeEPSN_NS1_7vsmem_tEENKUlT_SL_SM_SN_E_clIS8_S8_S9_S9_EESK_S10_SL_SM_SN_EUlS10_E1_NS1_11comp_targetILNS1_3genE2ELNS1_11target_archE906ELNS1_3gpuE6ELNS1_3repE0EEENS1_36merge_oddeven_config_static_selectorELNS0_4arch9wavefront6targetE1EEEvSM_, .Lfunc_end1523-_ZN7rocprim17ROCPRIM_400000_NS6detail17trampoline_kernelINS0_14default_configENS1_38merge_sort_block_merge_config_selectorIlNS0_10empty_typeEEEZZNS1_27merge_sort_block_merge_implIS3_PlPS5_mZN2at6native12_GLOBAL__N_124unique_dim_cuda_templateIjEESt5tupleIJNSA_6TensorESF_SF_EERKSF_lbbbEUlllE_EE10hipError_tT0_T1_T2_jT3_P12ihipStream_tbPNSt15iterator_traitsISL_E10value_typeEPNSR_ISM_E10value_typeEPSN_NS1_7vsmem_tEENKUlT_SL_SM_SN_E_clIS8_S8_S9_S9_EESK_S10_SL_SM_SN_EUlS10_E1_NS1_11comp_targetILNS1_3genE2ELNS1_11target_archE906ELNS1_3gpuE6ELNS1_3repE0EEENS1_36merge_oddeven_config_static_selectorELNS0_4arch9wavefront6targetE1EEEvSM_
                                        ; -- End function
	.section	.AMDGPU.csdata,"",@progbits
; Kernel info:
; codeLenInByte = 0
; NumSgprs: 6
; NumVgprs: 0
; NumAgprs: 0
; TotalNumVgprs: 0
; ScratchSize: 0
; MemoryBound: 0
; FloatMode: 240
; IeeeMode: 1
; LDSByteSize: 0 bytes/workgroup (compile time only)
; SGPRBlocks: 0
; VGPRBlocks: 0
; NumSGPRsForWavesPerEU: 6
; NumVGPRsForWavesPerEU: 1
; AccumOffset: 4
; Occupancy: 8
; WaveLimiterHint : 0
; COMPUTE_PGM_RSRC2:SCRATCH_EN: 0
; COMPUTE_PGM_RSRC2:USER_SGPR: 2
; COMPUTE_PGM_RSRC2:TRAP_HANDLER: 0
; COMPUTE_PGM_RSRC2:TGID_X_EN: 1
; COMPUTE_PGM_RSRC2:TGID_Y_EN: 0
; COMPUTE_PGM_RSRC2:TGID_Z_EN: 0
; COMPUTE_PGM_RSRC2:TIDIG_COMP_CNT: 0
; COMPUTE_PGM_RSRC3_GFX90A:ACCUM_OFFSET: 0
; COMPUTE_PGM_RSRC3_GFX90A:TG_SPLIT: 0
	.section	.text._ZN7rocprim17ROCPRIM_400000_NS6detail17trampoline_kernelINS0_14default_configENS1_38merge_sort_block_merge_config_selectorIlNS0_10empty_typeEEEZZNS1_27merge_sort_block_merge_implIS3_PlPS5_mZN2at6native12_GLOBAL__N_124unique_dim_cuda_templateIjEESt5tupleIJNSA_6TensorESF_SF_EERKSF_lbbbEUlllE_EE10hipError_tT0_T1_T2_jT3_P12ihipStream_tbPNSt15iterator_traitsISL_E10value_typeEPNSR_ISM_E10value_typeEPSN_NS1_7vsmem_tEENKUlT_SL_SM_SN_E_clIS8_S8_S9_S9_EESK_S10_SL_SM_SN_EUlS10_E1_NS1_11comp_targetILNS1_3genE9ELNS1_11target_archE1100ELNS1_3gpuE3ELNS1_3repE0EEENS1_36merge_oddeven_config_static_selectorELNS0_4arch9wavefront6targetE1EEEvSM_,"axG",@progbits,_ZN7rocprim17ROCPRIM_400000_NS6detail17trampoline_kernelINS0_14default_configENS1_38merge_sort_block_merge_config_selectorIlNS0_10empty_typeEEEZZNS1_27merge_sort_block_merge_implIS3_PlPS5_mZN2at6native12_GLOBAL__N_124unique_dim_cuda_templateIjEESt5tupleIJNSA_6TensorESF_SF_EERKSF_lbbbEUlllE_EE10hipError_tT0_T1_T2_jT3_P12ihipStream_tbPNSt15iterator_traitsISL_E10value_typeEPNSR_ISM_E10value_typeEPSN_NS1_7vsmem_tEENKUlT_SL_SM_SN_E_clIS8_S8_S9_S9_EESK_S10_SL_SM_SN_EUlS10_E1_NS1_11comp_targetILNS1_3genE9ELNS1_11target_archE1100ELNS1_3gpuE3ELNS1_3repE0EEENS1_36merge_oddeven_config_static_selectorELNS0_4arch9wavefront6targetE1EEEvSM_,comdat
	.globl	_ZN7rocprim17ROCPRIM_400000_NS6detail17trampoline_kernelINS0_14default_configENS1_38merge_sort_block_merge_config_selectorIlNS0_10empty_typeEEEZZNS1_27merge_sort_block_merge_implIS3_PlPS5_mZN2at6native12_GLOBAL__N_124unique_dim_cuda_templateIjEESt5tupleIJNSA_6TensorESF_SF_EERKSF_lbbbEUlllE_EE10hipError_tT0_T1_T2_jT3_P12ihipStream_tbPNSt15iterator_traitsISL_E10value_typeEPNSR_ISM_E10value_typeEPSN_NS1_7vsmem_tEENKUlT_SL_SM_SN_E_clIS8_S8_S9_S9_EESK_S10_SL_SM_SN_EUlS10_E1_NS1_11comp_targetILNS1_3genE9ELNS1_11target_archE1100ELNS1_3gpuE3ELNS1_3repE0EEENS1_36merge_oddeven_config_static_selectorELNS0_4arch9wavefront6targetE1EEEvSM_ ; -- Begin function _ZN7rocprim17ROCPRIM_400000_NS6detail17trampoline_kernelINS0_14default_configENS1_38merge_sort_block_merge_config_selectorIlNS0_10empty_typeEEEZZNS1_27merge_sort_block_merge_implIS3_PlPS5_mZN2at6native12_GLOBAL__N_124unique_dim_cuda_templateIjEESt5tupleIJNSA_6TensorESF_SF_EERKSF_lbbbEUlllE_EE10hipError_tT0_T1_T2_jT3_P12ihipStream_tbPNSt15iterator_traitsISL_E10value_typeEPNSR_ISM_E10value_typeEPSN_NS1_7vsmem_tEENKUlT_SL_SM_SN_E_clIS8_S8_S9_S9_EESK_S10_SL_SM_SN_EUlS10_E1_NS1_11comp_targetILNS1_3genE9ELNS1_11target_archE1100ELNS1_3gpuE3ELNS1_3repE0EEENS1_36merge_oddeven_config_static_selectorELNS0_4arch9wavefront6targetE1EEEvSM_
	.p2align	8
	.type	_ZN7rocprim17ROCPRIM_400000_NS6detail17trampoline_kernelINS0_14default_configENS1_38merge_sort_block_merge_config_selectorIlNS0_10empty_typeEEEZZNS1_27merge_sort_block_merge_implIS3_PlPS5_mZN2at6native12_GLOBAL__N_124unique_dim_cuda_templateIjEESt5tupleIJNSA_6TensorESF_SF_EERKSF_lbbbEUlllE_EE10hipError_tT0_T1_T2_jT3_P12ihipStream_tbPNSt15iterator_traitsISL_E10value_typeEPNSR_ISM_E10value_typeEPSN_NS1_7vsmem_tEENKUlT_SL_SM_SN_E_clIS8_S8_S9_S9_EESK_S10_SL_SM_SN_EUlS10_E1_NS1_11comp_targetILNS1_3genE9ELNS1_11target_archE1100ELNS1_3gpuE3ELNS1_3repE0EEENS1_36merge_oddeven_config_static_selectorELNS0_4arch9wavefront6targetE1EEEvSM_,@function
_ZN7rocprim17ROCPRIM_400000_NS6detail17trampoline_kernelINS0_14default_configENS1_38merge_sort_block_merge_config_selectorIlNS0_10empty_typeEEEZZNS1_27merge_sort_block_merge_implIS3_PlPS5_mZN2at6native12_GLOBAL__N_124unique_dim_cuda_templateIjEESt5tupleIJNSA_6TensorESF_SF_EERKSF_lbbbEUlllE_EE10hipError_tT0_T1_T2_jT3_P12ihipStream_tbPNSt15iterator_traitsISL_E10value_typeEPNSR_ISM_E10value_typeEPSN_NS1_7vsmem_tEENKUlT_SL_SM_SN_E_clIS8_S8_S9_S9_EESK_S10_SL_SM_SN_EUlS10_E1_NS1_11comp_targetILNS1_3genE9ELNS1_11target_archE1100ELNS1_3gpuE3ELNS1_3repE0EEENS1_36merge_oddeven_config_static_selectorELNS0_4arch9wavefront6targetE1EEEvSM_: ; @_ZN7rocprim17ROCPRIM_400000_NS6detail17trampoline_kernelINS0_14default_configENS1_38merge_sort_block_merge_config_selectorIlNS0_10empty_typeEEEZZNS1_27merge_sort_block_merge_implIS3_PlPS5_mZN2at6native12_GLOBAL__N_124unique_dim_cuda_templateIjEESt5tupleIJNSA_6TensorESF_SF_EERKSF_lbbbEUlllE_EE10hipError_tT0_T1_T2_jT3_P12ihipStream_tbPNSt15iterator_traitsISL_E10value_typeEPNSR_ISM_E10value_typeEPSN_NS1_7vsmem_tEENKUlT_SL_SM_SN_E_clIS8_S8_S9_S9_EESK_S10_SL_SM_SN_EUlS10_E1_NS1_11comp_targetILNS1_3genE9ELNS1_11target_archE1100ELNS1_3gpuE3ELNS1_3repE0EEENS1_36merge_oddeven_config_static_selectorELNS0_4arch9wavefront6targetE1EEEvSM_
; %bb.0:
	.section	.rodata,"a",@progbits
	.p2align	6, 0x0
	.amdhsa_kernel _ZN7rocprim17ROCPRIM_400000_NS6detail17trampoline_kernelINS0_14default_configENS1_38merge_sort_block_merge_config_selectorIlNS0_10empty_typeEEEZZNS1_27merge_sort_block_merge_implIS3_PlPS5_mZN2at6native12_GLOBAL__N_124unique_dim_cuda_templateIjEESt5tupleIJNSA_6TensorESF_SF_EERKSF_lbbbEUlllE_EE10hipError_tT0_T1_T2_jT3_P12ihipStream_tbPNSt15iterator_traitsISL_E10value_typeEPNSR_ISM_E10value_typeEPSN_NS1_7vsmem_tEENKUlT_SL_SM_SN_E_clIS8_S8_S9_S9_EESK_S10_SL_SM_SN_EUlS10_E1_NS1_11comp_targetILNS1_3genE9ELNS1_11target_archE1100ELNS1_3gpuE3ELNS1_3repE0EEENS1_36merge_oddeven_config_static_selectorELNS0_4arch9wavefront6targetE1EEEvSM_
		.amdhsa_group_segment_fixed_size 0
		.amdhsa_private_segment_fixed_size 0
		.amdhsa_kernarg_size 64
		.amdhsa_user_sgpr_count 2
		.amdhsa_user_sgpr_dispatch_ptr 0
		.amdhsa_user_sgpr_queue_ptr 0
		.amdhsa_user_sgpr_kernarg_segment_ptr 1
		.amdhsa_user_sgpr_dispatch_id 0
		.amdhsa_user_sgpr_kernarg_preload_length 0
		.amdhsa_user_sgpr_kernarg_preload_offset 0
		.amdhsa_user_sgpr_private_segment_size 0
		.amdhsa_uses_dynamic_stack 0
		.amdhsa_enable_private_segment 0
		.amdhsa_system_sgpr_workgroup_id_x 1
		.amdhsa_system_sgpr_workgroup_id_y 0
		.amdhsa_system_sgpr_workgroup_id_z 0
		.amdhsa_system_sgpr_workgroup_info 0
		.amdhsa_system_vgpr_workitem_id 0
		.amdhsa_next_free_vgpr 1
		.amdhsa_next_free_sgpr 0
		.amdhsa_accum_offset 4
		.amdhsa_reserve_vcc 0
		.amdhsa_float_round_mode_32 0
		.amdhsa_float_round_mode_16_64 0
		.amdhsa_float_denorm_mode_32 3
		.amdhsa_float_denorm_mode_16_64 3
		.amdhsa_dx10_clamp 1
		.amdhsa_ieee_mode 1
		.amdhsa_fp16_overflow 0
		.amdhsa_tg_split 0
		.amdhsa_exception_fp_ieee_invalid_op 0
		.amdhsa_exception_fp_denorm_src 0
		.amdhsa_exception_fp_ieee_div_zero 0
		.amdhsa_exception_fp_ieee_overflow 0
		.amdhsa_exception_fp_ieee_underflow 0
		.amdhsa_exception_fp_ieee_inexact 0
		.amdhsa_exception_int_div_zero 0
	.end_amdhsa_kernel
	.section	.text._ZN7rocprim17ROCPRIM_400000_NS6detail17trampoline_kernelINS0_14default_configENS1_38merge_sort_block_merge_config_selectorIlNS0_10empty_typeEEEZZNS1_27merge_sort_block_merge_implIS3_PlPS5_mZN2at6native12_GLOBAL__N_124unique_dim_cuda_templateIjEESt5tupleIJNSA_6TensorESF_SF_EERKSF_lbbbEUlllE_EE10hipError_tT0_T1_T2_jT3_P12ihipStream_tbPNSt15iterator_traitsISL_E10value_typeEPNSR_ISM_E10value_typeEPSN_NS1_7vsmem_tEENKUlT_SL_SM_SN_E_clIS8_S8_S9_S9_EESK_S10_SL_SM_SN_EUlS10_E1_NS1_11comp_targetILNS1_3genE9ELNS1_11target_archE1100ELNS1_3gpuE3ELNS1_3repE0EEENS1_36merge_oddeven_config_static_selectorELNS0_4arch9wavefront6targetE1EEEvSM_,"axG",@progbits,_ZN7rocprim17ROCPRIM_400000_NS6detail17trampoline_kernelINS0_14default_configENS1_38merge_sort_block_merge_config_selectorIlNS0_10empty_typeEEEZZNS1_27merge_sort_block_merge_implIS3_PlPS5_mZN2at6native12_GLOBAL__N_124unique_dim_cuda_templateIjEESt5tupleIJNSA_6TensorESF_SF_EERKSF_lbbbEUlllE_EE10hipError_tT0_T1_T2_jT3_P12ihipStream_tbPNSt15iterator_traitsISL_E10value_typeEPNSR_ISM_E10value_typeEPSN_NS1_7vsmem_tEENKUlT_SL_SM_SN_E_clIS8_S8_S9_S9_EESK_S10_SL_SM_SN_EUlS10_E1_NS1_11comp_targetILNS1_3genE9ELNS1_11target_archE1100ELNS1_3gpuE3ELNS1_3repE0EEENS1_36merge_oddeven_config_static_selectorELNS0_4arch9wavefront6targetE1EEEvSM_,comdat
.Lfunc_end1524:
	.size	_ZN7rocprim17ROCPRIM_400000_NS6detail17trampoline_kernelINS0_14default_configENS1_38merge_sort_block_merge_config_selectorIlNS0_10empty_typeEEEZZNS1_27merge_sort_block_merge_implIS3_PlPS5_mZN2at6native12_GLOBAL__N_124unique_dim_cuda_templateIjEESt5tupleIJNSA_6TensorESF_SF_EERKSF_lbbbEUlllE_EE10hipError_tT0_T1_T2_jT3_P12ihipStream_tbPNSt15iterator_traitsISL_E10value_typeEPNSR_ISM_E10value_typeEPSN_NS1_7vsmem_tEENKUlT_SL_SM_SN_E_clIS8_S8_S9_S9_EESK_S10_SL_SM_SN_EUlS10_E1_NS1_11comp_targetILNS1_3genE9ELNS1_11target_archE1100ELNS1_3gpuE3ELNS1_3repE0EEENS1_36merge_oddeven_config_static_selectorELNS0_4arch9wavefront6targetE1EEEvSM_, .Lfunc_end1524-_ZN7rocprim17ROCPRIM_400000_NS6detail17trampoline_kernelINS0_14default_configENS1_38merge_sort_block_merge_config_selectorIlNS0_10empty_typeEEEZZNS1_27merge_sort_block_merge_implIS3_PlPS5_mZN2at6native12_GLOBAL__N_124unique_dim_cuda_templateIjEESt5tupleIJNSA_6TensorESF_SF_EERKSF_lbbbEUlllE_EE10hipError_tT0_T1_T2_jT3_P12ihipStream_tbPNSt15iterator_traitsISL_E10value_typeEPNSR_ISM_E10value_typeEPSN_NS1_7vsmem_tEENKUlT_SL_SM_SN_E_clIS8_S8_S9_S9_EESK_S10_SL_SM_SN_EUlS10_E1_NS1_11comp_targetILNS1_3genE9ELNS1_11target_archE1100ELNS1_3gpuE3ELNS1_3repE0EEENS1_36merge_oddeven_config_static_selectorELNS0_4arch9wavefront6targetE1EEEvSM_
                                        ; -- End function
	.section	.AMDGPU.csdata,"",@progbits
; Kernel info:
; codeLenInByte = 0
; NumSgprs: 6
; NumVgprs: 0
; NumAgprs: 0
; TotalNumVgprs: 0
; ScratchSize: 0
; MemoryBound: 0
; FloatMode: 240
; IeeeMode: 1
; LDSByteSize: 0 bytes/workgroup (compile time only)
; SGPRBlocks: 0
; VGPRBlocks: 0
; NumSGPRsForWavesPerEU: 6
; NumVGPRsForWavesPerEU: 1
; AccumOffset: 4
; Occupancy: 8
; WaveLimiterHint : 0
; COMPUTE_PGM_RSRC2:SCRATCH_EN: 0
; COMPUTE_PGM_RSRC2:USER_SGPR: 2
; COMPUTE_PGM_RSRC2:TRAP_HANDLER: 0
; COMPUTE_PGM_RSRC2:TGID_X_EN: 1
; COMPUTE_PGM_RSRC2:TGID_Y_EN: 0
; COMPUTE_PGM_RSRC2:TGID_Z_EN: 0
; COMPUTE_PGM_RSRC2:TIDIG_COMP_CNT: 0
; COMPUTE_PGM_RSRC3_GFX90A:ACCUM_OFFSET: 0
; COMPUTE_PGM_RSRC3_GFX90A:TG_SPLIT: 0
	.section	.text._ZN7rocprim17ROCPRIM_400000_NS6detail17trampoline_kernelINS0_14default_configENS1_38merge_sort_block_merge_config_selectorIlNS0_10empty_typeEEEZZNS1_27merge_sort_block_merge_implIS3_PlPS5_mZN2at6native12_GLOBAL__N_124unique_dim_cuda_templateIjEESt5tupleIJNSA_6TensorESF_SF_EERKSF_lbbbEUlllE_EE10hipError_tT0_T1_T2_jT3_P12ihipStream_tbPNSt15iterator_traitsISL_E10value_typeEPNSR_ISM_E10value_typeEPSN_NS1_7vsmem_tEENKUlT_SL_SM_SN_E_clIS8_S8_S9_S9_EESK_S10_SL_SM_SN_EUlS10_E1_NS1_11comp_targetILNS1_3genE8ELNS1_11target_archE1030ELNS1_3gpuE2ELNS1_3repE0EEENS1_36merge_oddeven_config_static_selectorELNS0_4arch9wavefront6targetE1EEEvSM_,"axG",@progbits,_ZN7rocprim17ROCPRIM_400000_NS6detail17trampoline_kernelINS0_14default_configENS1_38merge_sort_block_merge_config_selectorIlNS0_10empty_typeEEEZZNS1_27merge_sort_block_merge_implIS3_PlPS5_mZN2at6native12_GLOBAL__N_124unique_dim_cuda_templateIjEESt5tupleIJNSA_6TensorESF_SF_EERKSF_lbbbEUlllE_EE10hipError_tT0_T1_T2_jT3_P12ihipStream_tbPNSt15iterator_traitsISL_E10value_typeEPNSR_ISM_E10value_typeEPSN_NS1_7vsmem_tEENKUlT_SL_SM_SN_E_clIS8_S8_S9_S9_EESK_S10_SL_SM_SN_EUlS10_E1_NS1_11comp_targetILNS1_3genE8ELNS1_11target_archE1030ELNS1_3gpuE2ELNS1_3repE0EEENS1_36merge_oddeven_config_static_selectorELNS0_4arch9wavefront6targetE1EEEvSM_,comdat
	.globl	_ZN7rocprim17ROCPRIM_400000_NS6detail17trampoline_kernelINS0_14default_configENS1_38merge_sort_block_merge_config_selectorIlNS0_10empty_typeEEEZZNS1_27merge_sort_block_merge_implIS3_PlPS5_mZN2at6native12_GLOBAL__N_124unique_dim_cuda_templateIjEESt5tupleIJNSA_6TensorESF_SF_EERKSF_lbbbEUlllE_EE10hipError_tT0_T1_T2_jT3_P12ihipStream_tbPNSt15iterator_traitsISL_E10value_typeEPNSR_ISM_E10value_typeEPSN_NS1_7vsmem_tEENKUlT_SL_SM_SN_E_clIS8_S8_S9_S9_EESK_S10_SL_SM_SN_EUlS10_E1_NS1_11comp_targetILNS1_3genE8ELNS1_11target_archE1030ELNS1_3gpuE2ELNS1_3repE0EEENS1_36merge_oddeven_config_static_selectorELNS0_4arch9wavefront6targetE1EEEvSM_ ; -- Begin function _ZN7rocprim17ROCPRIM_400000_NS6detail17trampoline_kernelINS0_14default_configENS1_38merge_sort_block_merge_config_selectorIlNS0_10empty_typeEEEZZNS1_27merge_sort_block_merge_implIS3_PlPS5_mZN2at6native12_GLOBAL__N_124unique_dim_cuda_templateIjEESt5tupleIJNSA_6TensorESF_SF_EERKSF_lbbbEUlllE_EE10hipError_tT0_T1_T2_jT3_P12ihipStream_tbPNSt15iterator_traitsISL_E10value_typeEPNSR_ISM_E10value_typeEPSN_NS1_7vsmem_tEENKUlT_SL_SM_SN_E_clIS8_S8_S9_S9_EESK_S10_SL_SM_SN_EUlS10_E1_NS1_11comp_targetILNS1_3genE8ELNS1_11target_archE1030ELNS1_3gpuE2ELNS1_3repE0EEENS1_36merge_oddeven_config_static_selectorELNS0_4arch9wavefront6targetE1EEEvSM_
	.p2align	8
	.type	_ZN7rocprim17ROCPRIM_400000_NS6detail17trampoline_kernelINS0_14default_configENS1_38merge_sort_block_merge_config_selectorIlNS0_10empty_typeEEEZZNS1_27merge_sort_block_merge_implIS3_PlPS5_mZN2at6native12_GLOBAL__N_124unique_dim_cuda_templateIjEESt5tupleIJNSA_6TensorESF_SF_EERKSF_lbbbEUlllE_EE10hipError_tT0_T1_T2_jT3_P12ihipStream_tbPNSt15iterator_traitsISL_E10value_typeEPNSR_ISM_E10value_typeEPSN_NS1_7vsmem_tEENKUlT_SL_SM_SN_E_clIS8_S8_S9_S9_EESK_S10_SL_SM_SN_EUlS10_E1_NS1_11comp_targetILNS1_3genE8ELNS1_11target_archE1030ELNS1_3gpuE2ELNS1_3repE0EEENS1_36merge_oddeven_config_static_selectorELNS0_4arch9wavefront6targetE1EEEvSM_,@function
_ZN7rocprim17ROCPRIM_400000_NS6detail17trampoline_kernelINS0_14default_configENS1_38merge_sort_block_merge_config_selectorIlNS0_10empty_typeEEEZZNS1_27merge_sort_block_merge_implIS3_PlPS5_mZN2at6native12_GLOBAL__N_124unique_dim_cuda_templateIjEESt5tupleIJNSA_6TensorESF_SF_EERKSF_lbbbEUlllE_EE10hipError_tT0_T1_T2_jT3_P12ihipStream_tbPNSt15iterator_traitsISL_E10value_typeEPNSR_ISM_E10value_typeEPSN_NS1_7vsmem_tEENKUlT_SL_SM_SN_E_clIS8_S8_S9_S9_EESK_S10_SL_SM_SN_EUlS10_E1_NS1_11comp_targetILNS1_3genE8ELNS1_11target_archE1030ELNS1_3gpuE2ELNS1_3repE0EEENS1_36merge_oddeven_config_static_selectorELNS0_4arch9wavefront6targetE1EEEvSM_: ; @_ZN7rocprim17ROCPRIM_400000_NS6detail17trampoline_kernelINS0_14default_configENS1_38merge_sort_block_merge_config_selectorIlNS0_10empty_typeEEEZZNS1_27merge_sort_block_merge_implIS3_PlPS5_mZN2at6native12_GLOBAL__N_124unique_dim_cuda_templateIjEESt5tupleIJNSA_6TensorESF_SF_EERKSF_lbbbEUlllE_EE10hipError_tT0_T1_T2_jT3_P12ihipStream_tbPNSt15iterator_traitsISL_E10value_typeEPNSR_ISM_E10value_typeEPSN_NS1_7vsmem_tEENKUlT_SL_SM_SN_E_clIS8_S8_S9_S9_EESK_S10_SL_SM_SN_EUlS10_E1_NS1_11comp_targetILNS1_3genE8ELNS1_11target_archE1030ELNS1_3gpuE2ELNS1_3repE0EEENS1_36merge_oddeven_config_static_selectorELNS0_4arch9wavefront6targetE1EEEvSM_
; %bb.0:
	.section	.rodata,"a",@progbits
	.p2align	6, 0x0
	.amdhsa_kernel _ZN7rocprim17ROCPRIM_400000_NS6detail17trampoline_kernelINS0_14default_configENS1_38merge_sort_block_merge_config_selectorIlNS0_10empty_typeEEEZZNS1_27merge_sort_block_merge_implIS3_PlPS5_mZN2at6native12_GLOBAL__N_124unique_dim_cuda_templateIjEESt5tupleIJNSA_6TensorESF_SF_EERKSF_lbbbEUlllE_EE10hipError_tT0_T1_T2_jT3_P12ihipStream_tbPNSt15iterator_traitsISL_E10value_typeEPNSR_ISM_E10value_typeEPSN_NS1_7vsmem_tEENKUlT_SL_SM_SN_E_clIS8_S8_S9_S9_EESK_S10_SL_SM_SN_EUlS10_E1_NS1_11comp_targetILNS1_3genE8ELNS1_11target_archE1030ELNS1_3gpuE2ELNS1_3repE0EEENS1_36merge_oddeven_config_static_selectorELNS0_4arch9wavefront6targetE1EEEvSM_
		.amdhsa_group_segment_fixed_size 0
		.amdhsa_private_segment_fixed_size 0
		.amdhsa_kernarg_size 64
		.amdhsa_user_sgpr_count 2
		.amdhsa_user_sgpr_dispatch_ptr 0
		.amdhsa_user_sgpr_queue_ptr 0
		.amdhsa_user_sgpr_kernarg_segment_ptr 1
		.amdhsa_user_sgpr_dispatch_id 0
		.amdhsa_user_sgpr_kernarg_preload_length 0
		.amdhsa_user_sgpr_kernarg_preload_offset 0
		.amdhsa_user_sgpr_private_segment_size 0
		.amdhsa_uses_dynamic_stack 0
		.amdhsa_enable_private_segment 0
		.amdhsa_system_sgpr_workgroup_id_x 1
		.amdhsa_system_sgpr_workgroup_id_y 0
		.amdhsa_system_sgpr_workgroup_id_z 0
		.amdhsa_system_sgpr_workgroup_info 0
		.amdhsa_system_vgpr_workitem_id 0
		.amdhsa_next_free_vgpr 1
		.amdhsa_next_free_sgpr 0
		.amdhsa_accum_offset 4
		.amdhsa_reserve_vcc 0
		.amdhsa_float_round_mode_32 0
		.amdhsa_float_round_mode_16_64 0
		.amdhsa_float_denorm_mode_32 3
		.amdhsa_float_denorm_mode_16_64 3
		.amdhsa_dx10_clamp 1
		.amdhsa_ieee_mode 1
		.amdhsa_fp16_overflow 0
		.amdhsa_tg_split 0
		.amdhsa_exception_fp_ieee_invalid_op 0
		.amdhsa_exception_fp_denorm_src 0
		.amdhsa_exception_fp_ieee_div_zero 0
		.amdhsa_exception_fp_ieee_overflow 0
		.amdhsa_exception_fp_ieee_underflow 0
		.amdhsa_exception_fp_ieee_inexact 0
		.amdhsa_exception_int_div_zero 0
	.end_amdhsa_kernel
	.section	.text._ZN7rocprim17ROCPRIM_400000_NS6detail17trampoline_kernelINS0_14default_configENS1_38merge_sort_block_merge_config_selectorIlNS0_10empty_typeEEEZZNS1_27merge_sort_block_merge_implIS3_PlPS5_mZN2at6native12_GLOBAL__N_124unique_dim_cuda_templateIjEESt5tupleIJNSA_6TensorESF_SF_EERKSF_lbbbEUlllE_EE10hipError_tT0_T1_T2_jT3_P12ihipStream_tbPNSt15iterator_traitsISL_E10value_typeEPNSR_ISM_E10value_typeEPSN_NS1_7vsmem_tEENKUlT_SL_SM_SN_E_clIS8_S8_S9_S9_EESK_S10_SL_SM_SN_EUlS10_E1_NS1_11comp_targetILNS1_3genE8ELNS1_11target_archE1030ELNS1_3gpuE2ELNS1_3repE0EEENS1_36merge_oddeven_config_static_selectorELNS0_4arch9wavefront6targetE1EEEvSM_,"axG",@progbits,_ZN7rocprim17ROCPRIM_400000_NS6detail17trampoline_kernelINS0_14default_configENS1_38merge_sort_block_merge_config_selectorIlNS0_10empty_typeEEEZZNS1_27merge_sort_block_merge_implIS3_PlPS5_mZN2at6native12_GLOBAL__N_124unique_dim_cuda_templateIjEESt5tupleIJNSA_6TensorESF_SF_EERKSF_lbbbEUlllE_EE10hipError_tT0_T1_T2_jT3_P12ihipStream_tbPNSt15iterator_traitsISL_E10value_typeEPNSR_ISM_E10value_typeEPSN_NS1_7vsmem_tEENKUlT_SL_SM_SN_E_clIS8_S8_S9_S9_EESK_S10_SL_SM_SN_EUlS10_E1_NS1_11comp_targetILNS1_3genE8ELNS1_11target_archE1030ELNS1_3gpuE2ELNS1_3repE0EEENS1_36merge_oddeven_config_static_selectorELNS0_4arch9wavefront6targetE1EEEvSM_,comdat
.Lfunc_end1525:
	.size	_ZN7rocprim17ROCPRIM_400000_NS6detail17trampoline_kernelINS0_14default_configENS1_38merge_sort_block_merge_config_selectorIlNS0_10empty_typeEEEZZNS1_27merge_sort_block_merge_implIS3_PlPS5_mZN2at6native12_GLOBAL__N_124unique_dim_cuda_templateIjEESt5tupleIJNSA_6TensorESF_SF_EERKSF_lbbbEUlllE_EE10hipError_tT0_T1_T2_jT3_P12ihipStream_tbPNSt15iterator_traitsISL_E10value_typeEPNSR_ISM_E10value_typeEPSN_NS1_7vsmem_tEENKUlT_SL_SM_SN_E_clIS8_S8_S9_S9_EESK_S10_SL_SM_SN_EUlS10_E1_NS1_11comp_targetILNS1_3genE8ELNS1_11target_archE1030ELNS1_3gpuE2ELNS1_3repE0EEENS1_36merge_oddeven_config_static_selectorELNS0_4arch9wavefront6targetE1EEEvSM_, .Lfunc_end1525-_ZN7rocprim17ROCPRIM_400000_NS6detail17trampoline_kernelINS0_14default_configENS1_38merge_sort_block_merge_config_selectorIlNS0_10empty_typeEEEZZNS1_27merge_sort_block_merge_implIS3_PlPS5_mZN2at6native12_GLOBAL__N_124unique_dim_cuda_templateIjEESt5tupleIJNSA_6TensorESF_SF_EERKSF_lbbbEUlllE_EE10hipError_tT0_T1_T2_jT3_P12ihipStream_tbPNSt15iterator_traitsISL_E10value_typeEPNSR_ISM_E10value_typeEPSN_NS1_7vsmem_tEENKUlT_SL_SM_SN_E_clIS8_S8_S9_S9_EESK_S10_SL_SM_SN_EUlS10_E1_NS1_11comp_targetILNS1_3genE8ELNS1_11target_archE1030ELNS1_3gpuE2ELNS1_3repE0EEENS1_36merge_oddeven_config_static_selectorELNS0_4arch9wavefront6targetE1EEEvSM_
                                        ; -- End function
	.section	.AMDGPU.csdata,"",@progbits
; Kernel info:
; codeLenInByte = 0
; NumSgprs: 6
; NumVgprs: 0
; NumAgprs: 0
; TotalNumVgprs: 0
; ScratchSize: 0
; MemoryBound: 0
; FloatMode: 240
; IeeeMode: 1
; LDSByteSize: 0 bytes/workgroup (compile time only)
; SGPRBlocks: 0
; VGPRBlocks: 0
; NumSGPRsForWavesPerEU: 6
; NumVGPRsForWavesPerEU: 1
; AccumOffset: 4
; Occupancy: 8
; WaveLimiterHint : 0
; COMPUTE_PGM_RSRC2:SCRATCH_EN: 0
; COMPUTE_PGM_RSRC2:USER_SGPR: 2
; COMPUTE_PGM_RSRC2:TRAP_HANDLER: 0
; COMPUTE_PGM_RSRC2:TGID_X_EN: 1
; COMPUTE_PGM_RSRC2:TGID_Y_EN: 0
; COMPUTE_PGM_RSRC2:TGID_Z_EN: 0
; COMPUTE_PGM_RSRC2:TIDIG_COMP_CNT: 0
; COMPUTE_PGM_RSRC3_GFX90A:ACCUM_OFFSET: 0
; COMPUTE_PGM_RSRC3_GFX90A:TG_SPLIT: 0
	.section	.text._ZN7rocprim17ROCPRIM_400000_NS6detail17trampoline_kernelINS0_14default_configENS1_35adjacent_difference_config_selectorILb0ElEEZNS1_24adjacent_difference_implIS3_Lb0ELb0EPlS7_ZN2at6native12_GLOBAL__N_124unique_dim_cuda_templateIjEESt5tupleIJNS8_6TensorESD_SD_EERKSD_lbbbEUlllE1_EE10hipError_tPvRmT2_T3_mT4_P12ihipStream_tbEUlT_E_NS1_11comp_targetILNS1_3genE0ELNS1_11target_archE4294967295ELNS1_3gpuE0ELNS1_3repE0EEENS1_30default_config_static_selectorELNS0_4arch9wavefront6targetE1EEEvT1_,"axG",@progbits,_ZN7rocprim17ROCPRIM_400000_NS6detail17trampoline_kernelINS0_14default_configENS1_35adjacent_difference_config_selectorILb0ElEEZNS1_24adjacent_difference_implIS3_Lb0ELb0EPlS7_ZN2at6native12_GLOBAL__N_124unique_dim_cuda_templateIjEESt5tupleIJNS8_6TensorESD_SD_EERKSD_lbbbEUlllE1_EE10hipError_tPvRmT2_T3_mT4_P12ihipStream_tbEUlT_E_NS1_11comp_targetILNS1_3genE0ELNS1_11target_archE4294967295ELNS1_3gpuE0ELNS1_3repE0EEENS1_30default_config_static_selectorELNS0_4arch9wavefront6targetE1EEEvT1_,comdat
	.globl	_ZN7rocprim17ROCPRIM_400000_NS6detail17trampoline_kernelINS0_14default_configENS1_35adjacent_difference_config_selectorILb0ElEEZNS1_24adjacent_difference_implIS3_Lb0ELb0EPlS7_ZN2at6native12_GLOBAL__N_124unique_dim_cuda_templateIjEESt5tupleIJNS8_6TensorESD_SD_EERKSD_lbbbEUlllE1_EE10hipError_tPvRmT2_T3_mT4_P12ihipStream_tbEUlT_E_NS1_11comp_targetILNS1_3genE0ELNS1_11target_archE4294967295ELNS1_3gpuE0ELNS1_3repE0EEENS1_30default_config_static_selectorELNS0_4arch9wavefront6targetE1EEEvT1_ ; -- Begin function _ZN7rocprim17ROCPRIM_400000_NS6detail17trampoline_kernelINS0_14default_configENS1_35adjacent_difference_config_selectorILb0ElEEZNS1_24adjacent_difference_implIS3_Lb0ELb0EPlS7_ZN2at6native12_GLOBAL__N_124unique_dim_cuda_templateIjEESt5tupleIJNS8_6TensorESD_SD_EERKSD_lbbbEUlllE1_EE10hipError_tPvRmT2_T3_mT4_P12ihipStream_tbEUlT_E_NS1_11comp_targetILNS1_3genE0ELNS1_11target_archE4294967295ELNS1_3gpuE0ELNS1_3repE0EEENS1_30default_config_static_selectorELNS0_4arch9wavefront6targetE1EEEvT1_
	.p2align	8
	.type	_ZN7rocprim17ROCPRIM_400000_NS6detail17trampoline_kernelINS0_14default_configENS1_35adjacent_difference_config_selectorILb0ElEEZNS1_24adjacent_difference_implIS3_Lb0ELb0EPlS7_ZN2at6native12_GLOBAL__N_124unique_dim_cuda_templateIjEESt5tupleIJNS8_6TensorESD_SD_EERKSD_lbbbEUlllE1_EE10hipError_tPvRmT2_T3_mT4_P12ihipStream_tbEUlT_E_NS1_11comp_targetILNS1_3genE0ELNS1_11target_archE4294967295ELNS1_3gpuE0ELNS1_3repE0EEENS1_30default_config_static_selectorELNS0_4arch9wavefront6targetE1EEEvT1_,@function
_ZN7rocprim17ROCPRIM_400000_NS6detail17trampoline_kernelINS0_14default_configENS1_35adjacent_difference_config_selectorILb0ElEEZNS1_24adjacent_difference_implIS3_Lb0ELb0EPlS7_ZN2at6native12_GLOBAL__N_124unique_dim_cuda_templateIjEESt5tupleIJNS8_6TensorESD_SD_EERKSD_lbbbEUlllE1_EE10hipError_tPvRmT2_T3_mT4_P12ihipStream_tbEUlT_E_NS1_11comp_targetILNS1_3genE0ELNS1_11target_archE4294967295ELNS1_3gpuE0ELNS1_3repE0EEENS1_30default_config_static_selectorELNS0_4arch9wavefront6targetE1EEEvT1_: ; @_ZN7rocprim17ROCPRIM_400000_NS6detail17trampoline_kernelINS0_14default_configENS1_35adjacent_difference_config_selectorILb0ElEEZNS1_24adjacent_difference_implIS3_Lb0ELb0EPlS7_ZN2at6native12_GLOBAL__N_124unique_dim_cuda_templateIjEESt5tupleIJNS8_6TensorESD_SD_EERKSD_lbbbEUlllE1_EE10hipError_tPvRmT2_T3_mT4_P12ihipStream_tbEUlT_E_NS1_11comp_targetILNS1_3genE0ELNS1_11target_archE4294967295ELNS1_3gpuE0ELNS1_3repE0EEENS1_30default_config_static_selectorELNS0_4arch9wavefront6targetE1EEEvT1_
; %bb.0:
	.section	.rodata,"a",@progbits
	.p2align	6, 0x0
	.amdhsa_kernel _ZN7rocprim17ROCPRIM_400000_NS6detail17trampoline_kernelINS0_14default_configENS1_35adjacent_difference_config_selectorILb0ElEEZNS1_24adjacent_difference_implIS3_Lb0ELb0EPlS7_ZN2at6native12_GLOBAL__N_124unique_dim_cuda_templateIjEESt5tupleIJNS8_6TensorESD_SD_EERKSD_lbbbEUlllE1_EE10hipError_tPvRmT2_T3_mT4_P12ihipStream_tbEUlT_E_NS1_11comp_targetILNS1_3genE0ELNS1_11target_archE4294967295ELNS1_3gpuE0ELNS1_3repE0EEENS1_30default_config_static_selectorELNS0_4arch9wavefront6targetE1EEEvT1_
		.amdhsa_group_segment_fixed_size 0
		.amdhsa_private_segment_fixed_size 0
		.amdhsa_kernarg_size 64
		.amdhsa_user_sgpr_count 2
		.amdhsa_user_sgpr_dispatch_ptr 0
		.amdhsa_user_sgpr_queue_ptr 0
		.amdhsa_user_sgpr_kernarg_segment_ptr 1
		.amdhsa_user_sgpr_dispatch_id 0
		.amdhsa_user_sgpr_kernarg_preload_length 0
		.amdhsa_user_sgpr_kernarg_preload_offset 0
		.amdhsa_user_sgpr_private_segment_size 0
		.amdhsa_uses_dynamic_stack 0
		.amdhsa_enable_private_segment 0
		.amdhsa_system_sgpr_workgroup_id_x 1
		.amdhsa_system_sgpr_workgroup_id_y 0
		.amdhsa_system_sgpr_workgroup_id_z 0
		.amdhsa_system_sgpr_workgroup_info 0
		.amdhsa_system_vgpr_workitem_id 0
		.amdhsa_next_free_vgpr 1
		.amdhsa_next_free_sgpr 0
		.amdhsa_accum_offset 4
		.amdhsa_reserve_vcc 0
		.amdhsa_float_round_mode_32 0
		.amdhsa_float_round_mode_16_64 0
		.amdhsa_float_denorm_mode_32 3
		.amdhsa_float_denorm_mode_16_64 3
		.amdhsa_dx10_clamp 1
		.amdhsa_ieee_mode 1
		.amdhsa_fp16_overflow 0
		.amdhsa_tg_split 0
		.amdhsa_exception_fp_ieee_invalid_op 0
		.amdhsa_exception_fp_denorm_src 0
		.amdhsa_exception_fp_ieee_div_zero 0
		.amdhsa_exception_fp_ieee_overflow 0
		.amdhsa_exception_fp_ieee_underflow 0
		.amdhsa_exception_fp_ieee_inexact 0
		.amdhsa_exception_int_div_zero 0
	.end_amdhsa_kernel
	.section	.text._ZN7rocprim17ROCPRIM_400000_NS6detail17trampoline_kernelINS0_14default_configENS1_35adjacent_difference_config_selectorILb0ElEEZNS1_24adjacent_difference_implIS3_Lb0ELb0EPlS7_ZN2at6native12_GLOBAL__N_124unique_dim_cuda_templateIjEESt5tupleIJNS8_6TensorESD_SD_EERKSD_lbbbEUlllE1_EE10hipError_tPvRmT2_T3_mT4_P12ihipStream_tbEUlT_E_NS1_11comp_targetILNS1_3genE0ELNS1_11target_archE4294967295ELNS1_3gpuE0ELNS1_3repE0EEENS1_30default_config_static_selectorELNS0_4arch9wavefront6targetE1EEEvT1_,"axG",@progbits,_ZN7rocprim17ROCPRIM_400000_NS6detail17trampoline_kernelINS0_14default_configENS1_35adjacent_difference_config_selectorILb0ElEEZNS1_24adjacent_difference_implIS3_Lb0ELb0EPlS7_ZN2at6native12_GLOBAL__N_124unique_dim_cuda_templateIjEESt5tupleIJNS8_6TensorESD_SD_EERKSD_lbbbEUlllE1_EE10hipError_tPvRmT2_T3_mT4_P12ihipStream_tbEUlT_E_NS1_11comp_targetILNS1_3genE0ELNS1_11target_archE4294967295ELNS1_3gpuE0ELNS1_3repE0EEENS1_30default_config_static_selectorELNS0_4arch9wavefront6targetE1EEEvT1_,comdat
.Lfunc_end1526:
	.size	_ZN7rocprim17ROCPRIM_400000_NS6detail17trampoline_kernelINS0_14default_configENS1_35adjacent_difference_config_selectorILb0ElEEZNS1_24adjacent_difference_implIS3_Lb0ELb0EPlS7_ZN2at6native12_GLOBAL__N_124unique_dim_cuda_templateIjEESt5tupleIJNS8_6TensorESD_SD_EERKSD_lbbbEUlllE1_EE10hipError_tPvRmT2_T3_mT4_P12ihipStream_tbEUlT_E_NS1_11comp_targetILNS1_3genE0ELNS1_11target_archE4294967295ELNS1_3gpuE0ELNS1_3repE0EEENS1_30default_config_static_selectorELNS0_4arch9wavefront6targetE1EEEvT1_, .Lfunc_end1526-_ZN7rocprim17ROCPRIM_400000_NS6detail17trampoline_kernelINS0_14default_configENS1_35adjacent_difference_config_selectorILb0ElEEZNS1_24adjacent_difference_implIS3_Lb0ELb0EPlS7_ZN2at6native12_GLOBAL__N_124unique_dim_cuda_templateIjEESt5tupleIJNS8_6TensorESD_SD_EERKSD_lbbbEUlllE1_EE10hipError_tPvRmT2_T3_mT4_P12ihipStream_tbEUlT_E_NS1_11comp_targetILNS1_3genE0ELNS1_11target_archE4294967295ELNS1_3gpuE0ELNS1_3repE0EEENS1_30default_config_static_selectorELNS0_4arch9wavefront6targetE1EEEvT1_
                                        ; -- End function
	.section	.AMDGPU.csdata,"",@progbits
; Kernel info:
; codeLenInByte = 0
; NumSgprs: 6
; NumVgprs: 0
; NumAgprs: 0
; TotalNumVgprs: 0
; ScratchSize: 0
; MemoryBound: 0
; FloatMode: 240
; IeeeMode: 1
; LDSByteSize: 0 bytes/workgroup (compile time only)
; SGPRBlocks: 0
; VGPRBlocks: 0
; NumSGPRsForWavesPerEU: 6
; NumVGPRsForWavesPerEU: 1
; AccumOffset: 4
; Occupancy: 8
; WaveLimiterHint : 0
; COMPUTE_PGM_RSRC2:SCRATCH_EN: 0
; COMPUTE_PGM_RSRC2:USER_SGPR: 2
; COMPUTE_PGM_RSRC2:TRAP_HANDLER: 0
; COMPUTE_PGM_RSRC2:TGID_X_EN: 1
; COMPUTE_PGM_RSRC2:TGID_Y_EN: 0
; COMPUTE_PGM_RSRC2:TGID_Z_EN: 0
; COMPUTE_PGM_RSRC2:TIDIG_COMP_CNT: 0
; COMPUTE_PGM_RSRC3_GFX90A:ACCUM_OFFSET: 0
; COMPUTE_PGM_RSRC3_GFX90A:TG_SPLIT: 0
	.section	.text._ZN7rocprim17ROCPRIM_400000_NS6detail17trampoline_kernelINS0_14default_configENS1_35adjacent_difference_config_selectorILb0ElEEZNS1_24adjacent_difference_implIS3_Lb0ELb0EPlS7_ZN2at6native12_GLOBAL__N_124unique_dim_cuda_templateIjEESt5tupleIJNS8_6TensorESD_SD_EERKSD_lbbbEUlllE1_EE10hipError_tPvRmT2_T3_mT4_P12ihipStream_tbEUlT_E_NS1_11comp_targetILNS1_3genE10ELNS1_11target_archE1201ELNS1_3gpuE5ELNS1_3repE0EEENS1_30default_config_static_selectorELNS0_4arch9wavefront6targetE1EEEvT1_,"axG",@progbits,_ZN7rocprim17ROCPRIM_400000_NS6detail17trampoline_kernelINS0_14default_configENS1_35adjacent_difference_config_selectorILb0ElEEZNS1_24adjacent_difference_implIS3_Lb0ELb0EPlS7_ZN2at6native12_GLOBAL__N_124unique_dim_cuda_templateIjEESt5tupleIJNS8_6TensorESD_SD_EERKSD_lbbbEUlllE1_EE10hipError_tPvRmT2_T3_mT4_P12ihipStream_tbEUlT_E_NS1_11comp_targetILNS1_3genE10ELNS1_11target_archE1201ELNS1_3gpuE5ELNS1_3repE0EEENS1_30default_config_static_selectorELNS0_4arch9wavefront6targetE1EEEvT1_,comdat
	.globl	_ZN7rocprim17ROCPRIM_400000_NS6detail17trampoline_kernelINS0_14default_configENS1_35adjacent_difference_config_selectorILb0ElEEZNS1_24adjacent_difference_implIS3_Lb0ELb0EPlS7_ZN2at6native12_GLOBAL__N_124unique_dim_cuda_templateIjEESt5tupleIJNS8_6TensorESD_SD_EERKSD_lbbbEUlllE1_EE10hipError_tPvRmT2_T3_mT4_P12ihipStream_tbEUlT_E_NS1_11comp_targetILNS1_3genE10ELNS1_11target_archE1201ELNS1_3gpuE5ELNS1_3repE0EEENS1_30default_config_static_selectorELNS0_4arch9wavefront6targetE1EEEvT1_ ; -- Begin function _ZN7rocprim17ROCPRIM_400000_NS6detail17trampoline_kernelINS0_14default_configENS1_35adjacent_difference_config_selectorILb0ElEEZNS1_24adjacent_difference_implIS3_Lb0ELb0EPlS7_ZN2at6native12_GLOBAL__N_124unique_dim_cuda_templateIjEESt5tupleIJNS8_6TensorESD_SD_EERKSD_lbbbEUlllE1_EE10hipError_tPvRmT2_T3_mT4_P12ihipStream_tbEUlT_E_NS1_11comp_targetILNS1_3genE10ELNS1_11target_archE1201ELNS1_3gpuE5ELNS1_3repE0EEENS1_30default_config_static_selectorELNS0_4arch9wavefront6targetE1EEEvT1_
	.p2align	8
	.type	_ZN7rocprim17ROCPRIM_400000_NS6detail17trampoline_kernelINS0_14default_configENS1_35adjacent_difference_config_selectorILb0ElEEZNS1_24adjacent_difference_implIS3_Lb0ELb0EPlS7_ZN2at6native12_GLOBAL__N_124unique_dim_cuda_templateIjEESt5tupleIJNS8_6TensorESD_SD_EERKSD_lbbbEUlllE1_EE10hipError_tPvRmT2_T3_mT4_P12ihipStream_tbEUlT_E_NS1_11comp_targetILNS1_3genE10ELNS1_11target_archE1201ELNS1_3gpuE5ELNS1_3repE0EEENS1_30default_config_static_selectorELNS0_4arch9wavefront6targetE1EEEvT1_,@function
_ZN7rocprim17ROCPRIM_400000_NS6detail17trampoline_kernelINS0_14default_configENS1_35adjacent_difference_config_selectorILb0ElEEZNS1_24adjacent_difference_implIS3_Lb0ELb0EPlS7_ZN2at6native12_GLOBAL__N_124unique_dim_cuda_templateIjEESt5tupleIJNS8_6TensorESD_SD_EERKSD_lbbbEUlllE1_EE10hipError_tPvRmT2_T3_mT4_P12ihipStream_tbEUlT_E_NS1_11comp_targetILNS1_3genE10ELNS1_11target_archE1201ELNS1_3gpuE5ELNS1_3repE0EEENS1_30default_config_static_selectorELNS0_4arch9wavefront6targetE1EEEvT1_: ; @_ZN7rocprim17ROCPRIM_400000_NS6detail17trampoline_kernelINS0_14default_configENS1_35adjacent_difference_config_selectorILb0ElEEZNS1_24adjacent_difference_implIS3_Lb0ELb0EPlS7_ZN2at6native12_GLOBAL__N_124unique_dim_cuda_templateIjEESt5tupleIJNS8_6TensorESD_SD_EERKSD_lbbbEUlllE1_EE10hipError_tPvRmT2_T3_mT4_P12ihipStream_tbEUlT_E_NS1_11comp_targetILNS1_3genE10ELNS1_11target_archE1201ELNS1_3gpuE5ELNS1_3repE0EEENS1_30default_config_static_selectorELNS0_4arch9wavefront6targetE1EEEvT1_
; %bb.0:
	.section	.rodata,"a",@progbits
	.p2align	6, 0x0
	.amdhsa_kernel _ZN7rocprim17ROCPRIM_400000_NS6detail17trampoline_kernelINS0_14default_configENS1_35adjacent_difference_config_selectorILb0ElEEZNS1_24adjacent_difference_implIS3_Lb0ELb0EPlS7_ZN2at6native12_GLOBAL__N_124unique_dim_cuda_templateIjEESt5tupleIJNS8_6TensorESD_SD_EERKSD_lbbbEUlllE1_EE10hipError_tPvRmT2_T3_mT4_P12ihipStream_tbEUlT_E_NS1_11comp_targetILNS1_3genE10ELNS1_11target_archE1201ELNS1_3gpuE5ELNS1_3repE0EEENS1_30default_config_static_selectorELNS0_4arch9wavefront6targetE1EEEvT1_
		.amdhsa_group_segment_fixed_size 0
		.amdhsa_private_segment_fixed_size 0
		.amdhsa_kernarg_size 64
		.amdhsa_user_sgpr_count 2
		.amdhsa_user_sgpr_dispatch_ptr 0
		.amdhsa_user_sgpr_queue_ptr 0
		.amdhsa_user_sgpr_kernarg_segment_ptr 1
		.amdhsa_user_sgpr_dispatch_id 0
		.amdhsa_user_sgpr_kernarg_preload_length 0
		.amdhsa_user_sgpr_kernarg_preload_offset 0
		.amdhsa_user_sgpr_private_segment_size 0
		.amdhsa_uses_dynamic_stack 0
		.amdhsa_enable_private_segment 0
		.amdhsa_system_sgpr_workgroup_id_x 1
		.amdhsa_system_sgpr_workgroup_id_y 0
		.amdhsa_system_sgpr_workgroup_id_z 0
		.amdhsa_system_sgpr_workgroup_info 0
		.amdhsa_system_vgpr_workitem_id 0
		.amdhsa_next_free_vgpr 1
		.amdhsa_next_free_sgpr 0
		.amdhsa_accum_offset 4
		.amdhsa_reserve_vcc 0
		.amdhsa_float_round_mode_32 0
		.amdhsa_float_round_mode_16_64 0
		.amdhsa_float_denorm_mode_32 3
		.amdhsa_float_denorm_mode_16_64 3
		.amdhsa_dx10_clamp 1
		.amdhsa_ieee_mode 1
		.amdhsa_fp16_overflow 0
		.amdhsa_tg_split 0
		.amdhsa_exception_fp_ieee_invalid_op 0
		.amdhsa_exception_fp_denorm_src 0
		.amdhsa_exception_fp_ieee_div_zero 0
		.amdhsa_exception_fp_ieee_overflow 0
		.amdhsa_exception_fp_ieee_underflow 0
		.amdhsa_exception_fp_ieee_inexact 0
		.amdhsa_exception_int_div_zero 0
	.end_amdhsa_kernel
	.section	.text._ZN7rocprim17ROCPRIM_400000_NS6detail17trampoline_kernelINS0_14default_configENS1_35adjacent_difference_config_selectorILb0ElEEZNS1_24adjacent_difference_implIS3_Lb0ELb0EPlS7_ZN2at6native12_GLOBAL__N_124unique_dim_cuda_templateIjEESt5tupleIJNS8_6TensorESD_SD_EERKSD_lbbbEUlllE1_EE10hipError_tPvRmT2_T3_mT4_P12ihipStream_tbEUlT_E_NS1_11comp_targetILNS1_3genE10ELNS1_11target_archE1201ELNS1_3gpuE5ELNS1_3repE0EEENS1_30default_config_static_selectorELNS0_4arch9wavefront6targetE1EEEvT1_,"axG",@progbits,_ZN7rocprim17ROCPRIM_400000_NS6detail17trampoline_kernelINS0_14default_configENS1_35adjacent_difference_config_selectorILb0ElEEZNS1_24adjacent_difference_implIS3_Lb0ELb0EPlS7_ZN2at6native12_GLOBAL__N_124unique_dim_cuda_templateIjEESt5tupleIJNS8_6TensorESD_SD_EERKSD_lbbbEUlllE1_EE10hipError_tPvRmT2_T3_mT4_P12ihipStream_tbEUlT_E_NS1_11comp_targetILNS1_3genE10ELNS1_11target_archE1201ELNS1_3gpuE5ELNS1_3repE0EEENS1_30default_config_static_selectorELNS0_4arch9wavefront6targetE1EEEvT1_,comdat
.Lfunc_end1527:
	.size	_ZN7rocprim17ROCPRIM_400000_NS6detail17trampoline_kernelINS0_14default_configENS1_35adjacent_difference_config_selectorILb0ElEEZNS1_24adjacent_difference_implIS3_Lb0ELb0EPlS7_ZN2at6native12_GLOBAL__N_124unique_dim_cuda_templateIjEESt5tupleIJNS8_6TensorESD_SD_EERKSD_lbbbEUlllE1_EE10hipError_tPvRmT2_T3_mT4_P12ihipStream_tbEUlT_E_NS1_11comp_targetILNS1_3genE10ELNS1_11target_archE1201ELNS1_3gpuE5ELNS1_3repE0EEENS1_30default_config_static_selectorELNS0_4arch9wavefront6targetE1EEEvT1_, .Lfunc_end1527-_ZN7rocprim17ROCPRIM_400000_NS6detail17trampoline_kernelINS0_14default_configENS1_35adjacent_difference_config_selectorILb0ElEEZNS1_24adjacent_difference_implIS3_Lb0ELb0EPlS7_ZN2at6native12_GLOBAL__N_124unique_dim_cuda_templateIjEESt5tupleIJNS8_6TensorESD_SD_EERKSD_lbbbEUlllE1_EE10hipError_tPvRmT2_T3_mT4_P12ihipStream_tbEUlT_E_NS1_11comp_targetILNS1_3genE10ELNS1_11target_archE1201ELNS1_3gpuE5ELNS1_3repE0EEENS1_30default_config_static_selectorELNS0_4arch9wavefront6targetE1EEEvT1_
                                        ; -- End function
	.section	.AMDGPU.csdata,"",@progbits
; Kernel info:
; codeLenInByte = 0
; NumSgprs: 6
; NumVgprs: 0
; NumAgprs: 0
; TotalNumVgprs: 0
; ScratchSize: 0
; MemoryBound: 0
; FloatMode: 240
; IeeeMode: 1
; LDSByteSize: 0 bytes/workgroup (compile time only)
; SGPRBlocks: 0
; VGPRBlocks: 0
; NumSGPRsForWavesPerEU: 6
; NumVGPRsForWavesPerEU: 1
; AccumOffset: 4
; Occupancy: 8
; WaveLimiterHint : 0
; COMPUTE_PGM_RSRC2:SCRATCH_EN: 0
; COMPUTE_PGM_RSRC2:USER_SGPR: 2
; COMPUTE_PGM_RSRC2:TRAP_HANDLER: 0
; COMPUTE_PGM_RSRC2:TGID_X_EN: 1
; COMPUTE_PGM_RSRC2:TGID_Y_EN: 0
; COMPUTE_PGM_RSRC2:TGID_Z_EN: 0
; COMPUTE_PGM_RSRC2:TIDIG_COMP_CNT: 0
; COMPUTE_PGM_RSRC3_GFX90A:ACCUM_OFFSET: 0
; COMPUTE_PGM_RSRC3_GFX90A:TG_SPLIT: 0
	.section	.text._ZN7rocprim17ROCPRIM_400000_NS6detail17trampoline_kernelINS0_14default_configENS1_35adjacent_difference_config_selectorILb0ElEEZNS1_24adjacent_difference_implIS3_Lb0ELb0EPlS7_ZN2at6native12_GLOBAL__N_124unique_dim_cuda_templateIjEESt5tupleIJNS8_6TensorESD_SD_EERKSD_lbbbEUlllE1_EE10hipError_tPvRmT2_T3_mT4_P12ihipStream_tbEUlT_E_NS1_11comp_targetILNS1_3genE5ELNS1_11target_archE942ELNS1_3gpuE9ELNS1_3repE0EEENS1_30default_config_static_selectorELNS0_4arch9wavefront6targetE1EEEvT1_,"axG",@progbits,_ZN7rocprim17ROCPRIM_400000_NS6detail17trampoline_kernelINS0_14default_configENS1_35adjacent_difference_config_selectorILb0ElEEZNS1_24adjacent_difference_implIS3_Lb0ELb0EPlS7_ZN2at6native12_GLOBAL__N_124unique_dim_cuda_templateIjEESt5tupleIJNS8_6TensorESD_SD_EERKSD_lbbbEUlllE1_EE10hipError_tPvRmT2_T3_mT4_P12ihipStream_tbEUlT_E_NS1_11comp_targetILNS1_3genE5ELNS1_11target_archE942ELNS1_3gpuE9ELNS1_3repE0EEENS1_30default_config_static_selectorELNS0_4arch9wavefront6targetE1EEEvT1_,comdat
	.globl	_ZN7rocprim17ROCPRIM_400000_NS6detail17trampoline_kernelINS0_14default_configENS1_35adjacent_difference_config_selectorILb0ElEEZNS1_24adjacent_difference_implIS3_Lb0ELb0EPlS7_ZN2at6native12_GLOBAL__N_124unique_dim_cuda_templateIjEESt5tupleIJNS8_6TensorESD_SD_EERKSD_lbbbEUlllE1_EE10hipError_tPvRmT2_T3_mT4_P12ihipStream_tbEUlT_E_NS1_11comp_targetILNS1_3genE5ELNS1_11target_archE942ELNS1_3gpuE9ELNS1_3repE0EEENS1_30default_config_static_selectorELNS0_4arch9wavefront6targetE1EEEvT1_ ; -- Begin function _ZN7rocprim17ROCPRIM_400000_NS6detail17trampoline_kernelINS0_14default_configENS1_35adjacent_difference_config_selectorILb0ElEEZNS1_24adjacent_difference_implIS3_Lb0ELb0EPlS7_ZN2at6native12_GLOBAL__N_124unique_dim_cuda_templateIjEESt5tupleIJNS8_6TensorESD_SD_EERKSD_lbbbEUlllE1_EE10hipError_tPvRmT2_T3_mT4_P12ihipStream_tbEUlT_E_NS1_11comp_targetILNS1_3genE5ELNS1_11target_archE942ELNS1_3gpuE9ELNS1_3repE0EEENS1_30default_config_static_selectorELNS0_4arch9wavefront6targetE1EEEvT1_
	.p2align	8
	.type	_ZN7rocprim17ROCPRIM_400000_NS6detail17trampoline_kernelINS0_14default_configENS1_35adjacent_difference_config_selectorILb0ElEEZNS1_24adjacent_difference_implIS3_Lb0ELb0EPlS7_ZN2at6native12_GLOBAL__N_124unique_dim_cuda_templateIjEESt5tupleIJNS8_6TensorESD_SD_EERKSD_lbbbEUlllE1_EE10hipError_tPvRmT2_T3_mT4_P12ihipStream_tbEUlT_E_NS1_11comp_targetILNS1_3genE5ELNS1_11target_archE942ELNS1_3gpuE9ELNS1_3repE0EEENS1_30default_config_static_selectorELNS0_4arch9wavefront6targetE1EEEvT1_,@function
_ZN7rocprim17ROCPRIM_400000_NS6detail17trampoline_kernelINS0_14default_configENS1_35adjacent_difference_config_selectorILb0ElEEZNS1_24adjacent_difference_implIS3_Lb0ELb0EPlS7_ZN2at6native12_GLOBAL__N_124unique_dim_cuda_templateIjEESt5tupleIJNS8_6TensorESD_SD_EERKSD_lbbbEUlllE1_EE10hipError_tPvRmT2_T3_mT4_P12ihipStream_tbEUlT_E_NS1_11comp_targetILNS1_3genE5ELNS1_11target_archE942ELNS1_3gpuE9ELNS1_3repE0EEENS1_30default_config_static_selectorELNS0_4arch9wavefront6targetE1EEEvT1_: ; @_ZN7rocprim17ROCPRIM_400000_NS6detail17trampoline_kernelINS0_14default_configENS1_35adjacent_difference_config_selectorILb0ElEEZNS1_24adjacent_difference_implIS3_Lb0ELb0EPlS7_ZN2at6native12_GLOBAL__N_124unique_dim_cuda_templateIjEESt5tupleIJNS8_6TensorESD_SD_EERKSD_lbbbEUlllE1_EE10hipError_tPvRmT2_T3_mT4_P12ihipStream_tbEUlT_E_NS1_11comp_targetILNS1_3genE5ELNS1_11target_archE942ELNS1_3gpuE9ELNS1_3repE0EEENS1_30default_config_static_selectorELNS0_4arch9wavefront6targetE1EEEvT1_
; %bb.0:
	s_load_dwordx8 s[4:11], s[0:1], 0x0
	s_load_dwordx4 s[12:15], s[0:1], 0x20
	s_load_dwordx2 s[18:19], s[0:1], 0x38
	s_mov_b32 s1, 0xcec4e8e0
	v_bfrev_b32_e32 v1, 1
	s_waitcnt lgkmcnt(0)
	s_lshl_b64 s[16:17], s[6:7], 3
	s_add_u32 s24, s4, s16
	s_addc_u32 s25, s5, s17
	s_add_u32 s1, 0x150, s1
	s_addc_u32 s3, 0, 0
	v_add_co_u32_e32 v1, vcc, s1, v1
	s_cmp_lg_u64 vcc, 0
	v_readfirstlane_b32 s4, v1
	s_addc_u32 s1, s3, 0x4ec4eb
	s_mul_hi_u32 s5, s4, 0xfffffcc0
	s_mul_i32 s3, s1, 0xfffffcc0
	s_sub_i32 s5, s5, s4
	s_add_i32 s5, s5, s3
	s_mul_i32 s21, s4, 0xfffffcc0
	s_mul_hi_u32 s3, s4, s5
	s_mul_i32 s20, s4, s5
	s_mul_hi_u32 s4, s4, s21
	s_add_u32 s4, s4, s20
	s_addc_u32 s3, 0, s3
	s_mul_hi_u32 s22, s1, s21
	s_mul_i32 s21, s1, s21
	s_add_u32 s4, s4, s21
	s_mul_hi_u32 s20, s1, s5
	s_addc_u32 s3, s3, s22
	s_addc_u32 s4, s20, 0
	s_mul_i32 s5, s1, s5
	s_add_u32 s3, s3, s5
	s_addc_u32 s4, 0, s4
	v_add_co_u32_e32 v1, vcc, s3, v1
	s_cmp_lg_u64 vcc, 0
	s_addc_u32 s1, s1, s4
	v_readfirstlane_b32 s5, v1
	s_mul_i32 s4, s10, s1
	s_mul_hi_u32 s20, s10, s5
	s_mul_hi_u32 s3, s10, s1
	s_add_u32 s4, s20, s4
	s_addc_u32 s3, 0, s3
	s_mul_hi_u32 s21, s11, s5
	s_mul_i32 s5, s11, s5
	s_add_u32 s4, s4, s5
	s_mul_hi_u32 s20, s11, s1
	s_addc_u32 s3, s3, s21
	s_addc_u32 s4, s20, 0
	s_mul_i32 s1, s11, s1
	s_add_u32 s1, s3, s1
	s_addc_u32 s3, 0, s4
	s_add_u32 s4, s1, 1
	s_addc_u32 s5, s3, 0
	s_add_u32 s20, s1, 2
	s_mul_i32 s22, s3, 0x340
	s_mul_hi_u32 s23, s1, 0x340
	s_addc_u32 s21, s3, 0
	s_add_i32 s23, s23, s22
	s_mul_i32 s22, s1, 0x340
	v_mov_b32_e32 v1, s22
	v_sub_co_u32_e32 v1, vcc, s10, v1
	s_movk_i32 s0, 0x340
	s_cmp_lg_u64 vcc, 0
	s_subb_u32 s22, s11, s23
	v_subrev_co_u32_e32 v2, vcc, s0, v1
	s_cmp_lg_u64 vcc, 0
	s_subb_u32 s0, s22, 0
	v_readfirstlane_b32 s23, v2
	s_cmpk_gt_u32 s23, 0x33f
	s_cselect_b32 s23, -1, 0
	s_cmp_eq_u32 s0, 0
	s_cselect_b32 s0, s23, -1
	s_cmp_lg_u32 s0, 0
	s_cselect_b32 s0, s20, s4
	s_cselect_b32 s4, s21, s5
	v_readfirstlane_b32 s5, v1
	s_cmpk_gt_u32 s5, 0x33f
	s_cselect_b32 s5, -1, 0
	s_cmp_eq_u32 s22, 0
	s_cselect_b32 s5, s5, -1
	s_cmp_lg_u32 s5, 0
	s_cselect_b32 s3, s4, s3
	s_cselect_b32 s4, s0, s1
	s_mul_i32 s0, s3, 0x340
	s_mul_hi_u32 s1, s4, 0x340
	s_add_i32 s1, s1, s0
	s_mul_i32 s0, s4, 0x340
	s_sub_u32 s0, s10, s0
	s_subb_u32 s1, s11, s1
	s_cmp_lg_u64 s[0:1], 0
	s_cselect_b64 s[0:1], -1, 0
	v_cndmask_b32_e64 v1, 0, 1, s[0:1]
	s_mul_i32 s6, s2, 0x340
	v_readfirstlane_b32 s0, v1
	s_add_u32 s4, s4, s0
	s_addc_u32 s5, s3, 0
	s_add_u32 s22, s18, s2
	s_addc_u32 s23, s19, 0
	s_add_u32 s2, s4, -1
	s_addc_u32 s3, s5, -1
	v_mov_b64_e32 v[2:3], s[2:3]
	v_cmp_ge_u64_e64 s[0:1], s[22:23], v[2:3]
	s_mov_b32 s7, 0
	s_mov_b64 s[18:19], -1
	s_and_b64 vcc, exec, s[0:1]
	s_mul_i32 s11, s2, 0xfffffcc0
	s_cbranch_vccz .LBB1528_28
; %bb.1:
	s_add_i32 s26, s11, s10
	s_lshl_b64 s[18:19], s[6:7], 3
	s_add_u32 s18, s24, s18
	s_addc_u32 s19, s25, s19
	v_cmp_gt_u32_e32 vcc, s26, v0
                                        ; implicit-def: $vgpr2_vgpr3_vgpr4_vgpr5_vgpr6_vgpr7_vgpr8_vgpr9_vgpr10_vgpr11_vgpr12_vgpr13_vgpr14_vgpr15_vgpr16_vgpr17_vgpr18_vgpr19_vgpr20_vgpr21_vgpr22_vgpr23_vgpr24_vgpr25_vgpr26_vgpr27_vgpr28_vgpr29_vgpr30_vgpr31_vgpr32_vgpr33
	s_and_saveexec_b64 s[20:21], vcc
	s_cbranch_execz .LBB1528_3
; %bb.2:
	v_lshlrev_b32_e32 v1, 3, v0
	global_load_dwordx2 v[2:3], v1, s[18:19]
.LBB1528_3:
	s_or_b64 exec, exec, s[20:21]
	v_or_b32_e32 v1, 64, v0
	v_cmp_gt_u32_e32 vcc, s26, v1
	s_and_saveexec_b64 s[20:21], vcc
	s_cbranch_execz .LBB1528_5
; %bb.4:
	v_lshlrev_b32_e32 v1, 3, v0
	global_load_dwordx2 v[4:5], v1, s[18:19] offset:512
.LBB1528_5:
	s_or_b64 exec, exec, s[20:21]
	v_or_b32_e32 v1, 0x80, v0
	v_cmp_gt_u32_e32 vcc, s26, v1
	s_and_saveexec_b64 s[20:21], vcc
	s_cbranch_execz .LBB1528_7
; %bb.6:
	v_lshlrev_b32_e32 v1, 3, v0
	global_load_dwordx2 v[6:7], v1, s[18:19] offset:1024
.LBB1528_7:
	;; [unrolled: 9-line block ×7, first 2 shown]
	s_or_b64 exec, exec, s[20:21]
	v_or_b32_e32 v1, 0x200, v0
	v_cmp_gt_u32_e32 vcc, s26, v1
	s_and_saveexec_b64 s[20:21], vcc
	s_cbranch_execz .LBB1528_19
; %bb.18:
	v_lshlrev_b32_e32 v1, 3, v1
	global_load_dwordx2 v[18:19], v1, s[18:19]
.LBB1528_19:
	s_or_b64 exec, exec, s[20:21]
	v_or_b32_e32 v1, 0x240, v0
	v_cmp_gt_u32_e32 vcc, s26, v1
	s_and_saveexec_b64 s[20:21], vcc
	s_cbranch_execz .LBB1528_21
; %bb.20:
	v_lshlrev_b32_e32 v1, 3, v1
	global_load_dwordx2 v[20:21], v1, s[18:19]
.LBB1528_21:
	;; [unrolled: 9-line block ×5, first 2 shown]
	s_or_b64 exec, exec, s[20:21]
	v_lshlrev_b32_e32 v1, 3, v0
	s_mov_b64 s[18:19], 0
	s_waitcnt vmcnt(0)
	ds_write2st64_b64 v1, v[2:3], v[4:5] offset1:1
	ds_write2st64_b64 v1, v[6:7], v[8:9] offset0:2 offset1:3
	ds_write2st64_b64 v1, v[10:11], v[12:13] offset0:4 offset1:5
	;; [unrolled: 1-line block ×5, first 2 shown]
	ds_write_b64 v1, v[26:27] offset:6144
	s_waitcnt lgkmcnt(0)
	; wave barrier
.LBB1528_28:
	s_and_b64 vcc, exec, s[18:19]
	v_lshlrev_b32_e32 v48, 3, v0
	s_cbranch_vccz .LBB1528_30
; %bb.29:
	s_lshl_b64 s[18:19], s[6:7], 3
	s_add_u32 s18, s24, s18
	s_addc_u32 s19, s25, s19
	v_mov_b32_e32 v49, 0
	v_lshl_add_u64 v[2:3], s[18:19], 0, v[48:49]
	s_movk_i32 s7, 0x1000
	v_add_co_u32_e32 v2, vcc, s7, v2
	global_load_dwordx2 v[4:5], v48, s[18:19]
	global_load_dwordx2 v[6:7], v48, s[18:19] offset:512
	global_load_dwordx2 v[8:9], v48, s[18:19] offset:1024
	;; [unrolled: 1-line block ×7, first 2 shown]
	v_addc_co_u32_e32 v3, vcc, 0, v3, vcc
	global_load_dwordx2 v[20:21], v[2:3], off
	global_load_dwordx2 v[22:23], v[2:3], off offset:512
	global_load_dwordx2 v[24:25], v[2:3], off offset:1024
	;; [unrolled: 1-line block ×4, first 2 shown]
	s_waitcnt vmcnt(11)
	ds_write2st64_b64 v48, v[4:5], v[6:7] offset1:1
	s_waitcnt vmcnt(9)
	ds_write2st64_b64 v48, v[8:9], v[10:11] offset0:2 offset1:3
	s_waitcnt vmcnt(7)
	ds_write2st64_b64 v48, v[12:13], v[14:15] offset0:4 offset1:5
	;; [unrolled: 2-line block ×5, first 2 shown]
	s_waitcnt vmcnt(0)
	ds_write_b64 v48, v[28:29] offset:6144
	s_waitcnt lgkmcnt(0)
	; wave barrier
.LBB1528_30:
	v_mul_u32_u24_e32 v1, 13, v0
	v_lshlrev_b32_e32 v1, 3, v1
	s_waitcnt lgkmcnt(0)
	ds_read2_b64 v[2:5], v1 offset1:1
	ds_read2_b64 v[6:9], v1 offset0:2 offset1:3
	ds_read2_b64 v[10:13], v1 offset0:4 offset1:5
	;; [unrolled: 1-line block ×5, first 2 shown]
	ds_read_b64 v[44:45], v1 offset:96
	s_cmp_eq_u64 s[22:23], 0
	s_mov_b64 s[18:19], 0
	s_waitcnt lgkmcnt(0)
	; wave barrier
	s_waitcnt lgkmcnt(0)
	s_cbranch_scc1 .LBB1528_39
; %bb.31:
	s_mov_b32 s7, 0
	s_lshl_b64 s[20:21], s[6:7], 3
	s_add_u32 s7, s24, s20
	s_addc_u32 s21, s25, s21
	s_add_u32 s20, s7, -8
	s_addc_u32 s21, s21, -1
	s_load_dwordx2 s[20:21], s[20:21], 0x0
	s_cmp_lg_u64 s[22:23], s[2:3]
	s_cbranch_scc0 .LBB1528_40
; %bb.32:
	v_mul_lo_u32 v1, v25, s12
	v_mul_lo_u32 v28, v24, s13
	v_mad_u64_u32 v[26:27], s[24:25], v24, s12, 0
	v_mov_b64_e32 v[46:47], 0
	v_cmp_lt_i64_e64 s[2:3], s[12:13], 1
	v_add3_u32 v27, v27, v28, v1
	v_cmp_gt_i64_e64 s[18:19], s[12:13], 0
	s_and_b64 vcc, exec, s[2:3]
	v_lshl_add_u64 v[26:27], v[26:27], 2, s[14:15]
	v_mov_b64_e32 v[50:51], v[46:47]
	ds_write_b64 v48, v[44:45]
	s_cbranch_vccnz .LBB1528_44
; %bb.33:
	v_mul_lo_u32 v1, v45, s12
	v_mul_lo_u32 v30, v44, s13
	v_mad_u64_u32 v[28:29], s[2:3], v44, s12, 0
	v_add3_u32 v29, v29, v30, v1
	v_lshl_add_u64 v[30:31], v[28:29], 2, s[14:15]
	global_load_dword v1, v[30:31], off
	global_load_dword v28, v[26:27], off
	v_mov_b64_e32 v[50:51], 1
	s_waitcnt vmcnt(0)
	v_cmp_eq_u32_e32 vcc, v1, v28
	s_and_saveexec_b64 s[2:3], vcc
	s_cbranch_execz .LBB1528_43
; %bb.34:
	s_add_u32 s24, s12, -1
	v_lshl_add_u64 v[28:29], v[26:27], 0, 4
	v_lshl_add_u64 v[30:31], v[30:31], 0, 4
	s_addc_u32 s25, s13, -1
	s_mov_b64 s[26:27], 0
	s_mov_b64 s[30:31], 0
                                        ; implicit-def: $sgpr28_sgpr29
	s_branch .LBB1528_37
.LBB1528_35:                            ;   in Loop: Header=BB1528_37 Depth=1
	global_load_dword v1, v[30:31], off
	global_load_dword v32, v[28:29], off
	s_add_u32 s30, s30, 1
	s_addc_u32 s31, s31, 0
	s_andn2_b64 s[28:29], s[28:29], exec
	v_lshl_add_u64 v[28:29], v[28:29], 0, 4
	v_lshl_add_u64 v[30:31], v[30:31], 0, 4
	s_waitcnt vmcnt(0)
	v_cmp_ne_u32_e32 vcc, v1, v32
	s_and_b64 s[34:35], vcc, exec
	s_or_b64 s[28:29], s[28:29], s[34:35]
.LBB1528_36:                            ;   in Loop: Header=BB1528_37 Depth=1
	s_and_b64 s[34:35], exec, s[28:29]
	s_or_b64 s[26:27], s[34:35], s[26:27]
	v_mov_b64_e32 v[32:33], s[30:31]
	s_andn2_b64 exec, exec, s[26:27]
	s_cbranch_execz .LBB1528_42
.LBB1528_37:                            ; =>This Inner Loop Header: Depth=1
	s_or_b64 s[28:29], s[28:29], exec
	s_cmp_eq_u64 s[24:25], s[30:31]
	s_cbranch_scc0 .LBB1528_35
; %bb.38:                               ;   in Loop: Header=BB1528_37 Depth=1
                                        ; implicit-def: $vgpr28_vgpr29
                                        ; implicit-def: $vgpr30_vgpr31
	s_mov_b64 s[30:31], s[12:13]
	s_branch .LBB1528_36
.LBB1528_39:
                                        ; implicit-def: $vgpr26_vgpr27_vgpr28_vgpr29
                                        ; implicit-def: $sgpr24_sgpr25
                                        ; implicit-def: $vgpr50_vgpr51
                                        ; implicit-def: $vgpr52_vgpr53
                                        ; implicit-def: $vgpr46_vgpr47
                                        ; implicit-def: $vgpr70_vgpr71
                                        ; implicit-def: $vgpr68_vgpr69
                                        ; implicit-def: $vgpr66_vgpr67
                                        ; implicit-def: $vgpr64_vgpr65
                                        ; implicit-def: $vgpr62_vgpr63
                                        ; implicit-def: $vgpr60_vgpr61
                                        ; implicit-def: $vgpr58_vgpr59
                                        ; implicit-def: $vgpr56_vgpr57
                                        ; implicit-def: $vgpr54_vgpr55
                                        ; implicit-def: $vgpr72_vgpr73
                                        ; implicit-def: $vgpr82_vgpr83
                                        ; implicit-def: $vgpr74_vgpr75
                                        ; implicit-def: $vgpr76_vgpr77
                                        ; implicit-def: $vgpr78_vgpr79
                                        ; implicit-def: $vgpr80_vgpr81
                                        ; implicit-def: $vgpr28_vgpr29_vgpr30_vgpr31
                                        ; implicit-def: $vgpr32_vgpr33_vgpr34_vgpr35
                                        ; implicit-def: $vgpr36_vgpr37_vgpr38_vgpr39
                                        ; implicit-def: $vgpr40_vgpr41_vgpr42_vgpr43
	s_cbranch_execnz .LBB1528_303
	s_branch .LBB1528_572
.LBB1528_40:
                                        ; implicit-def: $sgpr24_sgpr25
                                        ; implicit-def: $vgpr50_vgpr51
                                        ; implicit-def: $vgpr52_vgpr53
                                        ; implicit-def: $vgpr46_vgpr47
                                        ; implicit-def: $vgpr70_vgpr71
                                        ; implicit-def: $vgpr68_vgpr69
                                        ; implicit-def: $vgpr66_vgpr67
                                        ; implicit-def: $vgpr64_vgpr65
                                        ; implicit-def: $vgpr62_vgpr63
                                        ; implicit-def: $vgpr60_vgpr61
                                        ; implicit-def: $vgpr58_vgpr59
                                        ; implicit-def: $vgpr56_vgpr57
                                        ; implicit-def: $vgpr54_vgpr55
	s_cbranch_execnz .LBB1528_156
.LBB1528_41:
                                        ; implicit-def: $vgpr26_vgpr27_vgpr28_vgpr29
                                        ; implicit-def: $vgpr72_vgpr73
                                        ; implicit-def: $vgpr82_vgpr83
                                        ; implicit-def: $vgpr74_vgpr75
                                        ; implicit-def: $vgpr76_vgpr77
                                        ; implicit-def: $vgpr78_vgpr79
                                        ; implicit-def: $vgpr80_vgpr81
                                        ; implicit-def: $vgpr32_vgpr33_vgpr34_vgpr35
                                        ; implicit-def: $vgpr36_vgpr37_vgpr38_vgpr39
                                        ; implicit-def: $vgpr40_vgpr41_vgpr42_vgpr43
                                        ; implicit-def: $vgpr28_vgpr29_vgpr30_vgpr31
	s_branch .LBB1528_572
.LBB1528_42:
	s_or_b64 exec, exec, s[26:27]
	v_cmp_gt_i64_e32 vcc, s[12:13], v[32:33]
	s_mov_b32 s7, 0
	v_mov_b32_e32 v51, s7
	v_cndmask_b32_e64 v50, 0, 1, vcc
.LBB1528_43:
	s_or_b64 exec, exec, s[2:3]
.LBB1528_44:
	v_mul_lo_u32 v1, v23, s12
	v_mul_lo_u32 v30, v22, s13
	v_mad_u64_u32 v[28:29], s[2:3], v22, s12, 0
	v_add3_u32 v29, v29, v30, v1
	v_cndmask_b32_e64 v1, 0, 1, s[18:19]
	v_cmp_ne_u32_e64 s[2:3], 1, v1
	s_andn2_b64 vcc, exec, s[18:19]
	v_lshl_add_u64 v[28:29], v[28:29], 2, s[14:15]
	v_mov_b64_e32 v[52:53], v[46:47]
	s_cbranch_vccnz .LBB1528_53
; %bb.45:
	global_load_dword v1, v[26:27], off
	global_load_dword v30, v[28:29], off
	v_mov_b64_e32 v[52:53], 1
	s_waitcnt vmcnt(0)
	v_cmp_eq_u32_e32 vcc, v1, v30
	s_and_saveexec_b64 s[18:19], vcc
	s_cbranch_execz .LBB1528_52
; %bb.46:
	s_add_u32 s24, s12, -1
	v_lshl_add_u64 v[30:31], v[28:29], 0, 4
	v_lshl_add_u64 v[26:27], v[26:27], 0, 4
	s_addc_u32 s25, s13, -1
	s_mov_b64 s[26:27], 0
	s_mov_b64 s[30:31], 0
                                        ; implicit-def: $sgpr28_sgpr29
	s_branch .LBB1528_49
.LBB1528_47:                            ;   in Loop: Header=BB1528_49 Depth=1
	global_load_dword v1, v[26:27], off
	global_load_dword v32, v[30:31], off
	s_add_u32 s30, s30, 1
	s_addc_u32 s31, s31, 0
	s_andn2_b64 s[28:29], s[28:29], exec
	v_lshl_add_u64 v[30:31], v[30:31], 0, 4
	v_lshl_add_u64 v[26:27], v[26:27], 0, 4
	s_waitcnt vmcnt(0)
	v_cmp_ne_u32_e32 vcc, v1, v32
	s_and_b64 s[34:35], vcc, exec
	s_or_b64 s[28:29], s[28:29], s[34:35]
.LBB1528_48:                            ;   in Loop: Header=BB1528_49 Depth=1
	s_and_b64 s[34:35], exec, s[28:29]
	s_or_b64 s[26:27], s[34:35], s[26:27]
	v_mov_b64_e32 v[32:33], s[30:31]
	s_andn2_b64 exec, exec, s[26:27]
	s_cbranch_execz .LBB1528_51
.LBB1528_49:                            ; =>This Inner Loop Header: Depth=1
	s_or_b64 s[28:29], s[28:29], exec
	s_cmp_eq_u64 s[24:25], s[30:31]
	s_cbranch_scc0 .LBB1528_47
; %bb.50:                               ;   in Loop: Header=BB1528_49 Depth=1
                                        ; implicit-def: $vgpr30_vgpr31
                                        ; implicit-def: $vgpr26_vgpr27
	s_mov_b64 s[30:31], s[12:13]
	s_branch .LBB1528_48
.LBB1528_51:
	s_or_b64 exec, exec, s[26:27]
	v_cmp_gt_i64_e32 vcc, s[12:13], v[32:33]
	s_mov_b32 s7, 0
	v_mov_b32_e32 v53, s7
	v_cndmask_b32_e64 v52, 0, 1, vcc
.LBB1528_52:
	s_or_b64 exec, exec, s[18:19]
.LBB1528_53:
	v_mul_lo_u32 v1, v21, s12
	v_mul_lo_u32 v30, v20, s13
	v_mad_u64_u32 v[26:27], s[18:19], v20, s12, 0
	v_add3_u32 v27, v27, v30, v1
	s_and_b64 vcc, exec, s[2:3]
	v_lshl_add_u64 v[26:27], v[26:27], 2, s[14:15]
	s_cbranch_vccnz .LBB1528_62
; %bb.54:
	global_load_dword v1, v[28:29], off
	global_load_dword v30, v[26:27], off
	v_mov_b64_e32 v[46:47], 1
	s_waitcnt vmcnt(0)
	v_cmp_eq_u32_e32 vcc, v1, v30
	s_and_saveexec_b64 s[18:19], vcc
	s_cbranch_execz .LBB1528_61
; %bb.55:
	s_add_u32 s24, s12, -1
	v_lshl_add_u64 v[30:31], v[26:27], 0, 4
	v_lshl_add_u64 v[28:29], v[28:29], 0, 4
	s_addc_u32 s25, s13, -1
	s_mov_b64 s[26:27], 0
	s_mov_b64 s[30:31], 0
                                        ; implicit-def: $sgpr28_sgpr29
	s_branch .LBB1528_58
.LBB1528_56:                            ;   in Loop: Header=BB1528_58 Depth=1
	global_load_dword v1, v[28:29], off
	global_load_dword v32, v[30:31], off
	s_add_u32 s30, s30, 1
	s_addc_u32 s31, s31, 0
	s_andn2_b64 s[28:29], s[28:29], exec
	v_lshl_add_u64 v[30:31], v[30:31], 0, 4
	v_lshl_add_u64 v[28:29], v[28:29], 0, 4
	s_waitcnt vmcnt(0)
	v_cmp_ne_u32_e32 vcc, v1, v32
	s_and_b64 s[34:35], vcc, exec
	s_or_b64 s[28:29], s[28:29], s[34:35]
.LBB1528_57:                            ;   in Loop: Header=BB1528_58 Depth=1
	s_and_b64 s[34:35], exec, s[28:29]
	s_or_b64 s[26:27], s[34:35], s[26:27]
	v_mov_b64_e32 v[32:33], s[30:31]
	s_andn2_b64 exec, exec, s[26:27]
	s_cbranch_execz .LBB1528_60
.LBB1528_58:                            ; =>This Inner Loop Header: Depth=1
	s_or_b64 s[28:29], s[28:29], exec
	s_cmp_eq_u64 s[24:25], s[30:31]
	s_cbranch_scc0 .LBB1528_56
; %bb.59:                               ;   in Loop: Header=BB1528_58 Depth=1
                                        ; implicit-def: $vgpr30_vgpr31
                                        ; implicit-def: $vgpr28_vgpr29
	s_mov_b64 s[30:31], s[12:13]
	s_branch .LBB1528_57
.LBB1528_60:
	s_or_b64 exec, exec, s[26:27]
	v_cmp_gt_i64_e32 vcc, s[12:13], v[32:33]
	s_mov_b32 s7, 0
	v_mov_b32_e32 v47, s7
	v_cndmask_b32_e64 v46, 0, 1, vcc
.LBB1528_61:
	s_or_b64 exec, exec, s[18:19]
.LBB1528_62:
	v_mul_lo_u32 v1, v19, s12
	v_mul_lo_u32 v30, v18, s13
	v_mad_u64_u32 v[28:29], s[18:19], v18, s12, 0
	v_add3_u32 v29, v29, v30, v1
	v_mov_b64_e32 v[56:57], 0
	s_and_b64 vcc, exec, s[2:3]
	v_lshl_add_u64 v[28:29], v[28:29], 2, s[14:15]
	v_mov_b64_e32 v[54:55], v[56:57]
	s_cbranch_vccnz .LBB1528_71
; %bb.63:
	global_load_dword v1, v[26:27], off
	global_load_dword v30, v[28:29], off
	v_mov_b64_e32 v[54:55], 1
	s_waitcnt vmcnt(0)
	v_cmp_eq_u32_e32 vcc, v1, v30
	s_and_saveexec_b64 s[18:19], vcc
	s_cbranch_execz .LBB1528_70
; %bb.64:
	s_add_u32 s24, s12, -1
	v_lshl_add_u64 v[30:31], v[28:29], 0, 4
	v_lshl_add_u64 v[26:27], v[26:27], 0, 4
	s_addc_u32 s25, s13, -1
	s_mov_b64 s[26:27], 0
	s_mov_b64 s[30:31], 0
                                        ; implicit-def: $sgpr28_sgpr29
	s_branch .LBB1528_67
.LBB1528_65:                            ;   in Loop: Header=BB1528_67 Depth=1
	global_load_dword v1, v[26:27], off
	global_load_dword v32, v[30:31], off
	s_add_u32 s30, s30, 1
	s_addc_u32 s31, s31, 0
	s_andn2_b64 s[28:29], s[28:29], exec
	v_lshl_add_u64 v[30:31], v[30:31], 0, 4
	v_lshl_add_u64 v[26:27], v[26:27], 0, 4
	s_waitcnt vmcnt(0)
	v_cmp_ne_u32_e32 vcc, v1, v32
	s_and_b64 s[34:35], vcc, exec
	s_or_b64 s[28:29], s[28:29], s[34:35]
.LBB1528_66:                            ;   in Loop: Header=BB1528_67 Depth=1
	s_and_b64 s[34:35], exec, s[28:29]
	s_or_b64 s[26:27], s[34:35], s[26:27]
	v_mov_b64_e32 v[32:33], s[30:31]
	s_andn2_b64 exec, exec, s[26:27]
	s_cbranch_execz .LBB1528_69
.LBB1528_67:                            ; =>This Inner Loop Header: Depth=1
	s_or_b64 s[28:29], s[28:29], exec
	s_cmp_eq_u64 s[24:25], s[30:31]
	s_cbranch_scc0 .LBB1528_65
; %bb.68:                               ;   in Loop: Header=BB1528_67 Depth=1
                                        ; implicit-def: $vgpr30_vgpr31
                                        ; implicit-def: $vgpr26_vgpr27
	s_mov_b64 s[30:31], s[12:13]
	s_branch .LBB1528_66
.LBB1528_69:
	s_or_b64 exec, exec, s[26:27]
	v_cmp_gt_i64_e32 vcc, s[12:13], v[32:33]
	s_mov_b32 s7, 0
	v_mov_b32_e32 v55, s7
	v_cndmask_b32_e64 v54, 0, 1, vcc
.LBB1528_70:
	s_or_b64 exec, exec, s[18:19]
.LBB1528_71:
	v_mul_lo_u32 v1, v17, s12
	v_mul_lo_u32 v30, v16, s13
	v_mad_u64_u32 v[26:27], s[18:19], v16, s12, 0
	v_add3_u32 v27, v27, v30, v1
	s_and_b64 vcc, exec, s[2:3]
	v_lshl_add_u64 v[26:27], v[26:27], 2, s[14:15]
	s_cbranch_vccnz .LBB1528_80
; %bb.72:
	global_load_dword v1, v[28:29], off
	global_load_dword v30, v[26:27], off
	v_mov_b64_e32 v[56:57], 1
	s_waitcnt vmcnt(0)
	v_cmp_eq_u32_e32 vcc, v1, v30
	s_and_saveexec_b64 s[18:19], vcc
	s_cbranch_execz .LBB1528_79
; %bb.73:
	s_add_u32 s24, s12, -1
	v_lshl_add_u64 v[30:31], v[26:27], 0, 4
	v_lshl_add_u64 v[28:29], v[28:29], 0, 4
	s_addc_u32 s25, s13, -1
	s_mov_b64 s[26:27], 0
	s_mov_b64 s[30:31], 0
                                        ; implicit-def: $sgpr28_sgpr29
	s_branch .LBB1528_76
.LBB1528_74:                            ;   in Loop: Header=BB1528_76 Depth=1
	global_load_dword v1, v[28:29], off
	global_load_dword v32, v[30:31], off
	s_add_u32 s30, s30, 1
	s_addc_u32 s31, s31, 0
	s_andn2_b64 s[28:29], s[28:29], exec
	v_lshl_add_u64 v[30:31], v[30:31], 0, 4
	v_lshl_add_u64 v[28:29], v[28:29], 0, 4
	s_waitcnt vmcnt(0)
	v_cmp_ne_u32_e32 vcc, v1, v32
	s_and_b64 s[34:35], vcc, exec
	s_or_b64 s[28:29], s[28:29], s[34:35]
.LBB1528_75:                            ;   in Loop: Header=BB1528_76 Depth=1
	s_and_b64 s[34:35], exec, s[28:29]
	s_or_b64 s[26:27], s[34:35], s[26:27]
	v_mov_b64_e32 v[32:33], s[30:31]
	s_andn2_b64 exec, exec, s[26:27]
	s_cbranch_execz .LBB1528_78
.LBB1528_76:                            ; =>This Inner Loop Header: Depth=1
	s_or_b64 s[28:29], s[28:29], exec
	s_cmp_eq_u64 s[24:25], s[30:31]
	s_cbranch_scc0 .LBB1528_74
; %bb.77:                               ;   in Loop: Header=BB1528_76 Depth=1
                                        ; implicit-def: $vgpr30_vgpr31
                                        ; implicit-def: $vgpr28_vgpr29
	s_mov_b64 s[30:31], s[12:13]
	s_branch .LBB1528_75
.LBB1528_78:
	s_or_b64 exec, exec, s[26:27]
	v_cmp_gt_i64_e32 vcc, s[12:13], v[32:33]
	s_mov_b32 s7, 0
	v_mov_b32_e32 v57, s7
	v_cndmask_b32_e64 v56, 0, 1, vcc
.LBB1528_79:
	s_or_b64 exec, exec, s[18:19]
.LBB1528_80:
	v_mul_lo_u32 v1, v15, s12
	v_mul_lo_u32 v30, v14, s13
	v_mad_u64_u32 v[28:29], s[18:19], v14, s12, 0
	v_add3_u32 v29, v29, v30, v1
	v_mov_b64_e32 v[60:61], 0
	s_and_b64 vcc, exec, s[2:3]
	v_lshl_add_u64 v[28:29], v[28:29], 2, s[14:15]
	v_mov_b64_e32 v[58:59], v[60:61]
	s_cbranch_vccnz .LBB1528_89
; %bb.81:
	global_load_dword v1, v[26:27], off
	global_load_dword v30, v[28:29], off
	v_mov_b64_e32 v[58:59], 1
	s_waitcnt vmcnt(0)
	v_cmp_eq_u32_e32 vcc, v1, v30
	s_and_saveexec_b64 s[18:19], vcc
	s_cbranch_execz .LBB1528_88
; %bb.82:
	s_add_u32 s24, s12, -1
	v_lshl_add_u64 v[30:31], v[28:29], 0, 4
	v_lshl_add_u64 v[26:27], v[26:27], 0, 4
	s_addc_u32 s25, s13, -1
	s_mov_b64 s[26:27], 0
	s_mov_b64 s[30:31], 0
                                        ; implicit-def: $sgpr28_sgpr29
	s_branch .LBB1528_85
.LBB1528_83:                            ;   in Loop: Header=BB1528_85 Depth=1
	global_load_dword v1, v[26:27], off
	global_load_dword v32, v[30:31], off
	s_add_u32 s30, s30, 1
	s_addc_u32 s31, s31, 0
	s_andn2_b64 s[28:29], s[28:29], exec
	v_lshl_add_u64 v[30:31], v[30:31], 0, 4
	v_lshl_add_u64 v[26:27], v[26:27], 0, 4
	s_waitcnt vmcnt(0)
	v_cmp_ne_u32_e32 vcc, v1, v32
	s_and_b64 s[34:35], vcc, exec
	s_or_b64 s[28:29], s[28:29], s[34:35]
.LBB1528_84:                            ;   in Loop: Header=BB1528_85 Depth=1
	s_and_b64 s[34:35], exec, s[28:29]
	s_or_b64 s[26:27], s[34:35], s[26:27]
	v_mov_b64_e32 v[32:33], s[30:31]
	s_andn2_b64 exec, exec, s[26:27]
	s_cbranch_execz .LBB1528_87
.LBB1528_85:                            ; =>This Inner Loop Header: Depth=1
	s_or_b64 s[28:29], s[28:29], exec
	s_cmp_eq_u64 s[24:25], s[30:31]
	s_cbranch_scc0 .LBB1528_83
; %bb.86:                               ;   in Loop: Header=BB1528_85 Depth=1
                                        ; implicit-def: $vgpr30_vgpr31
                                        ; implicit-def: $vgpr26_vgpr27
	s_mov_b64 s[30:31], s[12:13]
	s_branch .LBB1528_84
.LBB1528_87:
	s_or_b64 exec, exec, s[26:27]
	v_cmp_gt_i64_e32 vcc, s[12:13], v[32:33]
	s_mov_b32 s7, 0
	v_mov_b32_e32 v59, s7
	v_cndmask_b32_e64 v58, 0, 1, vcc
.LBB1528_88:
	s_or_b64 exec, exec, s[18:19]
.LBB1528_89:
	v_mul_lo_u32 v1, v13, s12
	v_mul_lo_u32 v30, v12, s13
	v_mad_u64_u32 v[26:27], s[18:19], v12, s12, 0
	v_add3_u32 v27, v27, v30, v1
	s_and_b64 vcc, exec, s[2:3]
	v_lshl_add_u64 v[26:27], v[26:27], 2, s[14:15]
	s_cbranch_vccnz .LBB1528_98
; %bb.90:
	global_load_dword v1, v[28:29], off
	global_load_dword v30, v[26:27], off
	v_mov_b64_e32 v[60:61], 1
	s_waitcnt vmcnt(0)
	v_cmp_eq_u32_e32 vcc, v1, v30
	s_and_saveexec_b64 s[18:19], vcc
	s_cbranch_execz .LBB1528_97
; %bb.91:
	s_add_u32 s24, s12, -1
	v_lshl_add_u64 v[30:31], v[26:27], 0, 4
	v_lshl_add_u64 v[28:29], v[28:29], 0, 4
	s_addc_u32 s25, s13, -1
	s_mov_b64 s[26:27], 0
	s_mov_b64 s[30:31], 0
                                        ; implicit-def: $sgpr28_sgpr29
	s_branch .LBB1528_94
.LBB1528_92:                            ;   in Loop: Header=BB1528_94 Depth=1
	global_load_dword v1, v[28:29], off
	global_load_dword v32, v[30:31], off
	s_add_u32 s30, s30, 1
	s_addc_u32 s31, s31, 0
	s_andn2_b64 s[28:29], s[28:29], exec
	v_lshl_add_u64 v[30:31], v[30:31], 0, 4
	v_lshl_add_u64 v[28:29], v[28:29], 0, 4
	s_waitcnt vmcnt(0)
	v_cmp_ne_u32_e32 vcc, v1, v32
	s_and_b64 s[34:35], vcc, exec
	s_or_b64 s[28:29], s[28:29], s[34:35]
.LBB1528_93:                            ;   in Loop: Header=BB1528_94 Depth=1
	s_and_b64 s[34:35], exec, s[28:29]
	s_or_b64 s[26:27], s[34:35], s[26:27]
	v_mov_b64_e32 v[32:33], s[30:31]
	s_andn2_b64 exec, exec, s[26:27]
	s_cbranch_execz .LBB1528_96
.LBB1528_94:                            ; =>This Inner Loop Header: Depth=1
	s_or_b64 s[28:29], s[28:29], exec
	s_cmp_eq_u64 s[24:25], s[30:31]
	s_cbranch_scc0 .LBB1528_92
; %bb.95:                               ;   in Loop: Header=BB1528_94 Depth=1
                                        ; implicit-def: $vgpr30_vgpr31
                                        ; implicit-def: $vgpr28_vgpr29
	s_mov_b64 s[30:31], s[12:13]
	s_branch .LBB1528_93
.LBB1528_96:
	s_or_b64 exec, exec, s[26:27]
	v_cmp_gt_i64_e32 vcc, s[12:13], v[32:33]
	s_mov_b32 s7, 0
	v_mov_b32_e32 v61, s7
	v_cndmask_b32_e64 v60, 0, 1, vcc
.LBB1528_97:
	s_or_b64 exec, exec, s[18:19]
.LBB1528_98:
	v_mul_lo_u32 v1, v11, s12
	v_mul_lo_u32 v30, v10, s13
	v_mad_u64_u32 v[28:29], s[18:19], v10, s12, 0
	v_add3_u32 v29, v29, v30, v1
	v_mov_b64_e32 v[64:65], 0
	s_and_b64 vcc, exec, s[2:3]
	v_lshl_add_u64 v[28:29], v[28:29], 2, s[14:15]
	v_mov_b64_e32 v[62:63], v[64:65]
	s_cbranch_vccnz .LBB1528_107
; %bb.99:
	global_load_dword v1, v[26:27], off
	global_load_dword v30, v[28:29], off
	v_mov_b64_e32 v[62:63], 1
	s_waitcnt vmcnt(0)
	v_cmp_eq_u32_e32 vcc, v1, v30
	s_and_saveexec_b64 s[18:19], vcc
	s_cbranch_execz .LBB1528_106
; %bb.100:
	s_add_u32 s24, s12, -1
	v_lshl_add_u64 v[30:31], v[28:29], 0, 4
	v_lshl_add_u64 v[26:27], v[26:27], 0, 4
	s_addc_u32 s25, s13, -1
	s_mov_b64 s[26:27], 0
	s_mov_b64 s[30:31], 0
                                        ; implicit-def: $sgpr28_sgpr29
	s_branch .LBB1528_103
.LBB1528_101:                           ;   in Loop: Header=BB1528_103 Depth=1
	global_load_dword v1, v[26:27], off
	global_load_dword v32, v[30:31], off
	s_add_u32 s30, s30, 1
	s_addc_u32 s31, s31, 0
	s_andn2_b64 s[28:29], s[28:29], exec
	v_lshl_add_u64 v[30:31], v[30:31], 0, 4
	v_lshl_add_u64 v[26:27], v[26:27], 0, 4
	s_waitcnt vmcnt(0)
	v_cmp_ne_u32_e32 vcc, v1, v32
	s_and_b64 s[34:35], vcc, exec
	s_or_b64 s[28:29], s[28:29], s[34:35]
.LBB1528_102:                           ;   in Loop: Header=BB1528_103 Depth=1
	s_and_b64 s[34:35], exec, s[28:29]
	s_or_b64 s[26:27], s[34:35], s[26:27]
	v_mov_b64_e32 v[32:33], s[30:31]
	s_andn2_b64 exec, exec, s[26:27]
	s_cbranch_execz .LBB1528_105
.LBB1528_103:                           ; =>This Inner Loop Header: Depth=1
	s_or_b64 s[28:29], s[28:29], exec
	s_cmp_eq_u64 s[24:25], s[30:31]
	s_cbranch_scc0 .LBB1528_101
; %bb.104:                              ;   in Loop: Header=BB1528_103 Depth=1
                                        ; implicit-def: $vgpr30_vgpr31
                                        ; implicit-def: $vgpr26_vgpr27
	s_mov_b64 s[30:31], s[12:13]
	s_branch .LBB1528_102
.LBB1528_105:
	s_or_b64 exec, exec, s[26:27]
	v_cmp_gt_i64_e32 vcc, s[12:13], v[32:33]
	s_mov_b32 s7, 0
	v_mov_b32_e32 v63, s7
	v_cndmask_b32_e64 v62, 0, 1, vcc
.LBB1528_106:
	s_or_b64 exec, exec, s[18:19]
.LBB1528_107:
	v_mul_lo_u32 v1, v9, s12
	v_mul_lo_u32 v30, v8, s13
	v_mad_u64_u32 v[26:27], s[18:19], v8, s12, 0
	v_add3_u32 v27, v27, v30, v1
	s_and_b64 vcc, exec, s[2:3]
	v_lshl_add_u64 v[26:27], v[26:27], 2, s[14:15]
	s_cbranch_vccnz .LBB1528_116
; %bb.108:
	global_load_dword v1, v[28:29], off
	global_load_dword v30, v[26:27], off
	v_mov_b64_e32 v[64:65], 1
	s_waitcnt vmcnt(0)
	v_cmp_eq_u32_e32 vcc, v1, v30
	s_and_saveexec_b64 s[18:19], vcc
	s_cbranch_execz .LBB1528_115
; %bb.109:
	s_add_u32 s24, s12, -1
	v_lshl_add_u64 v[30:31], v[26:27], 0, 4
	v_lshl_add_u64 v[28:29], v[28:29], 0, 4
	s_addc_u32 s25, s13, -1
	s_mov_b64 s[26:27], 0
	s_mov_b64 s[30:31], 0
                                        ; implicit-def: $sgpr28_sgpr29
	s_branch .LBB1528_112
.LBB1528_110:                           ;   in Loop: Header=BB1528_112 Depth=1
	global_load_dword v1, v[28:29], off
	global_load_dword v32, v[30:31], off
	s_add_u32 s30, s30, 1
	s_addc_u32 s31, s31, 0
	s_andn2_b64 s[28:29], s[28:29], exec
	v_lshl_add_u64 v[30:31], v[30:31], 0, 4
	v_lshl_add_u64 v[28:29], v[28:29], 0, 4
	s_waitcnt vmcnt(0)
	v_cmp_ne_u32_e32 vcc, v1, v32
	s_and_b64 s[34:35], vcc, exec
	s_or_b64 s[28:29], s[28:29], s[34:35]
.LBB1528_111:                           ;   in Loop: Header=BB1528_112 Depth=1
	s_and_b64 s[34:35], exec, s[28:29]
	s_or_b64 s[26:27], s[34:35], s[26:27]
	v_mov_b64_e32 v[32:33], s[30:31]
	s_andn2_b64 exec, exec, s[26:27]
	s_cbranch_execz .LBB1528_114
.LBB1528_112:                           ; =>This Inner Loop Header: Depth=1
	s_or_b64 s[28:29], s[28:29], exec
	s_cmp_eq_u64 s[24:25], s[30:31]
	s_cbranch_scc0 .LBB1528_110
; %bb.113:                              ;   in Loop: Header=BB1528_112 Depth=1
                                        ; implicit-def: $vgpr30_vgpr31
                                        ; implicit-def: $vgpr28_vgpr29
	s_mov_b64 s[30:31], s[12:13]
	s_branch .LBB1528_111
.LBB1528_114:
	s_or_b64 exec, exec, s[26:27]
	v_cmp_gt_i64_e32 vcc, s[12:13], v[32:33]
	s_mov_b32 s7, 0
	v_mov_b32_e32 v65, s7
	v_cndmask_b32_e64 v64, 0, 1, vcc
.LBB1528_115:
	s_or_b64 exec, exec, s[18:19]
.LBB1528_116:
	v_mul_lo_u32 v1, v7, s12
	v_mul_lo_u32 v30, v6, s13
	v_mad_u64_u32 v[28:29], s[18:19], v6, s12, 0
	v_add3_u32 v29, v29, v30, v1
	v_mov_b64_e32 v[68:69], 0
	s_and_b64 vcc, exec, s[2:3]
	v_lshl_add_u64 v[28:29], v[28:29], 2, s[14:15]
	v_mov_b64_e32 v[66:67], v[68:69]
	s_cbranch_vccnz .LBB1528_125
; %bb.117:
	global_load_dword v1, v[26:27], off
	global_load_dword v30, v[28:29], off
	v_mov_b64_e32 v[66:67], 1
	s_waitcnt vmcnt(0)
	v_cmp_eq_u32_e32 vcc, v1, v30
	s_and_saveexec_b64 s[18:19], vcc
	s_cbranch_execz .LBB1528_124
; %bb.118:
	s_add_u32 s24, s12, -1
	v_lshl_add_u64 v[30:31], v[28:29], 0, 4
	v_lshl_add_u64 v[26:27], v[26:27], 0, 4
	s_addc_u32 s25, s13, -1
	s_mov_b64 s[26:27], 0
	s_mov_b64 s[30:31], 0
                                        ; implicit-def: $sgpr28_sgpr29
	s_branch .LBB1528_121
.LBB1528_119:                           ;   in Loop: Header=BB1528_121 Depth=1
	global_load_dword v1, v[26:27], off
	global_load_dword v32, v[30:31], off
	s_add_u32 s30, s30, 1
	s_addc_u32 s31, s31, 0
	s_andn2_b64 s[28:29], s[28:29], exec
	v_lshl_add_u64 v[30:31], v[30:31], 0, 4
	v_lshl_add_u64 v[26:27], v[26:27], 0, 4
	s_waitcnt vmcnt(0)
	v_cmp_ne_u32_e32 vcc, v1, v32
	s_and_b64 s[34:35], vcc, exec
	s_or_b64 s[28:29], s[28:29], s[34:35]
.LBB1528_120:                           ;   in Loop: Header=BB1528_121 Depth=1
	s_and_b64 s[34:35], exec, s[28:29]
	s_or_b64 s[26:27], s[34:35], s[26:27]
	v_mov_b64_e32 v[32:33], s[30:31]
	s_andn2_b64 exec, exec, s[26:27]
	s_cbranch_execz .LBB1528_123
.LBB1528_121:                           ; =>This Inner Loop Header: Depth=1
	s_or_b64 s[28:29], s[28:29], exec
	s_cmp_eq_u64 s[24:25], s[30:31]
	s_cbranch_scc0 .LBB1528_119
; %bb.122:                              ;   in Loop: Header=BB1528_121 Depth=1
                                        ; implicit-def: $vgpr30_vgpr31
                                        ; implicit-def: $vgpr26_vgpr27
	s_mov_b64 s[30:31], s[12:13]
	s_branch .LBB1528_120
.LBB1528_123:
	s_or_b64 exec, exec, s[26:27]
	v_cmp_gt_i64_e32 vcc, s[12:13], v[32:33]
	s_mov_b32 s7, 0
	v_mov_b32_e32 v67, s7
	v_cndmask_b32_e64 v66, 0, 1, vcc
.LBB1528_124:
	s_or_b64 exec, exec, s[18:19]
.LBB1528_125:
	v_mul_lo_u32 v1, v5, s12
	v_mul_lo_u32 v30, v4, s13
	v_mad_u64_u32 v[26:27], s[18:19], v4, s12, 0
	v_add3_u32 v27, v27, v30, v1
	s_and_b64 vcc, exec, s[2:3]
	v_lshl_add_u64 v[26:27], v[26:27], 2, s[14:15]
	s_cbranch_vccnz .LBB1528_134
; %bb.126:
	global_load_dword v1, v[28:29], off
	global_load_dword v30, v[26:27], off
	v_mov_b64_e32 v[68:69], 1
	s_waitcnt vmcnt(0)
	v_cmp_eq_u32_e32 vcc, v1, v30
	s_and_saveexec_b64 s[18:19], vcc
	s_cbranch_execz .LBB1528_133
; %bb.127:
	s_add_u32 s24, s12, -1
	v_lshl_add_u64 v[30:31], v[26:27], 0, 4
	v_lshl_add_u64 v[28:29], v[28:29], 0, 4
	s_addc_u32 s25, s13, -1
	s_mov_b64 s[26:27], 0
	s_mov_b64 s[30:31], 0
                                        ; implicit-def: $sgpr28_sgpr29
	s_branch .LBB1528_130
.LBB1528_128:                           ;   in Loop: Header=BB1528_130 Depth=1
	global_load_dword v1, v[28:29], off
	global_load_dword v32, v[30:31], off
	s_add_u32 s30, s30, 1
	s_addc_u32 s31, s31, 0
	s_andn2_b64 s[28:29], s[28:29], exec
	v_lshl_add_u64 v[30:31], v[30:31], 0, 4
	v_lshl_add_u64 v[28:29], v[28:29], 0, 4
	s_waitcnt vmcnt(0)
	v_cmp_ne_u32_e32 vcc, v1, v32
	s_and_b64 s[34:35], vcc, exec
	s_or_b64 s[28:29], s[28:29], s[34:35]
.LBB1528_129:                           ;   in Loop: Header=BB1528_130 Depth=1
	s_and_b64 s[34:35], exec, s[28:29]
	s_or_b64 s[26:27], s[34:35], s[26:27]
	v_mov_b64_e32 v[32:33], s[30:31]
	s_andn2_b64 exec, exec, s[26:27]
	s_cbranch_execz .LBB1528_132
.LBB1528_130:                           ; =>This Inner Loop Header: Depth=1
	s_or_b64 s[28:29], s[28:29], exec
	s_cmp_eq_u64 s[24:25], s[30:31]
	s_cbranch_scc0 .LBB1528_128
; %bb.131:                              ;   in Loop: Header=BB1528_130 Depth=1
                                        ; implicit-def: $vgpr30_vgpr31
                                        ; implicit-def: $vgpr28_vgpr29
	s_mov_b64 s[30:31], s[12:13]
	s_branch .LBB1528_129
.LBB1528_132:
	s_or_b64 exec, exec, s[26:27]
	v_cmp_gt_i64_e32 vcc, s[12:13], v[32:33]
	s_mov_b32 s7, 0
	v_mov_b32_e32 v69, s7
	v_cndmask_b32_e64 v68, 0, 1, vcc
.LBB1528_133:
	s_or_b64 exec, exec, s[18:19]
.LBB1528_134:
	s_and_b64 vcc, exec, s[2:3]
	s_cbranch_vccnz .LBB1528_141
; %bb.135:
	v_mul_lo_u32 v1, v3, s12
	v_mul_lo_u32 v30, v2, s13
	v_mad_u64_u32 v[28:29], s[18:19], v2, s12, 0
	v_add3_u32 v29, v29, v30, v1
	v_lshl_add_u64 v[28:29], v[28:29], 2, s[14:15]
	global_load_dword v1, v[26:27], off
	global_load_dword v30, v[28:29], off
	v_mov_b64_e32 v[70:71], 1
	s_waitcnt vmcnt(0)
	v_cmp_eq_u32_e32 vcc, v1, v30
	s_and_saveexec_b64 s[18:19], vcc
	s_cbranch_execz .LBB1528_143
; %bb.136:
	s_add_u32 s24, s12, -1
	v_lshl_add_u64 v[28:29], v[28:29], 0, 4
	v_lshl_add_u64 v[26:27], v[26:27], 0, 4
	s_addc_u32 s25, s13, -1
	s_mov_b64 s[26:27], 0
	s_mov_b64 s[30:31], 0
                                        ; implicit-def: $sgpr28_sgpr29
	s_branch .LBB1528_139
.LBB1528_137:                           ;   in Loop: Header=BB1528_139 Depth=1
	global_load_dword v1, v[26:27], off
	global_load_dword v30, v[28:29], off
	s_add_u32 s30, s30, 1
	s_addc_u32 s31, s31, 0
	s_andn2_b64 s[28:29], s[28:29], exec
	v_lshl_add_u64 v[28:29], v[28:29], 0, 4
	v_lshl_add_u64 v[26:27], v[26:27], 0, 4
	s_waitcnt vmcnt(0)
	v_cmp_ne_u32_e32 vcc, v1, v30
	s_and_b64 s[34:35], vcc, exec
	s_or_b64 s[28:29], s[28:29], s[34:35]
.LBB1528_138:                           ;   in Loop: Header=BB1528_139 Depth=1
	s_and_b64 s[34:35], exec, s[28:29]
	s_or_b64 s[26:27], s[34:35], s[26:27]
	v_mov_b64_e32 v[30:31], s[30:31]
	s_andn2_b64 exec, exec, s[26:27]
	s_cbranch_execz .LBB1528_142
.LBB1528_139:                           ; =>This Inner Loop Header: Depth=1
	s_or_b64 s[28:29], s[28:29], exec
	s_cmp_eq_u64 s[24:25], s[30:31]
	s_cbranch_scc0 .LBB1528_137
; %bb.140:                              ;   in Loop: Header=BB1528_139 Depth=1
                                        ; implicit-def: $vgpr28_vgpr29
                                        ; implicit-def: $vgpr26_vgpr27
	s_mov_b64 s[30:31], s[12:13]
	s_branch .LBB1528_138
.LBB1528_141:
	v_mov_b64_e32 v[70:71], 0
	s_branch .LBB1528_144
.LBB1528_142:
	s_or_b64 exec, exec, s[26:27]
	v_cmp_gt_i64_e32 vcc, s[12:13], v[30:31]
	s_mov_b32 s7, 0
	v_mov_b32_e32 v71, s7
	v_cndmask_b32_e64 v70, 0, 1, vcc
.LBB1528_143:
	s_or_b64 exec, exec, s[18:19]
.LBB1528_144:
	v_cmp_ne_u32_e32 vcc, 0, v0
	s_waitcnt lgkmcnt(0)
	v_mov_b64_e32 v[26:27], s[20:21]
	s_waitcnt lgkmcnt(0)
	; wave barrier
	s_and_saveexec_b64 s[18:19], vcc
	s_cbranch_execz .LBB1528_146
; %bb.145:
	v_add_u32_e32 v1, -8, v48
	ds_read_b64 v[26:27], v1
.LBB1528_146:
	s_or_b64 exec, exec, s[18:19]
	s_mov_b64 s[26:27], 0
	s_and_b64 vcc, exec, s[2:3]
	s_mov_b64 s[24:25], 0
	s_cbranch_vccnz .LBB1528_155
; %bb.147:
	v_mul_lo_u32 v1, v3, s12
	v_mul_lo_u32 v30, v2, s13
	v_mad_u64_u32 v[28:29], s[2:3], v2, s12, 0
	v_add3_u32 v29, v29, v30, v1
	s_waitcnt lgkmcnt(0)
	v_mul_lo_u32 v1, v27, s12
	v_mul_lo_u32 v30, v26, s13
	v_mad_u64_u32 v[26:27], s[2:3], v26, s12, 0
	v_add3_u32 v27, v27, v30, v1
	v_lshl_add_u64 v[28:29], v[28:29], 2, s[14:15]
	v_lshl_add_u64 v[26:27], v[26:27], 2, s[14:15]
	global_load_dword v1, v[28:29], off
	global_load_dword v30, v[26:27], off
	s_mov_b64 s[24:25], -1
	s_waitcnt vmcnt(0)
	v_cmp_eq_u32_e32 vcc, v1, v30
	s_and_saveexec_b64 s[2:3], vcc
	s_cbranch_execz .LBB1528_154
; %bb.148:
	s_add_u32 s18, s12, -1
	v_lshl_add_u64 v[26:27], v[26:27], 0, 4
	v_lshl_add_u64 v[28:29], v[28:29], 0, 4
	s_addc_u32 s19, s13, -1
	s_mov_b64 s[24:25], 0
	s_mov_b64 s[30:31], 0
                                        ; implicit-def: $sgpr28_sgpr29
	s_branch .LBB1528_151
.LBB1528_149:                           ;   in Loop: Header=BB1528_151 Depth=1
	global_load_dword v1, v[28:29], off
	global_load_dword v30, v[26:27], off
	s_add_u32 s30, s30, 1
	s_addc_u32 s31, s31, 0
	s_andn2_b64 s[28:29], s[28:29], exec
	v_lshl_add_u64 v[26:27], v[26:27], 0, 4
	v_lshl_add_u64 v[28:29], v[28:29], 0, 4
	s_waitcnt vmcnt(0)
	v_cmp_ne_u32_e32 vcc, v1, v30
	s_and_b64 s[34:35], vcc, exec
	s_or_b64 s[28:29], s[28:29], s[34:35]
.LBB1528_150:                           ;   in Loop: Header=BB1528_151 Depth=1
	s_and_b64 s[34:35], exec, s[28:29]
	s_or_b64 s[24:25], s[34:35], s[24:25]
	v_mov_b64_e32 v[30:31], s[30:31]
	s_andn2_b64 exec, exec, s[24:25]
	s_cbranch_execz .LBB1528_153
.LBB1528_151:                           ; =>This Inner Loop Header: Depth=1
	s_or_b64 s[28:29], s[28:29], exec
	s_cmp_eq_u64 s[18:19], s[30:31]
	s_cbranch_scc0 .LBB1528_149
; %bb.152:                              ;   in Loop: Header=BB1528_151 Depth=1
                                        ; implicit-def: $vgpr26_vgpr27
                                        ; implicit-def: $vgpr28_vgpr29
	s_mov_b64 s[30:31], s[12:13]
	s_branch .LBB1528_150
.LBB1528_153:
	s_or_b64 exec, exec, s[24:25]
	v_cmp_gt_i64_e32 vcc, s[12:13], v[30:31]
	s_orn2_b64 s[24:25], vcc, exec
.LBB1528_154:
	s_or_b64 exec, exec, s[2:3]
.LBB1528_155:
	s_mov_b64 s[18:19], -1
	s_and_b64 vcc, exec, s[26:27]
	s_cbranch_vccz .LBB1528_41
.LBB1528_156:
	s_mul_i32 s7, s22, 0xfffffcc0
	s_add_i32 s7, s7, s10
	s_waitcnt lgkmcnt(0)
	v_mad_u32_u24 v26, v0, 13, 12
	v_cmp_gt_i64_e64 s[2:3], s[12:13], 0
	v_cmp_gt_u32_e32 vcc, s7, v26
	v_mul_u32_u24_e32 v1, 13, v0
	v_cndmask_b32_e64 v26, 0, 1, s[2:3]
	v_cmp_ne_u32_e64 s[2:3], 1, v26
	v_mov_b64_e32 v[50:51], v[44:45]
	ds_write_b64 v48, v[44:45]
	s_and_saveexec_b64 s[22:23], vcc
	s_cbranch_execz .LBB1528_167
; %bb.157:
	s_and_b64 vcc, exec, s[2:3]
	s_cbranch_vccnz .LBB1528_164
; %bb.158:
	v_mul_lo_u32 v28, v45, s12
	v_mul_lo_u32 v29, v44, s13
	v_mad_u64_u32 v[26:27], s[24:25], v44, s12, 0
	v_add3_u32 v27, v27, v29, v28
	v_mul_lo_u32 v28, v25, s12
	v_mul_lo_u32 v29, v24, s13
	v_mad_u64_u32 v[30:31], s[24:25], v24, s12, 0
	v_add3_u32 v31, v31, v29, v28
	v_lshl_add_u64 v[28:29], v[26:27], 2, s[14:15]
	v_lshl_add_u64 v[26:27], v[30:31], 2, s[14:15]
	global_load_dword v30, v[28:29], off
	global_load_dword v31, v[26:27], off
	v_mov_b64_e32 v[50:51], 1
	s_waitcnt vmcnt(0)
	v_cmp_eq_u32_e32 vcc, v30, v31
	s_and_saveexec_b64 s[24:25], vcc
	s_cbranch_execz .LBB1528_166
; %bb.159:
	s_add_u32 s26, s12, -1
	v_lshl_add_u64 v[26:27], v[26:27], 0, 4
	v_lshl_add_u64 v[28:29], v[28:29], 0, 4
	s_addc_u32 s27, s13, -1
	s_mov_b64 s[28:29], 0
	s_mov_b64 s[34:35], 0
                                        ; implicit-def: $sgpr30_sgpr31
	s_branch .LBB1528_162
.LBB1528_160:                           ;   in Loop: Header=BB1528_162 Depth=1
	global_load_dword v30, v[28:29], off
	global_load_dword v31, v[26:27], off
	s_add_u32 s34, s34, 1
	s_addc_u32 s35, s35, 0
	s_andn2_b64 s[30:31], s[30:31], exec
	v_lshl_add_u64 v[26:27], v[26:27], 0, 4
	v_lshl_add_u64 v[28:29], v[28:29], 0, 4
	s_waitcnt vmcnt(0)
	v_cmp_ne_u32_e32 vcc, v30, v31
	s_and_b64 s[36:37], vcc, exec
	s_or_b64 s[30:31], s[30:31], s[36:37]
.LBB1528_161:                           ;   in Loop: Header=BB1528_162 Depth=1
	s_and_b64 s[36:37], exec, s[30:31]
	s_or_b64 s[28:29], s[36:37], s[28:29]
	v_mov_b64_e32 v[30:31], s[34:35]
	s_andn2_b64 exec, exec, s[28:29]
	s_cbranch_execz .LBB1528_165
.LBB1528_162:                           ; =>This Inner Loop Header: Depth=1
	s_or_b64 s[30:31], s[30:31], exec
	s_cmp_eq_u64 s[26:27], s[34:35]
	s_cbranch_scc0 .LBB1528_160
; %bb.163:                              ;   in Loop: Header=BB1528_162 Depth=1
                                        ; implicit-def: $vgpr26_vgpr27
                                        ; implicit-def: $vgpr28_vgpr29
	s_mov_b64 s[34:35], s[12:13]
	s_branch .LBB1528_161
.LBB1528_164:
	v_mov_b64_e32 v[50:51], 0
	s_branch .LBB1528_167
.LBB1528_165:
	s_or_b64 exec, exec, s[28:29]
	v_cmp_gt_i64_e32 vcc, s[12:13], v[30:31]
	s_mov_b32 s26, 0
	v_mov_b32_e32 v51, s26
	v_cndmask_b32_e64 v50, 0, 1, vcc
.LBB1528_166:
	s_or_b64 exec, exec, s[24:25]
.LBB1528_167:
	s_or_b64 exec, exec, s[22:23]
	v_add_u32_e32 v26, 11, v1
	v_cmp_gt_u32_e32 vcc, s7, v26
	v_mov_b64_e32 v[52:53], v[24:25]
	s_and_saveexec_b64 s[22:23], vcc
	s_cbranch_execz .LBB1528_178
; %bb.168:
	s_and_b64 vcc, exec, s[2:3]
	s_cbranch_vccnz .LBB1528_175
; %bb.169:
	v_mul_lo_u32 v28, v25, s12
	v_mul_lo_u32 v29, v24, s13
	v_mad_u64_u32 v[26:27], s[24:25], v24, s12, 0
	v_add3_u32 v27, v27, v29, v28
	v_mul_lo_u32 v28, v23, s12
	v_mul_lo_u32 v29, v22, s13
	v_mad_u64_u32 v[30:31], s[24:25], v22, s12, 0
	v_add3_u32 v31, v31, v29, v28
	v_lshl_add_u64 v[28:29], v[26:27], 2, s[14:15]
	v_lshl_add_u64 v[26:27], v[30:31], 2, s[14:15]
	global_load_dword v30, v[28:29], off
	global_load_dword v31, v[26:27], off
	v_mov_b64_e32 v[52:53], 1
	s_waitcnt vmcnt(0)
	v_cmp_eq_u32_e32 vcc, v30, v31
	s_and_saveexec_b64 s[24:25], vcc
	s_cbranch_execz .LBB1528_177
; %bb.170:
	s_add_u32 s26, s12, -1
	v_lshl_add_u64 v[26:27], v[26:27], 0, 4
	v_lshl_add_u64 v[28:29], v[28:29], 0, 4
	s_addc_u32 s27, s13, -1
	s_mov_b64 s[28:29], 0
	s_mov_b64 s[34:35], 0
                                        ; implicit-def: $sgpr30_sgpr31
	s_branch .LBB1528_173
.LBB1528_171:                           ;   in Loop: Header=BB1528_173 Depth=1
	global_load_dword v30, v[28:29], off
	global_load_dword v31, v[26:27], off
	s_add_u32 s34, s34, 1
	s_addc_u32 s35, s35, 0
	s_andn2_b64 s[30:31], s[30:31], exec
	v_lshl_add_u64 v[26:27], v[26:27], 0, 4
	v_lshl_add_u64 v[28:29], v[28:29], 0, 4
	s_waitcnt vmcnt(0)
	v_cmp_ne_u32_e32 vcc, v30, v31
	s_and_b64 s[36:37], vcc, exec
	s_or_b64 s[30:31], s[30:31], s[36:37]
.LBB1528_172:                           ;   in Loop: Header=BB1528_173 Depth=1
	s_and_b64 s[36:37], exec, s[30:31]
	s_or_b64 s[28:29], s[36:37], s[28:29]
	v_mov_b64_e32 v[30:31], s[34:35]
	s_andn2_b64 exec, exec, s[28:29]
	s_cbranch_execz .LBB1528_176
.LBB1528_173:                           ; =>This Inner Loop Header: Depth=1
	s_or_b64 s[30:31], s[30:31], exec
	s_cmp_eq_u64 s[26:27], s[34:35]
	s_cbranch_scc0 .LBB1528_171
; %bb.174:                              ;   in Loop: Header=BB1528_173 Depth=1
                                        ; implicit-def: $vgpr26_vgpr27
                                        ; implicit-def: $vgpr28_vgpr29
	s_mov_b64 s[34:35], s[12:13]
	s_branch .LBB1528_172
.LBB1528_175:
	v_mov_b64_e32 v[52:53], 0
	s_branch .LBB1528_178
.LBB1528_176:
	s_or_b64 exec, exec, s[28:29]
	v_cmp_gt_i64_e32 vcc, s[12:13], v[30:31]
	s_mov_b32 s26, 0
	v_mov_b32_e32 v53, s26
	v_cndmask_b32_e64 v52, 0, 1, vcc
.LBB1528_177:
	s_or_b64 exec, exec, s[24:25]
.LBB1528_178:
	s_or_b64 exec, exec, s[22:23]
	v_add_u32_e32 v26, 10, v1
	v_cmp_gt_u32_e32 vcc, s7, v26
	v_mov_b64_e32 v[46:47], v[22:23]
	s_and_saveexec_b64 s[22:23], vcc
	s_cbranch_execz .LBB1528_189
; %bb.179:
	s_and_b64 vcc, exec, s[2:3]
	s_cbranch_vccnz .LBB1528_186
; %bb.180:
	v_mul_lo_u32 v28, v23, s12
	v_mul_lo_u32 v29, v22, s13
	v_mad_u64_u32 v[26:27], s[24:25], v22, s12, 0
	v_add3_u32 v27, v27, v29, v28
	v_mul_lo_u32 v28, v21, s12
	v_mul_lo_u32 v29, v20, s13
	v_mad_u64_u32 v[30:31], s[24:25], v20, s12, 0
	v_add3_u32 v31, v31, v29, v28
	v_lshl_add_u64 v[28:29], v[26:27], 2, s[14:15]
	v_lshl_add_u64 v[26:27], v[30:31], 2, s[14:15]
	global_load_dword v30, v[28:29], off
	global_load_dword v31, v[26:27], off
	v_mov_b64_e32 v[46:47], 1
	s_waitcnt vmcnt(0)
	v_cmp_eq_u32_e32 vcc, v30, v31
	s_and_saveexec_b64 s[24:25], vcc
	s_cbranch_execz .LBB1528_188
; %bb.181:
	s_add_u32 s26, s12, -1
	v_lshl_add_u64 v[26:27], v[26:27], 0, 4
	v_lshl_add_u64 v[28:29], v[28:29], 0, 4
	s_addc_u32 s27, s13, -1
	s_mov_b64 s[28:29], 0
	s_mov_b64 s[34:35], 0
                                        ; implicit-def: $sgpr30_sgpr31
	s_branch .LBB1528_184
.LBB1528_182:                           ;   in Loop: Header=BB1528_184 Depth=1
	global_load_dword v30, v[28:29], off
	global_load_dword v31, v[26:27], off
	s_add_u32 s34, s34, 1
	s_addc_u32 s35, s35, 0
	s_andn2_b64 s[30:31], s[30:31], exec
	v_lshl_add_u64 v[26:27], v[26:27], 0, 4
	v_lshl_add_u64 v[28:29], v[28:29], 0, 4
	s_waitcnt vmcnt(0)
	v_cmp_ne_u32_e32 vcc, v30, v31
	s_and_b64 s[36:37], vcc, exec
	s_or_b64 s[30:31], s[30:31], s[36:37]
.LBB1528_183:                           ;   in Loop: Header=BB1528_184 Depth=1
	s_and_b64 s[36:37], exec, s[30:31]
	s_or_b64 s[28:29], s[36:37], s[28:29]
	v_mov_b64_e32 v[30:31], s[34:35]
	s_andn2_b64 exec, exec, s[28:29]
	s_cbranch_execz .LBB1528_187
.LBB1528_184:                           ; =>This Inner Loop Header: Depth=1
	s_or_b64 s[30:31], s[30:31], exec
	s_cmp_eq_u64 s[26:27], s[34:35]
	s_cbranch_scc0 .LBB1528_182
; %bb.185:                              ;   in Loop: Header=BB1528_184 Depth=1
                                        ; implicit-def: $vgpr26_vgpr27
                                        ; implicit-def: $vgpr28_vgpr29
	s_mov_b64 s[34:35], s[12:13]
	s_branch .LBB1528_183
.LBB1528_186:
	v_mov_b64_e32 v[46:47], 0
	s_branch .LBB1528_189
.LBB1528_187:
	s_or_b64 exec, exec, s[28:29]
	v_cmp_gt_i64_e32 vcc, s[12:13], v[30:31]
	s_mov_b32 s26, 0
	v_mov_b32_e32 v47, s26
	v_cndmask_b32_e64 v46, 0, 1, vcc
.LBB1528_188:
	s_or_b64 exec, exec, s[24:25]
.LBB1528_189:
	s_or_b64 exec, exec, s[22:23]
	v_add_u32_e32 v26, 9, v1
	v_cmp_gt_u32_e32 vcc, s7, v26
	v_mov_b64_e32 v[54:55], v[20:21]
	s_and_saveexec_b64 s[22:23], vcc
	s_cbranch_execz .LBB1528_200
; %bb.190:
	s_and_b64 vcc, exec, s[2:3]
	s_cbranch_vccnz .LBB1528_197
; %bb.191:
	v_mul_lo_u32 v28, v21, s12
	v_mul_lo_u32 v29, v20, s13
	v_mad_u64_u32 v[26:27], s[24:25], v20, s12, 0
	v_add3_u32 v27, v27, v29, v28
	v_mul_lo_u32 v28, v19, s12
	v_mul_lo_u32 v29, v18, s13
	v_mad_u64_u32 v[30:31], s[24:25], v18, s12, 0
	v_add3_u32 v31, v31, v29, v28
	v_lshl_add_u64 v[28:29], v[26:27], 2, s[14:15]
	v_lshl_add_u64 v[26:27], v[30:31], 2, s[14:15]
	global_load_dword v30, v[28:29], off
	global_load_dword v31, v[26:27], off
	v_mov_b64_e32 v[54:55], 1
	s_waitcnt vmcnt(0)
	v_cmp_eq_u32_e32 vcc, v30, v31
	s_and_saveexec_b64 s[24:25], vcc
	s_cbranch_execz .LBB1528_199
; %bb.192:
	s_add_u32 s26, s12, -1
	v_lshl_add_u64 v[26:27], v[26:27], 0, 4
	v_lshl_add_u64 v[28:29], v[28:29], 0, 4
	s_addc_u32 s27, s13, -1
	s_mov_b64 s[28:29], 0
	s_mov_b64 s[34:35], 0
                                        ; implicit-def: $sgpr30_sgpr31
	s_branch .LBB1528_195
.LBB1528_193:                           ;   in Loop: Header=BB1528_195 Depth=1
	global_load_dword v30, v[28:29], off
	global_load_dword v31, v[26:27], off
	s_add_u32 s34, s34, 1
	s_addc_u32 s35, s35, 0
	s_andn2_b64 s[30:31], s[30:31], exec
	v_lshl_add_u64 v[26:27], v[26:27], 0, 4
	v_lshl_add_u64 v[28:29], v[28:29], 0, 4
	s_waitcnt vmcnt(0)
	v_cmp_ne_u32_e32 vcc, v30, v31
	s_and_b64 s[36:37], vcc, exec
	s_or_b64 s[30:31], s[30:31], s[36:37]
.LBB1528_194:                           ;   in Loop: Header=BB1528_195 Depth=1
	s_and_b64 s[36:37], exec, s[30:31]
	s_or_b64 s[28:29], s[36:37], s[28:29]
	v_mov_b64_e32 v[30:31], s[34:35]
	s_andn2_b64 exec, exec, s[28:29]
	s_cbranch_execz .LBB1528_198
.LBB1528_195:                           ; =>This Inner Loop Header: Depth=1
	s_or_b64 s[30:31], s[30:31], exec
	s_cmp_eq_u64 s[26:27], s[34:35]
	s_cbranch_scc0 .LBB1528_193
; %bb.196:                              ;   in Loop: Header=BB1528_195 Depth=1
                                        ; implicit-def: $vgpr26_vgpr27
                                        ; implicit-def: $vgpr28_vgpr29
	s_mov_b64 s[34:35], s[12:13]
	s_branch .LBB1528_194
.LBB1528_197:
	v_mov_b64_e32 v[54:55], 0
	s_branch .LBB1528_200
.LBB1528_198:
	s_or_b64 exec, exec, s[28:29]
	v_cmp_gt_i64_e32 vcc, s[12:13], v[30:31]
	s_mov_b32 s26, 0
	v_mov_b32_e32 v55, s26
	v_cndmask_b32_e64 v54, 0, 1, vcc
.LBB1528_199:
	s_or_b64 exec, exec, s[24:25]
.LBB1528_200:
	s_or_b64 exec, exec, s[22:23]
	v_add_u32_e32 v26, 8, v1
	v_cmp_gt_u32_e32 vcc, s7, v26
	v_mov_b64_e32 v[56:57], v[18:19]
	s_and_saveexec_b64 s[22:23], vcc
	s_cbranch_execz .LBB1528_211
; %bb.201:
	s_and_b64 vcc, exec, s[2:3]
	s_cbranch_vccnz .LBB1528_208
; %bb.202:
	v_mul_lo_u32 v28, v19, s12
	v_mul_lo_u32 v29, v18, s13
	v_mad_u64_u32 v[26:27], s[24:25], v18, s12, 0
	v_add3_u32 v27, v27, v29, v28
	v_mul_lo_u32 v28, v17, s12
	v_mul_lo_u32 v29, v16, s13
	v_mad_u64_u32 v[30:31], s[24:25], v16, s12, 0
	v_add3_u32 v31, v31, v29, v28
	v_lshl_add_u64 v[28:29], v[26:27], 2, s[14:15]
	v_lshl_add_u64 v[26:27], v[30:31], 2, s[14:15]
	global_load_dword v30, v[28:29], off
	global_load_dword v31, v[26:27], off
	v_mov_b64_e32 v[56:57], 1
	s_waitcnt vmcnt(0)
	v_cmp_eq_u32_e32 vcc, v30, v31
	s_and_saveexec_b64 s[24:25], vcc
	s_cbranch_execz .LBB1528_210
; %bb.203:
	s_add_u32 s26, s12, -1
	v_lshl_add_u64 v[26:27], v[26:27], 0, 4
	v_lshl_add_u64 v[28:29], v[28:29], 0, 4
	s_addc_u32 s27, s13, -1
	s_mov_b64 s[28:29], 0
	s_mov_b64 s[34:35], 0
                                        ; implicit-def: $sgpr30_sgpr31
	s_branch .LBB1528_206
.LBB1528_204:                           ;   in Loop: Header=BB1528_206 Depth=1
	global_load_dword v30, v[28:29], off
	global_load_dword v31, v[26:27], off
	s_add_u32 s34, s34, 1
	s_addc_u32 s35, s35, 0
	s_andn2_b64 s[30:31], s[30:31], exec
	v_lshl_add_u64 v[26:27], v[26:27], 0, 4
	v_lshl_add_u64 v[28:29], v[28:29], 0, 4
	s_waitcnt vmcnt(0)
	v_cmp_ne_u32_e32 vcc, v30, v31
	s_and_b64 s[36:37], vcc, exec
	s_or_b64 s[30:31], s[30:31], s[36:37]
.LBB1528_205:                           ;   in Loop: Header=BB1528_206 Depth=1
	s_and_b64 s[36:37], exec, s[30:31]
	s_or_b64 s[28:29], s[36:37], s[28:29]
	v_mov_b64_e32 v[30:31], s[34:35]
	s_andn2_b64 exec, exec, s[28:29]
	s_cbranch_execz .LBB1528_209
.LBB1528_206:                           ; =>This Inner Loop Header: Depth=1
	s_or_b64 s[30:31], s[30:31], exec
	s_cmp_eq_u64 s[26:27], s[34:35]
	s_cbranch_scc0 .LBB1528_204
; %bb.207:                              ;   in Loop: Header=BB1528_206 Depth=1
                                        ; implicit-def: $vgpr26_vgpr27
                                        ; implicit-def: $vgpr28_vgpr29
	s_mov_b64 s[34:35], s[12:13]
	s_branch .LBB1528_205
.LBB1528_208:
	v_mov_b64_e32 v[56:57], 0
	s_branch .LBB1528_211
.LBB1528_209:
	s_or_b64 exec, exec, s[28:29]
	v_cmp_gt_i64_e32 vcc, s[12:13], v[30:31]
	s_mov_b32 s26, 0
	v_mov_b32_e32 v57, s26
	v_cndmask_b32_e64 v56, 0, 1, vcc
.LBB1528_210:
	s_or_b64 exec, exec, s[24:25]
.LBB1528_211:
	s_or_b64 exec, exec, s[22:23]
	v_add_u32_e32 v26, 7, v1
	v_cmp_gt_u32_e32 vcc, s7, v26
	v_mov_b64_e32 v[58:59], v[16:17]
	s_and_saveexec_b64 s[22:23], vcc
	s_cbranch_execz .LBB1528_222
; %bb.212:
	s_and_b64 vcc, exec, s[2:3]
	s_cbranch_vccnz .LBB1528_219
; %bb.213:
	v_mul_lo_u32 v28, v17, s12
	v_mul_lo_u32 v29, v16, s13
	v_mad_u64_u32 v[26:27], s[24:25], v16, s12, 0
	v_add3_u32 v27, v27, v29, v28
	v_mul_lo_u32 v28, v15, s12
	v_mul_lo_u32 v29, v14, s13
	v_mad_u64_u32 v[30:31], s[24:25], v14, s12, 0
	v_add3_u32 v31, v31, v29, v28
	v_lshl_add_u64 v[28:29], v[26:27], 2, s[14:15]
	v_lshl_add_u64 v[26:27], v[30:31], 2, s[14:15]
	global_load_dword v30, v[28:29], off
	global_load_dword v31, v[26:27], off
	v_mov_b64_e32 v[58:59], 1
	s_waitcnt vmcnt(0)
	v_cmp_eq_u32_e32 vcc, v30, v31
	s_and_saveexec_b64 s[24:25], vcc
	s_cbranch_execz .LBB1528_221
; %bb.214:
	s_add_u32 s26, s12, -1
	v_lshl_add_u64 v[26:27], v[26:27], 0, 4
	v_lshl_add_u64 v[28:29], v[28:29], 0, 4
	s_addc_u32 s27, s13, -1
	s_mov_b64 s[28:29], 0
	s_mov_b64 s[34:35], 0
                                        ; implicit-def: $sgpr30_sgpr31
	s_branch .LBB1528_217
.LBB1528_215:                           ;   in Loop: Header=BB1528_217 Depth=1
	global_load_dword v30, v[28:29], off
	global_load_dword v31, v[26:27], off
	s_add_u32 s34, s34, 1
	s_addc_u32 s35, s35, 0
	s_andn2_b64 s[30:31], s[30:31], exec
	v_lshl_add_u64 v[26:27], v[26:27], 0, 4
	v_lshl_add_u64 v[28:29], v[28:29], 0, 4
	s_waitcnt vmcnt(0)
	v_cmp_ne_u32_e32 vcc, v30, v31
	s_and_b64 s[36:37], vcc, exec
	s_or_b64 s[30:31], s[30:31], s[36:37]
.LBB1528_216:                           ;   in Loop: Header=BB1528_217 Depth=1
	s_and_b64 s[36:37], exec, s[30:31]
	s_or_b64 s[28:29], s[36:37], s[28:29]
	v_mov_b64_e32 v[30:31], s[34:35]
	s_andn2_b64 exec, exec, s[28:29]
	s_cbranch_execz .LBB1528_220
.LBB1528_217:                           ; =>This Inner Loop Header: Depth=1
	s_or_b64 s[30:31], s[30:31], exec
	s_cmp_eq_u64 s[26:27], s[34:35]
	s_cbranch_scc0 .LBB1528_215
; %bb.218:                              ;   in Loop: Header=BB1528_217 Depth=1
                                        ; implicit-def: $vgpr26_vgpr27
                                        ; implicit-def: $vgpr28_vgpr29
	s_mov_b64 s[34:35], s[12:13]
	s_branch .LBB1528_216
.LBB1528_219:
	v_mov_b64_e32 v[58:59], 0
	s_branch .LBB1528_222
.LBB1528_220:
	s_or_b64 exec, exec, s[28:29]
	v_cmp_gt_i64_e32 vcc, s[12:13], v[30:31]
	s_mov_b32 s26, 0
	v_mov_b32_e32 v59, s26
	v_cndmask_b32_e64 v58, 0, 1, vcc
.LBB1528_221:
	s_or_b64 exec, exec, s[24:25]
.LBB1528_222:
	s_or_b64 exec, exec, s[22:23]
	v_add_u32_e32 v26, 6, v1
	v_cmp_gt_u32_e32 vcc, s7, v26
	v_mov_b64_e32 v[60:61], v[14:15]
	s_and_saveexec_b64 s[22:23], vcc
	s_cbranch_execz .LBB1528_233
; %bb.223:
	s_and_b64 vcc, exec, s[2:3]
	s_cbranch_vccnz .LBB1528_230
; %bb.224:
	v_mul_lo_u32 v28, v15, s12
	v_mul_lo_u32 v29, v14, s13
	v_mad_u64_u32 v[26:27], s[24:25], v14, s12, 0
	v_add3_u32 v27, v27, v29, v28
	v_mul_lo_u32 v28, v13, s12
	v_mul_lo_u32 v29, v12, s13
	v_mad_u64_u32 v[30:31], s[24:25], v12, s12, 0
	v_add3_u32 v31, v31, v29, v28
	v_lshl_add_u64 v[28:29], v[26:27], 2, s[14:15]
	v_lshl_add_u64 v[26:27], v[30:31], 2, s[14:15]
	global_load_dword v30, v[28:29], off
	global_load_dword v31, v[26:27], off
	v_mov_b64_e32 v[60:61], 1
	s_waitcnt vmcnt(0)
	v_cmp_eq_u32_e32 vcc, v30, v31
	s_and_saveexec_b64 s[24:25], vcc
	s_cbranch_execz .LBB1528_232
; %bb.225:
	s_add_u32 s26, s12, -1
	v_lshl_add_u64 v[26:27], v[26:27], 0, 4
	v_lshl_add_u64 v[28:29], v[28:29], 0, 4
	s_addc_u32 s27, s13, -1
	s_mov_b64 s[28:29], 0
	s_mov_b64 s[34:35], 0
                                        ; implicit-def: $sgpr30_sgpr31
	s_branch .LBB1528_228
.LBB1528_226:                           ;   in Loop: Header=BB1528_228 Depth=1
	global_load_dword v30, v[28:29], off
	global_load_dword v31, v[26:27], off
	s_add_u32 s34, s34, 1
	s_addc_u32 s35, s35, 0
	s_andn2_b64 s[30:31], s[30:31], exec
	v_lshl_add_u64 v[26:27], v[26:27], 0, 4
	v_lshl_add_u64 v[28:29], v[28:29], 0, 4
	s_waitcnt vmcnt(0)
	v_cmp_ne_u32_e32 vcc, v30, v31
	s_and_b64 s[36:37], vcc, exec
	s_or_b64 s[30:31], s[30:31], s[36:37]
.LBB1528_227:                           ;   in Loop: Header=BB1528_228 Depth=1
	s_and_b64 s[36:37], exec, s[30:31]
	s_or_b64 s[28:29], s[36:37], s[28:29]
	v_mov_b64_e32 v[30:31], s[34:35]
	s_andn2_b64 exec, exec, s[28:29]
	s_cbranch_execz .LBB1528_231
.LBB1528_228:                           ; =>This Inner Loop Header: Depth=1
	s_or_b64 s[30:31], s[30:31], exec
	s_cmp_eq_u64 s[26:27], s[34:35]
	s_cbranch_scc0 .LBB1528_226
; %bb.229:                              ;   in Loop: Header=BB1528_228 Depth=1
                                        ; implicit-def: $vgpr26_vgpr27
                                        ; implicit-def: $vgpr28_vgpr29
	s_mov_b64 s[34:35], s[12:13]
	s_branch .LBB1528_227
.LBB1528_230:
	v_mov_b64_e32 v[60:61], 0
	s_branch .LBB1528_233
.LBB1528_231:
	s_or_b64 exec, exec, s[28:29]
	v_cmp_gt_i64_e32 vcc, s[12:13], v[30:31]
	s_mov_b32 s26, 0
	v_mov_b32_e32 v61, s26
	v_cndmask_b32_e64 v60, 0, 1, vcc
.LBB1528_232:
	s_or_b64 exec, exec, s[24:25]
.LBB1528_233:
	s_or_b64 exec, exec, s[22:23]
	v_add_u32_e32 v26, 5, v1
	v_cmp_gt_u32_e32 vcc, s7, v26
	v_mov_b64_e32 v[62:63], v[12:13]
	s_and_saveexec_b64 s[22:23], vcc
	s_cbranch_execz .LBB1528_244
; %bb.234:
	s_and_b64 vcc, exec, s[2:3]
	s_cbranch_vccnz .LBB1528_241
; %bb.235:
	v_mul_lo_u32 v28, v13, s12
	v_mul_lo_u32 v29, v12, s13
	v_mad_u64_u32 v[26:27], s[24:25], v12, s12, 0
	v_add3_u32 v27, v27, v29, v28
	v_mul_lo_u32 v28, v11, s12
	v_mul_lo_u32 v29, v10, s13
	v_mad_u64_u32 v[30:31], s[24:25], v10, s12, 0
	v_add3_u32 v31, v31, v29, v28
	v_lshl_add_u64 v[28:29], v[26:27], 2, s[14:15]
	v_lshl_add_u64 v[26:27], v[30:31], 2, s[14:15]
	global_load_dword v30, v[28:29], off
	global_load_dword v31, v[26:27], off
	v_mov_b64_e32 v[62:63], 1
	s_waitcnt vmcnt(0)
	v_cmp_eq_u32_e32 vcc, v30, v31
	s_and_saveexec_b64 s[24:25], vcc
	s_cbranch_execz .LBB1528_243
; %bb.236:
	s_add_u32 s26, s12, -1
	v_lshl_add_u64 v[26:27], v[26:27], 0, 4
	v_lshl_add_u64 v[28:29], v[28:29], 0, 4
	s_addc_u32 s27, s13, -1
	s_mov_b64 s[28:29], 0
	s_mov_b64 s[34:35], 0
                                        ; implicit-def: $sgpr30_sgpr31
	s_branch .LBB1528_239
.LBB1528_237:                           ;   in Loop: Header=BB1528_239 Depth=1
	global_load_dword v30, v[28:29], off
	global_load_dword v31, v[26:27], off
	s_add_u32 s34, s34, 1
	s_addc_u32 s35, s35, 0
	s_andn2_b64 s[30:31], s[30:31], exec
	v_lshl_add_u64 v[26:27], v[26:27], 0, 4
	v_lshl_add_u64 v[28:29], v[28:29], 0, 4
	s_waitcnt vmcnt(0)
	v_cmp_ne_u32_e32 vcc, v30, v31
	s_and_b64 s[36:37], vcc, exec
	s_or_b64 s[30:31], s[30:31], s[36:37]
.LBB1528_238:                           ;   in Loop: Header=BB1528_239 Depth=1
	s_and_b64 s[36:37], exec, s[30:31]
	s_or_b64 s[28:29], s[36:37], s[28:29]
	v_mov_b64_e32 v[30:31], s[34:35]
	s_andn2_b64 exec, exec, s[28:29]
	s_cbranch_execz .LBB1528_242
.LBB1528_239:                           ; =>This Inner Loop Header: Depth=1
	s_or_b64 s[30:31], s[30:31], exec
	s_cmp_eq_u64 s[26:27], s[34:35]
	s_cbranch_scc0 .LBB1528_237
; %bb.240:                              ;   in Loop: Header=BB1528_239 Depth=1
                                        ; implicit-def: $vgpr26_vgpr27
                                        ; implicit-def: $vgpr28_vgpr29
	s_mov_b64 s[34:35], s[12:13]
	s_branch .LBB1528_238
.LBB1528_241:
	v_mov_b64_e32 v[62:63], 0
	s_branch .LBB1528_244
.LBB1528_242:
	s_or_b64 exec, exec, s[28:29]
	v_cmp_gt_i64_e32 vcc, s[12:13], v[30:31]
	s_mov_b32 s26, 0
	v_mov_b32_e32 v63, s26
	v_cndmask_b32_e64 v62, 0, 1, vcc
.LBB1528_243:
	s_or_b64 exec, exec, s[24:25]
.LBB1528_244:
	s_or_b64 exec, exec, s[22:23]
	v_add_u32_e32 v26, 4, v1
	v_cmp_gt_u32_e32 vcc, s7, v26
	v_mov_b64_e32 v[64:65], v[10:11]
	s_and_saveexec_b64 s[22:23], vcc
	s_cbranch_execz .LBB1528_255
; %bb.245:
	s_and_b64 vcc, exec, s[2:3]
	s_cbranch_vccnz .LBB1528_252
; %bb.246:
	v_mul_lo_u32 v28, v11, s12
	v_mul_lo_u32 v29, v10, s13
	v_mad_u64_u32 v[26:27], s[24:25], v10, s12, 0
	v_add3_u32 v27, v27, v29, v28
	v_mul_lo_u32 v28, v9, s12
	v_mul_lo_u32 v29, v8, s13
	v_mad_u64_u32 v[30:31], s[24:25], v8, s12, 0
	v_add3_u32 v31, v31, v29, v28
	v_lshl_add_u64 v[28:29], v[26:27], 2, s[14:15]
	v_lshl_add_u64 v[26:27], v[30:31], 2, s[14:15]
	global_load_dword v30, v[28:29], off
	global_load_dword v31, v[26:27], off
	v_mov_b64_e32 v[64:65], 1
	s_waitcnt vmcnt(0)
	v_cmp_eq_u32_e32 vcc, v30, v31
	s_and_saveexec_b64 s[24:25], vcc
	s_cbranch_execz .LBB1528_254
; %bb.247:
	s_add_u32 s26, s12, -1
	v_lshl_add_u64 v[26:27], v[26:27], 0, 4
	v_lshl_add_u64 v[28:29], v[28:29], 0, 4
	s_addc_u32 s27, s13, -1
	s_mov_b64 s[28:29], 0
	s_mov_b64 s[34:35], 0
                                        ; implicit-def: $sgpr30_sgpr31
	s_branch .LBB1528_250
.LBB1528_248:                           ;   in Loop: Header=BB1528_250 Depth=1
	global_load_dword v30, v[28:29], off
	global_load_dword v31, v[26:27], off
	s_add_u32 s34, s34, 1
	s_addc_u32 s35, s35, 0
	s_andn2_b64 s[30:31], s[30:31], exec
	v_lshl_add_u64 v[26:27], v[26:27], 0, 4
	v_lshl_add_u64 v[28:29], v[28:29], 0, 4
	s_waitcnt vmcnt(0)
	v_cmp_ne_u32_e32 vcc, v30, v31
	s_and_b64 s[36:37], vcc, exec
	s_or_b64 s[30:31], s[30:31], s[36:37]
.LBB1528_249:                           ;   in Loop: Header=BB1528_250 Depth=1
	s_and_b64 s[36:37], exec, s[30:31]
	s_or_b64 s[28:29], s[36:37], s[28:29]
	v_mov_b64_e32 v[30:31], s[34:35]
	s_andn2_b64 exec, exec, s[28:29]
	s_cbranch_execz .LBB1528_253
.LBB1528_250:                           ; =>This Inner Loop Header: Depth=1
	s_or_b64 s[30:31], s[30:31], exec
	s_cmp_eq_u64 s[26:27], s[34:35]
	s_cbranch_scc0 .LBB1528_248
; %bb.251:                              ;   in Loop: Header=BB1528_250 Depth=1
                                        ; implicit-def: $vgpr26_vgpr27
                                        ; implicit-def: $vgpr28_vgpr29
	s_mov_b64 s[34:35], s[12:13]
	s_branch .LBB1528_249
.LBB1528_252:
	v_mov_b64_e32 v[64:65], 0
	s_branch .LBB1528_255
.LBB1528_253:
	s_or_b64 exec, exec, s[28:29]
	v_cmp_gt_i64_e32 vcc, s[12:13], v[30:31]
	s_mov_b32 s26, 0
	v_mov_b32_e32 v65, s26
	v_cndmask_b32_e64 v64, 0, 1, vcc
.LBB1528_254:
	s_or_b64 exec, exec, s[24:25]
.LBB1528_255:
	s_or_b64 exec, exec, s[22:23]
	v_add_u32_e32 v26, 3, v1
	v_cmp_gt_u32_e32 vcc, s7, v26
	v_mov_b64_e32 v[66:67], v[8:9]
	s_and_saveexec_b64 s[22:23], vcc
	s_cbranch_execz .LBB1528_266
; %bb.256:
	s_and_b64 vcc, exec, s[2:3]
	s_cbranch_vccnz .LBB1528_263
; %bb.257:
	v_mul_lo_u32 v28, v9, s12
	v_mul_lo_u32 v29, v8, s13
	v_mad_u64_u32 v[26:27], s[24:25], v8, s12, 0
	v_add3_u32 v27, v27, v29, v28
	v_mul_lo_u32 v28, v7, s12
	v_mul_lo_u32 v29, v6, s13
	v_mad_u64_u32 v[30:31], s[24:25], v6, s12, 0
	v_add3_u32 v31, v31, v29, v28
	v_lshl_add_u64 v[28:29], v[26:27], 2, s[14:15]
	v_lshl_add_u64 v[26:27], v[30:31], 2, s[14:15]
	global_load_dword v30, v[28:29], off
	global_load_dword v31, v[26:27], off
	v_mov_b64_e32 v[66:67], 1
	s_waitcnt vmcnt(0)
	v_cmp_eq_u32_e32 vcc, v30, v31
	s_and_saveexec_b64 s[24:25], vcc
	s_cbranch_execz .LBB1528_265
; %bb.258:
	s_add_u32 s26, s12, -1
	v_lshl_add_u64 v[26:27], v[26:27], 0, 4
	v_lshl_add_u64 v[28:29], v[28:29], 0, 4
	s_addc_u32 s27, s13, -1
	s_mov_b64 s[28:29], 0
	s_mov_b64 s[34:35], 0
                                        ; implicit-def: $sgpr30_sgpr31
	s_branch .LBB1528_261
.LBB1528_259:                           ;   in Loop: Header=BB1528_261 Depth=1
	global_load_dword v30, v[28:29], off
	global_load_dword v31, v[26:27], off
	s_add_u32 s34, s34, 1
	s_addc_u32 s35, s35, 0
	s_andn2_b64 s[30:31], s[30:31], exec
	v_lshl_add_u64 v[26:27], v[26:27], 0, 4
	v_lshl_add_u64 v[28:29], v[28:29], 0, 4
	s_waitcnt vmcnt(0)
	v_cmp_ne_u32_e32 vcc, v30, v31
	s_and_b64 s[36:37], vcc, exec
	s_or_b64 s[30:31], s[30:31], s[36:37]
.LBB1528_260:                           ;   in Loop: Header=BB1528_261 Depth=1
	s_and_b64 s[36:37], exec, s[30:31]
	s_or_b64 s[28:29], s[36:37], s[28:29]
	v_mov_b64_e32 v[30:31], s[34:35]
	s_andn2_b64 exec, exec, s[28:29]
	s_cbranch_execz .LBB1528_264
.LBB1528_261:                           ; =>This Inner Loop Header: Depth=1
	s_or_b64 s[30:31], s[30:31], exec
	s_cmp_eq_u64 s[26:27], s[34:35]
	s_cbranch_scc0 .LBB1528_259
; %bb.262:                              ;   in Loop: Header=BB1528_261 Depth=1
                                        ; implicit-def: $vgpr26_vgpr27
                                        ; implicit-def: $vgpr28_vgpr29
	s_mov_b64 s[34:35], s[12:13]
	s_branch .LBB1528_260
.LBB1528_263:
	v_mov_b64_e32 v[66:67], 0
	s_branch .LBB1528_266
.LBB1528_264:
	s_or_b64 exec, exec, s[28:29]
	v_cmp_gt_i64_e32 vcc, s[12:13], v[30:31]
	s_mov_b32 s26, 0
	v_mov_b32_e32 v67, s26
	v_cndmask_b32_e64 v66, 0, 1, vcc
.LBB1528_265:
	s_or_b64 exec, exec, s[24:25]
.LBB1528_266:
	s_or_b64 exec, exec, s[22:23]
	v_add_u32_e32 v26, 2, v1
	v_cmp_gt_u32_e32 vcc, s7, v26
	v_mov_b64_e32 v[68:69], v[6:7]
	s_and_saveexec_b64 s[22:23], vcc
	s_cbranch_execz .LBB1528_277
; %bb.267:
	s_and_b64 vcc, exec, s[2:3]
	s_cbranch_vccnz .LBB1528_274
; %bb.268:
	v_mul_lo_u32 v28, v7, s12
	v_mul_lo_u32 v29, v6, s13
	v_mad_u64_u32 v[26:27], s[24:25], v6, s12, 0
	v_add3_u32 v27, v27, v29, v28
	v_mul_lo_u32 v28, v5, s12
	v_mul_lo_u32 v29, v4, s13
	v_mad_u64_u32 v[30:31], s[24:25], v4, s12, 0
	v_add3_u32 v31, v31, v29, v28
	v_lshl_add_u64 v[28:29], v[26:27], 2, s[14:15]
	v_lshl_add_u64 v[26:27], v[30:31], 2, s[14:15]
	global_load_dword v30, v[28:29], off
	global_load_dword v31, v[26:27], off
	v_mov_b64_e32 v[68:69], 1
	s_waitcnt vmcnt(0)
	v_cmp_eq_u32_e32 vcc, v30, v31
	s_and_saveexec_b64 s[24:25], vcc
	s_cbranch_execz .LBB1528_276
; %bb.269:
	s_add_u32 s26, s12, -1
	v_lshl_add_u64 v[26:27], v[26:27], 0, 4
	v_lshl_add_u64 v[28:29], v[28:29], 0, 4
	s_addc_u32 s27, s13, -1
	s_mov_b64 s[28:29], 0
	s_mov_b64 s[34:35], 0
                                        ; implicit-def: $sgpr30_sgpr31
	s_branch .LBB1528_272
.LBB1528_270:                           ;   in Loop: Header=BB1528_272 Depth=1
	global_load_dword v30, v[28:29], off
	global_load_dword v31, v[26:27], off
	s_add_u32 s34, s34, 1
	s_addc_u32 s35, s35, 0
	s_andn2_b64 s[30:31], s[30:31], exec
	v_lshl_add_u64 v[26:27], v[26:27], 0, 4
	v_lshl_add_u64 v[28:29], v[28:29], 0, 4
	s_waitcnt vmcnt(0)
	v_cmp_ne_u32_e32 vcc, v30, v31
	s_and_b64 s[36:37], vcc, exec
	s_or_b64 s[30:31], s[30:31], s[36:37]
.LBB1528_271:                           ;   in Loop: Header=BB1528_272 Depth=1
	s_and_b64 s[36:37], exec, s[30:31]
	s_or_b64 s[28:29], s[36:37], s[28:29]
	v_mov_b64_e32 v[30:31], s[34:35]
	s_andn2_b64 exec, exec, s[28:29]
	s_cbranch_execz .LBB1528_275
.LBB1528_272:                           ; =>This Inner Loop Header: Depth=1
	s_or_b64 s[30:31], s[30:31], exec
	s_cmp_eq_u64 s[26:27], s[34:35]
	s_cbranch_scc0 .LBB1528_270
; %bb.273:                              ;   in Loop: Header=BB1528_272 Depth=1
                                        ; implicit-def: $vgpr26_vgpr27
                                        ; implicit-def: $vgpr28_vgpr29
	s_mov_b64 s[34:35], s[12:13]
	s_branch .LBB1528_271
.LBB1528_274:
	v_mov_b64_e32 v[68:69], 0
	s_branch .LBB1528_277
.LBB1528_275:
	s_or_b64 exec, exec, s[28:29]
	v_cmp_gt_i64_e32 vcc, s[12:13], v[30:31]
	s_mov_b32 s26, 0
	v_mov_b32_e32 v69, s26
	v_cndmask_b32_e64 v68, 0, 1, vcc
.LBB1528_276:
	s_or_b64 exec, exec, s[24:25]
.LBB1528_277:
	s_or_b64 exec, exec, s[22:23]
	v_add_u32_e32 v26, 1, v1
	v_cmp_gt_u32_e32 vcc, s7, v26
	v_mov_b64_e32 v[70:71], v[4:5]
	s_and_saveexec_b64 s[22:23], vcc
	s_cbranch_execz .LBB1528_288
; %bb.278:
	s_and_b64 vcc, exec, s[2:3]
	s_cbranch_vccnz .LBB1528_285
; %bb.279:
	v_mul_lo_u32 v28, v5, s12
	v_mul_lo_u32 v29, v4, s13
	v_mad_u64_u32 v[26:27], s[24:25], v4, s12, 0
	v_add3_u32 v27, v27, v29, v28
	v_mul_lo_u32 v28, v3, s12
	v_mul_lo_u32 v29, v2, s13
	v_mad_u64_u32 v[30:31], s[24:25], v2, s12, 0
	v_add3_u32 v31, v31, v29, v28
	v_lshl_add_u64 v[28:29], v[26:27], 2, s[14:15]
	v_lshl_add_u64 v[26:27], v[30:31], 2, s[14:15]
	global_load_dword v30, v[28:29], off
	global_load_dword v31, v[26:27], off
	v_mov_b64_e32 v[70:71], 1
	s_waitcnt vmcnt(0)
	v_cmp_eq_u32_e32 vcc, v30, v31
	s_and_saveexec_b64 s[24:25], vcc
	s_cbranch_execz .LBB1528_287
; %bb.280:
	s_add_u32 s26, s12, -1
	v_lshl_add_u64 v[26:27], v[26:27], 0, 4
	v_lshl_add_u64 v[28:29], v[28:29], 0, 4
	s_addc_u32 s27, s13, -1
	s_mov_b64 s[28:29], 0
	s_mov_b64 s[34:35], 0
                                        ; implicit-def: $sgpr30_sgpr31
	s_branch .LBB1528_283
.LBB1528_281:                           ;   in Loop: Header=BB1528_283 Depth=1
	global_load_dword v30, v[28:29], off
	global_load_dword v31, v[26:27], off
	s_add_u32 s34, s34, 1
	s_addc_u32 s35, s35, 0
	s_andn2_b64 s[30:31], s[30:31], exec
	v_lshl_add_u64 v[26:27], v[26:27], 0, 4
	v_lshl_add_u64 v[28:29], v[28:29], 0, 4
	s_waitcnt vmcnt(0)
	v_cmp_ne_u32_e32 vcc, v30, v31
	s_and_b64 s[36:37], vcc, exec
	s_or_b64 s[30:31], s[30:31], s[36:37]
.LBB1528_282:                           ;   in Loop: Header=BB1528_283 Depth=1
	s_and_b64 s[36:37], exec, s[30:31]
	s_or_b64 s[28:29], s[36:37], s[28:29]
	v_mov_b64_e32 v[30:31], s[34:35]
	s_andn2_b64 exec, exec, s[28:29]
	s_cbranch_execz .LBB1528_286
.LBB1528_283:                           ; =>This Inner Loop Header: Depth=1
	s_or_b64 s[30:31], s[30:31], exec
	s_cmp_eq_u64 s[26:27], s[34:35]
	s_cbranch_scc0 .LBB1528_281
; %bb.284:                              ;   in Loop: Header=BB1528_283 Depth=1
                                        ; implicit-def: $vgpr26_vgpr27
                                        ; implicit-def: $vgpr28_vgpr29
	s_mov_b64 s[34:35], s[12:13]
	s_branch .LBB1528_282
.LBB1528_285:
	v_mov_b64_e32 v[70:71], 0
	s_branch .LBB1528_288
.LBB1528_286:
	s_or_b64 exec, exec, s[28:29]
	v_cmp_gt_i64_e32 vcc, s[12:13], v[30:31]
	s_mov_b32 s26, 0
	v_mov_b32_e32 v71, s26
	v_cndmask_b32_e64 v70, 0, 1, vcc
.LBB1528_287:
	s_or_b64 exec, exec, s[24:25]
.LBB1528_288:
	s_or_b64 exec, exec, s[22:23]
	v_cmp_ne_u32_e32 vcc, 0, v0
	v_mov_b64_e32 v[26:27], s[20:21]
	s_waitcnt lgkmcnt(0)
	; wave barrier
	s_waitcnt lgkmcnt(0)
	s_and_saveexec_b64 s[20:21], vcc
	s_cbranch_execz .LBB1528_290
; %bb.289:
	v_add_u32_e32 v26, -8, v48
	ds_read_b64 v[26:27], v26
.LBB1528_290:
	s_or_b64 exec, exec, s[20:21]
	v_cmp_gt_u32_e32 vcc, s7, v1
                                        ; implicit-def: $sgpr24_sgpr25
	s_and_saveexec_b64 s[20:21], vcc
	s_cbranch_execz .LBB1528_302
; %bb.291:
	s_and_b64 vcc, exec, s[2:3]
	s_cbranch_vccnz .LBB1528_298
; %bb.292:
	v_mul_lo_u32 v1, v3, s12
	v_mul_lo_u32 v30, v2, s13
	v_mad_u64_u32 v[28:29], s[2:3], v2, s12, 0
	v_add3_u32 v29, v29, v30, v1
	s_waitcnt lgkmcnt(0)
	v_mul_lo_u32 v1, v27, s12
	v_mul_lo_u32 v30, v26, s13
	v_mad_u64_u32 v[26:27], s[2:3], v26, s12, 0
	v_add3_u32 v27, v27, v30, v1
	v_lshl_add_u64 v[28:29], v[28:29], 2, s[14:15]
	v_lshl_add_u64 v[26:27], v[26:27], 2, s[14:15]
	global_load_dword v1, v[28:29], off
	global_load_dword v30, v[26:27], off
	s_mov_b64 s[22:23], -1
	s_waitcnt vmcnt(0)
	v_cmp_eq_u32_e32 vcc, v1, v30
	s_and_saveexec_b64 s[2:3], vcc
	s_cbranch_execz .LBB1528_300
; %bb.293:
	s_add_u32 s22, s12, -1
	v_lshl_add_u64 v[26:27], v[26:27], 0, 4
	v_lshl_add_u64 v[28:29], v[28:29], 0, 4
	s_addc_u32 s23, s13, -1
	s_mov_b64 s[24:25], 0
	s_mov_b64 s[28:29], 0
                                        ; implicit-def: $sgpr26_sgpr27
	s_branch .LBB1528_296
.LBB1528_294:                           ;   in Loop: Header=BB1528_296 Depth=1
	global_load_dword v1, v[28:29], off
	global_load_dword v30, v[26:27], off
	s_add_u32 s28, s28, 1
	s_addc_u32 s29, s29, 0
	s_andn2_b64 s[26:27], s[26:27], exec
	v_lshl_add_u64 v[26:27], v[26:27], 0, 4
	v_lshl_add_u64 v[28:29], v[28:29], 0, 4
	s_waitcnt vmcnt(0)
	v_cmp_ne_u32_e32 vcc, v1, v30
	s_and_b64 s[30:31], vcc, exec
	s_or_b64 s[26:27], s[26:27], s[30:31]
.LBB1528_295:                           ;   in Loop: Header=BB1528_296 Depth=1
	s_and_b64 s[30:31], exec, s[26:27]
	s_or_b64 s[24:25], s[30:31], s[24:25]
	v_mov_b64_e32 v[30:31], s[28:29]
	s_andn2_b64 exec, exec, s[24:25]
	s_cbranch_execz .LBB1528_299
.LBB1528_296:                           ; =>This Inner Loop Header: Depth=1
	s_or_b64 s[26:27], s[26:27], exec
	s_cmp_eq_u64 s[22:23], s[28:29]
	s_cbranch_scc0 .LBB1528_294
; %bb.297:                              ;   in Loop: Header=BB1528_296 Depth=1
                                        ; implicit-def: $vgpr26_vgpr27
                                        ; implicit-def: $vgpr28_vgpr29
	s_mov_b64 s[28:29], s[12:13]
	s_branch .LBB1528_295
.LBB1528_298:
	s_mov_b64 s[22:23], 0
	s_branch .LBB1528_301
.LBB1528_299:
	s_or_b64 exec, exec, s[24:25]
	v_cmp_gt_i64_e32 vcc, s[12:13], v[30:31]
	s_orn2_b64 s[22:23], vcc, exec
.LBB1528_300:
	s_or_b64 exec, exec, s[2:3]
.LBB1528_301:
	s_and_b64 s[24:25], s[22:23], exec
	s_or_b64 s[18:19], s[18:19], exec
.LBB1528_302:
	s_or_b64 exec, exec, s[20:21]
	v_mov_b64_e32 v[72:73], v[52:53]
	s_waitcnt lgkmcnt(0)
	v_mov_b64_e32 v[26:27], v[46:47]
	v_mov_b64_e32 v[82:83], v[70:71]
	;; [unrolled: 1-line block ×10, first 2 shown]
	s_branch .LBB1528_572
.LBB1528_303:
	s_cmp_lg_u64 s[4:5], 1
	s_cbranch_scc0 .LBB1528_311
; %bb.304:
	v_mul_lo_u32 v1, v25, s12
	v_mul_lo_u32 v28, v24, s13
	s_waitcnt lgkmcnt(0)
	v_mad_u64_u32 v[26:27], s[20:21], v24, s12, 0
	v_mov_b64_e32 v[46:47], 0
	v_cmp_lt_i64_e64 s[2:3], s[12:13], 1
	v_add3_u32 v27, v27, v28, v1
	v_cmp_gt_i64_e64 s[4:5], s[12:13], 0
	s_and_b64 vcc, exec, s[2:3]
	v_lshl_add_u64 v[26:27], v[26:27], 2, s[14:15]
	v_mov_b64_e32 v[50:51], v[46:47]
	ds_write_b64 v48, v[44:45]
	s_cbranch_vccnz .LBB1528_314
; %bb.305:
	v_mul_lo_u32 v1, v45, s12
	v_mul_lo_u32 v30, v44, s13
	v_mad_u64_u32 v[28:29], s[2:3], v44, s12, 0
	v_add3_u32 v29, v29, v30, v1
	v_lshl_add_u64 v[30:31], v[28:29], 2, s[14:15]
	global_load_dword v1, v[30:31], off
	global_load_dword v28, v[26:27], off
	v_mov_b64_e32 v[50:51], 1
	s_waitcnt vmcnt(0)
	v_cmp_eq_u32_e32 vcc, v1, v28
	s_and_saveexec_b64 s[2:3], vcc
	s_cbranch_execz .LBB1528_313
; %bb.306:
	s_add_u32 s20, s12, -1
	v_lshl_add_u64 v[28:29], v[26:27], 0, 4
	v_lshl_add_u64 v[30:31], v[30:31], 0, 4
	s_addc_u32 s21, s13, -1
	s_mov_b64 s[22:23], 0
	s_mov_b64 s[26:27], 0
                                        ; implicit-def: $sgpr24_sgpr25
	s_branch .LBB1528_309
.LBB1528_307:                           ;   in Loop: Header=BB1528_309 Depth=1
	global_load_dword v1, v[30:31], off
	global_load_dword v32, v[28:29], off
	s_add_u32 s26, s26, 1
	s_addc_u32 s27, s27, 0
	s_andn2_b64 s[24:25], s[24:25], exec
	v_lshl_add_u64 v[28:29], v[28:29], 0, 4
	v_lshl_add_u64 v[30:31], v[30:31], 0, 4
	s_waitcnt vmcnt(0)
	v_cmp_ne_u32_e32 vcc, v1, v32
	s_and_b64 s[28:29], vcc, exec
	s_or_b64 s[24:25], s[24:25], s[28:29]
.LBB1528_308:                           ;   in Loop: Header=BB1528_309 Depth=1
	s_and_b64 s[28:29], exec, s[24:25]
	s_or_b64 s[22:23], s[28:29], s[22:23]
	v_mov_b64_e32 v[32:33], s[26:27]
	s_andn2_b64 exec, exec, s[22:23]
	s_cbranch_execz .LBB1528_312
.LBB1528_309:                           ; =>This Inner Loop Header: Depth=1
	s_or_b64 s[24:25], s[24:25], exec
	s_cmp_eq_u64 s[20:21], s[26:27]
	s_cbranch_scc0 .LBB1528_307
; %bb.310:                              ;   in Loop: Header=BB1528_309 Depth=1
                                        ; implicit-def: $vgpr28_vgpr29
                                        ; implicit-def: $vgpr30_vgpr31
	s_mov_b64 s[26:27], s[12:13]
	s_branch .LBB1528_308
.LBB1528_311:
                                        ; implicit-def: $vgpr26_vgpr27_vgpr28_vgpr29
                                        ; implicit-def: $sgpr24_sgpr25
                                        ; implicit-def: $vgpr50_vgpr51
                                        ; implicit-def: $vgpr52_vgpr53
                                        ; implicit-def: $vgpr46_vgpr47
                                        ; implicit-def: $vgpr70_vgpr71
                                        ; implicit-def: $vgpr68_vgpr69
                                        ; implicit-def: $vgpr66_vgpr67
                                        ; implicit-def: $vgpr64_vgpr65
                                        ; implicit-def: $vgpr62_vgpr63
                                        ; implicit-def: $vgpr60_vgpr61
                                        ; implicit-def: $vgpr58_vgpr59
                                        ; implicit-def: $vgpr56_vgpr57
                                        ; implicit-def: $vgpr54_vgpr55
                                        ; implicit-def: $vgpr72_vgpr73
                                        ; implicit-def: $vgpr82_vgpr83
                                        ; implicit-def: $vgpr74_vgpr75
                                        ; implicit-def: $vgpr76_vgpr77
                                        ; implicit-def: $vgpr78_vgpr79
                                        ; implicit-def: $vgpr80_vgpr81
                                        ; implicit-def: $vgpr28_vgpr29_vgpr30_vgpr31
                                        ; implicit-def: $vgpr32_vgpr33_vgpr34_vgpr35
                                        ; implicit-def: $vgpr36_vgpr37_vgpr38_vgpr39
                                        ; implicit-def: $vgpr40_vgpr41_vgpr42_vgpr43
	s_cbranch_execnz .LBB1528_427
	s_branch .LBB1528_572
.LBB1528_312:
	s_or_b64 exec, exec, s[22:23]
	v_cmp_gt_i64_e32 vcc, s[12:13], v[32:33]
	s_mov_b32 s7, 0
	v_mov_b32_e32 v51, s7
	v_cndmask_b32_e64 v50, 0, 1, vcc
.LBB1528_313:
	s_or_b64 exec, exec, s[2:3]
.LBB1528_314:
	v_mul_lo_u32 v1, v23, s12
	v_mul_lo_u32 v30, v22, s13
	v_mad_u64_u32 v[28:29], s[2:3], v22, s12, 0
	v_add3_u32 v29, v29, v30, v1
	v_cndmask_b32_e64 v1, 0, 1, s[4:5]
	v_cmp_ne_u32_e64 s[2:3], 1, v1
	s_andn2_b64 vcc, exec, s[4:5]
	v_lshl_add_u64 v[28:29], v[28:29], 2, s[14:15]
	v_mov_b64_e32 v[52:53], v[46:47]
	s_cbranch_vccnz .LBB1528_323
; %bb.315:
	global_load_dword v1, v[26:27], off
	global_load_dword v30, v[28:29], off
	v_mov_b64_e32 v[52:53], 1
	s_waitcnt vmcnt(0)
	v_cmp_eq_u32_e32 vcc, v1, v30
	s_and_saveexec_b64 s[4:5], vcc
	s_cbranch_execz .LBB1528_322
; %bb.316:
	s_add_u32 s20, s12, -1
	v_lshl_add_u64 v[30:31], v[28:29], 0, 4
	v_lshl_add_u64 v[26:27], v[26:27], 0, 4
	s_addc_u32 s21, s13, -1
	s_mov_b64 s[22:23], 0
	s_mov_b64 s[26:27], 0
                                        ; implicit-def: $sgpr24_sgpr25
	s_branch .LBB1528_319
.LBB1528_317:                           ;   in Loop: Header=BB1528_319 Depth=1
	global_load_dword v1, v[26:27], off
	global_load_dword v32, v[30:31], off
	s_add_u32 s26, s26, 1
	s_addc_u32 s27, s27, 0
	s_andn2_b64 s[24:25], s[24:25], exec
	v_lshl_add_u64 v[30:31], v[30:31], 0, 4
	v_lshl_add_u64 v[26:27], v[26:27], 0, 4
	s_waitcnt vmcnt(0)
	v_cmp_ne_u32_e32 vcc, v1, v32
	s_and_b64 s[28:29], vcc, exec
	s_or_b64 s[24:25], s[24:25], s[28:29]
.LBB1528_318:                           ;   in Loop: Header=BB1528_319 Depth=1
	s_and_b64 s[28:29], exec, s[24:25]
	s_or_b64 s[22:23], s[28:29], s[22:23]
	v_mov_b64_e32 v[32:33], s[26:27]
	s_andn2_b64 exec, exec, s[22:23]
	s_cbranch_execz .LBB1528_321
.LBB1528_319:                           ; =>This Inner Loop Header: Depth=1
	s_or_b64 s[24:25], s[24:25], exec
	s_cmp_eq_u64 s[20:21], s[26:27]
	s_cbranch_scc0 .LBB1528_317
; %bb.320:                              ;   in Loop: Header=BB1528_319 Depth=1
                                        ; implicit-def: $vgpr30_vgpr31
                                        ; implicit-def: $vgpr26_vgpr27
	s_mov_b64 s[26:27], s[12:13]
	s_branch .LBB1528_318
.LBB1528_321:
	s_or_b64 exec, exec, s[22:23]
	v_cmp_gt_i64_e32 vcc, s[12:13], v[32:33]
	s_mov_b32 s7, 0
	v_mov_b32_e32 v53, s7
	v_cndmask_b32_e64 v52, 0, 1, vcc
.LBB1528_322:
	s_or_b64 exec, exec, s[4:5]
.LBB1528_323:
	v_mul_lo_u32 v1, v21, s12
	v_mul_lo_u32 v30, v20, s13
	v_mad_u64_u32 v[26:27], s[4:5], v20, s12, 0
	v_add3_u32 v27, v27, v30, v1
	s_and_b64 vcc, exec, s[2:3]
	v_lshl_add_u64 v[26:27], v[26:27], 2, s[14:15]
	s_cbranch_vccnz .LBB1528_332
; %bb.324:
	global_load_dword v1, v[28:29], off
	global_load_dword v30, v[26:27], off
	v_mov_b64_e32 v[46:47], 1
	s_waitcnt vmcnt(0)
	v_cmp_eq_u32_e32 vcc, v1, v30
	s_and_saveexec_b64 s[4:5], vcc
	s_cbranch_execz .LBB1528_331
; %bb.325:
	s_add_u32 s20, s12, -1
	v_lshl_add_u64 v[30:31], v[26:27], 0, 4
	v_lshl_add_u64 v[28:29], v[28:29], 0, 4
	s_addc_u32 s21, s13, -1
	s_mov_b64 s[22:23], 0
	s_mov_b64 s[26:27], 0
                                        ; implicit-def: $sgpr24_sgpr25
	s_branch .LBB1528_328
.LBB1528_326:                           ;   in Loop: Header=BB1528_328 Depth=1
	global_load_dword v1, v[28:29], off
	global_load_dword v32, v[30:31], off
	s_add_u32 s26, s26, 1
	s_addc_u32 s27, s27, 0
	s_andn2_b64 s[24:25], s[24:25], exec
	v_lshl_add_u64 v[30:31], v[30:31], 0, 4
	v_lshl_add_u64 v[28:29], v[28:29], 0, 4
	s_waitcnt vmcnt(0)
	v_cmp_ne_u32_e32 vcc, v1, v32
	s_and_b64 s[28:29], vcc, exec
	s_or_b64 s[24:25], s[24:25], s[28:29]
.LBB1528_327:                           ;   in Loop: Header=BB1528_328 Depth=1
	s_and_b64 s[28:29], exec, s[24:25]
	s_or_b64 s[22:23], s[28:29], s[22:23]
	v_mov_b64_e32 v[32:33], s[26:27]
	s_andn2_b64 exec, exec, s[22:23]
	s_cbranch_execz .LBB1528_330
.LBB1528_328:                           ; =>This Inner Loop Header: Depth=1
	s_or_b64 s[24:25], s[24:25], exec
	s_cmp_eq_u64 s[20:21], s[26:27]
	s_cbranch_scc0 .LBB1528_326
; %bb.329:                              ;   in Loop: Header=BB1528_328 Depth=1
                                        ; implicit-def: $vgpr30_vgpr31
                                        ; implicit-def: $vgpr28_vgpr29
	s_mov_b64 s[26:27], s[12:13]
	s_branch .LBB1528_327
.LBB1528_330:
	s_or_b64 exec, exec, s[22:23]
	v_cmp_gt_i64_e32 vcc, s[12:13], v[32:33]
	s_mov_b32 s7, 0
	v_mov_b32_e32 v47, s7
	v_cndmask_b32_e64 v46, 0, 1, vcc
.LBB1528_331:
	s_or_b64 exec, exec, s[4:5]
.LBB1528_332:
	v_mul_lo_u32 v1, v19, s12
	v_mul_lo_u32 v30, v18, s13
	v_mad_u64_u32 v[28:29], s[4:5], v18, s12, 0
	v_add3_u32 v29, v29, v30, v1
	v_mov_b64_e32 v[56:57], 0
	s_and_b64 vcc, exec, s[2:3]
	v_lshl_add_u64 v[28:29], v[28:29], 2, s[14:15]
	v_mov_b64_e32 v[54:55], v[56:57]
	s_cbranch_vccnz .LBB1528_341
; %bb.333:
	global_load_dword v1, v[26:27], off
	global_load_dword v30, v[28:29], off
	v_mov_b64_e32 v[54:55], 1
	s_waitcnt vmcnt(0)
	v_cmp_eq_u32_e32 vcc, v1, v30
	s_and_saveexec_b64 s[4:5], vcc
	s_cbranch_execz .LBB1528_340
; %bb.334:
	s_add_u32 s20, s12, -1
	v_lshl_add_u64 v[30:31], v[28:29], 0, 4
	v_lshl_add_u64 v[26:27], v[26:27], 0, 4
	s_addc_u32 s21, s13, -1
	s_mov_b64 s[22:23], 0
	s_mov_b64 s[26:27], 0
                                        ; implicit-def: $sgpr24_sgpr25
	s_branch .LBB1528_337
.LBB1528_335:                           ;   in Loop: Header=BB1528_337 Depth=1
	global_load_dword v1, v[26:27], off
	global_load_dword v32, v[30:31], off
	s_add_u32 s26, s26, 1
	s_addc_u32 s27, s27, 0
	s_andn2_b64 s[24:25], s[24:25], exec
	v_lshl_add_u64 v[30:31], v[30:31], 0, 4
	v_lshl_add_u64 v[26:27], v[26:27], 0, 4
	s_waitcnt vmcnt(0)
	v_cmp_ne_u32_e32 vcc, v1, v32
	s_and_b64 s[28:29], vcc, exec
	s_or_b64 s[24:25], s[24:25], s[28:29]
.LBB1528_336:                           ;   in Loop: Header=BB1528_337 Depth=1
	s_and_b64 s[28:29], exec, s[24:25]
	s_or_b64 s[22:23], s[28:29], s[22:23]
	v_mov_b64_e32 v[32:33], s[26:27]
	s_andn2_b64 exec, exec, s[22:23]
	s_cbranch_execz .LBB1528_339
.LBB1528_337:                           ; =>This Inner Loop Header: Depth=1
	s_or_b64 s[24:25], s[24:25], exec
	s_cmp_eq_u64 s[20:21], s[26:27]
	s_cbranch_scc0 .LBB1528_335
; %bb.338:                              ;   in Loop: Header=BB1528_337 Depth=1
                                        ; implicit-def: $vgpr30_vgpr31
                                        ; implicit-def: $vgpr26_vgpr27
	s_mov_b64 s[26:27], s[12:13]
	s_branch .LBB1528_336
.LBB1528_339:
	s_or_b64 exec, exec, s[22:23]
	v_cmp_gt_i64_e32 vcc, s[12:13], v[32:33]
	s_mov_b32 s7, 0
	v_mov_b32_e32 v55, s7
	v_cndmask_b32_e64 v54, 0, 1, vcc
.LBB1528_340:
	s_or_b64 exec, exec, s[4:5]
.LBB1528_341:
	v_mul_lo_u32 v1, v17, s12
	v_mul_lo_u32 v30, v16, s13
	v_mad_u64_u32 v[26:27], s[4:5], v16, s12, 0
	v_add3_u32 v27, v27, v30, v1
	s_and_b64 vcc, exec, s[2:3]
	v_lshl_add_u64 v[26:27], v[26:27], 2, s[14:15]
	s_cbranch_vccnz .LBB1528_350
; %bb.342:
	global_load_dword v1, v[28:29], off
	global_load_dword v30, v[26:27], off
	v_mov_b64_e32 v[56:57], 1
	s_waitcnt vmcnt(0)
	v_cmp_eq_u32_e32 vcc, v1, v30
	s_and_saveexec_b64 s[4:5], vcc
	s_cbranch_execz .LBB1528_349
; %bb.343:
	s_add_u32 s20, s12, -1
	v_lshl_add_u64 v[30:31], v[26:27], 0, 4
	v_lshl_add_u64 v[28:29], v[28:29], 0, 4
	s_addc_u32 s21, s13, -1
	s_mov_b64 s[22:23], 0
	s_mov_b64 s[26:27], 0
                                        ; implicit-def: $sgpr24_sgpr25
	s_branch .LBB1528_346
.LBB1528_344:                           ;   in Loop: Header=BB1528_346 Depth=1
	global_load_dword v1, v[28:29], off
	global_load_dword v32, v[30:31], off
	s_add_u32 s26, s26, 1
	s_addc_u32 s27, s27, 0
	s_andn2_b64 s[24:25], s[24:25], exec
	v_lshl_add_u64 v[30:31], v[30:31], 0, 4
	v_lshl_add_u64 v[28:29], v[28:29], 0, 4
	s_waitcnt vmcnt(0)
	v_cmp_ne_u32_e32 vcc, v1, v32
	s_and_b64 s[28:29], vcc, exec
	s_or_b64 s[24:25], s[24:25], s[28:29]
.LBB1528_345:                           ;   in Loop: Header=BB1528_346 Depth=1
	s_and_b64 s[28:29], exec, s[24:25]
	s_or_b64 s[22:23], s[28:29], s[22:23]
	v_mov_b64_e32 v[32:33], s[26:27]
	s_andn2_b64 exec, exec, s[22:23]
	s_cbranch_execz .LBB1528_348
.LBB1528_346:                           ; =>This Inner Loop Header: Depth=1
	s_or_b64 s[24:25], s[24:25], exec
	s_cmp_eq_u64 s[20:21], s[26:27]
	s_cbranch_scc0 .LBB1528_344
; %bb.347:                              ;   in Loop: Header=BB1528_346 Depth=1
                                        ; implicit-def: $vgpr30_vgpr31
                                        ; implicit-def: $vgpr28_vgpr29
	s_mov_b64 s[26:27], s[12:13]
	s_branch .LBB1528_345
.LBB1528_348:
	s_or_b64 exec, exec, s[22:23]
	v_cmp_gt_i64_e32 vcc, s[12:13], v[32:33]
	s_mov_b32 s7, 0
	v_mov_b32_e32 v57, s7
	v_cndmask_b32_e64 v56, 0, 1, vcc
.LBB1528_349:
	s_or_b64 exec, exec, s[4:5]
.LBB1528_350:
	v_mul_lo_u32 v1, v15, s12
	v_mul_lo_u32 v30, v14, s13
	v_mad_u64_u32 v[28:29], s[4:5], v14, s12, 0
	v_add3_u32 v29, v29, v30, v1
	v_mov_b64_e32 v[60:61], 0
	s_and_b64 vcc, exec, s[2:3]
	v_lshl_add_u64 v[28:29], v[28:29], 2, s[14:15]
	v_mov_b64_e32 v[58:59], v[60:61]
	s_cbranch_vccnz .LBB1528_359
; %bb.351:
	global_load_dword v1, v[26:27], off
	global_load_dword v30, v[28:29], off
	v_mov_b64_e32 v[58:59], 1
	s_waitcnt vmcnt(0)
	v_cmp_eq_u32_e32 vcc, v1, v30
	s_and_saveexec_b64 s[4:5], vcc
	s_cbranch_execz .LBB1528_358
; %bb.352:
	s_add_u32 s20, s12, -1
	v_lshl_add_u64 v[30:31], v[28:29], 0, 4
	v_lshl_add_u64 v[26:27], v[26:27], 0, 4
	s_addc_u32 s21, s13, -1
	s_mov_b64 s[22:23], 0
	s_mov_b64 s[26:27], 0
                                        ; implicit-def: $sgpr24_sgpr25
	s_branch .LBB1528_355
.LBB1528_353:                           ;   in Loop: Header=BB1528_355 Depth=1
	global_load_dword v1, v[26:27], off
	global_load_dword v32, v[30:31], off
	s_add_u32 s26, s26, 1
	s_addc_u32 s27, s27, 0
	s_andn2_b64 s[24:25], s[24:25], exec
	v_lshl_add_u64 v[30:31], v[30:31], 0, 4
	v_lshl_add_u64 v[26:27], v[26:27], 0, 4
	s_waitcnt vmcnt(0)
	v_cmp_ne_u32_e32 vcc, v1, v32
	s_and_b64 s[28:29], vcc, exec
	s_or_b64 s[24:25], s[24:25], s[28:29]
.LBB1528_354:                           ;   in Loop: Header=BB1528_355 Depth=1
	s_and_b64 s[28:29], exec, s[24:25]
	s_or_b64 s[22:23], s[28:29], s[22:23]
	v_mov_b64_e32 v[32:33], s[26:27]
	s_andn2_b64 exec, exec, s[22:23]
	s_cbranch_execz .LBB1528_357
.LBB1528_355:                           ; =>This Inner Loop Header: Depth=1
	s_or_b64 s[24:25], s[24:25], exec
	s_cmp_eq_u64 s[20:21], s[26:27]
	s_cbranch_scc0 .LBB1528_353
; %bb.356:                              ;   in Loop: Header=BB1528_355 Depth=1
                                        ; implicit-def: $vgpr30_vgpr31
                                        ; implicit-def: $vgpr26_vgpr27
	s_mov_b64 s[26:27], s[12:13]
	s_branch .LBB1528_354
.LBB1528_357:
	s_or_b64 exec, exec, s[22:23]
	v_cmp_gt_i64_e32 vcc, s[12:13], v[32:33]
	s_mov_b32 s7, 0
	v_mov_b32_e32 v59, s7
	v_cndmask_b32_e64 v58, 0, 1, vcc
.LBB1528_358:
	s_or_b64 exec, exec, s[4:5]
.LBB1528_359:
	v_mul_lo_u32 v1, v13, s12
	v_mul_lo_u32 v30, v12, s13
	v_mad_u64_u32 v[26:27], s[4:5], v12, s12, 0
	v_add3_u32 v27, v27, v30, v1
	s_and_b64 vcc, exec, s[2:3]
	v_lshl_add_u64 v[26:27], v[26:27], 2, s[14:15]
	s_cbranch_vccnz .LBB1528_368
; %bb.360:
	global_load_dword v1, v[28:29], off
	global_load_dword v30, v[26:27], off
	v_mov_b64_e32 v[60:61], 1
	s_waitcnt vmcnt(0)
	v_cmp_eq_u32_e32 vcc, v1, v30
	s_and_saveexec_b64 s[4:5], vcc
	s_cbranch_execz .LBB1528_367
; %bb.361:
	s_add_u32 s20, s12, -1
	v_lshl_add_u64 v[30:31], v[26:27], 0, 4
	v_lshl_add_u64 v[28:29], v[28:29], 0, 4
	s_addc_u32 s21, s13, -1
	s_mov_b64 s[22:23], 0
	s_mov_b64 s[26:27], 0
                                        ; implicit-def: $sgpr24_sgpr25
	s_branch .LBB1528_364
.LBB1528_362:                           ;   in Loop: Header=BB1528_364 Depth=1
	global_load_dword v1, v[28:29], off
	global_load_dword v32, v[30:31], off
	s_add_u32 s26, s26, 1
	s_addc_u32 s27, s27, 0
	s_andn2_b64 s[24:25], s[24:25], exec
	v_lshl_add_u64 v[30:31], v[30:31], 0, 4
	v_lshl_add_u64 v[28:29], v[28:29], 0, 4
	s_waitcnt vmcnt(0)
	v_cmp_ne_u32_e32 vcc, v1, v32
	s_and_b64 s[28:29], vcc, exec
	s_or_b64 s[24:25], s[24:25], s[28:29]
.LBB1528_363:                           ;   in Loop: Header=BB1528_364 Depth=1
	s_and_b64 s[28:29], exec, s[24:25]
	s_or_b64 s[22:23], s[28:29], s[22:23]
	v_mov_b64_e32 v[32:33], s[26:27]
	s_andn2_b64 exec, exec, s[22:23]
	s_cbranch_execz .LBB1528_366
.LBB1528_364:                           ; =>This Inner Loop Header: Depth=1
	s_or_b64 s[24:25], s[24:25], exec
	s_cmp_eq_u64 s[20:21], s[26:27]
	s_cbranch_scc0 .LBB1528_362
; %bb.365:                              ;   in Loop: Header=BB1528_364 Depth=1
                                        ; implicit-def: $vgpr30_vgpr31
                                        ; implicit-def: $vgpr28_vgpr29
	s_mov_b64 s[26:27], s[12:13]
	s_branch .LBB1528_363
.LBB1528_366:
	s_or_b64 exec, exec, s[22:23]
	v_cmp_gt_i64_e32 vcc, s[12:13], v[32:33]
	s_mov_b32 s7, 0
	v_mov_b32_e32 v61, s7
	v_cndmask_b32_e64 v60, 0, 1, vcc
.LBB1528_367:
	s_or_b64 exec, exec, s[4:5]
.LBB1528_368:
	v_mul_lo_u32 v1, v11, s12
	v_mul_lo_u32 v30, v10, s13
	v_mad_u64_u32 v[28:29], s[4:5], v10, s12, 0
	v_add3_u32 v29, v29, v30, v1
	v_mov_b64_e32 v[64:65], 0
	s_and_b64 vcc, exec, s[2:3]
	v_lshl_add_u64 v[28:29], v[28:29], 2, s[14:15]
	v_mov_b64_e32 v[62:63], v[64:65]
	s_cbranch_vccnz .LBB1528_377
; %bb.369:
	global_load_dword v1, v[26:27], off
	global_load_dword v30, v[28:29], off
	v_mov_b64_e32 v[62:63], 1
	s_waitcnt vmcnt(0)
	v_cmp_eq_u32_e32 vcc, v1, v30
	s_and_saveexec_b64 s[4:5], vcc
	s_cbranch_execz .LBB1528_376
; %bb.370:
	s_add_u32 s20, s12, -1
	v_lshl_add_u64 v[30:31], v[28:29], 0, 4
	v_lshl_add_u64 v[26:27], v[26:27], 0, 4
	s_addc_u32 s21, s13, -1
	s_mov_b64 s[22:23], 0
	s_mov_b64 s[26:27], 0
                                        ; implicit-def: $sgpr24_sgpr25
	s_branch .LBB1528_373
.LBB1528_371:                           ;   in Loop: Header=BB1528_373 Depth=1
	global_load_dword v1, v[26:27], off
	global_load_dword v32, v[30:31], off
	s_add_u32 s26, s26, 1
	s_addc_u32 s27, s27, 0
	s_andn2_b64 s[24:25], s[24:25], exec
	v_lshl_add_u64 v[30:31], v[30:31], 0, 4
	v_lshl_add_u64 v[26:27], v[26:27], 0, 4
	s_waitcnt vmcnt(0)
	v_cmp_ne_u32_e32 vcc, v1, v32
	s_and_b64 s[28:29], vcc, exec
	s_or_b64 s[24:25], s[24:25], s[28:29]
.LBB1528_372:                           ;   in Loop: Header=BB1528_373 Depth=1
	s_and_b64 s[28:29], exec, s[24:25]
	s_or_b64 s[22:23], s[28:29], s[22:23]
	v_mov_b64_e32 v[32:33], s[26:27]
	s_andn2_b64 exec, exec, s[22:23]
	s_cbranch_execz .LBB1528_375
.LBB1528_373:                           ; =>This Inner Loop Header: Depth=1
	s_or_b64 s[24:25], s[24:25], exec
	s_cmp_eq_u64 s[20:21], s[26:27]
	s_cbranch_scc0 .LBB1528_371
; %bb.374:                              ;   in Loop: Header=BB1528_373 Depth=1
                                        ; implicit-def: $vgpr30_vgpr31
                                        ; implicit-def: $vgpr26_vgpr27
	s_mov_b64 s[26:27], s[12:13]
	s_branch .LBB1528_372
.LBB1528_375:
	s_or_b64 exec, exec, s[22:23]
	v_cmp_gt_i64_e32 vcc, s[12:13], v[32:33]
	s_mov_b32 s7, 0
	v_mov_b32_e32 v63, s7
	v_cndmask_b32_e64 v62, 0, 1, vcc
.LBB1528_376:
	s_or_b64 exec, exec, s[4:5]
.LBB1528_377:
	v_mul_lo_u32 v1, v9, s12
	v_mul_lo_u32 v30, v8, s13
	v_mad_u64_u32 v[26:27], s[4:5], v8, s12, 0
	v_add3_u32 v27, v27, v30, v1
	s_and_b64 vcc, exec, s[2:3]
	v_lshl_add_u64 v[26:27], v[26:27], 2, s[14:15]
	s_cbranch_vccnz .LBB1528_386
; %bb.378:
	global_load_dword v1, v[28:29], off
	global_load_dword v30, v[26:27], off
	v_mov_b64_e32 v[64:65], 1
	s_waitcnt vmcnt(0)
	v_cmp_eq_u32_e32 vcc, v1, v30
	s_and_saveexec_b64 s[4:5], vcc
	s_cbranch_execz .LBB1528_385
; %bb.379:
	s_add_u32 s20, s12, -1
	v_lshl_add_u64 v[30:31], v[26:27], 0, 4
	v_lshl_add_u64 v[28:29], v[28:29], 0, 4
	s_addc_u32 s21, s13, -1
	s_mov_b64 s[22:23], 0
	s_mov_b64 s[26:27], 0
                                        ; implicit-def: $sgpr24_sgpr25
	s_branch .LBB1528_382
.LBB1528_380:                           ;   in Loop: Header=BB1528_382 Depth=1
	global_load_dword v1, v[28:29], off
	global_load_dword v32, v[30:31], off
	s_add_u32 s26, s26, 1
	s_addc_u32 s27, s27, 0
	s_andn2_b64 s[24:25], s[24:25], exec
	v_lshl_add_u64 v[30:31], v[30:31], 0, 4
	v_lshl_add_u64 v[28:29], v[28:29], 0, 4
	s_waitcnt vmcnt(0)
	v_cmp_ne_u32_e32 vcc, v1, v32
	s_and_b64 s[28:29], vcc, exec
	s_or_b64 s[24:25], s[24:25], s[28:29]
.LBB1528_381:                           ;   in Loop: Header=BB1528_382 Depth=1
	s_and_b64 s[28:29], exec, s[24:25]
	s_or_b64 s[22:23], s[28:29], s[22:23]
	v_mov_b64_e32 v[32:33], s[26:27]
	s_andn2_b64 exec, exec, s[22:23]
	s_cbranch_execz .LBB1528_384
.LBB1528_382:                           ; =>This Inner Loop Header: Depth=1
	s_or_b64 s[24:25], s[24:25], exec
	s_cmp_eq_u64 s[20:21], s[26:27]
	s_cbranch_scc0 .LBB1528_380
; %bb.383:                              ;   in Loop: Header=BB1528_382 Depth=1
                                        ; implicit-def: $vgpr30_vgpr31
                                        ; implicit-def: $vgpr28_vgpr29
	s_mov_b64 s[26:27], s[12:13]
	s_branch .LBB1528_381
.LBB1528_384:
	s_or_b64 exec, exec, s[22:23]
	v_cmp_gt_i64_e32 vcc, s[12:13], v[32:33]
	s_mov_b32 s7, 0
	v_mov_b32_e32 v65, s7
	v_cndmask_b32_e64 v64, 0, 1, vcc
.LBB1528_385:
	s_or_b64 exec, exec, s[4:5]
.LBB1528_386:
	v_mul_lo_u32 v1, v7, s12
	v_mul_lo_u32 v30, v6, s13
	v_mad_u64_u32 v[28:29], s[4:5], v6, s12, 0
	v_add3_u32 v29, v29, v30, v1
	v_mov_b64_e32 v[68:69], 0
	s_and_b64 vcc, exec, s[2:3]
	v_lshl_add_u64 v[28:29], v[28:29], 2, s[14:15]
	v_mov_b64_e32 v[66:67], v[68:69]
	s_cbranch_vccnz .LBB1528_395
; %bb.387:
	global_load_dword v1, v[26:27], off
	global_load_dword v30, v[28:29], off
	v_mov_b64_e32 v[66:67], 1
	s_waitcnt vmcnt(0)
	v_cmp_eq_u32_e32 vcc, v1, v30
	s_and_saveexec_b64 s[4:5], vcc
	s_cbranch_execz .LBB1528_394
; %bb.388:
	s_add_u32 s20, s12, -1
	v_lshl_add_u64 v[30:31], v[28:29], 0, 4
	v_lshl_add_u64 v[26:27], v[26:27], 0, 4
	s_addc_u32 s21, s13, -1
	s_mov_b64 s[22:23], 0
	s_mov_b64 s[26:27], 0
                                        ; implicit-def: $sgpr24_sgpr25
	s_branch .LBB1528_391
.LBB1528_389:                           ;   in Loop: Header=BB1528_391 Depth=1
	global_load_dword v1, v[26:27], off
	global_load_dword v32, v[30:31], off
	s_add_u32 s26, s26, 1
	s_addc_u32 s27, s27, 0
	s_andn2_b64 s[24:25], s[24:25], exec
	v_lshl_add_u64 v[30:31], v[30:31], 0, 4
	v_lshl_add_u64 v[26:27], v[26:27], 0, 4
	s_waitcnt vmcnt(0)
	v_cmp_ne_u32_e32 vcc, v1, v32
	s_and_b64 s[28:29], vcc, exec
	s_or_b64 s[24:25], s[24:25], s[28:29]
.LBB1528_390:                           ;   in Loop: Header=BB1528_391 Depth=1
	s_and_b64 s[28:29], exec, s[24:25]
	s_or_b64 s[22:23], s[28:29], s[22:23]
	v_mov_b64_e32 v[32:33], s[26:27]
	s_andn2_b64 exec, exec, s[22:23]
	s_cbranch_execz .LBB1528_393
.LBB1528_391:                           ; =>This Inner Loop Header: Depth=1
	s_or_b64 s[24:25], s[24:25], exec
	s_cmp_eq_u64 s[20:21], s[26:27]
	s_cbranch_scc0 .LBB1528_389
; %bb.392:                              ;   in Loop: Header=BB1528_391 Depth=1
                                        ; implicit-def: $vgpr30_vgpr31
                                        ; implicit-def: $vgpr26_vgpr27
	s_mov_b64 s[26:27], s[12:13]
	s_branch .LBB1528_390
.LBB1528_393:
	s_or_b64 exec, exec, s[22:23]
	v_cmp_gt_i64_e32 vcc, s[12:13], v[32:33]
	s_mov_b32 s7, 0
	v_mov_b32_e32 v67, s7
	v_cndmask_b32_e64 v66, 0, 1, vcc
.LBB1528_394:
	s_or_b64 exec, exec, s[4:5]
.LBB1528_395:
	v_mul_lo_u32 v1, v5, s12
	v_mul_lo_u32 v30, v4, s13
	v_mad_u64_u32 v[26:27], s[4:5], v4, s12, 0
	v_add3_u32 v27, v27, v30, v1
	s_and_b64 vcc, exec, s[2:3]
	v_lshl_add_u64 v[26:27], v[26:27], 2, s[14:15]
	s_cbranch_vccnz .LBB1528_404
; %bb.396:
	global_load_dword v1, v[28:29], off
	global_load_dword v30, v[26:27], off
	v_mov_b64_e32 v[68:69], 1
	s_waitcnt vmcnt(0)
	v_cmp_eq_u32_e32 vcc, v1, v30
	s_and_saveexec_b64 s[4:5], vcc
	s_cbranch_execz .LBB1528_403
; %bb.397:
	s_add_u32 s20, s12, -1
	v_lshl_add_u64 v[30:31], v[26:27], 0, 4
	v_lshl_add_u64 v[28:29], v[28:29], 0, 4
	s_addc_u32 s21, s13, -1
	s_mov_b64 s[22:23], 0
	s_mov_b64 s[26:27], 0
                                        ; implicit-def: $sgpr24_sgpr25
	s_branch .LBB1528_400
.LBB1528_398:                           ;   in Loop: Header=BB1528_400 Depth=1
	global_load_dword v1, v[28:29], off
	global_load_dword v32, v[30:31], off
	s_add_u32 s26, s26, 1
	s_addc_u32 s27, s27, 0
	s_andn2_b64 s[24:25], s[24:25], exec
	v_lshl_add_u64 v[30:31], v[30:31], 0, 4
	v_lshl_add_u64 v[28:29], v[28:29], 0, 4
	s_waitcnt vmcnt(0)
	v_cmp_ne_u32_e32 vcc, v1, v32
	s_and_b64 s[28:29], vcc, exec
	s_or_b64 s[24:25], s[24:25], s[28:29]
.LBB1528_399:                           ;   in Loop: Header=BB1528_400 Depth=1
	s_and_b64 s[28:29], exec, s[24:25]
	s_or_b64 s[22:23], s[28:29], s[22:23]
	v_mov_b64_e32 v[32:33], s[26:27]
	s_andn2_b64 exec, exec, s[22:23]
	s_cbranch_execz .LBB1528_402
.LBB1528_400:                           ; =>This Inner Loop Header: Depth=1
	s_or_b64 s[24:25], s[24:25], exec
	s_cmp_eq_u64 s[20:21], s[26:27]
	s_cbranch_scc0 .LBB1528_398
; %bb.401:                              ;   in Loop: Header=BB1528_400 Depth=1
                                        ; implicit-def: $vgpr30_vgpr31
                                        ; implicit-def: $vgpr28_vgpr29
	s_mov_b64 s[26:27], s[12:13]
	s_branch .LBB1528_399
.LBB1528_402:
	s_or_b64 exec, exec, s[22:23]
	v_cmp_gt_i64_e32 vcc, s[12:13], v[32:33]
	s_mov_b32 s7, 0
	v_mov_b32_e32 v69, s7
	v_cndmask_b32_e64 v68, 0, 1, vcc
.LBB1528_403:
	s_or_b64 exec, exec, s[4:5]
.LBB1528_404:
	s_and_b64 vcc, exec, s[2:3]
	s_cbranch_vccnz .LBB1528_411
; %bb.405:
	v_mul_lo_u32 v1, v3, s12
	v_mul_lo_u32 v30, v2, s13
	v_mad_u64_u32 v[28:29], s[4:5], v2, s12, 0
	v_add3_u32 v29, v29, v30, v1
	v_lshl_add_u64 v[28:29], v[28:29], 2, s[14:15]
	global_load_dword v1, v[26:27], off
	global_load_dword v30, v[28:29], off
	v_mov_b64_e32 v[70:71], 1
	s_waitcnt vmcnt(0)
	v_cmp_eq_u32_e32 vcc, v1, v30
	s_and_saveexec_b64 s[4:5], vcc
	s_cbranch_execz .LBB1528_413
; %bb.406:
	s_add_u32 s20, s12, -1
	v_lshl_add_u64 v[28:29], v[28:29], 0, 4
	v_lshl_add_u64 v[26:27], v[26:27], 0, 4
	s_addc_u32 s21, s13, -1
	s_mov_b64 s[22:23], 0
	s_mov_b64 s[26:27], 0
                                        ; implicit-def: $sgpr24_sgpr25
	s_branch .LBB1528_409
.LBB1528_407:                           ;   in Loop: Header=BB1528_409 Depth=1
	global_load_dword v1, v[26:27], off
	global_load_dword v30, v[28:29], off
	s_add_u32 s26, s26, 1
	s_addc_u32 s27, s27, 0
	s_andn2_b64 s[24:25], s[24:25], exec
	v_lshl_add_u64 v[28:29], v[28:29], 0, 4
	v_lshl_add_u64 v[26:27], v[26:27], 0, 4
	s_waitcnt vmcnt(0)
	v_cmp_ne_u32_e32 vcc, v1, v30
	s_and_b64 s[28:29], vcc, exec
	s_or_b64 s[24:25], s[24:25], s[28:29]
.LBB1528_408:                           ;   in Loop: Header=BB1528_409 Depth=1
	s_and_b64 s[28:29], exec, s[24:25]
	s_or_b64 s[22:23], s[28:29], s[22:23]
	v_mov_b64_e32 v[30:31], s[26:27]
	s_andn2_b64 exec, exec, s[22:23]
	s_cbranch_execz .LBB1528_412
.LBB1528_409:                           ; =>This Inner Loop Header: Depth=1
	s_or_b64 s[24:25], s[24:25], exec
	s_cmp_eq_u64 s[20:21], s[26:27]
	s_cbranch_scc0 .LBB1528_407
; %bb.410:                              ;   in Loop: Header=BB1528_409 Depth=1
                                        ; implicit-def: $vgpr28_vgpr29
                                        ; implicit-def: $vgpr26_vgpr27
	s_mov_b64 s[26:27], s[12:13]
	s_branch .LBB1528_408
.LBB1528_411:
	v_mov_b64_e32 v[70:71], 0
	s_branch .LBB1528_414
.LBB1528_412:
	s_or_b64 exec, exec, s[22:23]
	v_cmp_gt_i64_e32 vcc, s[12:13], v[30:31]
	s_mov_b32 s7, 0
	v_mov_b32_e32 v71, s7
	v_cndmask_b32_e64 v70, 0, 1, vcc
.LBB1528_413:
	s_or_b64 exec, exec, s[4:5]
.LBB1528_414:
	v_cmp_ne_u32_e32 vcc, 0, v0
	s_waitcnt lgkmcnt(0)
	; wave barrier
	s_waitcnt lgkmcnt(0)
                                        ; implicit-def: $sgpr24_sgpr25
	s_and_saveexec_b64 s[4:5], vcc
	s_cbranch_execz .LBB1528_426
; %bb.415:
	s_and_b64 vcc, exec, s[2:3]
	s_cbranch_vccnz .LBB1528_422
; %bb.416:
	v_add_u32_e32 v26, -8, v48
	ds_read_b64 v[26:27], v26
	v_mul_lo_u32 v1, v3, s12
	v_mul_lo_u32 v30, v2, s13
	v_mad_u64_u32 v[28:29], s[2:3], v2, s12, 0
	v_add3_u32 v29, v29, v30, v1
	s_waitcnt lgkmcnt(0)
	v_mul_lo_u32 v1, v27, s12
	v_mul_lo_u32 v30, v26, s13
	v_mad_u64_u32 v[26:27], s[2:3], v26, s12, 0
	v_add3_u32 v27, v27, v30, v1
	v_lshl_add_u64 v[28:29], v[28:29], 2, s[14:15]
	v_lshl_add_u64 v[26:27], v[26:27], 2, s[14:15]
	global_load_dword v1, v[28:29], off
	global_load_dword v30, v[26:27], off
	s_mov_b64 s[20:21], -1
	s_waitcnt vmcnt(0)
	v_cmp_eq_u32_e32 vcc, v1, v30
	s_and_saveexec_b64 s[2:3], vcc
	s_cbranch_execz .LBB1528_424
; %bb.417:
	s_add_u32 s20, s12, -1
	v_lshl_add_u64 v[26:27], v[26:27], 0, 4
	v_lshl_add_u64 v[28:29], v[28:29], 0, 4
	s_addc_u32 s21, s13, -1
	s_mov_b64 s[22:23], 0
	s_mov_b64 s[26:27], 0
                                        ; implicit-def: $sgpr24_sgpr25
	s_branch .LBB1528_420
.LBB1528_418:                           ;   in Loop: Header=BB1528_420 Depth=1
	global_load_dword v1, v[28:29], off
	global_load_dword v30, v[26:27], off
	s_add_u32 s26, s26, 1
	s_addc_u32 s27, s27, 0
	s_andn2_b64 s[24:25], s[24:25], exec
	v_lshl_add_u64 v[26:27], v[26:27], 0, 4
	v_lshl_add_u64 v[28:29], v[28:29], 0, 4
	s_waitcnt vmcnt(0)
	v_cmp_ne_u32_e32 vcc, v1, v30
	s_and_b64 s[28:29], vcc, exec
	s_or_b64 s[24:25], s[24:25], s[28:29]
.LBB1528_419:                           ;   in Loop: Header=BB1528_420 Depth=1
	s_and_b64 s[28:29], exec, s[24:25]
	s_or_b64 s[22:23], s[28:29], s[22:23]
	v_mov_b64_e32 v[30:31], s[26:27]
	s_andn2_b64 exec, exec, s[22:23]
	s_cbranch_execz .LBB1528_423
.LBB1528_420:                           ; =>This Inner Loop Header: Depth=1
	s_or_b64 s[24:25], s[24:25], exec
	s_cmp_eq_u64 s[20:21], s[26:27]
	s_cbranch_scc0 .LBB1528_418
; %bb.421:                              ;   in Loop: Header=BB1528_420 Depth=1
                                        ; implicit-def: $vgpr26_vgpr27
                                        ; implicit-def: $vgpr28_vgpr29
	s_mov_b64 s[26:27], s[12:13]
	s_branch .LBB1528_419
.LBB1528_422:
	s_mov_b64 s[20:21], 0
	s_branch .LBB1528_425
.LBB1528_423:
	s_or_b64 exec, exec, s[22:23]
	v_cmp_gt_i64_e32 vcc, s[12:13], v[30:31]
	s_orn2_b64 s[20:21], vcc, exec
.LBB1528_424:
	s_or_b64 exec, exec, s[2:3]
.LBB1528_425:
	s_and_b64 s[24:25], s[20:21], exec
	s_or_b64 s[18:19], s[18:19], exec
.LBB1528_426:
	s_or_b64 exec, exec, s[4:5]
	v_mov_b64_e32 v[72:73], v[52:53]
	v_mov_b64_e32 v[26:27], v[46:47]
	;; [unrolled: 1-line block ×11, first 2 shown]
	s_branch .LBB1528_572
.LBB1528_427:
	s_waitcnt lgkmcnt(0)
	v_mad_u32_u24 v26, v0, 13, 12
	v_cmp_gt_i64_e64 s[2:3], s[12:13], 0
	v_cmp_gt_u32_e32 vcc, s10, v26
	v_mul_u32_u24_e32 v1, 13, v0
	v_cndmask_b32_e64 v26, 0, 1, s[2:3]
	v_cmp_ne_u32_e64 s[2:3], 1, v26
	ds_write_b64 v48, v[44:45]
	s_and_saveexec_b64 s[4:5], vcc
	s_cbranch_execz .LBB1528_438
; %bb.428:
	s_and_b64 vcc, exec, s[2:3]
	s_cbranch_vccnz .LBB1528_435
; %bb.429:
	v_mul_lo_u32 v28, v45, s12
	v_mul_lo_u32 v29, v44, s13
	v_mad_u64_u32 v[26:27], s[20:21], v44, s12, 0
	v_add3_u32 v27, v27, v29, v28
	v_mul_lo_u32 v28, v25, s12
	v_mul_lo_u32 v29, v24, s13
	v_mad_u64_u32 v[30:31], s[20:21], v24, s12, 0
	v_add3_u32 v31, v31, v29, v28
	v_lshl_add_u64 v[28:29], v[26:27], 2, s[14:15]
	v_lshl_add_u64 v[26:27], v[30:31], 2, s[14:15]
	global_load_dword v30, v[28:29], off
	global_load_dword v31, v[26:27], off
	v_mov_b64_e32 v[44:45], 1
	s_waitcnt vmcnt(0)
	v_cmp_eq_u32_e32 vcc, v30, v31
	s_and_saveexec_b64 s[20:21], vcc
	s_cbranch_execz .LBB1528_437
; %bb.430:
	s_add_u32 s22, s12, -1
	v_lshl_add_u64 v[26:27], v[26:27], 0, 4
	v_lshl_add_u64 v[28:29], v[28:29], 0, 4
	s_addc_u32 s23, s13, -1
	s_mov_b64 s[24:25], 0
	s_mov_b64 s[28:29], 0
                                        ; implicit-def: $sgpr26_sgpr27
	s_branch .LBB1528_433
.LBB1528_431:                           ;   in Loop: Header=BB1528_433 Depth=1
	global_load_dword v30, v[28:29], off
	global_load_dword v31, v[26:27], off
	s_add_u32 s28, s28, 1
	s_addc_u32 s29, s29, 0
	s_andn2_b64 s[26:27], s[26:27], exec
	v_lshl_add_u64 v[26:27], v[26:27], 0, 4
	v_lshl_add_u64 v[28:29], v[28:29], 0, 4
	s_waitcnt vmcnt(0)
	v_cmp_ne_u32_e32 vcc, v30, v31
	s_and_b64 s[30:31], vcc, exec
	s_or_b64 s[26:27], s[26:27], s[30:31]
.LBB1528_432:                           ;   in Loop: Header=BB1528_433 Depth=1
	s_and_b64 s[30:31], exec, s[26:27]
	s_or_b64 s[24:25], s[30:31], s[24:25]
	v_mov_b64_e32 v[30:31], s[28:29]
	s_andn2_b64 exec, exec, s[24:25]
	s_cbranch_execz .LBB1528_436
.LBB1528_433:                           ; =>This Inner Loop Header: Depth=1
	s_or_b64 s[26:27], s[26:27], exec
	s_cmp_eq_u64 s[22:23], s[28:29]
	s_cbranch_scc0 .LBB1528_431
; %bb.434:                              ;   in Loop: Header=BB1528_433 Depth=1
                                        ; implicit-def: $vgpr26_vgpr27
                                        ; implicit-def: $vgpr28_vgpr29
	s_mov_b64 s[28:29], s[12:13]
	s_branch .LBB1528_432
.LBB1528_435:
	v_mov_b64_e32 v[44:45], 0
	s_branch .LBB1528_438
.LBB1528_436:
	s_or_b64 exec, exec, s[24:25]
	v_cmp_gt_i64_e32 vcc, s[12:13], v[30:31]
	s_mov_b32 s7, 0
	v_mov_b32_e32 v45, s7
	v_cndmask_b32_e64 v44, 0, 1, vcc
.LBB1528_437:
	s_or_b64 exec, exec, s[20:21]
.LBB1528_438:
	s_or_b64 exec, exec, s[4:5]
	v_add_u32_e32 v26, 11, v1
	v_cmp_gt_u32_e32 vcc, s10, v26
	s_and_saveexec_b64 s[4:5], vcc
	s_cbranch_execz .LBB1528_449
; %bb.439:
	s_and_b64 vcc, exec, s[2:3]
	s_cbranch_vccnz .LBB1528_446
; %bb.440:
	v_mul_lo_u32 v26, v25, s12
	v_mul_lo_u32 v27, v24, s13
	v_mad_u64_u32 v[24:25], s[20:21], v24, s12, 0
	v_add3_u32 v25, v25, v27, v26
	v_mul_lo_u32 v26, v23, s12
	v_mul_lo_u32 v27, v22, s13
	v_mad_u64_u32 v[28:29], s[20:21], v22, s12, 0
	v_add3_u32 v29, v29, v27, v26
	v_lshl_add_u64 v[26:27], v[24:25], 2, s[14:15]
	v_lshl_add_u64 v[28:29], v[28:29], 2, s[14:15]
	global_load_dword v24, v[26:27], off
	global_load_dword v25, v[28:29], off
	s_waitcnt vmcnt(0)
	v_cmp_eq_u32_e32 vcc, v24, v25
	v_mov_b64_e32 v[24:25], 1
	s_and_saveexec_b64 s[20:21], vcc
	s_cbranch_execz .LBB1528_448
; %bb.441:
	s_add_u32 s22, s12, -1
	v_lshl_add_u64 v[24:25], v[28:29], 0, 4
	v_lshl_add_u64 v[26:27], v[26:27], 0, 4
	s_addc_u32 s23, s13, -1
	s_mov_b64 s[24:25], 0
	s_mov_b64 s[28:29], 0
                                        ; implicit-def: $sgpr26_sgpr27
	s_branch .LBB1528_444
.LBB1528_442:                           ;   in Loop: Header=BB1528_444 Depth=1
	global_load_dword v28, v[26:27], off
	global_load_dword v29, v[24:25], off
	s_add_u32 s28, s28, 1
	s_addc_u32 s29, s29, 0
	s_andn2_b64 s[26:27], s[26:27], exec
	v_lshl_add_u64 v[24:25], v[24:25], 0, 4
	v_lshl_add_u64 v[26:27], v[26:27], 0, 4
	s_waitcnt vmcnt(0)
	v_cmp_ne_u32_e32 vcc, v28, v29
	s_and_b64 s[30:31], vcc, exec
	s_or_b64 s[26:27], s[26:27], s[30:31]
.LBB1528_443:                           ;   in Loop: Header=BB1528_444 Depth=1
	s_and_b64 s[30:31], exec, s[26:27]
	s_or_b64 s[24:25], s[30:31], s[24:25]
	v_mov_b64_e32 v[28:29], s[28:29]
	s_andn2_b64 exec, exec, s[24:25]
	s_cbranch_execz .LBB1528_447
.LBB1528_444:                           ; =>This Inner Loop Header: Depth=1
	s_or_b64 s[26:27], s[26:27], exec
	s_cmp_eq_u64 s[22:23], s[28:29]
	s_cbranch_scc0 .LBB1528_442
; %bb.445:                              ;   in Loop: Header=BB1528_444 Depth=1
                                        ; implicit-def: $vgpr24_vgpr25
                                        ; implicit-def: $vgpr26_vgpr27
	s_mov_b64 s[28:29], s[12:13]
	s_branch .LBB1528_443
.LBB1528_446:
	v_mov_b64_e32 v[24:25], 0
	s_branch .LBB1528_449
.LBB1528_447:
	s_or_b64 exec, exec, s[24:25]
	v_cmp_gt_i64_e32 vcc, s[12:13], v[28:29]
	s_mov_b32 s7, 0
	v_mov_b32_e32 v25, s7
	v_cndmask_b32_e64 v24, 0, 1, vcc
.LBB1528_448:
	s_or_b64 exec, exec, s[20:21]
.LBB1528_449:
	s_or_b64 exec, exec, s[4:5]
	v_add_u32_e32 v26, 10, v1
	v_cmp_gt_u32_e32 vcc, s10, v26
	s_and_saveexec_b64 s[4:5], vcc
	s_cbranch_execz .LBB1528_460
; %bb.450:
	s_and_b64 vcc, exec, s[2:3]
	s_cbranch_vccnz .LBB1528_457
; %bb.451:
	v_mul_lo_u32 v26, v23, s12
	v_mul_lo_u32 v27, v22, s13
	v_mad_u64_u32 v[22:23], s[20:21], v22, s12, 0
	v_add3_u32 v23, v23, v27, v26
	v_mul_lo_u32 v26, v21, s12
	v_mul_lo_u32 v27, v20, s13
	v_mad_u64_u32 v[28:29], s[20:21], v20, s12, 0
	v_add3_u32 v29, v29, v27, v26
	v_lshl_add_u64 v[26:27], v[22:23], 2, s[14:15]
	v_lshl_add_u64 v[28:29], v[28:29], 2, s[14:15]
	global_load_dword v22, v[26:27], off
	global_load_dword v23, v[28:29], off
	s_waitcnt vmcnt(0)
	v_cmp_eq_u32_e32 vcc, v22, v23
	v_mov_b64_e32 v[22:23], 1
	s_and_saveexec_b64 s[20:21], vcc
	s_cbranch_execz .LBB1528_459
; %bb.452:
	s_add_u32 s22, s12, -1
	v_lshl_add_u64 v[22:23], v[28:29], 0, 4
	v_lshl_add_u64 v[26:27], v[26:27], 0, 4
	s_addc_u32 s23, s13, -1
	s_mov_b64 s[24:25], 0
	s_mov_b64 s[28:29], 0
                                        ; implicit-def: $sgpr26_sgpr27
	s_branch .LBB1528_455
.LBB1528_453:                           ;   in Loop: Header=BB1528_455 Depth=1
	global_load_dword v28, v[26:27], off
	global_load_dword v29, v[22:23], off
	s_add_u32 s28, s28, 1
	s_addc_u32 s29, s29, 0
	s_andn2_b64 s[26:27], s[26:27], exec
	v_lshl_add_u64 v[22:23], v[22:23], 0, 4
	v_lshl_add_u64 v[26:27], v[26:27], 0, 4
	s_waitcnt vmcnt(0)
	v_cmp_ne_u32_e32 vcc, v28, v29
	s_and_b64 s[30:31], vcc, exec
	s_or_b64 s[26:27], s[26:27], s[30:31]
.LBB1528_454:                           ;   in Loop: Header=BB1528_455 Depth=1
	s_and_b64 s[30:31], exec, s[26:27]
	s_or_b64 s[24:25], s[30:31], s[24:25]
	v_mov_b64_e32 v[28:29], s[28:29]
	s_andn2_b64 exec, exec, s[24:25]
	s_cbranch_execz .LBB1528_458
.LBB1528_455:                           ; =>This Inner Loop Header: Depth=1
	s_or_b64 s[26:27], s[26:27], exec
	s_cmp_eq_u64 s[22:23], s[28:29]
	s_cbranch_scc0 .LBB1528_453
; %bb.456:                              ;   in Loop: Header=BB1528_455 Depth=1
                                        ; implicit-def: $vgpr22_vgpr23
                                        ; implicit-def: $vgpr26_vgpr27
	s_mov_b64 s[28:29], s[12:13]
	s_branch .LBB1528_454
.LBB1528_457:
	v_mov_b64_e32 v[22:23], 0
	s_branch .LBB1528_460
.LBB1528_458:
	s_or_b64 exec, exec, s[24:25]
	v_cmp_gt_i64_e32 vcc, s[12:13], v[28:29]
	s_mov_b32 s7, 0
	v_mov_b32_e32 v23, s7
	v_cndmask_b32_e64 v22, 0, 1, vcc
.LBB1528_459:
	s_or_b64 exec, exec, s[20:21]
.LBB1528_460:
	s_or_b64 exec, exec, s[4:5]
	v_add_u32_e32 v26, 9, v1
	v_cmp_gt_u32_e32 vcc, s10, v26
	s_and_saveexec_b64 s[4:5], vcc
	s_cbranch_execz .LBB1528_471
; %bb.461:
	s_and_b64 vcc, exec, s[2:3]
	s_cbranch_vccnz .LBB1528_468
; %bb.462:
	v_mul_lo_u32 v26, v21, s12
	v_mul_lo_u32 v27, v20, s13
	v_mad_u64_u32 v[20:21], s[20:21], v20, s12, 0
	v_add3_u32 v21, v21, v27, v26
	v_mul_lo_u32 v26, v19, s12
	v_mul_lo_u32 v27, v18, s13
	v_mad_u64_u32 v[28:29], s[20:21], v18, s12, 0
	v_add3_u32 v29, v29, v27, v26
	v_lshl_add_u64 v[26:27], v[20:21], 2, s[14:15]
	v_lshl_add_u64 v[28:29], v[28:29], 2, s[14:15]
	global_load_dword v20, v[26:27], off
	global_load_dword v21, v[28:29], off
	s_waitcnt vmcnt(0)
	v_cmp_eq_u32_e32 vcc, v20, v21
	v_mov_b64_e32 v[20:21], 1
	s_and_saveexec_b64 s[20:21], vcc
	s_cbranch_execz .LBB1528_470
; %bb.463:
	s_add_u32 s22, s12, -1
	v_lshl_add_u64 v[20:21], v[28:29], 0, 4
	v_lshl_add_u64 v[26:27], v[26:27], 0, 4
	s_addc_u32 s23, s13, -1
	s_mov_b64 s[24:25], 0
	s_mov_b64 s[28:29], 0
                                        ; implicit-def: $sgpr26_sgpr27
	s_branch .LBB1528_466
.LBB1528_464:                           ;   in Loop: Header=BB1528_466 Depth=1
	global_load_dword v28, v[26:27], off
	global_load_dword v29, v[20:21], off
	s_add_u32 s28, s28, 1
	s_addc_u32 s29, s29, 0
	s_andn2_b64 s[26:27], s[26:27], exec
	v_lshl_add_u64 v[20:21], v[20:21], 0, 4
	v_lshl_add_u64 v[26:27], v[26:27], 0, 4
	s_waitcnt vmcnt(0)
	v_cmp_ne_u32_e32 vcc, v28, v29
	s_and_b64 s[30:31], vcc, exec
	s_or_b64 s[26:27], s[26:27], s[30:31]
.LBB1528_465:                           ;   in Loop: Header=BB1528_466 Depth=1
	s_and_b64 s[30:31], exec, s[26:27]
	s_or_b64 s[24:25], s[30:31], s[24:25]
	v_mov_b64_e32 v[28:29], s[28:29]
	s_andn2_b64 exec, exec, s[24:25]
	s_cbranch_execz .LBB1528_469
.LBB1528_466:                           ; =>This Inner Loop Header: Depth=1
	s_or_b64 s[26:27], s[26:27], exec
	s_cmp_eq_u64 s[22:23], s[28:29]
	s_cbranch_scc0 .LBB1528_464
; %bb.467:                              ;   in Loop: Header=BB1528_466 Depth=1
                                        ; implicit-def: $vgpr20_vgpr21
                                        ; implicit-def: $vgpr26_vgpr27
	s_mov_b64 s[28:29], s[12:13]
	s_branch .LBB1528_465
.LBB1528_468:
	v_mov_b64_e32 v[20:21], 0
	s_branch .LBB1528_471
.LBB1528_469:
	s_or_b64 exec, exec, s[24:25]
	v_cmp_gt_i64_e32 vcc, s[12:13], v[28:29]
	s_mov_b32 s7, 0
	v_mov_b32_e32 v21, s7
	v_cndmask_b32_e64 v20, 0, 1, vcc
.LBB1528_470:
	s_or_b64 exec, exec, s[20:21]
.LBB1528_471:
	s_or_b64 exec, exec, s[4:5]
	v_add_u32_e32 v26, 8, v1
	v_cmp_gt_u32_e32 vcc, s10, v26
	s_and_saveexec_b64 s[4:5], vcc
	s_cbranch_execz .LBB1528_482
; %bb.472:
	s_and_b64 vcc, exec, s[2:3]
	s_cbranch_vccnz .LBB1528_479
; %bb.473:
	v_mul_lo_u32 v26, v19, s12
	v_mul_lo_u32 v27, v18, s13
	v_mad_u64_u32 v[18:19], s[20:21], v18, s12, 0
	v_add3_u32 v19, v19, v27, v26
	v_mul_lo_u32 v26, v17, s12
	v_mul_lo_u32 v27, v16, s13
	v_mad_u64_u32 v[28:29], s[20:21], v16, s12, 0
	v_add3_u32 v29, v29, v27, v26
	v_lshl_add_u64 v[26:27], v[18:19], 2, s[14:15]
	v_lshl_add_u64 v[28:29], v[28:29], 2, s[14:15]
	global_load_dword v18, v[26:27], off
	global_load_dword v19, v[28:29], off
	s_waitcnt vmcnt(0)
	v_cmp_eq_u32_e32 vcc, v18, v19
	v_mov_b64_e32 v[18:19], 1
	s_and_saveexec_b64 s[20:21], vcc
	s_cbranch_execz .LBB1528_481
; %bb.474:
	s_add_u32 s22, s12, -1
	v_lshl_add_u64 v[18:19], v[28:29], 0, 4
	v_lshl_add_u64 v[26:27], v[26:27], 0, 4
	s_addc_u32 s23, s13, -1
	s_mov_b64 s[24:25], 0
	s_mov_b64 s[28:29], 0
                                        ; implicit-def: $sgpr26_sgpr27
	s_branch .LBB1528_477
.LBB1528_475:                           ;   in Loop: Header=BB1528_477 Depth=1
	global_load_dword v28, v[26:27], off
	global_load_dword v29, v[18:19], off
	s_add_u32 s28, s28, 1
	s_addc_u32 s29, s29, 0
	s_andn2_b64 s[26:27], s[26:27], exec
	v_lshl_add_u64 v[18:19], v[18:19], 0, 4
	v_lshl_add_u64 v[26:27], v[26:27], 0, 4
	s_waitcnt vmcnt(0)
	v_cmp_ne_u32_e32 vcc, v28, v29
	s_and_b64 s[30:31], vcc, exec
	s_or_b64 s[26:27], s[26:27], s[30:31]
.LBB1528_476:                           ;   in Loop: Header=BB1528_477 Depth=1
	s_and_b64 s[30:31], exec, s[26:27]
	s_or_b64 s[24:25], s[30:31], s[24:25]
	v_mov_b64_e32 v[28:29], s[28:29]
	s_andn2_b64 exec, exec, s[24:25]
	s_cbranch_execz .LBB1528_480
.LBB1528_477:                           ; =>This Inner Loop Header: Depth=1
	s_or_b64 s[26:27], s[26:27], exec
	s_cmp_eq_u64 s[22:23], s[28:29]
	s_cbranch_scc0 .LBB1528_475
; %bb.478:                              ;   in Loop: Header=BB1528_477 Depth=1
                                        ; implicit-def: $vgpr18_vgpr19
                                        ; implicit-def: $vgpr26_vgpr27
	s_mov_b64 s[28:29], s[12:13]
	s_branch .LBB1528_476
.LBB1528_479:
	v_mov_b64_e32 v[18:19], 0
	s_branch .LBB1528_482
.LBB1528_480:
	s_or_b64 exec, exec, s[24:25]
	v_cmp_gt_i64_e32 vcc, s[12:13], v[28:29]
	s_mov_b32 s7, 0
	v_mov_b32_e32 v19, s7
	v_cndmask_b32_e64 v18, 0, 1, vcc
.LBB1528_481:
	s_or_b64 exec, exec, s[20:21]
.LBB1528_482:
	s_or_b64 exec, exec, s[4:5]
	v_add_u32_e32 v26, 7, v1
	v_cmp_gt_u32_e32 vcc, s10, v26
	s_and_saveexec_b64 s[4:5], vcc
	s_cbranch_execz .LBB1528_493
; %bb.483:
	s_and_b64 vcc, exec, s[2:3]
	s_cbranch_vccnz .LBB1528_490
; %bb.484:
	v_mul_lo_u32 v26, v17, s12
	v_mul_lo_u32 v27, v16, s13
	v_mad_u64_u32 v[16:17], s[20:21], v16, s12, 0
	v_add3_u32 v17, v17, v27, v26
	v_mul_lo_u32 v26, v15, s12
	v_mul_lo_u32 v27, v14, s13
	v_mad_u64_u32 v[28:29], s[20:21], v14, s12, 0
	v_add3_u32 v29, v29, v27, v26
	v_lshl_add_u64 v[26:27], v[16:17], 2, s[14:15]
	v_lshl_add_u64 v[28:29], v[28:29], 2, s[14:15]
	global_load_dword v16, v[26:27], off
	global_load_dword v17, v[28:29], off
	s_waitcnt vmcnt(0)
	v_cmp_eq_u32_e32 vcc, v16, v17
	v_mov_b64_e32 v[16:17], 1
	s_and_saveexec_b64 s[20:21], vcc
	s_cbranch_execz .LBB1528_492
; %bb.485:
	s_add_u32 s22, s12, -1
	v_lshl_add_u64 v[16:17], v[28:29], 0, 4
	v_lshl_add_u64 v[26:27], v[26:27], 0, 4
	s_addc_u32 s23, s13, -1
	s_mov_b64 s[24:25], 0
	s_mov_b64 s[28:29], 0
                                        ; implicit-def: $sgpr26_sgpr27
	s_branch .LBB1528_488
.LBB1528_486:                           ;   in Loop: Header=BB1528_488 Depth=1
	global_load_dword v28, v[26:27], off
	global_load_dword v29, v[16:17], off
	s_add_u32 s28, s28, 1
	s_addc_u32 s29, s29, 0
	s_andn2_b64 s[26:27], s[26:27], exec
	v_lshl_add_u64 v[16:17], v[16:17], 0, 4
	v_lshl_add_u64 v[26:27], v[26:27], 0, 4
	s_waitcnt vmcnt(0)
	v_cmp_ne_u32_e32 vcc, v28, v29
	s_and_b64 s[30:31], vcc, exec
	s_or_b64 s[26:27], s[26:27], s[30:31]
.LBB1528_487:                           ;   in Loop: Header=BB1528_488 Depth=1
	s_and_b64 s[30:31], exec, s[26:27]
	s_or_b64 s[24:25], s[30:31], s[24:25]
	v_mov_b64_e32 v[28:29], s[28:29]
	s_andn2_b64 exec, exec, s[24:25]
	s_cbranch_execz .LBB1528_491
.LBB1528_488:                           ; =>This Inner Loop Header: Depth=1
	s_or_b64 s[26:27], s[26:27], exec
	s_cmp_eq_u64 s[22:23], s[28:29]
	s_cbranch_scc0 .LBB1528_486
; %bb.489:                              ;   in Loop: Header=BB1528_488 Depth=1
                                        ; implicit-def: $vgpr16_vgpr17
                                        ; implicit-def: $vgpr26_vgpr27
	s_mov_b64 s[28:29], s[12:13]
	s_branch .LBB1528_487
.LBB1528_490:
	v_mov_b64_e32 v[16:17], 0
	s_branch .LBB1528_493
.LBB1528_491:
	s_or_b64 exec, exec, s[24:25]
	v_cmp_gt_i64_e32 vcc, s[12:13], v[28:29]
	s_mov_b32 s7, 0
	v_mov_b32_e32 v17, s7
	v_cndmask_b32_e64 v16, 0, 1, vcc
.LBB1528_492:
	s_or_b64 exec, exec, s[20:21]
.LBB1528_493:
	s_or_b64 exec, exec, s[4:5]
	v_add_u32_e32 v26, 6, v1
	v_cmp_gt_u32_e32 vcc, s10, v26
	s_and_saveexec_b64 s[4:5], vcc
	s_cbranch_execz .LBB1528_504
; %bb.494:
	s_and_b64 vcc, exec, s[2:3]
	s_cbranch_vccnz .LBB1528_501
; %bb.495:
	v_mul_lo_u32 v26, v15, s12
	v_mul_lo_u32 v27, v14, s13
	v_mad_u64_u32 v[14:15], s[20:21], v14, s12, 0
	v_add3_u32 v15, v15, v27, v26
	v_mul_lo_u32 v26, v13, s12
	v_mul_lo_u32 v27, v12, s13
	v_mad_u64_u32 v[28:29], s[20:21], v12, s12, 0
	v_add3_u32 v29, v29, v27, v26
	v_lshl_add_u64 v[26:27], v[14:15], 2, s[14:15]
	v_lshl_add_u64 v[28:29], v[28:29], 2, s[14:15]
	global_load_dword v14, v[26:27], off
	global_load_dword v15, v[28:29], off
	s_waitcnt vmcnt(0)
	v_cmp_eq_u32_e32 vcc, v14, v15
	v_mov_b64_e32 v[14:15], 1
	s_and_saveexec_b64 s[20:21], vcc
	s_cbranch_execz .LBB1528_503
; %bb.496:
	s_add_u32 s22, s12, -1
	v_lshl_add_u64 v[14:15], v[28:29], 0, 4
	v_lshl_add_u64 v[26:27], v[26:27], 0, 4
	s_addc_u32 s23, s13, -1
	s_mov_b64 s[24:25], 0
	s_mov_b64 s[28:29], 0
                                        ; implicit-def: $sgpr26_sgpr27
	s_branch .LBB1528_499
.LBB1528_497:                           ;   in Loop: Header=BB1528_499 Depth=1
	global_load_dword v28, v[26:27], off
	global_load_dword v29, v[14:15], off
	s_add_u32 s28, s28, 1
	s_addc_u32 s29, s29, 0
	s_andn2_b64 s[26:27], s[26:27], exec
	v_lshl_add_u64 v[14:15], v[14:15], 0, 4
	v_lshl_add_u64 v[26:27], v[26:27], 0, 4
	s_waitcnt vmcnt(0)
	v_cmp_ne_u32_e32 vcc, v28, v29
	s_and_b64 s[30:31], vcc, exec
	s_or_b64 s[26:27], s[26:27], s[30:31]
.LBB1528_498:                           ;   in Loop: Header=BB1528_499 Depth=1
	s_and_b64 s[30:31], exec, s[26:27]
	s_or_b64 s[24:25], s[30:31], s[24:25]
	v_mov_b64_e32 v[28:29], s[28:29]
	s_andn2_b64 exec, exec, s[24:25]
	s_cbranch_execz .LBB1528_502
.LBB1528_499:                           ; =>This Inner Loop Header: Depth=1
	s_or_b64 s[26:27], s[26:27], exec
	s_cmp_eq_u64 s[22:23], s[28:29]
	s_cbranch_scc0 .LBB1528_497
; %bb.500:                              ;   in Loop: Header=BB1528_499 Depth=1
                                        ; implicit-def: $vgpr14_vgpr15
                                        ; implicit-def: $vgpr26_vgpr27
	s_mov_b64 s[28:29], s[12:13]
	s_branch .LBB1528_498
.LBB1528_501:
	v_mov_b64_e32 v[14:15], 0
	s_branch .LBB1528_504
.LBB1528_502:
	s_or_b64 exec, exec, s[24:25]
	v_cmp_gt_i64_e32 vcc, s[12:13], v[28:29]
	s_mov_b32 s7, 0
	v_mov_b32_e32 v15, s7
	v_cndmask_b32_e64 v14, 0, 1, vcc
.LBB1528_503:
	s_or_b64 exec, exec, s[20:21]
.LBB1528_504:
	s_or_b64 exec, exec, s[4:5]
	v_add_u32_e32 v26, 5, v1
	v_cmp_gt_u32_e32 vcc, s10, v26
	s_and_saveexec_b64 s[4:5], vcc
	s_cbranch_execz .LBB1528_515
; %bb.505:
	s_and_b64 vcc, exec, s[2:3]
	s_cbranch_vccnz .LBB1528_512
; %bb.506:
	v_mul_lo_u32 v26, v13, s12
	v_mul_lo_u32 v27, v12, s13
	v_mad_u64_u32 v[12:13], s[20:21], v12, s12, 0
	v_add3_u32 v13, v13, v27, v26
	v_mul_lo_u32 v26, v11, s12
	v_mul_lo_u32 v27, v10, s13
	v_mad_u64_u32 v[28:29], s[20:21], v10, s12, 0
	v_add3_u32 v29, v29, v27, v26
	v_lshl_add_u64 v[26:27], v[12:13], 2, s[14:15]
	v_lshl_add_u64 v[28:29], v[28:29], 2, s[14:15]
	global_load_dword v12, v[26:27], off
	global_load_dword v13, v[28:29], off
	s_waitcnt vmcnt(0)
	v_cmp_eq_u32_e32 vcc, v12, v13
	v_mov_b64_e32 v[12:13], 1
	s_and_saveexec_b64 s[20:21], vcc
	s_cbranch_execz .LBB1528_514
; %bb.507:
	s_add_u32 s22, s12, -1
	v_lshl_add_u64 v[12:13], v[28:29], 0, 4
	v_lshl_add_u64 v[26:27], v[26:27], 0, 4
	s_addc_u32 s23, s13, -1
	s_mov_b64 s[24:25], 0
	s_mov_b64 s[28:29], 0
                                        ; implicit-def: $sgpr26_sgpr27
	s_branch .LBB1528_510
.LBB1528_508:                           ;   in Loop: Header=BB1528_510 Depth=1
	global_load_dword v28, v[26:27], off
	global_load_dword v29, v[12:13], off
	s_add_u32 s28, s28, 1
	s_addc_u32 s29, s29, 0
	s_andn2_b64 s[26:27], s[26:27], exec
	v_lshl_add_u64 v[12:13], v[12:13], 0, 4
	v_lshl_add_u64 v[26:27], v[26:27], 0, 4
	s_waitcnt vmcnt(0)
	v_cmp_ne_u32_e32 vcc, v28, v29
	s_and_b64 s[30:31], vcc, exec
	s_or_b64 s[26:27], s[26:27], s[30:31]
.LBB1528_509:                           ;   in Loop: Header=BB1528_510 Depth=1
	s_and_b64 s[30:31], exec, s[26:27]
	s_or_b64 s[24:25], s[30:31], s[24:25]
	v_mov_b64_e32 v[28:29], s[28:29]
	s_andn2_b64 exec, exec, s[24:25]
	s_cbranch_execz .LBB1528_513
.LBB1528_510:                           ; =>This Inner Loop Header: Depth=1
	s_or_b64 s[26:27], s[26:27], exec
	s_cmp_eq_u64 s[22:23], s[28:29]
	s_cbranch_scc0 .LBB1528_508
; %bb.511:                              ;   in Loop: Header=BB1528_510 Depth=1
                                        ; implicit-def: $vgpr12_vgpr13
                                        ; implicit-def: $vgpr26_vgpr27
	s_mov_b64 s[28:29], s[12:13]
	s_branch .LBB1528_509
.LBB1528_512:
	v_mov_b64_e32 v[12:13], 0
	s_branch .LBB1528_515
.LBB1528_513:
	s_or_b64 exec, exec, s[24:25]
	v_cmp_gt_i64_e32 vcc, s[12:13], v[28:29]
	s_mov_b32 s7, 0
	v_mov_b32_e32 v13, s7
	v_cndmask_b32_e64 v12, 0, 1, vcc
.LBB1528_514:
	s_or_b64 exec, exec, s[20:21]
.LBB1528_515:
	s_or_b64 exec, exec, s[4:5]
	v_add_u32_e32 v26, 4, v1
	v_cmp_gt_u32_e32 vcc, s10, v26
	s_and_saveexec_b64 s[4:5], vcc
	s_cbranch_execz .LBB1528_526
; %bb.516:
	s_and_b64 vcc, exec, s[2:3]
	s_cbranch_vccnz .LBB1528_523
; %bb.517:
	v_mul_lo_u32 v26, v11, s12
	v_mul_lo_u32 v27, v10, s13
	v_mad_u64_u32 v[10:11], s[20:21], v10, s12, 0
	v_add3_u32 v11, v11, v27, v26
	v_mul_lo_u32 v26, v9, s12
	v_mul_lo_u32 v27, v8, s13
	v_mad_u64_u32 v[28:29], s[20:21], v8, s12, 0
	v_add3_u32 v29, v29, v27, v26
	v_lshl_add_u64 v[26:27], v[10:11], 2, s[14:15]
	v_lshl_add_u64 v[28:29], v[28:29], 2, s[14:15]
	global_load_dword v10, v[26:27], off
	global_load_dword v11, v[28:29], off
	s_waitcnt vmcnt(0)
	v_cmp_eq_u32_e32 vcc, v10, v11
	v_mov_b64_e32 v[10:11], 1
	s_and_saveexec_b64 s[20:21], vcc
	s_cbranch_execz .LBB1528_525
; %bb.518:
	s_add_u32 s22, s12, -1
	v_lshl_add_u64 v[10:11], v[28:29], 0, 4
	v_lshl_add_u64 v[26:27], v[26:27], 0, 4
	s_addc_u32 s23, s13, -1
	s_mov_b64 s[24:25], 0
	s_mov_b64 s[28:29], 0
                                        ; implicit-def: $sgpr26_sgpr27
	s_branch .LBB1528_521
.LBB1528_519:                           ;   in Loop: Header=BB1528_521 Depth=1
	global_load_dword v28, v[26:27], off
	global_load_dword v29, v[10:11], off
	s_add_u32 s28, s28, 1
	s_addc_u32 s29, s29, 0
	s_andn2_b64 s[26:27], s[26:27], exec
	v_lshl_add_u64 v[10:11], v[10:11], 0, 4
	v_lshl_add_u64 v[26:27], v[26:27], 0, 4
	s_waitcnt vmcnt(0)
	v_cmp_ne_u32_e32 vcc, v28, v29
	s_and_b64 s[30:31], vcc, exec
	s_or_b64 s[26:27], s[26:27], s[30:31]
.LBB1528_520:                           ;   in Loop: Header=BB1528_521 Depth=1
	s_and_b64 s[30:31], exec, s[26:27]
	s_or_b64 s[24:25], s[30:31], s[24:25]
	v_mov_b64_e32 v[28:29], s[28:29]
	s_andn2_b64 exec, exec, s[24:25]
	s_cbranch_execz .LBB1528_524
.LBB1528_521:                           ; =>This Inner Loop Header: Depth=1
	s_or_b64 s[26:27], s[26:27], exec
	s_cmp_eq_u64 s[22:23], s[28:29]
	s_cbranch_scc0 .LBB1528_519
; %bb.522:                              ;   in Loop: Header=BB1528_521 Depth=1
                                        ; implicit-def: $vgpr10_vgpr11
                                        ; implicit-def: $vgpr26_vgpr27
	s_mov_b64 s[28:29], s[12:13]
	s_branch .LBB1528_520
.LBB1528_523:
	v_mov_b64_e32 v[10:11], 0
	s_branch .LBB1528_526
.LBB1528_524:
	s_or_b64 exec, exec, s[24:25]
	v_cmp_gt_i64_e32 vcc, s[12:13], v[28:29]
	s_mov_b32 s7, 0
	v_mov_b32_e32 v11, s7
	v_cndmask_b32_e64 v10, 0, 1, vcc
.LBB1528_525:
	s_or_b64 exec, exec, s[20:21]
.LBB1528_526:
	s_or_b64 exec, exec, s[4:5]
	v_add_u32_e32 v26, 3, v1
	v_cmp_gt_u32_e32 vcc, s10, v26
	s_and_saveexec_b64 s[4:5], vcc
	s_cbranch_execz .LBB1528_537
; %bb.527:
	s_and_b64 vcc, exec, s[2:3]
	s_cbranch_vccnz .LBB1528_534
; %bb.528:
	v_mul_lo_u32 v26, v9, s12
	v_mul_lo_u32 v27, v8, s13
	v_mad_u64_u32 v[8:9], s[20:21], v8, s12, 0
	v_add3_u32 v9, v9, v27, v26
	v_mul_lo_u32 v26, v7, s12
	v_mul_lo_u32 v27, v6, s13
	v_mad_u64_u32 v[28:29], s[20:21], v6, s12, 0
	v_add3_u32 v29, v29, v27, v26
	v_lshl_add_u64 v[26:27], v[8:9], 2, s[14:15]
	v_lshl_add_u64 v[28:29], v[28:29], 2, s[14:15]
	global_load_dword v8, v[26:27], off
	global_load_dword v9, v[28:29], off
	s_waitcnt vmcnt(0)
	v_cmp_eq_u32_e32 vcc, v8, v9
	v_mov_b64_e32 v[8:9], 1
	s_and_saveexec_b64 s[20:21], vcc
	s_cbranch_execz .LBB1528_536
; %bb.529:
	s_add_u32 s22, s12, -1
	v_lshl_add_u64 v[8:9], v[28:29], 0, 4
	v_lshl_add_u64 v[26:27], v[26:27], 0, 4
	s_addc_u32 s23, s13, -1
	s_mov_b64 s[24:25], 0
	s_mov_b64 s[28:29], 0
                                        ; implicit-def: $sgpr26_sgpr27
	s_branch .LBB1528_532
.LBB1528_530:                           ;   in Loop: Header=BB1528_532 Depth=1
	global_load_dword v28, v[26:27], off
	global_load_dword v29, v[8:9], off
	s_add_u32 s28, s28, 1
	s_addc_u32 s29, s29, 0
	s_andn2_b64 s[26:27], s[26:27], exec
	v_lshl_add_u64 v[8:9], v[8:9], 0, 4
	v_lshl_add_u64 v[26:27], v[26:27], 0, 4
	s_waitcnt vmcnt(0)
	v_cmp_ne_u32_e32 vcc, v28, v29
	s_and_b64 s[30:31], vcc, exec
	s_or_b64 s[26:27], s[26:27], s[30:31]
.LBB1528_531:                           ;   in Loop: Header=BB1528_532 Depth=1
	s_and_b64 s[30:31], exec, s[26:27]
	s_or_b64 s[24:25], s[30:31], s[24:25]
	v_mov_b64_e32 v[28:29], s[28:29]
	s_andn2_b64 exec, exec, s[24:25]
	s_cbranch_execz .LBB1528_535
.LBB1528_532:                           ; =>This Inner Loop Header: Depth=1
	s_or_b64 s[26:27], s[26:27], exec
	s_cmp_eq_u64 s[22:23], s[28:29]
	s_cbranch_scc0 .LBB1528_530
; %bb.533:                              ;   in Loop: Header=BB1528_532 Depth=1
                                        ; implicit-def: $vgpr8_vgpr9
                                        ; implicit-def: $vgpr26_vgpr27
	s_mov_b64 s[28:29], s[12:13]
	s_branch .LBB1528_531
.LBB1528_534:
	v_mov_b64_e32 v[8:9], 0
	s_branch .LBB1528_537
.LBB1528_535:
	s_or_b64 exec, exec, s[24:25]
	v_cmp_gt_i64_e32 vcc, s[12:13], v[28:29]
	s_mov_b32 s7, 0
	v_mov_b32_e32 v9, s7
	v_cndmask_b32_e64 v8, 0, 1, vcc
.LBB1528_536:
	s_or_b64 exec, exec, s[20:21]
.LBB1528_537:
	s_or_b64 exec, exec, s[4:5]
	v_add_u32_e32 v26, 2, v1
	v_cmp_gt_u32_e32 vcc, s10, v26
	s_and_saveexec_b64 s[4:5], vcc
	s_cbranch_execz .LBB1528_548
; %bb.538:
	s_and_b64 vcc, exec, s[2:3]
	s_cbranch_vccnz .LBB1528_545
; %bb.539:
	v_mul_lo_u32 v26, v7, s12
	v_mul_lo_u32 v27, v6, s13
	v_mad_u64_u32 v[6:7], s[20:21], v6, s12, 0
	v_add3_u32 v7, v7, v27, v26
	v_mul_lo_u32 v26, v5, s12
	v_mul_lo_u32 v27, v4, s13
	v_mad_u64_u32 v[28:29], s[20:21], v4, s12, 0
	v_add3_u32 v29, v29, v27, v26
	v_lshl_add_u64 v[26:27], v[6:7], 2, s[14:15]
	v_lshl_add_u64 v[28:29], v[28:29], 2, s[14:15]
	global_load_dword v6, v[26:27], off
	global_load_dword v7, v[28:29], off
	s_waitcnt vmcnt(0)
	v_cmp_eq_u32_e32 vcc, v6, v7
	v_mov_b64_e32 v[6:7], 1
	s_and_saveexec_b64 s[20:21], vcc
	s_cbranch_execz .LBB1528_547
; %bb.540:
	s_add_u32 s22, s12, -1
	v_lshl_add_u64 v[6:7], v[28:29], 0, 4
	v_lshl_add_u64 v[26:27], v[26:27], 0, 4
	s_addc_u32 s23, s13, -1
	s_mov_b64 s[24:25], 0
	s_mov_b64 s[28:29], 0
                                        ; implicit-def: $sgpr26_sgpr27
	s_branch .LBB1528_543
.LBB1528_541:                           ;   in Loop: Header=BB1528_543 Depth=1
	global_load_dword v28, v[26:27], off
	global_load_dword v29, v[6:7], off
	s_add_u32 s28, s28, 1
	s_addc_u32 s29, s29, 0
	s_andn2_b64 s[26:27], s[26:27], exec
	v_lshl_add_u64 v[6:7], v[6:7], 0, 4
	v_lshl_add_u64 v[26:27], v[26:27], 0, 4
	s_waitcnt vmcnt(0)
	v_cmp_ne_u32_e32 vcc, v28, v29
	s_and_b64 s[30:31], vcc, exec
	s_or_b64 s[26:27], s[26:27], s[30:31]
.LBB1528_542:                           ;   in Loop: Header=BB1528_543 Depth=1
	s_and_b64 s[30:31], exec, s[26:27]
	s_or_b64 s[24:25], s[30:31], s[24:25]
	v_mov_b64_e32 v[28:29], s[28:29]
	s_andn2_b64 exec, exec, s[24:25]
	s_cbranch_execz .LBB1528_546
.LBB1528_543:                           ; =>This Inner Loop Header: Depth=1
	s_or_b64 s[26:27], s[26:27], exec
	s_cmp_eq_u64 s[22:23], s[28:29]
	s_cbranch_scc0 .LBB1528_541
; %bb.544:                              ;   in Loop: Header=BB1528_543 Depth=1
                                        ; implicit-def: $vgpr6_vgpr7
                                        ; implicit-def: $vgpr26_vgpr27
	s_mov_b64 s[28:29], s[12:13]
	s_branch .LBB1528_542
.LBB1528_545:
	v_mov_b64_e32 v[6:7], 0
	s_branch .LBB1528_548
.LBB1528_546:
	s_or_b64 exec, exec, s[24:25]
	v_cmp_gt_i64_e32 vcc, s[12:13], v[28:29]
	s_mov_b32 s7, 0
	v_mov_b32_e32 v7, s7
	v_cndmask_b32_e64 v6, 0, 1, vcc
.LBB1528_547:
	s_or_b64 exec, exec, s[20:21]
.LBB1528_548:
	s_or_b64 exec, exec, s[4:5]
	v_add_u32_e32 v26, 1, v1
	v_cmp_gt_u32_e32 vcc, s10, v26
	s_and_saveexec_b64 s[4:5], vcc
	s_cbranch_execz .LBB1528_559
; %bb.549:
	s_and_b64 vcc, exec, s[2:3]
	s_cbranch_vccnz .LBB1528_556
; %bb.550:
	v_mul_lo_u32 v26, v5, s12
	v_mul_lo_u32 v27, v4, s13
	v_mad_u64_u32 v[4:5], s[20:21], v4, s12, 0
	v_add3_u32 v5, v5, v27, v26
	v_mul_lo_u32 v26, v3, s12
	v_mul_lo_u32 v27, v2, s13
	v_mad_u64_u32 v[28:29], s[20:21], v2, s12, 0
	v_add3_u32 v29, v29, v27, v26
	v_lshl_add_u64 v[26:27], v[4:5], 2, s[14:15]
	v_lshl_add_u64 v[28:29], v[28:29], 2, s[14:15]
	global_load_dword v4, v[26:27], off
	global_load_dword v5, v[28:29], off
	s_waitcnt vmcnt(0)
	v_cmp_eq_u32_e32 vcc, v4, v5
	v_mov_b64_e32 v[4:5], 1
	s_and_saveexec_b64 s[20:21], vcc
	s_cbranch_execz .LBB1528_558
; %bb.551:
	s_add_u32 s22, s12, -1
	v_lshl_add_u64 v[4:5], v[28:29], 0, 4
	v_lshl_add_u64 v[26:27], v[26:27], 0, 4
	s_addc_u32 s23, s13, -1
	s_mov_b64 s[24:25], 0
	s_mov_b64 s[28:29], 0
                                        ; implicit-def: $sgpr26_sgpr27
	s_branch .LBB1528_554
.LBB1528_552:                           ;   in Loop: Header=BB1528_554 Depth=1
	global_load_dword v28, v[26:27], off
	global_load_dword v29, v[4:5], off
	s_add_u32 s28, s28, 1
	s_addc_u32 s29, s29, 0
	s_andn2_b64 s[26:27], s[26:27], exec
	v_lshl_add_u64 v[4:5], v[4:5], 0, 4
	v_lshl_add_u64 v[26:27], v[26:27], 0, 4
	s_waitcnt vmcnt(0)
	v_cmp_ne_u32_e32 vcc, v28, v29
	s_and_b64 s[30:31], vcc, exec
	s_or_b64 s[26:27], s[26:27], s[30:31]
.LBB1528_553:                           ;   in Loop: Header=BB1528_554 Depth=1
	s_and_b64 s[30:31], exec, s[26:27]
	s_or_b64 s[24:25], s[30:31], s[24:25]
	v_mov_b64_e32 v[28:29], s[28:29]
	s_andn2_b64 exec, exec, s[24:25]
	s_cbranch_execz .LBB1528_557
.LBB1528_554:                           ; =>This Inner Loop Header: Depth=1
	s_or_b64 s[26:27], s[26:27], exec
	s_cmp_eq_u64 s[22:23], s[28:29]
	s_cbranch_scc0 .LBB1528_552
; %bb.555:                              ;   in Loop: Header=BB1528_554 Depth=1
                                        ; implicit-def: $vgpr4_vgpr5
                                        ; implicit-def: $vgpr26_vgpr27
	s_mov_b64 s[28:29], s[12:13]
	s_branch .LBB1528_553
.LBB1528_556:
	v_mov_b64_e32 v[4:5], 0
	s_branch .LBB1528_559
.LBB1528_557:
	s_or_b64 exec, exec, s[24:25]
	v_cmp_gt_i64_e32 vcc, s[12:13], v[28:29]
	s_mov_b32 s7, 0
	v_mov_b32_e32 v5, s7
	v_cndmask_b32_e64 v4, 0, 1, vcc
.LBB1528_558:
	s_or_b64 exec, exec, s[20:21]
.LBB1528_559:
	s_or_b64 exec, exec, s[4:5]
	v_cmp_ne_u32_e32 vcc, 0, v0
	v_cmp_gt_u32_e64 s[4:5], s10, v1
	s_and_b64 s[20:21], vcc, s[4:5]
	s_waitcnt lgkmcnt(0)
	; wave barrier
	s_waitcnt lgkmcnt(0)
                                        ; implicit-def: $sgpr24_sgpr25
	s_and_saveexec_b64 s[4:5], s[20:21]
	s_cbranch_execz .LBB1528_571
; %bb.560:
	s_and_b64 vcc, exec, s[2:3]
	s_cbranch_vccnz .LBB1528_567
; %bb.561:
	v_mul_lo_u32 v1, v3, s12
	v_add_u32_e32 v3, -8, v48
	ds_read_b64 v[26:27], v3
	v_mul_lo_u32 v28, v2, s13
	v_mad_u64_u32 v[2:3], s[2:3], v2, s12, 0
	v_add3_u32 v3, v3, v28, v1
	s_waitcnt lgkmcnt(0)
	v_mul_lo_u32 v1, v27, s12
	v_mul_lo_u32 v27, v26, s13
	v_mad_u64_u32 v[28:29], s[2:3], v26, s12, 0
	v_add3_u32 v29, v29, v27, v1
	v_lshl_add_u64 v[26:27], v[2:3], 2, s[14:15]
	v_lshl_add_u64 v[2:3], v[28:29], 2, s[14:15]
	global_load_dword v1, v[26:27], off
	global_load_dword v28, v[2:3], off
	s_mov_b64 s[14:15], -1
	s_waitcnt vmcnt(0)
	v_cmp_eq_u32_e32 vcc, v1, v28
	s_and_saveexec_b64 s[2:3], vcc
	s_cbranch_execz .LBB1528_569
; %bb.562:
	s_add_u32 s14, s12, -1
	v_lshl_add_u64 v[2:3], v[2:3], 0, 4
	v_lshl_add_u64 v[26:27], v[26:27], 0, 4
	s_addc_u32 s15, s13, -1
	s_mov_b64 s[20:21], 0
	s_mov_b64 s[24:25], 0
                                        ; implicit-def: $sgpr22_sgpr23
	s_branch .LBB1528_565
.LBB1528_563:                           ;   in Loop: Header=BB1528_565 Depth=1
	global_load_dword v1, v[26:27], off
	global_load_dword v28, v[2:3], off
	s_add_u32 s24, s24, 1
	s_addc_u32 s25, s25, 0
	s_andn2_b64 s[22:23], s[22:23], exec
	v_lshl_add_u64 v[2:3], v[2:3], 0, 4
	v_lshl_add_u64 v[26:27], v[26:27], 0, 4
	s_waitcnt vmcnt(0)
	v_cmp_ne_u32_e32 vcc, v1, v28
	s_and_b64 s[26:27], vcc, exec
	s_or_b64 s[22:23], s[22:23], s[26:27]
.LBB1528_564:                           ;   in Loop: Header=BB1528_565 Depth=1
	s_and_b64 s[26:27], exec, s[22:23]
	s_or_b64 s[20:21], s[26:27], s[20:21]
	v_mov_b64_e32 v[28:29], s[24:25]
	s_andn2_b64 exec, exec, s[20:21]
	s_cbranch_execz .LBB1528_568
.LBB1528_565:                           ; =>This Inner Loop Header: Depth=1
	s_or_b64 s[22:23], s[22:23], exec
	s_cmp_eq_u64 s[14:15], s[24:25]
	s_cbranch_scc0 .LBB1528_563
; %bb.566:                              ;   in Loop: Header=BB1528_565 Depth=1
                                        ; implicit-def: $vgpr2_vgpr3
                                        ; implicit-def: $vgpr26_vgpr27
	s_mov_b64 s[24:25], s[12:13]
	s_branch .LBB1528_564
.LBB1528_567:
	s_mov_b64 s[14:15], 0
	s_branch .LBB1528_570
.LBB1528_568:
	s_or_b64 exec, exec, s[20:21]
	v_cmp_gt_i64_e32 vcc, s[12:13], v[28:29]
	s_orn2_b64 s[14:15], vcc, exec
.LBB1528_569:
	s_or_b64 exec, exec, s[2:3]
.LBB1528_570:
	s_and_b64 s[24:25], s[14:15], exec
	s_or_b64 s[18:19], s[18:19], exec
.LBB1528_571:
	s_or_b64 exec, exec, s[4:5]
	v_mov_b64_e32 v[50:51], v[44:45]
	v_mov_b64_e32 v[52:53], v[24:25]
	;; [unrolled: 1-line block ×23, first 2 shown]
.LBB1528_572:
	s_and_saveexec_b64 s[2:3], s[18:19]
	s_cbranch_execz .LBB1528_574
; %bb.573:
	s_mov_b32 s4, 0
	v_cndmask_b32_e64 v2, 0, 1, s[24:25]
	v_mov_b32_e32 v3, s4
	v_mov_b64_e32 v[30:31], v[54:55]
	v_mov_b64_e32 v[80:81], v[56:57]
	;; [unrolled: 1-line block ×9, first 2 shown]
	s_waitcnt lgkmcnt(0)
	v_mov_b64_e32 v[26:27], v[46:47]
	v_mov_b64_e32 v[72:73], v[52:53]
.LBB1528_574:
	s_or_b64 exec, exec, s[2:3]
	s_add_u32 s4, s8, s16
	s_addc_u32 s5, s9, s17
	s_and_b64 vcc, exec, s[0:1]
	s_waitcnt lgkmcnt(0)
	; wave barrier
	s_waitcnt lgkmcnt(0)
	s_cbranch_vccz .LBB1528_600
; %bb.575:
	s_movk_i32 s2, 0x68
	v_mul_u32_u24_e32 v1, 0x68, v0
	v_mov_b32_e32 v4, v82
	v_mov_b32_e32 v5, v83
	v_mul_i32_i24_e32 v28, 0xffffffa0, v0
	ds_write2_b64 v1, v[2:3], v[4:5] offset1:1
	ds_write2_b64 v1, v[74:75], v[42:43] offset0:2 offset1:3
	ds_write2_b64 v1, v[76:77], v[38:39] offset0:4 offset1:5
	;; [unrolled: 1-line block ×5, first 2 shown]
	ds_write_b64 v1, v[50:51] offset:96
	v_mad_u32_u24 v4, v0, s2, v28
	s_waitcnt lgkmcnt(0)
	; wave barrier
	s_waitcnt lgkmcnt(0)
	ds_read2st64_b64 v[44:47], v4 offset0:1 offset1:2
	ds_read2st64_b64 v[20:23], v4 offset0:3 offset1:4
	;; [unrolled: 1-line block ×6, first 2 shown]
	s_mov_b32 s7, 0
	s_add_i32 s11, s11, s10
	s_lshl_b64 s[0:1], s[6:7], 3
	s_add_u32 s0, s4, s0
	s_addc_u32 s1, s5, s1
	v_mov_b32_e32 v49, 0
	v_lshl_add_u64 v[24:25], s[0:1], 0, v[48:49]
	v_cmp_gt_u32_e32 vcc, s11, v0
	s_and_saveexec_b64 s[0:1], vcc
	s_cbranch_execz .LBB1528_577
; %bb.576:
	v_add_u32_e32 v1, v1, v28
	ds_read_b64 v[28:29], v1
	s_waitcnt lgkmcnt(0)
	global_store_dwordx2 v[24:25], v[28:29], off
.LBB1528_577:
	s_or_b64 exec, exec, s[0:1]
	v_or_b32_e32 v1, 64, v0
	v_cmp_gt_u32_e32 vcc, s11, v1
	s_and_saveexec_b64 s[0:1], vcc
	s_cbranch_execz .LBB1528_579
; %bb.578:
	s_waitcnt lgkmcnt(5)
	global_store_dwordx2 v[24:25], v[44:45], off offset:512
.LBB1528_579:
	s_or_b64 exec, exec, s[0:1]
	v_or_b32_e32 v1, 0x80, v0
	v_cmp_gt_u32_e32 vcc, s11, v1
	s_and_saveexec_b64 s[0:1], vcc
	s_cbranch_execz .LBB1528_581
; %bb.580:
	s_waitcnt lgkmcnt(5)
	global_store_dwordx2 v[24:25], v[46:47], off offset:1024
.LBB1528_581:
	;; [unrolled: 9-line block ×7, first 2 shown]
	s_or_b64 exec, exec, s[0:1]
	v_or_b32_e32 v1, 0x200, v0
	v_cmp_gt_u32_e32 vcc, s11, v1
	s_and_saveexec_b64 s[0:1], vcc
	s_cbranch_execz .LBB1528_593
; %bb.592:
	s_waitcnt lgkmcnt(2)
	v_add_co_u32_e32 v12, vcc, 0x1000, v24
	s_nop 1
	v_addc_co_u32_e32 v13, vcc, 0, v25, vcc
	global_store_dwordx2 v[12:13], v[14:15], off
.LBB1528_593:
	s_or_b64 exec, exec, s[0:1]
	v_or_b32_e32 v1, 0x240, v0
	v_cmp_gt_u32_e32 vcc, s11, v1
	s_and_saveexec_b64 s[0:1], vcc
	s_cbranch_execz .LBB1528_595
; %bb.594:
	s_waitcnt lgkmcnt(2)
	v_add_co_u32_e32 v12, vcc, 0x1000, v24
	s_nop 1
	v_addc_co_u32_e32 v13, vcc, 0, v25, vcc
	s_waitcnt lgkmcnt(1)
	global_store_dwordx2 v[12:13], v[8:9], off offset:512
.LBB1528_595:
	s_or_b64 exec, exec, s[0:1]
	v_or_b32_e32 v1, 0x280, v0
	v_cmp_gt_u32_e32 vcc, s11, v1
	s_and_saveexec_b64 s[0:1], vcc
	s_cbranch_execz .LBB1528_597
; %bb.596:
	s_waitcnt lgkmcnt(1)
	v_add_co_u32_e32 v8, vcc, 0x1000, v24
	s_nop 1
	v_addc_co_u32_e32 v9, vcc, 0, v25, vcc
	global_store_dwordx2 v[8:9], v[10:11], off offset:1024
.LBB1528_597:
	s_or_b64 exec, exec, s[0:1]
	v_or_b32_e32 v1, 0x2c0, v0
	v_cmp_gt_u32_e32 vcc, s11, v1
	s_and_saveexec_b64 s[0:1], vcc
	s_cbranch_execz .LBB1528_599
; %bb.598:
	s_waitcnt lgkmcnt(1)
	v_add_co_u32_e32 v8, vcc, 0x1000, v24
	s_nop 1
	v_addc_co_u32_e32 v9, vcc, 0, v25, vcc
	s_waitcnt lgkmcnt(0)
	global_store_dwordx2 v[8:9], v[4:5], off offset:1536
.LBB1528_599:
	s_or_b64 exec, exec, s[0:1]
	v_or_b32_e32 v1, 0x300, v0
	v_cmp_gt_u32_e64 s[0:1], s11, v1
	s_branch .LBB1528_602
.LBB1528_600:
	s_mov_b64 s[0:1], 0
                                        ; implicit-def: $vgpr6_vgpr7
                                        ; implicit-def: $vgpr24_vgpr25
	s_cbranch_execz .LBB1528_602
; %bb.601:
	s_mov_b32 s7, 0
	s_lshl_b64 s[2:3], s[6:7], 3
	v_mul_u32_u24_e32 v1, 0x68, v0
	s_add_u32 s2, s4, s2
	s_movk_i32 s4, 0x68
	ds_write2_b64 v1, v[2:3], v[82:83] offset1:1
	ds_write2_b64 v1, v[74:75], v[42:43] offset0:2 offset1:3
	ds_write2_b64 v1, v[76:77], v[38:39] offset0:4 offset1:5
	;; [unrolled: 1-line block ×5, first 2 shown]
	ds_write_b64 v1, v[50:51] offset:96
	v_mul_i32_i24_e32 v1, 0xffffffa0, v0
	s_waitcnt lgkmcnt(7)
	v_mad_u32_u24 v4, v0, s4, v1
	s_addc_u32 s3, s5, s3
	s_waitcnt lgkmcnt(0)
	; wave barrier
	s_waitcnt lgkmcnt(0)
	ds_read2st64_b64 v[0:3], v4 offset1:1
	ds_read2st64_b64 v[8:11], v4 offset0:2 offset1:3
	ds_read2st64_b64 v[12:15], v4 offset0:4 offset1:5
	ds_read2st64_b64 v[16:19], v4 offset0:6 offset1:7
	ds_read2st64_b64 v[20:23], v4 offset0:8 offset1:9
	ds_read2st64_b64 v[26:29], v4 offset0:10 offset1:11
	ds_read_b64 v[6:7], v4 offset:6144
	v_mov_b32_e32 v49, 0
	v_lshl_add_u64 v[24:25], s[2:3], 0, v[48:49]
	s_waitcnt lgkmcnt(6)
	global_store_dwordx2 v48, v[0:1], s[2:3]
	global_store_dwordx2 v48, v[2:3], s[2:3] offset:512
	s_waitcnt lgkmcnt(5)
	global_store_dwordx2 v48, v[8:9], s[2:3] offset:1024
	global_store_dwordx2 v48, v[10:11], s[2:3] offset:1536
	s_waitcnt lgkmcnt(4)
	global_store_dwordx2 v48, v[12:13], s[2:3] offset:2048
	;; [unrolled: 3-line block ×3, first 2 shown]
	global_store_dwordx2 v48, v[18:19], s[2:3] offset:3584
	v_add_co_u32_e32 v0, vcc, 0x1000, v24
	s_or_b64 s[0:1], s[0:1], exec
	s_nop 0
	v_addc_co_u32_e32 v1, vcc, 0, v25, vcc
	s_waitcnt lgkmcnt(2)
	global_store_dwordx2 v[0:1], v[20:21], off
	global_store_dwordx2 v[0:1], v[22:23], off offset:512
	s_waitcnt lgkmcnt(1)
	global_store_dwordx2 v[0:1], v[26:27], off offset:1024
	global_store_dwordx2 v[0:1], v[28:29], off offset:1536
.LBB1528_602:
	s_and_saveexec_b64 s[2:3], s[0:1]
	s_cbranch_execnz .LBB1528_604
; %bb.603:
	s_endpgm
.LBB1528_604:
	v_add_co_u32_e32 v0, vcc, 0x1000, v24
	s_nop 1
	v_addc_co_u32_e32 v1, vcc, 0, v25, vcc
	s_waitcnt lgkmcnt(0)
	global_store_dwordx2 v[0:1], v[6:7], off offset:2048
	s_endpgm
	.section	.rodata,"a",@progbits
	.p2align	6, 0x0
	.amdhsa_kernel _ZN7rocprim17ROCPRIM_400000_NS6detail17trampoline_kernelINS0_14default_configENS1_35adjacent_difference_config_selectorILb0ElEEZNS1_24adjacent_difference_implIS3_Lb0ELb0EPlS7_ZN2at6native12_GLOBAL__N_124unique_dim_cuda_templateIjEESt5tupleIJNS8_6TensorESD_SD_EERKSD_lbbbEUlllE1_EE10hipError_tPvRmT2_T3_mT4_P12ihipStream_tbEUlT_E_NS1_11comp_targetILNS1_3genE5ELNS1_11target_archE942ELNS1_3gpuE9ELNS1_3repE0EEENS1_30default_config_static_selectorELNS0_4arch9wavefront6targetE1EEEvT1_
		.amdhsa_group_segment_fixed_size 6656
		.amdhsa_private_segment_fixed_size 0
		.amdhsa_kernarg_size 64
		.amdhsa_user_sgpr_count 2
		.amdhsa_user_sgpr_dispatch_ptr 0
		.amdhsa_user_sgpr_queue_ptr 0
		.amdhsa_user_sgpr_kernarg_segment_ptr 1
		.amdhsa_user_sgpr_dispatch_id 0
		.amdhsa_user_sgpr_kernarg_preload_length 0
		.amdhsa_user_sgpr_kernarg_preload_offset 0
		.amdhsa_user_sgpr_private_segment_size 0
		.amdhsa_uses_dynamic_stack 0
		.amdhsa_enable_private_segment 0
		.amdhsa_system_sgpr_workgroup_id_x 1
		.amdhsa_system_sgpr_workgroup_id_y 0
		.amdhsa_system_sgpr_workgroup_id_z 0
		.amdhsa_system_sgpr_workgroup_info 0
		.amdhsa_system_vgpr_workitem_id 0
		.amdhsa_next_free_vgpr 84
		.amdhsa_next_free_sgpr 38
		.amdhsa_accum_offset 84
		.amdhsa_reserve_vcc 1
		.amdhsa_float_round_mode_32 0
		.amdhsa_float_round_mode_16_64 0
		.amdhsa_float_denorm_mode_32 3
		.amdhsa_float_denorm_mode_16_64 3
		.amdhsa_dx10_clamp 1
		.amdhsa_ieee_mode 1
		.amdhsa_fp16_overflow 0
		.amdhsa_tg_split 0
		.amdhsa_exception_fp_ieee_invalid_op 0
		.amdhsa_exception_fp_denorm_src 0
		.amdhsa_exception_fp_ieee_div_zero 0
		.amdhsa_exception_fp_ieee_overflow 0
		.amdhsa_exception_fp_ieee_underflow 0
		.amdhsa_exception_fp_ieee_inexact 0
		.amdhsa_exception_int_div_zero 0
	.end_amdhsa_kernel
	.section	.text._ZN7rocprim17ROCPRIM_400000_NS6detail17trampoline_kernelINS0_14default_configENS1_35adjacent_difference_config_selectorILb0ElEEZNS1_24adjacent_difference_implIS3_Lb0ELb0EPlS7_ZN2at6native12_GLOBAL__N_124unique_dim_cuda_templateIjEESt5tupleIJNS8_6TensorESD_SD_EERKSD_lbbbEUlllE1_EE10hipError_tPvRmT2_T3_mT4_P12ihipStream_tbEUlT_E_NS1_11comp_targetILNS1_3genE5ELNS1_11target_archE942ELNS1_3gpuE9ELNS1_3repE0EEENS1_30default_config_static_selectorELNS0_4arch9wavefront6targetE1EEEvT1_,"axG",@progbits,_ZN7rocprim17ROCPRIM_400000_NS6detail17trampoline_kernelINS0_14default_configENS1_35adjacent_difference_config_selectorILb0ElEEZNS1_24adjacent_difference_implIS3_Lb0ELb0EPlS7_ZN2at6native12_GLOBAL__N_124unique_dim_cuda_templateIjEESt5tupleIJNS8_6TensorESD_SD_EERKSD_lbbbEUlllE1_EE10hipError_tPvRmT2_T3_mT4_P12ihipStream_tbEUlT_E_NS1_11comp_targetILNS1_3genE5ELNS1_11target_archE942ELNS1_3gpuE9ELNS1_3repE0EEENS1_30default_config_static_selectorELNS0_4arch9wavefront6targetE1EEEvT1_,comdat
.Lfunc_end1528:
	.size	_ZN7rocprim17ROCPRIM_400000_NS6detail17trampoline_kernelINS0_14default_configENS1_35adjacent_difference_config_selectorILb0ElEEZNS1_24adjacent_difference_implIS3_Lb0ELb0EPlS7_ZN2at6native12_GLOBAL__N_124unique_dim_cuda_templateIjEESt5tupleIJNS8_6TensorESD_SD_EERKSD_lbbbEUlllE1_EE10hipError_tPvRmT2_T3_mT4_P12ihipStream_tbEUlT_E_NS1_11comp_targetILNS1_3genE5ELNS1_11target_archE942ELNS1_3gpuE9ELNS1_3repE0EEENS1_30default_config_static_selectorELNS0_4arch9wavefront6targetE1EEEvT1_, .Lfunc_end1528-_ZN7rocprim17ROCPRIM_400000_NS6detail17trampoline_kernelINS0_14default_configENS1_35adjacent_difference_config_selectorILb0ElEEZNS1_24adjacent_difference_implIS3_Lb0ELb0EPlS7_ZN2at6native12_GLOBAL__N_124unique_dim_cuda_templateIjEESt5tupleIJNS8_6TensorESD_SD_EERKSD_lbbbEUlllE1_EE10hipError_tPvRmT2_T3_mT4_P12ihipStream_tbEUlT_E_NS1_11comp_targetILNS1_3genE5ELNS1_11target_archE942ELNS1_3gpuE9ELNS1_3repE0EEENS1_30default_config_static_selectorELNS0_4arch9wavefront6targetE1EEEvT1_
                                        ; -- End function
	.section	.AMDGPU.csdata,"",@progbits
; Kernel info:
; codeLenInByte = 18140
; NumSgprs: 44
; NumVgprs: 84
; NumAgprs: 0
; TotalNumVgprs: 84
; ScratchSize: 0
; MemoryBound: 0
; FloatMode: 240
; IeeeMode: 1
; LDSByteSize: 6656 bytes/workgroup (compile time only)
; SGPRBlocks: 5
; VGPRBlocks: 10
; NumSGPRsForWavesPerEU: 44
; NumVGPRsForWavesPerEU: 84
; AccumOffset: 84
; Occupancy: 3
; WaveLimiterHint : 1
; COMPUTE_PGM_RSRC2:SCRATCH_EN: 0
; COMPUTE_PGM_RSRC2:USER_SGPR: 2
; COMPUTE_PGM_RSRC2:TRAP_HANDLER: 0
; COMPUTE_PGM_RSRC2:TGID_X_EN: 1
; COMPUTE_PGM_RSRC2:TGID_Y_EN: 0
; COMPUTE_PGM_RSRC2:TGID_Z_EN: 0
; COMPUTE_PGM_RSRC2:TIDIG_COMP_CNT: 0
; COMPUTE_PGM_RSRC3_GFX90A:ACCUM_OFFSET: 20
; COMPUTE_PGM_RSRC3_GFX90A:TG_SPLIT: 0
	.section	.text._ZN7rocprim17ROCPRIM_400000_NS6detail17trampoline_kernelINS0_14default_configENS1_35adjacent_difference_config_selectorILb0ElEEZNS1_24adjacent_difference_implIS3_Lb0ELb0EPlS7_ZN2at6native12_GLOBAL__N_124unique_dim_cuda_templateIjEESt5tupleIJNS8_6TensorESD_SD_EERKSD_lbbbEUlllE1_EE10hipError_tPvRmT2_T3_mT4_P12ihipStream_tbEUlT_E_NS1_11comp_targetILNS1_3genE4ELNS1_11target_archE910ELNS1_3gpuE8ELNS1_3repE0EEENS1_30default_config_static_selectorELNS0_4arch9wavefront6targetE1EEEvT1_,"axG",@progbits,_ZN7rocprim17ROCPRIM_400000_NS6detail17trampoline_kernelINS0_14default_configENS1_35adjacent_difference_config_selectorILb0ElEEZNS1_24adjacent_difference_implIS3_Lb0ELb0EPlS7_ZN2at6native12_GLOBAL__N_124unique_dim_cuda_templateIjEESt5tupleIJNS8_6TensorESD_SD_EERKSD_lbbbEUlllE1_EE10hipError_tPvRmT2_T3_mT4_P12ihipStream_tbEUlT_E_NS1_11comp_targetILNS1_3genE4ELNS1_11target_archE910ELNS1_3gpuE8ELNS1_3repE0EEENS1_30default_config_static_selectorELNS0_4arch9wavefront6targetE1EEEvT1_,comdat
	.globl	_ZN7rocprim17ROCPRIM_400000_NS6detail17trampoline_kernelINS0_14default_configENS1_35adjacent_difference_config_selectorILb0ElEEZNS1_24adjacent_difference_implIS3_Lb0ELb0EPlS7_ZN2at6native12_GLOBAL__N_124unique_dim_cuda_templateIjEESt5tupleIJNS8_6TensorESD_SD_EERKSD_lbbbEUlllE1_EE10hipError_tPvRmT2_T3_mT4_P12ihipStream_tbEUlT_E_NS1_11comp_targetILNS1_3genE4ELNS1_11target_archE910ELNS1_3gpuE8ELNS1_3repE0EEENS1_30default_config_static_selectorELNS0_4arch9wavefront6targetE1EEEvT1_ ; -- Begin function _ZN7rocprim17ROCPRIM_400000_NS6detail17trampoline_kernelINS0_14default_configENS1_35adjacent_difference_config_selectorILb0ElEEZNS1_24adjacent_difference_implIS3_Lb0ELb0EPlS7_ZN2at6native12_GLOBAL__N_124unique_dim_cuda_templateIjEESt5tupleIJNS8_6TensorESD_SD_EERKSD_lbbbEUlllE1_EE10hipError_tPvRmT2_T3_mT4_P12ihipStream_tbEUlT_E_NS1_11comp_targetILNS1_3genE4ELNS1_11target_archE910ELNS1_3gpuE8ELNS1_3repE0EEENS1_30default_config_static_selectorELNS0_4arch9wavefront6targetE1EEEvT1_
	.p2align	8
	.type	_ZN7rocprim17ROCPRIM_400000_NS6detail17trampoline_kernelINS0_14default_configENS1_35adjacent_difference_config_selectorILb0ElEEZNS1_24adjacent_difference_implIS3_Lb0ELb0EPlS7_ZN2at6native12_GLOBAL__N_124unique_dim_cuda_templateIjEESt5tupleIJNS8_6TensorESD_SD_EERKSD_lbbbEUlllE1_EE10hipError_tPvRmT2_T3_mT4_P12ihipStream_tbEUlT_E_NS1_11comp_targetILNS1_3genE4ELNS1_11target_archE910ELNS1_3gpuE8ELNS1_3repE0EEENS1_30default_config_static_selectorELNS0_4arch9wavefront6targetE1EEEvT1_,@function
_ZN7rocprim17ROCPRIM_400000_NS6detail17trampoline_kernelINS0_14default_configENS1_35adjacent_difference_config_selectorILb0ElEEZNS1_24adjacent_difference_implIS3_Lb0ELb0EPlS7_ZN2at6native12_GLOBAL__N_124unique_dim_cuda_templateIjEESt5tupleIJNS8_6TensorESD_SD_EERKSD_lbbbEUlllE1_EE10hipError_tPvRmT2_T3_mT4_P12ihipStream_tbEUlT_E_NS1_11comp_targetILNS1_3genE4ELNS1_11target_archE910ELNS1_3gpuE8ELNS1_3repE0EEENS1_30default_config_static_selectorELNS0_4arch9wavefront6targetE1EEEvT1_: ; @_ZN7rocprim17ROCPRIM_400000_NS6detail17trampoline_kernelINS0_14default_configENS1_35adjacent_difference_config_selectorILb0ElEEZNS1_24adjacent_difference_implIS3_Lb0ELb0EPlS7_ZN2at6native12_GLOBAL__N_124unique_dim_cuda_templateIjEESt5tupleIJNS8_6TensorESD_SD_EERKSD_lbbbEUlllE1_EE10hipError_tPvRmT2_T3_mT4_P12ihipStream_tbEUlT_E_NS1_11comp_targetILNS1_3genE4ELNS1_11target_archE910ELNS1_3gpuE8ELNS1_3repE0EEENS1_30default_config_static_selectorELNS0_4arch9wavefront6targetE1EEEvT1_
; %bb.0:
	.section	.rodata,"a",@progbits
	.p2align	6, 0x0
	.amdhsa_kernel _ZN7rocprim17ROCPRIM_400000_NS6detail17trampoline_kernelINS0_14default_configENS1_35adjacent_difference_config_selectorILb0ElEEZNS1_24adjacent_difference_implIS3_Lb0ELb0EPlS7_ZN2at6native12_GLOBAL__N_124unique_dim_cuda_templateIjEESt5tupleIJNS8_6TensorESD_SD_EERKSD_lbbbEUlllE1_EE10hipError_tPvRmT2_T3_mT4_P12ihipStream_tbEUlT_E_NS1_11comp_targetILNS1_3genE4ELNS1_11target_archE910ELNS1_3gpuE8ELNS1_3repE0EEENS1_30default_config_static_selectorELNS0_4arch9wavefront6targetE1EEEvT1_
		.amdhsa_group_segment_fixed_size 0
		.amdhsa_private_segment_fixed_size 0
		.amdhsa_kernarg_size 64
		.amdhsa_user_sgpr_count 2
		.amdhsa_user_sgpr_dispatch_ptr 0
		.amdhsa_user_sgpr_queue_ptr 0
		.amdhsa_user_sgpr_kernarg_segment_ptr 1
		.amdhsa_user_sgpr_dispatch_id 0
		.amdhsa_user_sgpr_kernarg_preload_length 0
		.amdhsa_user_sgpr_kernarg_preload_offset 0
		.amdhsa_user_sgpr_private_segment_size 0
		.amdhsa_uses_dynamic_stack 0
		.amdhsa_enable_private_segment 0
		.amdhsa_system_sgpr_workgroup_id_x 1
		.amdhsa_system_sgpr_workgroup_id_y 0
		.amdhsa_system_sgpr_workgroup_id_z 0
		.amdhsa_system_sgpr_workgroup_info 0
		.amdhsa_system_vgpr_workitem_id 0
		.amdhsa_next_free_vgpr 1
		.amdhsa_next_free_sgpr 0
		.amdhsa_accum_offset 4
		.amdhsa_reserve_vcc 0
		.amdhsa_float_round_mode_32 0
		.amdhsa_float_round_mode_16_64 0
		.amdhsa_float_denorm_mode_32 3
		.amdhsa_float_denorm_mode_16_64 3
		.amdhsa_dx10_clamp 1
		.amdhsa_ieee_mode 1
		.amdhsa_fp16_overflow 0
		.amdhsa_tg_split 0
		.amdhsa_exception_fp_ieee_invalid_op 0
		.amdhsa_exception_fp_denorm_src 0
		.amdhsa_exception_fp_ieee_div_zero 0
		.amdhsa_exception_fp_ieee_overflow 0
		.amdhsa_exception_fp_ieee_underflow 0
		.amdhsa_exception_fp_ieee_inexact 0
		.amdhsa_exception_int_div_zero 0
	.end_amdhsa_kernel
	.section	.text._ZN7rocprim17ROCPRIM_400000_NS6detail17trampoline_kernelINS0_14default_configENS1_35adjacent_difference_config_selectorILb0ElEEZNS1_24adjacent_difference_implIS3_Lb0ELb0EPlS7_ZN2at6native12_GLOBAL__N_124unique_dim_cuda_templateIjEESt5tupleIJNS8_6TensorESD_SD_EERKSD_lbbbEUlllE1_EE10hipError_tPvRmT2_T3_mT4_P12ihipStream_tbEUlT_E_NS1_11comp_targetILNS1_3genE4ELNS1_11target_archE910ELNS1_3gpuE8ELNS1_3repE0EEENS1_30default_config_static_selectorELNS0_4arch9wavefront6targetE1EEEvT1_,"axG",@progbits,_ZN7rocprim17ROCPRIM_400000_NS6detail17trampoline_kernelINS0_14default_configENS1_35adjacent_difference_config_selectorILb0ElEEZNS1_24adjacent_difference_implIS3_Lb0ELb0EPlS7_ZN2at6native12_GLOBAL__N_124unique_dim_cuda_templateIjEESt5tupleIJNS8_6TensorESD_SD_EERKSD_lbbbEUlllE1_EE10hipError_tPvRmT2_T3_mT4_P12ihipStream_tbEUlT_E_NS1_11comp_targetILNS1_3genE4ELNS1_11target_archE910ELNS1_3gpuE8ELNS1_3repE0EEENS1_30default_config_static_selectorELNS0_4arch9wavefront6targetE1EEEvT1_,comdat
.Lfunc_end1529:
	.size	_ZN7rocprim17ROCPRIM_400000_NS6detail17trampoline_kernelINS0_14default_configENS1_35adjacent_difference_config_selectorILb0ElEEZNS1_24adjacent_difference_implIS3_Lb0ELb0EPlS7_ZN2at6native12_GLOBAL__N_124unique_dim_cuda_templateIjEESt5tupleIJNS8_6TensorESD_SD_EERKSD_lbbbEUlllE1_EE10hipError_tPvRmT2_T3_mT4_P12ihipStream_tbEUlT_E_NS1_11comp_targetILNS1_3genE4ELNS1_11target_archE910ELNS1_3gpuE8ELNS1_3repE0EEENS1_30default_config_static_selectorELNS0_4arch9wavefront6targetE1EEEvT1_, .Lfunc_end1529-_ZN7rocprim17ROCPRIM_400000_NS6detail17trampoline_kernelINS0_14default_configENS1_35adjacent_difference_config_selectorILb0ElEEZNS1_24adjacent_difference_implIS3_Lb0ELb0EPlS7_ZN2at6native12_GLOBAL__N_124unique_dim_cuda_templateIjEESt5tupleIJNS8_6TensorESD_SD_EERKSD_lbbbEUlllE1_EE10hipError_tPvRmT2_T3_mT4_P12ihipStream_tbEUlT_E_NS1_11comp_targetILNS1_3genE4ELNS1_11target_archE910ELNS1_3gpuE8ELNS1_3repE0EEENS1_30default_config_static_selectorELNS0_4arch9wavefront6targetE1EEEvT1_
                                        ; -- End function
	.section	.AMDGPU.csdata,"",@progbits
; Kernel info:
; codeLenInByte = 0
; NumSgprs: 6
; NumVgprs: 0
; NumAgprs: 0
; TotalNumVgprs: 0
; ScratchSize: 0
; MemoryBound: 0
; FloatMode: 240
; IeeeMode: 1
; LDSByteSize: 0 bytes/workgroup (compile time only)
; SGPRBlocks: 0
; VGPRBlocks: 0
; NumSGPRsForWavesPerEU: 6
; NumVGPRsForWavesPerEU: 1
; AccumOffset: 4
; Occupancy: 8
; WaveLimiterHint : 0
; COMPUTE_PGM_RSRC2:SCRATCH_EN: 0
; COMPUTE_PGM_RSRC2:USER_SGPR: 2
; COMPUTE_PGM_RSRC2:TRAP_HANDLER: 0
; COMPUTE_PGM_RSRC2:TGID_X_EN: 1
; COMPUTE_PGM_RSRC2:TGID_Y_EN: 0
; COMPUTE_PGM_RSRC2:TGID_Z_EN: 0
; COMPUTE_PGM_RSRC2:TIDIG_COMP_CNT: 0
; COMPUTE_PGM_RSRC3_GFX90A:ACCUM_OFFSET: 0
; COMPUTE_PGM_RSRC3_GFX90A:TG_SPLIT: 0
	.section	.text._ZN7rocprim17ROCPRIM_400000_NS6detail17trampoline_kernelINS0_14default_configENS1_35adjacent_difference_config_selectorILb0ElEEZNS1_24adjacent_difference_implIS3_Lb0ELb0EPlS7_ZN2at6native12_GLOBAL__N_124unique_dim_cuda_templateIjEESt5tupleIJNS8_6TensorESD_SD_EERKSD_lbbbEUlllE1_EE10hipError_tPvRmT2_T3_mT4_P12ihipStream_tbEUlT_E_NS1_11comp_targetILNS1_3genE3ELNS1_11target_archE908ELNS1_3gpuE7ELNS1_3repE0EEENS1_30default_config_static_selectorELNS0_4arch9wavefront6targetE1EEEvT1_,"axG",@progbits,_ZN7rocprim17ROCPRIM_400000_NS6detail17trampoline_kernelINS0_14default_configENS1_35adjacent_difference_config_selectorILb0ElEEZNS1_24adjacent_difference_implIS3_Lb0ELb0EPlS7_ZN2at6native12_GLOBAL__N_124unique_dim_cuda_templateIjEESt5tupleIJNS8_6TensorESD_SD_EERKSD_lbbbEUlllE1_EE10hipError_tPvRmT2_T3_mT4_P12ihipStream_tbEUlT_E_NS1_11comp_targetILNS1_3genE3ELNS1_11target_archE908ELNS1_3gpuE7ELNS1_3repE0EEENS1_30default_config_static_selectorELNS0_4arch9wavefront6targetE1EEEvT1_,comdat
	.globl	_ZN7rocprim17ROCPRIM_400000_NS6detail17trampoline_kernelINS0_14default_configENS1_35adjacent_difference_config_selectorILb0ElEEZNS1_24adjacent_difference_implIS3_Lb0ELb0EPlS7_ZN2at6native12_GLOBAL__N_124unique_dim_cuda_templateIjEESt5tupleIJNS8_6TensorESD_SD_EERKSD_lbbbEUlllE1_EE10hipError_tPvRmT2_T3_mT4_P12ihipStream_tbEUlT_E_NS1_11comp_targetILNS1_3genE3ELNS1_11target_archE908ELNS1_3gpuE7ELNS1_3repE0EEENS1_30default_config_static_selectorELNS0_4arch9wavefront6targetE1EEEvT1_ ; -- Begin function _ZN7rocprim17ROCPRIM_400000_NS6detail17trampoline_kernelINS0_14default_configENS1_35adjacent_difference_config_selectorILb0ElEEZNS1_24adjacent_difference_implIS3_Lb0ELb0EPlS7_ZN2at6native12_GLOBAL__N_124unique_dim_cuda_templateIjEESt5tupleIJNS8_6TensorESD_SD_EERKSD_lbbbEUlllE1_EE10hipError_tPvRmT2_T3_mT4_P12ihipStream_tbEUlT_E_NS1_11comp_targetILNS1_3genE3ELNS1_11target_archE908ELNS1_3gpuE7ELNS1_3repE0EEENS1_30default_config_static_selectorELNS0_4arch9wavefront6targetE1EEEvT1_
	.p2align	8
	.type	_ZN7rocprim17ROCPRIM_400000_NS6detail17trampoline_kernelINS0_14default_configENS1_35adjacent_difference_config_selectorILb0ElEEZNS1_24adjacent_difference_implIS3_Lb0ELb0EPlS7_ZN2at6native12_GLOBAL__N_124unique_dim_cuda_templateIjEESt5tupleIJNS8_6TensorESD_SD_EERKSD_lbbbEUlllE1_EE10hipError_tPvRmT2_T3_mT4_P12ihipStream_tbEUlT_E_NS1_11comp_targetILNS1_3genE3ELNS1_11target_archE908ELNS1_3gpuE7ELNS1_3repE0EEENS1_30default_config_static_selectorELNS0_4arch9wavefront6targetE1EEEvT1_,@function
_ZN7rocprim17ROCPRIM_400000_NS6detail17trampoline_kernelINS0_14default_configENS1_35adjacent_difference_config_selectorILb0ElEEZNS1_24adjacent_difference_implIS3_Lb0ELb0EPlS7_ZN2at6native12_GLOBAL__N_124unique_dim_cuda_templateIjEESt5tupleIJNS8_6TensorESD_SD_EERKSD_lbbbEUlllE1_EE10hipError_tPvRmT2_T3_mT4_P12ihipStream_tbEUlT_E_NS1_11comp_targetILNS1_3genE3ELNS1_11target_archE908ELNS1_3gpuE7ELNS1_3repE0EEENS1_30default_config_static_selectorELNS0_4arch9wavefront6targetE1EEEvT1_: ; @_ZN7rocprim17ROCPRIM_400000_NS6detail17trampoline_kernelINS0_14default_configENS1_35adjacent_difference_config_selectorILb0ElEEZNS1_24adjacent_difference_implIS3_Lb0ELb0EPlS7_ZN2at6native12_GLOBAL__N_124unique_dim_cuda_templateIjEESt5tupleIJNS8_6TensorESD_SD_EERKSD_lbbbEUlllE1_EE10hipError_tPvRmT2_T3_mT4_P12ihipStream_tbEUlT_E_NS1_11comp_targetILNS1_3genE3ELNS1_11target_archE908ELNS1_3gpuE7ELNS1_3repE0EEENS1_30default_config_static_selectorELNS0_4arch9wavefront6targetE1EEEvT1_
; %bb.0:
	.section	.rodata,"a",@progbits
	.p2align	6, 0x0
	.amdhsa_kernel _ZN7rocprim17ROCPRIM_400000_NS6detail17trampoline_kernelINS0_14default_configENS1_35adjacent_difference_config_selectorILb0ElEEZNS1_24adjacent_difference_implIS3_Lb0ELb0EPlS7_ZN2at6native12_GLOBAL__N_124unique_dim_cuda_templateIjEESt5tupleIJNS8_6TensorESD_SD_EERKSD_lbbbEUlllE1_EE10hipError_tPvRmT2_T3_mT4_P12ihipStream_tbEUlT_E_NS1_11comp_targetILNS1_3genE3ELNS1_11target_archE908ELNS1_3gpuE7ELNS1_3repE0EEENS1_30default_config_static_selectorELNS0_4arch9wavefront6targetE1EEEvT1_
		.amdhsa_group_segment_fixed_size 0
		.amdhsa_private_segment_fixed_size 0
		.amdhsa_kernarg_size 64
		.amdhsa_user_sgpr_count 2
		.amdhsa_user_sgpr_dispatch_ptr 0
		.amdhsa_user_sgpr_queue_ptr 0
		.amdhsa_user_sgpr_kernarg_segment_ptr 1
		.amdhsa_user_sgpr_dispatch_id 0
		.amdhsa_user_sgpr_kernarg_preload_length 0
		.amdhsa_user_sgpr_kernarg_preload_offset 0
		.amdhsa_user_sgpr_private_segment_size 0
		.amdhsa_uses_dynamic_stack 0
		.amdhsa_enable_private_segment 0
		.amdhsa_system_sgpr_workgroup_id_x 1
		.amdhsa_system_sgpr_workgroup_id_y 0
		.amdhsa_system_sgpr_workgroup_id_z 0
		.amdhsa_system_sgpr_workgroup_info 0
		.amdhsa_system_vgpr_workitem_id 0
		.amdhsa_next_free_vgpr 1
		.amdhsa_next_free_sgpr 0
		.amdhsa_accum_offset 4
		.amdhsa_reserve_vcc 0
		.amdhsa_float_round_mode_32 0
		.amdhsa_float_round_mode_16_64 0
		.amdhsa_float_denorm_mode_32 3
		.amdhsa_float_denorm_mode_16_64 3
		.amdhsa_dx10_clamp 1
		.amdhsa_ieee_mode 1
		.amdhsa_fp16_overflow 0
		.amdhsa_tg_split 0
		.amdhsa_exception_fp_ieee_invalid_op 0
		.amdhsa_exception_fp_denorm_src 0
		.amdhsa_exception_fp_ieee_div_zero 0
		.amdhsa_exception_fp_ieee_overflow 0
		.amdhsa_exception_fp_ieee_underflow 0
		.amdhsa_exception_fp_ieee_inexact 0
		.amdhsa_exception_int_div_zero 0
	.end_amdhsa_kernel
	.section	.text._ZN7rocprim17ROCPRIM_400000_NS6detail17trampoline_kernelINS0_14default_configENS1_35adjacent_difference_config_selectorILb0ElEEZNS1_24adjacent_difference_implIS3_Lb0ELb0EPlS7_ZN2at6native12_GLOBAL__N_124unique_dim_cuda_templateIjEESt5tupleIJNS8_6TensorESD_SD_EERKSD_lbbbEUlllE1_EE10hipError_tPvRmT2_T3_mT4_P12ihipStream_tbEUlT_E_NS1_11comp_targetILNS1_3genE3ELNS1_11target_archE908ELNS1_3gpuE7ELNS1_3repE0EEENS1_30default_config_static_selectorELNS0_4arch9wavefront6targetE1EEEvT1_,"axG",@progbits,_ZN7rocprim17ROCPRIM_400000_NS6detail17trampoline_kernelINS0_14default_configENS1_35adjacent_difference_config_selectorILb0ElEEZNS1_24adjacent_difference_implIS3_Lb0ELb0EPlS7_ZN2at6native12_GLOBAL__N_124unique_dim_cuda_templateIjEESt5tupleIJNS8_6TensorESD_SD_EERKSD_lbbbEUlllE1_EE10hipError_tPvRmT2_T3_mT4_P12ihipStream_tbEUlT_E_NS1_11comp_targetILNS1_3genE3ELNS1_11target_archE908ELNS1_3gpuE7ELNS1_3repE0EEENS1_30default_config_static_selectorELNS0_4arch9wavefront6targetE1EEEvT1_,comdat
.Lfunc_end1530:
	.size	_ZN7rocprim17ROCPRIM_400000_NS6detail17trampoline_kernelINS0_14default_configENS1_35adjacent_difference_config_selectorILb0ElEEZNS1_24adjacent_difference_implIS3_Lb0ELb0EPlS7_ZN2at6native12_GLOBAL__N_124unique_dim_cuda_templateIjEESt5tupleIJNS8_6TensorESD_SD_EERKSD_lbbbEUlllE1_EE10hipError_tPvRmT2_T3_mT4_P12ihipStream_tbEUlT_E_NS1_11comp_targetILNS1_3genE3ELNS1_11target_archE908ELNS1_3gpuE7ELNS1_3repE0EEENS1_30default_config_static_selectorELNS0_4arch9wavefront6targetE1EEEvT1_, .Lfunc_end1530-_ZN7rocprim17ROCPRIM_400000_NS6detail17trampoline_kernelINS0_14default_configENS1_35adjacent_difference_config_selectorILb0ElEEZNS1_24adjacent_difference_implIS3_Lb0ELb0EPlS7_ZN2at6native12_GLOBAL__N_124unique_dim_cuda_templateIjEESt5tupleIJNS8_6TensorESD_SD_EERKSD_lbbbEUlllE1_EE10hipError_tPvRmT2_T3_mT4_P12ihipStream_tbEUlT_E_NS1_11comp_targetILNS1_3genE3ELNS1_11target_archE908ELNS1_3gpuE7ELNS1_3repE0EEENS1_30default_config_static_selectorELNS0_4arch9wavefront6targetE1EEEvT1_
                                        ; -- End function
	.section	.AMDGPU.csdata,"",@progbits
; Kernel info:
; codeLenInByte = 0
; NumSgprs: 6
; NumVgprs: 0
; NumAgprs: 0
; TotalNumVgprs: 0
; ScratchSize: 0
; MemoryBound: 0
; FloatMode: 240
; IeeeMode: 1
; LDSByteSize: 0 bytes/workgroup (compile time only)
; SGPRBlocks: 0
; VGPRBlocks: 0
; NumSGPRsForWavesPerEU: 6
; NumVGPRsForWavesPerEU: 1
; AccumOffset: 4
; Occupancy: 8
; WaveLimiterHint : 0
; COMPUTE_PGM_RSRC2:SCRATCH_EN: 0
; COMPUTE_PGM_RSRC2:USER_SGPR: 2
; COMPUTE_PGM_RSRC2:TRAP_HANDLER: 0
; COMPUTE_PGM_RSRC2:TGID_X_EN: 1
; COMPUTE_PGM_RSRC2:TGID_Y_EN: 0
; COMPUTE_PGM_RSRC2:TGID_Z_EN: 0
; COMPUTE_PGM_RSRC2:TIDIG_COMP_CNT: 0
; COMPUTE_PGM_RSRC3_GFX90A:ACCUM_OFFSET: 0
; COMPUTE_PGM_RSRC3_GFX90A:TG_SPLIT: 0
	.section	.text._ZN7rocprim17ROCPRIM_400000_NS6detail17trampoline_kernelINS0_14default_configENS1_35adjacent_difference_config_selectorILb0ElEEZNS1_24adjacent_difference_implIS3_Lb0ELb0EPlS7_ZN2at6native12_GLOBAL__N_124unique_dim_cuda_templateIjEESt5tupleIJNS8_6TensorESD_SD_EERKSD_lbbbEUlllE1_EE10hipError_tPvRmT2_T3_mT4_P12ihipStream_tbEUlT_E_NS1_11comp_targetILNS1_3genE2ELNS1_11target_archE906ELNS1_3gpuE6ELNS1_3repE0EEENS1_30default_config_static_selectorELNS0_4arch9wavefront6targetE1EEEvT1_,"axG",@progbits,_ZN7rocprim17ROCPRIM_400000_NS6detail17trampoline_kernelINS0_14default_configENS1_35adjacent_difference_config_selectorILb0ElEEZNS1_24adjacent_difference_implIS3_Lb0ELb0EPlS7_ZN2at6native12_GLOBAL__N_124unique_dim_cuda_templateIjEESt5tupleIJNS8_6TensorESD_SD_EERKSD_lbbbEUlllE1_EE10hipError_tPvRmT2_T3_mT4_P12ihipStream_tbEUlT_E_NS1_11comp_targetILNS1_3genE2ELNS1_11target_archE906ELNS1_3gpuE6ELNS1_3repE0EEENS1_30default_config_static_selectorELNS0_4arch9wavefront6targetE1EEEvT1_,comdat
	.globl	_ZN7rocprim17ROCPRIM_400000_NS6detail17trampoline_kernelINS0_14default_configENS1_35adjacent_difference_config_selectorILb0ElEEZNS1_24adjacent_difference_implIS3_Lb0ELb0EPlS7_ZN2at6native12_GLOBAL__N_124unique_dim_cuda_templateIjEESt5tupleIJNS8_6TensorESD_SD_EERKSD_lbbbEUlllE1_EE10hipError_tPvRmT2_T3_mT4_P12ihipStream_tbEUlT_E_NS1_11comp_targetILNS1_3genE2ELNS1_11target_archE906ELNS1_3gpuE6ELNS1_3repE0EEENS1_30default_config_static_selectorELNS0_4arch9wavefront6targetE1EEEvT1_ ; -- Begin function _ZN7rocprim17ROCPRIM_400000_NS6detail17trampoline_kernelINS0_14default_configENS1_35adjacent_difference_config_selectorILb0ElEEZNS1_24adjacent_difference_implIS3_Lb0ELb0EPlS7_ZN2at6native12_GLOBAL__N_124unique_dim_cuda_templateIjEESt5tupleIJNS8_6TensorESD_SD_EERKSD_lbbbEUlllE1_EE10hipError_tPvRmT2_T3_mT4_P12ihipStream_tbEUlT_E_NS1_11comp_targetILNS1_3genE2ELNS1_11target_archE906ELNS1_3gpuE6ELNS1_3repE0EEENS1_30default_config_static_selectorELNS0_4arch9wavefront6targetE1EEEvT1_
	.p2align	8
	.type	_ZN7rocprim17ROCPRIM_400000_NS6detail17trampoline_kernelINS0_14default_configENS1_35adjacent_difference_config_selectorILb0ElEEZNS1_24adjacent_difference_implIS3_Lb0ELb0EPlS7_ZN2at6native12_GLOBAL__N_124unique_dim_cuda_templateIjEESt5tupleIJNS8_6TensorESD_SD_EERKSD_lbbbEUlllE1_EE10hipError_tPvRmT2_T3_mT4_P12ihipStream_tbEUlT_E_NS1_11comp_targetILNS1_3genE2ELNS1_11target_archE906ELNS1_3gpuE6ELNS1_3repE0EEENS1_30default_config_static_selectorELNS0_4arch9wavefront6targetE1EEEvT1_,@function
_ZN7rocprim17ROCPRIM_400000_NS6detail17trampoline_kernelINS0_14default_configENS1_35adjacent_difference_config_selectorILb0ElEEZNS1_24adjacent_difference_implIS3_Lb0ELb0EPlS7_ZN2at6native12_GLOBAL__N_124unique_dim_cuda_templateIjEESt5tupleIJNS8_6TensorESD_SD_EERKSD_lbbbEUlllE1_EE10hipError_tPvRmT2_T3_mT4_P12ihipStream_tbEUlT_E_NS1_11comp_targetILNS1_3genE2ELNS1_11target_archE906ELNS1_3gpuE6ELNS1_3repE0EEENS1_30default_config_static_selectorELNS0_4arch9wavefront6targetE1EEEvT1_: ; @_ZN7rocprim17ROCPRIM_400000_NS6detail17trampoline_kernelINS0_14default_configENS1_35adjacent_difference_config_selectorILb0ElEEZNS1_24adjacent_difference_implIS3_Lb0ELb0EPlS7_ZN2at6native12_GLOBAL__N_124unique_dim_cuda_templateIjEESt5tupleIJNS8_6TensorESD_SD_EERKSD_lbbbEUlllE1_EE10hipError_tPvRmT2_T3_mT4_P12ihipStream_tbEUlT_E_NS1_11comp_targetILNS1_3genE2ELNS1_11target_archE906ELNS1_3gpuE6ELNS1_3repE0EEENS1_30default_config_static_selectorELNS0_4arch9wavefront6targetE1EEEvT1_
; %bb.0:
	.section	.rodata,"a",@progbits
	.p2align	6, 0x0
	.amdhsa_kernel _ZN7rocprim17ROCPRIM_400000_NS6detail17trampoline_kernelINS0_14default_configENS1_35adjacent_difference_config_selectorILb0ElEEZNS1_24adjacent_difference_implIS3_Lb0ELb0EPlS7_ZN2at6native12_GLOBAL__N_124unique_dim_cuda_templateIjEESt5tupleIJNS8_6TensorESD_SD_EERKSD_lbbbEUlllE1_EE10hipError_tPvRmT2_T3_mT4_P12ihipStream_tbEUlT_E_NS1_11comp_targetILNS1_3genE2ELNS1_11target_archE906ELNS1_3gpuE6ELNS1_3repE0EEENS1_30default_config_static_selectorELNS0_4arch9wavefront6targetE1EEEvT1_
		.amdhsa_group_segment_fixed_size 0
		.amdhsa_private_segment_fixed_size 0
		.amdhsa_kernarg_size 64
		.amdhsa_user_sgpr_count 2
		.amdhsa_user_sgpr_dispatch_ptr 0
		.amdhsa_user_sgpr_queue_ptr 0
		.amdhsa_user_sgpr_kernarg_segment_ptr 1
		.amdhsa_user_sgpr_dispatch_id 0
		.amdhsa_user_sgpr_kernarg_preload_length 0
		.amdhsa_user_sgpr_kernarg_preload_offset 0
		.amdhsa_user_sgpr_private_segment_size 0
		.amdhsa_uses_dynamic_stack 0
		.amdhsa_enable_private_segment 0
		.amdhsa_system_sgpr_workgroup_id_x 1
		.amdhsa_system_sgpr_workgroup_id_y 0
		.amdhsa_system_sgpr_workgroup_id_z 0
		.amdhsa_system_sgpr_workgroup_info 0
		.amdhsa_system_vgpr_workitem_id 0
		.amdhsa_next_free_vgpr 1
		.amdhsa_next_free_sgpr 0
		.amdhsa_accum_offset 4
		.amdhsa_reserve_vcc 0
		.amdhsa_float_round_mode_32 0
		.amdhsa_float_round_mode_16_64 0
		.amdhsa_float_denorm_mode_32 3
		.amdhsa_float_denorm_mode_16_64 3
		.amdhsa_dx10_clamp 1
		.amdhsa_ieee_mode 1
		.amdhsa_fp16_overflow 0
		.amdhsa_tg_split 0
		.amdhsa_exception_fp_ieee_invalid_op 0
		.amdhsa_exception_fp_denorm_src 0
		.amdhsa_exception_fp_ieee_div_zero 0
		.amdhsa_exception_fp_ieee_overflow 0
		.amdhsa_exception_fp_ieee_underflow 0
		.amdhsa_exception_fp_ieee_inexact 0
		.amdhsa_exception_int_div_zero 0
	.end_amdhsa_kernel
	.section	.text._ZN7rocprim17ROCPRIM_400000_NS6detail17trampoline_kernelINS0_14default_configENS1_35adjacent_difference_config_selectorILb0ElEEZNS1_24adjacent_difference_implIS3_Lb0ELb0EPlS7_ZN2at6native12_GLOBAL__N_124unique_dim_cuda_templateIjEESt5tupleIJNS8_6TensorESD_SD_EERKSD_lbbbEUlllE1_EE10hipError_tPvRmT2_T3_mT4_P12ihipStream_tbEUlT_E_NS1_11comp_targetILNS1_3genE2ELNS1_11target_archE906ELNS1_3gpuE6ELNS1_3repE0EEENS1_30default_config_static_selectorELNS0_4arch9wavefront6targetE1EEEvT1_,"axG",@progbits,_ZN7rocprim17ROCPRIM_400000_NS6detail17trampoline_kernelINS0_14default_configENS1_35adjacent_difference_config_selectorILb0ElEEZNS1_24adjacent_difference_implIS3_Lb0ELb0EPlS7_ZN2at6native12_GLOBAL__N_124unique_dim_cuda_templateIjEESt5tupleIJNS8_6TensorESD_SD_EERKSD_lbbbEUlllE1_EE10hipError_tPvRmT2_T3_mT4_P12ihipStream_tbEUlT_E_NS1_11comp_targetILNS1_3genE2ELNS1_11target_archE906ELNS1_3gpuE6ELNS1_3repE0EEENS1_30default_config_static_selectorELNS0_4arch9wavefront6targetE1EEEvT1_,comdat
.Lfunc_end1531:
	.size	_ZN7rocprim17ROCPRIM_400000_NS6detail17trampoline_kernelINS0_14default_configENS1_35adjacent_difference_config_selectorILb0ElEEZNS1_24adjacent_difference_implIS3_Lb0ELb0EPlS7_ZN2at6native12_GLOBAL__N_124unique_dim_cuda_templateIjEESt5tupleIJNS8_6TensorESD_SD_EERKSD_lbbbEUlllE1_EE10hipError_tPvRmT2_T3_mT4_P12ihipStream_tbEUlT_E_NS1_11comp_targetILNS1_3genE2ELNS1_11target_archE906ELNS1_3gpuE6ELNS1_3repE0EEENS1_30default_config_static_selectorELNS0_4arch9wavefront6targetE1EEEvT1_, .Lfunc_end1531-_ZN7rocprim17ROCPRIM_400000_NS6detail17trampoline_kernelINS0_14default_configENS1_35adjacent_difference_config_selectorILb0ElEEZNS1_24adjacent_difference_implIS3_Lb0ELb0EPlS7_ZN2at6native12_GLOBAL__N_124unique_dim_cuda_templateIjEESt5tupleIJNS8_6TensorESD_SD_EERKSD_lbbbEUlllE1_EE10hipError_tPvRmT2_T3_mT4_P12ihipStream_tbEUlT_E_NS1_11comp_targetILNS1_3genE2ELNS1_11target_archE906ELNS1_3gpuE6ELNS1_3repE0EEENS1_30default_config_static_selectorELNS0_4arch9wavefront6targetE1EEEvT1_
                                        ; -- End function
	.section	.AMDGPU.csdata,"",@progbits
; Kernel info:
; codeLenInByte = 0
; NumSgprs: 6
; NumVgprs: 0
; NumAgprs: 0
; TotalNumVgprs: 0
; ScratchSize: 0
; MemoryBound: 0
; FloatMode: 240
; IeeeMode: 1
; LDSByteSize: 0 bytes/workgroup (compile time only)
; SGPRBlocks: 0
; VGPRBlocks: 0
; NumSGPRsForWavesPerEU: 6
; NumVGPRsForWavesPerEU: 1
; AccumOffset: 4
; Occupancy: 8
; WaveLimiterHint : 0
; COMPUTE_PGM_RSRC2:SCRATCH_EN: 0
; COMPUTE_PGM_RSRC2:USER_SGPR: 2
; COMPUTE_PGM_RSRC2:TRAP_HANDLER: 0
; COMPUTE_PGM_RSRC2:TGID_X_EN: 1
; COMPUTE_PGM_RSRC2:TGID_Y_EN: 0
; COMPUTE_PGM_RSRC2:TGID_Z_EN: 0
; COMPUTE_PGM_RSRC2:TIDIG_COMP_CNT: 0
; COMPUTE_PGM_RSRC3_GFX90A:ACCUM_OFFSET: 0
; COMPUTE_PGM_RSRC3_GFX90A:TG_SPLIT: 0
	.section	.text._ZN7rocprim17ROCPRIM_400000_NS6detail17trampoline_kernelINS0_14default_configENS1_35adjacent_difference_config_selectorILb0ElEEZNS1_24adjacent_difference_implIS3_Lb0ELb0EPlS7_ZN2at6native12_GLOBAL__N_124unique_dim_cuda_templateIjEESt5tupleIJNS8_6TensorESD_SD_EERKSD_lbbbEUlllE1_EE10hipError_tPvRmT2_T3_mT4_P12ihipStream_tbEUlT_E_NS1_11comp_targetILNS1_3genE9ELNS1_11target_archE1100ELNS1_3gpuE3ELNS1_3repE0EEENS1_30default_config_static_selectorELNS0_4arch9wavefront6targetE1EEEvT1_,"axG",@progbits,_ZN7rocprim17ROCPRIM_400000_NS6detail17trampoline_kernelINS0_14default_configENS1_35adjacent_difference_config_selectorILb0ElEEZNS1_24adjacent_difference_implIS3_Lb0ELb0EPlS7_ZN2at6native12_GLOBAL__N_124unique_dim_cuda_templateIjEESt5tupleIJNS8_6TensorESD_SD_EERKSD_lbbbEUlllE1_EE10hipError_tPvRmT2_T3_mT4_P12ihipStream_tbEUlT_E_NS1_11comp_targetILNS1_3genE9ELNS1_11target_archE1100ELNS1_3gpuE3ELNS1_3repE0EEENS1_30default_config_static_selectorELNS0_4arch9wavefront6targetE1EEEvT1_,comdat
	.globl	_ZN7rocprim17ROCPRIM_400000_NS6detail17trampoline_kernelINS0_14default_configENS1_35adjacent_difference_config_selectorILb0ElEEZNS1_24adjacent_difference_implIS3_Lb0ELb0EPlS7_ZN2at6native12_GLOBAL__N_124unique_dim_cuda_templateIjEESt5tupleIJNS8_6TensorESD_SD_EERKSD_lbbbEUlllE1_EE10hipError_tPvRmT2_T3_mT4_P12ihipStream_tbEUlT_E_NS1_11comp_targetILNS1_3genE9ELNS1_11target_archE1100ELNS1_3gpuE3ELNS1_3repE0EEENS1_30default_config_static_selectorELNS0_4arch9wavefront6targetE1EEEvT1_ ; -- Begin function _ZN7rocprim17ROCPRIM_400000_NS6detail17trampoline_kernelINS0_14default_configENS1_35adjacent_difference_config_selectorILb0ElEEZNS1_24adjacent_difference_implIS3_Lb0ELb0EPlS7_ZN2at6native12_GLOBAL__N_124unique_dim_cuda_templateIjEESt5tupleIJNS8_6TensorESD_SD_EERKSD_lbbbEUlllE1_EE10hipError_tPvRmT2_T3_mT4_P12ihipStream_tbEUlT_E_NS1_11comp_targetILNS1_3genE9ELNS1_11target_archE1100ELNS1_3gpuE3ELNS1_3repE0EEENS1_30default_config_static_selectorELNS0_4arch9wavefront6targetE1EEEvT1_
	.p2align	8
	.type	_ZN7rocprim17ROCPRIM_400000_NS6detail17trampoline_kernelINS0_14default_configENS1_35adjacent_difference_config_selectorILb0ElEEZNS1_24adjacent_difference_implIS3_Lb0ELb0EPlS7_ZN2at6native12_GLOBAL__N_124unique_dim_cuda_templateIjEESt5tupleIJNS8_6TensorESD_SD_EERKSD_lbbbEUlllE1_EE10hipError_tPvRmT2_T3_mT4_P12ihipStream_tbEUlT_E_NS1_11comp_targetILNS1_3genE9ELNS1_11target_archE1100ELNS1_3gpuE3ELNS1_3repE0EEENS1_30default_config_static_selectorELNS0_4arch9wavefront6targetE1EEEvT1_,@function
_ZN7rocprim17ROCPRIM_400000_NS6detail17trampoline_kernelINS0_14default_configENS1_35adjacent_difference_config_selectorILb0ElEEZNS1_24adjacent_difference_implIS3_Lb0ELb0EPlS7_ZN2at6native12_GLOBAL__N_124unique_dim_cuda_templateIjEESt5tupleIJNS8_6TensorESD_SD_EERKSD_lbbbEUlllE1_EE10hipError_tPvRmT2_T3_mT4_P12ihipStream_tbEUlT_E_NS1_11comp_targetILNS1_3genE9ELNS1_11target_archE1100ELNS1_3gpuE3ELNS1_3repE0EEENS1_30default_config_static_selectorELNS0_4arch9wavefront6targetE1EEEvT1_: ; @_ZN7rocprim17ROCPRIM_400000_NS6detail17trampoline_kernelINS0_14default_configENS1_35adjacent_difference_config_selectorILb0ElEEZNS1_24adjacent_difference_implIS3_Lb0ELb0EPlS7_ZN2at6native12_GLOBAL__N_124unique_dim_cuda_templateIjEESt5tupleIJNS8_6TensorESD_SD_EERKSD_lbbbEUlllE1_EE10hipError_tPvRmT2_T3_mT4_P12ihipStream_tbEUlT_E_NS1_11comp_targetILNS1_3genE9ELNS1_11target_archE1100ELNS1_3gpuE3ELNS1_3repE0EEENS1_30default_config_static_selectorELNS0_4arch9wavefront6targetE1EEEvT1_
; %bb.0:
	.section	.rodata,"a",@progbits
	.p2align	6, 0x0
	.amdhsa_kernel _ZN7rocprim17ROCPRIM_400000_NS6detail17trampoline_kernelINS0_14default_configENS1_35adjacent_difference_config_selectorILb0ElEEZNS1_24adjacent_difference_implIS3_Lb0ELb0EPlS7_ZN2at6native12_GLOBAL__N_124unique_dim_cuda_templateIjEESt5tupleIJNS8_6TensorESD_SD_EERKSD_lbbbEUlllE1_EE10hipError_tPvRmT2_T3_mT4_P12ihipStream_tbEUlT_E_NS1_11comp_targetILNS1_3genE9ELNS1_11target_archE1100ELNS1_3gpuE3ELNS1_3repE0EEENS1_30default_config_static_selectorELNS0_4arch9wavefront6targetE1EEEvT1_
		.amdhsa_group_segment_fixed_size 0
		.amdhsa_private_segment_fixed_size 0
		.amdhsa_kernarg_size 64
		.amdhsa_user_sgpr_count 2
		.amdhsa_user_sgpr_dispatch_ptr 0
		.amdhsa_user_sgpr_queue_ptr 0
		.amdhsa_user_sgpr_kernarg_segment_ptr 1
		.amdhsa_user_sgpr_dispatch_id 0
		.amdhsa_user_sgpr_kernarg_preload_length 0
		.amdhsa_user_sgpr_kernarg_preload_offset 0
		.amdhsa_user_sgpr_private_segment_size 0
		.amdhsa_uses_dynamic_stack 0
		.amdhsa_enable_private_segment 0
		.amdhsa_system_sgpr_workgroup_id_x 1
		.amdhsa_system_sgpr_workgroup_id_y 0
		.amdhsa_system_sgpr_workgroup_id_z 0
		.amdhsa_system_sgpr_workgroup_info 0
		.amdhsa_system_vgpr_workitem_id 0
		.amdhsa_next_free_vgpr 1
		.amdhsa_next_free_sgpr 0
		.amdhsa_accum_offset 4
		.amdhsa_reserve_vcc 0
		.amdhsa_float_round_mode_32 0
		.amdhsa_float_round_mode_16_64 0
		.amdhsa_float_denorm_mode_32 3
		.amdhsa_float_denorm_mode_16_64 3
		.amdhsa_dx10_clamp 1
		.amdhsa_ieee_mode 1
		.amdhsa_fp16_overflow 0
		.amdhsa_tg_split 0
		.amdhsa_exception_fp_ieee_invalid_op 0
		.amdhsa_exception_fp_denorm_src 0
		.amdhsa_exception_fp_ieee_div_zero 0
		.amdhsa_exception_fp_ieee_overflow 0
		.amdhsa_exception_fp_ieee_underflow 0
		.amdhsa_exception_fp_ieee_inexact 0
		.amdhsa_exception_int_div_zero 0
	.end_amdhsa_kernel
	.section	.text._ZN7rocprim17ROCPRIM_400000_NS6detail17trampoline_kernelINS0_14default_configENS1_35adjacent_difference_config_selectorILb0ElEEZNS1_24adjacent_difference_implIS3_Lb0ELb0EPlS7_ZN2at6native12_GLOBAL__N_124unique_dim_cuda_templateIjEESt5tupleIJNS8_6TensorESD_SD_EERKSD_lbbbEUlllE1_EE10hipError_tPvRmT2_T3_mT4_P12ihipStream_tbEUlT_E_NS1_11comp_targetILNS1_3genE9ELNS1_11target_archE1100ELNS1_3gpuE3ELNS1_3repE0EEENS1_30default_config_static_selectorELNS0_4arch9wavefront6targetE1EEEvT1_,"axG",@progbits,_ZN7rocprim17ROCPRIM_400000_NS6detail17trampoline_kernelINS0_14default_configENS1_35adjacent_difference_config_selectorILb0ElEEZNS1_24adjacent_difference_implIS3_Lb0ELb0EPlS7_ZN2at6native12_GLOBAL__N_124unique_dim_cuda_templateIjEESt5tupleIJNS8_6TensorESD_SD_EERKSD_lbbbEUlllE1_EE10hipError_tPvRmT2_T3_mT4_P12ihipStream_tbEUlT_E_NS1_11comp_targetILNS1_3genE9ELNS1_11target_archE1100ELNS1_3gpuE3ELNS1_3repE0EEENS1_30default_config_static_selectorELNS0_4arch9wavefront6targetE1EEEvT1_,comdat
.Lfunc_end1532:
	.size	_ZN7rocprim17ROCPRIM_400000_NS6detail17trampoline_kernelINS0_14default_configENS1_35adjacent_difference_config_selectorILb0ElEEZNS1_24adjacent_difference_implIS3_Lb0ELb0EPlS7_ZN2at6native12_GLOBAL__N_124unique_dim_cuda_templateIjEESt5tupleIJNS8_6TensorESD_SD_EERKSD_lbbbEUlllE1_EE10hipError_tPvRmT2_T3_mT4_P12ihipStream_tbEUlT_E_NS1_11comp_targetILNS1_3genE9ELNS1_11target_archE1100ELNS1_3gpuE3ELNS1_3repE0EEENS1_30default_config_static_selectorELNS0_4arch9wavefront6targetE1EEEvT1_, .Lfunc_end1532-_ZN7rocprim17ROCPRIM_400000_NS6detail17trampoline_kernelINS0_14default_configENS1_35adjacent_difference_config_selectorILb0ElEEZNS1_24adjacent_difference_implIS3_Lb0ELb0EPlS7_ZN2at6native12_GLOBAL__N_124unique_dim_cuda_templateIjEESt5tupleIJNS8_6TensorESD_SD_EERKSD_lbbbEUlllE1_EE10hipError_tPvRmT2_T3_mT4_P12ihipStream_tbEUlT_E_NS1_11comp_targetILNS1_3genE9ELNS1_11target_archE1100ELNS1_3gpuE3ELNS1_3repE0EEENS1_30default_config_static_selectorELNS0_4arch9wavefront6targetE1EEEvT1_
                                        ; -- End function
	.section	.AMDGPU.csdata,"",@progbits
; Kernel info:
; codeLenInByte = 0
; NumSgprs: 6
; NumVgprs: 0
; NumAgprs: 0
; TotalNumVgprs: 0
; ScratchSize: 0
; MemoryBound: 0
; FloatMode: 240
; IeeeMode: 1
; LDSByteSize: 0 bytes/workgroup (compile time only)
; SGPRBlocks: 0
; VGPRBlocks: 0
; NumSGPRsForWavesPerEU: 6
; NumVGPRsForWavesPerEU: 1
; AccumOffset: 4
; Occupancy: 8
; WaveLimiterHint : 0
; COMPUTE_PGM_RSRC2:SCRATCH_EN: 0
; COMPUTE_PGM_RSRC2:USER_SGPR: 2
; COMPUTE_PGM_RSRC2:TRAP_HANDLER: 0
; COMPUTE_PGM_RSRC2:TGID_X_EN: 1
; COMPUTE_PGM_RSRC2:TGID_Y_EN: 0
; COMPUTE_PGM_RSRC2:TGID_Z_EN: 0
; COMPUTE_PGM_RSRC2:TIDIG_COMP_CNT: 0
; COMPUTE_PGM_RSRC3_GFX90A:ACCUM_OFFSET: 0
; COMPUTE_PGM_RSRC3_GFX90A:TG_SPLIT: 0
	.section	.text._ZN7rocprim17ROCPRIM_400000_NS6detail17trampoline_kernelINS0_14default_configENS1_35adjacent_difference_config_selectorILb0ElEEZNS1_24adjacent_difference_implIS3_Lb0ELb0EPlS7_ZN2at6native12_GLOBAL__N_124unique_dim_cuda_templateIjEESt5tupleIJNS8_6TensorESD_SD_EERKSD_lbbbEUlllE1_EE10hipError_tPvRmT2_T3_mT4_P12ihipStream_tbEUlT_E_NS1_11comp_targetILNS1_3genE8ELNS1_11target_archE1030ELNS1_3gpuE2ELNS1_3repE0EEENS1_30default_config_static_selectorELNS0_4arch9wavefront6targetE1EEEvT1_,"axG",@progbits,_ZN7rocprim17ROCPRIM_400000_NS6detail17trampoline_kernelINS0_14default_configENS1_35adjacent_difference_config_selectorILb0ElEEZNS1_24adjacent_difference_implIS3_Lb0ELb0EPlS7_ZN2at6native12_GLOBAL__N_124unique_dim_cuda_templateIjEESt5tupleIJNS8_6TensorESD_SD_EERKSD_lbbbEUlllE1_EE10hipError_tPvRmT2_T3_mT4_P12ihipStream_tbEUlT_E_NS1_11comp_targetILNS1_3genE8ELNS1_11target_archE1030ELNS1_3gpuE2ELNS1_3repE0EEENS1_30default_config_static_selectorELNS0_4arch9wavefront6targetE1EEEvT1_,comdat
	.globl	_ZN7rocprim17ROCPRIM_400000_NS6detail17trampoline_kernelINS0_14default_configENS1_35adjacent_difference_config_selectorILb0ElEEZNS1_24adjacent_difference_implIS3_Lb0ELb0EPlS7_ZN2at6native12_GLOBAL__N_124unique_dim_cuda_templateIjEESt5tupleIJNS8_6TensorESD_SD_EERKSD_lbbbEUlllE1_EE10hipError_tPvRmT2_T3_mT4_P12ihipStream_tbEUlT_E_NS1_11comp_targetILNS1_3genE8ELNS1_11target_archE1030ELNS1_3gpuE2ELNS1_3repE0EEENS1_30default_config_static_selectorELNS0_4arch9wavefront6targetE1EEEvT1_ ; -- Begin function _ZN7rocprim17ROCPRIM_400000_NS6detail17trampoline_kernelINS0_14default_configENS1_35adjacent_difference_config_selectorILb0ElEEZNS1_24adjacent_difference_implIS3_Lb0ELb0EPlS7_ZN2at6native12_GLOBAL__N_124unique_dim_cuda_templateIjEESt5tupleIJNS8_6TensorESD_SD_EERKSD_lbbbEUlllE1_EE10hipError_tPvRmT2_T3_mT4_P12ihipStream_tbEUlT_E_NS1_11comp_targetILNS1_3genE8ELNS1_11target_archE1030ELNS1_3gpuE2ELNS1_3repE0EEENS1_30default_config_static_selectorELNS0_4arch9wavefront6targetE1EEEvT1_
	.p2align	8
	.type	_ZN7rocprim17ROCPRIM_400000_NS6detail17trampoline_kernelINS0_14default_configENS1_35adjacent_difference_config_selectorILb0ElEEZNS1_24adjacent_difference_implIS3_Lb0ELb0EPlS7_ZN2at6native12_GLOBAL__N_124unique_dim_cuda_templateIjEESt5tupleIJNS8_6TensorESD_SD_EERKSD_lbbbEUlllE1_EE10hipError_tPvRmT2_T3_mT4_P12ihipStream_tbEUlT_E_NS1_11comp_targetILNS1_3genE8ELNS1_11target_archE1030ELNS1_3gpuE2ELNS1_3repE0EEENS1_30default_config_static_selectorELNS0_4arch9wavefront6targetE1EEEvT1_,@function
_ZN7rocprim17ROCPRIM_400000_NS6detail17trampoline_kernelINS0_14default_configENS1_35adjacent_difference_config_selectorILb0ElEEZNS1_24adjacent_difference_implIS3_Lb0ELb0EPlS7_ZN2at6native12_GLOBAL__N_124unique_dim_cuda_templateIjEESt5tupleIJNS8_6TensorESD_SD_EERKSD_lbbbEUlllE1_EE10hipError_tPvRmT2_T3_mT4_P12ihipStream_tbEUlT_E_NS1_11comp_targetILNS1_3genE8ELNS1_11target_archE1030ELNS1_3gpuE2ELNS1_3repE0EEENS1_30default_config_static_selectorELNS0_4arch9wavefront6targetE1EEEvT1_: ; @_ZN7rocprim17ROCPRIM_400000_NS6detail17trampoline_kernelINS0_14default_configENS1_35adjacent_difference_config_selectorILb0ElEEZNS1_24adjacent_difference_implIS3_Lb0ELb0EPlS7_ZN2at6native12_GLOBAL__N_124unique_dim_cuda_templateIjEESt5tupleIJNS8_6TensorESD_SD_EERKSD_lbbbEUlllE1_EE10hipError_tPvRmT2_T3_mT4_P12ihipStream_tbEUlT_E_NS1_11comp_targetILNS1_3genE8ELNS1_11target_archE1030ELNS1_3gpuE2ELNS1_3repE0EEENS1_30default_config_static_selectorELNS0_4arch9wavefront6targetE1EEEvT1_
; %bb.0:
	.section	.rodata,"a",@progbits
	.p2align	6, 0x0
	.amdhsa_kernel _ZN7rocprim17ROCPRIM_400000_NS6detail17trampoline_kernelINS0_14default_configENS1_35adjacent_difference_config_selectorILb0ElEEZNS1_24adjacent_difference_implIS3_Lb0ELb0EPlS7_ZN2at6native12_GLOBAL__N_124unique_dim_cuda_templateIjEESt5tupleIJNS8_6TensorESD_SD_EERKSD_lbbbEUlllE1_EE10hipError_tPvRmT2_T3_mT4_P12ihipStream_tbEUlT_E_NS1_11comp_targetILNS1_3genE8ELNS1_11target_archE1030ELNS1_3gpuE2ELNS1_3repE0EEENS1_30default_config_static_selectorELNS0_4arch9wavefront6targetE1EEEvT1_
		.amdhsa_group_segment_fixed_size 0
		.amdhsa_private_segment_fixed_size 0
		.amdhsa_kernarg_size 64
		.amdhsa_user_sgpr_count 2
		.amdhsa_user_sgpr_dispatch_ptr 0
		.amdhsa_user_sgpr_queue_ptr 0
		.amdhsa_user_sgpr_kernarg_segment_ptr 1
		.amdhsa_user_sgpr_dispatch_id 0
		.amdhsa_user_sgpr_kernarg_preload_length 0
		.amdhsa_user_sgpr_kernarg_preload_offset 0
		.amdhsa_user_sgpr_private_segment_size 0
		.amdhsa_uses_dynamic_stack 0
		.amdhsa_enable_private_segment 0
		.amdhsa_system_sgpr_workgroup_id_x 1
		.amdhsa_system_sgpr_workgroup_id_y 0
		.amdhsa_system_sgpr_workgroup_id_z 0
		.amdhsa_system_sgpr_workgroup_info 0
		.amdhsa_system_vgpr_workitem_id 0
		.amdhsa_next_free_vgpr 1
		.amdhsa_next_free_sgpr 0
		.amdhsa_accum_offset 4
		.amdhsa_reserve_vcc 0
		.amdhsa_float_round_mode_32 0
		.amdhsa_float_round_mode_16_64 0
		.amdhsa_float_denorm_mode_32 3
		.amdhsa_float_denorm_mode_16_64 3
		.amdhsa_dx10_clamp 1
		.amdhsa_ieee_mode 1
		.amdhsa_fp16_overflow 0
		.amdhsa_tg_split 0
		.amdhsa_exception_fp_ieee_invalid_op 0
		.amdhsa_exception_fp_denorm_src 0
		.amdhsa_exception_fp_ieee_div_zero 0
		.amdhsa_exception_fp_ieee_overflow 0
		.amdhsa_exception_fp_ieee_underflow 0
		.amdhsa_exception_fp_ieee_inexact 0
		.amdhsa_exception_int_div_zero 0
	.end_amdhsa_kernel
	.section	.text._ZN7rocprim17ROCPRIM_400000_NS6detail17trampoline_kernelINS0_14default_configENS1_35adjacent_difference_config_selectorILb0ElEEZNS1_24adjacent_difference_implIS3_Lb0ELb0EPlS7_ZN2at6native12_GLOBAL__N_124unique_dim_cuda_templateIjEESt5tupleIJNS8_6TensorESD_SD_EERKSD_lbbbEUlllE1_EE10hipError_tPvRmT2_T3_mT4_P12ihipStream_tbEUlT_E_NS1_11comp_targetILNS1_3genE8ELNS1_11target_archE1030ELNS1_3gpuE2ELNS1_3repE0EEENS1_30default_config_static_selectorELNS0_4arch9wavefront6targetE1EEEvT1_,"axG",@progbits,_ZN7rocprim17ROCPRIM_400000_NS6detail17trampoline_kernelINS0_14default_configENS1_35adjacent_difference_config_selectorILb0ElEEZNS1_24adjacent_difference_implIS3_Lb0ELb0EPlS7_ZN2at6native12_GLOBAL__N_124unique_dim_cuda_templateIjEESt5tupleIJNS8_6TensorESD_SD_EERKSD_lbbbEUlllE1_EE10hipError_tPvRmT2_T3_mT4_P12ihipStream_tbEUlT_E_NS1_11comp_targetILNS1_3genE8ELNS1_11target_archE1030ELNS1_3gpuE2ELNS1_3repE0EEENS1_30default_config_static_selectorELNS0_4arch9wavefront6targetE1EEEvT1_,comdat
.Lfunc_end1533:
	.size	_ZN7rocprim17ROCPRIM_400000_NS6detail17trampoline_kernelINS0_14default_configENS1_35adjacent_difference_config_selectorILb0ElEEZNS1_24adjacent_difference_implIS3_Lb0ELb0EPlS7_ZN2at6native12_GLOBAL__N_124unique_dim_cuda_templateIjEESt5tupleIJNS8_6TensorESD_SD_EERKSD_lbbbEUlllE1_EE10hipError_tPvRmT2_T3_mT4_P12ihipStream_tbEUlT_E_NS1_11comp_targetILNS1_3genE8ELNS1_11target_archE1030ELNS1_3gpuE2ELNS1_3repE0EEENS1_30default_config_static_selectorELNS0_4arch9wavefront6targetE1EEEvT1_, .Lfunc_end1533-_ZN7rocprim17ROCPRIM_400000_NS6detail17trampoline_kernelINS0_14default_configENS1_35adjacent_difference_config_selectorILb0ElEEZNS1_24adjacent_difference_implIS3_Lb0ELb0EPlS7_ZN2at6native12_GLOBAL__N_124unique_dim_cuda_templateIjEESt5tupleIJNS8_6TensorESD_SD_EERKSD_lbbbEUlllE1_EE10hipError_tPvRmT2_T3_mT4_P12ihipStream_tbEUlT_E_NS1_11comp_targetILNS1_3genE8ELNS1_11target_archE1030ELNS1_3gpuE2ELNS1_3repE0EEENS1_30default_config_static_selectorELNS0_4arch9wavefront6targetE1EEEvT1_
                                        ; -- End function
	.section	.AMDGPU.csdata,"",@progbits
; Kernel info:
; codeLenInByte = 0
; NumSgprs: 6
; NumVgprs: 0
; NumAgprs: 0
; TotalNumVgprs: 0
; ScratchSize: 0
; MemoryBound: 0
; FloatMode: 240
; IeeeMode: 1
; LDSByteSize: 0 bytes/workgroup (compile time only)
; SGPRBlocks: 0
; VGPRBlocks: 0
; NumSGPRsForWavesPerEU: 6
; NumVGPRsForWavesPerEU: 1
; AccumOffset: 4
; Occupancy: 8
; WaveLimiterHint : 0
; COMPUTE_PGM_RSRC2:SCRATCH_EN: 0
; COMPUTE_PGM_RSRC2:USER_SGPR: 2
; COMPUTE_PGM_RSRC2:TRAP_HANDLER: 0
; COMPUTE_PGM_RSRC2:TGID_X_EN: 1
; COMPUTE_PGM_RSRC2:TGID_Y_EN: 0
; COMPUTE_PGM_RSRC2:TGID_Z_EN: 0
; COMPUTE_PGM_RSRC2:TIDIG_COMP_CNT: 0
; COMPUTE_PGM_RSRC3_GFX90A:ACCUM_OFFSET: 0
; COMPUTE_PGM_RSRC3_GFX90A:TG_SPLIT: 0
	.section	.text._ZN7rocprim17ROCPRIM_400000_NS6detail17trampoline_kernelINS0_14default_configENS1_25transform_config_selectorIlLb0EEEZNS1_14transform_implILb0ES3_S5_NS0_18transform_iteratorINS0_17counting_iteratorImlEEZNS1_24adjacent_difference_implIS3_Lb1ELb0EPlSB_ZN2at6native12_GLOBAL__N_124unique_dim_cuda_templateIjEESt5tupleIJNSC_6TensorESH_SH_EERKSH_lbbbEUlllE1_EE10hipError_tPvRmT2_T3_mT4_P12ihipStream_tbEUlmE_lEESB_NS0_8identityIvEEEESM_SP_SQ_mSR_ST_bEUlT_E_NS1_11comp_targetILNS1_3genE0ELNS1_11target_archE4294967295ELNS1_3gpuE0ELNS1_3repE0EEENS1_30default_config_static_selectorELNS0_4arch9wavefront6targetE1EEEvT1_,"axG",@progbits,_ZN7rocprim17ROCPRIM_400000_NS6detail17trampoline_kernelINS0_14default_configENS1_25transform_config_selectorIlLb0EEEZNS1_14transform_implILb0ES3_S5_NS0_18transform_iteratorINS0_17counting_iteratorImlEEZNS1_24adjacent_difference_implIS3_Lb1ELb0EPlSB_ZN2at6native12_GLOBAL__N_124unique_dim_cuda_templateIjEESt5tupleIJNSC_6TensorESH_SH_EERKSH_lbbbEUlllE1_EE10hipError_tPvRmT2_T3_mT4_P12ihipStream_tbEUlmE_lEESB_NS0_8identityIvEEEESM_SP_SQ_mSR_ST_bEUlT_E_NS1_11comp_targetILNS1_3genE0ELNS1_11target_archE4294967295ELNS1_3gpuE0ELNS1_3repE0EEENS1_30default_config_static_selectorELNS0_4arch9wavefront6targetE1EEEvT1_,comdat
	.globl	_ZN7rocprim17ROCPRIM_400000_NS6detail17trampoline_kernelINS0_14default_configENS1_25transform_config_selectorIlLb0EEEZNS1_14transform_implILb0ES3_S5_NS0_18transform_iteratorINS0_17counting_iteratorImlEEZNS1_24adjacent_difference_implIS3_Lb1ELb0EPlSB_ZN2at6native12_GLOBAL__N_124unique_dim_cuda_templateIjEESt5tupleIJNSC_6TensorESH_SH_EERKSH_lbbbEUlllE1_EE10hipError_tPvRmT2_T3_mT4_P12ihipStream_tbEUlmE_lEESB_NS0_8identityIvEEEESM_SP_SQ_mSR_ST_bEUlT_E_NS1_11comp_targetILNS1_3genE0ELNS1_11target_archE4294967295ELNS1_3gpuE0ELNS1_3repE0EEENS1_30default_config_static_selectorELNS0_4arch9wavefront6targetE1EEEvT1_ ; -- Begin function _ZN7rocprim17ROCPRIM_400000_NS6detail17trampoline_kernelINS0_14default_configENS1_25transform_config_selectorIlLb0EEEZNS1_14transform_implILb0ES3_S5_NS0_18transform_iteratorINS0_17counting_iteratorImlEEZNS1_24adjacent_difference_implIS3_Lb1ELb0EPlSB_ZN2at6native12_GLOBAL__N_124unique_dim_cuda_templateIjEESt5tupleIJNSC_6TensorESH_SH_EERKSH_lbbbEUlllE1_EE10hipError_tPvRmT2_T3_mT4_P12ihipStream_tbEUlmE_lEESB_NS0_8identityIvEEEESM_SP_SQ_mSR_ST_bEUlT_E_NS1_11comp_targetILNS1_3genE0ELNS1_11target_archE4294967295ELNS1_3gpuE0ELNS1_3repE0EEENS1_30default_config_static_selectorELNS0_4arch9wavefront6targetE1EEEvT1_
	.p2align	8
	.type	_ZN7rocprim17ROCPRIM_400000_NS6detail17trampoline_kernelINS0_14default_configENS1_25transform_config_selectorIlLb0EEEZNS1_14transform_implILb0ES3_S5_NS0_18transform_iteratorINS0_17counting_iteratorImlEEZNS1_24adjacent_difference_implIS3_Lb1ELb0EPlSB_ZN2at6native12_GLOBAL__N_124unique_dim_cuda_templateIjEESt5tupleIJNSC_6TensorESH_SH_EERKSH_lbbbEUlllE1_EE10hipError_tPvRmT2_T3_mT4_P12ihipStream_tbEUlmE_lEESB_NS0_8identityIvEEEESM_SP_SQ_mSR_ST_bEUlT_E_NS1_11comp_targetILNS1_3genE0ELNS1_11target_archE4294967295ELNS1_3gpuE0ELNS1_3repE0EEENS1_30default_config_static_selectorELNS0_4arch9wavefront6targetE1EEEvT1_,@function
_ZN7rocprim17ROCPRIM_400000_NS6detail17trampoline_kernelINS0_14default_configENS1_25transform_config_selectorIlLb0EEEZNS1_14transform_implILb0ES3_S5_NS0_18transform_iteratorINS0_17counting_iteratorImlEEZNS1_24adjacent_difference_implIS3_Lb1ELb0EPlSB_ZN2at6native12_GLOBAL__N_124unique_dim_cuda_templateIjEESt5tupleIJNSC_6TensorESH_SH_EERKSH_lbbbEUlllE1_EE10hipError_tPvRmT2_T3_mT4_P12ihipStream_tbEUlmE_lEESB_NS0_8identityIvEEEESM_SP_SQ_mSR_ST_bEUlT_E_NS1_11comp_targetILNS1_3genE0ELNS1_11target_archE4294967295ELNS1_3gpuE0ELNS1_3repE0EEENS1_30default_config_static_selectorELNS0_4arch9wavefront6targetE1EEEvT1_: ; @_ZN7rocprim17ROCPRIM_400000_NS6detail17trampoline_kernelINS0_14default_configENS1_25transform_config_selectorIlLb0EEEZNS1_14transform_implILb0ES3_S5_NS0_18transform_iteratorINS0_17counting_iteratorImlEEZNS1_24adjacent_difference_implIS3_Lb1ELb0EPlSB_ZN2at6native12_GLOBAL__N_124unique_dim_cuda_templateIjEESt5tupleIJNSC_6TensorESH_SH_EERKSH_lbbbEUlllE1_EE10hipError_tPvRmT2_T3_mT4_P12ihipStream_tbEUlmE_lEESB_NS0_8identityIvEEEESM_SP_SQ_mSR_ST_bEUlT_E_NS1_11comp_targetILNS1_3genE0ELNS1_11target_archE4294967295ELNS1_3gpuE0ELNS1_3repE0EEENS1_30default_config_static_selectorELNS0_4arch9wavefront6targetE1EEEvT1_
; %bb.0:
	.section	.rodata,"a",@progbits
	.p2align	6, 0x0
	.amdhsa_kernel _ZN7rocprim17ROCPRIM_400000_NS6detail17trampoline_kernelINS0_14default_configENS1_25transform_config_selectorIlLb0EEEZNS1_14transform_implILb0ES3_S5_NS0_18transform_iteratorINS0_17counting_iteratorImlEEZNS1_24adjacent_difference_implIS3_Lb1ELb0EPlSB_ZN2at6native12_GLOBAL__N_124unique_dim_cuda_templateIjEESt5tupleIJNSC_6TensorESH_SH_EERKSH_lbbbEUlllE1_EE10hipError_tPvRmT2_T3_mT4_P12ihipStream_tbEUlmE_lEESB_NS0_8identityIvEEEESM_SP_SQ_mSR_ST_bEUlT_E_NS1_11comp_targetILNS1_3genE0ELNS1_11target_archE4294967295ELNS1_3gpuE0ELNS1_3repE0EEENS1_30default_config_static_selectorELNS0_4arch9wavefront6targetE1EEEvT1_
		.amdhsa_group_segment_fixed_size 0
		.amdhsa_private_segment_fixed_size 0
		.amdhsa_kernarg_size 56
		.amdhsa_user_sgpr_count 2
		.amdhsa_user_sgpr_dispatch_ptr 0
		.amdhsa_user_sgpr_queue_ptr 0
		.amdhsa_user_sgpr_kernarg_segment_ptr 1
		.amdhsa_user_sgpr_dispatch_id 0
		.amdhsa_user_sgpr_kernarg_preload_length 0
		.amdhsa_user_sgpr_kernarg_preload_offset 0
		.amdhsa_user_sgpr_private_segment_size 0
		.amdhsa_uses_dynamic_stack 0
		.amdhsa_enable_private_segment 0
		.amdhsa_system_sgpr_workgroup_id_x 1
		.amdhsa_system_sgpr_workgroup_id_y 0
		.amdhsa_system_sgpr_workgroup_id_z 0
		.amdhsa_system_sgpr_workgroup_info 0
		.amdhsa_system_vgpr_workitem_id 0
		.amdhsa_next_free_vgpr 1
		.amdhsa_next_free_sgpr 0
		.amdhsa_accum_offset 4
		.amdhsa_reserve_vcc 0
		.amdhsa_float_round_mode_32 0
		.amdhsa_float_round_mode_16_64 0
		.amdhsa_float_denorm_mode_32 3
		.amdhsa_float_denorm_mode_16_64 3
		.amdhsa_dx10_clamp 1
		.amdhsa_ieee_mode 1
		.amdhsa_fp16_overflow 0
		.amdhsa_tg_split 0
		.amdhsa_exception_fp_ieee_invalid_op 0
		.amdhsa_exception_fp_denorm_src 0
		.amdhsa_exception_fp_ieee_div_zero 0
		.amdhsa_exception_fp_ieee_overflow 0
		.amdhsa_exception_fp_ieee_underflow 0
		.amdhsa_exception_fp_ieee_inexact 0
		.amdhsa_exception_int_div_zero 0
	.end_amdhsa_kernel
	.section	.text._ZN7rocprim17ROCPRIM_400000_NS6detail17trampoline_kernelINS0_14default_configENS1_25transform_config_selectorIlLb0EEEZNS1_14transform_implILb0ES3_S5_NS0_18transform_iteratorINS0_17counting_iteratorImlEEZNS1_24adjacent_difference_implIS3_Lb1ELb0EPlSB_ZN2at6native12_GLOBAL__N_124unique_dim_cuda_templateIjEESt5tupleIJNSC_6TensorESH_SH_EERKSH_lbbbEUlllE1_EE10hipError_tPvRmT2_T3_mT4_P12ihipStream_tbEUlmE_lEESB_NS0_8identityIvEEEESM_SP_SQ_mSR_ST_bEUlT_E_NS1_11comp_targetILNS1_3genE0ELNS1_11target_archE4294967295ELNS1_3gpuE0ELNS1_3repE0EEENS1_30default_config_static_selectorELNS0_4arch9wavefront6targetE1EEEvT1_,"axG",@progbits,_ZN7rocprim17ROCPRIM_400000_NS6detail17trampoline_kernelINS0_14default_configENS1_25transform_config_selectorIlLb0EEEZNS1_14transform_implILb0ES3_S5_NS0_18transform_iteratorINS0_17counting_iteratorImlEEZNS1_24adjacent_difference_implIS3_Lb1ELb0EPlSB_ZN2at6native12_GLOBAL__N_124unique_dim_cuda_templateIjEESt5tupleIJNSC_6TensorESH_SH_EERKSH_lbbbEUlllE1_EE10hipError_tPvRmT2_T3_mT4_P12ihipStream_tbEUlmE_lEESB_NS0_8identityIvEEEESM_SP_SQ_mSR_ST_bEUlT_E_NS1_11comp_targetILNS1_3genE0ELNS1_11target_archE4294967295ELNS1_3gpuE0ELNS1_3repE0EEENS1_30default_config_static_selectorELNS0_4arch9wavefront6targetE1EEEvT1_,comdat
.Lfunc_end1534:
	.size	_ZN7rocprim17ROCPRIM_400000_NS6detail17trampoline_kernelINS0_14default_configENS1_25transform_config_selectorIlLb0EEEZNS1_14transform_implILb0ES3_S5_NS0_18transform_iteratorINS0_17counting_iteratorImlEEZNS1_24adjacent_difference_implIS3_Lb1ELb0EPlSB_ZN2at6native12_GLOBAL__N_124unique_dim_cuda_templateIjEESt5tupleIJNSC_6TensorESH_SH_EERKSH_lbbbEUlllE1_EE10hipError_tPvRmT2_T3_mT4_P12ihipStream_tbEUlmE_lEESB_NS0_8identityIvEEEESM_SP_SQ_mSR_ST_bEUlT_E_NS1_11comp_targetILNS1_3genE0ELNS1_11target_archE4294967295ELNS1_3gpuE0ELNS1_3repE0EEENS1_30default_config_static_selectorELNS0_4arch9wavefront6targetE1EEEvT1_, .Lfunc_end1534-_ZN7rocprim17ROCPRIM_400000_NS6detail17trampoline_kernelINS0_14default_configENS1_25transform_config_selectorIlLb0EEEZNS1_14transform_implILb0ES3_S5_NS0_18transform_iteratorINS0_17counting_iteratorImlEEZNS1_24adjacent_difference_implIS3_Lb1ELb0EPlSB_ZN2at6native12_GLOBAL__N_124unique_dim_cuda_templateIjEESt5tupleIJNSC_6TensorESH_SH_EERKSH_lbbbEUlllE1_EE10hipError_tPvRmT2_T3_mT4_P12ihipStream_tbEUlmE_lEESB_NS0_8identityIvEEEESM_SP_SQ_mSR_ST_bEUlT_E_NS1_11comp_targetILNS1_3genE0ELNS1_11target_archE4294967295ELNS1_3gpuE0ELNS1_3repE0EEENS1_30default_config_static_selectorELNS0_4arch9wavefront6targetE1EEEvT1_
                                        ; -- End function
	.section	.AMDGPU.csdata,"",@progbits
; Kernel info:
; codeLenInByte = 0
; NumSgprs: 6
; NumVgprs: 0
; NumAgprs: 0
; TotalNumVgprs: 0
; ScratchSize: 0
; MemoryBound: 0
; FloatMode: 240
; IeeeMode: 1
; LDSByteSize: 0 bytes/workgroup (compile time only)
; SGPRBlocks: 0
; VGPRBlocks: 0
; NumSGPRsForWavesPerEU: 6
; NumVGPRsForWavesPerEU: 1
; AccumOffset: 4
; Occupancy: 8
; WaveLimiterHint : 0
; COMPUTE_PGM_RSRC2:SCRATCH_EN: 0
; COMPUTE_PGM_RSRC2:USER_SGPR: 2
; COMPUTE_PGM_RSRC2:TRAP_HANDLER: 0
; COMPUTE_PGM_RSRC2:TGID_X_EN: 1
; COMPUTE_PGM_RSRC2:TGID_Y_EN: 0
; COMPUTE_PGM_RSRC2:TGID_Z_EN: 0
; COMPUTE_PGM_RSRC2:TIDIG_COMP_CNT: 0
; COMPUTE_PGM_RSRC3_GFX90A:ACCUM_OFFSET: 0
; COMPUTE_PGM_RSRC3_GFX90A:TG_SPLIT: 0
	.section	.text._ZN7rocprim17ROCPRIM_400000_NS6detail17trampoline_kernelINS0_14default_configENS1_25transform_config_selectorIlLb0EEEZNS1_14transform_implILb0ES3_S5_NS0_18transform_iteratorINS0_17counting_iteratorImlEEZNS1_24adjacent_difference_implIS3_Lb1ELb0EPlSB_ZN2at6native12_GLOBAL__N_124unique_dim_cuda_templateIjEESt5tupleIJNSC_6TensorESH_SH_EERKSH_lbbbEUlllE1_EE10hipError_tPvRmT2_T3_mT4_P12ihipStream_tbEUlmE_lEESB_NS0_8identityIvEEEESM_SP_SQ_mSR_ST_bEUlT_E_NS1_11comp_targetILNS1_3genE5ELNS1_11target_archE942ELNS1_3gpuE9ELNS1_3repE0EEENS1_30default_config_static_selectorELNS0_4arch9wavefront6targetE1EEEvT1_,"axG",@progbits,_ZN7rocprim17ROCPRIM_400000_NS6detail17trampoline_kernelINS0_14default_configENS1_25transform_config_selectorIlLb0EEEZNS1_14transform_implILb0ES3_S5_NS0_18transform_iteratorINS0_17counting_iteratorImlEEZNS1_24adjacent_difference_implIS3_Lb1ELb0EPlSB_ZN2at6native12_GLOBAL__N_124unique_dim_cuda_templateIjEESt5tupleIJNSC_6TensorESH_SH_EERKSH_lbbbEUlllE1_EE10hipError_tPvRmT2_T3_mT4_P12ihipStream_tbEUlmE_lEESB_NS0_8identityIvEEEESM_SP_SQ_mSR_ST_bEUlT_E_NS1_11comp_targetILNS1_3genE5ELNS1_11target_archE942ELNS1_3gpuE9ELNS1_3repE0EEENS1_30default_config_static_selectorELNS0_4arch9wavefront6targetE1EEEvT1_,comdat
	.globl	_ZN7rocprim17ROCPRIM_400000_NS6detail17trampoline_kernelINS0_14default_configENS1_25transform_config_selectorIlLb0EEEZNS1_14transform_implILb0ES3_S5_NS0_18transform_iteratorINS0_17counting_iteratorImlEEZNS1_24adjacent_difference_implIS3_Lb1ELb0EPlSB_ZN2at6native12_GLOBAL__N_124unique_dim_cuda_templateIjEESt5tupleIJNSC_6TensorESH_SH_EERKSH_lbbbEUlllE1_EE10hipError_tPvRmT2_T3_mT4_P12ihipStream_tbEUlmE_lEESB_NS0_8identityIvEEEESM_SP_SQ_mSR_ST_bEUlT_E_NS1_11comp_targetILNS1_3genE5ELNS1_11target_archE942ELNS1_3gpuE9ELNS1_3repE0EEENS1_30default_config_static_selectorELNS0_4arch9wavefront6targetE1EEEvT1_ ; -- Begin function _ZN7rocprim17ROCPRIM_400000_NS6detail17trampoline_kernelINS0_14default_configENS1_25transform_config_selectorIlLb0EEEZNS1_14transform_implILb0ES3_S5_NS0_18transform_iteratorINS0_17counting_iteratorImlEEZNS1_24adjacent_difference_implIS3_Lb1ELb0EPlSB_ZN2at6native12_GLOBAL__N_124unique_dim_cuda_templateIjEESt5tupleIJNSC_6TensorESH_SH_EERKSH_lbbbEUlllE1_EE10hipError_tPvRmT2_T3_mT4_P12ihipStream_tbEUlmE_lEESB_NS0_8identityIvEEEESM_SP_SQ_mSR_ST_bEUlT_E_NS1_11comp_targetILNS1_3genE5ELNS1_11target_archE942ELNS1_3gpuE9ELNS1_3repE0EEENS1_30default_config_static_selectorELNS0_4arch9wavefront6targetE1EEEvT1_
	.p2align	8
	.type	_ZN7rocprim17ROCPRIM_400000_NS6detail17trampoline_kernelINS0_14default_configENS1_25transform_config_selectorIlLb0EEEZNS1_14transform_implILb0ES3_S5_NS0_18transform_iteratorINS0_17counting_iteratorImlEEZNS1_24adjacent_difference_implIS3_Lb1ELb0EPlSB_ZN2at6native12_GLOBAL__N_124unique_dim_cuda_templateIjEESt5tupleIJNSC_6TensorESH_SH_EERKSH_lbbbEUlllE1_EE10hipError_tPvRmT2_T3_mT4_P12ihipStream_tbEUlmE_lEESB_NS0_8identityIvEEEESM_SP_SQ_mSR_ST_bEUlT_E_NS1_11comp_targetILNS1_3genE5ELNS1_11target_archE942ELNS1_3gpuE9ELNS1_3repE0EEENS1_30default_config_static_selectorELNS0_4arch9wavefront6targetE1EEEvT1_,@function
_ZN7rocprim17ROCPRIM_400000_NS6detail17trampoline_kernelINS0_14default_configENS1_25transform_config_selectorIlLb0EEEZNS1_14transform_implILb0ES3_S5_NS0_18transform_iteratorINS0_17counting_iteratorImlEEZNS1_24adjacent_difference_implIS3_Lb1ELb0EPlSB_ZN2at6native12_GLOBAL__N_124unique_dim_cuda_templateIjEESt5tupleIJNSC_6TensorESH_SH_EERKSH_lbbbEUlllE1_EE10hipError_tPvRmT2_T3_mT4_P12ihipStream_tbEUlmE_lEESB_NS0_8identityIvEEEESM_SP_SQ_mSR_ST_bEUlT_E_NS1_11comp_targetILNS1_3genE5ELNS1_11target_archE942ELNS1_3gpuE9ELNS1_3repE0EEENS1_30default_config_static_selectorELNS0_4arch9wavefront6targetE1EEEvT1_: ; @_ZN7rocprim17ROCPRIM_400000_NS6detail17trampoline_kernelINS0_14default_configENS1_25transform_config_selectorIlLb0EEEZNS1_14transform_implILb0ES3_S5_NS0_18transform_iteratorINS0_17counting_iteratorImlEEZNS1_24adjacent_difference_implIS3_Lb1ELb0EPlSB_ZN2at6native12_GLOBAL__N_124unique_dim_cuda_templateIjEESt5tupleIJNSC_6TensorESH_SH_EERKSH_lbbbEUlllE1_EE10hipError_tPvRmT2_T3_mT4_P12ihipStream_tbEUlmE_lEESB_NS0_8identityIvEEEESM_SP_SQ_mSR_ST_bEUlT_E_NS1_11comp_targetILNS1_3genE5ELNS1_11target_archE942ELNS1_3gpuE9ELNS1_3repE0EEENS1_30default_config_static_selectorELNS0_4arch9wavefront6targetE1EEEvT1_
; %bb.0:
	s_load_dwordx4 s[8:11], s[0:1], 0x18
	s_load_dwordx2 s[12:13], s[0:1], 0x28
	s_load_dwordx4 s[4:7], s[0:1], 0x0
	s_load_dword s14, s[0:1], 0x10
	s_load_dword s3, s[0:1], 0x38
	s_waitcnt lgkmcnt(0)
	s_lshl_b64 s[0:1], s[8:9], 3
	s_add_u32 s11, s12, s0
	s_addc_u32 s16, s13, s1
	s_lshl_b32 s12, s2, 10
	s_add_i32 s3, s3, -1
	s_add_u32 s0, s4, s12
	s_addc_u32 s1, s5, 0
	s_add_u32 s4, s0, s8
	s_addc_u32 s5, s1, s9
	s_mov_b32 s13, 0
	s_cmp_lg_u32 s2, s3
	v_lshlrev_b32_e32 v6, 3, v0
	s_cbranch_scc0 .LBB1535_2
; %bb.1:
	v_mov_b32_e32 v1, 0
	v_lshl_add_u64 v[2:3], s[4:5], 0, v[0:1]
	v_mad_u64_u32 v[4:5], s[0:1], v2, s14, 0
	v_mov_b32_e32 v2, v5
	v_mad_u64_u32 v[2:3], s[0:1], v3, s14, v[2:3]
	s_mov_b32 s15, s13
	v_mov_b32_e32 v5, v2
	v_lshl_add_u64 v[2:3], v[4:5], 3, s[6:7]
	s_lshl_b64 s[0:1], s[14:15], 12
	global_load_dwordx2 v[10:11], v[2:3], off
	v_lshl_add_u64 v[2:3], v[2:3], 0, s[0:1]
	global_load_dwordx2 v[4:5], v[2:3], off
	s_lshl_b64 s[2:3], s[12:13], 3
	s_add_u32 s2, s11, s2
	v_mov_b32_e32 v7, v1
	s_addc_u32 s3, s16, s3
	v_lshl_add_u64 v[8:9], s[2:3], 0, v[6:7]
	s_waitcnt vmcnt(1)
	global_store_dwordx2 v6, v[10:11], s[2:3]
	s_mov_b64 s[2:3], -1
	s_cbranch_execz .LBB1535_3
	s_branch .LBB1535_12
.LBB1535_2:
	s_mov_b64 s[2:3], 0
                                        ; implicit-def: $vgpr4_vgpr5
                                        ; implicit-def: $vgpr8_vgpr9
.LBB1535_3:
	s_sub_i32 s8, s10, s12
	v_cmp_gt_u32_e32 vcc, s8, v0
                                        ; implicit-def: $vgpr2_vgpr3_vgpr4_vgpr5
	s_and_saveexec_b64 s[0:1], vcc
	s_cbranch_execz .LBB1535_5
; %bb.4:
	v_mov_b32_e32 v1, 0
	v_lshl_add_u64 v[2:3], s[4:5], 0, v[0:1]
	s_waitcnt vmcnt(1)
	v_mad_u64_u32 v[4:5], s[18:19], v2, s14, 0
	v_mov_b32_e32 v2, v5
	v_mad_u64_u32 v[2:3], s[18:19], v3, s14, v[2:3]
	v_mov_b32_e32 v5, v2
	v_lshl_add_u64 v[2:3], v[4:5], 3, s[6:7]
	global_load_dwordx2 v[2:3], v[2:3], off
.LBB1535_5:
	s_or_b64 exec, exec, s[0:1]
	v_or_b32_e32 v0, 0x200, v0
	v_cmp_gt_u32_e64 s[0:1], s8, v0
	s_and_saveexec_b64 s[8:9], s[0:1]
	s_cbranch_execz .LBB1535_7
; %bb.6:
	v_mov_b32_e32 v1, 0
	v_lshl_add_u64 v[0:1], s[4:5], 0, v[0:1]
	s_waitcnt vmcnt(1)
	v_mad_u64_u32 v[4:5], s[4:5], v0, s14, 0
	v_mov_b32_e32 v0, v5
	v_mad_u64_u32 v[0:1], s[4:5], v1, s14, v[0:1]
	v_mov_b32_e32 v5, v0
	v_lshl_add_u64 v[0:1], v[4:5], 3, s[6:7]
	global_load_dwordx2 v[4:5], v[0:1], off
.LBB1535_7:
	s_or_b64 exec, exec, s[8:9]
	s_lshl_b64 s[4:5], s[12:13], 3
	s_add_u32 s4, s11, s4
	s_addc_u32 s5, s16, s5
	v_mov_b32_e32 v7, 0
	v_lshl_add_u64 v[8:9], s[4:5], 0, v[6:7]
	s_and_saveexec_b64 s[4:5], vcc
	s_cbranch_execz .LBB1535_9
; %bb.8:
	s_waitcnt vmcnt(0)
	global_store_dwordx2 v[8:9], v[2:3], off
.LBB1535_9:
	s_or_b64 exec, exec, s[4:5]
	s_and_saveexec_b64 s[4:5], s[0:1]
; %bb.10:
	s_or_b64 s[2:3], s[2:3], exec
; %bb.11:
	s_or_b64 exec, exec, s[4:5]
.LBB1535_12:
	s_and_saveexec_b64 s[0:1], s[2:3]
	s_cbranch_execnz .LBB1535_14
; %bb.13:
	s_endpgm
.LBB1535_14:
	v_add_co_u32_e32 v0, vcc, 0x1000, v8
	s_nop 1
	v_addc_co_u32_e32 v1, vcc, 0, v9, vcc
	s_waitcnt vmcnt(0)
	global_store_dwordx2 v[0:1], v[4:5], off
	s_endpgm
	.section	.rodata,"a",@progbits
	.p2align	6, 0x0
	.amdhsa_kernel _ZN7rocprim17ROCPRIM_400000_NS6detail17trampoline_kernelINS0_14default_configENS1_25transform_config_selectorIlLb0EEEZNS1_14transform_implILb0ES3_S5_NS0_18transform_iteratorINS0_17counting_iteratorImlEEZNS1_24adjacent_difference_implIS3_Lb1ELb0EPlSB_ZN2at6native12_GLOBAL__N_124unique_dim_cuda_templateIjEESt5tupleIJNSC_6TensorESH_SH_EERKSH_lbbbEUlllE1_EE10hipError_tPvRmT2_T3_mT4_P12ihipStream_tbEUlmE_lEESB_NS0_8identityIvEEEESM_SP_SQ_mSR_ST_bEUlT_E_NS1_11comp_targetILNS1_3genE5ELNS1_11target_archE942ELNS1_3gpuE9ELNS1_3repE0EEENS1_30default_config_static_selectorELNS0_4arch9wavefront6targetE1EEEvT1_
		.amdhsa_group_segment_fixed_size 0
		.amdhsa_private_segment_fixed_size 0
		.amdhsa_kernarg_size 312
		.amdhsa_user_sgpr_count 2
		.amdhsa_user_sgpr_dispatch_ptr 0
		.amdhsa_user_sgpr_queue_ptr 0
		.amdhsa_user_sgpr_kernarg_segment_ptr 1
		.amdhsa_user_sgpr_dispatch_id 0
		.amdhsa_user_sgpr_kernarg_preload_length 0
		.amdhsa_user_sgpr_kernarg_preload_offset 0
		.amdhsa_user_sgpr_private_segment_size 0
		.amdhsa_uses_dynamic_stack 0
		.amdhsa_enable_private_segment 0
		.amdhsa_system_sgpr_workgroup_id_x 1
		.amdhsa_system_sgpr_workgroup_id_y 0
		.amdhsa_system_sgpr_workgroup_id_z 0
		.amdhsa_system_sgpr_workgroup_info 0
		.amdhsa_system_vgpr_workitem_id 0
		.amdhsa_next_free_vgpr 12
		.amdhsa_next_free_sgpr 20
		.amdhsa_accum_offset 12
		.amdhsa_reserve_vcc 1
		.amdhsa_float_round_mode_32 0
		.amdhsa_float_round_mode_16_64 0
		.amdhsa_float_denorm_mode_32 3
		.amdhsa_float_denorm_mode_16_64 3
		.amdhsa_dx10_clamp 1
		.amdhsa_ieee_mode 1
		.amdhsa_fp16_overflow 0
		.amdhsa_tg_split 0
		.amdhsa_exception_fp_ieee_invalid_op 0
		.amdhsa_exception_fp_denorm_src 0
		.amdhsa_exception_fp_ieee_div_zero 0
		.amdhsa_exception_fp_ieee_overflow 0
		.amdhsa_exception_fp_ieee_underflow 0
		.amdhsa_exception_fp_ieee_inexact 0
		.amdhsa_exception_int_div_zero 0
	.end_amdhsa_kernel
	.section	.text._ZN7rocprim17ROCPRIM_400000_NS6detail17trampoline_kernelINS0_14default_configENS1_25transform_config_selectorIlLb0EEEZNS1_14transform_implILb0ES3_S5_NS0_18transform_iteratorINS0_17counting_iteratorImlEEZNS1_24adjacent_difference_implIS3_Lb1ELb0EPlSB_ZN2at6native12_GLOBAL__N_124unique_dim_cuda_templateIjEESt5tupleIJNSC_6TensorESH_SH_EERKSH_lbbbEUlllE1_EE10hipError_tPvRmT2_T3_mT4_P12ihipStream_tbEUlmE_lEESB_NS0_8identityIvEEEESM_SP_SQ_mSR_ST_bEUlT_E_NS1_11comp_targetILNS1_3genE5ELNS1_11target_archE942ELNS1_3gpuE9ELNS1_3repE0EEENS1_30default_config_static_selectorELNS0_4arch9wavefront6targetE1EEEvT1_,"axG",@progbits,_ZN7rocprim17ROCPRIM_400000_NS6detail17trampoline_kernelINS0_14default_configENS1_25transform_config_selectorIlLb0EEEZNS1_14transform_implILb0ES3_S5_NS0_18transform_iteratorINS0_17counting_iteratorImlEEZNS1_24adjacent_difference_implIS3_Lb1ELb0EPlSB_ZN2at6native12_GLOBAL__N_124unique_dim_cuda_templateIjEESt5tupleIJNSC_6TensorESH_SH_EERKSH_lbbbEUlllE1_EE10hipError_tPvRmT2_T3_mT4_P12ihipStream_tbEUlmE_lEESB_NS0_8identityIvEEEESM_SP_SQ_mSR_ST_bEUlT_E_NS1_11comp_targetILNS1_3genE5ELNS1_11target_archE942ELNS1_3gpuE9ELNS1_3repE0EEENS1_30default_config_static_selectorELNS0_4arch9wavefront6targetE1EEEvT1_,comdat
.Lfunc_end1535:
	.size	_ZN7rocprim17ROCPRIM_400000_NS6detail17trampoline_kernelINS0_14default_configENS1_25transform_config_selectorIlLb0EEEZNS1_14transform_implILb0ES3_S5_NS0_18transform_iteratorINS0_17counting_iteratorImlEEZNS1_24adjacent_difference_implIS3_Lb1ELb0EPlSB_ZN2at6native12_GLOBAL__N_124unique_dim_cuda_templateIjEESt5tupleIJNSC_6TensorESH_SH_EERKSH_lbbbEUlllE1_EE10hipError_tPvRmT2_T3_mT4_P12ihipStream_tbEUlmE_lEESB_NS0_8identityIvEEEESM_SP_SQ_mSR_ST_bEUlT_E_NS1_11comp_targetILNS1_3genE5ELNS1_11target_archE942ELNS1_3gpuE9ELNS1_3repE0EEENS1_30default_config_static_selectorELNS0_4arch9wavefront6targetE1EEEvT1_, .Lfunc_end1535-_ZN7rocprim17ROCPRIM_400000_NS6detail17trampoline_kernelINS0_14default_configENS1_25transform_config_selectorIlLb0EEEZNS1_14transform_implILb0ES3_S5_NS0_18transform_iteratorINS0_17counting_iteratorImlEEZNS1_24adjacent_difference_implIS3_Lb1ELb0EPlSB_ZN2at6native12_GLOBAL__N_124unique_dim_cuda_templateIjEESt5tupleIJNSC_6TensorESH_SH_EERKSH_lbbbEUlllE1_EE10hipError_tPvRmT2_T3_mT4_P12ihipStream_tbEUlmE_lEESB_NS0_8identityIvEEEESM_SP_SQ_mSR_ST_bEUlT_E_NS1_11comp_targetILNS1_3genE5ELNS1_11target_archE942ELNS1_3gpuE9ELNS1_3repE0EEENS1_30default_config_static_selectorELNS0_4arch9wavefront6targetE1EEEvT1_
                                        ; -- End function
	.section	.AMDGPU.csdata,"",@progbits
; Kernel info:
; codeLenInByte = 488
; NumSgprs: 26
; NumVgprs: 12
; NumAgprs: 0
; TotalNumVgprs: 12
; ScratchSize: 0
; MemoryBound: 0
; FloatMode: 240
; IeeeMode: 1
; LDSByteSize: 0 bytes/workgroup (compile time only)
; SGPRBlocks: 3
; VGPRBlocks: 1
; NumSGPRsForWavesPerEU: 26
; NumVGPRsForWavesPerEU: 12
; AccumOffset: 12
; Occupancy: 8
; WaveLimiterHint : 0
; COMPUTE_PGM_RSRC2:SCRATCH_EN: 0
; COMPUTE_PGM_RSRC2:USER_SGPR: 2
; COMPUTE_PGM_RSRC2:TRAP_HANDLER: 0
; COMPUTE_PGM_RSRC2:TGID_X_EN: 1
; COMPUTE_PGM_RSRC2:TGID_Y_EN: 0
; COMPUTE_PGM_RSRC2:TGID_Z_EN: 0
; COMPUTE_PGM_RSRC2:TIDIG_COMP_CNT: 0
; COMPUTE_PGM_RSRC3_GFX90A:ACCUM_OFFSET: 2
; COMPUTE_PGM_RSRC3_GFX90A:TG_SPLIT: 0
	.section	.text._ZN7rocprim17ROCPRIM_400000_NS6detail17trampoline_kernelINS0_14default_configENS1_25transform_config_selectorIlLb0EEEZNS1_14transform_implILb0ES3_S5_NS0_18transform_iteratorINS0_17counting_iteratorImlEEZNS1_24adjacent_difference_implIS3_Lb1ELb0EPlSB_ZN2at6native12_GLOBAL__N_124unique_dim_cuda_templateIjEESt5tupleIJNSC_6TensorESH_SH_EERKSH_lbbbEUlllE1_EE10hipError_tPvRmT2_T3_mT4_P12ihipStream_tbEUlmE_lEESB_NS0_8identityIvEEEESM_SP_SQ_mSR_ST_bEUlT_E_NS1_11comp_targetILNS1_3genE4ELNS1_11target_archE910ELNS1_3gpuE8ELNS1_3repE0EEENS1_30default_config_static_selectorELNS0_4arch9wavefront6targetE1EEEvT1_,"axG",@progbits,_ZN7rocprim17ROCPRIM_400000_NS6detail17trampoline_kernelINS0_14default_configENS1_25transform_config_selectorIlLb0EEEZNS1_14transform_implILb0ES3_S5_NS0_18transform_iteratorINS0_17counting_iteratorImlEEZNS1_24adjacent_difference_implIS3_Lb1ELb0EPlSB_ZN2at6native12_GLOBAL__N_124unique_dim_cuda_templateIjEESt5tupleIJNSC_6TensorESH_SH_EERKSH_lbbbEUlllE1_EE10hipError_tPvRmT2_T3_mT4_P12ihipStream_tbEUlmE_lEESB_NS0_8identityIvEEEESM_SP_SQ_mSR_ST_bEUlT_E_NS1_11comp_targetILNS1_3genE4ELNS1_11target_archE910ELNS1_3gpuE8ELNS1_3repE0EEENS1_30default_config_static_selectorELNS0_4arch9wavefront6targetE1EEEvT1_,comdat
	.globl	_ZN7rocprim17ROCPRIM_400000_NS6detail17trampoline_kernelINS0_14default_configENS1_25transform_config_selectorIlLb0EEEZNS1_14transform_implILb0ES3_S5_NS0_18transform_iteratorINS0_17counting_iteratorImlEEZNS1_24adjacent_difference_implIS3_Lb1ELb0EPlSB_ZN2at6native12_GLOBAL__N_124unique_dim_cuda_templateIjEESt5tupleIJNSC_6TensorESH_SH_EERKSH_lbbbEUlllE1_EE10hipError_tPvRmT2_T3_mT4_P12ihipStream_tbEUlmE_lEESB_NS0_8identityIvEEEESM_SP_SQ_mSR_ST_bEUlT_E_NS1_11comp_targetILNS1_3genE4ELNS1_11target_archE910ELNS1_3gpuE8ELNS1_3repE0EEENS1_30default_config_static_selectorELNS0_4arch9wavefront6targetE1EEEvT1_ ; -- Begin function _ZN7rocprim17ROCPRIM_400000_NS6detail17trampoline_kernelINS0_14default_configENS1_25transform_config_selectorIlLb0EEEZNS1_14transform_implILb0ES3_S5_NS0_18transform_iteratorINS0_17counting_iteratorImlEEZNS1_24adjacent_difference_implIS3_Lb1ELb0EPlSB_ZN2at6native12_GLOBAL__N_124unique_dim_cuda_templateIjEESt5tupleIJNSC_6TensorESH_SH_EERKSH_lbbbEUlllE1_EE10hipError_tPvRmT2_T3_mT4_P12ihipStream_tbEUlmE_lEESB_NS0_8identityIvEEEESM_SP_SQ_mSR_ST_bEUlT_E_NS1_11comp_targetILNS1_3genE4ELNS1_11target_archE910ELNS1_3gpuE8ELNS1_3repE0EEENS1_30default_config_static_selectorELNS0_4arch9wavefront6targetE1EEEvT1_
	.p2align	8
	.type	_ZN7rocprim17ROCPRIM_400000_NS6detail17trampoline_kernelINS0_14default_configENS1_25transform_config_selectorIlLb0EEEZNS1_14transform_implILb0ES3_S5_NS0_18transform_iteratorINS0_17counting_iteratorImlEEZNS1_24adjacent_difference_implIS3_Lb1ELb0EPlSB_ZN2at6native12_GLOBAL__N_124unique_dim_cuda_templateIjEESt5tupleIJNSC_6TensorESH_SH_EERKSH_lbbbEUlllE1_EE10hipError_tPvRmT2_T3_mT4_P12ihipStream_tbEUlmE_lEESB_NS0_8identityIvEEEESM_SP_SQ_mSR_ST_bEUlT_E_NS1_11comp_targetILNS1_3genE4ELNS1_11target_archE910ELNS1_3gpuE8ELNS1_3repE0EEENS1_30default_config_static_selectorELNS0_4arch9wavefront6targetE1EEEvT1_,@function
_ZN7rocprim17ROCPRIM_400000_NS6detail17trampoline_kernelINS0_14default_configENS1_25transform_config_selectorIlLb0EEEZNS1_14transform_implILb0ES3_S5_NS0_18transform_iteratorINS0_17counting_iteratorImlEEZNS1_24adjacent_difference_implIS3_Lb1ELb0EPlSB_ZN2at6native12_GLOBAL__N_124unique_dim_cuda_templateIjEESt5tupleIJNSC_6TensorESH_SH_EERKSH_lbbbEUlllE1_EE10hipError_tPvRmT2_T3_mT4_P12ihipStream_tbEUlmE_lEESB_NS0_8identityIvEEEESM_SP_SQ_mSR_ST_bEUlT_E_NS1_11comp_targetILNS1_3genE4ELNS1_11target_archE910ELNS1_3gpuE8ELNS1_3repE0EEENS1_30default_config_static_selectorELNS0_4arch9wavefront6targetE1EEEvT1_: ; @_ZN7rocprim17ROCPRIM_400000_NS6detail17trampoline_kernelINS0_14default_configENS1_25transform_config_selectorIlLb0EEEZNS1_14transform_implILb0ES3_S5_NS0_18transform_iteratorINS0_17counting_iteratorImlEEZNS1_24adjacent_difference_implIS3_Lb1ELb0EPlSB_ZN2at6native12_GLOBAL__N_124unique_dim_cuda_templateIjEESt5tupleIJNSC_6TensorESH_SH_EERKSH_lbbbEUlllE1_EE10hipError_tPvRmT2_T3_mT4_P12ihipStream_tbEUlmE_lEESB_NS0_8identityIvEEEESM_SP_SQ_mSR_ST_bEUlT_E_NS1_11comp_targetILNS1_3genE4ELNS1_11target_archE910ELNS1_3gpuE8ELNS1_3repE0EEENS1_30default_config_static_selectorELNS0_4arch9wavefront6targetE1EEEvT1_
; %bb.0:
	.section	.rodata,"a",@progbits
	.p2align	6, 0x0
	.amdhsa_kernel _ZN7rocprim17ROCPRIM_400000_NS6detail17trampoline_kernelINS0_14default_configENS1_25transform_config_selectorIlLb0EEEZNS1_14transform_implILb0ES3_S5_NS0_18transform_iteratorINS0_17counting_iteratorImlEEZNS1_24adjacent_difference_implIS3_Lb1ELb0EPlSB_ZN2at6native12_GLOBAL__N_124unique_dim_cuda_templateIjEESt5tupleIJNSC_6TensorESH_SH_EERKSH_lbbbEUlllE1_EE10hipError_tPvRmT2_T3_mT4_P12ihipStream_tbEUlmE_lEESB_NS0_8identityIvEEEESM_SP_SQ_mSR_ST_bEUlT_E_NS1_11comp_targetILNS1_3genE4ELNS1_11target_archE910ELNS1_3gpuE8ELNS1_3repE0EEENS1_30default_config_static_selectorELNS0_4arch9wavefront6targetE1EEEvT1_
		.amdhsa_group_segment_fixed_size 0
		.amdhsa_private_segment_fixed_size 0
		.amdhsa_kernarg_size 56
		.amdhsa_user_sgpr_count 2
		.amdhsa_user_sgpr_dispatch_ptr 0
		.amdhsa_user_sgpr_queue_ptr 0
		.amdhsa_user_sgpr_kernarg_segment_ptr 1
		.amdhsa_user_sgpr_dispatch_id 0
		.amdhsa_user_sgpr_kernarg_preload_length 0
		.amdhsa_user_sgpr_kernarg_preload_offset 0
		.amdhsa_user_sgpr_private_segment_size 0
		.amdhsa_uses_dynamic_stack 0
		.amdhsa_enable_private_segment 0
		.amdhsa_system_sgpr_workgroup_id_x 1
		.amdhsa_system_sgpr_workgroup_id_y 0
		.amdhsa_system_sgpr_workgroup_id_z 0
		.amdhsa_system_sgpr_workgroup_info 0
		.amdhsa_system_vgpr_workitem_id 0
		.amdhsa_next_free_vgpr 1
		.amdhsa_next_free_sgpr 0
		.amdhsa_accum_offset 4
		.amdhsa_reserve_vcc 0
		.amdhsa_float_round_mode_32 0
		.amdhsa_float_round_mode_16_64 0
		.amdhsa_float_denorm_mode_32 3
		.amdhsa_float_denorm_mode_16_64 3
		.amdhsa_dx10_clamp 1
		.amdhsa_ieee_mode 1
		.amdhsa_fp16_overflow 0
		.amdhsa_tg_split 0
		.amdhsa_exception_fp_ieee_invalid_op 0
		.amdhsa_exception_fp_denorm_src 0
		.amdhsa_exception_fp_ieee_div_zero 0
		.amdhsa_exception_fp_ieee_overflow 0
		.amdhsa_exception_fp_ieee_underflow 0
		.amdhsa_exception_fp_ieee_inexact 0
		.amdhsa_exception_int_div_zero 0
	.end_amdhsa_kernel
	.section	.text._ZN7rocprim17ROCPRIM_400000_NS6detail17trampoline_kernelINS0_14default_configENS1_25transform_config_selectorIlLb0EEEZNS1_14transform_implILb0ES3_S5_NS0_18transform_iteratorINS0_17counting_iteratorImlEEZNS1_24adjacent_difference_implIS3_Lb1ELb0EPlSB_ZN2at6native12_GLOBAL__N_124unique_dim_cuda_templateIjEESt5tupleIJNSC_6TensorESH_SH_EERKSH_lbbbEUlllE1_EE10hipError_tPvRmT2_T3_mT4_P12ihipStream_tbEUlmE_lEESB_NS0_8identityIvEEEESM_SP_SQ_mSR_ST_bEUlT_E_NS1_11comp_targetILNS1_3genE4ELNS1_11target_archE910ELNS1_3gpuE8ELNS1_3repE0EEENS1_30default_config_static_selectorELNS0_4arch9wavefront6targetE1EEEvT1_,"axG",@progbits,_ZN7rocprim17ROCPRIM_400000_NS6detail17trampoline_kernelINS0_14default_configENS1_25transform_config_selectorIlLb0EEEZNS1_14transform_implILb0ES3_S5_NS0_18transform_iteratorINS0_17counting_iteratorImlEEZNS1_24adjacent_difference_implIS3_Lb1ELb0EPlSB_ZN2at6native12_GLOBAL__N_124unique_dim_cuda_templateIjEESt5tupleIJNSC_6TensorESH_SH_EERKSH_lbbbEUlllE1_EE10hipError_tPvRmT2_T3_mT4_P12ihipStream_tbEUlmE_lEESB_NS0_8identityIvEEEESM_SP_SQ_mSR_ST_bEUlT_E_NS1_11comp_targetILNS1_3genE4ELNS1_11target_archE910ELNS1_3gpuE8ELNS1_3repE0EEENS1_30default_config_static_selectorELNS0_4arch9wavefront6targetE1EEEvT1_,comdat
.Lfunc_end1536:
	.size	_ZN7rocprim17ROCPRIM_400000_NS6detail17trampoline_kernelINS0_14default_configENS1_25transform_config_selectorIlLb0EEEZNS1_14transform_implILb0ES3_S5_NS0_18transform_iteratorINS0_17counting_iteratorImlEEZNS1_24adjacent_difference_implIS3_Lb1ELb0EPlSB_ZN2at6native12_GLOBAL__N_124unique_dim_cuda_templateIjEESt5tupleIJNSC_6TensorESH_SH_EERKSH_lbbbEUlllE1_EE10hipError_tPvRmT2_T3_mT4_P12ihipStream_tbEUlmE_lEESB_NS0_8identityIvEEEESM_SP_SQ_mSR_ST_bEUlT_E_NS1_11comp_targetILNS1_3genE4ELNS1_11target_archE910ELNS1_3gpuE8ELNS1_3repE0EEENS1_30default_config_static_selectorELNS0_4arch9wavefront6targetE1EEEvT1_, .Lfunc_end1536-_ZN7rocprim17ROCPRIM_400000_NS6detail17trampoline_kernelINS0_14default_configENS1_25transform_config_selectorIlLb0EEEZNS1_14transform_implILb0ES3_S5_NS0_18transform_iteratorINS0_17counting_iteratorImlEEZNS1_24adjacent_difference_implIS3_Lb1ELb0EPlSB_ZN2at6native12_GLOBAL__N_124unique_dim_cuda_templateIjEESt5tupleIJNSC_6TensorESH_SH_EERKSH_lbbbEUlllE1_EE10hipError_tPvRmT2_T3_mT4_P12ihipStream_tbEUlmE_lEESB_NS0_8identityIvEEEESM_SP_SQ_mSR_ST_bEUlT_E_NS1_11comp_targetILNS1_3genE4ELNS1_11target_archE910ELNS1_3gpuE8ELNS1_3repE0EEENS1_30default_config_static_selectorELNS0_4arch9wavefront6targetE1EEEvT1_
                                        ; -- End function
	.section	.AMDGPU.csdata,"",@progbits
; Kernel info:
; codeLenInByte = 0
; NumSgprs: 6
; NumVgprs: 0
; NumAgprs: 0
; TotalNumVgprs: 0
; ScratchSize: 0
; MemoryBound: 0
; FloatMode: 240
; IeeeMode: 1
; LDSByteSize: 0 bytes/workgroup (compile time only)
; SGPRBlocks: 0
; VGPRBlocks: 0
; NumSGPRsForWavesPerEU: 6
; NumVGPRsForWavesPerEU: 1
; AccumOffset: 4
; Occupancy: 8
; WaveLimiterHint : 0
; COMPUTE_PGM_RSRC2:SCRATCH_EN: 0
; COMPUTE_PGM_RSRC2:USER_SGPR: 2
; COMPUTE_PGM_RSRC2:TRAP_HANDLER: 0
; COMPUTE_PGM_RSRC2:TGID_X_EN: 1
; COMPUTE_PGM_RSRC2:TGID_Y_EN: 0
; COMPUTE_PGM_RSRC2:TGID_Z_EN: 0
; COMPUTE_PGM_RSRC2:TIDIG_COMP_CNT: 0
; COMPUTE_PGM_RSRC3_GFX90A:ACCUM_OFFSET: 0
; COMPUTE_PGM_RSRC3_GFX90A:TG_SPLIT: 0
	.section	.text._ZN7rocprim17ROCPRIM_400000_NS6detail17trampoline_kernelINS0_14default_configENS1_25transform_config_selectorIlLb0EEEZNS1_14transform_implILb0ES3_S5_NS0_18transform_iteratorINS0_17counting_iteratorImlEEZNS1_24adjacent_difference_implIS3_Lb1ELb0EPlSB_ZN2at6native12_GLOBAL__N_124unique_dim_cuda_templateIjEESt5tupleIJNSC_6TensorESH_SH_EERKSH_lbbbEUlllE1_EE10hipError_tPvRmT2_T3_mT4_P12ihipStream_tbEUlmE_lEESB_NS0_8identityIvEEEESM_SP_SQ_mSR_ST_bEUlT_E_NS1_11comp_targetILNS1_3genE3ELNS1_11target_archE908ELNS1_3gpuE7ELNS1_3repE0EEENS1_30default_config_static_selectorELNS0_4arch9wavefront6targetE1EEEvT1_,"axG",@progbits,_ZN7rocprim17ROCPRIM_400000_NS6detail17trampoline_kernelINS0_14default_configENS1_25transform_config_selectorIlLb0EEEZNS1_14transform_implILb0ES3_S5_NS0_18transform_iteratorINS0_17counting_iteratorImlEEZNS1_24adjacent_difference_implIS3_Lb1ELb0EPlSB_ZN2at6native12_GLOBAL__N_124unique_dim_cuda_templateIjEESt5tupleIJNSC_6TensorESH_SH_EERKSH_lbbbEUlllE1_EE10hipError_tPvRmT2_T3_mT4_P12ihipStream_tbEUlmE_lEESB_NS0_8identityIvEEEESM_SP_SQ_mSR_ST_bEUlT_E_NS1_11comp_targetILNS1_3genE3ELNS1_11target_archE908ELNS1_3gpuE7ELNS1_3repE0EEENS1_30default_config_static_selectorELNS0_4arch9wavefront6targetE1EEEvT1_,comdat
	.globl	_ZN7rocprim17ROCPRIM_400000_NS6detail17trampoline_kernelINS0_14default_configENS1_25transform_config_selectorIlLb0EEEZNS1_14transform_implILb0ES3_S5_NS0_18transform_iteratorINS0_17counting_iteratorImlEEZNS1_24adjacent_difference_implIS3_Lb1ELb0EPlSB_ZN2at6native12_GLOBAL__N_124unique_dim_cuda_templateIjEESt5tupleIJNSC_6TensorESH_SH_EERKSH_lbbbEUlllE1_EE10hipError_tPvRmT2_T3_mT4_P12ihipStream_tbEUlmE_lEESB_NS0_8identityIvEEEESM_SP_SQ_mSR_ST_bEUlT_E_NS1_11comp_targetILNS1_3genE3ELNS1_11target_archE908ELNS1_3gpuE7ELNS1_3repE0EEENS1_30default_config_static_selectorELNS0_4arch9wavefront6targetE1EEEvT1_ ; -- Begin function _ZN7rocprim17ROCPRIM_400000_NS6detail17trampoline_kernelINS0_14default_configENS1_25transform_config_selectorIlLb0EEEZNS1_14transform_implILb0ES3_S5_NS0_18transform_iteratorINS0_17counting_iteratorImlEEZNS1_24adjacent_difference_implIS3_Lb1ELb0EPlSB_ZN2at6native12_GLOBAL__N_124unique_dim_cuda_templateIjEESt5tupleIJNSC_6TensorESH_SH_EERKSH_lbbbEUlllE1_EE10hipError_tPvRmT2_T3_mT4_P12ihipStream_tbEUlmE_lEESB_NS0_8identityIvEEEESM_SP_SQ_mSR_ST_bEUlT_E_NS1_11comp_targetILNS1_3genE3ELNS1_11target_archE908ELNS1_3gpuE7ELNS1_3repE0EEENS1_30default_config_static_selectorELNS0_4arch9wavefront6targetE1EEEvT1_
	.p2align	8
	.type	_ZN7rocprim17ROCPRIM_400000_NS6detail17trampoline_kernelINS0_14default_configENS1_25transform_config_selectorIlLb0EEEZNS1_14transform_implILb0ES3_S5_NS0_18transform_iteratorINS0_17counting_iteratorImlEEZNS1_24adjacent_difference_implIS3_Lb1ELb0EPlSB_ZN2at6native12_GLOBAL__N_124unique_dim_cuda_templateIjEESt5tupleIJNSC_6TensorESH_SH_EERKSH_lbbbEUlllE1_EE10hipError_tPvRmT2_T3_mT4_P12ihipStream_tbEUlmE_lEESB_NS0_8identityIvEEEESM_SP_SQ_mSR_ST_bEUlT_E_NS1_11comp_targetILNS1_3genE3ELNS1_11target_archE908ELNS1_3gpuE7ELNS1_3repE0EEENS1_30default_config_static_selectorELNS0_4arch9wavefront6targetE1EEEvT1_,@function
_ZN7rocprim17ROCPRIM_400000_NS6detail17trampoline_kernelINS0_14default_configENS1_25transform_config_selectorIlLb0EEEZNS1_14transform_implILb0ES3_S5_NS0_18transform_iteratorINS0_17counting_iteratorImlEEZNS1_24adjacent_difference_implIS3_Lb1ELb0EPlSB_ZN2at6native12_GLOBAL__N_124unique_dim_cuda_templateIjEESt5tupleIJNSC_6TensorESH_SH_EERKSH_lbbbEUlllE1_EE10hipError_tPvRmT2_T3_mT4_P12ihipStream_tbEUlmE_lEESB_NS0_8identityIvEEEESM_SP_SQ_mSR_ST_bEUlT_E_NS1_11comp_targetILNS1_3genE3ELNS1_11target_archE908ELNS1_3gpuE7ELNS1_3repE0EEENS1_30default_config_static_selectorELNS0_4arch9wavefront6targetE1EEEvT1_: ; @_ZN7rocprim17ROCPRIM_400000_NS6detail17trampoline_kernelINS0_14default_configENS1_25transform_config_selectorIlLb0EEEZNS1_14transform_implILb0ES3_S5_NS0_18transform_iteratorINS0_17counting_iteratorImlEEZNS1_24adjacent_difference_implIS3_Lb1ELb0EPlSB_ZN2at6native12_GLOBAL__N_124unique_dim_cuda_templateIjEESt5tupleIJNSC_6TensorESH_SH_EERKSH_lbbbEUlllE1_EE10hipError_tPvRmT2_T3_mT4_P12ihipStream_tbEUlmE_lEESB_NS0_8identityIvEEEESM_SP_SQ_mSR_ST_bEUlT_E_NS1_11comp_targetILNS1_3genE3ELNS1_11target_archE908ELNS1_3gpuE7ELNS1_3repE0EEENS1_30default_config_static_selectorELNS0_4arch9wavefront6targetE1EEEvT1_
; %bb.0:
	.section	.rodata,"a",@progbits
	.p2align	6, 0x0
	.amdhsa_kernel _ZN7rocprim17ROCPRIM_400000_NS6detail17trampoline_kernelINS0_14default_configENS1_25transform_config_selectorIlLb0EEEZNS1_14transform_implILb0ES3_S5_NS0_18transform_iteratorINS0_17counting_iteratorImlEEZNS1_24adjacent_difference_implIS3_Lb1ELb0EPlSB_ZN2at6native12_GLOBAL__N_124unique_dim_cuda_templateIjEESt5tupleIJNSC_6TensorESH_SH_EERKSH_lbbbEUlllE1_EE10hipError_tPvRmT2_T3_mT4_P12ihipStream_tbEUlmE_lEESB_NS0_8identityIvEEEESM_SP_SQ_mSR_ST_bEUlT_E_NS1_11comp_targetILNS1_3genE3ELNS1_11target_archE908ELNS1_3gpuE7ELNS1_3repE0EEENS1_30default_config_static_selectorELNS0_4arch9wavefront6targetE1EEEvT1_
		.amdhsa_group_segment_fixed_size 0
		.amdhsa_private_segment_fixed_size 0
		.amdhsa_kernarg_size 56
		.amdhsa_user_sgpr_count 2
		.amdhsa_user_sgpr_dispatch_ptr 0
		.amdhsa_user_sgpr_queue_ptr 0
		.amdhsa_user_sgpr_kernarg_segment_ptr 1
		.amdhsa_user_sgpr_dispatch_id 0
		.amdhsa_user_sgpr_kernarg_preload_length 0
		.amdhsa_user_sgpr_kernarg_preload_offset 0
		.amdhsa_user_sgpr_private_segment_size 0
		.amdhsa_uses_dynamic_stack 0
		.amdhsa_enable_private_segment 0
		.amdhsa_system_sgpr_workgroup_id_x 1
		.amdhsa_system_sgpr_workgroup_id_y 0
		.amdhsa_system_sgpr_workgroup_id_z 0
		.amdhsa_system_sgpr_workgroup_info 0
		.amdhsa_system_vgpr_workitem_id 0
		.amdhsa_next_free_vgpr 1
		.amdhsa_next_free_sgpr 0
		.amdhsa_accum_offset 4
		.amdhsa_reserve_vcc 0
		.amdhsa_float_round_mode_32 0
		.amdhsa_float_round_mode_16_64 0
		.amdhsa_float_denorm_mode_32 3
		.amdhsa_float_denorm_mode_16_64 3
		.amdhsa_dx10_clamp 1
		.amdhsa_ieee_mode 1
		.amdhsa_fp16_overflow 0
		.amdhsa_tg_split 0
		.amdhsa_exception_fp_ieee_invalid_op 0
		.amdhsa_exception_fp_denorm_src 0
		.amdhsa_exception_fp_ieee_div_zero 0
		.amdhsa_exception_fp_ieee_overflow 0
		.amdhsa_exception_fp_ieee_underflow 0
		.amdhsa_exception_fp_ieee_inexact 0
		.amdhsa_exception_int_div_zero 0
	.end_amdhsa_kernel
	.section	.text._ZN7rocprim17ROCPRIM_400000_NS6detail17trampoline_kernelINS0_14default_configENS1_25transform_config_selectorIlLb0EEEZNS1_14transform_implILb0ES3_S5_NS0_18transform_iteratorINS0_17counting_iteratorImlEEZNS1_24adjacent_difference_implIS3_Lb1ELb0EPlSB_ZN2at6native12_GLOBAL__N_124unique_dim_cuda_templateIjEESt5tupleIJNSC_6TensorESH_SH_EERKSH_lbbbEUlllE1_EE10hipError_tPvRmT2_T3_mT4_P12ihipStream_tbEUlmE_lEESB_NS0_8identityIvEEEESM_SP_SQ_mSR_ST_bEUlT_E_NS1_11comp_targetILNS1_3genE3ELNS1_11target_archE908ELNS1_3gpuE7ELNS1_3repE0EEENS1_30default_config_static_selectorELNS0_4arch9wavefront6targetE1EEEvT1_,"axG",@progbits,_ZN7rocprim17ROCPRIM_400000_NS6detail17trampoline_kernelINS0_14default_configENS1_25transform_config_selectorIlLb0EEEZNS1_14transform_implILb0ES3_S5_NS0_18transform_iteratorINS0_17counting_iteratorImlEEZNS1_24adjacent_difference_implIS3_Lb1ELb0EPlSB_ZN2at6native12_GLOBAL__N_124unique_dim_cuda_templateIjEESt5tupleIJNSC_6TensorESH_SH_EERKSH_lbbbEUlllE1_EE10hipError_tPvRmT2_T3_mT4_P12ihipStream_tbEUlmE_lEESB_NS0_8identityIvEEEESM_SP_SQ_mSR_ST_bEUlT_E_NS1_11comp_targetILNS1_3genE3ELNS1_11target_archE908ELNS1_3gpuE7ELNS1_3repE0EEENS1_30default_config_static_selectorELNS0_4arch9wavefront6targetE1EEEvT1_,comdat
.Lfunc_end1537:
	.size	_ZN7rocprim17ROCPRIM_400000_NS6detail17trampoline_kernelINS0_14default_configENS1_25transform_config_selectorIlLb0EEEZNS1_14transform_implILb0ES3_S5_NS0_18transform_iteratorINS0_17counting_iteratorImlEEZNS1_24adjacent_difference_implIS3_Lb1ELb0EPlSB_ZN2at6native12_GLOBAL__N_124unique_dim_cuda_templateIjEESt5tupleIJNSC_6TensorESH_SH_EERKSH_lbbbEUlllE1_EE10hipError_tPvRmT2_T3_mT4_P12ihipStream_tbEUlmE_lEESB_NS0_8identityIvEEEESM_SP_SQ_mSR_ST_bEUlT_E_NS1_11comp_targetILNS1_3genE3ELNS1_11target_archE908ELNS1_3gpuE7ELNS1_3repE0EEENS1_30default_config_static_selectorELNS0_4arch9wavefront6targetE1EEEvT1_, .Lfunc_end1537-_ZN7rocprim17ROCPRIM_400000_NS6detail17trampoline_kernelINS0_14default_configENS1_25transform_config_selectorIlLb0EEEZNS1_14transform_implILb0ES3_S5_NS0_18transform_iteratorINS0_17counting_iteratorImlEEZNS1_24adjacent_difference_implIS3_Lb1ELb0EPlSB_ZN2at6native12_GLOBAL__N_124unique_dim_cuda_templateIjEESt5tupleIJNSC_6TensorESH_SH_EERKSH_lbbbEUlllE1_EE10hipError_tPvRmT2_T3_mT4_P12ihipStream_tbEUlmE_lEESB_NS0_8identityIvEEEESM_SP_SQ_mSR_ST_bEUlT_E_NS1_11comp_targetILNS1_3genE3ELNS1_11target_archE908ELNS1_3gpuE7ELNS1_3repE0EEENS1_30default_config_static_selectorELNS0_4arch9wavefront6targetE1EEEvT1_
                                        ; -- End function
	.section	.AMDGPU.csdata,"",@progbits
; Kernel info:
; codeLenInByte = 0
; NumSgprs: 6
; NumVgprs: 0
; NumAgprs: 0
; TotalNumVgprs: 0
; ScratchSize: 0
; MemoryBound: 0
; FloatMode: 240
; IeeeMode: 1
; LDSByteSize: 0 bytes/workgroup (compile time only)
; SGPRBlocks: 0
; VGPRBlocks: 0
; NumSGPRsForWavesPerEU: 6
; NumVGPRsForWavesPerEU: 1
; AccumOffset: 4
; Occupancy: 8
; WaveLimiterHint : 0
; COMPUTE_PGM_RSRC2:SCRATCH_EN: 0
; COMPUTE_PGM_RSRC2:USER_SGPR: 2
; COMPUTE_PGM_RSRC2:TRAP_HANDLER: 0
; COMPUTE_PGM_RSRC2:TGID_X_EN: 1
; COMPUTE_PGM_RSRC2:TGID_Y_EN: 0
; COMPUTE_PGM_RSRC2:TGID_Z_EN: 0
; COMPUTE_PGM_RSRC2:TIDIG_COMP_CNT: 0
; COMPUTE_PGM_RSRC3_GFX90A:ACCUM_OFFSET: 0
; COMPUTE_PGM_RSRC3_GFX90A:TG_SPLIT: 0
	.section	.text._ZN7rocprim17ROCPRIM_400000_NS6detail17trampoline_kernelINS0_14default_configENS1_25transform_config_selectorIlLb0EEEZNS1_14transform_implILb0ES3_S5_NS0_18transform_iteratorINS0_17counting_iteratorImlEEZNS1_24adjacent_difference_implIS3_Lb1ELb0EPlSB_ZN2at6native12_GLOBAL__N_124unique_dim_cuda_templateIjEESt5tupleIJNSC_6TensorESH_SH_EERKSH_lbbbEUlllE1_EE10hipError_tPvRmT2_T3_mT4_P12ihipStream_tbEUlmE_lEESB_NS0_8identityIvEEEESM_SP_SQ_mSR_ST_bEUlT_E_NS1_11comp_targetILNS1_3genE2ELNS1_11target_archE906ELNS1_3gpuE6ELNS1_3repE0EEENS1_30default_config_static_selectorELNS0_4arch9wavefront6targetE1EEEvT1_,"axG",@progbits,_ZN7rocprim17ROCPRIM_400000_NS6detail17trampoline_kernelINS0_14default_configENS1_25transform_config_selectorIlLb0EEEZNS1_14transform_implILb0ES3_S5_NS0_18transform_iteratorINS0_17counting_iteratorImlEEZNS1_24adjacent_difference_implIS3_Lb1ELb0EPlSB_ZN2at6native12_GLOBAL__N_124unique_dim_cuda_templateIjEESt5tupleIJNSC_6TensorESH_SH_EERKSH_lbbbEUlllE1_EE10hipError_tPvRmT2_T3_mT4_P12ihipStream_tbEUlmE_lEESB_NS0_8identityIvEEEESM_SP_SQ_mSR_ST_bEUlT_E_NS1_11comp_targetILNS1_3genE2ELNS1_11target_archE906ELNS1_3gpuE6ELNS1_3repE0EEENS1_30default_config_static_selectorELNS0_4arch9wavefront6targetE1EEEvT1_,comdat
	.globl	_ZN7rocprim17ROCPRIM_400000_NS6detail17trampoline_kernelINS0_14default_configENS1_25transform_config_selectorIlLb0EEEZNS1_14transform_implILb0ES3_S5_NS0_18transform_iteratorINS0_17counting_iteratorImlEEZNS1_24adjacent_difference_implIS3_Lb1ELb0EPlSB_ZN2at6native12_GLOBAL__N_124unique_dim_cuda_templateIjEESt5tupleIJNSC_6TensorESH_SH_EERKSH_lbbbEUlllE1_EE10hipError_tPvRmT2_T3_mT4_P12ihipStream_tbEUlmE_lEESB_NS0_8identityIvEEEESM_SP_SQ_mSR_ST_bEUlT_E_NS1_11comp_targetILNS1_3genE2ELNS1_11target_archE906ELNS1_3gpuE6ELNS1_3repE0EEENS1_30default_config_static_selectorELNS0_4arch9wavefront6targetE1EEEvT1_ ; -- Begin function _ZN7rocprim17ROCPRIM_400000_NS6detail17trampoline_kernelINS0_14default_configENS1_25transform_config_selectorIlLb0EEEZNS1_14transform_implILb0ES3_S5_NS0_18transform_iteratorINS0_17counting_iteratorImlEEZNS1_24adjacent_difference_implIS3_Lb1ELb0EPlSB_ZN2at6native12_GLOBAL__N_124unique_dim_cuda_templateIjEESt5tupleIJNSC_6TensorESH_SH_EERKSH_lbbbEUlllE1_EE10hipError_tPvRmT2_T3_mT4_P12ihipStream_tbEUlmE_lEESB_NS0_8identityIvEEEESM_SP_SQ_mSR_ST_bEUlT_E_NS1_11comp_targetILNS1_3genE2ELNS1_11target_archE906ELNS1_3gpuE6ELNS1_3repE0EEENS1_30default_config_static_selectorELNS0_4arch9wavefront6targetE1EEEvT1_
	.p2align	8
	.type	_ZN7rocprim17ROCPRIM_400000_NS6detail17trampoline_kernelINS0_14default_configENS1_25transform_config_selectorIlLb0EEEZNS1_14transform_implILb0ES3_S5_NS0_18transform_iteratorINS0_17counting_iteratorImlEEZNS1_24adjacent_difference_implIS3_Lb1ELb0EPlSB_ZN2at6native12_GLOBAL__N_124unique_dim_cuda_templateIjEESt5tupleIJNSC_6TensorESH_SH_EERKSH_lbbbEUlllE1_EE10hipError_tPvRmT2_T3_mT4_P12ihipStream_tbEUlmE_lEESB_NS0_8identityIvEEEESM_SP_SQ_mSR_ST_bEUlT_E_NS1_11comp_targetILNS1_3genE2ELNS1_11target_archE906ELNS1_3gpuE6ELNS1_3repE0EEENS1_30default_config_static_selectorELNS0_4arch9wavefront6targetE1EEEvT1_,@function
_ZN7rocprim17ROCPRIM_400000_NS6detail17trampoline_kernelINS0_14default_configENS1_25transform_config_selectorIlLb0EEEZNS1_14transform_implILb0ES3_S5_NS0_18transform_iteratorINS0_17counting_iteratorImlEEZNS1_24adjacent_difference_implIS3_Lb1ELb0EPlSB_ZN2at6native12_GLOBAL__N_124unique_dim_cuda_templateIjEESt5tupleIJNSC_6TensorESH_SH_EERKSH_lbbbEUlllE1_EE10hipError_tPvRmT2_T3_mT4_P12ihipStream_tbEUlmE_lEESB_NS0_8identityIvEEEESM_SP_SQ_mSR_ST_bEUlT_E_NS1_11comp_targetILNS1_3genE2ELNS1_11target_archE906ELNS1_3gpuE6ELNS1_3repE0EEENS1_30default_config_static_selectorELNS0_4arch9wavefront6targetE1EEEvT1_: ; @_ZN7rocprim17ROCPRIM_400000_NS6detail17trampoline_kernelINS0_14default_configENS1_25transform_config_selectorIlLb0EEEZNS1_14transform_implILb0ES3_S5_NS0_18transform_iteratorINS0_17counting_iteratorImlEEZNS1_24adjacent_difference_implIS3_Lb1ELb0EPlSB_ZN2at6native12_GLOBAL__N_124unique_dim_cuda_templateIjEESt5tupleIJNSC_6TensorESH_SH_EERKSH_lbbbEUlllE1_EE10hipError_tPvRmT2_T3_mT4_P12ihipStream_tbEUlmE_lEESB_NS0_8identityIvEEEESM_SP_SQ_mSR_ST_bEUlT_E_NS1_11comp_targetILNS1_3genE2ELNS1_11target_archE906ELNS1_3gpuE6ELNS1_3repE0EEENS1_30default_config_static_selectorELNS0_4arch9wavefront6targetE1EEEvT1_
; %bb.0:
	.section	.rodata,"a",@progbits
	.p2align	6, 0x0
	.amdhsa_kernel _ZN7rocprim17ROCPRIM_400000_NS6detail17trampoline_kernelINS0_14default_configENS1_25transform_config_selectorIlLb0EEEZNS1_14transform_implILb0ES3_S5_NS0_18transform_iteratorINS0_17counting_iteratorImlEEZNS1_24adjacent_difference_implIS3_Lb1ELb0EPlSB_ZN2at6native12_GLOBAL__N_124unique_dim_cuda_templateIjEESt5tupleIJNSC_6TensorESH_SH_EERKSH_lbbbEUlllE1_EE10hipError_tPvRmT2_T3_mT4_P12ihipStream_tbEUlmE_lEESB_NS0_8identityIvEEEESM_SP_SQ_mSR_ST_bEUlT_E_NS1_11comp_targetILNS1_3genE2ELNS1_11target_archE906ELNS1_3gpuE6ELNS1_3repE0EEENS1_30default_config_static_selectorELNS0_4arch9wavefront6targetE1EEEvT1_
		.amdhsa_group_segment_fixed_size 0
		.amdhsa_private_segment_fixed_size 0
		.amdhsa_kernarg_size 56
		.amdhsa_user_sgpr_count 2
		.amdhsa_user_sgpr_dispatch_ptr 0
		.amdhsa_user_sgpr_queue_ptr 0
		.amdhsa_user_sgpr_kernarg_segment_ptr 1
		.amdhsa_user_sgpr_dispatch_id 0
		.amdhsa_user_sgpr_kernarg_preload_length 0
		.amdhsa_user_sgpr_kernarg_preload_offset 0
		.amdhsa_user_sgpr_private_segment_size 0
		.amdhsa_uses_dynamic_stack 0
		.amdhsa_enable_private_segment 0
		.amdhsa_system_sgpr_workgroup_id_x 1
		.amdhsa_system_sgpr_workgroup_id_y 0
		.amdhsa_system_sgpr_workgroup_id_z 0
		.amdhsa_system_sgpr_workgroup_info 0
		.amdhsa_system_vgpr_workitem_id 0
		.amdhsa_next_free_vgpr 1
		.amdhsa_next_free_sgpr 0
		.amdhsa_accum_offset 4
		.amdhsa_reserve_vcc 0
		.amdhsa_float_round_mode_32 0
		.amdhsa_float_round_mode_16_64 0
		.amdhsa_float_denorm_mode_32 3
		.amdhsa_float_denorm_mode_16_64 3
		.amdhsa_dx10_clamp 1
		.amdhsa_ieee_mode 1
		.amdhsa_fp16_overflow 0
		.amdhsa_tg_split 0
		.amdhsa_exception_fp_ieee_invalid_op 0
		.amdhsa_exception_fp_denorm_src 0
		.amdhsa_exception_fp_ieee_div_zero 0
		.amdhsa_exception_fp_ieee_overflow 0
		.amdhsa_exception_fp_ieee_underflow 0
		.amdhsa_exception_fp_ieee_inexact 0
		.amdhsa_exception_int_div_zero 0
	.end_amdhsa_kernel
	.section	.text._ZN7rocprim17ROCPRIM_400000_NS6detail17trampoline_kernelINS0_14default_configENS1_25transform_config_selectorIlLb0EEEZNS1_14transform_implILb0ES3_S5_NS0_18transform_iteratorINS0_17counting_iteratorImlEEZNS1_24adjacent_difference_implIS3_Lb1ELb0EPlSB_ZN2at6native12_GLOBAL__N_124unique_dim_cuda_templateIjEESt5tupleIJNSC_6TensorESH_SH_EERKSH_lbbbEUlllE1_EE10hipError_tPvRmT2_T3_mT4_P12ihipStream_tbEUlmE_lEESB_NS0_8identityIvEEEESM_SP_SQ_mSR_ST_bEUlT_E_NS1_11comp_targetILNS1_3genE2ELNS1_11target_archE906ELNS1_3gpuE6ELNS1_3repE0EEENS1_30default_config_static_selectorELNS0_4arch9wavefront6targetE1EEEvT1_,"axG",@progbits,_ZN7rocprim17ROCPRIM_400000_NS6detail17trampoline_kernelINS0_14default_configENS1_25transform_config_selectorIlLb0EEEZNS1_14transform_implILb0ES3_S5_NS0_18transform_iteratorINS0_17counting_iteratorImlEEZNS1_24adjacent_difference_implIS3_Lb1ELb0EPlSB_ZN2at6native12_GLOBAL__N_124unique_dim_cuda_templateIjEESt5tupleIJNSC_6TensorESH_SH_EERKSH_lbbbEUlllE1_EE10hipError_tPvRmT2_T3_mT4_P12ihipStream_tbEUlmE_lEESB_NS0_8identityIvEEEESM_SP_SQ_mSR_ST_bEUlT_E_NS1_11comp_targetILNS1_3genE2ELNS1_11target_archE906ELNS1_3gpuE6ELNS1_3repE0EEENS1_30default_config_static_selectorELNS0_4arch9wavefront6targetE1EEEvT1_,comdat
.Lfunc_end1538:
	.size	_ZN7rocprim17ROCPRIM_400000_NS6detail17trampoline_kernelINS0_14default_configENS1_25transform_config_selectorIlLb0EEEZNS1_14transform_implILb0ES3_S5_NS0_18transform_iteratorINS0_17counting_iteratorImlEEZNS1_24adjacent_difference_implIS3_Lb1ELb0EPlSB_ZN2at6native12_GLOBAL__N_124unique_dim_cuda_templateIjEESt5tupleIJNSC_6TensorESH_SH_EERKSH_lbbbEUlllE1_EE10hipError_tPvRmT2_T3_mT4_P12ihipStream_tbEUlmE_lEESB_NS0_8identityIvEEEESM_SP_SQ_mSR_ST_bEUlT_E_NS1_11comp_targetILNS1_3genE2ELNS1_11target_archE906ELNS1_3gpuE6ELNS1_3repE0EEENS1_30default_config_static_selectorELNS0_4arch9wavefront6targetE1EEEvT1_, .Lfunc_end1538-_ZN7rocprim17ROCPRIM_400000_NS6detail17trampoline_kernelINS0_14default_configENS1_25transform_config_selectorIlLb0EEEZNS1_14transform_implILb0ES3_S5_NS0_18transform_iteratorINS0_17counting_iteratorImlEEZNS1_24adjacent_difference_implIS3_Lb1ELb0EPlSB_ZN2at6native12_GLOBAL__N_124unique_dim_cuda_templateIjEESt5tupleIJNSC_6TensorESH_SH_EERKSH_lbbbEUlllE1_EE10hipError_tPvRmT2_T3_mT4_P12ihipStream_tbEUlmE_lEESB_NS0_8identityIvEEEESM_SP_SQ_mSR_ST_bEUlT_E_NS1_11comp_targetILNS1_3genE2ELNS1_11target_archE906ELNS1_3gpuE6ELNS1_3repE0EEENS1_30default_config_static_selectorELNS0_4arch9wavefront6targetE1EEEvT1_
                                        ; -- End function
	.section	.AMDGPU.csdata,"",@progbits
; Kernel info:
; codeLenInByte = 0
; NumSgprs: 6
; NumVgprs: 0
; NumAgprs: 0
; TotalNumVgprs: 0
; ScratchSize: 0
; MemoryBound: 0
; FloatMode: 240
; IeeeMode: 1
; LDSByteSize: 0 bytes/workgroup (compile time only)
; SGPRBlocks: 0
; VGPRBlocks: 0
; NumSGPRsForWavesPerEU: 6
; NumVGPRsForWavesPerEU: 1
; AccumOffset: 4
; Occupancy: 8
; WaveLimiterHint : 0
; COMPUTE_PGM_RSRC2:SCRATCH_EN: 0
; COMPUTE_PGM_RSRC2:USER_SGPR: 2
; COMPUTE_PGM_RSRC2:TRAP_HANDLER: 0
; COMPUTE_PGM_RSRC2:TGID_X_EN: 1
; COMPUTE_PGM_RSRC2:TGID_Y_EN: 0
; COMPUTE_PGM_RSRC2:TGID_Z_EN: 0
; COMPUTE_PGM_RSRC2:TIDIG_COMP_CNT: 0
; COMPUTE_PGM_RSRC3_GFX90A:ACCUM_OFFSET: 0
; COMPUTE_PGM_RSRC3_GFX90A:TG_SPLIT: 0
	.section	.text._ZN7rocprim17ROCPRIM_400000_NS6detail17trampoline_kernelINS0_14default_configENS1_25transform_config_selectorIlLb0EEEZNS1_14transform_implILb0ES3_S5_NS0_18transform_iteratorINS0_17counting_iteratorImlEEZNS1_24adjacent_difference_implIS3_Lb1ELb0EPlSB_ZN2at6native12_GLOBAL__N_124unique_dim_cuda_templateIjEESt5tupleIJNSC_6TensorESH_SH_EERKSH_lbbbEUlllE1_EE10hipError_tPvRmT2_T3_mT4_P12ihipStream_tbEUlmE_lEESB_NS0_8identityIvEEEESM_SP_SQ_mSR_ST_bEUlT_E_NS1_11comp_targetILNS1_3genE10ELNS1_11target_archE1201ELNS1_3gpuE5ELNS1_3repE0EEENS1_30default_config_static_selectorELNS0_4arch9wavefront6targetE1EEEvT1_,"axG",@progbits,_ZN7rocprim17ROCPRIM_400000_NS6detail17trampoline_kernelINS0_14default_configENS1_25transform_config_selectorIlLb0EEEZNS1_14transform_implILb0ES3_S5_NS0_18transform_iteratorINS0_17counting_iteratorImlEEZNS1_24adjacent_difference_implIS3_Lb1ELb0EPlSB_ZN2at6native12_GLOBAL__N_124unique_dim_cuda_templateIjEESt5tupleIJNSC_6TensorESH_SH_EERKSH_lbbbEUlllE1_EE10hipError_tPvRmT2_T3_mT4_P12ihipStream_tbEUlmE_lEESB_NS0_8identityIvEEEESM_SP_SQ_mSR_ST_bEUlT_E_NS1_11comp_targetILNS1_3genE10ELNS1_11target_archE1201ELNS1_3gpuE5ELNS1_3repE0EEENS1_30default_config_static_selectorELNS0_4arch9wavefront6targetE1EEEvT1_,comdat
	.globl	_ZN7rocprim17ROCPRIM_400000_NS6detail17trampoline_kernelINS0_14default_configENS1_25transform_config_selectorIlLb0EEEZNS1_14transform_implILb0ES3_S5_NS0_18transform_iteratorINS0_17counting_iteratorImlEEZNS1_24adjacent_difference_implIS3_Lb1ELb0EPlSB_ZN2at6native12_GLOBAL__N_124unique_dim_cuda_templateIjEESt5tupleIJNSC_6TensorESH_SH_EERKSH_lbbbEUlllE1_EE10hipError_tPvRmT2_T3_mT4_P12ihipStream_tbEUlmE_lEESB_NS0_8identityIvEEEESM_SP_SQ_mSR_ST_bEUlT_E_NS1_11comp_targetILNS1_3genE10ELNS1_11target_archE1201ELNS1_3gpuE5ELNS1_3repE0EEENS1_30default_config_static_selectorELNS0_4arch9wavefront6targetE1EEEvT1_ ; -- Begin function _ZN7rocprim17ROCPRIM_400000_NS6detail17trampoline_kernelINS0_14default_configENS1_25transform_config_selectorIlLb0EEEZNS1_14transform_implILb0ES3_S5_NS0_18transform_iteratorINS0_17counting_iteratorImlEEZNS1_24adjacent_difference_implIS3_Lb1ELb0EPlSB_ZN2at6native12_GLOBAL__N_124unique_dim_cuda_templateIjEESt5tupleIJNSC_6TensorESH_SH_EERKSH_lbbbEUlllE1_EE10hipError_tPvRmT2_T3_mT4_P12ihipStream_tbEUlmE_lEESB_NS0_8identityIvEEEESM_SP_SQ_mSR_ST_bEUlT_E_NS1_11comp_targetILNS1_3genE10ELNS1_11target_archE1201ELNS1_3gpuE5ELNS1_3repE0EEENS1_30default_config_static_selectorELNS0_4arch9wavefront6targetE1EEEvT1_
	.p2align	8
	.type	_ZN7rocprim17ROCPRIM_400000_NS6detail17trampoline_kernelINS0_14default_configENS1_25transform_config_selectorIlLb0EEEZNS1_14transform_implILb0ES3_S5_NS0_18transform_iteratorINS0_17counting_iteratorImlEEZNS1_24adjacent_difference_implIS3_Lb1ELb0EPlSB_ZN2at6native12_GLOBAL__N_124unique_dim_cuda_templateIjEESt5tupleIJNSC_6TensorESH_SH_EERKSH_lbbbEUlllE1_EE10hipError_tPvRmT2_T3_mT4_P12ihipStream_tbEUlmE_lEESB_NS0_8identityIvEEEESM_SP_SQ_mSR_ST_bEUlT_E_NS1_11comp_targetILNS1_3genE10ELNS1_11target_archE1201ELNS1_3gpuE5ELNS1_3repE0EEENS1_30default_config_static_selectorELNS0_4arch9wavefront6targetE1EEEvT1_,@function
_ZN7rocprim17ROCPRIM_400000_NS6detail17trampoline_kernelINS0_14default_configENS1_25transform_config_selectorIlLb0EEEZNS1_14transform_implILb0ES3_S5_NS0_18transform_iteratorINS0_17counting_iteratorImlEEZNS1_24adjacent_difference_implIS3_Lb1ELb0EPlSB_ZN2at6native12_GLOBAL__N_124unique_dim_cuda_templateIjEESt5tupleIJNSC_6TensorESH_SH_EERKSH_lbbbEUlllE1_EE10hipError_tPvRmT2_T3_mT4_P12ihipStream_tbEUlmE_lEESB_NS0_8identityIvEEEESM_SP_SQ_mSR_ST_bEUlT_E_NS1_11comp_targetILNS1_3genE10ELNS1_11target_archE1201ELNS1_3gpuE5ELNS1_3repE0EEENS1_30default_config_static_selectorELNS0_4arch9wavefront6targetE1EEEvT1_: ; @_ZN7rocprim17ROCPRIM_400000_NS6detail17trampoline_kernelINS0_14default_configENS1_25transform_config_selectorIlLb0EEEZNS1_14transform_implILb0ES3_S5_NS0_18transform_iteratorINS0_17counting_iteratorImlEEZNS1_24adjacent_difference_implIS3_Lb1ELb0EPlSB_ZN2at6native12_GLOBAL__N_124unique_dim_cuda_templateIjEESt5tupleIJNSC_6TensorESH_SH_EERKSH_lbbbEUlllE1_EE10hipError_tPvRmT2_T3_mT4_P12ihipStream_tbEUlmE_lEESB_NS0_8identityIvEEEESM_SP_SQ_mSR_ST_bEUlT_E_NS1_11comp_targetILNS1_3genE10ELNS1_11target_archE1201ELNS1_3gpuE5ELNS1_3repE0EEENS1_30default_config_static_selectorELNS0_4arch9wavefront6targetE1EEEvT1_
; %bb.0:
	.section	.rodata,"a",@progbits
	.p2align	6, 0x0
	.amdhsa_kernel _ZN7rocprim17ROCPRIM_400000_NS6detail17trampoline_kernelINS0_14default_configENS1_25transform_config_selectorIlLb0EEEZNS1_14transform_implILb0ES3_S5_NS0_18transform_iteratorINS0_17counting_iteratorImlEEZNS1_24adjacent_difference_implIS3_Lb1ELb0EPlSB_ZN2at6native12_GLOBAL__N_124unique_dim_cuda_templateIjEESt5tupleIJNSC_6TensorESH_SH_EERKSH_lbbbEUlllE1_EE10hipError_tPvRmT2_T3_mT4_P12ihipStream_tbEUlmE_lEESB_NS0_8identityIvEEEESM_SP_SQ_mSR_ST_bEUlT_E_NS1_11comp_targetILNS1_3genE10ELNS1_11target_archE1201ELNS1_3gpuE5ELNS1_3repE0EEENS1_30default_config_static_selectorELNS0_4arch9wavefront6targetE1EEEvT1_
		.amdhsa_group_segment_fixed_size 0
		.amdhsa_private_segment_fixed_size 0
		.amdhsa_kernarg_size 56
		.amdhsa_user_sgpr_count 2
		.amdhsa_user_sgpr_dispatch_ptr 0
		.amdhsa_user_sgpr_queue_ptr 0
		.amdhsa_user_sgpr_kernarg_segment_ptr 1
		.amdhsa_user_sgpr_dispatch_id 0
		.amdhsa_user_sgpr_kernarg_preload_length 0
		.amdhsa_user_sgpr_kernarg_preload_offset 0
		.amdhsa_user_sgpr_private_segment_size 0
		.amdhsa_uses_dynamic_stack 0
		.amdhsa_enable_private_segment 0
		.amdhsa_system_sgpr_workgroup_id_x 1
		.amdhsa_system_sgpr_workgroup_id_y 0
		.amdhsa_system_sgpr_workgroup_id_z 0
		.amdhsa_system_sgpr_workgroup_info 0
		.amdhsa_system_vgpr_workitem_id 0
		.amdhsa_next_free_vgpr 1
		.amdhsa_next_free_sgpr 0
		.amdhsa_accum_offset 4
		.amdhsa_reserve_vcc 0
		.amdhsa_float_round_mode_32 0
		.amdhsa_float_round_mode_16_64 0
		.amdhsa_float_denorm_mode_32 3
		.amdhsa_float_denorm_mode_16_64 3
		.amdhsa_dx10_clamp 1
		.amdhsa_ieee_mode 1
		.amdhsa_fp16_overflow 0
		.amdhsa_tg_split 0
		.amdhsa_exception_fp_ieee_invalid_op 0
		.amdhsa_exception_fp_denorm_src 0
		.amdhsa_exception_fp_ieee_div_zero 0
		.amdhsa_exception_fp_ieee_overflow 0
		.amdhsa_exception_fp_ieee_underflow 0
		.amdhsa_exception_fp_ieee_inexact 0
		.amdhsa_exception_int_div_zero 0
	.end_amdhsa_kernel
	.section	.text._ZN7rocprim17ROCPRIM_400000_NS6detail17trampoline_kernelINS0_14default_configENS1_25transform_config_selectorIlLb0EEEZNS1_14transform_implILb0ES3_S5_NS0_18transform_iteratorINS0_17counting_iteratorImlEEZNS1_24adjacent_difference_implIS3_Lb1ELb0EPlSB_ZN2at6native12_GLOBAL__N_124unique_dim_cuda_templateIjEESt5tupleIJNSC_6TensorESH_SH_EERKSH_lbbbEUlllE1_EE10hipError_tPvRmT2_T3_mT4_P12ihipStream_tbEUlmE_lEESB_NS0_8identityIvEEEESM_SP_SQ_mSR_ST_bEUlT_E_NS1_11comp_targetILNS1_3genE10ELNS1_11target_archE1201ELNS1_3gpuE5ELNS1_3repE0EEENS1_30default_config_static_selectorELNS0_4arch9wavefront6targetE1EEEvT1_,"axG",@progbits,_ZN7rocprim17ROCPRIM_400000_NS6detail17trampoline_kernelINS0_14default_configENS1_25transform_config_selectorIlLb0EEEZNS1_14transform_implILb0ES3_S5_NS0_18transform_iteratorINS0_17counting_iteratorImlEEZNS1_24adjacent_difference_implIS3_Lb1ELb0EPlSB_ZN2at6native12_GLOBAL__N_124unique_dim_cuda_templateIjEESt5tupleIJNSC_6TensorESH_SH_EERKSH_lbbbEUlllE1_EE10hipError_tPvRmT2_T3_mT4_P12ihipStream_tbEUlmE_lEESB_NS0_8identityIvEEEESM_SP_SQ_mSR_ST_bEUlT_E_NS1_11comp_targetILNS1_3genE10ELNS1_11target_archE1201ELNS1_3gpuE5ELNS1_3repE0EEENS1_30default_config_static_selectorELNS0_4arch9wavefront6targetE1EEEvT1_,comdat
.Lfunc_end1539:
	.size	_ZN7rocprim17ROCPRIM_400000_NS6detail17trampoline_kernelINS0_14default_configENS1_25transform_config_selectorIlLb0EEEZNS1_14transform_implILb0ES3_S5_NS0_18transform_iteratorINS0_17counting_iteratorImlEEZNS1_24adjacent_difference_implIS3_Lb1ELb0EPlSB_ZN2at6native12_GLOBAL__N_124unique_dim_cuda_templateIjEESt5tupleIJNSC_6TensorESH_SH_EERKSH_lbbbEUlllE1_EE10hipError_tPvRmT2_T3_mT4_P12ihipStream_tbEUlmE_lEESB_NS0_8identityIvEEEESM_SP_SQ_mSR_ST_bEUlT_E_NS1_11comp_targetILNS1_3genE10ELNS1_11target_archE1201ELNS1_3gpuE5ELNS1_3repE0EEENS1_30default_config_static_selectorELNS0_4arch9wavefront6targetE1EEEvT1_, .Lfunc_end1539-_ZN7rocprim17ROCPRIM_400000_NS6detail17trampoline_kernelINS0_14default_configENS1_25transform_config_selectorIlLb0EEEZNS1_14transform_implILb0ES3_S5_NS0_18transform_iteratorINS0_17counting_iteratorImlEEZNS1_24adjacent_difference_implIS3_Lb1ELb0EPlSB_ZN2at6native12_GLOBAL__N_124unique_dim_cuda_templateIjEESt5tupleIJNSC_6TensorESH_SH_EERKSH_lbbbEUlllE1_EE10hipError_tPvRmT2_T3_mT4_P12ihipStream_tbEUlmE_lEESB_NS0_8identityIvEEEESM_SP_SQ_mSR_ST_bEUlT_E_NS1_11comp_targetILNS1_3genE10ELNS1_11target_archE1201ELNS1_3gpuE5ELNS1_3repE0EEENS1_30default_config_static_selectorELNS0_4arch9wavefront6targetE1EEEvT1_
                                        ; -- End function
	.section	.AMDGPU.csdata,"",@progbits
; Kernel info:
; codeLenInByte = 0
; NumSgprs: 6
; NumVgprs: 0
; NumAgprs: 0
; TotalNumVgprs: 0
; ScratchSize: 0
; MemoryBound: 0
; FloatMode: 240
; IeeeMode: 1
; LDSByteSize: 0 bytes/workgroup (compile time only)
; SGPRBlocks: 0
; VGPRBlocks: 0
; NumSGPRsForWavesPerEU: 6
; NumVGPRsForWavesPerEU: 1
; AccumOffset: 4
; Occupancy: 8
; WaveLimiterHint : 0
; COMPUTE_PGM_RSRC2:SCRATCH_EN: 0
; COMPUTE_PGM_RSRC2:USER_SGPR: 2
; COMPUTE_PGM_RSRC2:TRAP_HANDLER: 0
; COMPUTE_PGM_RSRC2:TGID_X_EN: 1
; COMPUTE_PGM_RSRC2:TGID_Y_EN: 0
; COMPUTE_PGM_RSRC2:TGID_Z_EN: 0
; COMPUTE_PGM_RSRC2:TIDIG_COMP_CNT: 0
; COMPUTE_PGM_RSRC3_GFX90A:ACCUM_OFFSET: 0
; COMPUTE_PGM_RSRC3_GFX90A:TG_SPLIT: 0
	.section	.text._ZN7rocprim17ROCPRIM_400000_NS6detail17trampoline_kernelINS0_14default_configENS1_25transform_config_selectorIlLb0EEEZNS1_14transform_implILb0ES3_S5_NS0_18transform_iteratorINS0_17counting_iteratorImlEEZNS1_24adjacent_difference_implIS3_Lb1ELb0EPlSB_ZN2at6native12_GLOBAL__N_124unique_dim_cuda_templateIjEESt5tupleIJNSC_6TensorESH_SH_EERKSH_lbbbEUlllE1_EE10hipError_tPvRmT2_T3_mT4_P12ihipStream_tbEUlmE_lEESB_NS0_8identityIvEEEESM_SP_SQ_mSR_ST_bEUlT_E_NS1_11comp_targetILNS1_3genE10ELNS1_11target_archE1200ELNS1_3gpuE4ELNS1_3repE0EEENS1_30default_config_static_selectorELNS0_4arch9wavefront6targetE1EEEvT1_,"axG",@progbits,_ZN7rocprim17ROCPRIM_400000_NS6detail17trampoline_kernelINS0_14default_configENS1_25transform_config_selectorIlLb0EEEZNS1_14transform_implILb0ES3_S5_NS0_18transform_iteratorINS0_17counting_iteratorImlEEZNS1_24adjacent_difference_implIS3_Lb1ELb0EPlSB_ZN2at6native12_GLOBAL__N_124unique_dim_cuda_templateIjEESt5tupleIJNSC_6TensorESH_SH_EERKSH_lbbbEUlllE1_EE10hipError_tPvRmT2_T3_mT4_P12ihipStream_tbEUlmE_lEESB_NS0_8identityIvEEEESM_SP_SQ_mSR_ST_bEUlT_E_NS1_11comp_targetILNS1_3genE10ELNS1_11target_archE1200ELNS1_3gpuE4ELNS1_3repE0EEENS1_30default_config_static_selectorELNS0_4arch9wavefront6targetE1EEEvT1_,comdat
	.globl	_ZN7rocprim17ROCPRIM_400000_NS6detail17trampoline_kernelINS0_14default_configENS1_25transform_config_selectorIlLb0EEEZNS1_14transform_implILb0ES3_S5_NS0_18transform_iteratorINS0_17counting_iteratorImlEEZNS1_24adjacent_difference_implIS3_Lb1ELb0EPlSB_ZN2at6native12_GLOBAL__N_124unique_dim_cuda_templateIjEESt5tupleIJNSC_6TensorESH_SH_EERKSH_lbbbEUlllE1_EE10hipError_tPvRmT2_T3_mT4_P12ihipStream_tbEUlmE_lEESB_NS0_8identityIvEEEESM_SP_SQ_mSR_ST_bEUlT_E_NS1_11comp_targetILNS1_3genE10ELNS1_11target_archE1200ELNS1_3gpuE4ELNS1_3repE0EEENS1_30default_config_static_selectorELNS0_4arch9wavefront6targetE1EEEvT1_ ; -- Begin function _ZN7rocprim17ROCPRIM_400000_NS6detail17trampoline_kernelINS0_14default_configENS1_25transform_config_selectorIlLb0EEEZNS1_14transform_implILb0ES3_S5_NS0_18transform_iteratorINS0_17counting_iteratorImlEEZNS1_24adjacent_difference_implIS3_Lb1ELb0EPlSB_ZN2at6native12_GLOBAL__N_124unique_dim_cuda_templateIjEESt5tupleIJNSC_6TensorESH_SH_EERKSH_lbbbEUlllE1_EE10hipError_tPvRmT2_T3_mT4_P12ihipStream_tbEUlmE_lEESB_NS0_8identityIvEEEESM_SP_SQ_mSR_ST_bEUlT_E_NS1_11comp_targetILNS1_3genE10ELNS1_11target_archE1200ELNS1_3gpuE4ELNS1_3repE0EEENS1_30default_config_static_selectorELNS0_4arch9wavefront6targetE1EEEvT1_
	.p2align	8
	.type	_ZN7rocprim17ROCPRIM_400000_NS6detail17trampoline_kernelINS0_14default_configENS1_25transform_config_selectorIlLb0EEEZNS1_14transform_implILb0ES3_S5_NS0_18transform_iteratorINS0_17counting_iteratorImlEEZNS1_24adjacent_difference_implIS3_Lb1ELb0EPlSB_ZN2at6native12_GLOBAL__N_124unique_dim_cuda_templateIjEESt5tupleIJNSC_6TensorESH_SH_EERKSH_lbbbEUlllE1_EE10hipError_tPvRmT2_T3_mT4_P12ihipStream_tbEUlmE_lEESB_NS0_8identityIvEEEESM_SP_SQ_mSR_ST_bEUlT_E_NS1_11comp_targetILNS1_3genE10ELNS1_11target_archE1200ELNS1_3gpuE4ELNS1_3repE0EEENS1_30default_config_static_selectorELNS0_4arch9wavefront6targetE1EEEvT1_,@function
_ZN7rocprim17ROCPRIM_400000_NS6detail17trampoline_kernelINS0_14default_configENS1_25transform_config_selectorIlLb0EEEZNS1_14transform_implILb0ES3_S5_NS0_18transform_iteratorINS0_17counting_iteratorImlEEZNS1_24adjacent_difference_implIS3_Lb1ELb0EPlSB_ZN2at6native12_GLOBAL__N_124unique_dim_cuda_templateIjEESt5tupleIJNSC_6TensorESH_SH_EERKSH_lbbbEUlllE1_EE10hipError_tPvRmT2_T3_mT4_P12ihipStream_tbEUlmE_lEESB_NS0_8identityIvEEEESM_SP_SQ_mSR_ST_bEUlT_E_NS1_11comp_targetILNS1_3genE10ELNS1_11target_archE1200ELNS1_3gpuE4ELNS1_3repE0EEENS1_30default_config_static_selectorELNS0_4arch9wavefront6targetE1EEEvT1_: ; @_ZN7rocprim17ROCPRIM_400000_NS6detail17trampoline_kernelINS0_14default_configENS1_25transform_config_selectorIlLb0EEEZNS1_14transform_implILb0ES3_S5_NS0_18transform_iteratorINS0_17counting_iteratorImlEEZNS1_24adjacent_difference_implIS3_Lb1ELb0EPlSB_ZN2at6native12_GLOBAL__N_124unique_dim_cuda_templateIjEESt5tupleIJNSC_6TensorESH_SH_EERKSH_lbbbEUlllE1_EE10hipError_tPvRmT2_T3_mT4_P12ihipStream_tbEUlmE_lEESB_NS0_8identityIvEEEESM_SP_SQ_mSR_ST_bEUlT_E_NS1_11comp_targetILNS1_3genE10ELNS1_11target_archE1200ELNS1_3gpuE4ELNS1_3repE0EEENS1_30default_config_static_selectorELNS0_4arch9wavefront6targetE1EEEvT1_
; %bb.0:
	.section	.rodata,"a",@progbits
	.p2align	6, 0x0
	.amdhsa_kernel _ZN7rocprim17ROCPRIM_400000_NS6detail17trampoline_kernelINS0_14default_configENS1_25transform_config_selectorIlLb0EEEZNS1_14transform_implILb0ES3_S5_NS0_18transform_iteratorINS0_17counting_iteratorImlEEZNS1_24adjacent_difference_implIS3_Lb1ELb0EPlSB_ZN2at6native12_GLOBAL__N_124unique_dim_cuda_templateIjEESt5tupleIJNSC_6TensorESH_SH_EERKSH_lbbbEUlllE1_EE10hipError_tPvRmT2_T3_mT4_P12ihipStream_tbEUlmE_lEESB_NS0_8identityIvEEEESM_SP_SQ_mSR_ST_bEUlT_E_NS1_11comp_targetILNS1_3genE10ELNS1_11target_archE1200ELNS1_3gpuE4ELNS1_3repE0EEENS1_30default_config_static_selectorELNS0_4arch9wavefront6targetE1EEEvT1_
		.amdhsa_group_segment_fixed_size 0
		.amdhsa_private_segment_fixed_size 0
		.amdhsa_kernarg_size 56
		.amdhsa_user_sgpr_count 2
		.amdhsa_user_sgpr_dispatch_ptr 0
		.amdhsa_user_sgpr_queue_ptr 0
		.amdhsa_user_sgpr_kernarg_segment_ptr 1
		.amdhsa_user_sgpr_dispatch_id 0
		.amdhsa_user_sgpr_kernarg_preload_length 0
		.amdhsa_user_sgpr_kernarg_preload_offset 0
		.amdhsa_user_sgpr_private_segment_size 0
		.amdhsa_uses_dynamic_stack 0
		.amdhsa_enable_private_segment 0
		.amdhsa_system_sgpr_workgroup_id_x 1
		.amdhsa_system_sgpr_workgroup_id_y 0
		.amdhsa_system_sgpr_workgroup_id_z 0
		.amdhsa_system_sgpr_workgroup_info 0
		.amdhsa_system_vgpr_workitem_id 0
		.amdhsa_next_free_vgpr 1
		.amdhsa_next_free_sgpr 0
		.amdhsa_accum_offset 4
		.amdhsa_reserve_vcc 0
		.amdhsa_float_round_mode_32 0
		.amdhsa_float_round_mode_16_64 0
		.amdhsa_float_denorm_mode_32 3
		.amdhsa_float_denorm_mode_16_64 3
		.amdhsa_dx10_clamp 1
		.amdhsa_ieee_mode 1
		.amdhsa_fp16_overflow 0
		.amdhsa_tg_split 0
		.amdhsa_exception_fp_ieee_invalid_op 0
		.amdhsa_exception_fp_denorm_src 0
		.amdhsa_exception_fp_ieee_div_zero 0
		.amdhsa_exception_fp_ieee_overflow 0
		.amdhsa_exception_fp_ieee_underflow 0
		.amdhsa_exception_fp_ieee_inexact 0
		.amdhsa_exception_int_div_zero 0
	.end_amdhsa_kernel
	.section	.text._ZN7rocprim17ROCPRIM_400000_NS6detail17trampoline_kernelINS0_14default_configENS1_25transform_config_selectorIlLb0EEEZNS1_14transform_implILb0ES3_S5_NS0_18transform_iteratorINS0_17counting_iteratorImlEEZNS1_24adjacent_difference_implIS3_Lb1ELb0EPlSB_ZN2at6native12_GLOBAL__N_124unique_dim_cuda_templateIjEESt5tupleIJNSC_6TensorESH_SH_EERKSH_lbbbEUlllE1_EE10hipError_tPvRmT2_T3_mT4_P12ihipStream_tbEUlmE_lEESB_NS0_8identityIvEEEESM_SP_SQ_mSR_ST_bEUlT_E_NS1_11comp_targetILNS1_3genE10ELNS1_11target_archE1200ELNS1_3gpuE4ELNS1_3repE0EEENS1_30default_config_static_selectorELNS0_4arch9wavefront6targetE1EEEvT1_,"axG",@progbits,_ZN7rocprim17ROCPRIM_400000_NS6detail17trampoline_kernelINS0_14default_configENS1_25transform_config_selectorIlLb0EEEZNS1_14transform_implILb0ES3_S5_NS0_18transform_iteratorINS0_17counting_iteratorImlEEZNS1_24adjacent_difference_implIS3_Lb1ELb0EPlSB_ZN2at6native12_GLOBAL__N_124unique_dim_cuda_templateIjEESt5tupleIJNSC_6TensorESH_SH_EERKSH_lbbbEUlllE1_EE10hipError_tPvRmT2_T3_mT4_P12ihipStream_tbEUlmE_lEESB_NS0_8identityIvEEEESM_SP_SQ_mSR_ST_bEUlT_E_NS1_11comp_targetILNS1_3genE10ELNS1_11target_archE1200ELNS1_3gpuE4ELNS1_3repE0EEENS1_30default_config_static_selectorELNS0_4arch9wavefront6targetE1EEEvT1_,comdat
.Lfunc_end1540:
	.size	_ZN7rocprim17ROCPRIM_400000_NS6detail17trampoline_kernelINS0_14default_configENS1_25transform_config_selectorIlLb0EEEZNS1_14transform_implILb0ES3_S5_NS0_18transform_iteratorINS0_17counting_iteratorImlEEZNS1_24adjacent_difference_implIS3_Lb1ELb0EPlSB_ZN2at6native12_GLOBAL__N_124unique_dim_cuda_templateIjEESt5tupleIJNSC_6TensorESH_SH_EERKSH_lbbbEUlllE1_EE10hipError_tPvRmT2_T3_mT4_P12ihipStream_tbEUlmE_lEESB_NS0_8identityIvEEEESM_SP_SQ_mSR_ST_bEUlT_E_NS1_11comp_targetILNS1_3genE10ELNS1_11target_archE1200ELNS1_3gpuE4ELNS1_3repE0EEENS1_30default_config_static_selectorELNS0_4arch9wavefront6targetE1EEEvT1_, .Lfunc_end1540-_ZN7rocprim17ROCPRIM_400000_NS6detail17trampoline_kernelINS0_14default_configENS1_25transform_config_selectorIlLb0EEEZNS1_14transform_implILb0ES3_S5_NS0_18transform_iteratorINS0_17counting_iteratorImlEEZNS1_24adjacent_difference_implIS3_Lb1ELb0EPlSB_ZN2at6native12_GLOBAL__N_124unique_dim_cuda_templateIjEESt5tupleIJNSC_6TensorESH_SH_EERKSH_lbbbEUlllE1_EE10hipError_tPvRmT2_T3_mT4_P12ihipStream_tbEUlmE_lEESB_NS0_8identityIvEEEESM_SP_SQ_mSR_ST_bEUlT_E_NS1_11comp_targetILNS1_3genE10ELNS1_11target_archE1200ELNS1_3gpuE4ELNS1_3repE0EEENS1_30default_config_static_selectorELNS0_4arch9wavefront6targetE1EEEvT1_
                                        ; -- End function
	.section	.AMDGPU.csdata,"",@progbits
; Kernel info:
; codeLenInByte = 0
; NumSgprs: 6
; NumVgprs: 0
; NumAgprs: 0
; TotalNumVgprs: 0
; ScratchSize: 0
; MemoryBound: 0
; FloatMode: 240
; IeeeMode: 1
; LDSByteSize: 0 bytes/workgroup (compile time only)
; SGPRBlocks: 0
; VGPRBlocks: 0
; NumSGPRsForWavesPerEU: 6
; NumVGPRsForWavesPerEU: 1
; AccumOffset: 4
; Occupancy: 8
; WaveLimiterHint : 0
; COMPUTE_PGM_RSRC2:SCRATCH_EN: 0
; COMPUTE_PGM_RSRC2:USER_SGPR: 2
; COMPUTE_PGM_RSRC2:TRAP_HANDLER: 0
; COMPUTE_PGM_RSRC2:TGID_X_EN: 1
; COMPUTE_PGM_RSRC2:TGID_Y_EN: 0
; COMPUTE_PGM_RSRC2:TGID_Z_EN: 0
; COMPUTE_PGM_RSRC2:TIDIG_COMP_CNT: 0
; COMPUTE_PGM_RSRC3_GFX90A:ACCUM_OFFSET: 0
; COMPUTE_PGM_RSRC3_GFX90A:TG_SPLIT: 0
	.section	.text._ZN7rocprim17ROCPRIM_400000_NS6detail17trampoline_kernelINS0_14default_configENS1_25transform_config_selectorIlLb0EEEZNS1_14transform_implILb0ES3_S5_NS0_18transform_iteratorINS0_17counting_iteratorImlEEZNS1_24adjacent_difference_implIS3_Lb1ELb0EPlSB_ZN2at6native12_GLOBAL__N_124unique_dim_cuda_templateIjEESt5tupleIJNSC_6TensorESH_SH_EERKSH_lbbbEUlllE1_EE10hipError_tPvRmT2_T3_mT4_P12ihipStream_tbEUlmE_lEESB_NS0_8identityIvEEEESM_SP_SQ_mSR_ST_bEUlT_E_NS1_11comp_targetILNS1_3genE9ELNS1_11target_archE1100ELNS1_3gpuE3ELNS1_3repE0EEENS1_30default_config_static_selectorELNS0_4arch9wavefront6targetE1EEEvT1_,"axG",@progbits,_ZN7rocprim17ROCPRIM_400000_NS6detail17trampoline_kernelINS0_14default_configENS1_25transform_config_selectorIlLb0EEEZNS1_14transform_implILb0ES3_S5_NS0_18transform_iteratorINS0_17counting_iteratorImlEEZNS1_24adjacent_difference_implIS3_Lb1ELb0EPlSB_ZN2at6native12_GLOBAL__N_124unique_dim_cuda_templateIjEESt5tupleIJNSC_6TensorESH_SH_EERKSH_lbbbEUlllE1_EE10hipError_tPvRmT2_T3_mT4_P12ihipStream_tbEUlmE_lEESB_NS0_8identityIvEEEESM_SP_SQ_mSR_ST_bEUlT_E_NS1_11comp_targetILNS1_3genE9ELNS1_11target_archE1100ELNS1_3gpuE3ELNS1_3repE0EEENS1_30default_config_static_selectorELNS0_4arch9wavefront6targetE1EEEvT1_,comdat
	.globl	_ZN7rocprim17ROCPRIM_400000_NS6detail17trampoline_kernelINS0_14default_configENS1_25transform_config_selectorIlLb0EEEZNS1_14transform_implILb0ES3_S5_NS0_18transform_iteratorINS0_17counting_iteratorImlEEZNS1_24adjacent_difference_implIS3_Lb1ELb0EPlSB_ZN2at6native12_GLOBAL__N_124unique_dim_cuda_templateIjEESt5tupleIJNSC_6TensorESH_SH_EERKSH_lbbbEUlllE1_EE10hipError_tPvRmT2_T3_mT4_P12ihipStream_tbEUlmE_lEESB_NS0_8identityIvEEEESM_SP_SQ_mSR_ST_bEUlT_E_NS1_11comp_targetILNS1_3genE9ELNS1_11target_archE1100ELNS1_3gpuE3ELNS1_3repE0EEENS1_30default_config_static_selectorELNS0_4arch9wavefront6targetE1EEEvT1_ ; -- Begin function _ZN7rocprim17ROCPRIM_400000_NS6detail17trampoline_kernelINS0_14default_configENS1_25transform_config_selectorIlLb0EEEZNS1_14transform_implILb0ES3_S5_NS0_18transform_iteratorINS0_17counting_iteratorImlEEZNS1_24adjacent_difference_implIS3_Lb1ELb0EPlSB_ZN2at6native12_GLOBAL__N_124unique_dim_cuda_templateIjEESt5tupleIJNSC_6TensorESH_SH_EERKSH_lbbbEUlllE1_EE10hipError_tPvRmT2_T3_mT4_P12ihipStream_tbEUlmE_lEESB_NS0_8identityIvEEEESM_SP_SQ_mSR_ST_bEUlT_E_NS1_11comp_targetILNS1_3genE9ELNS1_11target_archE1100ELNS1_3gpuE3ELNS1_3repE0EEENS1_30default_config_static_selectorELNS0_4arch9wavefront6targetE1EEEvT1_
	.p2align	8
	.type	_ZN7rocprim17ROCPRIM_400000_NS6detail17trampoline_kernelINS0_14default_configENS1_25transform_config_selectorIlLb0EEEZNS1_14transform_implILb0ES3_S5_NS0_18transform_iteratorINS0_17counting_iteratorImlEEZNS1_24adjacent_difference_implIS3_Lb1ELb0EPlSB_ZN2at6native12_GLOBAL__N_124unique_dim_cuda_templateIjEESt5tupleIJNSC_6TensorESH_SH_EERKSH_lbbbEUlllE1_EE10hipError_tPvRmT2_T3_mT4_P12ihipStream_tbEUlmE_lEESB_NS0_8identityIvEEEESM_SP_SQ_mSR_ST_bEUlT_E_NS1_11comp_targetILNS1_3genE9ELNS1_11target_archE1100ELNS1_3gpuE3ELNS1_3repE0EEENS1_30default_config_static_selectorELNS0_4arch9wavefront6targetE1EEEvT1_,@function
_ZN7rocprim17ROCPRIM_400000_NS6detail17trampoline_kernelINS0_14default_configENS1_25transform_config_selectorIlLb0EEEZNS1_14transform_implILb0ES3_S5_NS0_18transform_iteratorINS0_17counting_iteratorImlEEZNS1_24adjacent_difference_implIS3_Lb1ELb0EPlSB_ZN2at6native12_GLOBAL__N_124unique_dim_cuda_templateIjEESt5tupleIJNSC_6TensorESH_SH_EERKSH_lbbbEUlllE1_EE10hipError_tPvRmT2_T3_mT4_P12ihipStream_tbEUlmE_lEESB_NS0_8identityIvEEEESM_SP_SQ_mSR_ST_bEUlT_E_NS1_11comp_targetILNS1_3genE9ELNS1_11target_archE1100ELNS1_3gpuE3ELNS1_3repE0EEENS1_30default_config_static_selectorELNS0_4arch9wavefront6targetE1EEEvT1_: ; @_ZN7rocprim17ROCPRIM_400000_NS6detail17trampoline_kernelINS0_14default_configENS1_25transform_config_selectorIlLb0EEEZNS1_14transform_implILb0ES3_S5_NS0_18transform_iteratorINS0_17counting_iteratorImlEEZNS1_24adjacent_difference_implIS3_Lb1ELb0EPlSB_ZN2at6native12_GLOBAL__N_124unique_dim_cuda_templateIjEESt5tupleIJNSC_6TensorESH_SH_EERKSH_lbbbEUlllE1_EE10hipError_tPvRmT2_T3_mT4_P12ihipStream_tbEUlmE_lEESB_NS0_8identityIvEEEESM_SP_SQ_mSR_ST_bEUlT_E_NS1_11comp_targetILNS1_3genE9ELNS1_11target_archE1100ELNS1_3gpuE3ELNS1_3repE0EEENS1_30default_config_static_selectorELNS0_4arch9wavefront6targetE1EEEvT1_
; %bb.0:
	.section	.rodata,"a",@progbits
	.p2align	6, 0x0
	.amdhsa_kernel _ZN7rocprim17ROCPRIM_400000_NS6detail17trampoline_kernelINS0_14default_configENS1_25transform_config_selectorIlLb0EEEZNS1_14transform_implILb0ES3_S5_NS0_18transform_iteratorINS0_17counting_iteratorImlEEZNS1_24adjacent_difference_implIS3_Lb1ELb0EPlSB_ZN2at6native12_GLOBAL__N_124unique_dim_cuda_templateIjEESt5tupleIJNSC_6TensorESH_SH_EERKSH_lbbbEUlllE1_EE10hipError_tPvRmT2_T3_mT4_P12ihipStream_tbEUlmE_lEESB_NS0_8identityIvEEEESM_SP_SQ_mSR_ST_bEUlT_E_NS1_11comp_targetILNS1_3genE9ELNS1_11target_archE1100ELNS1_3gpuE3ELNS1_3repE0EEENS1_30default_config_static_selectorELNS0_4arch9wavefront6targetE1EEEvT1_
		.amdhsa_group_segment_fixed_size 0
		.amdhsa_private_segment_fixed_size 0
		.amdhsa_kernarg_size 56
		.amdhsa_user_sgpr_count 2
		.amdhsa_user_sgpr_dispatch_ptr 0
		.amdhsa_user_sgpr_queue_ptr 0
		.amdhsa_user_sgpr_kernarg_segment_ptr 1
		.amdhsa_user_sgpr_dispatch_id 0
		.amdhsa_user_sgpr_kernarg_preload_length 0
		.amdhsa_user_sgpr_kernarg_preload_offset 0
		.amdhsa_user_sgpr_private_segment_size 0
		.amdhsa_uses_dynamic_stack 0
		.amdhsa_enable_private_segment 0
		.amdhsa_system_sgpr_workgroup_id_x 1
		.amdhsa_system_sgpr_workgroup_id_y 0
		.amdhsa_system_sgpr_workgroup_id_z 0
		.amdhsa_system_sgpr_workgroup_info 0
		.amdhsa_system_vgpr_workitem_id 0
		.amdhsa_next_free_vgpr 1
		.amdhsa_next_free_sgpr 0
		.amdhsa_accum_offset 4
		.amdhsa_reserve_vcc 0
		.amdhsa_float_round_mode_32 0
		.amdhsa_float_round_mode_16_64 0
		.amdhsa_float_denorm_mode_32 3
		.amdhsa_float_denorm_mode_16_64 3
		.amdhsa_dx10_clamp 1
		.amdhsa_ieee_mode 1
		.amdhsa_fp16_overflow 0
		.amdhsa_tg_split 0
		.amdhsa_exception_fp_ieee_invalid_op 0
		.amdhsa_exception_fp_denorm_src 0
		.amdhsa_exception_fp_ieee_div_zero 0
		.amdhsa_exception_fp_ieee_overflow 0
		.amdhsa_exception_fp_ieee_underflow 0
		.amdhsa_exception_fp_ieee_inexact 0
		.amdhsa_exception_int_div_zero 0
	.end_amdhsa_kernel
	.section	.text._ZN7rocprim17ROCPRIM_400000_NS6detail17trampoline_kernelINS0_14default_configENS1_25transform_config_selectorIlLb0EEEZNS1_14transform_implILb0ES3_S5_NS0_18transform_iteratorINS0_17counting_iteratorImlEEZNS1_24adjacent_difference_implIS3_Lb1ELb0EPlSB_ZN2at6native12_GLOBAL__N_124unique_dim_cuda_templateIjEESt5tupleIJNSC_6TensorESH_SH_EERKSH_lbbbEUlllE1_EE10hipError_tPvRmT2_T3_mT4_P12ihipStream_tbEUlmE_lEESB_NS0_8identityIvEEEESM_SP_SQ_mSR_ST_bEUlT_E_NS1_11comp_targetILNS1_3genE9ELNS1_11target_archE1100ELNS1_3gpuE3ELNS1_3repE0EEENS1_30default_config_static_selectorELNS0_4arch9wavefront6targetE1EEEvT1_,"axG",@progbits,_ZN7rocprim17ROCPRIM_400000_NS6detail17trampoline_kernelINS0_14default_configENS1_25transform_config_selectorIlLb0EEEZNS1_14transform_implILb0ES3_S5_NS0_18transform_iteratorINS0_17counting_iteratorImlEEZNS1_24adjacent_difference_implIS3_Lb1ELb0EPlSB_ZN2at6native12_GLOBAL__N_124unique_dim_cuda_templateIjEESt5tupleIJNSC_6TensorESH_SH_EERKSH_lbbbEUlllE1_EE10hipError_tPvRmT2_T3_mT4_P12ihipStream_tbEUlmE_lEESB_NS0_8identityIvEEEESM_SP_SQ_mSR_ST_bEUlT_E_NS1_11comp_targetILNS1_3genE9ELNS1_11target_archE1100ELNS1_3gpuE3ELNS1_3repE0EEENS1_30default_config_static_selectorELNS0_4arch9wavefront6targetE1EEEvT1_,comdat
.Lfunc_end1541:
	.size	_ZN7rocprim17ROCPRIM_400000_NS6detail17trampoline_kernelINS0_14default_configENS1_25transform_config_selectorIlLb0EEEZNS1_14transform_implILb0ES3_S5_NS0_18transform_iteratorINS0_17counting_iteratorImlEEZNS1_24adjacent_difference_implIS3_Lb1ELb0EPlSB_ZN2at6native12_GLOBAL__N_124unique_dim_cuda_templateIjEESt5tupleIJNSC_6TensorESH_SH_EERKSH_lbbbEUlllE1_EE10hipError_tPvRmT2_T3_mT4_P12ihipStream_tbEUlmE_lEESB_NS0_8identityIvEEEESM_SP_SQ_mSR_ST_bEUlT_E_NS1_11comp_targetILNS1_3genE9ELNS1_11target_archE1100ELNS1_3gpuE3ELNS1_3repE0EEENS1_30default_config_static_selectorELNS0_4arch9wavefront6targetE1EEEvT1_, .Lfunc_end1541-_ZN7rocprim17ROCPRIM_400000_NS6detail17trampoline_kernelINS0_14default_configENS1_25transform_config_selectorIlLb0EEEZNS1_14transform_implILb0ES3_S5_NS0_18transform_iteratorINS0_17counting_iteratorImlEEZNS1_24adjacent_difference_implIS3_Lb1ELb0EPlSB_ZN2at6native12_GLOBAL__N_124unique_dim_cuda_templateIjEESt5tupleIJNSC_6TensorESH_SH_EERKSH_lbbbEUlllE1_EE10hipError_tPvRmT2_T3_mT4_P12ihipStream_tbEUlmE_lEESB_NS0_8identityIvEEEESM_SP_SQ_mSR_ST_bEUlT_E_NS1_11comp_targetILNS1_3genE9ELNS1_11target_archE1100ELNS1_3gpuE3ELNS1_3repE0EEENS1_30default_config_static_selectorELNS0_4arch9wavefront6targetE1EEEvT1_
                                        ; -- End function
	.section	.AMDGPU.csdata,"",@progbits
; Kernel info:
; codeLenInByte = 0
; NumSgprs: 6
; NumVgprs: 0
; NumAgprs: 0
; TotalNumVgprs: 0
; ScratchSize: 0
; MemoryBound: 0
; FloatMode: 240
; IeeeMode: 1
; LDSByteSize: 0 bytes/workgroup (compile time only)
; SGPRBlocks: 0
; VGPRBlocks: 0
; NumSGPRsForWavesPerEU: 6
; NumVGPRsForWavesPerEU: 1
; AccumOffset: 4
; Occupancy: 8
; WaveLimiterHint : 0
; COMPUTE_PGM_RSRC2:SCRATCH_EN: 0
; COMPUTE_PGM_RSRC2:USER_SGPR: 2
; COMPUTE_PGM_RSRC2:TRAP_HANDLER: 0
; COMPUTE_PGM_RSRC2:TGID_X_EN: 1
; COMPUTE_PGM_RSRC2:TGID_Y_EN: 0
; COMPUTE_PGM_RSRC2:TGID_Z_EN: 0
; COMPUTE_PGM_RSRC2:TIDIG_COMP_CNT: 0
; COMPUTE_PGM_RSRC3_GFX90A:ACCUM_OFFSET: 0
; COMPUTE_PGM_RSRC3_GFX90A:TG_SPLIT: 0
	.section	.text._ZN7rocprim17ROCPRIM_400000_NS6detail17trampoline_kernelINS0_14default_configENS1_25transform_config_selectorIlLb0EEEZNS1_14transform_implILb0ES3_S5_NS0_18transform_iteratorINS0_17counting_iteratorImlEEZNS1_24adjacent_difference_implIS3_Lb1ELb0EPlSB_ZN2at6native12_GLOBAL__N_124unique_dim_cuda_templateIjEESt5tupleIJNSC_6TensorESH_SH_EERKSH_lbbbEUlllE1_EE10hipError_tPvRmT2_T3_mT4_P12ihipStream_tbEUlmE_lEESB_NS0_8identityIvEEEESM_SP_SQ_mSR_ST_bEUlT_E_NS1_11comp_targetILNS1_3genE8ELNS1_11target_archE1030ELNS1_3gpuE2ELNS1_3repE0EEENS1_30default_config_static_selectorELNS0_4arch9wavefront6targetE1EEEvT1_,"axG",@progbits,_ZN7rocprim17ROCPRIM_400000_NS6detail17trampoline_kernelINS0_14default_configENS1_25transform_config_selectorIlLb0EEEZNS1_14transform_implILb0ES3_S5_NS0_18transform_iteratorINS0_17counting_iteratorImlEEZNS1_24adjacent_difference_implIS3_Lb1ELb0EPlSB_ZN2at6native12_GLOBAL__N_124unique_dim_cuda_templateIjEESt5tupleIJNSC_6TensorESH_SH_EERKSH_lbbbEUlllE1_EE10hipError_tPvRmT2_T3_mT4_P12ihipStream_tbEUlmE_lEESB_NS0_8identityIvEEEESM_SP_SQ_mSR_ST_bEUlT_E_NS1_11comp_targetILNS1_3genE8ELNS1_11target_archE1030ELNS1_3gpuE2ELNS1_3repE0EEENS1_30default_config_static_selectorELNS0_4arch9wavefront6targetE1EEEvT1_,comdat
	.globl	_ZN7rocprim17ROCPRIM_400000_NS6detail17trampoline_kernelINS0_14default_configENS1_25transform_config_selectorIlLb0EEEZNS1_14transform_implILb0ES3_S5_NS0_18transform_iteratorINS0_17counting_iteratorImlEEZNS1_24adjacent_difference_implIS3_Lb1ELb0EPlSB_ZN2at6native12_GLOBAL__N_124unique_dim_cuda_templateIjEESt5tupleIJNSC_6TensorESH_SH_EERKSH_lbbbEUlllE1_EE10hipError_tPvRmT2_T3_mT4_P12ihipStream_tbEUlmE_lEESB_NS0_8identityIvEEEESM_SP_SQ_mSR_ST_bEUlT_E_NS1_11comp_targetILNS1_3genE8ELNS1_11target_archE1030ELNS1_3gpuE2ELNS1_3repE0EEENS1_30default_config_static_selectorELNS0_4arch9wavefront6targetE1EEEvT1_ ; -- Begin function _ZN7rocprim17ROCPRIM_400000_NS6detail17trampoline_kernelINS0_14default_configENS1_25transform_config_selectorIlLb0EEEZNS1_14transform_implILb0ES3_S5_NS0_18transform_iteratorINS0_17counting_iteratorImlEEZNS1_24adjacent_difference_implIS3_Lb1ELb0EPlSB_ZN2at6native12_GLOBAL__N_124unique_dim_cuda_templateIjEESt5tupleIJNSC_6TensorESH_SH_EERKSH_lbbbEUlllE1_EE10hipError_tPvRmT2_T3_mT4_P12ihipStream_tbEUlmE_lEESB_NS0_8identityIvEEEESM_SP_SQ_mSR_ST_bEUlT_E_NS1_11comp_targetILNS1_3genE8ELNS1_11target_archE1030ELNS1_3gpuE2ELNS1_3repE0EEENS1_30default_config_static_selectorELNS0_4arch9wavefront6targetE1EEEvT1_
	.p2align	8
	.type	_ZN7rocprim17ROCPRIM_400000_NS6detail17trampoline_kernelINS0_14default_configENS1_25transform_config_selectorIlLb0EEEZNS1_14transform_implILb0ES3_S5_NS0_18transform_iteratorINS0_17counting_iteratorImlEEZNS1_24adjacent_difference_implIS3_Lb1ELb0EPlSB_ZN2at6native12_GLOBAL__N_124unique_dim_cuda_templateIjEESt5tupleIJNSC_6TensorESH_SH_EERKSH_lbbbEUlllE1_EE10hipError_tPvRmT2_T3_mT4_P12ihipStream_tbEUlmE_lEESB_NS0_8identityIvEEEESM_SP_SQ_mSR_ST_bEUlT_E_NS1_11comp_targetILNS1_3genE8ELNS1_11target_archE1030ELNS1_3gpuE2ELNS1_3repE0EEENS1_30default_config_static_selectorELNS0_4arch9wavefront6targetE1EEEvT1_,@function
_ZN7rocprim17ROCPRIM_400000_NS6detail17trampoline_kernelINS0_14default_configENS1_25transform_config_selectorIlLb0EEEZNS1_14transform_implILb0ES3_S5_NS0_18transform_iteratorINS0_17counting_iteratorImlEEZNS1_24adjacent_difference_implIS3_Lb1ELb0EPlSB_ZN2at6native12_GLOBAL__N_124unique_dim_cuda_templateIjEESt5tupleIJNSC_6TensorESH_SH_EERKSH_lbbbEUlllE1_EE10hipError_tPvRmT2_T3_mT4_P12ihipStream_tbEUlmE_lEESB_NS0_8identityIvEEEESM_SP_SQ_mSR_ST_bEUlT_E_NS1_11comp_targetILNS1_3genE8ELNS1_11target_archE1030ELNS1_3gpuE2ELNS1_3repE0EEENS1_30default_config_static_selectorELNS0_4arch9wavefront6targetE1EEEvT1_: ; @_ZN7rocprim17ROCPRIM_400000_NS6detail17trampoline_kernelINS0_14default_configENS1_25transform_config_selectorIlLb0EEEZNS1_14transform_implILb0ES3_S5_NS0_18transform_iteratorINS0_17counting_iteratorImlEEZNS1_24adjacent_difference_implIS3_Lb1ELb0EPlSB_ZN2at6native12_GLOBAL__N_124unique_dim_cuda_templateIjEESt5tupleIJNSC_6TensorESH_SH_EERKSH_lbbbEUlllE1_EE10hipError_tPvRmT2_T3_mT4_P12ihipStream_tbEUlmE_lEESB_NS0_8identityIvEEEESM_SP_SQ_mSR_ST_bEUlT_E_NS1_11comp_targetILNS1_3genE8ELNS1_11target_archE1030ELNS1_3gpuE2ELNS1_3repE0EEENS1_30default_config_static_selectorELNS0_4arch9wavefront6targetE1EEEvT1_
; %bb.0:
	.section	.rodata,"a",@progbits
	.p2align	6, 0x0
	.amdhsa_kernel _ZN7rocprim17ROCPRIM_400000_NS6detail17trampoline_kernelINS0_14default_configENS1_25transform_config_selectorIlLb0EEEZNS1_14transform_implILb0ES3_S5_NS0_18transform_iteratorINS0_17counting_iteratorImlEEZNS1_24adjacent_difference_implIS3_Lb1ELb0EPlSB_ZN2at6native12_GLOBAL__N_124unique_dim_cuda_templateIjEESt5tupleIJNSC_6TensorESH_SH_EERKSH_lbbbEUlllE1_EE10hipError_tPvRmT2_T3_mT4_P12ihipStream_tbEUlmE_lEESB_NS0_8identityIvEEEESM_SP_SQ_mSR_ST_bEUlT_E_NS1_11comp_targetILNS1_3genE8ELNS1_11target_archE1030ELNS1_3gpuE2ELNS1_3repE0EEENS1_30default_config_static_selectorELNS0_4arch9wavefront6targetE1EEEvT1_
		.amdhsa_group_segment_fixed_size 0
		.amdhsa_private_segment_fixed_size 0
		.amdhsa_kernarg_size 56
		.amdhsa_user_sgpr_count 2
		.amdhsa_user_sgpr_dispatch_ptr 0
		.amdhsa_user_sgpr_queue_ptr 0
		.amdhsa_user_sgpr_kernarg_segment_ptr 1
		.amdhsa_user_sgpr_dispatch_id 0
		.amdhsa_user_sgpr_kernarg_preload_length 0
		.amdhsa_user_sgpr_kernarg_preload_offset 0
		.amdhsa_user_sgpr_private_segment_size 0
		.amdhsa_uses_dynamic_stack 0
		.amdhsa_enable_private_segment 0
		.amdhsa_system_sgpr_workgroup_id_x 1
		.amdhsa_system_sgpr_workgroup_id_y 0
		.amdhsa_system_sgpr_workgroup_id_z 0
		.amdhsa_system_sgpr_workgroup_info 0
		.amdhsa_system_vgpr_workitem_id 0
		.amdhsa_next_free_vgpr 1
		.amdhsa_next_free_sgpr 0
		.amdhsa_accum_offset 4
		.amdhsa_reserve_vcc 0
		.amdhsa_float_round_mode_32 0
		.amdhsa_float_round_mode_16_64 0
		.amdhsa_float_denorm_mode_32 3
		.amdhsa_float_denorm_mode_16_64 3
		.amdhsa_dx10_clamp 1
		.amdhsa_ieee_mode 1
		.amdhsa_fp16_overflow 0
		.amdhsa_tg_split 0
		.amdhsa_exception_fp_ieee_invalid_op 0
		.amdhsa_exception_fp_denorm_src 0
		.amdhsa_exception_fp_ieee_div_zero 0
		.amdhsa_exception_fp_ieee_overflow 0
		.amdhsa_exception_fp_ieee_underflow 0
		.amdhsa_exception_fp_ieee_inexact 0
		.amdhsa_exception_int_div_zero 0
	.end_amdhsa_kernel
	.section	.text._ZN7rocprim17ROCPRIM_400000_NS6detail17trampoline_kernelINS0_14default_configENS1_25transform_config_selectorIlLb0EEEZNS1_14transform_implILb0ES3_S5_NS0_18transform_iteratorINS0_17counting_iteratorImlEEZNS1_24adjacent_difference_implIS3_Lb1ELb0EPlSB_ZN2at6native12_GLOBAL__N_124unique_dim_cuda_templateIjEESt5tupleIJNSC_6TensorESH_SH_EERKSH_lbbbEUlllE1_EE10hipError_tPvRmT2_T3_mT4_P12ihipStream_tbEUlmE_lEESB_NS0_8identityIvEEEESM_SP_SQ_mSR_ST_bEUlT_E_NS1_11comp_targetILNS1_3genE8ELNS1_11target_archE1030ELNS1_3gpuE2ELNS1_3repE0EEENS1_30default_config_static_selectorELNS0_4arch9wavefront6targetE1EEEvT1_,"axG",@progbits,_ZN7rocprim17ROCPRIM_400000_NS6detail17trampoline_kernelINS0_14default_configENS1_25transform_config_selectorIlLb0EEEZNS1_14transform_implILb0ES3_S5_NS0_18transform_iteratorINS0_17counting_iteratorImlEEZNS1_24adjacent_difference_implIS3_Lb1ELb0EPlSB_ZN2at6native12_GLOBAL__N_124unique_dim_cuda_templateIjEESt5tupleIJNSC_6TensorESH_SH_EERKSH_lbbbEUlllE1_EE10hipError_tPvRmT2_T3_mT4_P12ihipStream_tbEUlmE_lEESB_NS0_8identityIvEEEESM_SP_SQ_mSR_ST_bEUlT_E_NS1_11comp_targetILNS1_3genE8ELNS1_11target_archE1030ELNS1_3gpuE2ELNS1_3repE0EEENS1_30default_config_static_selectorELNS0_4arch9wavefront6targetE1EEEvT1_,comdat
.Lfunc_end1542:
	.size	_ZN7rocprim17ROCPRIM_400000_NS6detail17trampoline_kernelINS0_14default_configENS1_25transform_config_selectorIlLb0EEEZNS1_14transform_implILb0ES3_S5_NS0_18transform_iteratorINS0_17counting_iteratorImlEEZNS1_24adjacent_difference_implIS3_Lb1ELb0EPlSB_ZN2at6native12_GLOBAL__N_124unique_dim_cuda_templateIjEESt5tupleIJNSC_6TensorESH_SH_EERKSH_lbbbEUlllE1_EE10hipError_tPvRmT2_T3_mT4_P12ihipStream_tbEUlmE_lEESB_NS0_8identityIvEEEESM_SP_SQ_mSR_ST_bEUlT_E_NS1_11comp_targetILNS1_3genE8ELNS1_11target_archE1030ELNS1_3gpuE2ELNS1_3repE0EEENS1_30default_config_static_selectorELNS0_4arch9wavefront6targetE1EEEvT1_, .Lfunc_end1542-_ZN7rocprim17ROCPRIM_400000_NS6detail17trampoline_kernelINS0_14default_configENS1_25transform_config_selectorIlLb0EEEZNS1_14transform_implILb0ES3_S5_NS0_18transform_iteratorINS0_17counting_iteratorImlEEZNS1_24adjacent_difference_implIS3_Lb1ELb0EPlSB_ZN2at6native12_GLOBAL__N_124unique_dim_cuda_templateIjEESt5tupleIJNSC_6TensorESH_SH_EERKSH_lbbbEUlllE1_EE10hipError_tPvRmT2_T3_mT4_P12ihipStream_tbEUlmE_lEESB_NS0_8identityIvEEEESM_SP_SQ_mSR_ST_bEUlT_E_NS1_11comp_targetILNS1_3genE8ELNS1_11target_archE1030ELNS1_3gpuE2ELNS1_3repE0EEENS1_30default_config_static_selectorELNS0_4arch9wavefront6targetE1EEEvT1_
                                        ; -- End function
	.section	.AMDGPU.csdata,"",@progbits
; Kernel info:
; codeLenInByte = 0
; NumSgprs: 6
; NumVgprs: 0
; NumAgprs: 0
; TotalNumVgprs: 0
; ScratchSize: 0
; MemoryBound: 0
; FloatMode: 240
; IeeeMode: 1
; LDSByteSize: 0 bytes/workgroup (compile time only)
; SGPRBlocks: 0
; VGPRBlocks: 0
; NumSGPRsForWavesPerEU: 6
; NumVGPRsForWavesPerEU: 1
; AccumOffset: 4
; Occupancy: 8
; WaveLimiterHint : 0
; COMPUTE_PGM_RSRC2:SCRATCH_EN: 0
; COMPUTE_PGM_RSRC2:USER_SGPR: 2
; COMPUTE_PGM_RSRC2:TRAP_HANDLER: 0
; COMPUTE_PGM_RSRC2:TGID_X_EN: 1
; COMPUTE_PGM_RSRC2:TGID_Y_EN: 0
; COMPUTE_PGM_RSRC2:TGID_Z_EN: 0
; COMPUTE_PGM_RSRC2:TIDIG_COMP_CNT: 0
; COMPUTE_PGM_RSRC3_GFX90A:ACCUM_OFFSET: 0
; COMPUTE_PGM_RSRC3_GFX90A:TG_SPLIT: 0
	.section	.text._ZN7rocprim17ROCPRIM_400000_NS6detail17trampoline_kernelINS0_14default_configENS1_35adjacent_difference_config_selectorILb1ElEEZNS1_24adjacent_difference_implIS3_Lb1ELb0EPlS7_ZN2at6native12_GLOBAL__N_124unique_dim_cuda_templateIjEESt5tupleIJNS8_6TensorESD_SD_EERKSD_lbbbEUlllE1_EE10hipError_tPvRmT2_T3_mT4_P12ihipStream_tbEUlT_E_NS1_11comp_targetILNS1_3genE0ELNS1_11target_archE4294967295ELNS1_3gpuE0ELNS1_3repE0EEENS1_30default_config_static_selectorELNS0_4arch9wavefront6targetE1EEEvT1_,"axG",@progbits,_ZN7rocprim17ROCPRIM_400000_NS6detail17trampoline_kernelINS0_14default_configENS1_35adjacent_difference_config_selectorILb1ElEEZNS1_24adjacent_difference_implIS3_Lb1ELb0EPlS7_ZN2at6native12_GLOBAL__N_124unique_dim_cuda_templateIjEESt5tupleIJNS8_6TensorESD_SD_EERKSD_lbbbEUlllE1_EE10hipError_tPvRmT2_T3_mT4_P12ihipStream_tbEUlT_E_NS1_11comp_targetILNS1_3genE0ELNS1_11target_archE4294967295ELNS1_3gpuE0ELNS1_3repE0EEENS1_30default_config_static_selectorELNS0_4arch9wavefront6targetE1EEEvT1_,comdat
	.globl	_ZN7rocprim17ROCPRIM_400000_NS6detail17trampoline_kernelINS0_14default_configENS1_35adjacent_difference_config_selectorILb1ElEEZNS1_24adjacent_difference_implIS3_Lb1ELb0EPlS7_ZN2at6native12_GLOBAL__N_124unique_dim_cuda_templateIjEESt5tupleIJNS8_6TensorESD_SD_EERKSD_lbbbEUlllE1_EE10hipError_tPvRmT2_T3_mT4_P12ihipStream_tbEUlT_E_NS1_11comp_targetILNS1_3genE0ELNS1_11target_archE4294967295ELNS1_3gpuE0ELNS1_3repE0EEENS1_30default_config_static_selectorELNS0_4arch9wavefront6targetE1EEEvT1_ ; -- Begin function _ZN7rocprim17ROCPRIM_400000_NS6detail17trampoline_kernelINS0_14default_configENS1_35adjacent_difference_config_selectorILb1ElEEZNS1_24adjacent_difference_implIS3_Lb1ELb0EPlS7_ZN2at6native12_GLOBAL__N_124unique_dim_cuda_templateIjEESt5tupleIJNS8_6TensorESD_SD_EERKSD_lbbbEUlllE1_EE10hipError_tPvRmT2_T3_mT4_P12ihipStream_tbEUlT_E_NS1_11comp_targetILNS1_3genE0ELNS1_11target_archE4294967295ELNS1_3gpuE0ELNS1_3repE0EEENS1_30default_config_static_selectorELNS0_4arch9wavefront6targetE1EEEvT1_
	.p2align	8
	.type	_ZN7rocprim17ROCPRIM_400000_NS6detail17trampoline_kernelINS0_14default_configENS1_35adjacent_difference_config_selectorILb1ElEEZNS1_24adjacent_difference_implIS3_Lb1ELb0EPlS7_ZN2at6native12_GLOBAL__N_124unique_dim_cuda_templateIjEESt5tupleIJNS8_6TensorESD_SD_EERKSD_lbbbEUlllE1_EE10hipError_tPvRmT2_T3_mT4_P12ihipStream_tbEUlT_E_NS1_11comp_targetILNS1_3genE0ELNS1_11target_archE4294967295ELNS1_3gpuE0ELNS1_3repE0EEENS1_30default_config_static_selectorELNS0_4arch9wavefront6targetE1EEEvT1_,@function
_ZN7rocprim17ROCPRIM_400000_NS6detail17trampoline_kernelINS0_14default_configENS1_35adjacent_difference_config_selectorILb1ElEEZNS1_24adjacent_difference_implIS3_Lb1ELb0EPlS7_ZN2at6native12_GLOBAL__N_124unique_dim_cuda_templateIjEESt5tupleIJNS8_6TensorESD_SD_EERKSD_lbbbEUlllE1_EE10hipError_tPvRmT2_T3_mT4_P12ihipStream_tbEUlT_E_NS1_11comp_targetILNS1_3genE0ELNS1_11target_archE4294967295ELNS1_3gpuE0ELNS1_3repE0EEENS1_30default_config_static_selectorELNS0_4arch9wavefront6targetE1EEEvT1_: ; @_ZN7rocprim17ROCPRIM_400000_NS6detail17trampoline_kernelINS0_14default_configENS1_35adjacent_difference_config_selectorILb1ElEEZNS1_24adjacent_difference_implIS3_Lb1ELb0EPlS7_ZN2at6native12_GLOBAL__N_124unique_dim_cuda_templateIjEESt5tupleIJNS8_6TensorESD_SD_EERKSD_lbbbEUlllE1_EE10hipError_tPvRmT2_T3_mT4_P12ihipStream_tbEUlT_E_NS1_11comp_targetILNS1_3genE0ELNS1_11target_archE4294967295ELNS1_3gpuE0ELNS1_3repE0EEENS1_30default_config_static_selectorELNS0_4arch9wavefront6targetE1EEEvT1_
; %bb.0:
	.section	.rodata,"a",@progbits
	.p2align	6, 0x0
	.amdhsa_kernel _ZN7rocprim17ROCPRIM_400000_NS6detail17trampoline_kernelINS0_14default_configENS1_35adjacent_difference_config_selectorILb1ElEEZNS1_24adjacent_difference_implIS3_Lb1ELb0EPlS7_ZN2at6native12_GLOBAL__N_124unique_dim_cuda_templateIjEESt5tupleIJNS8_6TensorESD_SD_EERKSD_lbbbEUlllE1_EE10hipError_tPvRmT2_T3_mT4_P12ihipStream_tbEUlT_E_NS1_11comp_targetILNS1_3genE0ELNS1_11target_archE4294967295ELNS1_3gpuE0ELNS1_3repE0EEENS1_30default_config_static_selectorELNS0_4arch9wavefront6targetE1EEEvT1_
		.amdhsa_group_segment_fixed_size 0
		.amdhsa_private_segment_fixed_size 0
		.amdhsa_kernarg_size 64
		.amdhsa_user_sgpr_count 2
		.amdhsa_user_sgpr_dispatch_ptr 0
		.amdhsa_user_sgpr_queue_ptr 0
		.amdhsa_user_sgpr_kernarg_segment_ptr 1
		.amdhsa_user_sgpr_dispatch_id 0
		.amdhsa_user_sgpr_kernarg_preload_length 0
		.amdhsa_user_sgpr_kernarg_preload_offset 0
		.amdhsa_user_sgpr_private_segment_size 0
		.amdhsa_uses_dynamic_stack 0
		.amdhsa_enable_private_segment 0
		.amdhsa_system_sgpr_workgroup_id_x 1
		.amdhsa_system_sgpr_workgroup_id_y 0
		.amdhsa_system_sgpr_workgroup_id_z 0
		.amdhsa_system_sgpr_workgroup_info 0
		.amdhsa_system_vgpr_workitem_id 0
		.amdhsa_next_free_vgpr 1
		.amdhsa_next_free_sgpr 0
		.amdhsa_accum_offset 4
		.amdhsa_reserve_vcc 0
		.amdhsa_float_round_mode_32 0
		.amdhsa_float_round_mode_16_64 0
		.amdhsa_float_denorm_mode_32 3
		.amdhsa_float_denorm_mode_16_64 3
		.amdhsa_dx10_clamp 1
		.amdhsa_ieee_mode 1
		.amdhsa_fp16_overflow 0
		.amdhsa_tg_split 0
		.amdhsa_exception_fp_ieee_invalid_op 0
		.amdhsa_exception_fp_denorm_src 0
		.amdhsa_exception_fp_ieee_div_zero 0
		.amdhsa_exception_fp_ieee_overflow 0
		.amdhsa_exception_fp_ieee_underflow 0
		.amdhsa_exception_fp_ieee_inexact 0
		.amdhsa_exception_int_div_zero 0
	.end_amdhsa_kernel
	.section	.text._ZN7rocprim17ROCPRIM_400000_NS6detail17trampoline_kernelINS0_14default_configENS1_35adjacent_difference_config_selectorILb1ElEEZNS1_24adjacent_difference_implIS3_Lb1ELb0EPlS7_ZN2at6native12_GLOBAL__N_124unique_dim_cuda_templateIjEESt5tupleIJNS8_6TensorESD_SD_EERKSD_lbbbEUlllE1_EE10hipError_tPvRmT2_T3_mT4_P12ihipStream_tbEUlT_E_NS1_11comp_targetILNS1_3genE0ELNS1_11target_archE4294967295ELNS1_3gpuE0ELNS1_3repE0EEENS1_30default_config_static_selectorELNS0_4arch9wavefront6targetE1EEEvT1_,"axG",@progbits,_ZN7rocprim17ROCPRIM_400000_NS6detail17trampoline_kernelINS0_14default_configENS1_35adjacent_difference_config_selectorILb1ElEEZNS1_24adjacent_difference_implIS3_Lb1ELb0EPlS7_ZN2at6native12_GLOBAL__N_124unique_dim_cuda_templateIjEESt5tupleIJNS8_6TensorESD_SD_EERKSD_lbbbEUlllE1_EE10hipError_tPvRmT2_T3_mT4_P12ihipStream_tbEUlT_E_NS1_11comp_targetILNS1_3genE0ELNS1_11target_archE4294967295ELNS1_3gpuE0ELNS1_3repE0EEENS1_30default_config_static_selectorELNS0_4arch9wavefront6targetE1EEEvT1_,comdat
.Lfunc_end1543:
	.size	_ZN7rocprim17ROCPRIM_400000_NS6detail17trampoline_kernelINS0_14default_configENS1_35adjacent_difference_config_selectorILb1ElEEZNS1_24adjacent_difference_implIS3_Lb1ELb0EPlS7_ZN2at6native12_GLOBAL__N_124unique_dim_cuda_templateIjEESt5tupleIJNS8_6TensorESD_SD_EERKSD_lbbbEUlllE1_EE10hipError_tPvRmT2_T3_mT4_P12ihipStream_tbEUlT_E_NS1_11comp_targetILNS1_3genE0ELNS1_11target_archE4294967295ELNS1_3gpuE0ELNS1_3repE0EEENS1_30default_config_static_selectorELNS0_4arch9wavefront6targetE1EEEvT1_, .Lfunc_end1543-_ZN7rocprim17ROCPRIM_400000_NS6detail17trampoline_kernelINS0_14default_configENS1_35adjacent_difference_config_selectorILb1ElEEZNS1_24adjacent_difference_implIS3_Lb1ELb0EPlS7_ZN2at6native12_GLOBAL__N_124unique_dim_cuda_templateIjEESt5tupleIJNS8_6TensorESD_SD_EERKSD_lbbbEUlllE1_EE10hipError_tPvRmT2_T3_mT4_P12ihipStream_tbEUlT_E_NS1_11comp_targetILNS1_3genE0ELNS1_11target_archE4294967295ELNS1_3gpuE0ELNS1_3repE0EEENS1_30default_config_static_selectorELNS0_4arch9wavefront6targetE1EEEvT1_
                                        ; -- End function
	.section	.AMDGPU.csdata,"",@progbits
; Kernel info:
; codeLenInByte = 0
; NumSgprs: 6
; NumVgprs: 0
; NumAgprs: 0
; TotalNumVgprs: 0
; ScratchSize: 0
; MemoryBound: 0
; FloatMode: 240
; IeeeMode: 1
; LDSByteSize: 0 bytes/workgroup (compile time only)
; SGPRBlocks: 0
; VGPRBlocks: 0
; NumSGPRsForWavesPerEU: 6
; NumVGPRsForWavesPerEU: 1
; AccumOffset: 4
; Occupancy: 8
; WaveLimiterHint : 0
; COMPUTE_PGM_RSRC2:SCRATCH_EN: 0
; COMPUTE_PGM_RSRC2:USER_SGPR: 2
; COMPUTE_PGM_RSRC2:TRAP_HANDLER: 0
; COMPUTE_PGM_RSRC2:TGID_X_EN: 1
; COMPUTE_PGM_RSRC2:TGID_Y_EN: 0
; COMPUTE_PGM_RSRC2:TGID_Z_EN: 0
; COMPUTE_PGM_RSRC2:TIDIG_COMP_CNT: 0
; COMPUTE_PGM_RSRC3_GFX90A:ACCUM_OFFSET: 0
; COMPUTE_PGM_RSRC3_GFX90A:TG_SPLIT: 0
	.section	.text._ZN7rocprim17ROCPRIM_400000_NS6detail17trampoline_kernelINS0_14default_configENS1_35adjacent_difference_config_selectorILb1ElEEZNS1_24adjacent_difference_implIS3_Lb1ELb0EPlS7_ZN2at6native12_GLOBAL__N_124unique_dim_cuda_templateIjEESt5tupleIJNS8_6TensorESD_SD_EERKSD_lbbbEUlllE1_EE10hipError_tPvRmT2_T3_mT4_P12ihipStream_tbEUlT_E_NS1_11comp_targetILNS1_3genE10ELNS1_11target_archE1201ELNS1_3gpuE5ELNS1_3repE0EEENS1_30default_config_static_selectorELNS0_4arch9wavefront6targetE1EEEvT1_,"axG",@progbits,_ZN7rocprim17ROCPRIM_400000_NS6detail17trampoline_kernelINS0_14default_configENS1_35adjacent_difference_config_selectorILb1ElEEZNS1_24adjacent_difference_implIS3_Lb1ELb0EPlS7_ZN2at6native12_GLOBAL__N_124unique_dim_cuda_templateIjEESt5tupleIJNS8_6TensorESD_SD_EERKSD_lbbbEUlllE1_EE10hipError_tPvRmT2_T3_mT4_P12ihipStream_tbEUlT_E_NS1_11comp_targetILNS1_3genE10ELNS1_11target_archE1201ELNS1_3gpuE5ELNS1_3repE0EEENS1_30default_config_static_selectorELNS0_4arch9wavefront6targetE1EEEvT1_,comdat
	.globl	_ZN7rocprim17ROCPRIM_400000_NS6detail17trampoline_kernelINS0_14default_configENS1_35adjacent_difference_config_selectorILb1ElEEZNS1_24adjacent_difference_implIS3_Lb1ELb0EPlS7_ZN2at6native12_GLOBAL__N_124unique_dim_cuda_templateIjEESt5tupleIJNS8_6TensorESD_SD_EERKSD_lbbbEUlllE1_EE10hipError_tPvRmT2_T3_mT4_P12ihipStream_tbEUlT_E_NS1_11comp_targetILNS1_3genE10ELNS1_11target_archE1201ELNS1_3gpuE5ELNS1_3repE0EEENS1_30default_config_static_selectorELNS0_4arch9wavefront6targetE1EEEvT1_ ; -- Begin function _ZN7rocprim17ROCPRIM_400000_NS6detail17trampoline_kernelINS0_14default_configENS1_35adjacent_difference_config_selectorILb1ElEEZNS1_24adjacent_difference_implIS3_Lb1ELb0EPlS7_ZN2at6native12_GLOBAL__N_124unique_dim_cuda_templateIjEESt5tupleIJNS8_6TensorESD_SD_EERKSD_lbbbEUlllE1_EE10hipError_tPvRmT2_T3_mT4_P12ihipStream_tbEUlT_E_NS1_11comp_targetILNS1_3genE10ELNS1_11target_archE1201ELNS1_3gpuE5ELNS1_3repE0EEENS1_30default_config_static_selectorELNS0_4arch9wavefront6targetE1EEEvT1_
	.p2align	8
	.type	_ZN7rocprim17ROCPRIM_400000_NS6detail17trampoline_kernelINS0_14default_configENS1_35adjacent_difference_config_selectorILb1ElEEZNS1_24adjacent_difference_implIS3_Lb1ELb0EPlS7_ZN2at6native12_GLOBAL__N_124unique_dim_cuda_templateIjEESt5tupleIJNS8_6TensorESD_SD_EERKSD_lbbbEUlllE1_EE10hipError_tPvRmT2_T3_mT4_P12ihipStream_tbEUlT_E_NS1_11comp_targetILNS1_3genE10ELNS1_11target_archE1201ELNS1_3gpuE5ELNS1_3repE0EEENS1_30default_config_static_selectorELNS0_4arch9wavefront6targetE1EEEvT1_,@function
_ZN7rocprim17ROCPRIM_400000_NS6detail17trampoline_kernelINS0_14default_configENS1_35adjacent_difference_config_selectorILb1ElEEZNS1_24adjacent_difference_implIS3_Lb1ELb0EPlS7_ZN2at6native12_GLOBAL__N_124unique_dim_cuda_templateIjEESt5tupleIJNS8_6TensorESD_SD_EERKSD_lbbbEUlllE1_EE10hipError_tPvRmT2_T3_mT4_P12ihipStream_tbEUlT_E_NS1_11comp_targetILNS1_3genE10ELNS1_11target_archE1201ELNS1_3gpuE5ELNS1_3repE0EEENS1_30default_config_static_selectorELNS0_4arch9wavefront6targetE1EEEvT1_: ; @_ZN7rocprim17ROCPRIM_400000_NS6detail17trampoline_kernelINS0_14default_configENS1_35adjacent_difference_config_selectorILb1ElEEZNS1_24adjacent_difference_implIS3_Lb1ELb0EPlS7_ZN2at6native12_GLOBAL__N_124unique_dim_cuda_templateIjEESt5tupleIJNS8_6TensorESD_SD_EERKSD_lbbbEUlllE1_EE10hipError_tPvRmT2_T3_mT4_P12ihipStream_tbEUlT_E_NS1_11comp_targetILNS1_3genE10ELNS1_11target_archE1201ELNS1_3gpuE5ELNS1_3repE0EEENS1_30default_config_static_selectorELNS0_4arch9wavefront6targetE1EEEvT1_
; %bb.0:
	.section	.rodata,"a",@progbits
	.p2align	6, 0x0
	.amdhsa_kernel _ZN7rocprim17ROCPRIM_400000_NS6detail17trampoline_kernelINS0_14default_configENS1_35adjacent_difference_config_selectorILb1ElEEZNS1_24adjacent_difference_implIS3_Lb1ELb0EPlS7_ZN2at6native12_GLOBAL__N_124unique_dim_cuda_templateIjEESt5tupleIJNS8_6TensorESD_SD_EERKSD_lbbbEUlllE1_EE10hipError_tPvRmT2_T3_mT4_P12ihipStream_tbEUlT_E_NS1_11comp_targetILNS1_3genE10ELNS1_11target_archE1201ELNS1_3gpuE5ELNS1_3repE0EEENS1_30default_config_static_selectorELNS0_4arch9wavefront6targetE1EEEvT1_
		.amdhsa_group_segment_fixed_size 0
		.amdhsa_private_segment_fixed_size 0
		.amdhsa_kernarg_size 64
		.amdhsa_user_sgpr_count 2
		.amdhsa_user_sgpr_dispatch_ptr 0
		.amdhsa_user_sgpr_queue_ptr 0
		.amdhsa_user_sgpr_kernarg_segment_ptr 1
		.amdhsa_user_sgpr_dispatch_id 0
		.amdhsa_user_sgpr_kernarg_preload_length 0
		.amdhsa_user_sgpr_kernarg_preload_offset 0
		.amdhsa_user_sgpr_private_segment_size 0
		.amdhsa_uses_dynamic_stack 0
		.amdhsa_enable_private_segment 0
		.amdhsa_system_sgpr_workgroup_id_x 1
		.amdhsa_system_sgpr_workgroup_id_y 0
		.amdhsa_system_sgpr_workgroup_id_z 0
		.amdhsa_system_sgpr_workgroup_info 0
		.amdhsa_system_vgpr_workitem_id 0
		.amdhsa_next_free_vgpr 1
		.amdhsa_next_free_sgpr 0
		.amdhsa_accum_offset 4
		.amdhsa_reserve_vcc 0
		.amdhsa_float_round_mode_32 0
		.amdhsa_float_round_mode_16_64 0
		.amdhsa_float_denorm_mode_32 3
		.amdhsa_float_denorm_mode_16_64 3
		.amdhsa_dx10_clamp 1
		.amdhsa_ieee_mode 1
		.amdhsa_fp16_overflow 0
		.amdhsa_tg_split 0
		.amdhsa_exception_fp_ieee_invalid_op 0
		.amdhsa_exception_fp_denorm_src 0
		.amdhsa_exception_fp_ieee_div_zero 0
		.amdhsa_exception_fp_ieee_overflow 0
		.amdhsa_exception_fp_ieee_underflow 0
		.amdhsa_exception_fp_ieee_inexact 0
		.amdhsa_exception_int_div_zero 0
	.end_amdhsa_kernel
	.section	.text._ZN7rocprim17ROCPRIM_400000_NS6detail17trampoline_kernelINS0_14default_configENS1_35adjacent_difference_config_selectorILb1ElEEZNS1_24adjacent_difference_implIS3_Lb1ELb0EPlS7_ZN2at6native12_GLOBAL__N_124unique_dim_cuda_templateIjEESt5tupleIJNS8_6TensorESD_SD_EERKSD_lbbbEUlllE1_EE10hipError_tPvRmT2_T3_mT4_P12ihipStream_tbEUlT_E_NS1_11comp_targetILNS1_3genE10ELNS1_11target_archE1201ELNS1_3gpuE5ELNS1_3repE0EEENS1_30default_config_static_selectorELNS0_4arch9wavefront6targetE1EEEvT1_,"axG",@progbits,_ZN7rocprim17ROCPRIM_400000_NS6detail17trampoline_kernelINS0_14default_configENS1_35adjacent_difference_config_selectorILb1ElEEZNS1_24adjacent_difference_implIS3_Lb1ELb0EPlS7_ZN2at6native12_GLOBAL__N_124unique_dim_cuda_templateIjEESt5tupleIJNS8_6TensorESD_SD_EERKSD_lbbbEUlllE1_EE10hipError_tPvRmT2_T3_mT4_P12ihipStream_tbEUlT_E_NS1_11comp_targetILNS1_3genE10ELNS1_11target_archE1201ELNS1_3gpuE5ELNS1_3repE0EEENS1_30default_config_static_selectorELNS0_4arch9wavefront6targetE1EEEvT1_,comdat
.Lfunc_end1544:
	.size	_ZN7rocprim17ROCPRIM_400000_NS6detail17trampoline_kernelINS0_14default_configENS1_35adjacent_difference_config_selectorILb1ElEEZNS1_24adjacent_difference_implIS3_Lb1ELb0EPlS7_ZN2at6native12_GLOBAL__N_124unique_dim_cuda_templateIjEESt5tupleIJNS8_6TensorESD_SD_EERKSD_lbbbEUlllE1_EE10hipError_tPvRmT2_T3_mT4_P12ihipStream_tbEUlT_E_NS1_11comp_targetILNS1_3genE10ELNS1_11target_archE1201ELNS1_3gpuE5ELNS1_3repE0EEENS1_30default_config_static_selectorELNS0_4arch9wavefront6targetE1EEEvT1_, .Lfunc_end1544-_ZN7rocprim17ROCPRIM_400000_NS6detail17trampoline_kernelINS0_14default_configENS1_35adjacent_difference_config_selectorILb1ElEEZNS1_24adjacent_difference_implIS3_Lb1ELb0EPlS7_ZN2at6native12_GLOBAL__N_124unique_dim_cuda_templateIjEESt5tupleIJNS8_6TensorESD_SD_EERKSD_lbbbEUlllE1_EE10hipError_tPvRmT2_T3_mT4_P12ihipStream_tbEUlT_E_NS1_11comp_targetILNS1_3genE10ELNS1_11target_archE1201ELNS1_3gpuE5ELNS1_3repE0EEENS1_30default_config_static_selectorELNS0_4arch9wavefront6targetE1EEEvT1_
                                        ; -- End function
	.section	.AMDGPU.csdata,"",@progbits
; Kernel info:
; codeLenInByte = 0
; NumSgprs: 6
; NumVgprs: 0
; NumAgprs: 0
; TotalNumVgprs: 0
; ScratchSize: 0
; MemoryBound: 0
; FloatMode: 240
; IeeeMode: 1
; LDSByteSize: 0 bytes/workgroup (compile time only)
; SGPRBlocks: 0
; VGPRBlocks: 0
; NumSGPRsForWavesPerEU: 6
; NumVGPRsForWavesPerEU: 1
; AccumOffset: 4
; Occupancy: 8
; WaveLimiterHint : 0
; COMPUTE_PGM_RSRC2:SCRATCH_EN: 0
; COMPUTE_PGM_RSRC2:USER_SGPR: 2
; COMPUTE_PGM_RSRC2:TRAP_HANDLER: 0
; COMPUTE_PGM_RSRC2:TGID_X_EN: 1
; COMPUTE_PGM_RSRC2:TGID_Y_EN: 0
; COMPUTE_PGM_RSRC2:TGID_Z_EN: 0
; COMPUTE_PGM_RSRC2:TIDIG_COMP_CNT: 0
; COMPUTE_PGM_RSRC3_GFX90A:ACCUM_OFFSET: 0
; COMPUTE_PGM_RSRC3_GFX90A:TG_SPLIT: 0
	.section	.text._ZN7rocprim17ROCPRIM_400000_NS6detail17trampoline_kernelINS0_14default_configENS1_35adjacent_difference_config_selectorILb1ElEEZNS1_24adjacent_difference_implIS3_Lb1ELb0EPlS7_ZN2at6native12_GLOBAL__N_124unique_dim_cuda_templateIjEESt5tupleIJNS8_6TensorESD_SD_EERKSD_lbbbEUlllE1_EE10hipError_tPvRmT2_T3_mT4_P12ihipStream_tbEUlT_E_NS1_11comp_targetILNS1_3genE5ELNS1_11target_archE942ELNS1_3gpuE9ELNS1_3repE0EEENS1_30default_config_static_selectorELNS0_4arch9wavefront6targetE1EEEvT1_,"axG",@progbits,_ZN7rocprim17ROCPRIM_400000_NS6detail17trampoline_kernelINS0_14default_configENS1_35adjacent_difference_config_selectorILb1ElEEZNS1_24adjacent_difference_implIS3_Lb1ELb0EPlS7_ZN2at6native12_GLOBAL__N_124unique_dim_cuda_templateIjEESt5tupleIJNS8_6TensorESD_SD_EERKSD_lbbbEUlllE1_EE10hipError_tPvRmT2_T3_mT4_P12ihipStream_tbEUlT_E_NS1_11comp_targetILNS1_3genE5ELNS1_11target_archE942ELNS1_3gpuE9ELNS1_3repE0EEENS1_30default_config_static_selectorELNS0_4arch9wavefront6targetE1EEEvT1_,comdat
	.globl	_ZN7rocprim17ROCPRIM_400000_NS6detail17trampoline_kernelINS0_14default_configENS1_35adjacent_difference_config_selectorILb1ElEEZNS1_24adjacent_difference_implIS3_Lb1ELb0EPlS7_ZN2at6native12_GLOBAL__N_124unique_dim_cuda_templateIjEESt5tupleIJNS8_6TensorESD_SD_EERKSD_lbbbEUlllE1_EE10hipError_tPvRmT2_T3_mT4_P12ihipStream_tbEUlT_E_NS1_11comp_targetILNS1_3genE5ELNS1_11target_archE942ELNS1_3gpuE9ELNS1_3repE0EEENS1_30default_config_static_selectorELNS0_4arch9wavefront6targetE1EEEvT1_ ; -- Begin function _ZN7rocprim17ROCPRIM_400000_NS6detail17trampoline_kernelINS0_14default_configENS1_35adjacent_difference_config_selectorILb1ElEEZNS1_24adjacent_difference_implIS3_Lb1ELb0EPlS7_ZN2at6native12_GLOBAL__N_124unique_dim_cuda_templateIjEESt5tupleIJNS8_6TensorESD_SD_EERKSD_lbbbEUlllE1_EE10hipError_tPvRmT2_T3_mT4_P12ihipStream_tbEUlT_E_NS1_11comp_targetILNS1_3genE5ELNS1_11target_archE942ELNS1_3gpuE9ELNS1_3repE0EEENS1_30default_config_static_selectorELNS0_4arch9wavefront6targetE1EEEvT1_
	.p2align	8
	.type	_ZN7rocprim17ROCPRIM_400000_NS6detail17trampoline_kernelINS0_14default_configENS1_35adjacent_difference_config_selectorILb1ElEEZNS1_24adjacent_difference_implIS3_Lb1ELb0EPlS7_ZN2at6native12_GLOBAL__N_124unique_dim_cuda_templateIjEESt5tupleIJNS8_6TensorESD_SD_EERKSD_lbbbEUlllE1_EE10hipError_tPvRmT2_T3_mT4_P12ihipStream_tbEUlT_E_NS1_11comp_targetILNS1_3genE5ELNS1_11target_archE942ELNS1_3gpuE9ELNS1_3repE0EEENS1_30default_config_static_selectorELNS0_4arch9wavefront6targetE1EEEvT1_,@function
_ZN7rocprim17ROCPRIM_400000_NS6detail17trampoline_kernelINS0_14default_configENS1_35adjacent_difference_config_selectorILb1ElEEZNS1_24adjacent_difference_implIS3_Lb1ELb0EPlS7_ZN2at6native12_GLOBAL__N_124unique_dim_cuda_templateIjEESt5tupleIJNS8_6TensorESD_SD_EERKSD_lbbbEUlllE1_EE10hipError_tPvRmT2_T3_mT4_P12ihipStream_tbEUlT_E_NS1_11comp_targetILNS1_3genE5ELNS1_11target_archE942ELNS1_3gpuE9ELNS1_3repE0EEENS1_30default_config_static_selectorELNS0_4arch9wavefront6targetE1EEEvT1_: ; @_ZN7rocprim17ROCPRIM_400000_NS6detail17trampoline_kernelINS0_14default_configENS1_35adjacent_difference_config_selectorILb1ElEEZNS1_24adjacent_difference_implIS3_Lb1ELb0EPlS7_ZN2at6native12_GLOBAL__N_124unique_dim_cuda_templateIjEESt5tupleIJNS8_6TensorESD_SD_EERKSD_lbbbEUlllE1_EE10hipError_tPvRmT2_T3_mT4_P12ihipStream_tbEUlT_E_NS1_11comp_targetILNS1_3genE5ELNS1_11target_archE942ELNS1_3gpuE9ELNS1_3repE0EEENS1_30default_config_static_selectorELNS0_4arch9wavefront6targetE1EEEvT1_
; %bb.0:
	s_load_dwordx16 s[4:19], s[0:1], 0x0
	s_mov_b32 s1, 0x545d15a0
	v_bfrev_b32_e32 v1, 4
	s_movk_i32 s0, 0xb00
	s_mul_i32 s20, s2, 0xb00
	s_waitcnt lgkmcnt(0)
	s_lshl_b64 s[6:7], s[6:7], 3
	s_add_u32 s30, s4, s6
	s_addc_u32 s31, s5, s7
	s_add_u32 s1, 0x74, s1
	s_addc_u32 s4, 0, 0
	v_add_co_u32_e32 v1, vcc, s1, v1
	s_cmp_lg_u64 vcc, 0
	v_readfirstlane_b32 s5, v1
	s_addc_u32 s1, s4, 0x1745d1
	s_mul_hi_u32 s21, s5, 0xfffff500
	s_mul_i32 s4, s1, 0xfffff500
	s_sub_i32 s21, s21, s5
	s_add_i32 s21, s21, s4
	s_mul_i32 s23, s5, 0xfffff500
	s_mul_hi_u32 s4, s5, s21
	s_mul_i32 s22, s5, s21
	s_mul_hi_u32 s5, s5, s23
	s_add_u32 s5, s5, s22
	s_addc_u32 s4, 0, s4
	s_mul_hi_u32 s24, s1, s23
	s_mul_i32 s23, s1, s23
	s_add_u32 s5, s5, s23
	s_mul_hi_u32 s22, s1, s21
	s_addc_u32 s4, s4, s24
	s_addc_u32 s5, s22, 0
	s_mul_i32 s21, s1, s21
	s_add_u32 s4, s4, s21
	s_addc_u32 s5, 0, s5
	v_add_co_u32_e32 v1, vcc, s4, v1
	s_cmp_lg_u64 vcc, 0
	s_addc_u32 s1, s1, s5
	v_readfirstlane_b32 s21, v1
	s_mul_i32 s5, s10, s1
	s_mul_hi_u32 s22, s10, s21
	s_mul_hi_u32 s4, s10, s1
	s_add_u32 s5, s22, s5
	s_addc_u32 s4, 0, s4
	s_mul_hi_u32 s23, s11, s21
	s_mul_i32 s21, s11, s21
	s_add_u32 s5, s5, s21
	s_mul_hi_u32 s22, s11, s1
	s_addc_u32 s4, s4, s23
	s_addc_u32 s5, s22, 0
	s_mul_i32 s1, s11, s1
	s_add_u32 s1, s4, s1
	s_addc_u32 s4, 0, s5
	s_add_u32 s5, s1, 1
	s_addc_u32 s21, s4, 0
	s_add_u32 s22, s1, 2
	s_mul_i32 s24, s4, 0xb00
	s_mul_hi_u32 s25, s1, 0xb00
	s_addc_u32 s23, s4, 0
	s_add_i32 s25, s25, s24
	s_mul_i32 s24, s1, 0xb00
	v_mov_b32_e32 v1, s24
	v_sub_co_u32_e32 v1, vcc, s10, v1
	s_cmp_lg_u64 vcc, 0
	s_subb_u32 s24, s11, s25
	v_subrev_co_u32_e32 v2, vcc, s0, v1
	s_cmp_lg_u64 vcc, 0
	s_subb_u32 s0, s24, 0
	v_readfirstlane_b32 s25, v2
	s_cmpk_gt_u32 s25, 0xaff
	s_cselect_b32 s25, -1, 0
	s_cmp_eq_u32 s0, 0
	s_cselect_b32 s0, s25, -1
	s_cmp_lg_u32 s0, 0
	s_cselect_b32 s0, s22, s5
	s_cselect_b32 s5, s23, s21
	v_readfirstlane_b32 s21, v1
	s_cmpk_gt_u32 s21, 0xaff
	s_cselect_b32 s21, -1, 0
	s_cmp_eq_u32 s24, 0
	s_cselect_b32 s21, s21, -1
	s_cmp_lg_u32 s21, 0
	s_cselect_b32 s5, s5, s4
	s_cselect_b32 s4, s0, s1
	s_mul_i32 s0, s5, 0xb00
	s_mul_hi_u32 s1, s4, 0xb00
	s_add_i32 s1, s1, s0
	s_mul_i32 s0, s4, 0xb00
	s_sub_u32 s0, s10, s0
	s_subb_u32 s1, s11, s1
	s_cmp_lg_u64 s[0:1], 0
	s_cselect_b64 s[0:1], -1, 0
	v_cndmask_b32_e64 v1, 0, 1, s[0:1]
	s_mov_b32 s3, 0
	v_readfirstlane_b32 s0, v1
	s_add_u32 s4, s4, s0
	s_addc_u32 s5, s5, 0
	s_add_u32 s24, s18, s2
	s_addc_u32 s25, s19, 0
	s_add_u32 s26, s4, -1
	s_addc_u32 s27, s5, -1
	v_mov_b64_e32 v[2:3], s[26:27]
	v_cmp_ge_u64_e64 s[0:1], s[24:25], v[2:3]
	s_mov_b64 s[22:23], -1
	s_and_b64 vcc, exec, s[0:1]
	s_mul_i32 s11, s26, 0xfffff500
	s_cbranch_vccz .LBB1545_24
; %bb.1:
	s_mov_b32 s21, s3
	s_add_i32 s33, s11, s10
	s_lshl_b64 s[22:23], s[20:21], 3
	s_add_u32 s22, s30, s22
	s_addc_u32 s23, s31, s23
	v_cmp_gt_u32_e32 vcc, s33, v0
                                        ; implicit-def: $vgpr2_vgpr3_vgpr4_vgpr5_vgpr6_vgpr7_vgpr8_vgpr9_vgpr10_vgpr11_vgpr12_vgpr13_vgpr14_vgpr15_vgpr16_vgpr17_vgpr18_vgpr19_vgpr20_vgpr21_vgpr22_vgpr23_vgpr24_vgpr25_vgpr26_vgpr27_vgpr28_vgpr29_vgpr30_vgpr31_vgpr32_vgpr33
	s_and_saveexec_b64 s[28:29], vcc
	s_cbranch_execz .LBB1545_3
; %bb.2:
	v_lshlrev_b32_e32 v1, 3, v0
	global_load_dwordx2 v[2:3], v1, s[22:23]
.LBB1545_3:
	s_or_b64 exec, exec, s[28:29]
	v_or_b32_e32 v1, 0x100, v0
	v_cmp_gt_u32_e32 vcc, s33, v1
	s_and_saveexec_b64 s[28:29], vcc
	s_cbranch_execz .LBB1545_5
; %bb.4:
	v_lshlrev_b32_e32 v1, 3, v0
	global_load_dwordx2 v[4:5], v1, s[22:23] offset:2048
.LBB1545_5:
	s_or_b64 exec, exec, s[28:29]
	v_or_b32_e32 v1, 0x200, v0
	v_cmp_gt_u32_e32 vcc, s33, v1
	s_and_saveexec_b64 s[28:29], vcc
	s_cbranch_execz .LBB1545_7
; %bb.6:
	v_lshlrev_b32_e32 v1, 3, v1
	global_load_dwordx2 v[6:7], v1, s[22:23]
.LBB1545_7:
	s_or_b64 exec, exec, s[28:29]
	v_or_b32_e32 v1, 0x300, v0
	v_cmp_gt_u32_e32 vcc, s33, v1
	s_and_saveexec_b64 s[28:29], vcc
	s_cbranch_execz .LBB1545_9
; %bb.8:
	v_lshlrev_b32_e32 v1, 3, v1
	global_load_dwordx2 v[8:9], v1, s[22:23]
.LBB1545_9:
	;; [unrolled: 9-line block ×9, first 2 shown]
	s_or_b64 exec, exec, s[28:29]
	v_lshlrev_b32_e32 v1, 3, v0
	s_mov_b64 s[22:23], 0
	s_waitcnt vmcnt(0)
	ds_write2st64_b64 v1, v[2:3], v[4:5] offset1:4
	ds_write2st64_b64 v1, v[6:7], v[8:9] offset0:8 offset1:12
	ds_write2st64_b64 v1, v[10:11], v[12:13] offset0:16 offset1:20
	;; [unrolled: 1-line block ×4, first 2 shown]
	ds_write_b64 v1, v[22:23] offset:20480
	s_waitcnt lgkmcnt(0)
	s_barrier
.LBB1545_24:
	s_and_b64 vcc, exec, s[22:23]
	v_lshlrev_b32_e32 v40, 3, v0
	s_cbranch_vccz .LBB1545_26
; %bb.25:
	s_mov_b32 s21, 0
	s_lshl_b64 s[22:23], s[20:21], 3
	s_add_u32 s22, s30, s22
	s_addc_u32 s23, s31, s23
	v_mov_b32_e32 v41, 0
	v_lshl_add_u64 v[2:3], s[22:23], 0, v[40:41]
	v_add_co_u32_e32 v8, vcc, 0x1000, v2
	global_load_dwordx2 v[4:5], v40, s[22:23]
	global_load_dwordx2 v[6:7], v40, s[22:23] offset:2048
	v_addc_co_u32_e32 v9, vcc, 0, v3, vcc
	v_add_co_u32_e32 v10, vcc, 0x2000, v2
	s_nop 1
	v_addc_co_u32_e32 v11, vcc, 0, v3, vcc
	global_load_dwordx2 v[12:13], v[8:9], off
	global_load_dwordx2 v[14:15], v[8:9], off offset:2048
	global_load_dwordx2 v[16:17], v[10:11], off
	global_load_dwordx2 v[18:19], v[10:11], off offset:2048
	v_add_co_u32_e32 v8, vcc, 0x3000, v2
	s_nop 1
	v_addc_co_u32_e32 v9, vcc, 0, v3, vcc
	v_add_co_u32_e32 v10, vcc, 0x4000, v2
	s_nop 1
	v_addc_co_u32_e32 v11, vcc, 0, v3, vcc
	global_load_dwordx2 v[20:21], v[8:9], off
	global_load_dwordx2 v[22:23], v[8:9], off offset:2048
	global_load_dwordx2 v[24:25], v[10:11], off
	global_load_dwordx2 v[26:27], v[10:11], off offset:2048
	v_add_co_u32_e32 v2, vcc, 0x5000, v2
	s_nop 1
	v_addc_co_u32_e32 v3, vcc, 0, v3, vcc
	global_load_dwordx2 v[2:3], v[2:3], off
	s_waitcnt vmcnt(9)
	ds_write2st64_b64 v40, v[4:5], v[6:7] offset1:4
	s_waitcnt vmcnt(7)
	ds_write2st64_b64 v40, v[12:13], v[14:15] offset0:8 offset1:12
	s_waitcnt vmcnt(5)
	ds_write2st64_b64 v40, v[16:17], v[18:19] offset0:16 offset1:20
	;; [unrolled: 2-line block ×4, first 2 shown]
	s_waitcnt vmcnt(0)
	ds_write_b64 v40, v[2:3] offset:20480
	s_waitcnt lgkmcnt(0)
	s_barrier
.LBB1545_26:
	v_mul_u32_u24_e32 v1, 11, v0
	v_lshlrev_b32_e32 v1, 3, v1
	ds_read2_b64 v[2:5], v1 offset1:1
	ds_read2_b64 v[6:9], v1 offset0:2 offset1:3
	ds_read2_b64 v[10:13], v1 offset0:4 offset1:5
	;; [unrolled: 1-line block ×4, first 2 shown]
	ds_read_b64 v[36:37], v1 offset:80
	s_cmp_eq_u64 s[24:25], 0
	s_mov_b64 s[22:23], 0
	s_waitcnt lgkmcnt(0)
	s_barrier
	s_cbranch_scc1 .LBB1545_35
; %bb.27:
	s_lshl_b64 s[18:19], s[18:19], 3
	s_add_u32 s16, s16, s18
	s_addc_u32 s17, s17, s19
	s_lshl_b64 s[2:3], s[2:3], 3
	s_add_u32 s2, s16, s2
	s_addc_u32 s3, s17, s3
	s_add_u32 s2, s2, -8
	s_addc_u32 s3, s3, -1
	s_load_dwordx2 s[16:17], s[2:3], 0x0
	s_cmp_lg_u64 s[24:25], s[26:27]
	s_cbranch_scc0 .LBB1545_36
; %bb.28:
	v_mul_lo_u32 v1, v21, s12
	v_mul_lo_u32 v24, v20, s13
	v_mad_u64_u32 v[22:23], s[22:23], v20, s12, 0
	v_mov_b64_e32 v[38:39], 0
	v_cmp_lt_i64_e64 s[2:3], s[12:13], 1
	v_add3_u32 v23, v23, v24, v1
	v_cmp_gt_i64_e64 s[18:19], s[12:13], 0
	s_and_b64 vcc, exec, s[2:3]
	v_lshl_add_u64 v[22:23], v[22:23], 2, s[14:15]
	v_mov_b64_e32 v[42:43], v[38:39]
	ds_write_b64 v40, v[36:37]
	s_cbranch_vccnz .LBB1545_40
; %bb.29:
	v_mul_lo_u32 v1, v37, s12
	v_mul_lo_u32 v26, v36, s13
	v_mad_u64_u32 v[24:25], s[2:3], v36, s12, 0
	v_add3_u32 v25, v25, v26, v1
	v_lshl_add_u64 v[26:27], v[24:25], 2, s[14:15]
	global_load_dword v1, v[26:27], off
	global_load_dword v24, v[22:23], off
	v_mov_b64_e32 v[42:43], 1
	s_waitcnt vmcnt(0)
	v_cmp_eq_u32_e32 vcc, v1, v24
	s_and_saveexec_b64 s[2:3], vcc
	s_cbranch_execz .LBB1545_39
; %bb.30:
	s_add_u32 s22, s12, -1
	v_lshl_add_u64 v[24:25], v[22:23], 0, 4
	v_lshl_add_u64 v[26:27], v[26:27], 0, 4
	s_addc_u32 s23, s13, -1
	s_mov_b64 s[26:27], 0
	s_mov_b64 s[30:31], 0
                                        ; implicit-def: $sgpr28_sgpr29
	s_branch .LBB1545_33
.LBB1545_31:                            ;   in Loop: Header=BB1545_33 Depth=1
	global_load_dword v1, v[26:27], off
	global_load_dword v28, v[24:25], off
	s_add_u32 s30, s30, 1
	s_addc_u32 s31, s31, 0
	s_andn2_b64 s[28:29], s[28:29], exec
	v_lshl_add_u64 v[24:25], v[24:25], 0, 4
	v_lshl_add_u64 v[26:27], v[26:27], 0, 4
	s_waitcnt vmcnt(0)
	v_cmp_ne_u32_e32 vcc, v1, v28
	s_and_b64 s[34:35], vcc, exec
	s_or_b64 s[28:29], s[28:29], s[34:35]
.LBB1545_32:                            ;   in Loop: Header=BB1545_33 Depth=1
	s_and_b64 s[34:35], exec, s[28:29]
	s_or_b64 s[26:27], s[34:35], s[26:27]
	v_mov_b64_e32 v[28:29], s[30:31]
	s_andn2_b64 exec, exec, s[26:27]
	s_cbranch_execz .LBB1545_38
.LBB1545_33:                            ; =>This Inner Loop Header: Depth=1
	s_or_b64 s[28:29], s[28:29], exec
	s_cmp_eq_u64 s[22:23], s[30:31]
	s_cbranch_scc0 .LBB1545_31
; %bb.34:                               ;   in Loop: Header=BB1545_33 Depth=1
                                        ; implicit-def: $vgpr24_vgpr25
                                        ; implicit-def: $vgpr26_vgpr27
	s_mov_b64 s[30:31], s[12:13]
	s_branch .LBB1545_32
.LBB1545_35:
                                        ; implicit-def: $vgpr22_vgpr23_vgpr24_vgpr25
                                        ; implicit-def: $sgpr18_sgpr19
                                        ; implicit-def: $vgpr42_vgpr43
                                        ; implicit-def: $vgpr44_vgpr45
                                        ; implicit-def: $vgpr38_vgpr39
                                        ; implicit-def: $vgpr58_vgpr59
                                        ; implicit-def: $vgpr56_vgpr57
                                        ; implicit-def: $vgpr54_vgpr55
                                        ; implicit-def: $vgpr52_vgpr53
                                        ; implicit-def: $vgpr50_vgpr51
                                        ; implicit-def: $vgpr48_vgpr49
                                        ; implicit-def: $vgpr46_vgpr47
                                        ; implicit-def: $vgpr60_vgpr61
                                        ; implicit-def: $vgpr68_vgpr69
                                        ; implicit-def: $vgpr62_vgpr63
                                        ; implicit-def: $vgpr64_vgpr65
                                        ; implicit-def: $vgpr66_vgpr67
                                        ; implicit-def: $vgpr24_vgpr25_vgpr26_vgpr27
                                        ; implicit-def: $vgpr28_vgpr29_vgpr30_vgpr31
                                        ; implicit-def: $vgpr32_vgpr33_vgpr34_vgpr35
	s_cbranch_execnz .LBB1545_259
	s_branch .LBB1545_488
.LBB1545_36:
                                        ; implicit-def: $sgpr18_sgpr19
                                        ; implicit-def: $vgpr42_vgpr43
                                        ; implicit-def: $vgpr44_vgpr45
                                        ; implicit-def: $vgpr38_vgpr39
                                        ; implicit-def: $vgpr58_vgpr59
                                        ; implicit-def: $vgpr56_vgpr57
                                        ; implicit-def: $vgpr54_vgpr55
                                        ; implicit-def: $vgpr52_vgpr53
                                        ; implicit-def: $vgpr50_vgpr51
                                        ; implicit-def: $vgpr48_vgpr49
                                        ; implicit-def: $vgpr46_vgpr47
	s_cbranch_execnz .LBB1545_134
.LBB1545_37:
                                        ; implicit-def: $vgpr22_vgpr23_vgpr24_vgpr25
                                        ; implicit-def: $vgpr60_vgpr61
                                        ; implicit-def: $vgpr68_vgpr69
                                        ; implicit-def: $vgpr62_vgpr63
                                        ; implicit-def: $vgpr64_vgpr65
                                        ; implicit-def: $vgpr66_vgpr67
                                        ; implicit-def: $vgpr28_vgpr29_vgpr30_vgpr31
                                        ; implicit-def: $vgpr32_vgpr33_vgpr34_vgpr35
                                        ; implicit-def: $vgpr24_vgpr25_vgpr26_vgpr27
	s_branch .LBB1545_488
.LBB1545_38:
	s_or_b64 exec, exec, s[26:27]
	v_cmp_gt_i64_e32 vcc, s[12:13], v[28:29]
	s_mov_b32 s21, 0
	v_mov_b32_e32 v43, s21
	v_cndmask_b32_e64 v42, 0, 1, vcc
.LBB1545_39:
	s_or_b64 exec, exec, s[2:3]
.LBB1545_40:
	v_mul_lo_u32 v1, v19, s12
	v_mul_lo_u32 v26, v18, s13
	v_mad_u64_u32 v[24:25], s[2:3], v18, s12, 0
	v_add3_u32 v25, v25, v26, v1
	v_cndmask_b32_e64 v1, 0, 1, s[18:19]
	v_cmp_ne_u32_e64 s[2:3], 1, v1
	s_andn2_b64 vcc, exec, s[18:19]
	v_lshl_add_u64 v[24:25], v[24:25], 2, s[14:15]
	v_mov_b64_e32 v[44:45], v[38:39]
	s_cbranch_vccnz .LBB1545_49
; %bb.41:
	global_load_dword v1, v[22:23], off
	global_load_dword v26, v[24:25], off
	v_mov_b64_e32 v[44:45], 1
	s_waitcnt vmcnt(0)
	v_cmp_eq_u32_e32 vcc, v1, v26
	s_and_saveexec_b64 s[18:19], vcc
	s_cbranch_execz .LBB1545_48
; %bb.42:
	s_add_u32 s22, s12, -1
	v_lshl_add_u64 v[26:27], v[24:25], 0, 4
	v_lshl_add_u64 v[22:23], v[22:23], 0, 4
	s_addc_u32 s23, s13, -1
	s_mov_b64 s[26:27], 0
	s_mov_b64 s[30:31], 0
                                        ; implicit-def: $sgpr28_sgpr29
	s_branch .LBB1545_45
.LBB1545_43:                            ;   in Loop: Header=BB1545_45 Depth=1
	global_load_dword v1, v[22:23], off
	global_load_dword v28, v[26:27], off
	s_add_u32 s30, s30, 1
	s_addc_u32 s31, s31, 0
	s_andn2_b64 s[28:29], s[28:29], exec
	v_lshl_add_u64 v[26:27], v[26:27], 0, 4
	v_lshl_add_u64 v[22:23], v[22:23], 0, 4
	s_waitcnt vmcnt(0)
	v_cmp_ne_u32_e32 vcc, v1, v28
	s_and_b64 s[34:35], vcc, exec
	s_or_b64 s[28:29], s[28:29], s[34:35]
.LBB1545_44:                            ;   in Loop: Header=BB1545_45 Depth=1
	s_and_b64 s[34:35], exec, s[28:29]
	s_or_b64 s[26:27], s[34:35], s[26:27]
	v_mov_b64_e32 v[28:29], s[30:31]
	s_andn2_b64 exec, exec, s[26:27]
	s_cbranch_execz .LBB1545_47
.LBB1545_45:                            ; =>This Inner Loop Header: Depth=1
	s_or_b64 s[28:29], s[28:29], exec
	s_cmp_eq_u64 s[22:23], s[30:31]
	s_cbranch_scc0 .LBB1545_43
; %bb.46:                               ;   in Loop: Header=BB1545_45 Depth=1
                                        ; implicit-def: $vgpr26_vgpr27
                                        ; implicit-def: $vgpr22_vgpr23
	s_mov_b64 s[30:31], s[12:13]
	s_branch .LBB1545_44
.LBB1545_47:
	s_or_b64 exec, exec, s[26:27]
	v_cmp_gt_i64_e32 vcc, s[12:13], v[28:29]
	s_mov_b32 s21, 0
	v_mov_b32_e32 v45, s21
	v_cndmask_b32_e64 v44, 0, 1, vcc
.LBB1545_48:
	s_or_b64 exec, exec, s[18:19]
.LBB1545_49:
	v_mul_lo_u32 v1, v17, s12
	v_mul_lo_u32 v26, v16, s13
	v_mad_u64_u32 v[22:23], s[18:19], v16, s12, 0
	v_add3_u32 v23, v23, v26, v1
	s_and_b64 vcc, exec, s[2:3]
	v_lshl_add_u64 v[22:23], v[22:23], 2, s[14:15]
	s_cbranch_vccnz .LBB1545_58
; %bb.50:
	global_load_dword v1, v[24:25], off
	global_load_dword v26, v[22:23], off
	v_mov_b64_e32 v[38:39], 1
	s_waitcnt vmcnt(0)
	v_cmp_eq_u32_e32 vcc, v1, v26
	s_and_saveexec_b64 s[18:19], vcc
	s_cbranch_execz .LBB1545_57
; %bb.51:
	s_add_u32 s22, s12, -1
	v_lshl_add_u64 v[26:27], v[22:23], 0, 4
	v_lshl_add_u64 v[24:25], v[24:25], 0, 4
	s_addc_u32 s23, s13, -1
	s_mov_b64 s[26:27], 0
	s_mov_b64 s[30:31], 0
                                        ; implicit-def: $sgpr28_sgpr29
	s_branch .LBB1545_54
.LBB1545_52:                            ;   in Loop: Header=BB1545_54 Depth=1
	global_load_dword v1, v[24:25], off
	global_load_dword v28, v[26:27], off
	s_add_u32 s30, s30, 1
	s_addc_u32 s31, s31, 0
	s_andn2_b64 s[28:29], s[28:29], exec
	v_lshl_add_u64 v[26:27], v[26:27], 0, 4
	v_lshl_add_u64 v[24:25], v[24:25], 0, 4
	s_waitcnt vmcnt(0)
	v_cmp_ne_u32_e32 vcc, v1, v28
	s_and_b64 s[34:35], vcc, exec
	s_or_b64 s[28:29], s[28:29], s[34:35]
.LBB1545_53:                            ;   in Loop: Header=BB1545_54 Depth=1
	s_and_b64 s[34:35], exec, s[28:29]
	s_or_b64 s[26:27], s[34:35], s[26:27]
	v_mov_b64_e32 v[28:29], s[30:31]
	s_andn2_b64 exec, exec, s[26:27]
	s_cbranch_execz .LBB1545_56
.LBB1545_54:                            ; =>This Inner Loop Header: Depth=1
	s_or_b64 s[28:29], s[28:29], exec
	s_cmp_eq_u64 s[22:23], s[30:31]
	s_cbranch_scc0 .LBB1545_52
; %bb.55:                               ;   in Loop: Header=BB1545_54 Depth=1
                                        ; implicit-def: $vgpr26_vgpr27
                                        ; implicit-def: $vgpr24_vgpr25
	s_mov_b64 s[30:31], s[12:13]
	s_branch .LBB1545_53
.LBB1545_56:
	s_or_b64 exec, exec, s[26:27]
	v_cmp_gt_i64_e32 vcc, s[12:13], v[28:29]
	s_mov_b32 s21, 0
	v_mov_b32_e32 v39, s21
	v_cndmask_b32_e64 v38, 0, 1, vcc
.LBB1545_57:
	s_or_b64 exec, exec, s[18:19]
.LBB1545_58:
	v_mul_lo_u32 v1, v15, s12
	v_mul_lo_u32 v26, v14, s13
	v_mad_u64_u32 v[24:25], s[18:19], v14, s12, 0
	v_add3_u32 v25, v25, v26, v1
	v_mov_b64_e32 v[48:49], 0
	s_and_b64 vcc, exec, s[2:3]
	v_lshl_add_u64 v[24:25], v[24:25], 2, s[14:15]
	v_mov_b64_e32 v[46:47], v[48:49]
	s_cbranch_vccnz .LBB1545_67
; %bb.59:
	global_load_dword v1, v[22:23], off
	global_load_dword v26, v[24:25], off
	v_mov_b64_e32 v[46:47], 1
	s_waitcnt vmcnt(0)
	v_cmp_eq_u32_e32 vcc, v1, v26
	s_and_saveexec_b64 s[18:19], vcc
	s_cbranch_execz .LBB1545_66
; %bb.60:
	s_add_u32 s22, s12, -1
	v_lshl_add_u64 v[26:27], v[24:25], 0, 4
	v_lshl_add_u64 v[22:23], v[22:23], 0, 4
	s_addc_u32 s23, s13, -1
	s_mov_b64 s[26:27], 0
	s_mov_b64 s[30:31], 0
                                        ; implicit-def: $sgpr28_sgpr29
	s_branch .LBB1545_63
.LBB1545_61:                            ;   in Loop: Header=BB1545_63 Depth=1
	global_load_dword v1, v[22:23], off
	global_load_dword v28, v[26:27], off
	s_add_u32 s30, s30, 1
	s_addc_u32 s31, s31, 0
	s_andn2_b64 s[28:29], s[28:29], exec
	v_lshl_add_u64 v[26:27], v[26:27], 0, 4
	v_lshl_add_u64 v[22:23], v[22:23], 0, 4
	s_waitcnt vmcnt(0)
	v_cmp_ne_u32_e32 vcc, v1, v28
	s_and_b64 s[34:35], vcc, exec
	s_or_b64 s[28:29], s[28:29], s[34:35]
.LBB1545_62:                            ;   in Loop: Header=BB1545_63 Depth=1
	s_and_b64 s[34:35], exec, s[28:29]
	s_or_b64 s[26:27], s[34:35], s[26:27]
	v_mov_b64_e32 v[28:29], s[30:31]
	s_andn2_b64 exec, exec, s[26:27]
	s_cbranch_execz .LBB1545_65
.LBB1545_63:                            ; =>This Inner Loop Header: Depth=1
	s_or_b64 s[28:29], s[28:29], exec
	s_cmp_eq_u64 s[22:23], s[30:31]
	s_cbranch_scc0 .LBB1545_61
; %bb.64:                               ;   in Loop: Header=BB1545_63 Depth=1
                                        ; implicit-def: $vgpr26_vgpr27
                                        ; implicit-def: $vgpr22_vgpr23
	s_mov_b64 s[30:31], s[12:13]
	s_branch .LBB1545_62
.LBB1545_65:
	s_or_b64 exec, exec, s[26:27]
	v_cmp_gt_i64_e32 vcc, s[12:13], v[28:29]
	s_mov_b32 s21, 0
	v_mov_b32_e32 v47, s21
	v_cndmask_b32_e64 v46, 0, 1, vcc
.LBB1545_66:
	s_or_b64 exec, exec, s[18:19]
.LBB1545_67:
	v_mul_lo_u32 v1, v13, s12
	v_mul_lo_u32 v26, v12, s13
	v_mad_u64_u32 v[22:23], s[18:19], v12, s12, 0
	v_add3_u32 v23, v23, v26, v1
	s_and_b64 vcc, exec, s[2:3]
	v_lshl_add_u64 v[22:23], v[22:23], 2, s[14:15]
	s_cbranch_vccnz .LBB1545_76
; %bb.68:
	global_load_dword v1, v[24:25], off
	global_load_dword v26, v[22:23], off
	v_mov_b64_e32 v[48:49], 1
	s_waitcnt vmcnt(0)
	v_cmp_eq_u32_e32 vcc, v1, v26
	s_and_saveexec_b64 s[18:19], vcc
	s_cbranch_execz .LBB1545_75
; %bb.69:
	s_add_u32 s22, s12, -1
	v_lshl_add_u64 v[26:27], v[22:23], 0, 4
	v_lshl_add_u64 v[24:25], v[24:25], 0, 4
	s_addc_u32 s23, s13, -1
	s_mov_b64 s[26:27], 0
	s_mov_b64 s[30:31], 0
                                        ; implicit-def: $sgpr28_sgpr29
	s_branch .LBB1545_72
.LBB1545_70:                            ;   in Loop: Header=BB1545_72 Depth=1
	global_load_dword v1, v[24:25], off
	global_load_dword v28, v[26:27], off
	s_add_u32 s30, s30, 1
	s_addc_u32 s31, s31, 0
	s_andn2_b64 s[28:29], s[28:29], exec
	v_lshl_add_u64 v[26:27], v[26:27], 0, 4
	v_lshl_add_u64 v[24:25], v[24:25], 0, 4
	s_waitcnt vmcnt(0)
	v_cmp_ne_u32_e32 vcc, v1, v28
	s_and_b64 s[34:35], vcc, exec
	s_or_b64 s[28:29], s[28:29], s[34:35]
.LBB1545_71:                            ;   in Loop: Header=BB1545_72 Depth=1
	s_and_b64 s[34:35], exec, s[28:29]
	s_or_b64 s[26:27], s[34:35], s[26:27]
	v_mov_b64_e32 v[28:29], s[30:31]
	s_andn2_b64 exec, exec, s[26:27]
	s_cbranch_execz .LBB1545_74
.LBB1545_72:                            ; =>This Inner Loop Header: Depth=1
	s_or_b64 s[28:29], s[28:29], exec
	s_cmp_eq_u64 s[22:23], s[30:31]
	s_cbranch_scc0 .LBB1545_70
; %bb.73:                               ;   in Loop: Header=BB1545_72 Depth=1
                                        ; implicit-def: $vgpr26_vgpr27
                                        ; implicit-def: $vgpr24_vgpr25
	s_mov_b64 s[30:31], s[12:13]
	s_branch .LBB1545_71
.LBB1545_74:
	s_or_b64 exec, exec, s[26:27]
	v_cmp_gt_i64_e32 vcc, s[12:13], v[28:29]
	s_mov_b32 s21, 0
	v_mov_b32_e32 v49, s21
	v_cndmask_b32_e64 v48, 0, 1, vcc
.LBB1545_75:
	s_or_b64 exec, exec, s[18:19]
.LBB1545_76:
	v_mul_lo_u32 v1, v11, s12
	v_mul_lo_u32 v26, v10, s13
	v_mad_u64_u32 v[24:25], s[18:19], v10, s12, 0
	v_add3_u32 v25, v25, v26, v1
	v_mov_b64_e32 v[52:53], 0
	s_and_b64 vcc, exec, s[2:3]
	v_lshl_add_u64 v[24:25], v[24:25], 2, s[14:15]
	v_mov_b64_e32 v[50:51], v[52:53]
	s_cbranch_vccnz .LBB1545_85
; %bb.77:
	global_load_dword v1, v[22:23], off
	global_load_dword v26, v[24:25], off
	v_mov_b64_e32 v[50:51], 1
	s_waitcnt vmcnt(0)
	v_cmp_eq_u32_e32 vcc, v1, v26
	s_and_saveexec_b64 s[18:19], vcc
	s_cbranch_execz .LBB1545_84
; %bb.78:
	s_add_u32 s22, s12, -1
	v_lshl_add_u64 v[26:27], v[24:25], 0, 4
	v_lshl_add_u64 v[22:23], v[22:23], 0, 4
	s_addc_u32 s23, s13, -1
	s_mov_b64 s[26:27], 0
	s_mov_b64 s[30:31], 0
                                        ; implicit-def: $sgpr28_sgpr29
	s_branch .LBB1545_81
.LBB1545_79:                            ;   in Loop: Header=BB1545_81 Depth=1
	global_load_dword v1, v[22:23], off
	global_load_dword v28, v[26:27], off
	s_add_u32 s30, s30, 1
	s_addc_u32 s31, s31, 0
	s_andn2_b64 s[28:29], s[28:29], exec
	v_lshl_add_u64 v[26:27], v[26:27], 0, 4
	v_lshl_add_u64 v[22:23], v[22:23], 0, 4
	s_waitcnt vmcnt(0)
	v_cmp_ne_u32_e32 vcc, v1, v28
	s_and_b64 s[34:35], vcc, exec
	s_or_b64 s[28:29], s[28:29], s[34:35]
.LBB1545_80:                            ;   in Loop: Header=BB1545_81 Depth=1
	s_and_b64 s[34:35], exec, s[28:29]
	s_or_b64 s[26:27], s[34:35], s[26:27]
	v_mov_b64_e32 v[28:29], s[30:31]
	s_andn2_b64 exec, exec, s[26:27]
	s_cbranch_execz .LBB1545_83
.LBB1545_81:                            ; =>This Inner Loop Header: Depth=1
	s_or_b64 s[28:29], s[28:29], exec
	s_cmp_eq_u64 s[22:23], s[30:31]
	s_cbranch_scc0 .LBB1545_79
; %bb.82:                               ;   in Loop: Header=BB1545_81 Depth=1
                                        ; implicit-def: $vgpr26_vgpr27
                                        ; implicit-def: $vgpr22_vgpr23
	s_mov_b64 s[30:31], s[12:13]
	s_branch .LBB1545_80
.LBB1545_83:
	s_or_b64 exec, exec, s[26:27]
	v_cmp_gt_i64_e32 vcc, s[12:13], v[28:29]
	s_mov_b32 s21, 0
	v_mov_b32_e32 v51, s21
	v_cndmask_b32_e64 v50, 0, 1, vcc
.LBB1545_84:
	s_or_b64 exec, exec, s[18:19]
.LBB1545_85:
	v_mul_lo_u32 v1, v9, s12
	v_mul_lo_u32 v26, v8, s13
	v_mad_u64_u32 v[22:23], s[18:19], v8, s12, 0
	v_add3_u32 v23, v23, v26, v1
	s_and_b64 vcc, exec, s[2:3]
	v_lshl_add_u64 v[22:23], v[22:23], 2, s[14:15]
	s_cbranch_vccnz .LBB1545_94
; %bb.86:
	global_load_dword v1, v[24:25], off
	global_load_dword v26, v[22:23], off
	v_mov_b64_e32 v[52:53], 1
	s_waitcnt vmcnt(0)
	v_cmp_eq_u32_e32 vcc, v1, v26
	s_and_saveexec_b64 s[18:19], vcc
	s_cbranch_execz .LBB1545_93
; %bb.87:
	s_add_u32 s22, s12, -1
	v_lshl_add_u64 v[26:27], v[22:23], 0, 4
	v_lshl_add_u64 v[24:25], v[24:25], 0, 4
	s_addc_u32 s23, s13, -1
	s_mov_b64 s[26:27], 0
	s_mov_b64 s[30:31], 0
                                        ; implicit-def: $sgpr28_sgpr29
	s_branch .LBB1545_90
.LBB1545_88:                            ;   in Loop: Header=BB1545_90 Depth=1
	global_load_dword v1, v[24:25], off
	global_load_dword v28, v[26:27], off
	s_add_u32 s30, s30, 1
	s_addc_u32 s31, s31, 0
	s_andn2_b64 s[28:29], s[28:29], exec
	v_lshl_add_u64 v[26:27], v[26:27], 0, 4
	v_lshl_add_u64 v[24:25], v[24:25], 0, 4
	s_waitcnt vmcnt(0)
	v_cmp_ne_u32_e32 vcc, v1, v28
	s_and_b64 s[34:35], vcc, exec
	s_or_b64 s[28:29], s[28:29], s[34:35]
.LBB1545_89:                            ;   in Loop: Header=BB1545_90 Depth=1
	s_and_b64 s[34:35], exec, s[28:29]
	s_or_b64 s[26:27], s[34:35], s[26:27]
	v_mov_b64_e32 v[28:29], s[30:31]
	s_andn2_b64 exec, exec, s[26:27]
	s_cbranch_execz .LBB1545_92
.LBB1545_90:                            ; =>This Inner Loop Header: Depth=1
	s_or_b64 s[28:29], s[28:29], exec
	s_cmp_eq_u64 s[22:23], s[30:31]
	s_cbranch_scc0 .LBB1545_88
; %bb.91:                               ;   in Loop: Header=BB1545_90 Depth=1
                                        ; implicit-def: $vgpr26_vgpr27
                                        ; implicit-def: $vgpr24_vgpr25
	s_mov_b64 s[30:31], s[12:13]
	s_branch .LBB1545_89
.LBB1545_92:
	s_or_b64 exec, exec, s[26:27]
	v_cmp_gt_i64_e32 vcc, s[12:13], v[28:29]
	s_mov_b32 s21, 0
	v_mov_b32_e32 v53, s21
	v_cndmask_b32_e64 v52, 0, 1, vcc
.LBB1545_93:
	s_or_b64 exec, exec, s[18:19]
.LBB1545_94:
	v_mul_lo_u32 v1, v7, s12
	v_mul_lo_u32 v26, v6, s13
	v_mad_u64_u32 v[24:25], s[18:19], v6, s12, 0
	v_add3_u32 v25, v25, v26, v1
	v_mov_b64_e32 v[56:57], 0
	s_and_b64 vcc, exec, s[2:3]
	v_lshl_add_u64 v[24:25], v[24:25], 2, s[14:15]
	v_mov_b64_e32 v[54:55], v[56:57]
	s_cbranch_vccnz .LBB1545_103
; %bb.95:
	global_load_dword v1, v[22:23], off
	global_load_dword v26, v[24:25], off
	v_mov_b64_e32 v[54:55], 1
	s_waitcnt vmcnt(0)
	v_cmp_eq_u32_e32 vcc, v1, v26
	s_and_saveexec_b64 s[18:19], vcc
	s_cbranch_execz .LBB1545_102
; %bb.96:
	s_add_u32 s22, s12, -1
	v_lshl_add_u64 v[26:27], v[24:25], 0, 4
	v_lshl_add_u64 v[22:23], v[22:23], 0, 4
	s_addc_u32 s23, s13, -1
	s_mov_b64 s[26:27], 0
	s_mov_b64 s[30:31], 0
                                        ; implicit-def: $sgpr28_sgpr29
	s_branch .LBB1545_99
.LBB1545_97:                            ;   in Loop: Header=BB1545_99 Depth=1
	global_load_dword v1, v[22:23], off
	global_load_dword v28, v[26:27], off
	s_add_u32 s30, s30, 1
	s_addc_u32 s31, s31, 0
	s_andn2_b64 s[28:29], s[28:29], exec
	v_lshl_add_u64 v[26:27], v[26:27], 0, 4
	v_lshl_add_u64 v[22:23], v[22:23], 0, 4
	s_waitcnt vmcnt(0)
	v_cmp_ne_u32_e32 vcc, v1, v28
	s_and_b64 s[34:35], vcc, exec
	s_or_b64 s[28:29], s[28:29], s[34:35]
.LBB1545_98:                            ;   in Loop: Header=BB1545_99 Depth=1
	s_and_b64 s[34:35], exec, s[28:29]
	s_or_b64 s[26:27], s[34:35], s[26:27]
	v_mov_b64_e32 v[28:29], s[30:31]
	s_andn2_b64 exec, exec, s[26:27]
	s_cbranch_execz .LBB1545_101
.LBB1545_99:                            ; =>This Inner Loop Header: Depth=1
	s_or_b64 s[28:29], s[28:29], exec
	s_cmp_eq_u64 s[22:23], s[30:31]
	s_cbranch_scc0 .LBB1545_97
; %bb.100:                              ;   in Loop: Header=BB1545_99 Depth=1
                                        ; implicit-def: $vgpr26_vgpr27
                                        ; implicit-def: $vgpr22_vgpr23
	s_mov_b64 s[30:31], s[12:13]
	s_branch .LBB1545_98
.LBB1545_101:
	s_or_b64 exec, exec, s[26:27]
	v_cmp_gt_i64_e32 vcc, s[12:13], v[28:29]
	s_mov_b32 s21, 0
	v_mov_b32_e32 v55, s21
	v_cndmask_b32_e64 v54, 0, 1, vcc
.LBB1545_102:
	s_or_b64 exec, exec, s[18:19]
.LBB1545_103:
	v_mul_lo_u32 v1, v5, s12
	v_mul_lo_u32 v26, v4, s13
	v_mad_u64_u32 v[22:23], s[18:19], v4, s12, 0
	v_add3_u32 v23, v23, v26, v1
	s_and_b64 vcc, exec, s[2:3]
	v_lshl_add_u64 v[22:23], v[22:23], 2, s[14:15]
	s_cbranch_vccnz .LBB1545_112
; %bb.104:
	global_load_dword v1, v[24:25], off
	global_load_dword v26, v[22:23], off
	v_mov_b64_e32 v[56:57], 1
	s_waitcnt vmcnt(0)
	v_cmp_eq_u32_e32 vcc, v1, v26
	s_and_saveexec_b64 s[18:19], vcc
	s_cbranch_execz .LBB1545_111
; %bb.105:
	s_add_u32 s22, s12, -1
	v_lshl_add_u64 v[26:27], v[22:23], 0, 4
	v_lshl_add_u64 v[24:25], v[24:25], 0, 4
	s_addc_u32 s23, s13, -1
	s_mov_b64 s[26:27], 0
	s_mov_b64 s[30:31], 0
                                        ; implicit-def: $sgpr28_sgpr29
	s_branch .LBB1545_108
.LBB1545_106:                           ;   in Loop: Header=BB1545_108 Depth=1
	global_load_dword v1, v[24:25], off
	global_load_dword v28, v[26:27], off
	s_add_u32 s30, s30, 1
	s_addc_u32 s31, s31, 0
	s_andn2_b64 s[28:29], s[28:29], exec
	v_lshl_add_u64 v[26:27], v[26:27], 0, 4
	v_lshl_add_u64 v[24:25], v[24:25], 0, 4
	s_waitcnt vmcnt(0)
	v_cmp_ne_u32_e32 vcc, v1, v28
	s_and_b64 s[34:35], vcc, exec
	s_or_b64 s[28:29], s[28:29], s[34:35]
.LBB1545_107:                           ;   in Loop: Header=BB1545_108 Depth=1
	s_and_b64 s[34:35], exec, s[28:29]
	s_or_b64 s[26:27], s[34:35], s[26:27]
	v_mov_b64_e32 v[28:29], s[30:31]
	s_andn2_b64 exec, exec, s[26:27]
	s_cbranch_execz .LBB1545_110
.LBB1545_108:                           ; =>This Inner Loop Header: Depth=1
	s_or_b64 s[28:29], s[28:29], exec
	s_cmp_eq_u64 s[22:23], s[30:31]
	s_cbranch_scc0 .LBB1545_106
; %bb.109:                              ;   in Loop: Header=BB1545_108 Depth=1
                                        ; implicit-def: $vgpr26_vgpr27
                                        ; implicit-def: $vgpr24_vgpr25
	s_mov_b64 s[30:31], s[12:13]
	s_branch .LBB1545_107
.LBB1545_110:
	s_or_b64 exec, exec, s[26:27]
	v_cmp_gt_i64_e32 vcc, s[12:13], v[28:29]
	s_mov_b32 s21, 0
	v_mov_b32_e32 v57, s21
	v_cndmask_b32_e64 v56, 0, 1, vcc
.LBB1545_111:
	s_or_b64 exec, exec, s[18:19]
.LBB1545_112:
	s_and_b64 vcc, exec, s[2:3]
	s_cbranch_vccnz .LBB1545_119
; %bb.113:
	v_mul_lo_u32 v1, v3, s12
	v_mul_lo_u32 v26, v2, s13
	v_mad_u64_u32 v[24:25], s[18:19], v2, s12, 0
	v_add3_u32 v25, v25, v26, v1
	v_lshl_add_u64 v[24:25], v[24:25], 2, s[14:15]
	global_load_dword v1, v[22:23], off
	global_load_dword v26, v[24:25], off
	v_mov_b64_e32 v[58:59], 1
	s_waitcnt vmcnt(0)
	v_cmp_eq_u32_e32 vcc, v1, v26
	s_and_saveexec_b64 s[18:19], vcc
	s_cbranch_execz .LBB1545_121
; %bb.114:
	s_add_u32 s22, s12, -1
	v_lshl_add_u64 v[24:25], v[24:25], 0, 4
	v_lshl_add_u64 v[22:23], v[22:23], 0, 4
	s_addc_u32 s23, s13, -1
	s_mov_b64 s[26:27], 0
	s_mov_b64 s[30:31], 0
                                        ; implicit-def: $sgpr28_sgpr29
	s_branch .LBB1545_117
.LBB1545_115:                           ;   in Loop: Header=BB1545_117 Depth=1
	global_load_dword v1, v[22:23], off
	global_load_dword v26, v[24:25], off
	s_add_u32 s30, s30, 1
	s_addc_u32 s31, s31, 0
	s_andn2_b64 s[28:29], s[28:29], exec
	v_lshl_add_u64 v[24:25], v[24:25], 0, 4
	v_lshl_add_u64 v[22:23], v[22:23], 0, 4
	s_waitcnt vmcnt(0)
	v_cmp_ne_u32_e32 vcc, v1, v26
	s_and_b64 s[34:35], vcc, exec
	s_or_b64 s[28:29], s[28:29], s[34:35]
.LBB1545_116:                           ;   in Loop: Header=BB1545_117 Depth=1
	s_and_b64 s[34:35], exec, s[28:29]
	s_or_b64 s[26:27], s[34:35], s[26:27]
	v_mov_b64_e32 v[26:27], s[30:31]
	s_andn2_b64 exec, exec, s[26:27]
	s_cbranch_execz .LBB1545_120
.LBB1545_117:                           ; =>This Inner Loop Header: Depth=1
	s_or_b64 s[28:29], s[28:29], exec
	s_cmp_eq_u64 s[22:23], s[30:31]
	s_cbranch_scc0 .LBB1545_115
; %bb.118:                              ;   in Loop: Header=BB1545_117 Depth=1
                                        ; implicit-def: $vgpr24_vgpr25
                                        ; implicit-def: $vgpr22_vgpr23
	s_mov_b64 s[30:31], s[12:13]
	s_branch .LBB1545_116
.LBB1545_119:
	v_mov_b64_e32 v[58:59], 0
	s_branch .LBB1545_122
.LBB1545_120:
	s_or_b64 exec, exec, s[26:27]
	v_cmp_gt_i64_e32 vcc, s[12:13], v[26:27]
	s_mov_b32 s21, 0
	v_mov_b32_e32 v59, s21
	v_cndmask_b32_e64 v58, 0, 1, vcc
.LBB1545_121:
	s_or_b64 exec, exec, s[18:19]
.LBB1545_122:
	v_cmp_ne_u32_e32 vcc, 0, v0
	s_waitcnt lgkmcnt(0)
	v_mov_b64_e32 v[22:23], s[16:17]
	s_barrier
	s_and_saveexec_b64 s[18:19], vcc
	s_cbranch_execz .LBB1545_124
; %bb.123:
	v_add_u32_e32 v1, -8, v40
	ds_read_b64 v[22:23], v1
.LBB1545_124:
	s_or_b64 exec, exec, s[18:19]
	s_mov_b64 s[26:27], 0
	s_and_b64 vcc, exec, s[2:3]
	s_mov_b64 s[18:19], 0
	s_cbranch_vccnz .LBB1545_133
; %bb.125:
	v_mul_lo_u32 v1, v3, s12
	v_mul_lo_u32 v26, v2, s13
	v_mad_u64_u32 v[24:25], s[2:3], v2, s12, 0
	v_add3_u32 v25, v25, v26, v1
	s_waitcnt lgkmcnt(0)
	v_mul_lo_u32 v1, v23, s12
	v_mul_lo_u32 v26, v22, s13
	v_mad_u64_u32 v[22:23], s[2:3], v22, s12, 0
	v_add3_u32 v23, v23, v26, v1
	v_lshl_add_u64 v[24:25], v[24:25], 2, s[14:15]
	v_lshl_add_u64 v[22:23], v[22:23], 2, s[14:15]
	global_load_dword v1, v[24:25], off
	global_load_dword v26, v[22:23], off
	s_mov_b64 s[18:19], -1
	s_waitcnt vmcnt(0)
	v_cmp_eq_u32_e32 vcc, v1, v26
	s_and_saveexec_b64 s[2:3], vcc
	s_cbranch_execz .LBB1545_132
; %bb.126:
	s_add_u32 s18, s12, -1
	v_lshl_add_u64 v[22:23], v[22:23], 0, 4
	v_lshl_add_u64 v[24:25], v[24:25], 0, 4
	s_addc_u32 s19, s13, -1
	s_mov_b64 s[22:23], 0
	s_mov_b64 s[30:31], 0
                                        ; implicit-def: $sgpr28_sgpr29
	s_branch .LBB1545_129
.LBB1545_127:                           ;   in Loop: Header=BB1545_129 Depth=1
	global_load_dword v1, v[24:25], off
	global_load_dword v26, v[22:23], off
	s_add_u32 s30, s30, 1
	s_addc_u32 s31, s31, 0
	s_andn2_b64 s[28:29], s[28:29], exec
	v_lshl_add_u64 v[22:23], v[22:23], 0, 4
	v_lshl_add_u64 v[24:25], v[24:25], 0, 4
	s_waitcnt vmcnt(0)
	v_cmp_ne_u32_e32 vcc, v1, v26
	s_and_b64 s[34:35], vcc, exec
	s_or_b64 s[28:29], s[28:29], s[34:35]
.LBB1545_128:                           ;   in Loop: Header=BB1545_129 Depth=1
	s_and_b64 s[34:35], exec, s[28:29]
	s_or_b64 s[22:23], s[34:35], s[22:23]
	v_mov_b64_e32 v[26:27], s[30:31]
	s_andn2_b64 exec, exec, s[22:23]
	s_cbranch_execz .LBB1545_131
.LBB1545_129:                           ; =>This Inner Loop Header: Depth=1
	s_or_b64 s[28:29], s[28:29], exec
	s_cmp_eq_u64 s[18:19], s[30:31]
	s_cbranch_scc0 .LBB1545_127
; %bb.130:                              ;   in Loop: Header=BB1545_129 Depth=1
                                        ; implicit-def: $vgpr22_vgpr23
                                        ; implicit-def: $vgpr24_vgpr25
	s_mov_b64 s[30:31], s[12:13]
	s_branch .LBB1545_128
.LBB1545_131:
	s_or_b64 exec, exec, s[22:23]
	v_cmp_gt_i64_e32 vcc, s[12:13], v[26:27]
	s_orn2_b64 s[18:19], vcc, exec
.LBB1545_132:
	s_or_b64 exec, exec, s[2:3]
.LBB1545_133:
	s_mov_b64 s[22:23], -1
	s_and_b64 vcc, exec, s[26:27]
	s_cbranch_vccz .LBB1545_37
.LBB1545_134:
	s_mul_i32 s21, s24, 0xfffff500
	s_add_i32 s21, s21, s10
	s_waitcnt lgkmcnt(0)
	v_mad_u32_u24 v22, v0, 11, 10
	v_cmp_gt_i64_e64 s[2:3], s[12:13], 0
	v_cmp_gt_u32_e32 vcc, s21, v22
	v_mul_u32_u24_e32 v1, 11, v0
	v_cndmask_b32_e64 v22, 0, 1, s[2:3]
	v_cmp_ne_u32_e64 s[2:3], 1, v22
	v_mov_b64_e32 v[42:43], v[36:37]
	ds_write_b64 v40, v[36:37]
	s_and_saveexec_b64 s[18:19], vcc
	s_cbranch_execz .LBB1545_145
; %bb.135:
	s_and_b64 vcc, exec, s[2:3]
	s_cbranch_vccnz .LBB1545_142
; %bb.136:
	v_mul_lo_u32 v24, v37, s12
	v_mul_lo_u32 v25, v36, s13
	v_mad_u64_u32 v[22:23], s[24:25], v36, s12, 0
	v_add3_u32 v23, v23, v25, v24
	v_mul_lo_u32 v24, v21, s12
	v_mul_lo_u32 v25, v20, s13
	v_mad_u64_u32 v[26:27], s[24:25], v20, s12, 0
	v_add3_u32 v27, v27, v25, v24
	v_lshl_add_u64 v[24:25], v[22:23], 2, s[14:15]
	v_lshl_add_u64 v[22:23], v[26:27], 2, s[14:15]
	global_load_dword v26, v[24:25], off
	global_load_dword v27, v[22:23], off
	v_mov_b64_e32 v[42:43], 1
	s_waitcnt vmcnt(0)
	v_cmp_eq_u32_e32 vcc, v26, v27
	s_and_saveexec_b64 s[24:25], vcc
	s_cbranch_execz .LBB1545_144
; %bb.137:
	s_add_u32 s26, s12, -1
	v_lshl_add_u64 v[22:23], v[22:23], 0, 4
	v_lshl_add_u64 v[24:25], v[24:25], 0, 4
	s_addc_u32 s27, s13, -1
	s_mov_b64 s[28:29], 0
	s_mov_b64 s[34:35], 0
                                        ; implicit-def: $sgpr30_sgpr31
	s_branch .LBB1545_140
.LBB1545_138:                           ;   in Loop: Header=BB1545_140 Depth=1
	global_load_dword v26, v[24:25], off
	global_load_dword v27, v[22:23], off
	s_add_u32 s34, s34, 1
	s_addc_u32 s35, s35, 0
	s_andn2_b64 s[30:31], s[30:31], exec
	v_lshl_add_u64 v[22:23], v[22:23], 0, 4
	v_lshl_add_u64 v[24:25], v[24:25], 0, 4
	s_waitcnt vmcnt(0)
	v_cmp_ne_u32_e32 vcc, v26, v27
	s_and_b64 s[36:37], vcc, exec
	s_or_b64 s[30:31], s[30:31], s[36:37]
.LBB1545_139:                           ;   in Loop: Header=BB1545_140 Depth=1
	s_and_b64 s[36:37], exec, s[30:31]
	s_or_b64 s[28:29], s[36:37], s[28:29]
	v_mov_b64_e32 v[26:27], s[34:35]
	s_andn2_b64 exec, exec, s[28:29]
	s_cbranch_execz .LBB1545_143
.LBB1545_140:                           ; =>This Inner Loop Header: Depth=1
	s_or_b64 s[30:31], s[30:31], exec
	s_cmp_eq_u64 s[26:27], s[34:35]
	s_cbranch_scc0 .LBB1545_138
; %bb.141:                              ;   in Loop: Header=BB1545_140 Depth=1
                                        ; implicit-def: $vgpr22_vgpr23
                                        ; implicit-def: $vgpr24_vgpr25
	s_mov_b64 s[34:35], s[12:13]
	s_branch .LBB1545_139
.LBB1545_142:
	v_mov_b64_e32 v[42:43], 0
	s_branch .LBB1545_145
.LBB1545_143:
	s_or_b64 exec, exec, s[28:29]
	v_cmp_gt_i64_e32 vcc, s[12:13], v[26:27]
	s_mov_b32 s26, 0
	v_mov_b32_e32 v43, s26
	v_cndmask_b32_e64 v42, 0, 1, vcc
.LBB1545_144:
	s_or_b64 exec, exec, s[24:25]
.LBB1545_145:
	s_or_b64 exec, exec, s[18:19]
	v_add_u32_e32 v22, 9, v1
	v_cmp_gt_u32_e32 vcc, s21, v22
	v_mov_b64_e32 v[44:45], v[20:21]
	s_and_saveexec_b64 s[18:19], vcc
	s_cbranch_execz .LBB1545_156
; %bb.146:
	s_and_b64 vcc, exec, s[2:3]
	s_cbranch_vccnz .LBB1545_153
; %bb.147:
	v_mul_lo_u32 v24, v21, s12
	v_mul_lo_u32 v25, v20, s13
	v_mad_u64_u32 v[22:23], s[24:25], v20, s12, 0
	v_add3_u32 v23, v23, v25, v24
	v_mul_lo_u32 v24, v19, s12
	v_mul_lo_u32 v25, v18, s13
	v_mad_u64_u32 v[26:27], s[24:25], v18, s12, 0
	v_add3_u32 v27, v27, v25, v24
	v_lshl_add_u64 v[24:25], v[22:23], 2, s[14:15]
	v_lshl_add_u64 v[22:23], v[26:27], 2, s[14:15]
	global_load_dword v26, v[24:25], off
	global_load_dword v27, v[22:23], off
	v_mov_b64_e32 v[44:45], 1
	s_waitcnt vmcnt(0)
	v_cmp_eq_u32_e32 vcc, v26, v27
	s_and_saveexec_b64 s[24:25], vcc
	s_cbranch_execz .LBB1545_155
; %bb.148:
	s_add_u32 s26, s12, -1
	v_lshl_add_u64 v[22:23], v[22:23], 0, 4
	v_lshl_add_u64 v[24:25], v[24:25], 0, 4
	s_addc_u32 s27, s13, -1
	s_mov_b64 s[28:29], 0
	s_mov_b64 s[34:35], 0
                                        ; implicit-def: $sgpr30_sgpr31
	s_branch .LBB1545_151
.LBB1545_149:                           ;   in Loop: Header=BB1545_151 Depth=1
	global_load_dword v26, v[24:25], off
	global_load_dword v27, v[22:23], off
	s_add_u32 s34, s34, 1
	s_addc_u32 s35, s35, 0
	s_andn2_b64 s[30:31], s[30:31], exec
	v_lshl_add_u64 v[22:23], v[22:23], 0, 4
	v_lshl_add_u64 v[24:25], v[24:25], 0, 4
	s_waitcnt vmcnt(0)
	v_cmp_ne_u32_e32 vcc, v26, v27
	s_and_b64 s[36:37], vcc, exec
	s_or_b64 s[30:31], s[30:31], s[36:37]
.LBB1545_150:                           ;   in Loop: Header=BB1545_151 Depth=1
	s_and_b64 s[36:37], exec, s[30:31]
	s_or_b64 s[28:29], s[36:37], s[28:29]
	v_mov_b64_e32 v[26:27], s[34:35]
	s_andn2_b64 exec, exec, s[28:29]
	s_cbranch_execz .LBB1545_154
.LBB1545_151:                           ; =>This Inner Loop Header: Depth=1
	s_or_b64 s[30:31], s[30:31], exec
	s_cmp_eq_u64 s[26:27], s[34:35]
	s_cbranch_scc0 .LBB1545_149
; %bb.152:                              ;   in Loop: Header=BB1545_151 Depth=1
                                        ; implicit-def: $vgpr22_vgpr23
                                        ; implicit-def: $vgpr24_vgpr25
	s_mov_b64 s[34:35], s[12:13]
	s_branch .LBB1545_150
.LBB1545_153:
	v_mov_b64_e32 v[44:45], 0
	s_branch .LBB1545_156
.LBB1545_154:
	s_or_b64 exec, exec, s[28:29]
	v_cmp_gt_i64_e32 vcc, s[12:13], v[26:27]
	s_mov_b32 s26, 0
	v_mov_b32_e32 v45, s26
	v_cndmask_b32_e64 v44, 0, 1, vcc
.LBB1545_155:
	s_or_b64 exec, exec, s[24:25]
.LBB1545_156:
	s_or_b64 exec, exec, s[18:19]
	v_add_u32_e32 v22, 8, v1
	v_cmp_gt_u32_e32 vcc, s21, v22
	v_mov_b64_e32 v[38:39], v[18:19]
	s_and_saveexec_b64 s[18:19], vcc
	s_cbranch_execz .LBB1545_167
; %bb.157:
	s_and_b64 vcc, exec, s[2:3]
	s_cbranch_vccnz .LBB1545_164
; %bb.158:
	v_mul_lo_u32 v24, v19, s12
	v_mul_lo_u32 v25, v18, s13
	v_mad_u64_u32 v[22:23], s[24:25], v18, s12, 0
	v_add3_u32 v23, v23, v25, v24
	v_mul_lo_u32 v24, v17, s12
	v_mul_lo_u32 v25, v16, s13
	v_mad_u64_u32 v[26:27], s[24:25], v16, s12, 0
	v_add3_u32 v27, v27, v25, v24
	v_lshl_add_u64 v[24:25], v[22:23], 2, s[14:15]
	v_lshl_add_u64 v[22:23], v[26:27], 2, s[14:15]
	global_load_dword v26, v[24:25], off
	global_load_dword v27, v[22:23], off
	v_mov_b64_e32 v[38:39], 1
	s_waitcnt vmcnt(0)
	v_cmp_eq_u32_e32 vcc, v26, v27
	s_and_saveexec_b64 s[24:25], vcc
	s_cbranch_execz .LBB1545_166
; %bb.159:
	s_add_u32 s26, s12, -1
	v_lshl_add_u64 v[22:23], v[22:23], 0, 4
	v_lshl_add_u64 v[24:25], v[24:25], 0, 4
	s_addc_u32 s27, s13, -1
	s_mov_b64 s[28:29], 0
	s_mov_b64 s[34:35], 0
                                        ; implicit-def: $sgpr30_sgpr31
	s_branch .LBB1545_162
.LBB1545_160:                           ;   in Loop: Header=BB1545_162 Depth=1
	global_load_dword v26, v[24:25], off
	global_load_dword v27, v[22:23], off
	s_add_u32 s34, s34, 1
	s_addc_u32 s35, s35, 0
	s_andn2_b64 s[30:31], s[30:31], exec
	v_lshl_add_u64 v[22:23], v[22:23], 0, 4
	v_lshl_add_u64 v[24:25], v[24:25], 0, 4
	s_waitcnt vmcnt(0)
	v_cmp_ne_u32_e32 vcc, v26, v27
	s_and_b64 s[36:37], vcc, exec
	s_or_b64 s[30:31], s[30:31], s[36:37]
.LBB1545_161:                           ;   in Loop: Header=BB1545_162 Depth=1
	s_and_b64 s[36:37], exec, s[30:31]
	s_or_b64 s[28:29], s[36:37], s[28:29]
	v_mov_b64_e32 v[26:27], s[34:35]
	s_andn2_b64 exec, exec, s[28:29]
	s_cbranch_execz .LBB1545_165
.LBB1545_162:                           ; =>This Inner Loop Header: Depth=1
	s_or_b64 s[30:31], s[30:31], exec
	s_cmp_eq_u64 s[26:27], s[34:35]
	s_cbranch_scc0 .LBB1545_160
; %bb.163:                              ;   in Loop: Header=BB1545_162 Depth=1
                                        ; implicit-def: $vgpr22_vgpr23
                                        ; implicit-def: $vgpr24_vgpr25
	s_mov_b64 s[34:35], s[12:13]
	s_branch .LBB1545_161
.LBB1545_164:
	v_mov_b64_e32 v[38:39], 0
	s_branch .LBB1545_167
.LBB1545_165:
	s_or_b64 exec, exec, s[28:29]
	v_cmp_gt_i64_e32 vcc, s[12:13], v[26:27]
	s_mov_b32 s26, 0
	v_mov_b32_e32 v39, s26
	v_cndmask_b32_e64 v38, 0, 1, vcc
.LBB1545_166:
	s_or_b64 exec, exec, s[24:25]
.LBB1545_167:
	s_or_b64 exec, exec, s[18:19]
	v_add_u32_e32 v22, 7, v1
	v_cmp_gt_u32_e32 vcc, s21, v22
	v_mov_b64_e32 v[46:47], v[16:17]
	s_and_saveexec_b64 s[18:19], vcc
	s_cbranch_execz .LBB1545_178
; %bb.168:
	s_and_b64 vcc, exec, s[2:3]
	s_cbranch_vccnz .LBB1545_175
; %bb.169:
	v_mul_lo_u32 v24, v17, s12
	v_mul_lo_u32 v25, v16, s13
	v_mad_u64_u32 v[22:23], s[24:25], v16, s12, 0
	v_add3_u32 v23, v23, v25, v24
	v_mul_lo_u32 v24, v15, s12
	v_mul_lo_u32 v25, v14, s13
	v_mad_u64_u32 v[26:27], s[24:25], v14, s12, 0
	v_add3_u32 v27, v27, v25, v24
	v_lshl_add_u64 v[24:25], v[22:23], 2, s[14:15]
	v_lshl_add_u64 v[22:23], v[26:27], 2, s[14:15]
	global_load_dword v26, v[24:25], off
	global_load_dword v27, v[22:23], off
	v_mov_b64_e32 v[46:47], 1
	s_waitcnt vmcnt(0)
	v_cmp_eq_u32_e32 vcc, v26, v27
	s_and_saveexec_b64 s[24:25], vcc
	s_cbranch_execz .LBB1545_177
; %bb.170:
	s_add_u32 s26, s12, -1
	v_lshl_add_u64 v[22:23], v[22:23], 0, 4
	v_lshl_add_u64 v[24:25], v[24:25], 0, 4
	s_addc_u32 s27, s13, -1
	s_mov_b64 s[28:29], 0
	s_mov_b64 s[34:35], 0
                                        ; implicit-def: $sgpr30_sgpr31
	s_branch .LBB1545_173
.LBB1545_171:                           ;   in Loop: Header=BB1545_173 Depth=1
	global_load_dword v26, v[24:25], off
	global_load_dword v27, v[22:23], off
	s_add_u32 s34, s34, 1
	s_addc_u32 s35, s35, 0
	s_andn2_b64 s[30:31], s[30:31], exec
	v_lshl_add_u64 v[22:23], v[22:23], 0, 4
	v_lshl_add_u64 v[24:25], v[24:25], 0, 4
	s_waitcnt vmcnt(0)
	v_cmp_ne_u32_e32 vcc, v26, v27
	s_and_b64 s[36:37], vcc, exec
	s_or_b64 s[30:31], s[30:31], s[36:37]
.LBB1545_172:                           ;   in Loop: Header=BB1545_173 Depth=1
	s_and_b64 s[36:37], exec, s[30:31]
	s_or_b64 s[28:29], s[36:37], s[28:29]
	v_mov_b64_e32 v[26:27], s[34:35]
	s_andn2_b64 exec, exec, s[28:29]
	s_cbranch_execz .LBB1545_176
.LBB1545_173:                           ; =>This Inner Loop Header: Depth=1
	s_or_b64 s[30:31], s[30:31], exec
	s_cmp_eq_u64 s[26:27], s[34:35]
	s_cbranch_scc0 .LBB1545_171
; %bb.174:                              ;   in Loop: Header=BB1545_173 Depth=1
                                        ; implicit-def: $vgpr22_vgpr23
                                        ; implicit-def: $vgpr24_vgpr25
	s_mov_b64 s[34:35], s[12:13]
	s_branch .LBB1545_172
.LBB1545_175:
	v_mov_b64_e32 v[46:47], 0
	s_branch .LBB1545_178
.LBB1545_176:
	s_or_b64 exec, exec, s[28:29]
	v_cmp_gt_i64_e32 vcc, s[12:13], v[26:27]
	s_mov_b32 s26, 0
	v_mov_b32_e32 v47, s26
	v_cndmask_b32_e64 v46, 0, 1, vcc
.LBB1545_177:
	s_or_b64 exec, exec, s[24:25]
.LBB1545_178:
	s_or_b64 exec, exec, s[18:19]
	v_add_u32_e32 v22, 6, v1
	v_cmp_gt_u32_e32 vcc, s21, v22
	v_mov_b64_e32 v[48:49], v[14:15]
	s_and_saveexec_b64 s[18:19], vcc
	s_cbranch_execz .LBB1545_189
; %bb.179:
	s_and_b64 vcc, exec, s[2:3]
	s_cbranch_vccnz .LBB1545_186
; %bb.180:
	v_mul_lo_u32 v24, v15, s12
	v_mul_lo_u32 v25, v14, s13
	v_mad_u64_u32 v[22:23], s[24:25], v14, s12, 0
	v_add3_u32 v23, v23, v25, v24
	v_mul_lo_u32 v24, v13, s12
	v_mul_lo_u32 v25, v12, s13
	v_mad_u64_u32 v[26:27], s[24:25], v12, s12, 0
	v_add3_u32 v27, v27, v25, v24
	v_lshl_add_u64 v[24:25], v[22:23], 2, s[14:15]
	v_lshl_add_u64 v[22:23], v[26:27], 2, s[14:15]
	global_load_dword v26, v[24:25], off
	global_load_dword v27, v[22:23], off
	v_mov_b64_e32 v[48:49], 1
	s_waitcnt vmcnt(0)
	v_cmp_eq_u32_e32 vcc, v26, v27
	s_and_saveexec_b64 s[24:25], vcc
	s_cbranch_execz .LBB1545_188
; %bb.181:
	s_add_u32 s26, s12, -1
	v_lshl_add_u64 v[22:23], v[22:23], 0, 4
	v_lshl_add_u64 v[24:25], v[24:25], 0, 4
	s_addc_u32 s27, s13, -1
	s_mov_b64 s[28:29], 0
	s_mov_b64 s[34:35], 0
                                        ; implicit-def: $sgpr30_sgpr31
	s_branch .LBB1545_184
.LBB1545_182:                           ;   in Loop: Header=BB1545_184 Depth=1
	global_load_dword v26, v[24:25], off
	global_load_dword v27, v[22:23], off
	s_add_u32 s34, s34, 1
	s_addc_u32 s35, s35, 0
	s_andn2_b64 s[30:31], s[30:31], exec
	v_lshl_add_u64 v[22:23], v[22:23], 0, 4
	v_lshl_add_u64 v[24:25], v[24:25], 0, 4
	s_waitcnt vmcnt(0)
	v_cmp_ne_u32_e32 vcc, v26, v27
	s_and_b64 s[36:37], vcc, exec
	s_or_b64 s[30:31], s[30:31], s[36:37]
.LBB1545_183:                           ;   in Loop: Header=BB1545_184 Depth=1
	s_and_b64 s[36:37], exec, s[30:31]
	s_or_b64 s[28:29], s[36:37], s[28:29]
	v_mov_b64_e32 v[26:27], s[34:35]
	s_andn2_b64 exec, exec, s[28:29]
	s_cbranch_execz .LBB1545_187
.LBB1545_184:                           ; =>This Inner Loop Header: Depth=1
	s_or_b64 s[30:31], s[30:31], exec
	s_cmp_eq_u64 s[26:27], s[34:35]
	s_cbranch_scc0 .LBB1545_182
; %bb.185:                              ;   in Loop: Header=BB1545_184 Depth=1
                                        ; implicit-def: $vgpr22_vgpr23
                                        ; implicit-def: $vgpr24_vgpr25
	s_mov_b64 s[34:35], s[12:13]
	s_branch .LBB1545_183
.LBB1545_186:
	v_mov_b64_e32 v[48:49], 0
	s_branch .LBB1545_189
.LBB1545_187:
	s_or_b64 exec, exec, s[28:29]
	v_cmp_gt_i64_e32 vcc, s[12:13], v[26:27]
	s_mov_b32 s26, 0
	v_mov_b32_e32 v49, s26
	v_cndmask_b32_e64 v48, 0, 1, vcc
.LBB1545_188:
	s_or_b64 exec, exec, s[24:25]
.LBB1545_189:
	s_or_b64 exec, exec, s[18:19]
	v_add_u32_e32 v22, 5, v1
	v_cmp_gt_u32_e32 vcc, s21, v22
	v_mov_b64_e32 v[50:51], v[12:13]
	s_and_saveexec_b64 s[18:19], vcc
	s_cbranch_execz .LBB1545_200
; %bb.190:
	s_and_b64 vcc, exec, s[2:3]
	s_cbranch_vccnz .LBB1545_197
; %bb.191:
	v_mul_lo_u32 v24, v13, s12
	v_mul_lo_u32 v25, v12, s13
	v_mad_u64_u32 v[22:23], s[24:25], v12, s12, 0
	v_add3_u32 v23, v23, v25, v24
	v_mul_lo_u32 v24, v11, s12
	v_mul_lo_u32 v25, v10, s13
	v_mad_u64_u32 v[26:27], s[24:25], v10, s12, 0
	v_add3_u32 v27, v27, v25, v24
	v_lshl_add_u64 v[24:25], v[22:23], 2, s[14:15]
	v_lshl_add_u64 v[22:23], v[26:27], 2, s[14:15]
	global_load_dword v26, v[24:25], off
	global_load_dword v27, v[22:23], off
	v_mov_b64_e32 v[50:51], 1
	s_waitcnt vmcnt(0)
	v_cmp_eq_u32_e32 vcc, v26, v27
	s_and_saveexec_b64 s[24:25], vcc
	s_cbranch_execz .LBB1545_199
; %bb.192:
	s_add_u32 s26, s12, -1
	v_lshl_add_u64 v[22:23], v[22:23], 0, 4
	v_lshl_add_u64 v[24:25], v[24:25], 0, 4
	s_addc_u32 s27, s13, -1
	s_mov_b64 s[28:29], 0
	s_mov_b64 s[34:35], 0
                                        ; implicit-def: $sgpr30_sgpr31
	s_branch .LBB1545_195
.LBB1545_193:                           ;   in Loop: Header=BB1545_195 Depth=1
	global_load_dword v26, v[24:25], off
	global_load_dword v27, v[22:23], off
	s_add_u32 s34, s34, 1
	s_addc_u32 s35, s35, 0
	s_andn2_b64 s[30:31], s[30:31], exec
	v_lshl_add_u64 v[22:23], v[22:23], 0, 4
	v_lshl_add_u64 v[24:25], v[24:25], 0, 4
	s_waitcnt vmcnt(0)
	v_cmp_ne_u32_e32 vcc, v26, v27
	s_and_b64 s[36:37], vcc, exec
	s_or_b64 s[30:31], s[30:31], s[36:37]
.LBB1545_194:                           ;   in Loop: Header=BB1545_195 Depth=1
	s_and_b64 s[36:37], exec, s[30:31]
	s_or_b64 s[28:29], s[36:37], s[28:29]
	v_mov_b64_e32 v[26:27], s[34:35]
	s_andn2_b64 exec, exec, s[28:29]
	s_cbranch_execz .LBB1545_198
.LBB1545_195:                           ; =>This Inner Loop Header: Depth=1
	s_or_b64 s[30:31], s[30:31], exec
	s_cmp_eq_u64 s[26:27], s[34:35]
	s_cbranch_scc0 .LBB1545_193
; %bb.196:                              ;   in Loop: Header=BB1545_195 Depth=1
                                        ; implicit-def: $vgpr22_vgpr23
                                        ; implicit-def: $vgpr24_vgpr25
	s_mov_b64 s[34:35], s[12:13]
	s_branch .LBB1545_194
.LBB1545_197:
	v_mov_b64_e32 v[50:51], 0
	s_branch .LBB1545_200
.LBB1545_198:
	s_or_b64 exec, exec, s[28:29]
	v_cmp_gt_i64_e32 vcc, s[12:13], v[26:27]
	s_mov_b32 s26, 0
	v_mov_b32_e32 v51, s26
	v_cndmask_b32_e64 v50, 0, 1, vcc
.LBB1545_199:
	s_or_b64 exec, exec, s[24:25]
.LBB1545_200:
	s_or_b64 exec, exec, s[18:19]
	v_add_u32_e32 v22, 4, v1
	v_cmp_gt_u32_e32 vcc, s21, v22
	v_mov_b64_e32 v[52:53], v[10:11]
	s_and_saveexec_b64 s[18:19], vcc
	s_cbranch_execz .LBB1545_211
; %bb.201:
	s_and_b64 vcc, exec, s[2:3]
	s_cbranch_vccnz .LBB1545_208
; %bb.202:
	v_mul_lo_u32 v24, v11, s12
	v_mul_lo_u32 v25, v10, s13
	v_mad_u64_u32 v[22:23], s[24:25], v10, s12, 0
	v_add3_u32 v23, v23, v25, v24
	v_mul_lo_u32 v24, v9, s12
	v_mul_lo_u32 v25, v8, s13
	v_mad_u64_u32 v[26:27], s[24:25], v8, s12, 0
	v_add3_u32 v27, v27, v25, v24
	v_lshl_add_u64 v[24:25], v[22:23], 2, s[14:15]
	v_lshl_add_u64 v[22:23], v[26:27], 2, s[14:15]
	global_load_dword v26, v[24:25], off
	global_load_dword v27, v[22:23], off
	v_mov_b64_e32 v[52:53], 1
	s_waitcnt vmcnt(0)
	v_cmp_eq_u32_e32 vcc, v26, v27
	s_and_saveexec_b64 s[24:25], vcc
	s_cbranch_execz .LBB1545_210
; %bb.203:
	s_add_u32 s26, s12, -1
	v_lshl_add_u64 v[22:23], v[22:23], 0, 4
	v_lshl_add_u64 v[24:25], v[24:25], 0, 4
	s_addc_u32 s27, s13, -1
	s_mov_b64 s[28:29], 0
	s_mov_b64 s[34:35], 0
                                        ; implicit-def: $sgpr30_sgpr31
	s_branch .LBB1545_206
.LBB1545_204:                           ;   in Loop: Header=BB1545_206 Depth=1
	global_load_dword v26, v[24:25], off
	global_load_dword v27, v[22:23], off
	s_add_u32 s34, s34, 1
	s_addc_u32 s35, s35, 0
	s_andn2_b64 s[30:31], s[30:31], exec
	v_lshl_add_u64 v[22:23], v[22:23], 0, 4
	v_lshl_add_u64 v[24:25], v[24:25], 0, 4
	s_waitcnt vmcnt(0)
	v_cmp_ne_u32_e32 vcc, v26, v27
	s_and_b64 s[36:37], vcc, exec
	s_or_b64 s[30:31], s[30:31], s[36:37]
.LBB1545_205:                           ;   in Loop: Header=BB1545_206 Depth=1
	s_and_b64 s[36:37], exec, s[30:31]
	s_or_b64 s[28:29], s[36:37], s[28:29]
	v_mov_b64_e32 v[26:27], s[34:35]
	s_andn2_b64 exec, exec, s[28:29]
	s_cbranch_execz .LBB1545_209
.LBB1545_206:                           ; =>This Inner Loop Header: Depth=1
	s_or_b64 s[30:31], s[30:31], exec
	s_cmp_eq_u64 s[26:27], s[34:35]
	s_cbranch_scc0 .LBB1545_204
; %bb.207:                              ;   in Loop: Header=BB1545_206 Depth=1
                                        ; implicit-def: $vgpr22_vgpr23
                                        ; implicit-def: $vgpr24_vgpr25
	s_mov_b64 s[34:35], s[12:13]
	s_branch .LBB1545_205
.LBB1545_208:
	v_mov_b64_e32 v[52:53], 0
	s_branch .LBB1545_211
.LBB1545_209:
	s_or_b64 exec, exec, s[28:29]
	v_cmp_gt_i64_e32 vcc, s[12:13], v[26:27]
	s_mov_b32 s26, 0
	v_mov_b32_e32 v53, s26
	v_cndmask_b32_e64 v52, 0, 1, vcc
.LBB1545_210:
	s_or_b64 exec, exec, s[24:25]
.LBB1545_211:
	s_or_b64 exec, exec, s[18:19]
	v_add_u32_e32 v22, 3, v1
	v_cmp_gt_u32_e32 vcc, s21, v22
	v_mov_b64_e32 v[54:55], v[8:9]
	s_and_saveexec_b64 s[18:19], vcc
	s_cbranch_execz .LBB1545_222
; %bb.212:
	s_and_b64 vcc, exec, s[2:3]
	s_cbranch_vccnz .LBB1545_219
; %bb.213:
	v_mul_lo_u32 v24, v9, s12
	v_mul_lo_u32 v25, v8, s13
	v_mad_u64_u32 v[22:23], s[24:25], v8, s12, 0
	v_add3_u32 v23, v23, v25, v24
	v_mul_lo_u32 v24, v7, s12
	v_mul_lo_u32 v25, v6, s13
	v_mad_u64_u32 v[26:27], s[24:25], v6, s12, 0
	v_add3_u32 v27, v27, v25, v24
	v_lshl_add_u64 v[24:25], v[22:23], 2, s[14:15]
	v_lshl_add_u64 v[22:23], v[26:27], 2, s[14:15]
	global_load_dword v26, v[24:25], off
	global_load_dword v27, v[22:23], off
	v_mov_b64_e32 v[54:55], 1
	s_waitcnt vmcnt(0)
	v_cmp_eq_u32_e32 vcc, v26, v27
	s_and_saveexec_b64 s[24:25], vcc
	s_cbranch_execz .LBB1545_221
; %bb.214:
	s_add_u32 s26, s12, -1
	v_lshl_add_u64 v[22:23], v[22:23], 0, 4
	v_lshl_add_u64 v[24:25], v[24:25], 0, 4
	s_addc_u32 s27, s13, -1
	s_mov_b64 s[28:29], 0
	s_mov_b64 s[34:35], 0
                                        ; implicit-def: $sgpr30_sgpr31
	s_branch .LBB1545_217
.LBB1545_215:                           ;   in Loop: Header=BB1545_217 Depth=1
	global_load_dword v26, v[24:25], off
	global_load_dword v27, v[22:23], off
	s_add_u32 s34, s34, 1
	s_addc_u32 s35, s35, 0
	s_andn2_b64 s[30:31], s[30:31], exec
	v_lshl_add_u64 v[22:23], v[22:23], 0, 4
	v_lshl_add_u64 v[24:25], v[24:25], 0, 4
	s_waitcnt vmcnt(0)
	v_cmp_ne_u32_e32 vcc, v26, v27
	s_and_b64 s[36:37], vcc, exec
	s_or_b64 s[30:31], s[30:31], s[36:37]
.LBB1545_216:                           ;   in Loop: Header=BB1545_217 Depth=1
	s_and_b64 s[36:37], exec, s[30:31]
	s_or_b64 s[28:29], s[36:37], s[28:29]
	v_mov_b64_e32 v[26:27], s[34:35]
	s_andn2_b64 exec, exec, s[28:29]
	s_cbranch_execz .LBB1545_220
.LBB1545_217:                           ; =>This Inner Loop Header: Depth=1
	s_or_b64 s[30:31], s[30:31], exec
	s_cmp_eq_u64 s[26:27], s[34:35]
	s_cbranch_scc0 .LBB1545_215
; %bb.218:                              ;   in Loop: Header=BB1545_217 Depth=1
                                        ; implicit-def: $vgpr22_vgpr23
                                        ; implicit-def: $vgpr24_vgpr25
	s_mov_b64 s[34:35], s[12:13]
	s_branch .LBB1545_216
.LBB1545_219:
	v_mov_b64_e32 v[54:55], 0
	s_branch .LBB1545_222
.LBB1545_220:
	s_or_b64 exec, exec, s[28:29]
	v_cmp_gt_i64_e32 vcc, s[12:13], v[26:27]
	s_mov_b32 s26, 0
	v_mov_b32_e32 v55, s26
	v_cndmask_b32_e64 v54, 0, 1, vcc
.LBB1545_221:
	s_or_b64 exec, exec, s[24:25]
.LBB1545_222:
	s_or_b64 exec, exec, s[18:19]
	v_add_u32_e32 v22, 2, v1
	v_cmp_gt_u32_e32 vcc, s21, v22
	v_mov_b64_e32 v[56:57], v[6:7]
	s_and_saveexec_b64 s[18:19], vcc
	s_cbranch_execz .LBB1545_233
; %bb.223:
	s_and_b64 vcc, exec, s[2:3]
	s_cbranch_vccnz .LBB1545_230
; %bb.224:
	v_mul_lo_u32 v24, v7, s12
	v_mul_lo_u32 v25, v6, s13
	v_mad_u64_u32 v[22:23], s[24:25], v6, s12, 0
	v_add3_u32 v23, v23, v25, v24
	v_mul_lo_u32 v24, v5, s12
	v_mul_lo_u32 v25, v4, s13
	v_mad_u64_u32 v[26:27], s[24:25], v4, s12, 0
	v_add3_u32 v27, v27, v25, v24
	v_lshl_add_u64 v[24:25], v[22:23], 2, s[14:15]
	v_lshl_add_u64 v[22:23], v[26:27], 2, s[14:15]
	global_load_dword v26, v[24:25], off
	global_load_dword v27, v[22:23], off
	v_mov_b64_e32 v[56:57], 1
	s_waitcnt vmcnt(0)
	v_cmp_eq_u32_e32 vcc, v26, v27
	s_and_saveexec_b64 s[24:25], vcc
	s_cbranch_execz .LBB1545_232
; %bb.225:
	s_add_u32 s26, s12, -1
	v_lshl_add_u64 v[22:23], v[22:23], 0, 4
	v_lshl_add_u64 v[24:25], v[24:25], 0, 4
	s_addc_u32 s27, s13, -1
	s_mov_b64 s[28:29], 0
	s_mov_b64 s[34:35], 0
                                        ; implicit-def: $sgpr30_sgpr31
	s_branch .LBB1545_228
.LBB1545_226:                           ;   in Loop: Header=BB1545_228 Depth=1
	global_load_dword v26, v[24:25], off
	global_load_dword v27, v[22:23], off
	s_add_u32 s34, s34, 1
	s_addc_u32 s35, s35, 0
	s_andn2_b64 s[30:31], s[30:31], exec
	v_lshl_add_u64 v[22:23], v[22:23], 0, 4
	v_lshl_add_u64 v[24:25], v[24:25], 0, 4
	s_waitcnt vmcnt(0)
	v_cmp_ne_u32_e32 vcc, v26, v27
	s_and_b64 s[36:37], vcc, exec
	s_or_b64 s[30:31], s[30:31], s[36:37]
.LBB1545_227:                           ;   in Loop: Header=BB1545_228 Depth=1
	s_and_b64 s[36:37], exec, s[30:31]
	s_or_b64 s[28:29], s[36:37], s[28:29]
	v_mov_b64_e32 v[26:27], s[34:35]
	s_andn2_b64 exec, exec, s[28:29]
	s_cbranch_execz .LBB1545_231
.LBB1545_228:                           ; =>This Inner Loop Header: Depth=1
	s_or_b64 s[30:31], s[30:31], exec
	s_cmp_eq_u64 s[26:27], s[34:35]
	s_cbranch_scc0 .LBB1545_226
; %bb.229:                              ;   in Loop: Header=BB1545_228 Depth=1
                                        ; implicit-def: $vgpr22_vgpr23
                                        ; implicit-def: $vgpr24_vgpr25
	s_mov_b64 s[34:35], s[12:13]
	s_branch .LBB1545_227
.LBB1545_230:
	v_mov_b64_e32 v[56:57], 0
	s_branch .LBB1545_233
.LBB1545_231:
	s_or_b64 exec, exec, s[28:29]
	v_cmp_gt_i64_e32 vcc, s[12:13], v[26:27]
	s_mov_b32 s26, 0
	v_mov_b32_e32 v57, s26
	v_cndmask_b32_e64 v56, 0, 1, vcc
.LBB1545_232:
	s_or_b64 exec, exec, s[24:25]
.LBB1545_233:
	s_or_b64 exec, exec, s[18:19]
	v_add_u32_e32 v22, 1, v1
	v_cmp_gt_u32_e32 vcc, s21, v22
	v_mov_b64_e32 v[58:59], v[4:5]
	s_and_saveexec_b64 s[18:19], vcc
	s_cbranch_execz .LBB1545_244
; %bb.234:
	s_and_b64 vcc, exec, s[2:3]
	s_cbranch_vccnz .LBB1545_241
; %bb.235:
	v_mul_lo_u32 v24, v5, s12
	v_mul_lo_u32 v25, v4, s13
	v_mad_u64_u32 v[22:23], s[24:25], v4, s12, 0
	v_add3_u32 v23, v23, v25, v24
	v_mul_lo_u32 v24, v3, s12
	v_mul_lo_u32 v25, v2, s13
	v_mad_u64_u32 v[26:27], s[24:25], v2, s12, 0
	v_add3_u32 v27, v27, v25, v24
	v_lshl_add_u64 v[24:25], v[22:23], 2, s[14:15]
	v_lshl_add_u64 v[22:23], v[26:27], 2, s[14:15]
	global_load_dword v26, v[24:25], off
	global_load_dword v27, v[22:23], off
	v_mov_b64_e32 v[58:59], 1
	s_waitcnt vmcnt(0)
	v_cmp_eq_u32_e32 vcc, v26, v27
	s_and_saveexec_b64 s[24:25], vcc
	s_cbranch_execz .LBB1545_243
; %bb.236:
	s_add_u32 s26, s12, -1
	v_lshl_add_u64 v[22:23], v[22:23], 0, 4
	v_lshl_add_u64 v[24:25], v[24:25], 0, 4
	s_addc_u32 s27, s13, -1
	s_mov_b64 s[28:29], 0
	s_mov_b64 s[34:35], 0
                                        ; implicit-def: $sgpr30_sgpr31
	s_branch .LBB1545_239
.LBB1545_237:                           ;   in Loop: Header=BB1545_239 Depth=1
	global_load_dword v26, v[24:25], off
	global_load_dword v27, v[22:23], off
	s_add_u32 s34, s34, 1
	s_addc_u32 s35, s35, 0
	s_andn2_b64 s[30:31], s[30:31], exec
	v_lshl_add_u64 v[22:23], v[22:23], 0, 4
	v_lshl_add_u64 v[24:25], v[24:25], 0, 4
	s_waitcnt vmcnt(0)
	v_cmp_ne_u32_e32 vcc, v26, v27
	s_and_b64 s[36:37], vcc, exec
	s_or_b64 s[30:31], s[30:31], s[36:37]
.LBB1545_238:                           ;   in Loop: Header=BB1545_239 Depth=1
	s_and_b64 s[36:37], exec, s[30:31]
	s_or_b64 s[28:29], s[36:37], s[28:29]
	v_mov_b64_e32 v[26:27], s[34:35]
	s_andn2_b64 exec, exec, s[28:29]
	s_cbranch_execz .LBB1545_242
.LBB1545_239:                           ; =>This Inner Loop Header: Depth=1
	s_or_b64 s[30:31], s[30:31], exec
	s_cmp_eq_u64 s[26:27], s[34:35]
	s_cbranch_scc0 .LBB1545_237
; %bb.240:                              ;   in Loop: Header=BB1545_239 Depth=1
                                        ; implicit-def: $vgpr22_vgpr23
                                        ; implicit-def: $vgpr24_vgpr25
	s_mov_b64 s[34:35], s[12:13]
	s_branch .LBB1545_238
.LBB1545_241:
	v_mov_b64_e32 v[58:59], 0
	s_branch .LBB1545_244
.LBB1545_242:
	s_or_b64 exec, exec, s[28:29]
	v_cmp_gt_i64_e32 vcc, s[12:13], v[26:27]
	s_mov_b32 s26, 0
	v_mov_b32_e32 v59, s26
	v_cndmask_b32_e64 v58, 0, 1, vcc
.LBB1545_243:
	s_or_b64 exec, exec, s[24:25]
.LBB1545_244:
	s_or_b64 exec, exec, s[18:19]
	v_cmp_ne_u32_e32 vcc, 0, v0
	v_mov_b64_e32 v[22:23], s[16:17]
	s_waitcnt lgkmcnt(0)
	s_barrier
	s_and_saveexec_b64 s[16:17], vcc
	s_cbranch_execz .LBB1545_246
; %bb.245:
	v_add_u32_e32 v22, -8, v40
	ds_read_b64 v[22:23], v22
.LBB1545_246:
	s_or_b64 exec, exec, s[16:17]
	v_cmp_gt_u32_e32 vcc, s21, v1
                                        ; implicit-def: $sgpr18_sgpr19
	s_and_saveexec_b64 s[16:17], vcc
	s_cbranch_execz .LBB1545_258
; %bb.247:
	s_and_b64 vcc, exec, s[2:3]
	s_cbranch_vccnz .LBB1545_254
; %bb.248:
	v_mul_lo_u32 v1, v3, s12
	v_mul_lo_u32 v26, v2, s13
	v_mad_u64_u32 v[24:25], s[2:3], v2, s12, 0
	v_add3_u32 v25, v25, v26, v1
	s_waitcnt lgkmcnt(0)
	v_mul_lo_u32 v1, v23, s12
	v_mul_lo_u32 v26, v22, s13
	v_mad_u64_u32 v[22:23], s[2:3], v22, s12, 0
	v_add3_u32 v23, v23, v26, v1
	v_lshl_add_u64 v[24:25], v[24:25], 2, s[14:15]
	v_lshl_add_u64 v[22:23], v[22:23], 2, s[14:15]
	global_load_dword v1, v[24:25], off
	global_load_dword v26, v[22:23], off
	s_mov_b64 s[18:19], -1
	s_waitcnt vmcnt(0)
	v_cmp_eq_u32_e32 vcc, v1, v26
	s_and_saveexec_b64 s[2:3], vcc
	s_cbranch_execz .LBB1545_256
; %bb.249:
	s_add_u32 s18, s12, -1
	v_lshl_add_u64 v[22:23], v[22:23], 0, 4
	v_lshl_add_u64 v[24:25], v[24:25], 0, 4
	s_addc_u32 s19, s13, -1
	s_mov_b64 s[24:25], 0
	s_mov_b64 s[28:29], 0
                                        ; implicit-def: $sgpr26_sgpr27
	s_branch .LBB1545_252
.LBB1545_250:                           ;   in Loop: Header=BB1545_252 Depth=1
	global_load_dword v1, v[24:25], off
	global_load_dword v26, v[22:23], off
	s_add_u32 s28, s28, 1
	s_addc_u32 s29, s29, 0
	s_andn2_b64 s[26:27], s[26:27], exec
	v_lshl_add_u64 v[22:23], v[22:23], 0, 4
	v_lshl_add_u64 v[24:25], v[24:25], 0, 4
	s_waitcnt vmcnt(0)
	v_cmp_ne_u32_e32 vcc, v1, v26
	s_and_b64 s[30:31], vcc, exec
	s_or_b64 s[26:27], s[26:27], s[30:31]
.LBB1545_251:                           ;   in Loop: Header=BB1545_252 Depth=1
	s_and_b64 s[30:31], exec, s[26:27]
	s_or_b64 s[24:25], s[30:31], s[24:25]
	v_mov_b64_e32 v[26:27], s[28:29]
	s_andn2_b64 exec, exec, s[24:25]
	s_cbranch_execz .LBB1545_255
.LBB1545_252:                           ; =>This Inner Loop Header: Depth=1
	s_or_b64 s[26:27], s[26:27], exec
	s_cmp_eq_u64 s[18:19], s[28:29]
	s_cbranch_scc0 .LBB1545_250
; %bb.253:                              ;   in Loop: Header=BB1545_252 Depth=1
                                        ; implicit-def: $vgpr22_vgpr23
                                        ; implicit-def: $vgpr24_vgpr25
	s_mov_b64 s[28:29], s[12:13]
	s_branch .LBB1545_251
.LBB1545_254:
	s_mov_b64 s[18:19], 0
	s_branch .LBB1545_257
.LBB1545_255:
	s_or_b64 exec, exec, s[24:25]
	v_cmp_gt_i64_e32 vcc, s[12:13], v[26:27]
	s_orn2_b64 s[18:19], vcc, exec
.LBB1545_256:
	s_or_b64 exec, exec, s[2:3]
.LBB1545_257:
	s_and_b64 s[18:19], s[18:19], exec
	s_or_b64 s[22:23], s[22:23], exec
.LBB1545_258:
	s_or_b64 exec, exec, s[16:17]
	v_mov_b64_e32 v[60:61], v[44:45]
	s_waitcnt lgkmcnt(0)
	v_mov_b64_e32 v[22:23], v[38:39]
	v_mov_b64_e32 v[68:69], v[58:59]
	;; [unrolled: 1-line block ×8, first 2 shown]
	s_branch .LBB1545_488
.LBB1545_259:
	s_cmp_lg_u64 s[4:5], 1
	s_cbranch_scc0 .LBB1545_267
; %bb.260:
	v_mul_lo_u32 v1, v21, s12
	v_mul_lo_u32 v24, v20, s13
	s_waitcnt lgkmcnt(0)
	v_mad_u64_u32 v[22:23], s[16:17], v20, s12, 0
	v_mov_b64_e32 v[38:39], 0
	v_cmp_lt_i64_e64 s[2:3], s[12:13], 1
	v_add3_u32 v23, v23, v24, v1
	v_cmp_gt_i64_e64 s[4:5], s[12:13], 0
	s_and_b64 vcc, exec, s[2:3]
	v_lshl_add_u64 v[22:23], v[22:23], 2, s[14:15]
	v_mov_b64_e32 v[42:43], v[38:39]
	ds_write_b64 v40, v[36:37]
	s_cbranch_vccnz .LBB1545_270
; %bb.261:
	v_mul_lo_u32 v1, v37, s12
	v_mul_lo_u32 v26, v36, s13
	v_mad_u64_u32 v[24:25], s[2:3], v36, s12, 0
	v_add3_u32 v25, v25, v26, v1
	v_lshl_add_u64 v[26:27], v[24:25], 2, s[14:15]
	global_load_dword v1, v[26:27], off
	global_load_dword v24, v[22:23], off
	v_mov_b64_e32 v[42:43], 1
	s_waitcnt vmcnt(0)
	v_cmp_eq_u32_e32 vcc, v1, v24
	s_and_saveexec_b64 s[2:3], vcc
	s_cbranch_execz .LBB1545_269
; %bb.262:
	s_add_u32 s16, s12, -1
	v_lshl_add_u64 v[24:25], v[22:23], 0, 4
	v_lshl_add_u64 v[26:27], v[26:27], 0, 4
	s_addc_u32 s17, s13, -1
	s_mov_b64 s[18:19], 0
	s_mov_b64 s[26:27], 0
                                        ; implicit-def: $sgpr24_sgpr25
	s_branch .LBB1545_265
.LBB1545_263:                           ;   in Loop: Header=BB1545_265 Depth=1
	global_load_dword v1, v[26:27], off
	global_load_dword v28, v[24:25], off
	s_add_u32 s26, s26, 1
	s_addc_u32 s27, s27, 0
	s_andn2_b64 s[24:25], s[24:25], exec
	v_lshl_add_u64 v[24:25], v[24:25], 0, 4
	v_lshl_add_u64 v[26:27], v[26:27], 0, 4
	s_waitcnt vmcnt(0)
	v_cmp_ne_u32_e32 vcc, v1, v28
	s_and_b64 s[28:29], vcc, exec
	s_or_b64 s[24:25], s[24:25], s[28:29]
.LBB1545_264:                           ;   in Loop: Header=BB1545_265 Depth=1
	s_and_b64 s[28:29], exec, s[24:25]
	s_or_b64 s[18:19], s[28:29], s[18:19]
	v_mov_b64_e32 v[28:29], s[26:27]
	s_andn2_b64 exec, exec, s[18:19]
	s_cbranch_execz .LBB1545_268
.LBB1545_265:                           ; =>This Inner Loop Header: Depth=1
	s_or_b64 s[24:25], s[24:25], exec
	s_cmp_eq_u64 s[16:17], s[26:27]
	s_cbranch_scc0 .LBB1545_263
; %bb.266:                              ;   in Loop: Header=BB1545_265 Depth=1
                                        ; implicit-def: $vgpr24_vgpr25
                                        ; implicit-def: $vgpr26_vgpr27
	s_mov_b64 s[26:27], s[12:13]
	s_branch .LBB1545_264
.LBB1545_267:
                                        ; implicit-def: $vgpr22_vgpr23_vgpr24_vgpr25
                                        ; implicit-def: $sgpr18_sgpr19
                                        ; implicit-def: $vgpr42_vgpr43
                                        ; implicit-def: $vgpr44_vgpr45
                                        ; implicit-def: $vgpr38_vgpr39
                                        ; implicit-def: $vgpr58_vgpr59
                                        ; implicit-def: $vgpr56_vgpr57
                                        ; implicit-def: $vgpr54_vgpr55
                                        ; implicit-def: $vgpr52_vgpr53
                                        ; implicit-def: $vgpr50_vgpr51
                                        ; implicit-def: $vgpr48_vgpr49
                                        ; implicit-def: $vgpr46_vgpr47
                                        ; implicit-def: $vgpr60_vgpr61
                                        ; implicit-def: $vgpr68_vgpr69
                                        ; implicit-def: $vgpr62_vgpr63
                                        ; implicit-def: $vgpr64_vgpr65
                                        ; implicit-def: $vgpr66_vgpr67
                                        ; implicit-def: $vgpr24_vgpr25_vgpr26_vgpr27
                                        ; implicit-def: $vgpr28_vgpr29_vgpr30_vgpr31
                                        ; implicit-def: $vgpr32_vgpr33_vgpr34_vgpr35
	s_cbranch_execnz .LBB1545_365
	s_branch .LBB1545_488
.LBB1545_268:
	s_or_b64 exec, exec, s[18:19]
	v_cmp_gt_i64_e32 vcc, s[12:13], v[28:29]
	s_mov_b32 s16, 0
	v_mov_b32_e32 v43, s16
	v_cndmask_b32_e64 v42, 0, 1, vcc
.LBB1545_269:
	s_or_b64 exec, exec, s[2:3]
.LBB1545_270:
	v_mul_lo_u32 v1, v19, s12
	v_mul_lo_u32 v26, v18, s13
	v_mad_u64_u32 v[24:25], s[2:3], v18, s12, 0
	v_add3_u32 v25, v25, v26, v1
	v_cndmask_b32_e64 v1, 0, 1, s[4:5]
	v_cmp_ne_u32_e64 s[2:3], 1, v1
	s_andn2_b64 vcc, exec, s[4:5]
	v_lshl_add_u64 v[24:25], v[24:25], 2, s[14:15]
	v_mov_b64_e32 v[44:45], v[38:39]
	s_cbranch_vccnz .LBB1545_279
; %bb.271:
	global_load_dword v1, v[22:23], off
	global_load_dword v26, v[24:25], off
	v_mov_b64_e32 v[44:45], 1
	s_waitcnt vmcnt(0)
	v_cmp_eq_u32_e32 vcc, v1, v26
	s_and_saveexec_b64 s[4:5], vcc
	s_cbranch_execz .LBB1545_278
; %bb.272:
	s_add_u32 s16, s12, -1
	v_lshl_add_u64 v[26:27], v[24:25], 0, 4
	v_lshl_add_u64 v[22:23], v[22:23], 0, 4
	s_addc_u32 s17, s13, -1
	s_mov_b64 s[18:19], 0
	s_mov_b64 s[26:27], 0
                                        ; implicit-def: $sgpr24_sgpr25
	s_branch .LBB1545_275
.LBB1545_273:                           ;   in Loop: Header=BB1545_275 Depth=1
	global_load_dword v1, v[22:23], off
	global_load_dword v28, v[26:27], off
	s_add_u32 s26, s26, 1
	s_addc_u32 s27, s27, 0
	s_andn2_b64 s[24:25], s[24:25], exec
	v_lshl_add_u64 v[26:27], v[26:27], 0, 4
	v_lshl_add_u64 v[22:23], v[22:23], 0, 4
	s_waitcnt vmcnt(0)
	v_cmp_ne_u32_e32 vcc, v1, v28
	s_and_b64 s[28:29], vcc, exec
	s_or_b64 s[24:25], s[24:25], s[28:29]
.LBB1545_274:                           ;   in Loop: Header=BB1545_275 Depth=1
	s_and_b64 s[28:29], exec, s[24:25]
	s_or_b64 s[18:19], s[28:29], s[18:19]
	v_mov_b64_e32 v[28:29], s[26:27]
	s_andn2_b64 exec, exec, s[18:19]
	s_cbranch_execz .LBB1545_277
.LBB1545_275:                           ; =>This Inner Loop Header: Depth=1
	s_or_b64 s[24:25], s[24:25], exec
	s_cmp_eq_u64 s[16:17], s[26:27]
	s_cbranch_scc0 .LBB1545_273
; %bb.276:                              ;   in Loop: Header=BB1545_275 Depth=1
                                        ; implicit-def: $vgpr26_vgpr27
                                        ; implicit-def: $vgpr22_vgpr23
	s_mov_b64 s[26:27], s[12:13]
	s_branch .LBB1545_274
.LBB1545_277:
	s_or_b64 exec, exec, s[18:19]
	v_cmp_gt_i64_e32 vcc, s[12:13], v[28:29]
	s_mov_b32 s16, 0
	v_mov_b32_e32 v45, s16
	v_cndmask_b32_e64 v44, 0, 1, vcc
.LBB1545_278:
	s_or_b64 exec, exec, s[4:5]
.LBB1545_279:
	v_mul_lo_u32 v1, v17, s12
	v_mul_lo_u32 v26, v16, s13
	v_mad_u64_u32 v[22:23], s[4:5], v16, s12, 0
	v_add3_u32 v23, v23, v26, v1
	s_and_b64 vcc, exec, s[2:3]
	v_lshl_add_u64 v[22:23], v[22:23], 2, s[14:15]
	s_cbranch_vccnz .LBB1545_288
; %bb.280:
	global_load_dword v1, v[24:25], off
	global_load_dword v26, v[22:23], off
	v_mov_b64_e32 v[38:39], 1
	s_waitcnt vmcnt(0)
	v_cmp_eq_u32_e32 vcc, v1, v26
	s_and_saveexec_b64 s[4:5], vcc
	s_cbranch_execz .LBB1545_287
; %bb.281:
	s_add_u32 s16, s12, -1
	v_lshl_add_u64 v[26:27], v[22:23], 0, 4
	v_lshl_add_u64 v[24:25], v[24:25], 0, 4
	s_addc_u32 s17, s13, -1
	s_mov_b64 s[18:19], 0
	s_mov_b64 s[26:27], 0
                                        ; implicit-def: $sgpr24_sgpr25
	s_branch .LBB1545_284
.LBB1545_282:                           ;   in Loop: Header=BB1545_284 Depth=1
	global_load_dword v1, v[24:25], off
	global_load_dword v28, v[26:27], off
	s_add_u32 s26, s26, 1
	s_addc_u32 s27, s27, 0
	s_andn2_b64 s[24:25], s[24:25], exec
	v_lshl_add_u64 v[26:27], v[26:27], 0, 4
	v_lshl_add_u64 v[24:25], v[24:25], 0, 4
	s_waitcnt vmcnt(0)
	v_cmp_ne_u32_e32 vcc, v1, v28
	s_and_b64 s[28:29], vcc, exec
	s_or_b64 s[24:25], s[24:25], s[28:29]
.LBB1545_283:                           ;   in Loop: Header=BB1545_284 Depth=1
	s_and_b64 s[28:29], exec, s[24:25]
	s_or_b64 s[18:19], s[28:29], s[18:19]
	v_mov_b64_e32 v[28:29], s[26:27]
	s_andn2_b64 exec, exec, s[18:19]
	s_cbranch_execz .LBB1545_286
.LBB1545_284:                           ; =>This Inner Loop Header: Depth=1
	s_or_b64 s[24:25], s[24:25], exec
	s_cmp_eq_u64 s[16:17], s[26:27]
	s_cbranch_scc0 .LBB1545_282
; %bb.285:                              ;   in Loop: Header=BB1545_284 Depth=1
                                        ; implicit-def: $vgpr26_vgpr27
                                        ; implicit-def: $vgpr24_vgpr25
	s_mov_b64 s[26:27], s[12:13]
	s_branch .LBB1545_283
.LBB1545_286:
	s_or_b64 exec, exec, s[18:19]
	v_cmp_gt_i64_e32 vcc, s[12:13], v[28:29]
	s_mov_b32 s16, 0
	v_mov_b32_e32 v39, s16
	v_cndmask_b32_e64 v38, 0, 1, vcc
.LBB1545_287:
	s_or_b64 exec, exec, s[4:5]
.LBB1545_288:
	v_mul_lo_u32 v1, v15, s12
	v_mul_lo_u32 v26, v14, s13
	v_mad_u64_u32 v[24:25], s[4:5], v14, s12, 0
	v_add3_u32 v25, v25, v26, v1
	v_mov_b64_e32 v[48:49], 0
	s_and_b64 vcc, exec, s[2:3]
	v_lshl_add_u64 v[24:25], v[24:25], 2, s[14:15]
	v_mov_b64_e32 v[46:47], v[48:49]
	s_cbranch_vccnz .LBB1545_297
; %bb.289:
	global_load_dword v1, v[22:23], off
	global_load_dword v26, v[24:25], off
	v_mov_b64_e32 v[46:47], 1
	s_waitcnt vmcnt(0)
	v_cmp_eq_u32_e32 vcc, v1, v26
	s_and_saveexec_b64 s[4:5], vcc
	s_cbranch_execz .LBB1545_296
; %bb.290:
	s_add_u32 s16, s12, -1
	v_lshl_add_u64 v[26:27], v[24:25], 0, 4
	v_lshl_add_u64 v[22:23], v[22:23], 0, 4
	s_addc_u32 s17, s13, -1
	s_mov_b64 s[18:19], 0
	s_mov_b64 s[26:27], 0
                                        ; implicit-def: $sgpr24_sgpr25
	s_branch .LBB1545_293
.LBB1545_291:                           ;   in Loop: Header=BB1545_293 Depth=1
	global_load_dword v1, v[22:23], off
	global_load_dword v28, v[26:27], off
	s_add_u32 s26, s26, 1
	s_addc_u32 s27, s27, 0
	s_andn2_b64 s[24:25], s[24:25], exec
	v_lshl_add_u64 v[26:27], v[26:27], 0, 4
	v_lshl_add_u64 v[22:23], v[22:23], 0, 4
	s_waitcnt vmcnt(0)
	v_cmp_ne_u32_e32 vcc, v1, v28
	s_and_b64 s[28:29], vcc, exec
	s_or_b64 s[24:25], s[24:25], s[28:29]
.LBB1545_292:                           ;   in Loop: Header=BB1545_293 Depth=1
	s_and_b64 s[28:29], exec, s[24:25]
	s_or_b64 s[18:19], s[28:29], s[18:19]
	v_mov_b64_e32 v[28:29], s[26:27]
	s_andn2_b64 exec, exec, s[18:19]
	s_cbranch_execz .LBB1545_295
.LBB1545_293:                           ; =>This Inner Loop Header: Depth=1
	s_or_b64 s[24:25], s[24:25], exec
	s_cmp_eq_u64 s[16:17], s[26:27]
	s_cbranch_scc0 .LBB1545_291
; %bb.294:                              ;   in Loop: Header=BB1545_293 Depth=1
                                        ; implicit-def: $vgpr26_vgpr27
                                        ; implicit-def: $vgpr22_vgpr23
	s_mov_b64 s[26:27], s[12:13]
	s_branch .LBB1545_292
.LBB1545_295:
	s_or_b64 exec, exec, s[18:19]
	v_cmp_gt_i64_e32 vcc, s[12:13], v[28:29]
	s_mov_b32 s16, 0
	v_mov_b32_e32 v47, s16
	v_cndmask_b32_e64 v46, 0, 1, vcc
.LBB1545_296:
	s_or_b64 exec, exec, s[4:5]
.LBB1545_297:
	v_mul_lo_u32 v1, v13, s12
	v_mul_lo_u32 v26, v12, s13
	v_mad_u64_u32 v[22:23], s[4:5], v12, s12, 0
	v_add3_u32 v23, v23, v26, v1
	s_and_b64 vcc, exec, s[2:3]
	v_lshl_add_u64 v[22:23], v[22:23], 2, s[14:15]
	s_cbranch_vccnz .LBB1545_306
; %bb.298:
	global_load_dword v1, v[24:25], off
	global_load_dword v26, v[22:23], off
	v_mov_b64_e32 v[48:49], 1
	s_waitcnt vmcnt(0)
	v_cmp_eq_u32_e32 vcc, v1, v26
	s_and_saveexec_b64 s[4:5], vcc
	s_cbranch_execz .LBB1545_305
; %bb.299:
	s_add_u32 s16, s12, -1
	v_lshl_add_u64 v[26:27], v[22:23], 0, 4
	v_lshl_add_u64 v[24:25], v[24:25], 0, 4
	s_addc_u32 s17, s13, -1
	s_mov_b64 s[18:19], 0
	s_mov_b64 s[26:27], 0
                                        ; implicit-def: $sgpr24_sgpr25
	s_branch .LBB1545_302
.LBB1545_300:                           ;   in Loop: Header=BB1545_302 Depth=1
	global_load_dword v1, v[24:25], off
	global_load_dword v28, v[26:27], off
	s_add_u32 s26, s26, 1
	s_addc_u32 s27, s27, 0
	s_andn2_b64 s[24:25], s[24:25], exec
	v_lshl_add_u64 v[26:27], v[26:27], 0, 4
	v_lshl_add_u64 v[24:25], v[24:25], 0, 4
	s_waitcnt vmcnt(0)
	v_cmp_ne_u32_e32 vcc, v1, v28
	s_and_b64 s[28:29], vcc, exec
	s_or_b64 s[24:25], s[24:25], s[28:29]
.LBB1545_301:                           ;   in Loop: Header=BB1545_302 Depth=1
	s_and_b64 s[28:29], exec, s[24:25]
	s_or_b64 s[18:19], s[28:29], s[18:19]
	v_mov_b64_e32 v[28:29], s[26:27]
	s_andn2_b64 exec, exec, s[18:19]
	s_cbranch_execz .LBB1545_304
.LBB1545_302:                           ; =>This Inner Loop Header: Depth=1
	s_or_b64 s[24:25], s[24:25], exec
	s_cmp_eq_u64 s[16:17], s[26:27]
	s_cbranch_scc0 .LBB1545_300
; %bb.303:                              ;   in Loop: Header=BB1545_302 Depth=1
                                        ; implicit-def: $vgpr26_vgpr27
                                        ; implicit-def: $vgpr24_vgpr25
	s_mov_b64 s[26:27], s[12:13]
	s_branch .LBB1545_301
.LBB1545_304:
	s_or_b64 exec, exec, s[18:19]
	v_cmp_gt_i64_e32 vcc, s[12:13], v[28:29]
	s_mov_b32 s16, 0
	v_mov_b32_e32 v49, s16
	v_cndmask_b32_e64 v48, 0, 1, vcc
.LBB1545_305:
	s_or_b64 exec, exec, s[4:5]
.LBB1545_306:
	v_mul_lo_u32 v1, v11, s12
	v_mul_lo_u32 v26, v10, s13
	v_mad_u64_u32 v[24:25], s[4:5], v10, s12, 0
	v_add3_u32 v25, v25, v26, v1
	v_mov_b64_e32 v[52:53], 0
	s_and_b64 vcc, exec, s[2:3]
	v_lshl_add_u64 v[24:25], v[24:25], 2, s[14:15]
	v_mov_b64_e32 v[50:51], v[52:53]
	s_cbranch_vccnz .LBB1545_315
; %bb.307:
	global_load_dword v1, v[22:23], off
	global_load_dword v26, v[24:25], off
	v_mov_b64_e32 v[50:51], 1
	s_waitcnt vmcnt(0)
	v_cmp_eq_u32_e32 vcc, v1, v26
	s_and_saveexec_b64 s[4:5], vcc
	s_cbranch_execz .LBB1545_314
; %bb.308:
	s_add_u32 s16, s12, -1
	v_lshl_add_u64 v[26:27], v[24:25], 0, 4
	v_lshl_add_u64 v[22:23], v[22:23], 0, 4
	s_addc_u32 s17, s13, -1
	s_mov_b64 s[18:19], 0
	s_mov_b64 s[26:27], 0
                                        ; implicit-def: $sgpr24_sgpr25
	s_branch .LBB1545_311
.LBB1545_309:                           ;   in Loop: Header=BB1545_311 Depth=1
	global_load_dword v1, v[22:23], off
	global_load_dword v28, v[26:27], off
	s_add_u32 s26, s26, 1
	s_addc_u32 s27, s27, 0
	s_andn2_b64 s[24:25], s[24:25], exec
	v_lshl_add_u64 v[26:27], v[26:27], 0, 4
	v_lshl_add_u64 v[22:23], v[22:23], 0, 4
	s_waitcnt vmcnt(0)
	v_cmp_ne_u32_e32 vcc, v1, v28
	s_and_b64 s[28:29], vcc, exec
	s_or_b64 s[24:25], s[24:25], s[28:29]
.LBB1545_310:                           ;   in Loop: Header=BB1545_311 Depth=1
	s_and_b64 s[28:29], exec, s[24:25]
	s_or_b64 s[18:19], s[28:29], s[18:19]
	v_mov_b64_e32 v[28:29], s[26:27]
	s_andn2_b64 exec, exec, s[18:19]
	s_cbranch_execz .LBB1545_313
.LBB1545_311:                           ; =>This Inner Loop Header: Depth=1
	s_or_b64 s[24:25], s[24:25], exec
	s_cmp_eq_u64 s[16:17], s[26:27]
	s_cbranch_scc0 .LBB1545_309
; %bb.312:                              ;   in Loop: Header=BB1545_311 Depth=1
                                        ; implicit-def: $vgpr26_vgpr27
                                        ; implicit-def: $vgpr22_vgpr23
	s_mov_b64 s[26:27], s[12:13]
	s_branch .LBB1545_310
.LBB1545_313:
	s_or_b64 exec, exec, s[18:19]
	v_cmp_gt_i64_e32 vcc, s[12:13], v[28:29]
	s_mov_b32 s16, 0
	v_mov_b32_e32 v51, s16
	v_cndmask_b32_e64 v50, 0, 1, vcc
.LBB1545_314:
	s_or_b64 exec, exec, s[4:5]
.LBB1545_315:
	v_mul_lo_u32 v1, v9, s12
	v_mul_lo_u32 v26, v8, s13
	v_mad_u64_u32 v[22:23], s[4:5], v8, s12, 0
	v_add3_u32 v23, v23, v26, v1
	s_and_b64 vcc, exec, s[2:3]
	v_lshl_add_u64 v[22:23], v[22:23], 2, s[14:15]
	s_cbranch_vccnz .LBB1545_324
; %bb.316:
	global_load_dword v1, v[24:25], off
	global_load_dword v26, v[22:23], off
	v_mov_b64_e32 v[52:53], 1
	s_waitcnt vmcnt(0)
	v_cmp_eq_u32_e32 vcc, v1, v26
	s_and_saveexec_b64 s[4:5], vcc
	s_cbranch_execz .LBB1545_323
; %bb.317:
	s_add_u32 s16, s12, -1
	v_lshl_add_u64 v[26:27], v[22:23], 0, 4
	v_lshl_add_u64 v[24:25], v[24:25], 0, 4
	s_addc_u32 s17, s13, -1
	s_mov_b64 s[18:19], 0
	s_mov_b64 s[26:27], 0
                                        ; implicit-def: $sgpr24_sgpr25
	s_branch .LBB1545_320
.LBB1545_318:                           ;   in Loop: Header=BB1545_320 Depth=1
	global_load_dword v1, v[24:25], off
	global_load_dword v28, v[26:27], off
	s_add_u32 s26, s26, 1
	s_addc_u32 s27, s27, 0
	s_andn2_b64 s[24:25], s[24:25], exec
	v_lshl_add_u64 v[26:27], v[26:27], 0, 4
	v_lshl_add_u64 v[24:25], v[24:25], 0, 4
	s_waitcnt vmcnt(0)
	v_cmp_ne_u32_e32 vcc, v1, v28
	s_and_b64 s[28:29], vcc, exec
	s_or_b64 s[24:25], s[24:25], s[28:29]
.LBB1545_319:                           ;   in Loop: Header=BB1545_320 Depth=1
	s_and_b64 s[28:29], exec, s[24:25]
	s_or_b64 s[18:19], s[28:29], s[18:19]
	v_mov_b64_e32 v[28:29], s[26:27]
	s_andn2_b64 exec, exec, s[18:19]
	s_cbranch_execz .LBB1545_322
.LBB1545_320:                           ; =>This Inner Loop Header: Depth=1
	s_or_b64 s[24:25], s[24:25], exec
	s_cmp_eq_u64 s[16:17], s[26:27]
	s_cbranch_scc0 .LBB1545_318
; %bb.321:                              ;   in Loop: Header=BB1545_320 Depth=1
                                        ; implicit-def: $vgpr26_vgpr27
                                        ; implicit-def: $vgpr24_vgpr25
	s_mov_b64 s[26:27], s[12:13]
	s_branch .LBB1545_319
.LBB1545_322:
	s_or_b64 exec, exec, s[18:19]
	v_cmp_gt_i64_e32 vcc, s[12:13], v[28:29]
	s_mov_b32 s16, 0
	v_mov_b32_e32 v53, s16
	v_cndmask_b32_e64 v52, 0, 1, vcc
.LBB1545_323:
	s_or_b64 exec, exec, s[4:5]
.LBB1545_324:
	v_mul_lo_u32 v1, v7, s12
	v_mul_lo_u32 v26, v6, s13
	v_mad_u64_u32 v[24:25], s[4:5], v6, s12, 0
	v_add3_u32 v25, v25, v26, v1
	v_mov_b64_e32 v[56:57], 0
	s_and_b64 vcc, exec, s[2:3]
	v_lshl_add_u64 v[24:25], v[24:25], 2, s[14:15]
	v_mov_b64_e32 v[54:55], v[56:57]
	s_cbranch_vccnz .LBB1545_333
; %bb.325:
	global_load_dword v1, v[22:23], off
	global_load_dword v26, v[24:25], off
	v_mov_b64_e32 v[54:55], 1
	s_waitcnt vmcnt(0)
	v_cmp_eq_u32_e32 vcc, v1, v26
	s_and_saveexec_b64 s[4:5], vcc
	s_cbranch_execz .LBB1545_332
; %bb.326:
	s_add_u32 s16, s12, -1
	v_lshl_add_u64 v[26:27], v[24:25], 0, 4
	v_lshl_add_u64 v[22:23], v[22:23], 0, 4
	s_addc_u32 s17, s13, -1
	s_mov_b64 s[18:19], 0
	s_mov_b64 s[26:27], 0
                                        ; implicit-def: $sgpr24_sgpr25
	s_branch .LBB1545_329
.LBB1545_327:                           ;   in Loop: Header=BB1545_329 Depth=1
	global_load_dword v1, v[22:23], off
	global_load_dword v28, v[26:27], off
	s_add_u32 s26, s26, 1
	s_addc_u32 s27, s27, 0
	s_andn2_b64 s[24:25], s[24:25], exec
	v_lshl_add_u64 v[26:27], v[26:27], 0, 4
	v_lshl_add_u64 v[22:23], v[22:23], 0, 4
	s_waitcnt vmcnt(0)
	v_cmp_ne_u32_e32 vcc, v1, v28
	s_and_b64 s[28:29], vcc, exec
	s_or_b64 s[24:25], s[24:25], s[28:29]
.LBB1545_328:                           ;   in Loop: Header=BB1545_329 Depth=1
	s_and_b64 s[28:29], exec, s[24:25]
	s_or_b64 s[18:19], s[28:29], s[18:19]
	v_mov_b64_e32 v[28:29], s[26:27]
	s_andn2_b64 exec, exec, s[18:19]
	s_cbranch_execz .LBB1545_331
.LBB1545_329:                           ; =>This Inner Loop Header: Depth=1
	s_or_b64 s[24:25], s[24:25], exec
	s_cmp_eq_u64 s[16:17], s[26:27]
	s_cbranch_scc0 .LBB1545_327
; %bb.330:                              ;   in Loop: Header=BB1545_329 Depth=1
                                        ; implicit-def: $vgpr26_vgpr27
                                        ; implicit-def: $vgpr22_vgpr23
	s_mov_b64 s[26:27], s[12:13]
	s_branch .LBB1545_328
.LBB1545_331:
	s_or_b64 exec, exec, s[18:19]
	v_cmp_gt_i64_e32 vcc, s[12:13], v[28:29]
	s_mov_b32 s16, 0
	v_mov_b32_e32 v55, s16
	v_cndmask_b32_e64 v54, 0, 1, vcc
.LBB1545_332:
	s_or_b64 exec, exec, s[4:5]
.LBB1545_333:
	v_mul_lo_u32 v1, v5, s12
	v_mul_lo_u32 v26, v4, s13
	v_mad_u64_u32 v[22:23], s[4:5], v4, s12, 0
	v_add3_u32 v23, v23, v26, v1
	s_and_b64 vcc, exec, s[2:3]
	v_lshl_add_u64 v[22:23], v[22:23], 2, s[14:15]
	s_cbranch_vccnz .LBB1545_342
; %bb.334:
	global_load_dword v1, v[24:25], off
	global_load_dword v26, v[22:23], off
	v_mov_b64_e32 v[56:57], 1
	s_waitcnt vmcnt(0)
	v_cmp_eq_u32_e32 vcc, v1, v26
	s_and_saveexec_b64 s[4:5], vcc
	s_cbranch_execz .LBB1545_341
; %bb.335:
	s_add_u32 s16, s12, -1
	v_lshl_add_u64 v[26:27], v[22:23], 0, 4
	v_lshl_add_u64 v[24:25], v[24:25], 0, 4
	s_addc_u32 s17, s13, -1
	s_mov_b64 s[18:19], 0
	s_mov_b64 s[26:27], 0
                                        ; implicit-def: $sgpr24_sgpr25
	s_branch .LBB1545_338
.LBB1545_336:                           ;   in Loop: Header=BB1545_338 Depth=1
	global_load_dword v1, v[24:25], off
	global_load_dword v28, v[26:27], off
	s_add_u32 s26, s26, 1
	s_addc_u32 s27, s27, 0
	s_andn2_b64 s[24:25], s[24:25], exec
	v_lshl_add_u64 v[26:27], v[26:27], 0, 4
	v_lshl_add_u64 v[24:25], v[24:25], 0, 4
	s_waitcnt vmcnt(0)
	v_cmp_ne_u32_e32 vcc, v1, v28
	s_and_b64 s[28:29], vcc, exec
	s_or_b64 s[24:25], s[24:25], s[28:29]
.LBB1545_337:                           ;   in Loop: Header=BB1545_338 Depth=1
	s_and_b64 s[28:29], exec, s[24:25]
	s_or_b64 s[18:19], s[28:29], s[18:19]
	v_mov_b64_e32 v[28:29], s[26:27]
	s_andn2_b64 exec, exec, s[18:19]
	s_cbranch_execz .LBB1545_340
.LBB1545_338:                           ; =>This Inner Loop Header: Depth=1
	s_or_b64 s[24:25], s[24:25], exec
	s_cmp_eq_u64 s[16:17], s[26:27]
	s_cbranch_scc0 .LBB1545_336
; %bb.339:                              ;   in Loop: Header=BB1545_338 Depth=1
                                        ; implicit-def: $vgpr26_vgpr27
                                        ; implicit-def: $vgpr24_vgpr25
	s_mov_b64 s[26:27], s[12:13]
	s_branch .LBB1545_337
.LBB1545_340:
	s_or_b64 exec, exec, s[18:19]
	v_cmp_gt_i64_e32 vcc, s[12:13], v[28:29]
	s_mov_b32 s16, 0
	v_mov_b32_e32 v57, s16
	v_cndmask_b32_e64 v56, 0, 1, vcc
.LBB1545_341:
	s_or_b64 exec, exec, s[4:5]
.LBB1545_342:
	s_and_b64 vcc, exec, s[2:3]
	s_cbranch_vccnz .LBB1545_349
; %bb.343:
	v_mul_lo_u32 v1, v3, s12
	v_mul_lo_u32 v26, v2, s13
	v_mad_u64_u32 v[24:25], s[4:5], v2, s12, 0
	v_add3_u32 v25, v25, v26, v1
	v_lshl_add_u64 v[24:25], v[24:25], 2, s[14:15]
	global_load_dword v1, v[22:23], off
	global_load_dword v26, v[24:25], off
	v_mov_b64_e32 v[58:59], 1
	s_waitcnt vmcnt(0)
	v_cmp_eq_u32_e32 vcc, v1, v26
	s_and_saveexec_b64 s[4:5], vcc
	s_cbranch_execz .LBB1545_351
; %bb.344:
	s_add_u32 s16, s12, -1
	v_lshl_add_u64 v[24:25], v[24:25], 0, 4
	v_lshl_add_u64 v[22:23], v[22:23], 0, 4
	s_addc_u32 s17, s13, -1
	s_mov_b64 s[18:19], 0
	s_mov_b64 s[26:27], 0
                                        ; implicit-def: $sgpr24_sgpr25
	s_branch .LBB1545_347
.LBB1545_345:                           ;   in Loop: Header=BB1545_347 Depth=1
	global_load_dword v1, v[22:23], off
	global_load_dword v26, v[24:25], off
	s_add_u32 s26, s26, 1
	s_addc_u32 s27, s27, 0
	s_andn2_b64 s[24:25], s[24:25], exec
	v_lshl_add_u64 v[24:25], v[24:25], 0, 4
	v_lshl_add_u64 v[22:23], v[22:23], 0, 4
	s_waitcnt vmcnt(0)
	v_cmp_ne_u32_e32 vcc, v1, v26
	s_and_b64 s[28:29], vcc, exec
	s_or_b64 s[24:25], s[24:25], s[28:29]
.LBB1545_346:                           ;   in Loop: Header=BB1545_347 Depth=1
	s_and_b64 s[28:29], exec, s[24:25]
	s_or_b64 s[18:19], s[28:29], s[18:19]
	v_mov_b64_e32 v[26:27], s[26:27]
	s_andn2_b64 exec, exec, s[18:19]
	s_cbranch_execz .LBB1545_350
.LBB1545_347:                           ; =>This Inner Loop Header: Depth=1
	s_or_b64 s[24:25], s[24:25], exec
	s_cmp_eq_u64 s[16:17], s[26:27]
	s_cbranch_scc0 .LBB1545_345
; %bb.348:                              ;   in Loop: Header=BB1545_347 Depth=1
                                        ; implicit-def: $vgpr24_vgpr25
                                        ; implicit-def: $vgpr22_vgpr23
	s_mov_b64 s[26:27], s[12:13]
	s_branch .LBB1545_346
.LBB1545_349:
	v_mov_b64_e32 v[58:59], 0
	s_branch .LBB1545_352
.LBB1545_350:
	s_or_b64 exec, exec, s[18:19]
	v_cmp_gt_i64_e32 vcc, s[12:13], v[26:27]
	s_mov_b32 s16, 0
	v_mov_b32_e32 v59, s16
	v_cndmask_b32_e64 v58, 0, 1, vcc
.LBB1545_351:
	s_or_b64 exec, exec, s[4:5]
.LBB1545_352:
	v_cmp_ne_u32_e32 vcc, 0, v0
	s_waitcnt lgkmcnt(0)
	s_barrier
	s_waitcnt lgkmcnt(0)
                                        ; implicit-def: $sgpr18_sgpr19
	s_and_saveexec_b64 s[4:5], vcc
	s_cbranch_execz .LBB1545_364
; %bb.353:
	s_and_b64 vcc, exec, s[2:3]
	s_cbranch_vccnz .LBB1545_360
; %bb.354:
	v_add_u32_e32 v22, -8, v40
	ds_read_b64 v[22:23], v22
	v_mul_lo_u32 v1, v3, s12
	v_mul_lo_u32 v26, v2, s13
	v_mad_u64_u32 v[24:25], s[2:3], v2, s12, 0
	v_add3_u32 v25, v25, v26, v1
	s_waitcnt lgkmcnt(0)
	v_mul_lo_u32 v1, v23, s12
	v_mul_lo_u32 v26, v22, s13
	v_mad_u64_u32 v[22:23], s[2:3], v22, s12, 0
	v_add3_u32 v23, v23, v26, v1
	v_lshl_add_u64 v[24:25], v[24:25], 2, s[14:15]
	v_lshl_add_u64 v[22:23], v[22:23], 2, s[14:15]
	global_load_dword v1, v[24:25], off
	global_load_dword v26, v[22:23], off
	s_mov_b64 s[16:17], -1
	s_waitcnt vmcnt(0)
	v_cmp_eq_u32_e32 vcc, v1, v26
	s_and_saveexec_b64 s[2:3], vcc
	s_cbranch_execz .LBB1545_362
; %bb.355:
	s_add_u32 s16, s12, -1
	v_lshl_add_u64 v[22:23], v[22:23], 0, 4
	v_lshl_add_u64 v[24:25], v[24:25], 0, 4
	s_addc_u32 s17, s13, -1
	s_mov_b64 s[18:19], 0
	s_mov_b64 s[26:27], 0
                                        ; implicit-def: $sgpr24_sgpr25
	s_branch .LBB1545_358
.LBB1545_356:                           ;   in Loop: Header=BB1545_358 Depth=1
	global_load_dword v1, v[24:25], off
	global_load_dword v26, v[22:23], off
	s_add_u32 s26, s26, 1
	s_addc_u32 s27, s27, 0
	s_andn2_b64 s[24:25], s[24:25], exec
	v_lshl_add_u64 v[22:23], v[22:23], 0, 4
	v_lshl_add_u64 v[24:25], v[24:25], 0, 4
	s_waitcnt vmcnt(0)
	v_cmp_ne_u32_e32 vcc, v1, v26
	s_and_b64 s[28:29], vcc, exec
	s_or_b64 s[24:25], s[24:25], s[28:29]
.LBB1545_357:                           ;   in Loop: Header=BB1545_358 Depth=1
	s_and_b64 s[28:29], exec, s[24:25]
	s_or_b64 s[18:19], s[28:29], s[18:19]
	v_mov_b64_e32 v[26:27], s[26:27]
	s_andn2_b64 exec, exec, s[18:19]
	s_cbranch_execz .LBB1545_361
.LBB1545_358:                           ; =>This Inner Loop Header: Depth=1
	s_or_b64 s[24:25], s[24:25], exec
	s_cmp_eq_u64 s[16:17], s[26:27]
	s_cbranch_scc0 .LBB1545_356
; %bb.359:                              ;   in Loop: Header=BB1545_358 Depth=1
                                        ; implicit-def: $vgpr22_vgpr23
                                        ; implicit-def: $vgpr24_vgpr25
	s_mov_b64 s[26:27], s[12:13]
	s_branch .LBB1545_357
.LBB1545_360:
	s_mov_b64 s[16:17], 0
	s_branch .LBB1545_363
.LBB1545_361:
	s_or_b64 exec, exec, s[18:19]
	v_cmp_gt_i64_e32 vcc, s[12:13], v[26:27]
	s_orn2_b64 s[16:17], vcc, exec
.LBB1545_362:
	s_or_b64 exec, exec, s[2:3]
.LBB1545_363:
	s_and_b64 s[18:19], s[16:17], exec
	s_or_b64 s[22:23], s[22:23], exec
.LBB1545_364:
	s_or_b64 exec, exec, s[4:5]
	v_mov_b64_e32 v[60:61], v[44:45]
	v_mov_b64_e32 v[22:23], v[38:39]
	v_mov_b64_e32 v[68:69], v[58:59]
	v_mov_b64_e32 v[62:63], v[56:57]
	v_mov_b64_e32 v[34:35], v[54:55]
	v_mov_b64_e32 v[64:65], v[52:53]
	v_mov_b64_e32 v[30:31], v[50:51]
	v_mov_b64_e32 v[66:67], v[48:49]
	v_mov_b64_e32 v[26:27], v[46:47]
	s_branch .LBB1545_488
.LBB1545_365:
	s_waitcnt lgkmcnt(0)
	v_mad_u32_u24 v22, v0, 11, 10
	v_cmp_gt_i64_e64 s[2:3], s[12:13], 0
	v_cmp_gt_u32_e32 vcc, s10, v22
	v_mul_u32_u24_e32 v1, 11, v0
	v_cndmask_b32_e64 v22, 0, 1, s[2:3]
	v_cmp_ne_u32_e64 s[2:3], 1, v22
	ds_write_b64 v40, v[36:37]
	s_and_saveexec_b64 s[4:5], vcc
	s_cbranch_execz .LBB1545_376
; %bb.366:
	s_and_b64 vcc, exec, s[2:3]
	s_cbranch_vccnz .LBB1545_373
; %bb.367:
	v_mul_lo_u32 v24, v37, s12
	v_mul_lo_u32 v25, v36, s13
	v_mad_u64_u32 v[22:23], s[16:17], v36, s12, 0
	v_add3_u32 v23, v23, v25, v24
	v_mul_lo_u32 v24, v21, s12
	v_mul_lo_u32 v25, v20, s13
	v_mad_u64_u32 v[26:27], s[16:17], v20, s12, 0
	v_add3_u32 v27, v27, v25, v24
	v_lshl_add_u64 v[24:25], v[22:23], 2, s[14:15]
	v_lshl_add_u64 v[22:23], v[26:27], 2, s[14:15]
	global_load_dword v26, v[24:25], off
	global_load_dword v27, v[22:23], off
	v_mov_b64_e32 v[36:37], 1
	s_waitcnt vmcnt(0)
	v_cmp_eq_u32_e32 vcc, v26, v27
	s_and_saveexec_b64 s[16:17], vcc
	s_cbranch_execz .LBB1545_375
; %bb.368:
	s_add_u32 s18, s12, -1
	v_lshl_add_u64 v[22:23], v[22:23], 0, 4
	v_lshl_add_u64 v[24:25], v[24:25], 0, 4
	s_addc_u32 s19, s13, -1
	s_mov_b64 s[24:25], 0
	s_mov_b64 s[28:29], 0
                                        ; implicit-def: $sgpr26_sgpr27
	s_branch .LBB1545_371
.LBB1545_369:                           ;   in Loop: Header=BB1545_371 Depth=1
	global_load_dword v26, v[24:25], off
	global_load_dword v27, v[22:23], off
	s_add_u32 s28, s28, 1
	s_addc_u32 s29, s29, 0
	s_andn2_b64 s[26:27], s[26:27], exec
	v_lshl_add_u64 v[22:23], v[22:23], 0, 4
	v_lshl_add_u64 v[24:25], v[24:25], 0, 4
	s_waitcnt vmcnt(0)
	v_cmp_ne_u32_e32 vcc, v26, v27
	s_and_b64 s[30:31], vcc, exec
	s_or_b64 s[26:27], s[26:27], s[30:31]
.LBB1545_370:                           ;   in Loop: Header=BB1545_371 Depth=1
	s_and_b64 s[30:31], exec, s[26:27]
	s_or_b64 s[24:25], s[30:31], s[24:25]
	v_mov_b64_e32 v[26:27], s[28:29]
	s_andn2_b64 exec, exec, s[24:25]
	s_cbranch_execz .LBB1545_374
.LBB1545_371:                           ; =>This Inner Loop Header: Depth=1
	s_or_b64 s[26:27], s[26:27], exec
	s_cmp_eq_u64 s[18:19], s[28:29]
	s_cbranch_scc0 .LBB1545_369
; %bb.372:                              ;   in Loop: Header=BB1545_371 Depth=1
                                        ; implicit-def: $vgpr22_vgpr23
                                        ; implicit-def: $vgpr24_vgpr25
	s_mov_b64 s[28:29], s[12:13]
	s_branch .LBB1545_370
.LBB1545_373:
	v_mov_b64_e32 v[36:37], 0
	s_branch .LBB1545_376
.LBB1545_374:
	s_or_b64 exec, exec, s[24:25]
	v_cmp_gt_i64_e32 vcc, s[12:13], v[26:27]
	s_mov_b32 s18, 0
	v_mov_b32_e32 v37, s18
	v_cndmask_b32_e64 v36, 0, 1, vcc
.LBB1545_375:
	s_or_b64 exec, exec, s[16:17]
.LBB1545_376:
	s_or_b64 exec, exec, s[4:5]
	v_add_u32_e32 v22, 9, v1
	v_cmp_gt_u32_e32 vcc, s10, v22
	s_and_saveexec_b64 s[4:5], vcc
	s_cbranch_execz .LBB1545_387
; %bb.377:
	s_and_b64 vcc, exec, s[2:3]
	s_cbranch_vccnz .LBB1545_384
; %bb.378:
	v_mul_lo_u32 v22, v21, s12
	v_mul_lo_u32 v23, v20, s13
	v_mad_u64_u32 v[20:21], s[16:17], v20, s12, 0
	v_add3_u32 v21, v21, v23, v22
	v_mul_lo_u32 v22, v19, s12
	v_mul_lo_u32 v23, v18, s13
	v_mad_u64_u32 v[24:25], s[16:17], v18, s12, 0
	v_add3_u32 v25, v25, v23, v22
	v_lshl_add_u64 v[22:23], v[20:21], 2, s[14:15]
	v_lshl_add_u64 v[24:25], v[24:25], 2, s[14:15]
	global_load_dword v20, v[22:23], off
	global_load_dword v21, v[24:25], off
	s_waitcnt vmcnt(0)
	v_cmp_eq_u32_e32 vcc, v20, v21
	v_mov_b64_e32 v[20:21], 1
	s_and_saveexec_b64 s[16:17], vcc
	s_cbranch_execz .LBB1545_386
; %bb.379:
	s_add_u32 s18, s12, -1
	v_lshl_add_u64 v[20:21], v[24:25], 0, 4
	v_lshl_add_u64 v[22:23], v[22:23], 0, 4
	s_addc_u32 s19, s13, -1
	s_mov_b64 s[24:25], 0
	s_mov_b64 s[28:29], 0
                                        ; implicit-def: $sgpr26_sgpr27
	s_branch .LBB1545_382
.LBB1545_380:                           ;   in Loop: Header=BB1545_382 Depth=1
	global_load_dword v24, v[22:23], off
	global_load_dword v25, v[20:21], off
	s_add_u32 s28, s28, 1
	s_addc_u32 s29, s29, 0
	s_andn2_b64 s[26:27], s[26:27], exec
	v_lshl_add_u64 v[20:21], v[20:21], 0, 4
	v_lshl_add_u64 v[22:23], v[22:23], 0, 4
	s_waitcnt vmcnt(0)
	v_cmp_ne_u32_e32 vcc, v24, v25
	s_and_b64 s[30:31], vcc, exec
	s_or_b64 s[26:27], s[26:27], s[30:31]
.LBB1545_381:                           ;   in Loop: Header=BB1545_382 Depth=1
	s_and_b64 s[30:31], exec, s[26:27]
	s_or_b64 s[24:25], s[30:31], s[24:25]
	v_mov_b64_e32 v[24:25], s[28:29]
	s_andn2_b64 exec, exec, s[24:25]
	s_cbranch_execz .LBB1545_385
.LBB1545_382:                           ; =>This Inner Loop Header: Depth=1
	s_or_b64 s[26:27], s[26:27], exec
	s_cmp_eq_u64 s[18:19], s[28:29]
	s_cbranch_scc0 .LBB1545_380
; %bb.383:                              ;   in Loop: Header=BB1545_382 Depth=1
                                        ; implicit-def: $vgpr20_vgpr21
                                        ; implicit-def: $vgpr22_vgpr23
	s_mov_b64 s[28:29], s[12:13]
	s_branch .LBB1545_381
.LBB1545_384:
	v_mov_b64_e32 v[20:21], 0
	s_branch .LBB1545_387
.LBB1545_385:
	s_or_b64 exec, exec, s[24:25]
	v_cmp_gt_i64_e32 vcc, s[12:13], v[24:25]
	s_mov_b32 s18, 0
	v_mov_b32_e32 v21, s18
	v_cndmask_b32_e64 v20, 0, 1, vcc
.LBB1545_386:
	s_or_b64 exec, exec, s[16:17]
.LBB1545_387:
	s_or_b64 exec, exec, s[4:5]
	v_add_u32_e32 v22, 8, v1
	v_cmp_gt_u32_e32 vcc, s10, v22
	s_and_saveexec_b64 s[4:5], vcc
	s_cbranch_execz .LBB1545_398
; %bb.388:
	s_and_b64 vcc, exec, s[2:3]
	s_cbranch_vccnz .LBB1545_395
; %bb.389:
	v_mul_lo_u32 v22, v19, s12
	v_mul_lo_u32 v23, v18, s13
	v_mad_u64_u32 v[18:19], s[16:17], v18, s12, 0
	v_add3_u32 v19, v19, v23, v22
	v_mul_lo_u32 v22, v17, s12
	v_mul_lo_u32 v23, v16, s13
	v_mad_u64_u32 v[24:25], s[16:17], v16, s12, 0
	v_add3_u32 v25, v25, v23, v22
	v_lshl_add_u64 v[22:23], v[18:19], 2, s[14:15]
	v_lshl_add_u64 v[24:25], v[24:25], 2, s[14:15]
	global_load_dword v18, v[22:23], off
	global_load_dword v19, v[24:25], off
	s_waitcnt vmcnt(0)
	v_cmp_eq_u32_e32 vcc, v18, v19
	v_mov_b64_e32 v[18:19], 1
	s_and_saveexec_b64 s[16:17], vcc
	s_cbranch_execz .LBB1545_397
; %bb.390:
	s_add_u32 s18, s12, -1
	v_lshl_add_u64 v[18:19], v[24:25], 0, 4
	v_lshl_add_u64 v[22:23], v[22:23], 0, 4
	s_addc_u32 s19, s13, -1
	s_mov_b64 s[24:25], 0
	s_mov_b64 s[28:29], 0
                                        ; implicit-def: $sgpr26_sgpr27
	s_branch .LBB1545_393
.LBB1545_391:                           ;   in Loop: Header=BB1545_393 Depth=1
	global_load_dword v24, v[22:23], off
	global_load_dword v25, v[18:19], off
	s_add_u32 s28, s28, 1
	s_addc_u32 s29, s29, 0
	s_andn2_b64 s[26:27], s[26:27], exec
	v_lshl_add_u64 v[18:19], v[18:19], 0, 4
	v_lshl_add_u64 v[22:23], v[22:23], 0, 4
	s_waitcnt vmcnt(0)
	v_cmp_ne_u32_e32 vcc, v24, v25
	s_and_b64 s[30:31], vcc, exec
	s_or_b64 s[26:27], s[26:27], s[30:31]
.LBB1545_392:                           ;   in Loop: Header=BB1545_393 Depth=1
	s_and_b64 s[30:31], exec, s[26:27]
	s_or_b64 s[24:25], s[30:31], s[24:25]
	v_mov_b64_e32 v[24:25], s[28:29]
	s_andn2_b64 exec, exec, s[24:25]
	s_cbranch_execz .LBB1545_396
.LBB1545_393:                           ; =>This Inner Loop Header: Depth=1
	s_or_b64 s[26:27], s[26:27], exec
	s_cmp_eq_u64 s[18:19], s[28:29]
	s_cbranch_scc0 .LBB1545_391
; %bb.394:                              ;   in Loop: Header=BB1545_393 Depth=1
                                        ; implicit-def: $vgpr18_vgpr19
                                        ; implicit-def: $vgpr22_vgpr23
	s_mov_b64 s[28:29], s[12:13]
	s_branch .LBB1545_392
.LBB1545_395:
	v_mov_b64_e32 v[18:19], 0
	s_branch .LBB1545_398
.LBB1545_396:
	s_or_b64 exec, exec, s[24:25]
	v_cmp_gt_i64_e32 vcc, s[12:13], v[24:25]
	s_mov_b32 s18, 0
	v_mov_b32_e32 v19, s18
	v_cndmask_b32_e64 v18, 0, 1, vcc
.LBB1545_397:
	s_or_b64 exec, exec, s[16:17]
.LBB1545_398:
	s_or_b64 exec, exec, s[4:5]
	v_add_u32_e32 v22, 7, v1
	v_cmp_gt_u32_e32 vcc, s10, v22
	s_and_saveexec_b64 s[4:5], vcc
	s_cbranch_execz .LBB1545_409
; %bb.399:
	s_and_b64 vcc, exec, s[2:3]
	s_cbranch_vccnz .LBB1545_406
; %bb.400:
	v_mul_lo_u32 v22, v17, s12
	v_mul_lo_u32 v23, v16, s13
	v_mad_u64_u32 v[16:17], s[16:17], v16, s12, 0
	v_add3_u32 v17, v17, v23, v22
	v_mul_lo_u32 v22, v15, s12
	v_mul_lo_u32 v23, v14, s13
	v_mad_u64_u32 v[24:25], s[16:17], v14, s12, 0
	v_add3_u32 v25, v25, v23, v22
	v_lshl_add_u64 v[22:23], v[16:17], 2, s[14:15]
	v_lshl_add_u64 v[24:25], v[24:25], 2, s[14:15]
	global_load_dword v16, v[22:23], off
	global_load_dword v17, v[24:25], off
	s_waitcnt vmcnt(0)
	v_cmp_eq_u32_e32 vcc, v16, v17
	v_mov_b64_e32 v[16:17], 1
	s_and_saveexec_b64 s[16:17], vcc
	s_cbranch_execz .LBB1545_408
; %bb.401:
	s_add_u32 s18, s12, -1
	v_lshl_add_u64 v[16:17], v[24:25], 0, 4
	v_lshl_add_u64 v[22:23], v[22:23], 0, 4
	s_addc_u32 s19, s13, -1
	s_mov_b64 s[24:25], 0
	s_mov_b64 s[28:29], 0
                                        ; implicit-def: $sgpr26_sgpr27
	s_branch .LBB1545_404
.LBB1545_402:                           ;   in Loop: Header=BB1545_404 Depth=1
	global_load_dword v24, v[22:23], off
	global_load_dword v25, v[16:17], off
	s_add_u32 s28, s28, 1
	s_addc_u32 s29, s29, 0
	s_andn2_b64 s[26:27], s[26:27], exec
	v_lshl_add_u64 v[16:17], v[16:17], 0, 4
	v_lshl_add_u64 v[22:23], v[22:23], 0, 4
	s_waitcnt vmcnt(0)
	v_cmp_ne_u32_e32 vcc, v24, v25
	s_and_b64 s[30:31], vcc, exec
	s_or_b64 s[26:27], s[26:27], s[30:31]
.LBB1545_403:                           ;   in Loop: Header=BB1545_404 Depth=1
	s_and_b64 s[30:31], exec, s[26:27]
	s_or_b64 s[24:25], s[30:31], s[24:25]
	v_mov_b64_e32 v[24:25], s[28:29]
	s_andn2_b64 exec, exec, s[24:25]
	s_cbranch_execz .LBB1545_407
.LBB1545_404:                           ; =>This Inner Loop Header: Depth=1
	s_or_b64 s[26:27], s[26:27], exec
	s_cmp_eq_u64 s[18:19], s[28:29]
	s_cbranch_scc0 .LBB1545_402
; %bb.405:                              ;   in Loop: Header=BB1545_404 Depth=1
                                        ; implicit-def: $vgpr16_vgpr17
                                        ; implicit-def: $vgpr22_vgpr23
	s_mov_b64 s[28:29], s[12:13]
	s_branch .LBB1545_403
.LBB1545_406:
	v_mov_b64_e32 v[16:17], 0
	s_branch .LBB1545_409
.LBB1545_407:
	s_or_b64 exec, exec, s[24:25]
	v_cmp_gt_i64_e32 vcc, s[12:13], v[24:25]
	s_mov_b32 s18, 0
	v_mov_b32_e32 v17, s18
	v_cndmask_b32_e64 v16, 0, 1, vcc
.LBB1545_408:
	s_or_b64 exec, exec, s[16:17]
.LBB1545_409:
	s_or_b64 exec, exec, s[4:5]
	v_add_u32_e32 v22, 6, v1
	v_cmp_gt_u32_e32 vcc, s10, v22
	s_and_saveexec_b64 s[4:5], vcc
	s_cbranch_execz .LBB1545_420
; %bb.410:
	s_and_b64 vcc, exec, s[2:3]
	s_cbranch_vccnz .LBB1545_417
; %bb.411:
	v_mul_lo_u32 v22, v15, s12
	v_mul_lo_u32 v23, v14, s13
	v_mad_u64_u32 v[14:15], s[16:17], v14, s12, 0
	v_add3_u32 v15, v15, v23, v22
	v_mul_lo_u32 v22, v13, s12
	v_mul_lo_u32 v23, v12, s13
	v_mad_u64_u32 v[24:25], s[16:17], v12, s12, 0
	v_add3_u32 v25, v25, v23, v22
	v_lshl_add_u64 v[22:23], v[14:15], 2, s[14:15]
	v_lshl_add_u64 v[24:25], v[24:25], 2, s[14:15]
	global_load_dword v14, v[22:23], off
	global_load_dword v15, v[24:25], off
	s_waitcnt vmcnt(0)
	v_cmp_eq_u32_e32 vcc, v14, v15
	v_mov_b64_e32 v[14:15], 1
	s_and_saveexec_b64 s[16:17], vcc
	s_cbranch_execz .LBB1545_419
; %bb.412:
	s_add_u32 s18, s12, -1
	v_lshl_add_u64 v[14:15], v[24:25], 0, 4
	v_lshl_add_u64 v[22:23], v[22:23], 0, 4
	s_addc_u32 s19, s13, -1
	s_mov_b64 s[24:25], 0
	s_mov_b64 s[28:29], 0
                                        ; implicit-def: $sgpr26_sgpr27
	s_branch .LBB1545_415
.LBB1545_413:                           ;   in Loop: Header=BB1545_415 Depth=1
	global_load_dword v24, v[22:23], off
	global_load_dword v25, v[14:15], off
	s_add_u32 s28, s28, 1
	s_addc_u32 s29, s29, 0
	s_andn2_b64 s[26:27], s[26:27], exec
	v_lshl_add_u64 v[14:15], v[14:15], 0, 4
	v_lshl_add_u64 v[22:23], v[22:23], 0, 4
	s_waitcnt vmcnt(0)
	v_cmp_ne_u32_e32 vcc, v24, v25
	s_and_b64 s[30:31], vcc, exec
	s_or_b64 s[26:27], s[26:27], s[30:31]
.LBB1545_414:                           ;   in Loop: Header=BB1545_415 Depth=1
	s_and_b64 s[30:31], exec, s[26:27]
	s_or_b64 s[24:25], s[30:31], s[24:25]
	v_mov_b64_e32 v[24:25], s[28:29]
	s_andn2_b64 exec, exec, s[24:25]
	s_cbranch_execz .LBB1545_418
.LBB1545_415:                           ; =>This Inner Loop Header: Depth=1
	s_or_b64 s[26:27], s[26:27], exec
	s_cmp_eq_u64 s[18:19], s[28:29]
	s_cbranch_scc0 .LBB1545_413
; %bb.416:                              ;   in Loop: Header=BB1545_415 Depth=1
                                        ; implicit-def: $vgpr14_vgpr15
                                        ; implicit-def: $vgpr22_vgpr23
	s_mov_b64 s[28:29], s[12:13]
	s_branch .LBB1545_414
.LBB1545_417:
	v_mov_b64_e32 v[14:15], 0
	s_branch .LBB1545_420
.LBB1545_418:
	s_or_b64 exec, exec, s[24:25]
	v_cmp_gt_i64_e32 vcc, s[12:13], v[24:25]
	s_mov_b32 s18, 0
	v_mov_b32_e32 v15, s18
	v_cndmask_b32_e64 v14, 0, 1, vcc
.LBB1545_419:
	s_or_b64 exec, exec, s[16:17]
.LBB1545_420:
	s_or_b64 exec, exec, s[4:5]
	v_add_u32_e32 v22, 5, v1
	v_cmp_gt_u32_e32 vcc, s10, v22
	s_and_saveexec_b64 s[4:5], vcc
	s_cbranch_execz .LBB1545_431
; %bb.421:
	s_and_b64 vcc, exec, s[2:3]
	s_cbranch_vccnz .LBB1545_428
; %bb.422:
	v_mul_lo_u32 v22, v13, s12
	v_mul_lo_u32 v23, v12, s13
	v_mad_u64_u32 v[12:13], s[16:17], v12, s12, 0
	v_add3_u32 v13, v13, v23, v22
	v_mul_lo_u32 v22, v11, s12
	v_mul_lo_u32 v23, v10, s13
	v_mad_u64_u32 v[24:25], s[16:17], v10, s12, 0
	v_add3_u32 v25, v25, v23, v22
	v_lshl_add_u64 v[22:23], v[12:13], 2, s[14:15]
	v_lshl_add_u64 v[24:25], v[24:25], 2, s[14:15]
	global_load_dword v12, v[22:23], off
	global_load_dword v13, v[24:25], off
	s_waitcnt vmcnt(0)
	v_cmp_eq_u32_e32 vcc, v12, v13
	v_mov_b64_e32 v[12:13], 1
	s_and_saveexec_b64 s[16:17], vcc
	s_cbranch_execz .LBB1545_430
; %bb.423:
	s_add_u32 s18, s12, -1
	v_lshl_add_u64 v[12:13], v[24:25], 0, 4
	v_lshl_add_u64 v[22:23], v[22:23], 0, 4
	s_addc_u32 s19, s13, -1
	s_mov_b64 s[24:25], 0
	s_mov_b64 s[28:29], 0
                                        ; implicit-def: $sgpr26_sgpr27
	s_branch .LBB1545_426
.LBB1545_424:                           ;   in Loop: Header=BB1545_426 Depth=1
	global_load_dword v24, v[22:23], off
	global_load_dword v25, v[12:13], off
	s_add_u32 s28, s28, 1
	s_addc_u32 s29, s29, 0
	s_andn2_b64 s[26:27], s[26:27], exec
	v_lshl_add_u64 v[12:13], v[12:13], 0, 4
	v_lshl_add_u64 v[22:23], v[22:23], 0, 4
	s_waitcnt vmcnt(0)
	v_cmp_ne_u32_e32 vcc, v24, v25
	s_and_b64 s[30:31], vcc, exec
	s_or_b64 s[26:27], s[26:27], s[30:31]
.LBB1545_425:                           ;   in Loop: Header=BB1545_426 Depth=1
	s_and_b64 s[30:31], exec, s[26:27]
	s_or_b64 s[24:25], s[30:31], s[24:25]
	v_mov_b64_e32 v[24:25], s[28:29]
	s_andn2_b64 exec, exec, s[24:25]
	s_cbranch_execz .LBB1545_429
.LBB1545_426:                           ; =>This Inner Loop Header: Depth=1
	s_or_b64 s[26:27], s[26:27], exec
	s_cmp_eq_u64 s[18:19], s[28:29]
	s_cbranch_scc0 .LBB1545_424
; %bb.427:                              ;   in Loop: Header=BB1545_426 Depth=1
                                        ; implicit-def: $vgpr12_vgpr13
                                        ; implicit-def: $vgpr22_vgpr23
	s_mov_b64 s[28:29], s[12:13]
	s_branch .LBB1545_425
.LBB1545_428:
	v_mov_b64_e32 v[12:13], 0
	s_branch .LBB1545_431
.LBB1545_429:
	s_or_b64 exec, exec, s[24:25]
	v_cmp_gt_i64_e32 vcc, s[12:13], v[24:25]
	s_mov_b32 s18, 0
	v_mov_b32_e32 v13, s18
	v_cndmask_b32_e64 v12, 0, 1, vcc
.LBB1545_430:
	s_or_b64 exec, exec, s[16:17]
.LBB1545_431:
	s_or_b64 exec, exec, s[4:5]
	v_add_u32_e32 v22, 4, v1
	v_cmp_gt_u32_e32 vcc, s10, v22
	s_and_saveexec_b64 s[4:5], vcc
	s_cbranch_execz .LBB1545_442
; %bb.432:
	s_and_b64 vcc, exec, s[2:3]
	s_cbranch_vccnz .LBB1545_439
; %bb.433:
	v_mul_lo_u32 v22, v11, s12
	v_mul_lo_u32 v23, v10, s13
	v_mad_u64_u32 v[10:11], s[16:17], v10, s12, 0
	v_add3_u32 v11, v11, v23, v22
	v_mul_lo_u32 v22, v9, s12
	v_mul_lo_u32 v23, v8, s13
	v_mad_u64_u32 v[24:25], s[16:17], v8, s12, 0
	v_add3_u32 v25, v25, v23, v22
	v_lshl_add_u64 v[22:23], v[10:11], 2, s[14:15]
	v_lshl_add_u64 v[24:25], v[24:25], 2, s[14:15]
	global_load_dword v10, v[22:23], off
	global_load_dword v11, v[24:25], off
	s_waitcnt vmcnt(0)
	v_cmp_eq_u32_e32 vcc, v10, v11
	v_mov_b64_e32 v[10:11], 1
	s_and_saveexec_b64 s[16:17], vcc
	s_cbranch_execz .LBB1545_441
; %bb.434:
	s_add_u32 s18, s12, -1
	v_lshl_add_u64 v[10:11], v[24:25], 0, 4
	v_lshl_add_u64 v[22:23], v[22:23], 0, 4
	s_addc_u32 s19, s13, -1
	s_mov_b64 s[24:25], 0
	s_mov_b64 s[28:29], 0
                                        ; implicit-def: $sgpr26_sgpr27
	s_branch .LBB1545_437
.LBB1545_435:                           ;   in Loop: Header=BB1545_437 Depth=1
	global_load_dword v24, v[22:23], off
	global_load_dword v25, v[10:11], off
	s_add_u32 s28, s28, 1
	s_addc_u32 s29, s29, 0
	s_andn2_b64 s[26:27], s[26:27], exec
	v_lshl_add_u64 v[10:11], v[10:11], 0, 4
	v_lshl_add_u64 v[22:23], v[22:23], 0, 4
	s_waitcnt vmcnt(0)
	v_cmp_ne_u32_e32 vcc, v24, v25
	s_and_b64 s[30:31], vcc, exec
	s_or_b64 s[26:27], s[26:27], s[30:31]
.LBB1545_436:                           ;   in Loop: Header=BB1545_437 Depth=1
	s_and_b64 s[30:31], exec, s[26:27]
	s_or_b64 s[24:25], s[30:31], s[24:25]
	v_mov_b64_e32 v[24:25], s[28:29]
	s_andn2_b64 exec, exec, s[24:25]
	s_cbranch_execz .LBB1545_440
.LBB1545_437:                           ; =>This Inner Loop Header: Depth=1
	s_or_b64 s[26:27], s[26:27], exec
	s_cmp_eq_u64 s[18:19], s[28:29]
	s_cbranch_scc0 .LBB1545_435
; %bb.438:                              ;   in Loop: Header=BB1545_437 Depth=1
                                        ; implicit-def: $vgpr10_vgpr11
                                        ; implicit-def: $vgpr22_vgpr23
	s_mov_b64 s[28:29], s[12:13]
	s_branch .LBB1545_436
.LBB1545_439:
	v_mov_b64_e32 v[10:11], 0
	s_branch .LBB1545_442
.LBB1545_440:
	s_or_b64 exec, exec, s[24:25]
	v_cmp_gt_i64_e32 vcc, s[12:13], v[24:25]
	s_mov_b32 s18, 0
	v_mov_b32_e32 v11, s18
	v_cndmask_b32_e64 v10, 0, 1, vcc
.LBB1545_441:
	s_or_b64 exec, exec, s[16:17]
.LBB1545_442:
	s_or_b64 exec, exec, s[4:5]
	v_add_u32_e32 v22, 3, v1
	v_cmp_gt_u32_e32 vcc, s10, v22
	s_and_saveexec_b64 s[4:5], vcc
	s_cbranch_execz .LBB1545_453
; %bb.443:
	s_and_b64 vcc, exec, s[2:3]
	s_cbranch_vccnz .LBB1545_450
; %bb.444:
	v_mul_lo_u32 v22, v9, s12
	v_mul_lo_u32 v23, v8, s13
	v_mad_u64_u32 v[8:9], s[16:17], v8, s12, 0
	v_add3_u32 v9, v9, v23, v22
	v_mul_lo_u32 v22, v7, s12
	v_mul_lo_u32 v23, v6, s13
	v_mad_u64_u32 v[24:25], s[16:17], v6, s12, 0
	v_add3_u32 v25, v25, v23, v22
	v_lshl_add_u64 v[22:23], v[8:9], 2, s[14:15]
	v_lshl_add_u64 v[24:25], v[24:25], 2, s[14:15]
	global_load_dword v8, v[22:23], off
	global_load_dword v9, v[24:25], off
	s_waitcnt vmcnt(0)
	v_cmp_eq_u32_e32 vcc, v8, v9
	v_mov_b64_e32 v[8:9], 1
	s_and_saveexec_b64 s[16:17], vcc
	s_cbranch_execz .LBB1545_452
; %bb.445:
	s_add_u32 s18, s12, -1
	v_lshl_add_u64 v[8:9], v[24:25], 0, 4
	v_lshl_add_u64 v[22:23], v[22:23], 0, 4
	s_addc_u32 s19, s13, -1
	s_mov_b64 s[24:25], 0
	s_mov_b64 s[28:29], 0
                                        ; implicit-def: $sgpr26_sgpr27
	s_branch .LBB1545_448
.LBB1545_446:                           ;   in Loop: Header=BB1545_448 Depth=1
	global_load_dword v24, v[22:23], off
	global_load_dword v25, v[8:9], off
	s_add_u32 s28, s28, 1
	s_addc_u32 s29, s29, 0
	s_andn2_b64 s[26:27], s[26:27], exec
	v_lshl_add_u64 v[8:9], v[8:9], 0, 4
	v_lshl_add_u64 v[22:23], v[22:23], 0, 4
	s_waitcnt vmcnt(0)
	v_cmp_ne_u32_e32 vcc, v24, v25
	s_and_b64 s[30:31], vcc, exec
	s_or_b64 s[26:27], s[26:27], s[30:31]
.LBB1545_447:                           ;   in Loop: Header=BB1545_448 Depth=1
	s_and_b64 s[30:31], exec, s[26:27]
	s_or_b64 s[24:25], s[30:31], s[24:25]
	v_mov_b64_e32 v[24:25], s[28:29]
	s_andn2_b64 exec, exec, s[24:25]
	s_cbranch_execz .LBB1545_451
.LBB1545_448:                           ; =>This Inner Loop Header: Depth=1
	s_or_b64 s[26:27], s[26:27], exec
	s_cmp_eq_u64 s[18:19], s[28:29]
	s_cbranch_scc0 .LBB1545_446
; %bb.449:                              ;   in Loop: Header=BB1545_448 Depth=1
                                        ; implicit-def: $vgpr8_vgpr9
                                        ; implicit-def: $vgpr22_vgpr23
	s_mov_b64 s[28:29], s[12:13]
	s_branch .LBB1545_447
.LBB1545_450:
	v_mov_b64_e32 v[8:9], 0
	s_branch .LBB1545_453
.LBB1545_451:
	s_or_b64 exec, exec, s[24:25]
	v_cmp_gt_i64_e32 vcc, s[12:13], v[24:25]
	s_mov_b32 s18, 0
	v_mov_b32_e32 v9, s18
	v_cndmask_b32_e64 v8, 0, 1, vcc
.LBB1545_452:
	s_or_b64 exec, exec, s[16:17]
.LBB1545_453:
	s_or_b64 exec, exec, s[4:5]
	v_add_u32_e32 v22, 2, v1
	v_cmp_gt_u32_e32 vcc, s10, v22
	s_and_saveexec_b64 s[4:5], vcc
	s_cbranch_execz .LBB1545_464
; %bb.454:
	s_and_b64 vcc, exec, s[2:3]
	s_cbranch_vccnz .LBB1545_461
; %bb.455:
	v_mul_lo_u32 v22, v7, s12
	v_mul_lo_u32 v23, v6, s13
	v_mad_u64_u32 v[6:7], s[16:17], v6, s12, 0
	v_add3_u32 v7, v7, v23, v22
	v_mul_lo_u32 v22, v5, s12
	v_mul_lo_u32 v23, v4, s13
	v_mad_u64_u32 v[24:25], s[16:17], v4, s12, 0
	v_add3_u32 v25, v25, v23, v22
	v_lshl_add_u64 v[22:23], v[6:7], 2, s[14:15]
	v_lshl_add_u64 v[24:25], v[24:25], 2, s[14:15]
	global_load_dword v6, v[22:23], off
	global_load_dword v7, v[24:25], off
	s_waitcnt vmcnt(0)
	v_cmp_eq_u32_e32 vcc, v6, v7
	v_mov_b64_e32 v[6:7], 1
	s_and_saveexec_b64 s[16:17], vcc
	s_cbranch_execz .LBB1545_463
; %bb.456:
	s_add_u32 s18, s12, -1
	v_lshl_add_u64 v[6:7], v[24:25], 0, 4
	v_lshl_add_u64 v[22:23], v[22:23], 0, 4
	s_addc_u32 s19, s13, -1
	s_mov_b64 s[24:25], 0
	s_mov_b64 s[28:29], 0
                                        ; implicit-def: $sgpr26_sgpr27
	s_branch .LBB1545_459
.LBB1545_457:                           ;   in Loop: Header=BB1545_459 Depth=1
	global_load_dword v24, v[22:23], off
	global_load_dword v25, v[6:7], off
	s_add_u32 s28, s28, 1
	s_addc_u32 s29, s29, 0
	s_andn2_b64 s[26:27], s[26:27], exec
	v_lshl_add_u64 v[6:7], v[6:7], 0, 4
	v_lshl_add_u64 v[22:23], v[22:23], 0, 4
	s_waitcnt vmcnt(0)
	v_cmp_ne_u32_e32 vcc, v24, v25
	s_and_b64 s[30:31], vcc, exec
	s_or_b64 s[26:27], s[26:27], s[30:31]
.LBB1545_458:                           ;   in Loop: Header=BB1545_459 Depth=1
	s_and_b64 s[30:31], exec, s[26:27]
	s_or_b64 s[24:25], s[30:31], s[24:25]
	v_mov_b64_e32 v[24:25], s[28:29]
	s_andn2_b64 exec, exec, s[24:25]
	s_cbranch_execz .LBB1545_462
.LBB1545_459:                           ; =>This Inner Loop Header: Depth=1
	s_or_b64 s[26:27], s[26:27], exec
	s_cmp_eq_u64 s[18:19], s[28:29]
	s_cbranch_scc0 .LBB1545_457
; %bb.460:                              ;   in Loop: Header=BB1545_459 Depth=1
                                        ; implicit-def: $vgpr6_vgpr7
                                        ; implicit-def: $vgpr22_vgpr23
	s_mov_b64 s[28:29], s[12:13]
	s_branch .LBB1545_458
.LBB1545_461:
	v_mov_b64_e32 v[6:7], 0
	s_branch .LBB1545_464
.LBB1545_462:
	s_or_b64 exec, exec, s[24:25]
	v_cmp_gt_i64_e32 vcc, s[12:13], v[24:25]
	s_mov_b32 s18, 0
	v_mov_b32_e32 v7, s18
	v_cndmask_b32_e64 v6, 0, 1, vcc
.LBB1545_463:
	s_or_b64 exec, exec, s[16:17]
.LBB1545_464:
	s_or_b64 exec, exec, s[4:5]
	v_add_u32_e32 v22, 1, v1
	v_cmp_gt_u32_e32 vcc, s10, v22
	s_and_saveexec_b64 s[4:5], vcc
	s_cbranch_execz .LBB1545_475
; %bb.465:
	s_and_b64 vcc, exec, s[2:3]
	s_cbranch_vccnz .LBB1545_472
; %bb.466:
	v_mul_lo_u32 v22, v5, s12
	v_mul_lo_u32 v23, v4, s13
	v_mad_u64_u32 v[4:5], s[16:17], v4, s12, 0
	v_add3_u32 v5, v5, v23, v22
	v_mul_lo_u32 v22, v3, s12
	v_mul_lo_u32 v23, v2, s13
	v_mad_u64_u32 v[24:25], s[16:17], v2, s12, 0
	v_add3_u32 v25, v25, v23, v22
	v_lshl_add_u64 v[22:23], v[4:5], 2, s[14:15]
	v_lshl_add_u64 v[24:25], v[24:25], 2, s[14:15]
	global_load_dword v4, v[22:23], off
	global_load_dword v5, v[24:25], off
	s_waitcnt vmcnt(0)
	v_cmp_eq_u32_e32 vcc, v4, v5
	v_mov_b64_e32 v[4:5], 1
	s_and_saveexec_b64 s[16:17], vcc
	s_cbranch_execz .LBB1545_474
; %bb.467:
	s_add_u32 s18, s12, -1
	v_lshl_add_u64 v[4:5], v[24:25], 0, 4
	v_lshl_add_u64 v[22:23], v[22:23], 0, 4
	s_addc_u32 s19, s13, -1
	s_mov_b64 s[24:25], 0
	s_mov_b64 s[28:29], 0
                                        ; implicit-def: $sgpr26_sgpr27
	s_branch .LBB1545_470
.LBB1545_468:                           ;   in Loop: Header=BB1545_470 Depth=1
	global_load_dword v24, v[22:23], off
	global_load_dword v25, v[4:5], off
	s_add_u32 s28, s28, 1
	s_addc_u32 s29, s29, 0
	s_andn2_b64 s[26:27], s[26:27], exec
	v_lshl_add_u64 v[4:5], v[4:5], 0, 4
	v_lshl_add_u64 v[22:23], v[22:23], 0, 4
	s_waitcnt vmcnt(0)
	v_cmp_ne_u32_e32 vcc, v24, v25
	s_and_b64 s[30:31], vcc, exec
	s_or_b64 s[26:27], s[26:27], s[30:31]
.LBB1545_469:                           ;   in Loop: Header=BB1545_470 Depth=1
	s_and_b64 s[30:31], exec, s[26:27]
	s_or_b64 s[24:25], s[30:31], s[24:25]
	v_mov_b64_e32 v[24:25], s[28:29]
	s_andn2_b64 exec, exec, s[24:25]
	s_cbranch_execz .LBB1545_473
.LBB1545_470:                           ; =>This Inner Loop Header: Depth=1
	s_or_b64 s[26:27], s[26:27], exec
	s_cmp_eq_u64 s[18:19], s[28:29]
	s_cbranch_scc0 .LBB1545_468
; %bb.471:                              ;   in Loop: Header=BB1545_470 Depth=1
                                        ; implicit-def: $vgpr4_vgpr5
                                        ; implicit-def: $vgpr22_vgpr23
	s_mov_b64 s[28:29], s[12:13]
	s_branch .LBB1545_469
.LBB1545_472:
	v_mov_b64_e32 v[4:5], 0
	s_branch .LBB1545_475
.LBB1545_473:
	s_or_b64 exec, exec, s[24:25]
	v_cmp_gt_i64_e32 vcc, s[12:13], v[24:25]
	s_mov_b32 s18, 0
	v_mov_b32_e32 v5, s18
	v_cndmask_b32_e64 v4, 0, 1, vcc
.LBB1545_474:
	s_or_b64 exec, exec, s[16:17]
.LBB1545_475:
	s_or_b64 exec, exec, s[4:5]
	v_cmp_ne_u32_e32 vcc, 0, v0
	v_cmp_gt_u32_e64 s[4:5], s10, v1
	s_and_b64 s[16:17], vcc, s[4:5]
	s_waitcnt lgkmcnt(0)
	s_barrier
	s_waitcnt lgkmcnt(0)
                                        ; implicit-def: $sgpr18_sgpr19
	s_and_saveexec_b64 s[4:5], s[16:17]
	s_cbranch_execz .LBB1545_487
; %bb.476:
	s_and_b64 vcc, exec, s[2:3]
	s_cbranch_vccnz .LBB1545_483
; %bb.477:
	v_mul_lo_u32 v1, v3, s12
	v_add_u32_e32 v3, -8, v40
	ds_read_b64 v[22:23], v3
	v_mul_lo_u32 v24, v2, s13
	v_mad_u64_u32 v[2:3], s[2:3], v2, s12, 0
	v_add3_u32 v3, v3, v24, v1
	s_waitcnt lgkmcnt(0)
	v_mul_lo_u32 v1, v23, s12
	v_mul_lo_u32 v23, v22, s13
	v_mad_u64_u32 v[24:25], s[2:3], v22, s12, 0
	v_add3_u32 v25, v25, v23, v1
	v_lshl_add_u64 v[22:23], v[2:3], 2, s[14:15]
	v_lshl_add_u64 v[2:3], v[24:25], 2, s[14:15]
	global_load_dword v1, v[22:23], off
	global_load_dword v24, v[2:3], off
	s_mov_b64 s[14:15], -1
	s_waitcnt vmcnt(0)
	v_cmp_eq_u32_e32 vcc, v1, v24
	s_and_saveexec_b64 s[2:3], vcc
	s_cbranch_execz .LBB1545_485
; %bb.478:
	s_add_u32 s14, s12, -1
	v_lshl_add_u64 v[2:3], v[2:3], 0, 4
	v_lshl_add_u64 v[22:23], v[22:23], 0, 4
	s_addc_u32 s15, s13, -1
	s_mov_b64 s[16:17], 0
	s_mov_b64 s[24:25], 0
                                        ; implicit-def: $sgpr18_sgpr19
	s_branch .LBB1545_481
.LBB1545_479:                           ;   in Loop: Header=BB1545_481 Depth=1
	global_load_dword v1, v[22:23], off
	global_load_dword v24, v[2:3], off
	s_add_u32 s24, s24, 1
	s_addc_u32 s25, s25, 0
	s_andn2_b64 s[18:19], s[18:19], exec
	v_lshl_add_u64 v[2:3], v[2:3], 0, 4
	v_lshl_add_u64 v[22:23], v[22:23], 0, 4
	s_waitcnt vmcnt(0)
	v_cmp_ne_u32_e32 vcc, v1, v24
	s_and_b64 s[26:27], vcc, exec
	s_or_b64 s[18:19], s[18:19], s[26:27]
.LBB1545_480:                           ;   in Loop: Header=BB1545_481 Depth=1
	s_and_b64 s[26:27], exec, s[18:19]
	s_or_b64 s[16:17], s[26:27], s[16:17]
	v_mov_b64_e32 v[24:25], s[24:25]
	s_andn2_b64 exec, exec, s[16:17]
	s_cbranch_execz .LBB1545_484
.LBB1545_481:                           ; =>This Inner Loop Header: Depth=1
	s_or_b64 s[18:19], s[18:19], exec
	s_cmp_eq_u64 s[14:15], s[24:25]
	s_cbranch_scc0 .LBB1545_479
; %bb.482:                              ;   in Loop: Header=BB1545_481 Depth=1
                                        ; implicit-def: $vgpr2_vgpr3
                                        ; implicit-def: $vgpr22_vgpr23
	s_mov_b64 s[24:25], s[12:13]
	s_branch .LBB1545_480
.LBB1545_483:
	s_mov_b64 s[14:15], 0
	s_branch .LBB1545_486
.LBB1545_484:
	s_or_b64 exec, exec, s[16:17]
	v_cmp_gt_i64_e32 vcc, s[12:13], v[24:25]
	s_orn2_b64 s[14:15], vcc, exec
.LBB1545_485:
	s_or_b64 exec, exec, s[2:3]
.LBB1545_486:
	s_and_b64 s[18:19], s[14:15], exec
	s_or_b64 s[22:23], s[22:23], exec
.LBB1545_487:
	s_or_b64 exec, exec, s[4:5]
	v_mov_b64_e32 v[42:43], v[36:37]
	v_mov_b64_e32 v[44:45], v[20:21]
	;; [unrolled: 1-line block ×19, first 2 shown]
.LBB1545_488:
	s_and_saveexec_b64 s[2:3], s[22:23]
	s_cbranch_execz .LBB1545_490
; %bb.489:
	s_mov_b32 s4, 0
	v_cndmask_b32_e64 v2, 0, 1, s[18:19]
	v_mov_b32_e32 v3, s4
	v_mov_b64_e32 v[26:27], v[46:47]
	v_mov_b64_e32 v[66:67], v[48:49]
	;; [unrolled: 1-line block ×7, first 2 shown]
	s_waitcnt lgkmcnt(0)
	v_mov_b64_e32 v[22:23], v[38:39]
	v_mov_b64_e32 v[60:61], v[44:45]
.LBB1545_490:
	s_or_b64 exec, exec, s[2:3]
	s_add_u32 s4, s8, s6
	s_addc_u32 s5, s9, s7
	s_and_b64 vcc, exec, s[0:1]
	s_waitcnt lgkmcnt(0)
	s_barrier
	s_cbranch_vccz .LBB1545_512
; %bb.491:
	s_movk_i32 s2, 0x58
	v_mul_u32_u24_e32 v1, 0x58, v0
	v_mov_b32_e32 v4, v68
	v_mov_b32_e32 v5, v69
	v_mul_i32_i24_e32 v24, 0xffffffb0, v0
	ds_write2_b64 v1, v[2:3], v[4:5] offset1:1
	ds_write2_b64 v1, v[62:63], v[34:35] offset0:2 offset1:3
	ds_write2_b64 v1, v[64:65], v[30:31] offset0:4 offset1:5
	;; [unrolled: 1-line block ×4, first 2 shown]
	ds_write_b64 v1, v[42:43] offset:80
	v_mad_u32_u24 v4, v0, s2, v24
	s_waitcnt lgkmcnt(0)
	s_barrier
	ds_read2st64_b64 v[36:39], v4 offset0:4 offset1:8
	ds_read2st64_b64 v[16:19], v4 offset0:12 offset1:16
	;; [unrolled: 1-line block ×5, first 2 shown]
	s_mov_b32 s21, 0
	s_add_i32 s11, s11, s10
	s_lshl_b64 s[0:1], s[20:21], 3
	s_add_u32 s0, s4, s0
	s_addc_u32 s1, s5, s1
	v_mov_b32_e32 v41, 0
	v_lshl_add_u64 v[20:21], s[0:1], 0, v[40:41]
	v_cmp_gt_u32_e32 vcc, s11, v0
	s_and_saveexec_b64 s[0:1], vcc
	s_cbranch_execz .LBB1545_493
; %bb.492:
	v_add_u32_e32 v1, v1, v24
	ds_read_b64 v[24:25], v1
	s_waitcnt lgkmcnt(0)
	global_store_dwordx2 v[20:21], v[24:25], off
.LBB1545_493:
	s_or_b64 exec, exec, s[0:1]
	v_or_b32_e32 v1, 0x100, v0
	v_cmp_gt_u32_e32 vcc, s11, v1
	s_and_saveexec_b64 s[0:1], vcc
	s_cbranch_execz .LBB1545_495
; %bb.494:
	s_waitcnt lgkmcnt(4)
	global_store_dwordx2 v[20:21], v[36:37], off offset:2048
.LBB1545_495:
	s_or_b64 exec, exec, s[0:1]
	v_or_b32_e32 v1, 0x200, v0
	v_cmp_gt_u32_e32 vcc, s11, v1
	s_and_saveexec_b64 s[0:1], vcc
	s_cbranch_execz .LBB1545_497
; %bb.496:
	v_add_co_u32_e32 v24, vcc, 0x1000, v20
	s_nop 1
	v_addc_co_u32_e32 v25, vcc, 0, v21, vcc
	s_waitcnt lgkmcnt(4)
	global_store_dwordx2 v[24:25], v[38:39], off
.LBB1545_497:
	s_or_b64 exec, exec, s[0:1]
	v_or_b32_e32 v1, 0x300, v0
	v_cmp_gt_u32_e32 vcc, s11, v1
	s_and_saveexec_b64 s[0:1], vcc
	s_cbranch_execz .LBB1545_499
; %bb.498:
	v_add_co_u32_e32 v24, vcc, 0x1000, v20
	s_nop 1
	v_addc_co_u32_e32 v25, vcc, 0, v21, vcc
	s_waitcnt lgkmcnt(3)
	global_store_dwordx2 v[24:25], v[16:17], off offset:2048
.LBB1545_499:
	s_or_b64 exec, exec, s[0:1]
	v_or_b32_e32 v1, 0x400, v0
	v_cmp_gt_u32_e32 vcc, s11, v1
	s_and_saveexec_b64 s[0:1], vcc
	s_cbranch_execz .LBB1545_501
; %bb.500:
	s_waitcnt lgkmcnt(3)
	v_add_co_u32_e32 v16, vcc, 0x2000, v20
	s_nop 1
	v_addc_co_u32_e32 v17, vcc, 0, v21, vcc
	global_store_dwordx2 v[16:17], v[18:19], off
.LBB1545_501:
	s_or_b64 exec, exec, s[0:1]
	v_or_b32_e32 v1, 0x500, v0
	v_cmp_gt_u32_e32 vcc, s11, v1
	s_and_saveexec_b64 s[0:1], vcc
	s_cbranch_execz .LBB1545_503
; %bb.502:
	s_waitcnt lgkmcnt(3)
	v_add_co_u32_e32 v16, vcc, 0x2000, v20
	s_nop 1
	v_addc_co_u32_e32 v17, vcc, 0, v21, vcc
	s_waitcnt lgkmcnt(2)
	global_store_dwordx2 v[16:17], v[12:13], off offset:2048
.LBB1545_503:
	s_or_b64 exec, exec, s[0:1]
	v_or_b32_e32 v1, 0x600, v0
	v_cmp_gt_u32_e32 vcc, s11, v1
	s_and_saveexec_b64 s[0:1], vcc
	s_cbranch_execz .LBB1545_505
; %bb.504:
	s_waitcnt lgkmcnt(2)
	v_add_co_u32_e32 v12, vcc, 0x3000, v20
	s_nop 1
	v_addc_co_u32_e32 v13, vcc, 0, v21, vcc
	global_store_dwordx2 v[12:13], v[14:15], off
.LBB1545_505:
	s_or_b64 exec, exec, s[0:1]
	v_or_b32_e32 v1, 0x700, v0
	v_cmp_gt_u32_e32 vcc, s11, v1
	s_and_saveexec_b64 s[0:1], vcc
	s_cbranch_execz .LBB1545_507
; %bb.506:
	s_waitcnt lgkmcnt(2)
	v_add_co_u32_e32 v12, vcc, 0x3000, v20
	s_nop 1
	v_addc_co_u32_e32 v13, vcc, 0, v21, vcc
	s_waitcnt lgkmcnt(1)
	global_store_dwordx2 v[12:13], v[8:9], off offset:2048
.LBB1545_507:
	;; [unrolled: 25-line block ×3, first 2 shown]
	s_or_b64 exec, exec, s[0:1]
	v_or_b32_e32 v1, 0xa00, v0
	v_cmp_gt_u32_e64 s[0:1], s11, v1
	s_branch .LBB1545_514
.LBB1545_512:
	s_mov_b64 s[0:1], 0
                                        ; implicit-def: $vgpr6_vgpr7
                                        ; implicit-def: $vgpr20_vgpr21
	s_cbranch_execz .LBB1545_514
; %bb.513:
	s_mov_b32 s21, 0
	s_lshl_b64 s[2:3], s[20:21], 3
	v_mul_u32_u24_e32 v1, 0x58, v0
	s_add_u32 s2, s4, s2
	s_movk_i32 s4, 0x58
	ds_write2_b64 v1, v[2:3], v[68:69] offset1:1
	ds_write2_b64 v1, v[62:63], v[34:35] offset0:2 offset1:3
	ds_write2_b64 v1, v[64:65], v[30:31] offset0:4 offset1:5
	;; [unrolled: 1-line block ×4, first 2 shown]
	ds_write_b64 v1, v[42:43] offset:80
	v_mul_i32_i24_e32 v1, 0xffffffb0, v0
	s_addc_u32 s3, s5, s3
	s_waitcnt lgkmcnt(6)
	v_mad_u32_u24 v4, v0, s4, v1
	v_mov_b32_e32 v41, 0
	s_waitcnt lgkmcnt(0)
	s_barrier
	ds_read2st64_b64 v[0:3], v4 offset1:4
	ds_read2st64_b64 v[8:11], v4 offset0:8 offset1:12
	ds_read2st64_b64 v[12:15], v4 offset0:16 offset1:20
	;; [unrolled: 1-line block ×4, first 2 shown]
	ds_read_b64 v[6:7], v4 offset:20480
	v_lshl_add_u64 v[20:21], s[2:3], 0, v[40:41]
	s_waitcnt lgkmcnt(5)
	global_store_dwordx2 v40, v[0:1], s[2:3]
	global_store_dwordx2 v40, v[2:3], s[2:3] offset:2048
	s_movk_i32 s2, 0x1000
	v_add_co_u32_e32 v0, vcc, s2, v20
	s_movk_i32 s2, 0x2000
	s_nop 0
	v_addc_co_u32_e32 v1, vcc, 0, v21, vcc
	v_add_co_u32_e32 v2, vcc, s2, v20
	s_or_b64 s[0:1], s[0:1], exec
	s_nop 0
	v_addc_co_u32_e32 v3, vcc, 0, v21, vcc
	s_waitcnt lgkmcnt(4)
	global_store_dwordx2 v[2:3], v[8:9], off offset:-4096
	global_store_dwordx2 v[0:1], v[10:11], off offset:2048
	s_waitcnt lgkmcnt(3)
	global_store_dwordx2 v[2:3], v[12:13], off
	global_store_dwordx2 v[2:3], v[14:15], off offset:2048
	v_add_co_u32_e32 v0, vcc, 0x3000, v20
	s_nop 1
	v_addc_co_u32_e32 v1, vcc, 0, v21, vcc
	s_waitcnt lgkmcnt(2)
	global_store_dwordx2 v[0:1], v[16:17], off
	global_store_dwordx2 v[0:1], v[18:19], off offset:2048
	v_add_co_u32_e32 v0, vcc, 0x4000, v20
	s_nop 1
	v_addc_co_u32_e32 v1, vcc, 0, v21, vcc
	s_waitcnt lgkmcnt(1)
	global_store_dwordx2 v[0:1], v[22:23], off
	global_store_dwordx2 v[0:1], v[24:25], off offset:2048
.LBB1545_514:
	s_and_saveexec_b64 s[2:3], s[0:1]
	s_cbranch_execnz .LBB1545_516
; %bb.515:
	s_endpgm
.LBB1545_516:
	v_add_co_u32_e32 v0, vcc, 0x5000, v20
	s_nop 1
	v_addc_co_u32_e32 v1, vcc, 0, v21, vcc
	s_waitcnt lgkmcnt(0)
	global_store_dwordx2 v[0:1], v[6:7], off
	s_endpgm
	.section	.rodata,"a",@progbits
	.p2align	6, 0x0
	.amdhsa_kernel _ZN7rocprim17ROCPRIM_400000_NS6detail17trampoline_kernelINS0_14default_configENS1_35adjacent_difference_config_selectorILb1ElEEZNS1_24adjacent_difference_implIS3_Lb1ELb0EPlS7_ZN2at6native12_GLOBAL__N_124unique_dim_cuda_templateIjEESt5tupleIJNS8_6TensorESD_SD_EERKSD_lbbbEUlllE1_EE10hipError_tPvRmT2_T3_mT4_P12ihipStream_tbEUlT_E_NS1_11comp_targetILNS1_3genE5ELNS1_11target_archE942ELNS1_3gpuE9ELNS1_3repE0EEENS1_30default_config_static_selectorELNS0_4arch9wavefront6targetE1EEEvT1_
		.amdhsa_group_segment_fixed_size 22528
		.amdhsa_private_segment_fixed_size 0
		.amdhsa_kernarg_size 64
		.amdhsa_user_sgpr_count 2
		.amdhsa_user_sgpr_dispatch_ptr 0
		.amdhsa_user_sgpr_queue_ptr 0
		.amdhsa_user_sgpr_kernarg_segment_ptr 1
		.amdhsa_user_sgpr_dispatch_id 0
		.amdhsa_user_sgpr_kernarg_preload_length 0
		.amdhsa_user_sgpr_kernarg_preload_offset 0
		.amdhsa_user_sgpr_private_segment_size 0
		.amdhsa_uses_dynamic_stack 0
		.amdhsa_enable_private_segment 0
		.amdhsa_system_sgpr_workgroup_id_x 1
		.amdhsa_system_sgpr_workgroup_id_y 0
		.amdhsa_system_sgpr_workgroup_id_z 0
		.amdhsa_system_sgpr_workgroup_info 0
		.amdhsa_system_vgpr_workitem_id 0
		.amdhsa_next_free_vgpr 70
		.amdhsa_next_free_sgpr 38
		.amdhsa_accum_offset 72
		.amdhsa_reserve_vcc 1
		.amdhsa_float_round_mode_32 0
		.amdhsa_float_round_mode_16_64 0
		.amdhsa_float_denorm_mode_32 3
		.amdhsa_float_denorm_mode_16_64 3
		.amdhsa_dx10_clamp 1
		.amdhsa_ieee_mode 1
		.amdhsa_fp16_overflow 0
		.amdhsa_tg_split 0
		.amdhsa_exception_fp_ieee_invalid_op 0
		.amdhsa_exception_fp_denorm_src 0
		.amdhsa_exception_fp_ieee_div_zero 0
		.amdhsa_exception_fp_ieee_overflow 0
		.amdhsa_exception_fp_ieee_underflow 0
		.amdhsa_exception_fp_ieee_inexact 0
		.amdhsa_exception_int_div_zero 0
	.end_amdhsa_kernel
	.section	.text._ZN7rocprim17ROCPRIM_400000_NS6detail17trampoline_kernelINS0_14default_configENS1_35adjacent_difference_config_selectorILb1ElEEZNS1_24adjacent_difference_implIS3_Lb1ELb0EPlS7_ZN2at6native12_GLOBAL__N_124unique_dim_cuda_templateIjEESt5tupleIJNS8_6TensorESD_SD_EERKSD_lbbbEUlllE1_EE10hipError_tPvRmT2_T3_mT4_P12ihipStream_tbEUlT_E_NS1_11comp_targetILNS1_3genE5ELNS1_11target_archE942ELNS1_3gpuE9ELNS1_3repE0EEENS1_30default_config_static_selectorELNS0_4arch9wavefront6targetE1EEEvT1_,"axG",@progbits,_ZN7rocprim17ROCPRIM_400000_NS6detail17trampoline_kernelINS0_14default_configENS1_35adjacent_difference_config_selectorILb1ElEEZNS1_24adjacent_difference_implIS3_Lb1ELb0EPlS7_ZN2at6native12_GLOBAL__N_124unique_dim_cuda_templateIjEESt5tupleIJNS8_6TensorESD_SD_EERKSD_lbbbEUlllE1_EE10hipError_tPvRmT2_T3_mT4_P12ihipStream_tbEUlT_E_NS1_11comp_targetILNS1_3genE5ELNS1_11target_archE942ELNS1_3gpuE9ELNS1_3repE0EEENS1_30default_config_static_selectorELNS0_4arch9wavefront6targetE1EEEvT1_,comdat
.Lfunc_end1545:
	.size	_ZN7rocprim17ROCPRIM_400000_NS6detail17trampoline_kernelINS0_14default_configENS1_35adjacent_difference_config_selectorILb1ElEEZNS1_24adjacent_difference_implIS3_Lb1ELb0EPlS7_ZN2at6native12_GLOBAL__N_124unique_dim_cuda_templateIjEESt5tupleIJNS8_6TensorESD_SD_EERKSD_lbbbEUlllE1_EE10hipError_tPvRmT2_T3_mT4_P12ihipStream_tbEUlT_E_NS1_11comp_targetILNS1_3genE5ELNS1_11target_archE942ELNS1_3gpuE9ELNS1_3repE0EEENS1_30default_config_static_selectorELNS0_4arch9wavefront6targetE1EEEvT1_, .Lfunc_end1545-_ZN7rocprim17ROCPRIM_400000_NS6detail17trampoline_kernelINS0_14default_configENS1_35adjacent_difference_config_selectorILb1ElEEZNS1_24adjacent_difference_implIS3_Lb1ELb0EPlS7_ZN2at6native12_GLOBAL__N_124unique_dim_cuda_templateIjEESt5tupleIJNS8_6TensorESD_SD_EERKSD_lbbbEUlllE1_EE10hipError_tPvRmT2_T3_mT4_P12ihipStream_tbEUlT_E_NS1_11comp_targetILNS1_3genE5ELNS1_11target_archE942ELNS1_3gpuE9ELNS1_3repE0EEENS1_30default_config_static_selectorELNS0_4arch9wavefront6targetE1EEEvT1_
                                        ; -- End function
	.section	.AMDGPU.csdata,"",@progbits
; Kernel info:
; codeLenInByte = 15780
; NumSgprs: 44
; NumVgprs: 70
; NumAgprs: 0
; TotalNumVgprs: 70
; ScratchSize: 0
; MemoryBound: 0
; FloatMode: 240
; IeeeMode: 1
; LDSByteSize: 22528 bytes/workgroup (compile time only)
; SGPRBlocks: 5
; VGPRBlocks: 8
; NumSGPRsForWavesPerEU: 44
; NumVGPRsForWavesPerEU: 70
; AccumOffset: 72
; Occupancy: 2
; WaveLimiterHint : 1
; COMPUTE_PGM_RSRC2:SCRATCH_EN: 0
; COMPUTE_PGM_RSRC2:USER_SGPR: 2
; COMPUTE_PGM_RSRC2:TRAP_HANDLER: 0
; COMPUTE_PGM_RSRC2:TGID_X_EN: 1
; COMPUTE_PGM_RSRC2:TGID_Y_EN: 0
; COMPUTE_PGM_RSRC2:TGID_Z_EN: 0
; COMPUTE_PGM_RSRC2:TIDIG_COMP_CNT: 0
; COMPUTE_PGM_RSRC3_GFX90A:ACCUM_OFFSET: 17
; COMPUTE_PGM_RSRC3_GFX90A:TG_SPLIT: 0
	.section	.text._ZN7rocprim17ROCPRIM_400000_NS6detail17trampoline_kernelINS0_14default_configENS1_35adjacent_difference_config_selectorILb1ElEEZNS1_24adjacent_difference_implIS3_Lb1ELb0EPlS7_ZN2at6native12_GLOBAL__N_124unique_dim_cuda_templateIjEESt5tupleIJNS8_6TensorESD_SD_EERKSD_lbbbEUlllE1_EE10hipError_tPvRmT2_T3_mT4_P12ihipStream_tbEUlT_E_NS1_11comp_targetILNS1_3genE4ELNS1_11target_archE910ELNS1_3gpuE8ELNS1_3repE0EEENS1_30default_config_static_selectorELNS0_4arch9wavefront6targetE1EEEvT1_,"axG",@progbits,_ZN7rocprim17ROCPRIM_400000_NS6detail17trampoline_kernelINS0_14default_configENS1_35adjacent_difference_config_selectorILb1ElEEZNS1_24adjacent_difference_implIS3_Lb1ELb0EPlS7_ZN2at6native12_GLOBAL__N_124unique_dim_cuda_templateIjEESt5tupleIJNS8_6TensorESD_SD_EERKSD_lbbbEUlllE1_EE10hipError_tPvRmT2_T3_mT4_P12ihipStream_tbEUlT_E_NS1_11comp_targetILNS1_3genE4ELNS1_11target_archE910ELNS1_3gpuE8ELNS1_3repE0EEENS1_30default_config_static_selectorELNS0_4arch9wavefront6targetE1EEEvT1_,comdat
	.globl	_ZN7rocprim17ROCPRIM_400000_NS6detail17trampoline_kernelINS0_14default_configENS1_35adjacent_difference_config_selectorILb1ElEEZNS1_24adjacent_difference_implIS3_Lb1ELb0EPlS7_ZN2at6native12_GLOBAL__N_124unique_dim_cuda_templateIjEESt5tupleIJNS8_6TensorESD_SD_EERKSD_lbbbEUlllE1_EE10hipError_tPvRmT2_T3_mT4_P12ihipStream_tbEUlT_E_NS1_11comp_targetILNS1_3genE4ELNS1_11target_archE910ELNS1_3gpuE8ELNS1_3repE0EEENS1_30default_config_static_selectorELNS0_4arch9wavefront6targetE1EEEvT1_ ; -- Begin function _ZN7rocprim17ROCPRIM_400000_NS6detail17trampoline_kernelINS0_14default_configENS1_35adjacent_difference_config_selectorILb1ElEEZNS1_24adjacent_difference_implIS3_Lb1ELb0EPlS7_ZN2at6native12_GLOBAL__N_124unique_dim_cuda_templateIjEESt5tupleIJNS8_6TensorESD_SD_EERKSD_lbbbEUlllE1_EE10hipError_tPvRmT2_T3_mT4_P12ihipStream_tbEUlT_E_NS1_11comp_targetILNS1_3genE4ELNS1_11target_archE910ELNS1_3gpuE8ELNS1_3repE0EEENS1_30default_config_static_selectorELNS0_4arch9wavefront6targetE1EEEvT1_
	.p2align	8
	.type	_ZN7rocprim17ROCPRIM_400000_NS6detail17trampoline_kernelINS0_14default_configENS1_35adjacent_difference_config_selectorILb1ElEEZNS1_24adjacent_difference_implIS3_Lb1ELb0EPlS7_ZN2at6native12_GLOBAL__N_124unique_dim_cuda_templateIjEESt5tupleIJNS8_6TensorESD_SD_EERKSD_lbbbEUlllE1_EE10hipError_tPvRmT2_T3_mT4_P12ihipStream_tbEUlT_E_NS1_11comp_targetILNS1_3genE4ELNS1_11target_archE910ELNS1_3gpuE8ELNS1_3repE0EEENS1_30default_config_static_selectorELNS0_4arch9wavefront6targetE1EEEvT1_,@function
_ZN7rocprim17ROCPRIM_400000_NS6detail17trampoline_kernelINS0_14default_configENS1_35adjacent_difference_config_selectorILb1ElEEZNS1_24adjacent_difference_implIS3_Lb1ELb0EPlS7_ZN2at6native12_GLOBAL__N_124unique_dim_cuda_templateIjEESt5tupleIJNS8_6TensorESD_SD_EERKSD_lbbbEUlllE1_EE10hipError_tPvRmT2_T3_mT4_P12ihipStream_tbEUlT_E_NS1_11comp_targetILNS1_3genE4ELNS1_11target_archE910ELNS1_3gpuE8ELNS1_3repE0EEENS1_30default_config_static_selectorELNS0_4arch9wavefront6targetE1EEEvT1_: ; @_ZN7rocprim17ROCPRIM_400000_NS6detail17trampoline_kernelINS0_14default_configENS1_35adjacent_difference_config_selectorILb1ElEEZNS1_24adjacent_difference_implIS3_Lb1ELb0EPlS7_ZN2at6native12_GLOBAL__N_124unique_dim_cuda_templateIjEESt5tupleIJNS8_6TensorESD_SD_EERKSD_lbbbEUlllE1_EE10hipError_tPvRmT2_T3_mT4_P12ihipStream_tbEUlT_E_NS1_11comp_targetILNS1_3genE4ELNS1_11target_archE910ELNS1_3gpuE8ELNS1_3repE0EEENS1_30default_config_static_selectorELNS0_4arch9wavefront6targetE1EEEvT1_
; %bb.0:
	.section	.rodata,"a",@progbits
	.p2align	6, 0x0
	.amdhsa_kernel _ZN7rocprim17ROCPRIM_400000_NS6detail17trampoline_kernelINS0_14default_configENS1_35adjacent_difference_config_selectorILb1ElEEZNS1_24adjacent_difference_implIS3_Lb1ELb0EPlS7_ZN2at6native12_GLOBAL__N_124unique_dim_cuda_templateIjEESt5tupleIJNS8_6TensorESD_SD_EERKSD_lbbbEUlllE1_EE10hipError_tPvRmT2_T3_mT4_P12ihipStream_tbEUlT_E_NS1_11comp_targetILNS1_3genE4ELNS1_11target_archE910ELNS1_3gpuE8ELNS1_3repE0EEENS1_30default_config_static_selectorELNS0_4arch9wavefront6targetE1EEEvT1_
		.amdhsa_group_segment_fixed_size 0
		.amdhsa_private_segment_fixed_size 0
		.amdhsa_kernarg_size 64
		.amdhsa_user_sgpr_count 2
		.amdhsa_user_sgpr_dispatch_ptr 0
		.amdhsa_user_sgpr_queue_ptr 0
		.amdhsa_user_sgpr_kernarg_segment_ptr 1
		.amdhsa_user_sgpr_dispatch_id 0
		.amdhsa_user_sgpr_kernarg_preload_length 0
		.amdhsa_user_sgpr_kernarg_preload_offset 0
		.amdhsa_user_sgpr_private_segment_size 0
		.amdhsa_uses_dynamic_stack 0
		.amdhsa_enable_private_segment 0
		.amdhsa_system_sgpr_workgroup_id_x 1
		.amdhsa_system_sgpr_workgroup_id_y 0
		.amdhsa_system_sgpr_workgroup_id_z 0
		.amdhsa_system_sgpr_workgroup_info 0
		.amdhsa_system_vgpr_workitem_id 0
		.amdhsa_next_free_vgpr 1
		.amdhsa_next_free_sgpr 0
		.amdhsa_accum_offset 4
		.amdhsa_reserve_vcc 0
		.amdhsa_float_round_mode_32 0
		.amdhsa_float_round_mode_16_64 0
		.amdhsa_float_denorm_mode_32 3
		.amdhsa_float_denorm_mode_16_64 3
		.amdhsa_dx10_clamp 1
		.amdhsa_ieee_mode 1
		.amdhsa_fp16_overflow 0
		.amdhsa_tg_split 0
		.amdhsa_exception_fp_ieee_invalid_op 0
		.amdhsa_exception_fp_denorm_src 0
		.amdhsa_exception_fp_ieee_div_zero 0
		.amdhsa_exception_fp_ieee_overflow 0
		.amdhsa_exception_fp_ieee_underflow 0
		.amdhsa_exception_fp_ieee_inexact 0
		.amdhsa_exception_int_div_zero 0
	.end_amdhsa_kernel
	.section	.text._ZN7rocprim17ROCPRIM_400000_NS6detail17trampoline_kernelINS0_14default_configENS1_35adjacent_difference_config_selectorILb1ElEEZNS1_24adjacent_difference_implIS3_Lb1ELb0EPlS7_ZN2at6native12_GLOBAL__N_124unique_dim_cuda_templateIjEESt5tupleIJNS8_6TensorESD_SD_EERKSD_lbbbEUlllE1_EE10hipError_tPvRmT2_T3_mT4_P12ihipStream_tbEUlT_E_NS1_11comp_targetILNS1_3genE4ELNS1_11target_archE910ELNS1_3gpuE8ELNS1_3repE0EEENS1_30default_config_static_selectorELNS0_4arch9wavefront6targetE1EEEvT1_,"axG",@progbits,_ZN7rocprim17ROCPRIM_400000_NS6detail17trampoline_kernelINS0_14default_configENS1_35adjacent_difference_config_selectorILb1ElEEZNS1_24adjacent_difference_implIS3_Lb1ELb0EPlS7_ZN2at6native12_GLOBAL__N_124unique_dim_cuda_templateIjEESt5tupleIJNS8_6TensorESD_SD_EERKSD_lbbbEUlllE1_EE10hipError_tPvRmT2_T3_mT4_P12ihipStream_tbEUlT_E_NS1_11comp_targetILNS1_3genE4ELNS1_11target_archE910ELNS1_3gpuE8ELNS1_3repE0EEENS1_30default_config_static_selectorELNS0_4arch9wavefront6targetE1EEEvT1_,comdat
.Lfunc_end1546:
	.size	_ZN7rocprim17ROCPRIM_400000_NS6detail17trampoline_kernelINS0_14default_configENS1_35adjacent_difference_config_selectorILb1ElEEZNS1_24adjacent_difference_implIS3_Lb1ELb0EPlS7_ZN2at6native12_GLOBAL__N_124unique_dim_cuda_templateIjEESt5tupleIJNS8_6TensorESD_SD_EERKSD_lbbbEUlllE1_EE10hipError_tPvRmT2_T3_mT4_P12ihipStream_tbEUlT_E_NS1_11comp_targetILNS1_3genE4ELNS1_11target_archE910ELNS1_3gpuE8ELNS1_3repE0EEENS1_30default_config_static_selectorELNS0_4arch9wavefront6targetE1EEEvT1_, .Lfunc_end1546-_ZN7rocprim17ROCPRIM_400000_NS6detail17trampoline_kernelINS0_14default_configENS1_35adjacent_difference_config_selectorILb1ElEEZNS1_24adjacent_difference_implIS3_Lb1ELb0EPlS7_ZN2at6native12_GLOBAL__N_124unique_dim_cuda_templateIjEESt5tupleIJNS8_6TensorESD_SD_EERKSD_lbbbEUlllE1_EE10hipError_tPvRmT2_T3_mT4_P12ihipStream_tbEUlT_E_NS1_11comp_targetILNS1_3genE4ELNS1_11target_archE910ELNS1_3gpuE8ELNS1_3repE0EEENS1_30default_config_static_selectorELNS0_4arch9wavefront6targetE1EEEvT1_
                                        ; -- End function
	.section	.AMDGPU.csdata,"",@progbits
; Kernel info:
; codeLenInByte = 0
; NumSgprs: 6
; NumVgprs: 0
; NumAgprs: 0
; TotalNumVgprs: 0
; ScratchSize: 0
; MemoryBound: 0
; FloatMode: 240
; IeeeMode: 1
; LDSByteSize: 0 bytes/workgroup (compile time only)
; SGPRBlocks: 0
; VGPRBlocks: 0
; NumSGPRsForWavesPerEU: 6
; NumVGPRsForWavesPerEU: 1
; AccumOffset: 4
; Occupancy: 8
; WaveLimiterHint : 0
; COMPUTE_PGM_RSRC2:SCRATCH_EN: 0
; COMPUTE_PGM_RSRC2:USER_SGPR: 2
; COMPUTE_PGM_RSRC2:TRAP_HANDLER: 0
; COMPUTE_PGM_RSRC2:TGID_X_EN: 1
; COMPUTE_PGM_RSRC2:TGID_Y_EN: 0
; COMPUTE_PGM_RSRC2:TGID_Z_EN: 0
; COMPUTE_PGM_RSRC2:TIDIG_COMP_CNT: 0
; COMPUTE_PGM_RSRC3_GFX90A:ACCUM_OFFSET: 0
; COMPUTE_PGM_RSRC3_GFX90A:TG_SPLIT: 0
	.section	.text._ZN7rocprim17ROCPRIM_400000_NS6detail17trampoline_kernelINS0_14default_configENS1_35adjacent_difference_config_selectorILb1ElEEZNS1_24adjacent_difference_implIS3_Lb1ELb0EPlS7_ZN2at6native12_GLOBAL__N_124unique_dim_cuda_templateIjEESt5tupleIJNS8_6TensorESD_SD_EERKSD_lbbbEUlllE1_EE10hipError_tPvRmT2_T3_mT4_P12ihipStream_tbEUlT_E_NS1_11comp_targetILNS1_3genE3ELNS1_11target_archE908ELNS1_3gpuE7ELNS1_3repE0EEENS1_30default_config_static_selectorELNS0_4arch9wavefront6targetE1EEEvT1_,"axG",@progbits,_ZN7rocprim17ROCPRIM_400000_NS6detail17trampoline_kernelINS0_14default_configENS1_35adjacent_difference_config_selectorILb1ElEEZNS1_24adjacent_difference_implIS3_Lb1ELb0EPlS7_ZN2at6native12_GLOBAL__N_124unique_dim_cuda_templateIjEESt5tupleIJNS8_6TensorESD_SD_EERKSD_lbbbEUlllE1_EE10hipError_tPvRmT2_T3_mT4_P12ihipStream_tbEUlT_E_NS1_11comp_targetILNS1_3genE3ELNS1_11target_archE908ELNS1_3gpuE7ELNS1_3repE0EEENS1_30default_config_static_selectorELNS0_4arch9wavefront6targetE1EEEvT1_,comdat
	.globl	_ZN7rocprim17ROCPRIM_400000_NS6detail17trampoline_kernelINS0_14default_configENS1_35adjacent_difference_config_selectorILb1ElEEZNS1_24adjacent_difference_implIS3_Lb1ELb0EPlS7_ZN2at6native12_GLOBAL__N_124unique_dim_cuda_templateIjEESt5tupleIJNS8_6TensorESD_SD_EERKSD_lbbbEUlllE1_EE10hipError_tPvRmT2_T3_mT4_P12ihipStream_tbEUlT_E_NS1_11comp_targetILNS1_3genE3ELNS1_11target_archE908ELNS1_3gpuE7ELNS1_3repE0EEENS1_30default_config_static_selectorELNS0_4arch9wavefront6targetE1EEEvT1_ ; -- Begin function _ZN7rocprim17ROCPRIM_400000_NS6detail17trampoline_kernelINS0_14default_configENS1_35adjacent_difference_config_selectorILb1ElEEZNS1_24adjacent_difference_implIS3_Lb1ELb0EPlS7_ZN2at6native12_GLOBAL__N_124unique_dim_cuda_templateIjEESt5tupleIJNS8_6TensorESD_SD_EERKSD_lbbbEUlllE1_EE10hipError_tPvRmT2_T3_mT4_P12ihipStream_tbEUlT_E_NS1_11comp_targetILNS1_3genE3ELNS1_11target_archE908ELNS1_3gpuE7ELNS1_3repE0EEENS1_30default_config_static_selectorELNS0_4arch9wavefront6targetE1EEEvT1_
	.p2align	8
	.type	_ZN7rocprim17ROCPRIM_400000_NS6detail17trampoline_kernelINS0_14default_configENS1_35adjacent_difference_config_selectorILb1ElEEZNS1_24adjacent_difference_implIS3_Lb1ELb0EPlS7_ZN2at6native12_GLOBAL__N_124unique_dim_cuda_templateIjEESt5tupleIJNS8_6TensorESD_SD_EERKSD_lbbbEUlllE1_EE10hipError_tPvRmT2_T3_mT4_P12ihipStream_tbEUlT_E_NS1_11comp_targetILNS1_3genE3ELNS1_11target_archE908ELNS1_3gpuE7ELNS1_3repE0EEENS1_30default_config_static_selectorELNS0_4arch9wavefront6targetE1EEEvT1_,@function
_ZN7rocprim17ROCPRIM_400000_NS6detail17trampoline_kernelINS0_14default_configENS1_35adjacent_difference_config_selectorILb1ElEEZNS1_24adjacent_difference_implIS3_Lb1ELb0EPlS7_ZN2at6native12_GLOBAL__N_124unique_dim_cuda_templateIjEESt5tupleIJNS8_6TensorESD_SD_EERKSD_lbbbEUlllE1_EE10hipError_tPvRmT2_T3_mT4_P12ihipStream_tbEUlT_E_NS1_11comp_targetILNS1_3genE3ELNS1_11target_archE908ELNS1_3gpuE7ELNS1_3repE0EEENS1_30default_config_static_selectorELNS0_4arch9wavefront6targetE1EEEvT1_: ; @_ZN7rocprim17ROCPRIM_400000_NS6detail17trampoline_kernelINS0_14default_configENS1_35adjacent_difference_config_selectorILb1ElEEZNS1_24adjacent_difference_implIS3_Lb1ELb0EPlS7_ZN2at6native12_GLOBAL__N_124unique_dim_cuda_templateIjEESt5tupleIJNS8_6TensorESD_SD_EERKSD_lbbbEUlllE1_EE10hipError_tPvRmT2_T3_mT4_P12ihipStream_tbEUlT_E_NS1_11comp_targetILNS1_3genE3ELNS1_11target_archE908ELNS1_3gpuE7ELNS1_3repE0EEENS1_30default_config_static_selectorELNS0_4arch9wavefront6targetE1EEEvT1_
; %bb.0:
	.section	.rodata,"a",@progbits
	.p2align	6, 0x0
	.amdhsa_kernel _ZN7rocprim17ROCPRIM_400000_NS6detail17trampoline_kernelINS0_14default_configENS1_35adjacent_difference_config_selectorILb1ElEEZNS1_24adjacent_difference_implIS3_Lb1ELb0EPlS7_ZN2at6native12_GLOBAL__N_124unique_dim_cuda_templateIjEESt5tupleIJNS8_6TensorESD_SD_EERKSD_lbbbEUlllE1_EE10hipError_tPvRmT2_T3_mT4_P12ihipStream_tbEUlT_E_NS1_11comp_targetILNS1_3genE3ELNS1_11target_archE908ELNS1_3gpuE7ELNS1_3repE0EEENS1_30default_config_static_selectorELNS0_4arch9wavefront6targetE1EEEvT1_
		.amdhsa_group_segment_fixed_size 0
		.amdhsa_private_segment_fixed_size 0
		.amdhsa_kernarg_size 64
		.amdhsa_user_sgpr_count 2
		.amdhsa_user_sgpr_dispatch_ptr 0
		.amdhsa_user_sgpr_queue_ptr 0
		.amdhsa_user_sgpr_kernarg_segment_ptr 1
		.amdhsa_user_sgpr_dispatch_id 0
		.amdhsa_user_sgpr_kernarg_preload_length 0
		.amdhsa_user_sgpr_kernarg_preload_offset 0
		.amdhsa_user_sgpr_private_segment_size 0
		.amdhsa_uses_dynamic_stack 0
		.amdhsa_enable_private_segment 0
		.amdhsa_system_sgpr_workgroup_id_x 1
		.amdhsa_system_sgpr_workgroup_id_y 0
		.amdhsa_system_sgpr_workgroup_id_z 0
		.amdhsa_system_sgpr_workgroup_info 0
		.amdhsa_system_vgpr_workitem_id 0
		.amdhsa_next_free_vgpr 1
		.amdhsa_next_free_sgpr 0
		.amdhsa_accum_offset 4
		.amdhsa_reserve_vcc 0
		.amdhsa_float_round_mode_32 0
		.amdhsa_float_round_mode_16_64 0
		.amdhsa_float_denorm_mode_32 3
		.amdhsa_float_denorm_mode_16_64 3
		.amdhsa_dx10_clamp 1
		.amdhsa_ieee_mode 1
		.amdhsa_fp16_overflow 0
		.amdhsa_tg_split 0
		.amdhsa_exception_fp_ieee_invalid_op 0
		.amdhsa_exception_fp_denorm_src 0
		.amdhsa_exception_fp_ieee_div_zero 0
		.amdhsa_exception_fp_ieee_overflow 0
		.amdhsa_exception_fp_ieee_underflow 0
		.amdhsa_exception_fp_ieee_inexact 0
		.amdhsa_exception_int_div_zero 0
	.end_amdhsa_kernel
	.section	.text._ZN7rocprim17ROCPRIM_400000_NS6detail17trampoline_kernelINS0_14default_configENS1_35adjacent_difference_config_selectorILb1ElEEZNS1_24adjacent_difference_implIS3_Lb1ELb0EPlS7_ZN2at6native12_GLOBAL__N_124unique_dim_cuda_templateIjEESt5tupleIJNS8_6TensorESD_SD_EERKSD_lbbbEUlllE1_EE10hipError_tPvRmT2_T3_mT4_P12ihipStream_tbEUlT_E_NS1_11comp_targetILNS1_3genE3ELNS1_11target_archE908ELNS1_3gpuE7ELNS1_3repE0EEENS1_30default_config_static_selectorELNS0_4arch9wavefront6targetE1EEEvT1_,"axG",@progbits,_ZN7rocprim17ROCPRIM_400000_NS6detail17trampoline_kernelINS0_14default_configENS1_35adjacent_difference_config_selectorILb1ElEEZNS1_24adjacent_difference_implIS3_Lb1ELb0EPlS7_ZN2at6native12_GLOBAL__N_124unique_dim_cuda_templateIjEESt5tupleIJNS8_6TensorESD_SD_EERKSD_lbbbEUlllE1_EE10hipError_tPvRmT2_T3_mT4_P12ihipStream_tbEUlT_E_NS1_11comp_targetILNS1_3genE3ELNS1_11target_archE908ELNS1_3gpuE7ELNS1_3repE0EEENS1_30default_config_static_selectorELNS0_4arch9wavefront6targetE1EEEvT1_,comdat
.Lfunc_end1547:
	.size	_ZN7rocprim17ROCPRIM_400000_NS6detail17trampoline_kernelINS0_14default_configENS1_35adjacent_difference_config_selectorILb1ElEEZNS1_24adjacent_difference_implIS3_Lb1ELb0EPlS7_ZN2at6native12_GLOBAL__N_124unique_dim_cuda_templateIjEESt5tupleIJNS8_6TensorESD_SD_EERKSD_lbbbEUlllE1_EE10hipError_tPvRmT2_T3_mT4_P12ihipStream_tbEUlT_E_NS1_11comp_targetILNS1_3genE3ELNS1_11target_archE908ELNS1_3gpuE7ELNS1_3repE0EEENS1_30default_config_static_selectorELNS0_4arch9wavefront6targetE1EEEvT1_, .Lfunc_end1547-_ZN7rocprim17ROCPRIM_400000_NS6detail17trampoline_kernelINS0_14default_configENS1_35adjacent_difference_config_selectorILb1ElEEZNS1_24adjacent_difference_implIS3_Lb1ELb0EPlS7_ZN2at6native12_GLOBAL__N_124unique_dim_cuda_templateIjEESt5tupleIJNS8_6TensorESD_SD_EERKSD_lbbbEUlllE1_EE10hipError_tPvRmT2_T3_mT4_P12ihipStream_tbEUlT_E_NS1_11comp_targetILNS1_3genE3ELNS1_11target_archE908ELNS1_3gpuE7ELNS1_3repE0EEENS1_30default_config_static_selectorELNS0_4arch9wavefront6targetE1EEEvT1_
                                        ; -- End function
	.section	.AMDGPU.csdata,"",@progbits
; Kernel info:
; codeLenInByte = 0
; NumSgprs: 6
; NumVgprs: 0
; NumAgprs: 0
; TotalNumVgprs: 0
; ScratchSize: 0
; MemoryBound: 0
; FloatMode: 240
; IeeeMode: 1
; LDSByteSize: 0 bytes/workgroup (compile time only)
; SGPRBlocks: 0
; VGPRBlocks: 0
; NumSGPRsForWavesPerEU: 6
; NumVGPRsForWavesPerEU: 1
; AccumOffset: 4
; Occupancy: 8
; WaveLimiterHint : 0
; COMPUTE_PGM_RSRC2:SCRATCH_EN: 0
; COMPUTE_PGM_RSRC2:USER_SGPR: 2
; COMPUTE_PGM_RSRC2:TRAP_HANDLER: 0
; COMPUTE_PGM_RSRC2:TGID_X_EN: 1
; COMPUTE_PGM_RSRC2:TGID_Y_EN: 0
; COMPUTE_PGM_RSRC2:TGID_Z_EN: 0
; COMPUTE_PGM_RSRC2:TIDIG_COMP_CNT: 0
; COMPUTE_PGM_RSRC3_GFX90A:ACCUM_OFFSET: 0
; COMPUTE_PGM_RSRC3_GFX90A:TG_SPLIT: 0
	.section	.text._ZN7rocprim17ROCPRIM_400000_NS6detail17trampoline_kernelINS0_14default_configENS1_35adjacent_difference_config_selectorILb1ElEEZNS1_24adjacent_difference_implIS3_Lb1ELb0EPlS7_ZN2at6native12_GLOBAL__N_124unique_dim_cuda_templateIjEESt5tupleIJNS8_6TensorESD_SD_EERKSD_lbbbEUlllE1_EE10hipError_tPvRmT2_T3_mT4_P12ihipStream_tbEUlT_E_NS1_11comp_targetILNS1_3genE2ELNS1_11target_archE906ELNS1_3gpuE6ELNS1_3repE0EEENS1_30default_config_static_selectorELNS0_4arch9wavefront6targetE1EEEvT1_,"axG",@progbits,_ZN7rocprim17ROCPRIM_400000_NS6detail17trampoline_kernelINS0_14default_configENS1_35adjacent_difference_config_selectorILb1ElEEZNS1_24adjacent_difference_implIS3_Lb1ELb0EPlS7_ZN2at6native12_GLOBAL__N_124unique_dim_cuda_templateIjEESt5tupleIJNS8_6TensorESD_SD_EERKSD_lbbbEUlllE1_EE10hipError_tPvRmT2_T3_mT4_P12ihipStream_tbEUlT_E_NS1_11comp_targetILNS1_3genE2ELNS1_11target_archE906ELNS1_3gpuE6ELNS1_3repE0EEENS1_30default_config_static_selectorELNS0_4arch9wavefront6targetE1EEEvT1_,comdat
	.globl	_ZN7rocprim17ROCPRIM_400000_NS6detail17trampoline_kernelINS0_14default_configENS1_35adjacent_difference_config_selectorILb1ElEEZNS1_24adjacent_difference_implIS3_Lb1ELb0EPlS7_ZN2at6native12_GLOBAL__N_124unique_dim_cuda_templateIjEESt5tupleIJNS8_6TensorESD_SD_EERKSD_lbbbEUlllE1_EE10hipError_tPvRmT2_T3_mT4_P12ihipStream_tbEUlT_E_NS1_11comp_targetILNS1_3genE2ELNS1_11target_archE906ELNS1_3gpuE6ELNS1_3repE0EEENS1_30default_config_static_selectorELNS0_4arch9wavefront6targetE1EEEvT1_ ; -- Begin function _ZN7rocprim17ROCPRIM_400000_NS6detail17trampoline_kernelINS0_14default_configENS1_35adjacent_difference_config_selectorILb1ElEEZNS1_24adjacent_difference_implIS3_Lb1ELb0EPlS7_ZN2at6native12_GLOBAL__N_124unique_dim_cuda_templateIjEESt5tupleIJNS8_6TensorESD_SD_EERKSD_lbbbEUlllE1_EE10hipError_tPvRmT2_T3_mT4_P12ihipStream_tbEUlT_E_NS1_11comp_targetILNS1_3genE2ELNS1_11target_archE906ELNS1_3gpuE6ELNS1_3repE0EEENS1_30default_config_static_selectorELNS0_4arch9wavefront6targetE1EEEvT1_
	.p2align	8
	.type	_ZN7rocprim17ROCPRIM_400000_NS6detail17trampoline_kernelINS0_14default_configENS1_35adjacent_difference_config_selectorILb1ElEEZNS1_24adjacent_difference_implIS3_Lb1ELb0EPlS7_ZN2at6native12_GLOBAL__N_124unique_dim_cuda_templateIjEESt5tupleIJNS8_6TensorESD_SD_EERKSD_lbbbEUlllE1_EE10hipError_tPvRmT2_T3_mT4_P12ihipStream_tbEUlT_E_NS1_11comp_targetILNS1_3genE2ELNS1_11target_archE906ELNS1_3gpuE6ELNS1_3repE0EEENS1_30default_config_static_selectorELNS0_4arch9wavefront6targetE1EEEvT1_,@function
_ZN7rocprim17ROCPRIM_400000_NS6detail17trampoline_kernelINS0_14default_configENS1_35adjacent_difference_config_selectorILb1ElEEZNS1_24adjacent_difference_implIS3_Lb1ELb0EPlS7_ZN2at6native12_GLOBAL__N_124unique_dim_cuda_templateIjEESt5tupleIJNS8_6TensorESD_SD_EERKSD_lbbbEUlllE1_EE10hipError_tPvRmT2_T3_mT4_P12ihipStream_tbEUlT_E_NS1_11comp_targetILNS1_3genE2ELNS1_11target_archE906ELNS1_3gpuE6ELNS1_3repE0EEENS1_30default_config_static_selectorELNS0_4arch9wavefront6targetE1EEEvT1_: ; @_ZN7rocprim17ROCPRIM_400000_NS6detail17trampoline_kernelINS0_14default_configENS1_35adjacent_difference_config_selectorILb1ElEEZNS1_24adjacent_difference_implIS3_Lb1ELb0EPlS7_ZN2at6native12_GLOBAL__N_124unique_dim_cuda_templateIjEESt5tupleIJNS8_6TensorESD_SD_EERKSD_lbbbEUlllE1_EE10hipError_tPvRmT2_T3_mT4_P12ihipStream_tbEUlT_E_NS1_11comp_targetILNS1_3genE2ELNS1_11target_archE906ELNS1_3gpuE6ELNS1_3repE0EEENS1_30default_config_static_selectorELNS0_4arch9wavefront6targetE1EEEvT1_
; %bb.0:
	.section	.rodata,"a",@progbits
	.p2align	6, 0x0
	.amdhsa_kernel _ZN7rocprim17ROCPRIM_400000_NS6detail17trampoline_kernelINS0_14default_configENS1_35adjacent_difference_config_selectorILb1ElEEZNS1_24adjacent_difference_implIS3_Lb1ELb0EPlS7_ZN2at6native12_GLOBAL__N_124unique_dim_cuda_templateIjEESt5tupleIJNS8_6TensorESD_SD_EERKSD_lbbbEUlllE1_EE10hipError_tPvRmT2_T3_mT4_P12ihipStream_tbEUlT_E_NS1_11comp_targetILNS1_3genE2ELNS1_11target_archE906ELNS1_3gpuE6ELNS1_3repE0EEENS1_30default_config_static_selectorELNS0_4arch9wavefront6targetE1EEEvT1_
		.amdhsa_group_segment_fixed_size 0
		.amdhsa_private_segment_fixed_size 0
		.amdhsa_kernarg_size 64
		.amdhsa_user_sgpr_count 2
		.amdhsa_user_sgpr_dispatch_ptr 0
		.amdhsa_user_sgpr_queue_ptr 0
		.amdhsa_user_sgpr_kernarg_segment_ptr 1
		.amdhsa_user_sgpr_dispatch_id 0
		.amdhsa_user_sgpr_kernarg_preload_length 0
		.amdhsa_user_sgpr_kernarg_preload_offset 0
		.amdhsa_user_sgpr_private_segment_size 0
		.amdhsa_uses_dynamic_stack 0
		.amdhsa_enable_private_segment 0
		.amdhsa_system_sgpr_workgroup_id_x 1
		.amdhsa_system_sgpr_workgroup_id_y 0
		.amdhsa_system_sgpr_workgroup_id_z 0
		.amdhsa_system_sgpr_workgroup_info 0
		.amdhsa_system_vgpr_workitem_id 0
		.amdhsa_next_free_vgpr 1
		.amdhsa_next_free_sgpr 0
		.amdhsa_accum_offset 4
		.amdhsa_reserve_vcc 0
		.amdhsa_float_round_mode_32 0
		.amdhsa_float_round_mode_16_64 0
		.amdhsa_float_denorm_mode_32 3
		.amdhsa_float_denorm_mode_16_64 3
		.amdhsa_dx10_clamp 1
		.amdhsa_ieee_mode 1
		.amdhsa_fp16_overflow 0
		.amdhsa_tg_split 0
		.amdhsa_exception_fp_ieee_invalid_op 0
		.amdhsa_exception_fp_denorm_src 0
		.amdhsa_exception_fp_ieee_div_zero 0
		.amdhsa_exception_fp_ieee_overflow 0
		.amdhsa_exception_fp_ieee_underflow 0
		.amdhsa_exception_fp_ieee_inexact 0
		.amdhsa_exception_int_div_zero 0
	.end_amdhsa_kernel
	.section	.text._ZN7rocprim17ROCPRIM_400000_NS6detail17trampoline_kernelINS0_14default_configENS1_35adjacent_difference_config_selectorILb1ElEEZNS1_24adjacent_difference_implIS3_Lb1ELb0EPlS7_ZN2at6native12_GLOBAL__N_124unique_dim_cuda_templateIjEESt5tupleIJNS8_6TensorESD_SD_EERKSD_lbbbEUlllE1_EE10hipError_tPvRmT2_T3_mT4_P12ihipStream_tbEUlT_E_NS1_11comp_targetILNS1_3genE2ELNS1_11target_archE906ELNS1_3gpuE6ELNS1_3repE0EEENS1_30default_config_static_selectorELNS0_4arch9wavefront6targetE1EEEvT1_,"axG",@progbits,_ZN7rocprim17ROCPRIM_400000_NS6detail17trampoline_kernelINS0_14default_configENS1_35adjacent_difference_config_selectorILb1ElEEZNS1_24adjacent_difference_implIS3_Lb1ELb0EPlS7_ZN2at6native12_GLOBAL__N_124unique_dim_cuda_templateIjEESt5tupleIJNS8_6TensorESD_SD_EERKSD_lbbbEUlllE1_EE10hipError_tPvRmT2_T3_mT4_P12ihipStream_tbEUlT_E_NS1_11comp_targetILNS1_3genE2ELNS1_11target_archE906ELNS1_3gpuE6ELNS1_3repE0EEENS1_30default_config_static_selectorELNS0_4arch9wavefront6targetE1EEEvT1_,comdat
.Lfunc_end1548:
	.size	_ZN7rocprim17ROCPRIM_400000_NS6detail17trampoline_kernelINS0_14default_configENS1_35adjacent_difference_config_selectorILb1ElEEZNS1_24adjacent_difference_implIS3_Lb1ELb0EPlS7_ZN2at6native12_GLOBAL__N_124unique_dim_cuda_templateIjEESt5tupleIJNS8_6TensorESD_SD_EERKSD_lbbbEUlllE1_EE10hipError_tPvRmT2_T3_mT4_P12ihipStream_tbEUlT_E_NS1_11comp_targetILNS1_3genE2ELNS1_11target_archE906ELNS1_3gpuE6ELNS1_3repE0EEENS1_30default_config_static_selectorELNS0_4arch9wavefront6targetE1EEEvT1_, .Lfunc_end1548-_ZN7rocprim17ROCPRIM_400000_NS6detail17trampoline_kernelINS0_14default_configENS1_35adjacent_difference_config_selectorILb1ElEEZNS1_24adjacent_difference_implIS3_Lb1ELb0EPlS7_ZN2at6native12_GLOBAL__N_124unique_dim_cuda_templateIjEESt5tupleIJNS8_6TensorESD_SD_EERKSD_lbbbEUlllE1_EE10hipError_tPvRmT2_T3_mT4_P12ihipStream_tbEUlT_E_NS1_11comp_targetILNS1_3genE2ELNS1_11target_archE906ELNS1_3gpuE6ELNS1_3repE0EEENS1_30default_config_static_selectorELNS0_4arch9wavefront6targetE1EEEvT1_
                                        ; -- End function
	.section	.AMDGPU.csdata,"",@progbits
; Kernel info:
; codeLenInByte = 0
; NumSgprs: 6
; NumVgprs: 0
; NumAgprs: 0
; TotalNumVgprs: 0
; ScratchSize: 0
; MemoryBound: 0
; FloatMode: 240
; IeeeMode: 1
; LDSByteSize: 0 bytes/workgroup (compile time only)
; SGPRBlocks: 0
; VGPRBlocks: 0
; NumSGPRsForWavesPerEU: 6
; NumVGPRsForWavesPerEU: 1
; AccumOffset: 4
; Occupancy: 8
; WaveLimiterHint : 0
; COMPUTE_PGM_RSRC2:SCRATCH_EN: 0
; COMPUTE_PGM_RSRC2:USER_SGPR: 2
; COMPUTE_PGM_RSRC2:TRAP_HANDLER: 0
; COMPUTE_PGM_RSRC2:TGID_X_EN: 1
; COMPUTE_PGM_RSRC2:TGID_Y_EN: 0
; COMPUTE_PGM_RSRC2:TGID_Z_EN: 0
; COMPUTE_PGM_RSRC2:TIDIG_COMP_CNT: 0
; COMPUTE_PGM_RSRC3_GFX90A:ACCUM_OFFSET: 0
; COMPUTE_PGM_RSRC3_GFX90A:TG_SPLIT: 0
	.section	.text._ZN7rocprim17ROCPRIM_400000_NS6detail17trampoline_kernelINS0_14default_configENS1_35adjacent_difference_config_selectorILb1ElEEZNS1_24adjacent_difference_implIS3_Lb1ELb0EPlS7_ZN2at6native12_GLOBAL__N_124unique_dim_cuda_templateIjEESt5tupleIJNS8_6TensorESD_SD_EERKSD_lbbbEUlllE1_EE10hipError_tPvRmT2_T3_mT4_P12ihipStream_tbEUlT_E_NS1_11comp_targetILNS1_3genE9ELNS1_11target_archE1100ELNS1_3gpuE3ELNS1_3repE0EEENS1_30default_config_static_selectorELNS0_4arch9wavefront6targetE1EEEvT1_,"axG",@progbits,_ZN7rocprim17ROCPRIM_400000_NS6detail17trampoline_kernelINS0_14default_configENS1_35adjacent_difference_config_selectorILb1ElEEZNS1_24adjacent_difference_implIS3_Lb1ELb0EPlS7_ZN2at6native12_GLOBAL__N_124unique_dim_cuda_templateIjEESt5tupleIJNS8_6TensorESD_SD_EERKSD_lbbbEUlllE1_EE10hipError_tPvRmT2_T3_mT4_P12ihipStream_tbEUlT_E_NS1_11comp_targetILNS1_3genE9ELNS1_11target_archE1100ELNS1_3gpuE3ELNS1_3repE0EEENS1_30default_config_static_selectorELNS0_4arch9wavefront6targetE1EEEvT1_,comdat
	.globl	_ZN7rocprim17ROCPRIM_400000_NS6detail17trampoline_kernelINS0_14default_configENS1_35adjacent_difference_config_selectorILb1ElEEZNS1_24adjacent_difference_implIS3_Lb1ELb0EPlS7_ZN2at6native12_GLOBAL__N_124unique_dim_cuda_templateIjEESt5tupleIJNS8_6TensorESD_SD_EERKSD_lbbbEUlllE1_EE10hipError_tPvRmT2_T3_mT4_P12ihipStream_tbEUlT_E_NS1_11comp_targetILNS1_3genE9ELNS1_11target_archE1100ELNS1_3gpuE3ELNS1_3repE0EEENS1_30default_config_static_selectorELNS0_4arch9wavefront6targetE1EEEvT1_ ; -- Begin function _ZN7rocprim17ROCPRIM_400000_NS6detail17trampoline_kernelINS0_14default_configENS1_35adjacent_difference_config_selectorILb1ElEEZNS1_24adjacent_difference_implIS3_Lb1ELb0EPlS7_ZN2at6native12_GLOBAL__N_124unique_dim_cuda_templateIjEESt5tupleIJNS8_6TensorESD_SD_EERKSD_lbbbEUlllE1_EE10hipError_tPvRmT2_T3_mT4_P12ihipStream_tbEUlT_E_NS1_11comp_targetILNS1_3genE9ELNS1_11target_archE1100ELNS1_3gpuE3ELNS1_3repE0EEENS1_30default_config_static_selectorELNS0_4arch9wavefront6targetE1EEEvT1_
	.p2align	8
	.type	_ZN7rocprim17ROCPRIM_400000_NS6detail17trampoline_kernelINS0_14default_configENS1_35adjacent_difference_config_selectorILb1ElEEZNS1_24adjacent_difference_implIS3_Lb1ELb0EPlS7_ZN2at6native12_GLOBAL__N_124unique_dim_cuda_templateIjEESt5tupleIJNS8_6TensorESD_SD_EERKSD_lbbbEUlllE1_EE10hipError_tPvRmT2_T3_mT4_P12ihipStream_tbEUlT_E_NS1_11comp_targetILNS1_3genE9ELNS1_11target_archE1100ELNS1_3gpuE3ELNS1_3repE0EEENS1_30default_config_static_selectorELNS0_4arch9wavefront6targetE1EEEvT1_,@function
_ZN7rocprim17ROCPRIM_400000_NS6detail17trampoline_kernelINS0_14default_configENS1_35adjacent_difference_config_selectorILb1ElEEZNS1_24adjacent_difference_implIS3_Lb1ELb0EPlS7_ZN2at6native12_GLOBAL__N_124unique_dim_cuda_templateIjEESt5tupleIJNS8_6TensorESD_SD_EERKSD_lbbbEUlllE1_EE10hipError_tPvRmT2_T3_mT4_P12ihipStream_tbEUlT_E_NS1_11comp_targetILNS1_3genE9ELNS1_11target_archE1100ELNS1_3gpuE3ELNS1_3repE0EEENS1_30default_config_static_selectorELNS0_4arch9wavefront6targetE1EEEvT1_: ; @_ZN7rocprim17ROCPRIM_400000_NS6detail17trampoline_kernelINS0_14default_configENS1_35adjacent_difference_config_selectorILb1ElEEZNS1_24adjacent_difference_implIS3_Lb1ELb0EPlS7_ZN2at6native12_GLOBAL__N_124unique_dim_cuda_templateIjEESt5tupleIJNS8_6TensorESD_SD_EERKSD_lbbbEUlllE1_EE10hipError_tPvRmT2_T3_mT4_P12ihipStream_tbEUlT_E_NS1_11comp_targetILNS1_3genE9ELNS1_11target_archE1100ELNS1_3gpuE3ELNS1_3repE0EEENS1_30default_config_static_selectorELNS0_4arch9wavefront6targetE1EEEvT1_
; %bb.0:
	.section	.rodata,"a",@progbits
	.p2align	6, 0x0
	.amdhsa_kernel _ZN7rocprim17ROCPRIM_400000_NS6detail17trampoline_kernelINS0_14default_configENS1_35adjacent_difference_config_selectorILb1ElEEZNS1_24adjacent_difference_implIS3_Lb1ELb0EPlS7_ZN2at6native12_GLOBAL__N_124unique_dim_cuda_templateIjEESt5tupleIJNS8_6TensorESD_SD_EERKSD_lbbbEUlllE1_EE10hipError_tPvRmT2_T3_mT4_P12ihipStream_tbEUlT_E_NS1_11comp_targetILNS1_3genE9ELNS1_11target_archE1100ELNS1_3gpuE3ELNS1_3repE0EEENS1_30default_config_static_selectorELNS0_4arch9wavefront6targetE1EEEvT1_
		.amdhsa_group_segment_fixed_size 0
		.amdhsa_private_segment_fixed_size 0
		.amdhsa_kernarg_size 64
		.amdhsa_user_sgpr_count 2
		.amdhsa_user_sgpr_dispatch_ptr 0
		.amdhsa_user_sgpr_queue_ptr 0
		.amdhsa_user_sgpr_kernarg_segment_ptr 1
		.amdhsa_user_sgpr_dispatch_id 0
		.amdhsa_user_sgpr_kernarg_preload_length 0
		.amdhsa_user_sgpr_kernarg_preload_offset 0
		.amdhsa_user_sgpr_private_segment_size 0
		.amdhsa_uses_dynamic_stack 0
		.amdhsa_enable_private_segment 0
		.amdhsa_system_sgpr_workgroup_id_x 1
		.amdhsa_system_sgpr_workgroup_id_y 0
		.amdhsa_system_sgpr_workgroup_id_z 0
		.amdhsa_system_sgpr_workgroup_info 0
		.amdhsa_system_vgpr_workitem_id 0
		.amdhsa_next_free_vgpr 1
		.amdhsa_next_free_sgpr 0
		.amdhsa_accum_offset 4
		.amdhsa_reserve_vcc 0
		.amdhsa_float_round_mode_32 0
		.amdhsa_float_round_mode_16_64 0
		.amdhsa_float_denorm_mode_32 3
		.amdhsa_float_denorm_mode_16_64 3
		.amdhsa_dx10_clamp 1
		.amdhsa_ieee_mode 1
		.amdhsa_fp16_overflow 0
		.amdhsa_tg_split 0
		.amdhsa_exception_fp_ieee_invalid_op 0
		.amdhsa_exception_fp_denorm_src 0
		.amdhsa_exception_fp_ieee_div_zero 0
		.amdhsa_exception_fp_ieee_overflow 0
		.amdhsa_exception_fp_ieee_underflow 0
		.amdhsa_exception_fp_ieee_inexact 0
		.amdhsa_exception_int_div_zero 0
	.end_amdhsa_kernel
	.section	.text._ZN7rocprim17ROCPRIM_400000_NS6detail17trampoline_kernelINS0_14default_configENS1_35adjacent_difference_config_selectorILb1ElEEZNS1_24adjacent_difference_implIS3_Lb1ELb0EPlS7_ZN2at6native12_GLOBAL__N_124unique_dim_cuda_templateIjEESt5tupleIJNS8_6TensorESD_SD_EERKSD_lbbbEUlllE1_EE10hipError_tPvRmT2_T3_mT4_P12ihipStream_tbEUlT_E_NS1_11comp_targetILNS1_3genE9ELNS1_11target_archE1100ELNS1_3gpuE3ELNS1_3repE0EEENS1_30default_config_static_selectorELNS0_4arch9wavefront6targetE1EEEvT1_,"axG",@progbits,_ZN7rocprim17ROCPRIM_400000_NS6detail17trampoline_kernelINS0_14default_configENS1_35adjacent_difference_config_selectorILb1ElEEZNS1_24adjacent_difference_implIS3_Lb1ELb0EPlS7_ZN2at6native12_GLOBAL__N_124unique_dim_cuda_templateIjEESt5tupleIJNS8_6TensorESD_SD_EERKSD_lbbbEUlllE1_EE10hipError_tPvRmT2_T3_mT4_P12ihipStream_tbEUlT_E_NS1_11comp_targetILNS1_3genE9ELNS1_11target_archE1100ELNS1_3gpuE3ELNS1_3repE0EEENS1_30default_config_static_selectorELNS0_4arch9wavefront6targetE1EEEvT1_,comdat
.Lfunc_end1549:
	.size	_ZN7rocprim17ROCPRIM_400000_NS6detail17trampoline_kernelINS0_14default_configENS1_35adjacent_difference_config_selectorILb1ElEEZNS1_24adjacent_difference_implIS3_Lb1ELb0EPlS7_ZN2at6native12_GLOBAL__N_124unique_dim_cuda_templateIjEESt5tupleIJNS8_6TensorESD_SD_EERKSD_lbbbEUlllE1_EE10hipError_tPvRmT2_T3_mT4_P12ihipStream_tbEUlT_E_NS1_11comp_targetILNS1_3genE9ELNS1_11target_archE1100ELNS1_3gpuE3ELNS1_3repE0EEENS1_30default_config_static_selectorELNS0_4arch9wavefront6targetE1EEEvT1_, .Lfunc_end1549-_ZN7rocprim17ROCPRIM_400000_NS6detail17trampoline_kernelINS0_14default_configENS1_35adjacent_difference_config_selectorILb1ElEEZNS1_24adjacent_difference_implIS3_Lb1ELb0EPlS7_ZN2at6native12_GLOBAL__N_124unique_dim_cuda_templateIjEESt5tupleIJNS8_6TensorESD_SD_EERKSD_lbbbEUlllE1_EE10hipError_tPvRmT2_T3_mT4_P12ihipStream_tbEUlT_E_NS1_11comp_targetILNS1_3genE9ELNS1_11target_archE1100ELNS1_3gpuE3ELNS1_3repE0EEENS1_30default_config_static_selectorELNS0_4arch9wavefront6targetE1EEEvT1_
                                        ; -- End function
	.section	.AMDGPU.csdata,"",@progbits
; Kernel info:
; codeLenInByte = 0
; NumSgprs: 6
; NumVgprs: 0
; NumAgprs: 0
; TotalNumVgprs: 0
; ScratchSize: 0
; MemoryBound: 0
; FloatMode: 240
; IeeeMode: 1
; LDSByteSize: 0 bytes/workgroup (compile time only)
; SGPRBlocks: 0
; VGPRBlocks: 0
; NumSGPRsForWavesPerEU: 6
; NumVGPRsForWavesPerEU: 1
; AccumOffset: 4
; Occupancy: 8
; WaveLimiterHint : 0
; COMPUTE_PGM_RSRC2:SCRATCH_EN: 0
; COMPUTE_PGM_RSRC2:USER_SGPR: 2
; COMPUTE_PGM_RSRC2:TRAP_HANDLER: 0
; COMPUTE_PGM_RSRC2:TGID_X_EN: 1
; COMPUTE_PGM_RSRC2:TGID_Y_EN: 0
; COMPUTE_PGM_RSRC2:TGID_Z_EN: 0
; COMPUTE_PGM_RSRC2:TIDIG_COMP_CNT: 0
; COMPUTE_PGM_RSRC3_GFX90A:ACCUM_OFFSET: 0
; COMPUTE_PGM_RSRC3_GFX90A:TG_SPLIT: 0
	.section	.text._ZN7rocprim17ROCPRIM_400000_NS6detail17trampoline_kernelINS0_14default_configENS1_35adjacent_difference_config_selectorILb1ElEEZNS1_24adjacent_difference_implIS3_Lb1ELb0EPlS7_ZN2at6native12_GLOBAL__N_124unique_dim_cuda_templateIjEESt5tupleIJNS8_6TensorESD_SD_EERKSD_lbbbEUlllE1_EE10hipError_tPvRmT2_T3_mT4_P12ihipStream_tbEUlT_E_NS1_11comp_targetILNS1_3genE8ELNS1_11target_archE1030ELNS1_3gpuE2ELNS1_3repE0EEENS1_30default_config_static_selectorELNS0_4arch9wavefront6targetE1EEEvT1_,"axG",@progbits,_ZN7rocprim17ROCPRIM_400000_NS6detail17trampoline_kernelINS0_14default_configENS1_35adjacent_difference_config_selectorILb1ElEEZNS1_24adjacent_difference_implIS3_Lb1ELb0EPlS7_ZN2at6native12_GLOBAL__N_124unique_dim_cuda_templateIjEESt5tupleIJNS8_6TensorESD_SD_EERKSD_lbbbEUlllE1_EE10hipError_tPvRmT2_T3_mT4_P12ihipStream_tbEUlT_E_NS1_11comp_targetILNS1_3genE8ELNS1_11target_archE1030ELNS1_3gpuE2ELNS1_3repE0EEENS1_30default_config_static_selectorELNS0_4arch9wavefront6targetE1EEEvT1_,comdat
	.globl	_ZN7rocprim17ROCPRIM_400000_NS6detail17trampoline_kernelINS0_14default_configENS1_35adjacent_difference_config_selectorILb1ElEEZNS1_24adjacent_difference_implIS3_Lb1ELb0EPlS7_ZN2at6native12_GLOBAL__N_124unique_dim_cuda_templateIjEESt5tupleIJNS8_6TensorESD_SD_EERKSD_lbbbEUlllE1_EE10hipError_tPvRmT2_T3_mT4_P12ihipStream_tbEUlT_E_NS1_11comp_targetILNS1_3genE8ELNS1_11target_archE1030ELNS1_3gpuE2ELNS1_3repE0EEENS1_30default_config_static_selectorELNS0_4arch9wavefront6targetE1EEEvT1_ ; -- Begin function _ZN7rocprim17ROCPRIM_400000_NS6detail17trampoline_kernelINS0_14default_configENS1_35adjacent_difference_config_selectorILb1ElEEZNS1_24adjacent_difference_implIS3_Lb1ELb0EPlS7_ZN2at6native12_GLOBAL__N_124unique_dim_cuda_templateIjEESt5tupleIJNS8_6TensorESD_SD_EERKSD_lbbbEUlllE1_EE10hipError_tPvRmT2_T3_mT4_P12ihipStream_tbEUlT_E_NS1_11comp_targetILNS1_3genE8ELNS1_11target_archE1030ELNS1_3gpuE2ELNS1_3repE0EEENS1_30default_config_static_selectorELNS0_4arch9wavefront6targetE1EEEvT1_
	.p2align	8
	.type	_ZN7rocprim17ROCPRIM_400000_NS6detail17trampoline_kernelINS0_14default_configENS1_35adjacent_difference_config_selectorILb1ElEEZNS1_24adjacent_difference_implIS3_Lb1ELb0EPlS7_ZN2at6native12_GLOBAL__N_124unique_dim_cuda_templateIjEESt5tupleIJNS8_6TensorESD_SD_EERKSD_lbbbEUlllE1_EE10hipError_tPvRmT2_T3_mT4_P12ihipStream_tbEUlT_E_NS1_11comp_targetILNS1_3genE8ELNS1_11target_archE1030ELNS1_3gpuE2ELNS1_3repE0EEENS1_30default_config_static_selectorELNS0_4arch9wavefront6targetE1EEEvT1_,@function
_ZN7rocprim17ROCPRIM_400000_NS6detail17trampoline_kernelINS0_14default_configENS1_35adjacent_difference_config_selectorILb1ElEEZNS1_24adjacent_difference_implIS3_Lb1ELb0EPlS7_ZN2at6native12_GLOBAL__N_124unique_dim_cuda_templateIjEESt5tupleIJNS8_6TensorESD_SD_EERKSD_lbbbEUlllE1_EE10hipError_tPvRmT2_T3_mT4_P12ihipStream_tbEUlT_E_NS1_11comp_targetILNS1_3genE8ELNS1_11target_archE1030ELNS1_3gpuE2ELNS1_3repE0EEENS1_30default_config_static_selectorELNS0_4arch9wavefront6targetE1EEEvT1_: ; @_ZN7rocprim17ROCPRIM_400000_NS6detail17trampoline_kernelINS0_14default_configENS1_35adjacent_difference_config_selectorILb1ElEEZNS1_24adjacent_difference_implIS3_Lb1ELb0EPlS7_ZN2at6native12_GLOBAL__N_124unique_dim_cuda_templateIjEESt5tupleIJNS8_6TensorESD_SD_EERKSD_lbbbEUlllE1_EE10hipError_tPvRmT2_T3_mT4_P12ihipStream_tbEUlT_E_NS1_11comp_targetILNS1_3genE8ELNS1_11target_archE1030ELNS1_3gpuE2ELNS1_3repE0EEENS1_30default_config_static_selectorELNS0_4arch9wavefront6targetE1EEEvT1_
; %bb.0:
	.section	.rodata,"a",@progbits
	.p2align	6, 0x0
	.amdhsa_kernel _ZN7rocprim17ROCPRIM_400000_NS6detail17trampoline_kernelINS0_14default_configENS1_35adjacent_difference_config_selectorILb1ElEEZNS1_24adjacent_difference_implIS3_Lb1ELb0EPlS7_ZN2at6native12_GLOBAL__N_124unique_dim_cuda_templateIjEESt5tupleIJNS8_6TensorESD_SD_EERKSD_lbbbEUlllE1_EE10hipError_tPvRmT2_T3_mT4_P12ihipStream_tbEUlT_E_NS1_11comp_targetILNS1_3genE8ELNS1_11target_archE1030ELNS1_3gpuE2ELNS1_3repE0EEENS1_30default_config_static_selectorELNS0_4arch9wavefront6targetE1EEEvT1_
		.amdhsa_group_segment_fixed_size 0
		.amdhsa_private_segment_fixed_size 0
		.amdhsa_kernarg_size 64
		.amdhsa_user_sgpr_count 2
		.amdhsa_user_sgpr_dispatch_ptr 0
		.amdhsa_user_sgpr_queue_ptr 0
		.amdhsa_user_sgpr_kernarg_segment_ptr 1
		.amdhsa_user_sgpr_dispatch_id 0
		.amdhsa_user_sgpr_kernarg_preload_length 0
		.amdhsa_user_sgpr_kernarg_preload_offset 0
		.amdhsa_user_sgpr_private_segment_size 0
		.amdhsa_uses_dynamic_stack 0
		.amdhsa_enable_private_segment 0
		.amdhsa_system_sgpr_workgroup_id_x 1
		.amdhsa_system_sgpr_workgroup_id_y 0
		.amdhsa_system_sgpr_workgroup_id_z 0
		.amdhsa_system_sgpr_workgroup_info 0
		.amdhsa_system_vgpr_workitem_id 0
		.amdhsa_next_free_vgpr 1
		.amdhsa_next_free_sgpr 0
		.amdhsa_accum_offset 4
		.amdhsa_reserve_vcc 0
		.amdhsa_float_round_mode_32 0
		.amdhsa_float_round_mode_16_64 0
		.amdhsa_float_denorm_mode_32 3
		.amdhsa_float_denorm_mode_16_64 3
		.amdhsa_dx10_clamp 1
		.amdhsa_ieee_mode 1
		.amdhsa_fp16_overflow 0
		.amdhsa_tg_split 0
		.amdhsa_exception_fp_ieee_invalid_op 0
		.amdhsa_exception_fp_denorm_src 0
		.amdhsa_exception_fp_ieee_div_zero 0
		.amdhsa_exception_fp_ieee_overflow 0
		.amdhsa_exception_fp_ieee_underflow 0
		.amdhsa_exception_fp_ieee_inexact 0
		.amdhsa_exception_int_div_zero 0
	.end_amdhsa_kernel
	.section	.text._ZN7rocprim17ROCPRIM_400000_NS6detail17trampoline_kernelINS0_14default_configENS1_35adjacent_difference_config_selectorILb1ElEEZNS1_24adjacent_difference_implIS3_Lb1ELb0EPlS7_ZN2at6native12_GLOBAL__N_124unique_dim_cuda_templateIjEESt5tupleIJNS8_6TensorESD_SD_EERKSD_lbbbEUlllE1_EE10hipError_tPvRmT2_T3_mT4_P12ihipStream_tbEUlT_E_NS1_11comp_targetILNS1_3genE8ELNS1_11target_archE1030ELNS1_3gpuE2ELNS1_3repE0EEENS1_30default_config_static_selectorELNS0_4arch9wavefront6targetE1EEEvT1_,"axG",@progbits,_ZN7rocprim17ROCPRIM_400000_NS6detail17trampoline_kernelINS0_14default_configENS1_35adjacent_difference_config_selectorILb1ElEEZNS1_24adjacent_difference_implIS3_Lb1ELb0EPlS7_ZN2at6native12_GLOBAL__N_124unique_dim_cuda_templateIjEESt5tupleIJNS8_6TensorESD_SD_EERKSD_lbbbEUlllE1_EE10hipError_tPvRmT2_T3_mT4_P12ihipStream_tbEUlT_E_NS1_11comp_targetILNS1_3genE8ELNS1_11target_archE1030ELNS1_3gpuE2ELNS1_3repE0EEENS1_30default_config_static_selectorELNS0_4arch9wavefront6targetE1EEEvT1_,comdat
.Lfunc_end1550:
	.size	_ZN7rocprim17ROCPRIM_400000_NS6detail17trampoline_kernelINS0_14default_configENS1_35adjacent_difference_config_selectorILb1ElEEZNS1_24adjacent_difference_implIS3_Lb1ELb0EPlS7_ZN2at6native12_GLOBAL__N_124unique_dim_cuda_templateIjEESt5tupleIJNS8_6TensorESD_SD_EERKSD_lbbbEUlllE1_EE10hipError_tPvRmT2_T3_mT4_P12ihipStream_tbEUlT_E_NS1_11comp_targetILNS1_3genE8ELNS1_11target_archE1030ELNS1_3gpuE2ELNS1_3repE0EEENS1_30default_config_static_selectorELNS0_4arch9wavefront6targetE1EEEvT1_, .Lfunc_end1550-_ZN7rocprim17ROCPRIM_400000_NS6detail17trampoline_kernelINS0_14default_configENS1_35adjacent_difference_config_selectorILb1ElEEZNS1_24adjacent_difference_implIS3_Lb1ELb0EPlS7_ZN2at6native12_GLOBAL__N_124unique_dim_cuda_templateIjEESt5tupleIJNS8_6TensorESD_SD_EERKSD_lbbbEUlllE1_EE10hipError_tPvRmT2_T3_mT4_P12ihipStream_tbEUlT_E_NS1_11comp_targetILNS1_3genE8ELNS1_11target_archE1030ELNS1_3gpuE2ELNS1_3repE0EEENS1_30default_config_static_selectorELNS0_4arch9wavefront6targetE1EEEvT1_
                                        ; -- End function
	.section	.AMDGPU.csdata,"",@progbits
; Kernel info:
; codeLenInByte = 0
; NumSgprs: 6
; NumVgprs: 0
; NumAgprs: 0
; TotalNumVgprs: 0
; ScratchSize: 0
; MemoryBound: 0
; FloatMode: 240
; IeeeMode: 1
; LDSByteSize: 0 bytes/workgroup (compile time only)
; SGPRBlocks: 0
; VGPRBlocks: 0
; NumSGPRsForWavesPerEU: 6
; NumVGPRsForWavesPerEU: 1
; AccumOffset: 4
; Occupancy: 8
; WaveLimiterHint : 0
; COMPUTE_PGM_RSRC2:SCRATCH_EN: 0
; COMPUTE_PGM_RSRC2:USER_SGPR: 2
; COMPUTE_PGM_RSRC2:TRAP_HANDLER: 0
; COMPUTE_PGM_RSRC2:TGID_X_EN: 1
; COMPUTE_PGM_RSRC2:TGID_Y_EN: 0
; COMPUTE_PGM_RSRC2:TGID_Z_EN: 0
; COMPUTE_PGM_RSRC2:TIDIG_COMP_CNT: 0
; COMPUTE_PGM_RSRC3_GFX90A:ACCUM_OFFSET: 0
; COMPUTE_PGM_RSRC3_GFX90A:TG_SPLIT: 0
	.section	.text._ZN7rocprim17ROCPRIM_400000_NS6detail17trampoline_kernelINS0_14default_configENS1_25partition_config_selectorILNS1_17partition_subalgoE8ElNS0_10empty_typeEbEEZZNS1_14partition_implILS5_8ELb0ES3_jPlPS6_PKS6_NS0_5tupleIJS9_S6_EEENSD_IJSA_SA_EEENS0_18inequality_wrapperIZN2at6native12_GLOBAL__N_124unique_dim_cuda_templateIjEESt5tupleIJNSH_6TensorESM_SM_EERKSM_lbbbEUlllE0_EEPmJS6_EEE10hipError_tPvRmT3_T4_T5_T6_T7_T9_mT8_P12ihipStream_tbDpT10_ENKUlT_T0_E_clISt17integral_constantIbLb0EES1C_EEDaS17_S18_EUlS17_E_NS1_11comp_targetILNS1_3genE0ELNS1_11target_archE4294967295ELNS1_3gpuE0ELNS1_3repE0EEENS1_30default_config_static_selectorELNS0_4arch9wavefront6targetE1EEEvT1_,"axG",@progbits,_ZN7rocprim17ROCPRIM_400000_NS6detail17trampoline_kernelINS0_14default_configENS1_25partition_config_selectorILNS1_17partition_subalgoE8ElNS0_10empty_typeEbEEZZNS1_14partition_implILS5_8ELb0ES3_jPlPS6_PKS6_NS0_5tupleIJS9_S6_EEENSD_IJSA_SA_EEENS0_18inequality_wrapperIZN2at6native12_GLOBAL__N_124unique_dim_cuda_templateIjEESt5tupleIJNSH_6TensorESM_SM_EERKSM_lbbbEUlllE0_EEPmJS6_EEE10hipError_tPvRmT3_T4_T5_T6_T7_T9_mT8_P12ihipStream_tbDpT10_ENKUlT_T0_E_clISt17integral_constantIbLb0EES1C_EEDaS17_S18_EUlS17_E_NS1_11comp_targetILNS1_3genE0ELNS1_11target_archE4294967295ELNS1_3gpuE0ELNS1_3repE0EEENS1_30default_config_static_selectorELNS0_4arch9wavefront6targetE1EEEvT1_,comdat
	.globl	_ZN7rocprim17ROCPRIM_400000_NS6detail17trampoline_kernelINS0_14default_configENS1_25partition_config_selectorILNS1_17partition_subalgoE8ElNS0_10empty_typeEbEEZZNS1_14partition_implILS5_8ELb0ES3_jPlPS6_PKS6_NS0_5tupleIJS9_S6_EEENSD_IJSA_SA_EEENS0_18inequality_wrapperIZN2at6native12_GLOBAL__N_124unique_dim_cuda_templateIjEESt5tupleIJNSH_6TensorESM_SM_EERKSM_lbbbEUlllE0_EEPmJS6_EEE10hipError_tPvRmT3_T4_T5_T6_T7_T9_mT8_P12ihipStream_tbDpT10_ENKUlT_T0_E_clISt17integral_constantIbLb0EES1C_EEDaS17_S18_EUlS17_E_NS1_11comp_targetILNS1_3genE0ELNS1_11target_archE4294967295ELNS1_3gpuE0ELNS1_3repE0EEENS1_30default_config_static_selectorELNS0_4arch9wavefront6targetE1EEEvT1_ ; -- Begin function _ZN7rocprim17ROCPRIM_400000_NS6detail17trampoline_kernelINS0_14default_configENS1_25partition_config_selectorILNS1_17partition_subalgoE8ElNS0_10empty_typeEbEEZZNS1_14partition_implILS5_8ELb0ES3_jPlPS6_PKS6_NS0_5tupleIJS9_S6_EEENSD_IJSA_SA_EEENS0_18inequality_wrapperIZN2at6native12_GLOBAL__N_124unique_dim_cuda_templateIjEESt5tupleIJNSH_6TensorESM_SM_EERKSM_lbbbEUlllE0_EEPmJS6_EEE10hipError_tPvRmT3_T4_T5_T6_T7_T9_mT8_P12ihipStream_tbDpT10_ENKUlT_T0_E_clISt17integral_constantIbLb0EES1C_EEDaS17_S18_EUlS17_E_NS1_11comp_targetILNS1_3genE0ELNS1_11target_archE4294967295ELNS1_3gpuE0ELNS1_3repE0EEENS1_30default_config_static_selectorELNS0_4arch9wavefront6targetE1EEEvT1_
	.p2align	8
	.type	_ZN7rocprim17ROCPRIM_400000_NS6detail17trampoline_kernelINS0_14default_configENS1_25partition_config_selectorILNS1_17partition_subalgoE8ElNS0_10empty_typeEbEEZZNS1_14partition_implILS5_8ELb0ES3_jPlPS6_PKS6_NS0_5tupleIJS9_S6_EEENSD_IJSA_SA_EEENS0_18inequality_wrapperIZN2at6native12_GLOBAL__N_124unique_dim_cuda_templateIjEESt5tupleIJNSH_6TensorESM_SM_EERKSM_lbbbEUlllE0_EEPmJS6_EEE10hipError_tPvRmT3_T4_T5_T6_T7_T9_mT8_P12ihipStream_tbDpT10_ENKUlT_T0_E_clISt17integral_constantIbLb0EES1C_EEDaS17_S18_EUlS17_E_NS1_11comp_targetILNS1_3genE0ELNS1_11target_archE4294967295ELNS1_3gpuE0ELNS1_3repE0EEENS1_30default_config_static_selectorELNS0_4arch9wavefront6targetE1EEEvT1_,@function
_ZN7rocprim17ROCPRIM_400000_NS6detail17trampoline_kernelINS0_14default_configENS1_25partition_config_selectorILNS1_17partition_subalgoE8ElNS0_10empty_typeEbEEZZNS1_14partition_implILS5_8ELb0ES3_jPlPS6_PKS6_NS0_5tupleIJS9_S6_EEENSD_IJSA_SA_EEENS0_18inequality_wrapperIZN2at6native12_GLOBAL__N_124unique_dim_cuda_templateIjEESt5tupleIJNSH_6TensorESM_SM_EERKSM_lbbbEUlllE0_EEPmJS6_EEE10hipError_tPvRmT3_T4_T5_T6_T7_T9_mT8_P12ihipStream_tbDpT10_ENKUlT_T0_E_clISt17integral_constantIbLb0EES1C_EEDaS17_S18_EUlS17_E_NS1_11comp_targetILNS1_3genE0ELNS1_11target_archE4294967295ELNS1_3gpuE0ELNS1_3repE0EEENS1_30default_config_static_selectorELNS0_4arch9wavefront6targetE1EEEvT1_: ; @_ZN7rocprim17ROCPRIM_400000_NS6detail17trampoline_kernelINS0_14default_configENS1_25partition_config_selectorILNS1_17partition_subalgoE8ElNS0_10empty_typeEbEEZZNS1_14partition_implILS5_8ELb0ES3_jPlPS6_PKS6_NS0_5tupleIJS9_S6_EEENSD_IJSA_SA_EEENS0_18inequality_wrapperIZN2at6native12_GLOBAL__N_124unique_dim_cuda_templateIjEESt5tupleIJNSH_6TensorESM_SM_EERKSM_lbbbEUlllE0_EEPmJS6_EEE10hipError_tPvRmT3_T4_T5_T6_T7_T9_mT8_P12ihipStream_tbDpT10_ENKUlT_T0_E_clISt17integral_constantIbLb0EES1C_EEDaS17_S18_EUlS17_E_NS1_11comp_targetILNS1_3genE0ELNS1_11target_archE4294967295ELNS1_3gpuE0ELNS1_3repE0EEENS1_30default_config_static_selectorELNS0_4arch9wavefront6targetE1EEEvT1_
; %bb.0:
	.section	.rodata,"a",@progbits
	.p2align	6, 0x0
	.amdhsa_kernel _ZN7rocprim17ROCPRIM_400000_NS6detail17trampoline_kernelINS0_14default_configENS1_25partition_config_selectorILNS1_17partition_subalgoE8ElNS0_10empty_typeEbEEZZNS1_14partition_implILS5_8ELb0ES3_jPlPS6_PKS6_NS0_5tupleIJS9_S6_EEENSD_IJSA_SA_EEENS0_18inequality_wrapperIZN2at6native12_GLOBAL__N_124unique_dim_cuda_templateIjEESt5tupleIJNSH_6TensorESM_SM_EERKSM_lbbbEUlllE0_EEPmJS6_EEE10hipError_tPvRmT3_T4_T5_T6_T7_T9_mT8_P12ihipStream_tbDpT10_ENKUlT_T0_E_clISt17integral_constantIbLb0EES1C_EEDaS17_S18_EUlS17_E_NS1_11comp_targetILNS1_3genE0ELNS1_11target_archE4294967295ELNS1_3gpuE0ELNS1_3repE0EEENS1_30default_config_static_selectorELNS0_4arch9wavefront6targetE1EEEvT1_
		.amdhsa_group_segment_fixed_size 0
		.amdhsa_private_segment_fixed_size 0
		.amdhsa_kernarg_size 120
		.amdhsa_user_sgpr_count 2
		.amdhsa_user_sgpr_dispatch_ptr 0
		.amdhsa_user_sgpr_queue_ptr 0
		.amdhsa_user_sgpr_kernarg_segment_ptr 1
		.amdhsa_user_sgpr_dispatch_id 0
		.amdhsa_user_sgpr_kernarg_preload_length 0
		.amdhsa_user_sgpr_kernarg_preload_offset 0
		.amdhsa_user_sgpr_private_segment_size 0
		.amdhsa_uses_dynamic_stack 0
		.amdhsa_enable_private_segment 0
		.amdhsa_system_sgpr_workgroup_id_x 1
		.amdhsa_system_sgpr_workgroup_id_y 0
		.amdhsa_system_sgpr_workgroup_id_z 0
		.amdhsa_system_sgpr_workgroup_info 0
		.amdhsa_system_vgpr_workitem_id 0
		.amdhsa_next_free_vgpr 1
		.amdhsa_next_free_sgpr 0
		.amdhsa_accum_offset 4
		.amdhsa_reserve_vcc 0
		.amdhsa_float_round_mode_32 0
		.amdhsa_float_round_mode_16_64 0
		.amdhsa_float_denorm_mode_32 3
		.amdhsa_float_denorm_mode_16_64 3
		.amdhsa_dx10_clamp 1
		.amdhsa_ieee_mode 1
		.amdhsa_fp16_overflow 0
		.amdhsa_tg_split 0
		.amdhsa_exception_fp_ieee_invalid_op 0
		.amdhsa_exception_fp_denorm_src 0
		.amdhsa_exception_fp_ieee_div_zero 0
		.amdhsa_exception_fp_ieee_overflow 0
		.amdhsa_exception_fp_ieee_underflow 0
		.amdhsa_exception_fp_ieee_inexact 0
		.amdhsa_exception_int_div_zero 0
	.end_amdhsa_kernel
	.section	.text._ZN7rocprim17ROCPRIM_400000_NS6detail17trampoline_kernelINS0_14default_configENS1_25partition_config_selectorILNS1_17partition_subalgoE8ElNS0_10empty_typeEbEEZZNS1_14partition_implILS5_8ELb0ES3_jPlPS6_PKS6_NS0_5tupleIJS9_S6_EEENSD_IJSA_SA_EEENS0_18inequality_wrapperIZN2at6native12_GLOBAL__N_124unique_dim_cuda_templateIjEESt5tupleIJNSH_6TensorESM_SM_EERKSM_lbbbEUlllE0_EEPmJS6_EEE10hipError_tPvRmT3_T4_T5_T6_T7_T9_mT8_P12ihipStream_tbDpT10_ENKUlT_T0_E_clISt17integral_constantIbLb0EES1C_EEDaS17_S18_EUlS17_E_NS1_11comp_targetILNS1_3genE0ELNS1_11target_archE4294967295ELNS1_3gpuE0ELNS1_3repE0EEENS1_30default_config_static_selectorELNS0_4arch9wavefront6targetE1EEEvT1_,"axG",@progbits,_ZN7rocprim17ROCPRIM_400000_NS6detail17trampoline_kernelINS0_14default_configENS1_25partition_config_selectorILNS1_17partition_subalgoE8ElNS0_10empty_typeEbEEZZNS1_14partition_implILS5_8ELb0ES3_jPlPS6_PKS6_NS0_5tupleIJS9_S6_EEENSD_IJSA_SA_EEENS0_18inequality_wrapperIZN2at6native12_GLOBAL__N_124unique_dim_cuda_templateIjEESt5tupleIJNSH_6TensorESM_SM_EERKSM_lbbbEUlllE0_EEPmJS6_EEE10hipError_tPvRmT3_T4_T5_T6_T7_T9_mT8_P12ihipStream_tbDpT10_ENKUlT_T0_E_clISt17integral_constantIbLb0EES1C_EEDaS17_S18_EUlS17_E_NS1_11comp_targetILNS1_3genE0ELNS1_11target_archE4294967295ELNS1_3gpuE0ELNS1_3repE0EEENS1_30default_config_static_selectorELNS0_4arch9wavefront6targetE1EEEvT1_,comdat
.Lfunc_end1551:
	.size	_ZN7rocprim17ROCPRIM_400000_NS6detail17trampoline_kernelINS0_14default_configENS1_25partition_config_selectorILNS1_17partition_subalgoE8ElNS0_10empty_typeEbEEZZNS1_14partition_implILS5_8ELb0ES3_jPlPS6_PKS6_NS0_5tupleIJS9_S6_EEENSD_IJSA_SA_EEENS0_18inequality_wrapperIZN2at6native12_GLOBAL__N_124unique_dim_cuda_templateIjEESt5tupleIJNSH_6TensorESM_SM_EERKSM_lbbbEUlllE0_EEPmJS6_EEE10hipError_tPvRmT3_T4_T5_T6_T7_T9_mT8_P12ihipStream_tbDpT10_ENKUlT_T0_E_clISt17integral_constantIbLb0EES1C_EEDaS17_S18_EUlS17_E_NS1_11comp_targetILNS1_3genE0ELNS1_11target_archE4294967295ELNS1_3gpuE0ELNS1_3repE0EEENS1_30default_config_static_selectorELNS0_4arch9wavefront6targetE1EEEvT1_, .Lfunc_end1551-_ZN7rocprim17ROCPRIM_400000_NS6detail17trampoline_kernelINS0_14default_configENS1_25partition_config_selectorILNS1_17partition_subalgoE8ElNS0_10empty_typeEbEEZZNS1_14partition_implILS5_8ELb0ES3_jPlPS6_PKS6_NS0_5tupleIJS9_S6_EEENSD_IJSA_SA_EEENS0_18inequality_wrapperIZN2at6native12_GLOBAL__N_124unique_dim_cuda_templateIjEESt5tupleIJNSH_6TensorESM_SM_EERKSM_lbbbEUlllE0_EEPmJS6_EEE10hipError_tPvRmT3_T4_T5_T6_T7_T9_mT8_P12ihipStream_tbDpT10_ENKUlT_T0_E_clISt17integral_constantIbLb0EES1C_EEDaS17_S18_EUlS17_E_NS1_11comp_targetILNS1_3genE0ELNS1_11target_archE4294967295ELNS1_3gpuE0ELNS1_3repE0EEENS1_30default_config_static_selectorELNS0_4arch9wavefront6targetE1EEEvT1_
                                        ; -- End function
	.section	.AMDGPU.csdata,"",@progbits
; Kernel info:
; codeLenInByte = 0
; NumSgprs: 6
; NumVgprs: 0
; NumAgprs: 0
; TotalNumVgprs: 0
; ScratchSize: 0
; MemoryBound: 0
; FloatMode: 240
; IeeeMode: 1
; LDSByteSize: 0 bytes/workgroup (compile time only)
; SGPRBlocks: 0
; VGPRBlocks: 0
; NumSGPRsForWavesPerEU: 6
; NumVGPRsForWavesPerEU: 1
; AccumOffset: 4
; Occupancy: 8
; WaveLimiterHint : 0
; COMPUTE_PGM_RSRC2:SCRATCH_EN: 0
; COMPUTE_PGM_RSRC2:USER_SGPR: 2
; COMPUTE_PGM_RSRC2:TRAP_HANDLER: 0
; COMPUTE_PGM_RSRC2:TGID_X_EN: 1
; COMPUTE_PGM_RSRC2:TGID_Y_EN: 0
; COMPUTE_PGM_RSRC2:TGID_Z_EN: 0
; COMPUTE_PGM_RSRC2:TIDIG_COMP_CNT: 0
; COMPUTE_PGM_RSRC3_GFX90A:ACCUM_OFFSET: 0
; COMPUTE_PGM_RSRC3_GFX90A:TG_SPLIT: 0
	.section	.text._ZN7rocprim17ROCPRIM_400000_NS6detail17trampoline_kernelINS0_14default_configENS1_25partition_config_selectorILNS1_17partition_subalgoE8ElNS0_10empty_typeEbEEZZNS1_14partition_implILS5_8ELb0ES3_jPlPS6_PKS6_NS0_5tupleIJS9_S6_EEENSD_IJSA_SA_EEENS0_18inequality_wrapperIZN2at6native12_GLOBAL__N_124unique_dim_cuda_templateIjEESt5tupleIJNSH_6TensorESM_SM_EERKSM_lbbbEUlllE0_EEPmJS6_EEE10hipError_tPvRmT3_T4_T5_T6_T7_T9_mT8_P12ihipStream_tbDpT10_ENKUlT_T0_E_clISt17integral_constantIbLb0EES1C_EEDaS17_S18_EUlS17_E_NS1_11comp_targetILNS1_3genE5ELNS1_11target_archE942ELNS1_3gpuE9ELNS1_3repE0EEENS1_30default_config_static_selectorELNS0_4arch9wavefront6targetE1EEEvT1_,"axG",@progbits,_ZN7rocprim17ROCPRIM_400000_NS6detail17trampoline_kernelINS0_14default_configENS1_25partition_config_selectorILNS1_17partition_subalgoE8ElNS0_10empty_typeEbEEZZNS1_14partition_implILS5_8ELb0ES3_jPlPS6_PKS6_NS0_5tupleIJS9_S6_EEENSD_IJSA_SA_EEENS0_18inequality_wrapperIZN2at6native12_GLOBAL__N_124unique_dim_cuda_templateIjEESt5tupleIJNSH_6TensorESM_SM_EERKSM_lbbbEUlllE0_EEPmJS6_EEE10hipError_tPvRmT3_T4_T5_T6_T7_T9_mT8_P12ihipStream_tbDpT10_ENKUlT_T0_E_clISt17integral_constantIbLb0EES1C_EEDaS17_S18_EUlS17_E_NS1_11comp_targetILNS1_3genE5ELNS1_11target_archE942ELNS1_3gpuE9ELNS1_3repE0EEENS1_30default_config_static_selectorELNS0_4arch9wavefront6targetE1EEEvT1_,comdat
	.globl	_ZN7rocprim17ROCPRIM_400000_NS6detail17trampoline_kernelINS0_14default_configENS1_25partition_config_selectorILNS1_17partition_subalgoE8ElNS0_10empty_typeEbEEZZNS1_14partition_implILS5_8ELb0ES3_jPlPS6_PKS6_NS0_5tupleIJS9_S6_EEENSD_IJSA_SA_EEENS0_18inequality_wrapperIZN2at6native12_GLOBAL__N_124unique_dim_cuda_templateIjEESt5tupleIJNSH_6TensorESM_SM_EERKSM_lbbbEUlllE0_EEPmJS6_EEE10hipError_tPvRmT3_T4_T5_T6_T7_T9_mT8_P12ihipStream_tbDpT10_ENKUlT_T0_E_clISt17integral_constantIbLb0EES1C_EEDaS17_S18_EUlS17_E_NS1_11comp_targetILNS1_3genE5ELNS1_11target_archE942ELNS1_3gpuE9ELNS1_3repE0EEENS1_30default_config_static_selectorELNS0_4arch9wavefront6targetE1EEEvT1_ ; -- Begin function _ZN7rocprim17ROCPRIM_400000_NS6detail17trampoline_kernelINS0_14default_configENS1_25partition_config_selectorILNS1_17partition_subalgoE8ElNS0_10empty_typeEbEEZZNS1_14partition_implILS5_8ELb0ES3_jPlPS6_PKS6_NS0_5tupleIJS9_S6_EEENSD_IJSA_SA_EEENS0_18inequality_wrapperIZN2at6native12_GLOBAL__N_124unique_dim_cuda_templateIjEESt5tupleIJNSH_6TensorESM_SM_EERKSM_lbbbEUlllE0_EEPmJS6_EEE10hipError_tPvRmT3_T4_T5_T6_T7_T9_mT8_P12ihipStream_tbDpT10_ENKUlT_T0_E_clISt17integral_constantIbLb0EES1C_EEDaS17_S18_EUlS17_E_NS1_11comp_targetILNS1_3genE5ELNS1_11target_archE942ELNS1_3gpuE9ELNS1_3repE0EEENS1_30default_config_static_selectorELNS0_4arch9wavefront6targetE1EEEvT1_
	.p2align	8
	.type	_ZN7rocprim17ROCPRIM_400000_NS6detail17trampoline_kernelINS0_14default_configENS1_25partition_config_selectorILNS1_17partition_subalgoE8ElNS0_10empty_typeEbEEZZNS1_14partition_implILS5_8ELb0ES3_jPlPS6_PKS6_NS0_5tupleIJS9_S6_EEENSD_IJSA_SA_EEENS0_18inequality_wrapperIZN2at6native12_GLOBAL__N_124unique_dim_cuda_templateIjEESt5tupleIJNSH_6TensorESM_SM_EERKSM_lbbbEUlllE0_EEPmJS6_EEE10hipError_tPvRmT3_T4_T5_T6_T7_T9_mT8_P12ihipStream_tbDpT10_ENKUlT_T0_E_clISt17integral_constantIbLb0EES1C_EEDaS17_S18_EUlS17_E_NS1_11comp_targetILNS1_3genE5ELNS1_11target_archE942ELNS1_3gpuE9ELNS1_3repE0EEENS1_30default_config_static_selectorELNS0_4arch9wavefront6targetE1EEEvT1_,@function
_ZN7rocprim17ROCPRIM_400000_NS6detail17trampoline_kernelINS0_14default_configENS1_25partition_config_selectorILNS1_17partition_subalgoE8ElNS0_10empty_typeEbEEZZNS1_14partition_implILS5_8ELb0ES3_jPlPS6_PKS6_NS0_5tupleIJS9_S6_EEENSD_IJSA_SA_EEENS0_18inequality_wrapperIZN2at6native12_GLOBAL__N_124unique_dim_cuda_templateIjEESt5tupleIJNSH_6TensorESM_SM_EERKSM_lbbbEUlllE0_EEPmJS6_EEE10hipError_tPvRmT3_T4_T5_T6_T7_T9_mT8_P12ihipStream_tbDpT10_ENKUlT_T0_E_clISt17integral_constantIbLb0EES1C_EEDaS17_S18_EUlS17_E_NS1_11comp_targetILNS1_3genE5ELNS1_11target_archE942ELNS1_3gpuE9ELNS1_3repE0EEENS1_30default_config_static_selectorELNS0_4arch9wavefront6targetE1EEEvT1_: ; @_ZN7rocprim17ROCPRIM_400000_NS6detail17trampoline_kernelINS0_14default_configENS1_25partition_config_selectorILNS1_17partition_subalgoE8ElNS0_10empty_typeEbEEZZNS1_14partition_implILS5_8ELb0ES3_jPlPS6_PKS6_NS0_5tupleIJS9_S6_EEENSD_IJSA_SA_EEENS0_18inequality_wrapperIZN2at6native12_GLOBAL__N_124unique_dim_cuda_templateIjEESt5tupleIJNSH_6TensorESM_SM_EERKSM_lbbbEUlllE0_EEPmJS6_EEE10hipError_tPvRmT3_T4_T5_T6_T7_T9_mT8_P12ihipStream_tbDpT10_ENKUlT_T0_E_clISt17integral_constantIbLb0EES1C_EEDaS17_S18_EUlS17_E_NS1_11comp_targetILNS1_3genE5ELNS1_11target_archE942ELNS1_3gpuE9ELNS1_3repE0EEENS1_30default_config_static_selectorELNS0_4arch9wavefront6targetE1EEEvT1_
; %bb.0:
	s_load_dwordx8 s[20:27], s[0:1], 0x40
	s_load_dwordx4 s[4:7], s[0:1], 0x8
	s_load_dwordx4 s[28:31], s[0:1], 0x60
	s_load_dword s3, s[0:1], 0x70
	s_waitcnt lgkmcnt(0)
	v_mov_b32_e32 v2, s24
	s_lshl_b64 s[8:9], s[6:7], 3
	s_add_u32 s12, s4, s8
	s_mul_i32 s8, s3, 0xe00
	s_addc_u32 s13, s5, s9
	s_add_i32 s10, s3, -1
	s_add_i32 s3, s8, s6
	s_sub_i32 s3, s24, s3
	s_add_u32 s8, s6, s8
	s_addc_u32 s9, s7, 0
	v_mov_b32_e32 v3, s25
	s_cmp_eq_u32 s2, s10
	s_load_dwordx2 s[22:23], s[22:23], 0x0
	v_cmp_ge_u64_e32 vcc, s[8:9], v[2:3]
	s_cselect_b64 s[24:25], -1, 0
	s_mul_i32 s4, s2, 0xe00
	s_mov_b32 s5, 0
	s_and_b64 s[8:9], s[24:25], vcc
	s_xor_b64 s[34:35], s[8:9], -1
	s_lshl_b64 s[4:5], s[4:5], 3
	s_add_u32 s4, s12, s4
	s_mov_b64 s[10:11], -1
	s_addc_u32 s5, s13, s5
	s_and_b64 vcc, exec, s[34:35]
	s_cbranch_vccz .LBB1552_2
; %bb.1:
	v_lshlrev_b32_e32 v2, 3, v0
	v_mov_b32_e32 v3, 0
	v_lshl_add_u64 v[4:5], s[4:5], 0, v[2:3]
	v_add_co_u32_e32 v8, vcc, 0x1000, v4
	global_load_dwordx2 v[6:7], v2, s[4:5]
	s_nop 0
	v_addc_co_u32_e32 v9, vcc, 0, v5, vcc
	v_add_co_u32_e32 v10, vcc, 0x2000, v4
	s_mov_b64 s[10:11], 0
	s_nop 0
	v_addc_co_u32_e32 v11, vcc, 0, v5, vcc
	v_add_co_u32_e32 v12, vcc, 0x3000, v4
	s_nop 1
	v_addc_co_u32_e32 v13, vcc, 0, v5, vcc
	v_add_co_u32_e32 v14, vcc, 0x4000, v4
	s_nop 1
	v_addc_co_u32_e32 v15, vcc, 0, v5, vcc
	global_load_dwordx2 v[16:17], v[8:9], off
	global_load_dwordx2 v[18:19], v[10:11], off
	;; [unrolled: 1-line block ×4, first 2 shown]
	v_add_co_u32_e32 v8, vcc, 0x5000, v4
	s_nop 1
	v_addc_co_u32_e32 v9, vcc, 0, v5, vcc
	v_add_co_u32_e32 v4, vcc, 0x6000, v4
	global_load_dwordx2 v[8:9], v[8:9], off
	s_nop 0
	v_addc_co_u32_e32 v5, vcc, 0, v5, vcc
	global_load_dwordx2 v[4:5], v[4:5], off
	s_waitcnt vmcnt(5)
	ds_write2st64_b64 v2, v[6:7], v[16:17] offset1:8
	s_waitcnt vmcnt(3)
	ds_write2st64_b64 v2, v[18:19], v[20:21] offset0:16 offset1:24
	s_waitcnt vmcnt(1)
	ds_write2st64_b64 v2, v[22:23], v[8:9] offset0:32 offset1:40
	s_waitcnt vmcnt(0)
	ds_write_b64 v2, v[4:5] offset:24576
	s_waitcnt lgkmcnt(0)
	s_barrier
.LBB1552_2:
	s_andn2_b64 vcc, exec, s[10:11]
	s_addk_i32 s3, 0xe00
	s_cbranch_vccnz .LBB1552_18
; %bb.3:
	v_cmp_gt_u32_e32 vcc, s3, v0
                                        ; implicit-def: $vgpr2_vgpr3_vgpr4_vgpr5_vgpr6_vgpr7_vgpr8_vgpr9_vgpr10_vgpr11_vgpr12_vgpr13_vgpr14_vgpr15_vgpr16_vgpr17
	s_and_saveexec_b64 s[10:11], vcc
	s_cbranch_execz .LBB1552_5
; %bb.4:
	v_lshlrev_b32_e32 v1, 3, v0
	global_load_dwordx2 v[2:3], v1, s[4:5]
.LBB1552_5:
	s_or_b64 exec, exec, s[10:11]
	v_or_b32_e32 v1, 0x200, v0
	v_cmp_gt_u32_e32 vcc, s3, v1
	s_and_saveexec_b64 s[10:11], vcc
	s_cbranch_execz .LBB1552_7
; %bb.6:
	v_lshlrev_b32_e32 v1, 3, v1
	global_load_dwordx2 v[4:5], v1, s[4:5]
.LBB1552_7:
	s_or_b64 exec, exec, s[10:11]
	v_or_b32_e32 v1, 0x400, v0
	v_cmp_gt_u32_e32 vcc, s3, v1
	;; [unrolled: 9-line block ×6, first 2 shown]
	s_and_saveexec_b64 s[10:11], vcc
	s_cbranch_execz .LBB1552_17
; %bb.16:
	v_lshlrev_b32_e32 v1, 3, v1
	global_load_dwordx2 v[14:15], v1, s[4:5]
.LBB1552_17:
	s_or_b64 exec, exec, s[10:11]
	v_lshlrev_b32_e32 v1, 3, v0
	s_waitcnt vmcnt(0)
	ds_write2st64_b64 v1, v[2:3], v[4:5] offset1:8
	ds_write2st64_b64 v1, v[6:7], v[8:9] offset0:16 offset1:24
	ds_write2st64_b64 v1, v[10:11], v[12:13] offset0:32 offset1:40
	ds_write_b64 v1, v[14:15] offset:24576
	s_waitcnt lgkmcnt(0)
	s_barrier
.LBB1552_18:
	v_mul_u32_u24_e32 v1, 7, v0
	v_lshlrev_b32_e32 v30, 3, v1
	s_waitcnt lgkmcnt(0)
	ds_read2_b64 v[10:13], v30 offset1:1
	ds_read2_b64 v[6:9], v30 offset0:2 offset1:3
	ds_read2_b64 v[2:5], v30 offset0:4 offset1:5
	ds_read_b64 v[14:15], v30 offset:48
	s_cmp_lg_u32 s2, 0
	s_cselect_b64 s[16:17], -1, 0
	s_cmp_lg_u64 s[6:7], 0
	s_cselect_b64 s[6:7], -1, 0
	s_or_b64 s[6:7], s[16:17], s[6:7]
	v_mad_u32_u24 v25, v0, 7, 1
	v_mad_u32_u24 v24, v0, 7, 2
	;; [unrolled: 1-line block ×6, first 2 shown]
	s_mov_b64 s[10:11], 0
	s_and_b64 vcc, exec, s[6:7]
	v_cmp_gt_i64_e64 s[12:13], s[26:27], 0
	s_waitcnt lgkmcnt(0)
	s_barrier
	s_cbranch_vccz .LBB1552_27
; %bb.19:
	s_add_u32 s4, s4, -8
	s_addc_u32 s5, s5, -1
	s_load_dwordx2 s[6:7], s[4:5], 0x0
	v_cndmask_b32_e64 v16, 0, 1, s[12:13]
	v_lshlrev_b32_e32 v31, 3, v0
	s_and_b64 vcc, exec, s[34:35]
	v_cmp_ne_u32_e64 s[4:5], 1, v16
	ds_write_b64 v31, v[14:15]
	s_cbranch_vccz .LBB1552_29
; %bb.20:
	v_mul_lo_u32 v18, v5, s26
	v_mul_lo_u32 v19, v4, s27
	v_mad_u64_u32 v[16:17], s[12:13], v4, s26, 0
	v_add3_u32 v17, v17, v19, v18
	s_and_b64 vcc, exec, s[4:5]
	v_lshl_add_u64 v[16:17], v[16:17], 2, s[28:29]
	s_cbranch_vccnz .LBB1552_32
; %bb.21:
	v_mul_lo_u32 v20, v15, s26
	v_mul_lo_u32 v21, v14, s27
	v_mad_u64_u32 v[18:19], s[10:11], v14, s26, 0
	v_add3_u32 v19, v19, v21, v20
	v_lshl_add_u64 v[18:19], v[18:19], 2, s[28:29]
	global_load_dword v20, v[16:17], off
	global_load_dword v21, v[18:19], off
	s_mov_b64 s[10:11], -1
	s_waitcnt vmcnt(0)
	v_cmp_eq_u32_e32 vcc, v20, v21
	s_and_saveexec_b64 s[12:13], vcc
	s_cbranch_execz .LBB1552_31
; %bb.22:
	s_add_u32 s10, s26, -1
	v_lshl_add_u64 v[18:19], v[18:19], 0, 4
	v_lshl_add_u64 v[20:21], v[16:17], 0, 4
	s_addc_u32 s11, s27, -1
	s_mov_b64 s[14:15], 0
	s_mov_b64 s[36:37], 0
                                        ; implicit-def: $sgpr18_sgpr19
	s_branch .LBB1552_25
.LBB1552_23:                            ;   in Loop: Header=BB1552_25 Depth=1
	global_load_dword v22, v[20:21], off
	global_load_dword v23, v[18:19], off
	s_add_u32 s36, s36, 1
	s_addc_u32 s37, s37, 0
	s_andn2_b64 s[18:19], s[18:19], exec
	v_lshl_add_u64 v[18:19], v[18:19], 0, 4
	v_lshl_add_u64 v[20:21], v[20:21], 0, 4
	s_waitcnt vmcnt(0)
	v_cmp_ne_u32_e32 vcc, v22, v23
	s_and_b64 s[38:39], vcc, exec
	s_or_b64 s[18:19], s[18:19], s[38:39]
.LBB1552_24:                            ;   in Loop: Header=BB1552_25 Depth=1
	s_and_b64 s[38:39], exec, s[18:19]
	s_or_b64 s[14:15], s[38:39], s[14:15]
	v_mov_b64_e32 v[22:23], s[36:37]
	s_andn2_b64 exec, exec, s[14:15]
	s_cbranch_execz .LBB1552_30
.LBB1552_25:                            ; =>This Inner Loop Header: Depth=1
	s_or_b64 s[18:19], s[18:19], exec
	s_cmp_eq_u64 s[10:11], s[36:37]
	s_cbranch_scc0 .LBB1552_23
; %bb.26:                               ;   in Loop: Header=BB1552_25 Depth=1
                                        ; implicit-def: $vgpr18_vgpr19
                                        ; implicit-def: $vgpr20_vgpr21
	s_mov_b64 s[36:37], s[26:27]
	s_branch .LBB1552_24
.LBB1552_27:
                                        ; implicit-def: $sgpr18_sgpr19
                                        ; implicit-def: $vgpr34
                                        ; implicit-def: $vgpr33
                                        ; implicit-def: $vgpr32
                                        ; implicit-def: $vgpr20
	s_branch .LBB1552_170
.LBB1552_28:
                                        ; implicit-def: $vgpr16_vgpr17
	s_branch .LBB1552_318
.LBB1552_29:
                                        ; implicit-def: $sgpr18_sgpr19
                                        ; implicit-def: $vgpr34
                                        ; implicit-def: $vgpr33
                                        ; implicit-def: $vgpr32
                                        ; implicit-def: $vgpr20
	s_cbranch_execnz .LBB1552_89
	s_branch .LBB1552_169
.LBB1552_30:
	s_or_b64 exec, exec, s[14:15]
	v_cmp_gt_i64_e32 vcc, s[26:27], v[22:23]
	s_orn2_b64 s[10:11], vcc, exec
.LBB1552_31:
	s_or_b64 exec, exec, s[12:13]
.LBB1552_32:
	v_mul_lo_u32 v20, v3, s26
	v_mul_lo_u32 v21, v2, s27
	v_mad_u64_u32 v[18:19], s[12:13], v2, s26, 0
	v_add3_u32 v19, v19, v21, v20
	s_mov_b64 s[12:13], 0
	s_and_b64 vcc, exec, s[4:5]
	v_lshl_add_u64 v[18:19], v[18:19], 2, s[28:29]
	s_mov_b64 s[14:15], 0
	s_cbranch_vccnz .LBB1552_41
; %bb.33:
	global_load_dword v20, v[18:19], off
	global_load_dword v21, v[16:17], off
	s_mov_b64 s[14:15], -1
	s_waitcnt vmcnt(0)
	v_cmp_eq_u32_e32 vcc, v20, v21
	s_and_saveexec_b64 s[18:19], vcc
	s_cbranch_execz .LBB1552_40
; %bb.34:
	s_add_u32 s14, s26, -1
	v_lshl_add_u64 v[16:17], v[16:17], 0, 4
	v_lshl_add_u64 v[20:21], v[18:19], 0, 4
	s_addc_u32 s15, s27, -1
	s_mov_b64 s[36:37], 0
	s_mov_b64 s[40:41], 0
                                        ; implicit-def: $sgpr38_sgpr39
	s_branch .LBB1552_37
.LBB1552_35:                            ;   in Loop: Header=BB1552_37 Depth=1
	global_load_dword v22, v[20:21], off
	global_load_dword v23, v[16:17], off
	s_add_u32 s40, s40, 1
	s_addc_u32 s41, s41, 0
	s_andn2_b64 s[38:39], s[38:39], exec
	v_lshl_add_u64 v[16:17], v[16:17], 0, 4
	v_lshl_add_u64 v[20:21], v[20:21], 0, 4
	s_waitcnt vmcnt(0)
	v_cmp_ne_u32_e32 vcc, v22, v23
	s_and_b64 s[42:43], vcc, exec
	s_or_b64 s[38:39], s[38:39], s[42:43]
.LBB1552_36:                            ;   in Loop: Header=BB1552_37 Depth=1
	s_and_b64 s[42:43], exec, s[38:39]
	s_or_b64 s[36:37], s[42:43], s[36:37]
	v_mov_b64_e32 v[22:23], s[40:41]
	s_andn2_b64 exec, exec, s[36:37]
	s_cbranch_execz .LBB1552_39
.LBB1552_37:                            ; =>This Inner Loop Header: Depth=1
	s_or_b64 s[38:39], s[38:39], exec
	s_cmp_eq_u64 s[14:15], s[40:41]
	s_cbranch_scc0 .LBB1552_35
; %bb.38:                               ;   in Loop: Header=BB1552_37 Depth=1
                                        ; implicit-def: $vgpr16_vgpr17
                                        ; implicit-def: $vgpr20_vgpr21
	s_mov_b64 s[40:41], s[26:27]
	s_branch .LBB1552_36
.LBB1552_39:
	s_or_b64 exec, exec, s[36:37]
	v_cmp_gt_i64_e32 vcc, s[26:27], v[22:23]
	s_orn2_b64 s[14:15], vcc, exec
.LBB1552_40:
	s_or_b64 exec, exec, s[18:19]
.LBB1552_41:
	v_mul_lo_u32 v20, v9, s26
	v_mul_lo_u32 v21, v8, s27
	v_mad_u64_u32 v[16:17], s[18:19], v8, s26, 0
	v_add3_u32 v17, v17, v21, v20
	s_and_b64 vcc, exec, s[4:5]
	v_lshl_add_u64 v[16:17], v[16:17], 2, s[28:29]
	s_cbranch_vccnz .LBB1552_50
; %bb.42:
	global_load_dword v20, v[16:17], off
	global_load_dword v21, v[18:19], off
	s_mov_b64 s[12:13], -1
	s_waitcnt vmcnt(0)
	v_cmp_eq_u32_e32 vcc, v20, v21
	s_and_saveexec_b64 s[18:19], vcc
	s_cbranch_execz .LBB1552_49
; %bb.43:
	s_add_u32 s12, s26, -1
	v_lshl_add_u64 v[18:19], v[18:19], 0, 4
	v_lshl_add_u64 v[20:21], v[16:17], 0, 4
	s_addc_u32 s13, s27, -1
	s_mov_b64 s[36:37], 0
	s_mov_b64 s[40:41], 0
                                        ; implicit-def: $sgpr38_sgpr39
	s_branch .LBB1552_46
.LBB1552_44:                            ;   in Loop: Header=BB1552_46 Depth=1
	global_load_dword v22, v[20:21], off
	global_load_dword v23, v[18:19], off
	s_add_u32 s40, s40, 1
	s_addc_u32 s41, s41, 0
	s_andn2_b64 s[38:39], s[38:39], exec
	v_lshl_add_u64 v[18:19], v[18:19], 0, 4
	v_lshl_add_u64 v[20:21], v[20:21], 0, 4
	s_waitcnt vmcnt(0)
	v_cmp_ne_u32_e32 vcc, v22, v23
	s_and_b64 s[42:43], vcc, exec
	s_or_b64 s[38:39], s[38:39], s[42:43]
.LBB1552_45:                            ;   in Loop: Header=BB1552_46 Depth=1
	s_and_b64 s[42:43], exec, s[38:39]
	s_or_b64 s[36:37], s[42:43], s[36:37]
	v_mov_b64_e32 v[22:23], s[40:41]
	s_andn2_b64 exec, exec, s[36:37]
	s_cbranch_execz .LBB1552_48
.LBB1552_46:                            ; =>This Inner Loop Header: Depth=1
	s_or_b64 s[38:39], s[38:39], exec
	s_cmp_eq_u64 s[12:13], s[40:41]
	s_cbranch_scc0 .LBB1552_44
; %bb.47:                               ;   in Loop: Header=BB1552_46 Depth=1
                                        ; implicit-def: $vgpr18_vgpr19
                                        ; implicit-def: $vgpr20_vgpr21
	s_mov_b64 s[40:41], s[26:27]
	s_branch .LBB1552_45
.LBB1552_48:
	s_or_b64 exec, exec, s[36:37]
	v_cmp_gt_i64_e32 vcc, s[26:27], v[22:23]
	s_orn2_b64 s[12:13], vcc, exec
.LBB1552_49:
	s_or_b64 exec, exec, s[18:19]
.LBB1552_50:
	v_mul_lo_u32 v20, v7, s26
	v_mul_lo_u32 v21, v6, s27
	v_mad_u64_u32 v[18:19], s[18:19], v6, s26, 0
	v_add3_u32 v19, v19, v21, v20
	s_mov_b64 s[18:19], 0
	s_and_b64 vcc, exec, s[4:5]
	v_lshl_add_u64 v[20:21], v[18:19], 2, s[28:29]
	s_mov_b64 s[36:37], 0
	s_cbranch_vccnz .LBB1552_59
; %bb.51:
	global_load_dword v18, v[20:21], off
	global_load_dword v19, v[16:17], off
	s_mov_b64 s[36:37], -1
	s_waitcnt vmcnt(0)
	v_cmp_eq_u32_e32 vcc, v18, v19
	s_and_saveexec_b64 s[38:39], vcc
	s_cbranch_execz .LBB1552_58
; %bb.52:
	s_add_u32 s36, s26, -1
	v_lshl_add_u64 v[16:17], v[16:17], 0, 4
	v_lshl_add_u64 v[18:19], v[20:21], 0, 4
	s_addc_u32 s37, s27, -1
	s_mov_b64 s[40:41], 0
	s_mov_b64 s[44:45], 0
                                        ; implicit-def: $sgpr42_sgpr43
	s_branch .LBB1552_55
.LBB1552_53:                            ;   in Loop: Header=BB1552_55 Depth=1
	global_load_dword v22, v[18:19], off
	global_load_dword v23, v[16:17], off
	s_add_u32 s44, s44, 1
	s_addc_u32 s45, s45, 0
	s_andn2_b64 s[42:43], s[42:43], exec
	v_lshl_add_u64 v[16:17], v[16:17], 0, 4
	v_lshl_add_u64 v[18:19], v[18:19], 0, 4
	s_waitcnt vmcnt(0)
	v_cmp_ne_u32_e32 vcc, v22, v23
	s_and_b64 s[46:47], vcc, exec
	s_or_b64 s[42:43], s[42:43], s[46:47]
.LBB1552_54:                            ;   in Loop: Header=BB1552_55 Depth=1
	s_and_b64 s[46:47], exec, s[42:43]
	s_or_b64 s[40:41], s[46:47], s[40:41]
	v_mov_b64_e32 v[22:23], s[44:45]
	s_andn2_b64 exec, exec, s[40:41]
	s_cbranch_execz .LBB1552_57
.LBB1552_55:                            ; =>This Inner Loop Header: Depth=1
	s_or_b64 s[42:43], s[42:43], exec
	s_cmp_eq_u64 s[36:37], s[44:45]
	s_cbranch_scc0 .LBB1552_53
; %bb.56:                               ;   in Loop: Header=BB1552_55 Depth=1
                                        ; implicit-def: $vgpr16_vgpr17
                                        ; implicit-def: $vgpr18_vgpr19
	s_mov_b64 s[44:45], s[26:27]
	s_branch .LBB1552_54
.LBB1552_57:
	s_or_b64 exec, exec, s[40:41]
	v_cmp_gt_i64_e32 vcc, s[26:27], v[22:23]
	s_orn2_b64 s[36:37], vcc, exec
.LBB1552_58:
	s_or_b64 exec, exec, s[38:39]
.LBB1552_59:
	v_mul_lo_u32 v18, v13, s26
	v_mul_lo_u32 v19, v12, s27
	v_mad_u64_u32 v[16:17], s[38:39], v12, s26, 0
	v_add3_u32 v17, v17, v19, v18
	s_and_b64 vcc, exec, s[4:5]
	v_lshl_add_u64 v[18:19], v[16:17], 2, s[28:29]
	s_cbranch_vccnz .LBB1552_68
; %bb.60:
	global_load_dword v16, v[18:19], off
	global_load_dword v17, v[20:21], off
	s_mov_b64 s[18:19], -1
	s_waitcnt vmcnt(0)
	v_cmp_eq_u32_e32 vcc, v16, v17
	s_and_saveexec_b64 s[38:39], vcc
	s_cbranch_execz .LBB1552_67
; %bb.61:
	s_add_u32 s18, s26, -1
	v_lshl_add_u64 v[16:17], v[20:21], 0, 4
	v_lshl_add_u64 v[20:21], v[18:19], 0, 4
	s_addc_u32 s19, s27, -1
	s_mov_b64 s[40:41], 0
	s_mov_b64 s[44:45], 0
                                        ; implicit-def: $sgpr42_sgpr43
	s_branch .LBB1552_64
.LBB1552_62:                            ;   in Loop: Header=BB1552_64 Depth=1
	global_load_dword v22, v[20:21], off
	global_load_dword v23, v[16:17], off
	s_add_u32 s44, s44, 1
	s_addc_u32 s45, s45, 0
	s_andn2_b64 s[42:43], s[42:43], exec
	v_lshl_add_u64 v[16:17], v[16:17], 0, 4
	v_lshl_add_u64 v[20:21], v[20:21], 0, 4
	s_waitcnt vmcnt(0)
	v_cmp_ne_u32_e32 vcc, v22, v23
	s_and_b64 s[46:47], vcc, exec
	s_or_b64 s[42:43], s[42:43], s[46:47]
.LBB1552_63:                            ;   in Loop: Header=BB1552_64 Depth=1
	s_and_b64 s[46:47], exec, s[42:43]
	s_or_b64 s[40:41], s[46:47], s[40:41]
	v_mov_b64_e32 v[22:23], s[44:45]
	s_andn2_b64 exec, exec, s[40:41]
	s_cbranch_execz .LBB1552_66
.LBB1552_64:                            ; =>This Inner Loop Header: Depth=1
	s_or_b64 s[42:43], s[42:43], exec
	s_cmp_eq_u64 s[18:19], s[44:45]
	s_cbranch_scc0 .LBB1552_62
; %bb.65:                               ;   in Loop: Header=BB1552_64 Depth=1
                                        ; implicit-def: $vgpr16_vgpr17
                                        ; implicit-def: $vgpr20_vgpr21
	s_mov_b64 s[44:45], s[26:27]
	s_branch .LBB1552_63
.LBB1552_66:
	s_or_b64 exec, exec, s[40:41]
	v_cmp_gt_i64_e32 vcc, s[26:27], v[22:23]
	s_orn2_b64 s[18:19], vcc, exec
.LBB1552_67:
	s_or_b64 exec, exec, s[38:39]
.LBB1552_68:
	v_mul_lo_u32 v20, v11, s26
	v_mul_lo_u32 v21, v10, s27
	v_mad_u64_u32 v[16:17], s[38:39], v10, s26, 0
	v_add3_u32 v17, v17, v21, v20
	s_mov_b64 s[40:41], 0
	s_and_b64 vcc, exec, s[4:5]
	v_lshl_add_u64 v[16:17], v[16:17], 2, s[28:29]
	s_cbranch_vccnz .LBB1552_77
; %bb.69:
	global_load_dword v20, v[16:17], off
	global_load_dword v21, v[18:19], off
	s_mov_b64 s[40:41], -1
	s_waitcnt vmcnt(0)
	v_cmp_eq_u32_e32 vcc, v20, v21
	s_and_saveexec_b64 s[38:39], vcc
	s_cbranch_execz .LBB1552_76
; %bb.70:
	s_add_u32 s40, s26, -1
	v_lshl_add_u64 v[18:19], v[18:19], 0, 4
	v_lshl_add_u64 v[20:21], v[16:17], 0, 4
	s_addc_u32 s41, s27, -1
	s_mov_b64 s[42:43], 0
	s_mov_b64 s[46:47], 0
                                        ; implicit-def: $sgpr44_sgpr45
	s_branch .LBB1552_73
.LBB1552_71:                            ;   in Loop: Header=BB1552_73 Depth=1
	global_load_dword v22, v[20:21], off
	global_load_dword v23, v[18:19], off
	s_add_u32 s46, s46, 1
	s_addc_u32 s47, s47, 0
	s_andn2_b64 s[44:45], s[44:45], exec
	v_lshl_add_u64 v[18:19], v[18:19], 0, 4
	v_lshl_add_u64 v[20:21], v[20:21], 0, 4
	s_waitcnt vmcnt(0)
	v_cmp_ne_u32_e32 vcc, v22, v23
	s_and_b64 s[48:49], vcc, exec
	s_or_b64 s[44:45], s[44:45], s[48:49]
.LBB1552_72:                            ;   in Loop: Header=BB1552_73 Depth=1
	s_and_b64 s[48:49], exec, s[44:45]
	s_or_b64 s[42:43], s[48:49], s[42:43]
	v_mov_b64_e32 v[22:23], s[46:47]
	s_andn2_b64 exec, exec, s[42:43]
	s_cbranch_execz .LBB1552_75
.LBB1552_73:                            ; =>This Inner Loop Header: Depth=1
	s_or_b64 s[44:45], s[44:45], exec
	s_cmp_eq_u64 s[40:41], s[46:47]
	s_cbranch_scc0 .LBB1552_71
; %bb.74:                               ;   in Loop: Header=BB1552_73 Depth=1
                                        ; implicit-def: $vgpr18_vgpr19
                                        ; implicit-def: $vgpr20_vgpr21
	s_mov_b64 s[46:47], s[26:27]
	s_branch .LBB1552_72
.LBB1552_75:
	s_or_b64 exec, exec, s[42:43]
	v_cmp_gt_i64_e32 vcc, s[26:27], v[22:23]
	s_orn2_b64 s[40:41], vcc, exec
.LBB1552_76:
	s_or_b64 exec, exec, s[38:39]
.LBB1552_77:
	v_cmp_ne_u32_e32 vcc, 0, v0
	s_waitcnt lgkmcnt(0)
	v_mov_b64_e32 v[18:19], s[6:7]
	s_barrier
	s_and_saveexec_b64 s[38:39], vcc
	s_cbranch_execz .LBB1552_79
; %bb.78:
	v_add_u32_e32 v18, -8, v31
	ds_read_b64 v[18:19], v18
.LBB1552_79:
	s_or_b64 exec, exec, s[38:39]
	v_cndmask_b32_e64 v21, 0, 1, s[36:37]
	v_cndmask_b32_e64 v20, 0, 1, s[18:19]
	;; [unrolled: 1-line block ×3, first 2 shown]
	v_lshlrev_b16_e32 v21, 8, v21
	v_lshlrev_b16_e32 v22, 8, v22
	v_or_b32_sdwa v23, v20, v21 dst_sel:WORD_1 dst_unused:UNUSED_PAD src0_sel:DWORD src1_sel:DWORD
	s_mov_b64 s[36:37], 0
	s_and_b64 vcc, exec, s[4:5]
	s_mov_b64 s[18:19], 0
	s_cbranch_vccnz .LBB1552_88
; %bb.80:
	s_waitcnt lgkmcnt(0)
	v_mul_lo_u32 v20, v19, s26
	v_mul_lo_u32 v21, v18, s27
	v_mad_u64_u32 v[18:19], s[18:19], v18, s26, 0
	v_add3_u32 v19, v19, v21, v20
	v_lshl_add_u64 v[18:19], v[18:19], 2, s[28:29]
	global_load_dword v20, v[18:19], off
	global_load_dword v21, v[16:17], off
	s_mov_b64 s[18:19], -1
	s_waitcnt vmcnt(0)
	v_cmp_eq_u32_e32 vcc, v20, v21
	s_and_saveexec_b64 s[38:39], vcc
	s_cbranch_execz .LBB1552_87
; %bb.81:
	s_add_u32 s18, s26, -1
	v_lshl_add_u64 v[16:17], v[16:17], 0, 4
	v_lshl_add_u64 v[18:19], v[18:19], 0, 4
	s_addc_u32 s19, s27, -1
	s_mov_b64 s[40:41], 0
	s_mov_b64 s[44:45], 0
                                        ; implicit-def: $sgpr42_sgpr43
	s_branch .LBB1552_84
.LBB1552_82:                            ;   in Loop: Header=BB1552_84 Depth=1
	global_load_dword v20, v[18:19], off
	global_load_dword v21, v[16:17], off
	s_add_u32 s44, s44, 1
	s_addc_u32 s45, s45, 0
	s_andn2_b64 s[42:43], s[42:43], exec
	v_lshl_add_u64 v[16:17], v[16:17], 0, 4
	v_lshl_add_u64 v[18:19], v[18:19], 0, 4
	s_waitcnt vmcnt(0)
	v_cmp_ne_u32_e32 vcc, v20, v21
	s_and_b64 s[46:47], vcc, exec
	s_or_b64 s[42:43], s[42:43], s[46:47]
.LBB1552_83:                            ;   in Loop: Header=BB1552_84 Depth=1
	s_and_b64 s[46:47], exec, s[42:43]
	s_or_b64 s[40:41], s[46:47], s[40:41]
	v_mov_b64_e32 v[20:21], s[44:45]
	s_andn2_b64 exec, exec, s[40:41]
	s_cbranch_execz .LBB1552_86
.LBB1552_84:                            ; =>This Inner Loop Header: Depth=1
	s_or_b64 s[42:43], s[42:43], exec
	s_cmp_eq_u64 s[18:19], s[44:45]
	s_cbranch_scc0 .LBB1552_82
; %bb.85:                               ;   in Loop: Header=BB1552_84 Depth=1
                                        ; implicit-def: $vgpr16_vgpr17
                                        ; implicit-def: $vgpr18_vgpr19
	s_mov_b64 s[44:45], s[26:27]
	s_branch .LBB1552_83
.LBB1552_86:
	s_or_b64 exec, exec, s[40:41]
	v_cmp_gt_i64_e32 vcc, s[26:27], v[20:21]
	s_orn2_b64 s[18:19], vcc, exec
.LBB1552_87:
	s_or_b64 exec, exec, s[38:39]
.LBB1552_88:
	v_cndmask_b32_e64 v32, 0, 1, s[12:13]
	v_cndmask_b32_e64 v33, 0, 1, s[14:15]
	;; [unrolled: 1-line block ×3, first 2 shown]
	v_or_b32_e32 v20, v22, v23
	s_and_b64 vcc, exec, s[36:37]
	s_cbranch_vccz .LBB1552_169
.LBB1552_89:
	v_cmp_gt_u32_e32 vcc, s3, v27
	s_mov_b64 s[12:13], 0
	s_mov_b64 s[10:11], 0
	s_and_saveexec_b64 s[14:15], vcc
	s_cbranch_execz .LBB1552_100
; %bb.90:
	s_and_b64 vcc, exec, s[4:5]
	s_mov_b64 s[18:19], 0
	s_cbranch_vccnz .LBB1552_99
; %bb.91:
	s_waitcnt lgkmcnt(0)
	v_mul_lo_u32 v18, v5, s26
	v_mul_lo_u32 v19, v4, s27
	v_mad_u64_u32 v[16:17], s[10:11], v4, s26, 0
	v_add3_u32 v17, v17, v19, v18
	v_mul_lo_u32 v18, v15, s26
	v_mul_lo_u32 v19, v14, s27
	v_mad_u64_u32 v[20:21], s[10:11], v14, s26, 0
	v_add3_u32 v21, v21, v19, v18
	v_lshl_add_u64 v[18:19], v[16:17], 2, s[28:29]
	v_lshl_add_u64 v[16:17], v[20:21], 2, s[28:29]
	global_load_dword v20, v[18:19], off
	global_load_dword v21, v[16:17], off
	s_mov_b64 s[18:19], -1
	s_waitcnt vmcnt(0)
	v_cmp_eq_u32_e32 vcc, v20, v21
	s_and_saveexec_b64 s[10:11], vcc
	s_cbranch_execz .LBB1552_98
; %bb.92:
	s_add_u32 s18, s26, -1
	v_lshl_add_u64 v[16:17], v[16:17], 0, 4
	v_lshl_add_u64 v[18:19], v[18:19], 0, 4
	s_addc_u32 s19, s27, -1
	s_mov_b64 s[36:37], 0
	s_mov_b64 s[40:41], 0
                                        ; implicit-def: $sgpr38_sgpr39
	s_branch .LBB1552_95
.LBB1552_93:                            ;   in Loop: Header=BB1552_95 Depth=1
	global_load_dword v20, v[18:19], off
	global_load_dword v21, v[16:17], off
	s_add_u32 s40, s40, 1
	s_addc_u32 s41, s41, 0
	s_andn2_b64 s[38:39], s[38:39], exec
	v_lshl_add_u64 v[16:17], v[16:17], 0, 4
	v_lshl_add_u64 v[18:19], v[18:19], 0, 4
	s_waitcnt vmcnt(0)
	v_cmp_ne_u32_e32 vcc, v20, v21
	s_and_b64 s[42:43], vcc, exec
	s_or_b64 s[38:39], s[38:39], s[42:43]
.LBB1552_94:                            ;   in Loop: Header=BB1552_95 Depth=1
	s_and_b64 s[42:43], exec, s[38:39]
	s_or_b64 s[36:37], s[42:43], s[36:37]
	v_mov_b64_e32 v[20:21], s[40:41]
	s_andn2_b64 exec, exec, s[36:37]
	s_cbranch_execz .LBB1552_97
.LBB1552_95:                            ; =>This Inner Loop Header: Depth=1
	s_or_b64 s[38:39], s[38:39], exec
	s_cmp_eq_u64 s[18:19], s[40:41]
	s_cbranch_scc0 .LBB1552_93
; %bb.96:                               ;   in Loop: Header=BB1552_95 Depth=1
                                        ; implicit-def: $vgpr16_vgpr17
                                        ; implicit-def: $vgpr18_vgpr19
	s_mov_b64 s[40:41], s[26:27]
	s_branch .LBB1552_94
.LBB1552_97:
	s_or_b64 exec, exec, s[36:37]
	v_cmp_gt_i64_e32 vcc, s[26:27], v[20:21]
	s_orn2_b64 s[18:19], vcc, exec
.LBB1552_98:
	s_or_b64 exec, exec, s[10:11]
.LBB1552_99:
	s_and_b64 s[10:11], s[18:19], exec
.LBB1552_100:
	s_or_b64 exec, exec, s[14:15]
	v_cmp_gt_u32_e32 vcc, s3, v29
	s_and_saveexec_b64 s[14:15], vcc
	s_cbranch_execz .LBB1552_111
; %bb.101:
	s_and_b64 vcc, exec, s[4:5]
	s_mov_b64 s[18:19], 0
	s_cbranch_vccnz .LBB1552_110
; %bb.102:
	s_waitcnt lgkmcnt(0)
	v_mul_lo_u32 v18, v3, s26
	v_mul_lo_u32 v19, v2, s27
	v_mad_u64_u32 v[16:17], s[12:13], v2, s26, 0
	v_add3_u32 v17, v17, v19, v18
	v_mul_lo_u32 v18, v5, s26
	v_mul_lo_u32 v19, v4, s27
	v_mad_u64_u32 v[20:21], s[12:13], v4, s26, 0
	v_add3_u32 v21, v21, v19, v18
	v_lshl_add_u64 v[18:19], v[16:17], 2, s[28:29]
	v_lshl_add_u64 v[16:17], v[20:21], 2, s[28:29]
	global_load_dword v20, v[18:19], off
	global_load_dword v21, v[16:17], off
	s_mov_b64 s[18:19], -1
	s_waitcnt vmcnt(0)
	v_cmp_eq_u32_e32 vcc, v20, v21
	s_and_saveexec_b64 s[12:13], vcc
	s_cbranch_execz .LBB1552_109
; %bb.103:
	s_add_u32 s18, s26, -1
	v_lshl_add_u64 v[16:17], v[16:17], 0, 4
	v_lshl_add_u64 v[18:19], v[18:19], 0, 4
	s_addc_u32 s19, s27, -1
	s_mov_b64 s[36:37], 0
	s_mov_b64 s[40:41], 0
                                        ; implicit-def: $sgpr38_sgpr39
	s_branch .LBB1552_106
.LBB1552_104:                           ;   in Loop: Header=BB1552_106 Depth=1
	global_load_dword v20, v[18:19], off
	global_load_dword v21, v[16:17], off
	s_add_u32 s40, s40, 1
	s_addc_u32 s41, s41, 0
	s_andn2_b64 s[38:39], s[38:39], exec
	v_lshl_add_u64 v[16:17], v[16:17], 0, 4
	v_lshl_add_u64 v[18:19], v[18:19], 0, 4
	s_waitcnt vmcnt(0)
	v_cmp_ne_u32_e32 vcc, v20, v21
	s_and_b64 s[42:43], vcc, exec
	s_or_b64 s[38:39], s[38:39], s[42:43]
.LBB1552_105:                           ;   in Loop: Header=BB1552_106 Depth=1
	s_and_b64 s[42:43], exec, s[38:39]
	s_or_b64 s[36:37], s[42:43], s[36:37]
	v_mov_b64_e32 v[20:21], s[40:41]
	s_andn2_b64 exec, exec, s[36:37]
	s_cbranch_execz .LBB1552_108
.LBB1552_106:                           ; =>This Inner Loop Header: Depth=1
	s_or_b64 s[38:39], s[38:39], exec
	s_cmp_eq_u64 s[18:19], s[40:41]
	s_cbranch_scc0 .LBB1552_104
; %bb.107:                              ;   in Loop: Header=BB1552_106 Depth=1
                                        ; implicit-def: $vgpr16_vgpr17
                                        ; implicit-def: $vgpr18_vgpr19
	s_mov_b64 s[40:41], s[26:27]
	s_branch .LBB1552_105
.LBB1552_108:
	s_or_b64 exec, exec, s[36:37]
	v_cmp_gt_i64_e32 vcc, s[26:27], v[20:21]
	s_orn2_b64 s[18:19], vcc, exec
.LBB1552_109:
	s_or_b64 exec, exec, s[12:13]
.LBB1552_110:
	s_and_b64 s[12:13], s[18:19], exec
.LBB1552_111:
	s_or_b64 exec, exec, s[14:15]
	v_cmp_gt_u32_e32 vcc, s3, v26
	s_mov_b64 s[18:19], 0
	s_mov_b64 s[14:15], 0
	s_and_saveexec_b64 s[36:37], vcc
	s_cbranch_execz .LBB1552_122
; %bb.112:
	s_and_b64 vcc, exec, s[4:5]
	s_mov_b64 s[38:39], 0
	s_cbranch_vccnz .LBB1552_121
; %bb.113:
	s_waitcnt lgkmcnt(0)
	v_mul_lo_u32 v18, v9, s26
	v_mul_lo_u32 v19, v8, s27
	v_mad_u64_u32 v[16:17], s[14:15], v8, s26, 0
	v_add3_u32 v17, v17, v19, v18
	v_mul_lo_u32 v18, v3, s26
	v_mul_lo_u32 v19, v2, s27
	v_mad_u64_u32 v[20:21], s[14:15], v2, s26, 0
	v_add3_u32 v21, v21, v19, v18
	v_lshl_add_u64 v[18:19], v[16:17], 2, s[28:29]
	v_lshl_add_u64 v[16:17], v[20:21], 2, s[28:29]
	global_load_dword v20, v[18:19], off
	global_load_dword v21, v[16:17], off
	s_mov_b64 s[38:39], -1
	s_waitcnt vmcnt(0)
	v_cmp_eq_u32_e32 vcc, v20, v21
	s_and_saveexec_b64 s[14:15], vcc
	s_cbranch_execz .LBB1552_120
; %bb.114:
	s_add_u32 s38, s26, -1
	v_lshl_add_u64 v[16:17], v[16:17], 0, 4
	v_lshl_add_u64 v[18:19], v[18:19], 0, 4
	s_addc_u32 s39, s27, -1
	s_mov_b64 s[40:41], 0
	s_mov_b64 s[44:45], 0
                                        ; implicit-def: $sgpr42_sgpr43
	s_branch .LBB1552_117
.LBB1552_115:                           ;   in Loop: Header=BB1552_117 Depth=1
	global_load_dword v20, v[18:19], off
	global_load_dword v21, v[16:17], off
	s_add_u32 s44, s44, 1
	s_addc_u32 s45, s45, 0
	s_andn2_b64 s[42:43], s[42:43], exec
	v_lshl_add_u64 v[16:17], v[16:17], 0, 4
	v_lshl_add_u64 v[18:19], v[18:19], 0, 4
	s_waitcnt vmcnt(0)
	v_cmp_ne_u32_e32 vcc, v20, v21
	s_and_b64 s[46:47], vcc, exec
	s_or_b64 s[42:43], s[42:43], s[46:47]
.LBB1552_116:                           ;   in Loop: Header=BB1552_117 Depth=1
	s_and_b64 s[46:47], exec, s[42:43]
	s_or_b64 s[40:41], s[46:47], s[40:41]
	v_mov_b64_e32 v[20:21], s[44:45]
	s_andn2_b64 exec, exec, s[40:41]
	s_cbranch_execz .LBB1552_119
.LBB1552_117:                           ; =>This Inner Loop Header: Depth=1
	s_or_b64 s[42:43], s[42:43], exec
	s_cmp_eq_u64 s[38:39], s[44:45]
	s_cbranch_scc0 .LBB1552_115
; %bb.118:                              ;   in Loop: Header=BB1552_117 Depth=1
                                        ; implicit-def: $vgpr16_vgpr17
                                        ; implicit-def: $vgpr18_vgpr19
	s_mov_b64 s[44:45], s[26:27]
	s_branch .LBB1552_116
.LBB1552_119:
	s_or_b64 exec, exec, s[40:41]
	v_cmp_gt_i64_e32 vcc, s[26:27], v[20:21]
	s_orn2_b64 s[38:39], vcc, exec
.LBB1552_120:
	s_or_b64 exec, exec, s[14:15]
.LBB1552_121:
	s_and_b64 s[14:15], s[38:39], exec
.LBB1552_122:
	s_or_b64 exec, exec, s[36:37]
	v_cmp_gt_u32_e32 vcc, s3, v28
	s_and_saveexec_b64 s[36:37], vcc
	s_cbranch_execz .LBB1552_133
; %bb.123:
	s_and_b64 vcc, exec, s[4:5]
	s_mov_b64 s[38:39], 0
	s_cbranch_vccnz .LBB1552_132
; %bb.124:
	s_waitcnt lgkmcnt(0)
	v_mul_lo_u32 v18, v7, s26
	v_mul_lo_u32 v19, v6, s27
	v_mad_u64_u32 v[16:17], s[18:19], v6, s26, 0
	v_add3_u32 v17, v17, v19, v18
	v_mul_lo_u32 v18, v9, s26
	v_mul_lo_u32 v19, v8, s27
	v_mad_u64_u32 v[20:21], s[18:19], v8, s26, 0
	v_add3_u32 v21, v21, v19, v18
	v_lshl_add_u64 v[18:19], v[16:17], 2, s[28:29]
	v_lshl_add_u64 v[16:17], v[20:21], 2, s[28:29]
	global_load_dword v20, v[18:19], off
	global_load_dword v21, v[16:17], off
	s_mov_b64 s[38:39], -1
	s_waitcnt vmcnt(0)
	v_cmp_eq_u32_e32 vcc, v20, v21
	s_and_saveexec_b64 s[18:19], vcc
	s_cbranch_execz .LBB1552_131
; %bb.125:
	s_add_u32 s38, s26, -1
	v_lshl_add_u64 v[16:17], v[16:17], 0, 4
	v_lshl_add_u64 v[18:19], v[18:19], 0, 4
	s_addc_u32 s39, s27, -1
	s_mov_b64 s[40:41], 0
	s_mov_b64 s[44:45], 0
                                        ; implicit-def: $sgpr42_sgpr43
	s_branch .LBB1552_128
.LBB1552_126:                           ;   in Loop: Header=BB1552_128 Depth=1
	global_load_dword v20, v[18:19], off
	global_load_dword v21, v[16:17], off
	s_add_u32 s44, s44, 1
	s_addc_u32 s45, s45, 0
	s_andn2_b64 s[42:43], s[42:43], exec
	v_lshl_add_u64 v[16:17], v[16:17], 0, 4
	v_lshl_add_u64 v[18:19], v[18:19], 0, 4
	s_waitcnt vmcnt(0)
	v_cmp_ne_u32_e32 vcc, v20, v21
	s_and_b64 s[46:47], vcc, exec
	s_or_b64 s[42:43], s[42:43], s[46:47]
.LBB1552_127:                           ;   in Loop: Header=BB1552_128 Depth=1
	s_and_b64 s[46:47], exec, s[42:43]
	s_or_b64 s[40:41], s[46:47], s[40:41]
	v_mov_b64_e32 v[20:21], s[44:45]
	s_andn2_b64 exec, exec, s[40:41]
	s_cbranch_execz .LBB1552_130
.LBB1552_128:                           ; =>This Inner Loop Header: Depth=1
	s_or_b64 s[42:43], s[42:43], exec
	s_cmp_eq_u64 s[38:39], s[44:45]
	s_cbranch_scc0 .LBB1552_126
; %bb.129:                              ;   in Loop: Header=BB1552_128 Depth=1
                                        ; implicit-def: $vgpr16_vgpr17
                                        ; implicit-def: $vgpr18_vgpr19
	s_mov_b64 s[44:45], s[26:27]
	s_branch .LBB1552_127
.LBB1552_130:
	s_or_b64 exec, exec, s[40:41]
	v_cmp_gt_i64_e32 vcc, s[26:27], v[20:21]
	s_orn2_b64 s[38:39], vcc, exec
.LBB1552_131:
	s_or_b64 exec, exec, s[18:19]
.LBB1552_132:
	s_and_b64 s[18:19], s[38:39], exec
.LBB1552_133:
	s_or_b64 exec, exec, s[36:37]
	v_cmp_gt_u32_e32 vcc, s3, v24
	s_mov_b64 s[36:37], 0
	s_mov_b64 s[38:39], 0
	s_and_saveexec_b64 s[40:41], vcc
	s_cbranch_execz .LBB1552_144
; %bb.134:
	s_and_b64 vcc, exec, s[4:5]
	s_mov_b64 s[42:43], 0
	s_cbranch_vccnz .LBB1552_143
; %bb.135:
	s_waitcnt lgkmcnt(0)
	v_mul_lo_u32 v18, v13, s26
	v_mul_lo_u32 v19, v12, s27
	v_mad_u64_u32 v[16:17], s[38:39], v12, s26, 0
	v_add3_u32 v17, v17, v19, v18
	v_mul_lo_u32 v18, v7, s26
	v_mul_lo_u32 v19, v6, s27
	v_mad_u64_u32 v[20:21], s[38:39], v6, s26, 0
	v_add3_u32 v21, v21, v19, v18
	v_lshl_add_u64 v[18:19], v[16:17], 2, s[28:29]
	v_lshl_add_u64 v[16:17], v[20:21], 2, s[28:29]
	global_load_dword v20, v[18:19], off
	global_load_dword v21, v[16:17], off
	s_mov_b64 s[42:43], -1
	s_waitcnt vmcnt(0)
	v_cmp_eq_u32_e32 vcc, v20, v21
	s_and_saveexec_b64 s[38:39], vcc
	s_cbranch_execz .LBB1552_142
; %bb.136:
	s_add_u32 s42, s26, -1
	v_lshl_add_u64 v[16:17], v[16:17], 0, 4
	v_lshl_add_u64 v[18:19], v[18:19], 0, 4
	s_addc_u32 s43, s27, -1
	s_mov_b64 s[44:45], 0
	s_mov_b64 s[48:49], 0
                                        ; implicit-def: $sgpr46_sgpr47
	s_branch .LBB1552_139
.LBB1552_137:                           ;   in Loop: Header=BB1552_139 Depth=1
	global_load_dword v20, v[18:19], off
	global_load_dword v21, v[16:17], off
	s_add_u32 s48, s48, 1
	s_addc_u32 s49, s49, 0
	s_andn2_b64 s[46:47], s[46:47], exec
	v_lshl_add_u64 v[16:17], v[16:17], 0, 4
	v_lshl_add_u64 v[18:19], v[18:19], 0, 4
	s_waitcnt vmcnt(0)
	v_cmp_ne_u32_e32 vcc, v20, v21
	s_and_b64 s[50:51], vcc, exec
	s_or_b64 s[46:47], s[46:47], s[50:51]
.LBB1552_138:                           ;   in Loop: Header=BB1552_139 Depth=1
	s_and_b64 s[50:51], exec, s[46:47]
	s_or_b64 s[44:45], s[50:51], s[44:45]
	v_mov_b64_e32 v[20:21], s[48:49]
	s_andn2_b64 exec, exec, s[44:45]
	s_cbranch_execz .LBB1552_141
.LBB1552_139:                           ; =>This Inner Loop Header: Depth=1
	s_or_b64 s[46:47], s[46:47], exec
	s_cmp_eq_u64 s[42:43], s[48:49]
	s_cbranch_scc0 .LBB1552_137
; %bb.140:                              ;   in Loop: Header=BB1552_139 Depth=1
                                        ; implicit-def: $vgpr16_vgpr17
                                        ; implicit-def: $vgpr18_vgpr19
	s_mov_b64 s[48:49], s[26:27]
	s_branch .LBB1552_138
.LBB1552_141:
	s_or_b64 exec, exec, s[44:45]
	v_cmp_gt_i64_e32 vcc, s[26:27], v[20:21]
	s_orn2_b64 s[42:43], vcc, exec
.LBB1552_142:
	s_or_b64 exec, exec, s[38:39]
.LBB1552_143:
	s_and_b64 s[38:39], s[42:43], exec
.LBB1552_144:
	s_or_b64 exec, exec, s[40:41]
	v_cmp_gt_u32_e32 vcc, s3, v25
	s_and_saveexec_b64 s[40:41], vcc
	s_cbranch_execz .LBB1552_155
; %bb.145:
	s_and_b64 vcc, exec, s[4:5]
	s_mov_b64 s[42:43], 0
	s_cbranch_vccnz .LBB1552_154
; %bb.146:
	s_waitcnt lgkmcnt(0)
	v_mul_lo_u32 v18, v11, s26
	v_mul_lo_u32 v19, v10, s27
	v_mad_u64_u32 v[16:17], s[36:37], v10, s26, 0
	v_add3_u32 v17, v17, v19, v18
	v_mul_lo_u32 v18, v13, s26
	v_mul_lo_u32 v19, v12, s27
	v_mad_u64_u32 v[20:21], s[36:37], v12, s26, 0
	v_add3_u32 v21, v21, v19, v18
	v_lshl_add_u64 v[18:19], v[16:17], 2, s[28:29]
	v_lshl_add_u64 v[16:17], v[20:21], 2, s[28:29]
	global_load_dword v20, v[18:19], off
	global_load_dword v21, v[16:17], off
	s_mov_b64 s[42:43], -1
	s_waitcnt vmcnt(0)
	v_cmp_eq_u32_e32 vcc, v20, v21
	s_and_saveexec_b64 s[36:37], vcc
	s_cbranch_execz .LBB1552_153
; %bb.147:
	s_add_u32 s42, s26, -1
	v_lshl_add_u64 v[16:17], v[16:17], 0, 4
	v_lshl_add_u64 v[18:19], v[18:19], 0, 4
	s_addc_u32 s43, s27, -1
	s_mov_b64 s[44:45], 0
	s_mov_b64 s[48:49], 0
                                        ; implicit-def: $sgpr46_sgpr47
	s_branch .LBB1552_150
.LBB1552_148:                           ;   in Loop: Header=BB1552_150 Depth=1
	global_load_dword v20, v[18:19], off
	global_load_dword v21, v[16:17], off
	s_add_u32 s48, s48, 1
	s_addc_u32 s49, s49, 0
	s_andn2_b64 s[46:47], s[46:47], exec
	v_lshl_add_u64 v[16:17], v[16:17], 0, 4
	v_lshl_add_u64 v[18:19], v[18:19], 0, 4
	s_waitcnt vmcnt(0)
	v_cmp_ne_u32_e32 vcc, v20, v21
	s_and_b64 s[50:51], vcc, exec
	s_or_b64 s[46:47], s[46:47], s[50:51]
.LBB1552_149:                           ;   in Loop: Header=BB1552_150 Depth=1
	s_and_b64 s[50:51], exec, s[46:47]
	s_or_b64 s[44:45], s[50:51], s[44:45]
	v_mov_b64_e32 v[20:21], s[48:49]
	s_andn2_b64 exec, exec, s[44:45]
	s_cbranch_execz .LBB1552_152
.LBB1552_150:                           ; =>This Inner Loop Header: Depth=1
	s_or_b64 s[46:47], s[46:47], exec
	s_cmp_eq_u64 s[42:43], s[48:49]
	s_cbranch_scc0 .LBB1552_148
; %bb.151:                              ;   in Loop: Header=BB1552_150 Depth=1
                                        ; implicit-def: $vgpr16_vgpr17
                                        ; implicit-def: $vgpr18_vgpr19
	s_mov_b64 s[48:49], s[26:27]
	s_branch .LBB1552_149
.LBB1552_152:
	s_or_b64 exec, exec, s[44:45]
	v_cmp_gt_i64_e32 vcc, s[26:27], v[20:21]
	s_orn2_b64 s[42:43], vcc, exec
.LBB1552_153:
	s_or_b64 exec, exec, s[36:37]
.LBB1552_154:
	s_and_b64 s[36:37], s[42:43], exec
.LBB1552_155:
	s_or_b64 exec, exec, s[40:41]
	v_cmp_ne_u32_e32 vcc, 0, v0
	s_waitcnt lgkmcnt(0)
	v_mov_b64_e32 v[16:17], s[6:7]
	s_barrier
	s_and_saveexec_b64 s[6:7], vcc
	s_cbranch_execz .LBB1552_157
; %bb.156:
	v_add_u32_e32 v16, -8, v31
	ds_read_b64 v[16:17], v16
.LBB1552_157:
	s_or_b64 exec, exec, s[6:7]
	v_cndmask_b32_e64 v19, 0, 1, s[18:19]
	v_cndmask_b32_e64 v18, 0, 1, s[38:39]
	;; [unrolled: 1-line block ×3, first 2 shown]
	v_lshlrev_b16_e32 v19, 8, v19
	v_cmp_gt_u32_e32 vcc, s3, v1
	v_lshlrev_b16_e32 v22, 8, v20
	v_or_b32_sdwa v23, v18, v19 dst_sel:WORD_1 dst_unused:UNUSED_PAD src0_sel:DWORD src1_sel:DWORD
	s_mov_b64 s[18:19], 0
	s_and_saveexec_b64 s[6:7], vcc
	s_cbranch_execz .LBB1552_168
; %bb.158:
	s_and_b64 vcc, exec, s[4:5]
	s_cbranch_vccnz .LBB1552_167
; %bb.159:
	s_waitcnt lgkmcnt(0)
	v_mul_lo_u32 v18, v17, s26
	v_mul_lo_u32 v19, v16, s27
	v_mad_u64_u32 v[16:17], s[4:5], v16, s26, 0
	v_add3_u32 v17, v17, v19, v18
	v_mul_lo_u32 v18, v11, s26
	v_mul_lo_u32 v19, v10, s27
	v_mad_u64_u32 v[20:21], s[4:5], v10, s26, 0
	v_add3_u32 v21, v21, v19, v18
	v_lshl_add_u64 v[18:19], v[16:17], 2, s[28:29]
	v_lshl_add_u64 v[16:17], v[20:21], 2, s[28:29]
	global_load_dword v20, v[18:19], off
	global_load_dword v21, v[16:17], off
	s_mov_b64 s[18:19], -1
	s_waitcnt vmcnt(0)
	v_cmp_eq_u32_e32 vcc, v20, v21
	s_and_saveexec_b64 s[4:5], vcc
	s_cbranch_execz .LBB1552_166
; %bb.160:
	s_add_u32 s18, s26, -1
	v_lshl_add_u64 v[16:17], v[16:17], 0, 4
	v_lshl_add_u64 v[18:19], v[18:19], 0, 4
	s_addc_u32 s19, s27, -1
	s_mov_b64 s[36:37], 0
	s_mov_b64 s[40:41], 0
                                        ; implicit-def: $sgpr38_sgpr39
	s_branch .LBB1552_163
.LBB1552_161:                           ;   in Loop: Header=BB1552_163 Depth=1
	global_load_dword v20, v[18:19], off
	global_load_dword v21, v[16:17], off
	s_add_u32 s40, s40, 1
	s_addc_u32 s41, s41, 0
	s_andn2_b64 s[38:39], s[38:39], exec
	v_lshl_add_u64 v[16:17], v[16:17], 0, 4
	v_lshl_add_u64 v[18:19], v[18:19], 0, 4
	s_waitcnt vmcnt(0)
	v_cmp_ne_u32_e32 vcc, v20, v21
	s_and_b64 s[42:43], vcc, exec
	s_or_b64 s[38:39], s[38:39], s[42:43]
.LBB1552_162:                           ;   in Loop: Header=BB1552_163 Depth=1
	s_and_b64 s[42:43], exec, s[38:39]
	s_or_b64 s[36:37], s[42:43], s[36:37]
	v_mov_b64_e32 v[20:21], s[40:41]
	s_andn2_b64 exec, exec, s[36:37]
	s_cbranch_execz .LBB1552_165
.LBB1552_163:                           ; =>This Inner Loop Header: Depth=1
	s_or_b64 s[38:39], s[38:39], exec
	s_cmp_eq_u64 s[18:19], s[40:41]
	s_cbranch_scc0 .LBB1552_161
; %bb.164:                              ;   in Loop: Header=BB1552_163 Depth=1
                                        ; implicit-def: $vgpr16_vgpr17
                                        ; implicit-def: $vgpr18_vgpr19
	s_mov_b64 s[40:41], s[26:27]
	s_branch .LBB1552_162
.LBB1552_165:
	s_or_b64 exec, exec, s[36:37]
	v_cmp_gt_i64_e32 vcc, s[26:27], v[20:21]
	s_orn2_b64 s[18:19], vcc, exec
.LBB1552_166:
	s_or_b64 exec, exec, s[4:5]
.LBB1552_167:
	s_and_b64 s[18:19], s[18:19], exec
.LBB1552_168:
	s_or_b64 exec, exec, s[6:7]
	v_cndmask_b32_e64 v32, 0, 1, s[14:15]
	v_cndmask_b32_e64 v33, 0, 1, s[12:13]
	;; [unrolled: 1-line block ×3, first 2 shown]
	v_or_b32_e32 v20, v22, v23
.LBB1552_169:
	s_mov_b64 s[10:11], -1
	s_cbranch_execnz .LBB1552_28
.LBB1552_170:
	s_movk_i32 s4, 0xffd0
	v_mad_i32_i24 v30, v0, s4, v30
	s_mov_b64 s[12:13], 0
	s_waitcnt lgkmcnt(0)
	v_cmp_gt_i64_e64 s[6:7], s[26:27], 0
	s_and_b64 vcc, exec, s[34:35]
	ds_write_b64 v30, v[14:15]
	s_cbranch_vccz .LBB1552_178
; %bb.171:
	v_mul_lo_u32 v18, v5, s26
	v_mul_lo_u32 v19, v4, s27
	v_mad_u64_u32 v[16:17], s[4:5], v4, s26, 0
	v_add3_u32 v17, v17, v19, v18
	v_cndmask_b32_e64 v18, 0, 1, s[6:7]
	v_cmp_ne_u32_e64 s[4:5], 1, v18
	s_andn2_b64 vcc, exec, s[6:7]
	v_lshl_add_u64 v[16:17], v[16:17], 2, s[28:29]
	s_cbranch_vccnz .LBB1552_181
; %bb.172:
	v_mul_lo_u32 v20, v15, s26
	v_mul_lo_u32 v21, v14, s27
	v_mad_u64_u32 v[18:19], s[12:13], v14, s26, 0
	v_add3_u32 v19, v19, v21, v20
	v_lshl_add_u64 v[18:19], v[18:19], 2, s[28:29]
	global_load_dword v20, v[16:17], off
	global_load_dword v21, v[18:19], off
	s_mov_b64 s[12:13], -1
	s_waitcnt vmcnt(0)
	v_cmp_eq_u32_e32 vcc, v20, v21
	s_and_saveexec_b64 s[14:15], vcc
	s_cbranch_execz .LBB1552_180
; %bb.173:
	s_add_u32 s12, s26, -1
	v_lshl_add_u64 v[18:19], v[18:19], 0, 4
	v_lshl_add_u64 v[20:21], v[16:17], 0, 4
	s_addc_u32 s13, s27, -1
	s_mov_b64 s[18:19], 0
	s_mov_b64 s[38:39], 0
                                        ; implicit-def: $sgpr36_sgpr37
	s_branch .LBB1552_176
.LBB1552_174:                           ;   in Loop: Header=BB1552_176 Depth=1
	global_load_dword v22, v[20:21], off
	global_load_dword v23, v[18:19], off
	s_add_u32 s38, s38, 1
	s_addc_u32 s39, s39, 0
	s_andn2_b64 s[36:37], s[36:37], exec
	v_lshl_add_u64 v[18:19], v[18:19], 0, 4
	v_lshl_add_u64 v[20:21], v[20:21], 0, 4
	s_waitcnt vmcnt(0)
	v_cmp_ne_u32_e32 vcc, v22, v23
	s_and_b64 s[40:41], vcc, exec
	s_or_b64 s[36:37], s[36:37], s[40:41]
.LBB1552_175:                           ;   in Loop: Header=BB1552_176 Depth=1
	s_and_b64 s[40:41], exec, s[36:37]
	s_or_b64 s[18:19], s[40:41], s[18:19]
	v_mov_b64_e32 v[22:23], s[38:39]
	s_andn2_b64 exec, exec, s[18:19]
	s_cbranch_execz .LBB1552_179
.LBB1552_176:                           ; =>This Inner Loop Header: Depth=1
	s_or_b64 s[36:37], s[36:37], exec
	s_cmp_eq_u64 s[12:13], s[38:39]
	s_cbranch_scc0 .LBB1552_174
; %bb.177:                              ;   in Loop: Header=BB1552_176 Depth=1
                                        ; implicit-def: $vgpr18_vgpr19
                                        ; implicit-def: $vgpr20_vgpr21
	s_mov_b64 s[38:39], s[26:27]
	s_branch .LBB1552_175
.LBB1552_178:
                                        ; implicit-def: $sgpr18_sgpr19
                                        ; implicit-def: $vgpr34
                                        ; implicit-def: $vgpr33
                                        ; implicit-def: $vgpr32
                                        ; implicit-def: $vgpr20
                                        ; implicit-def: $vgpr16_vgpr17
	s_cbranch_execnz .LBB1552_238
	s_branch .LBB1552_318
.LBB1552_179:
	s_or_b64 exec, exec, s[18:19]
	v_cmp_gt_i64_e32 vcc, s[26:27], v[22:23]
	s_orn2_b64 s[12:13], vcc, exec
.LBB1552_180:
	s_or_b64 exec, exec, s[14:15]
.LBB1552_181:
	v_mul_lo_u32 v20, v3, s26
	v_mul_lo_u32 v21, v2, s27
	v_mad_u64_u32 v[18:19], s[14:15], v2, s26, 0
	v_add3_u32 v19, v19, v21, v20
	s_mov_b64 s[14:15], 0
	s_and_b64 vcc, exec, s[4:5]
	v_lshl_add_u64 v[18:19], v[18:19], 2, s[28:29]
	s_mov_b64 s[18:19], 0
	s_cbranch_vccnz .LBB1552_190
; %bb.182:
	global_load_dword v20, v[18:19], off
	global_load_dword v21, v[16:17], off
	s_mov_b64 s[18:19], -1
	s_waitcnt vmcnt(0)
	v_cmp_eq_u32_e32 vcc, v20, v21
	s_and_saveexec_b64 s[36:37], vcc
	s_cbranch_execz .LBB1552_189
; %bb.183:
	s_add_u32 s18, s26, -1
	v_lshl_add_u64 v[16:17], v[16:17], 0, 4
	v_lshl_add_u64 v[20:21], v[18:19], 0, 4
	s_addc_u32 s19, s27, -1
	s_mov_b64 s[38:39], 0
	s_mov_b64 s[42:43], 0
                                        ; implicit-def: $sgpr40_sgpr41
	s_branch .LBB1552_186
.LBB1552_184:                           ;   in Loop: Header=BB1552_186 Depth=1
	global_load_dword v22, v[20:21], off
	global_load_dword v23, v[16:17], off
	s_add_u32 s42, s42, 1
	s_addc_u32 s43, s43, 0
	s_andn2_b64 s[40:41], s[40:41], exec
	v_lshl_add_u64 v[16:17], v[16:17], 0, 4
	v_lshl_add_u64 v[20:21], v[20:21], 0, 4
	s_waitcnt vmcnt(0)
	v_cmp_ne_u32_e32 vcc, v22, v23
	s_and_b64 s[44:45], vcc, exec
	s_or_b64 s[40:41], s[40:41], s[44:45]
.LBB1552_185:                           ;   in Loop: Header=BB1552_186 Depth=1
	s_and_b64 s[44:45], exec, s[40:41]
	s_or_b64 s[38:39], s[44:45], s[38:39]
	v_mov_b64_e32 v[22:23], s[42:43]
	s_andn2_b64 exec, exec, s[38:39]
	s_cbranch_execz .LBB1552_188
.LBB1552_186:                           ; =>This Inner Loop Header: Depth=1
	s_or_b64 s[40:41], s[40:41], exec
	s_cmp_eq_u64 s[18:19], s[42:43]
	s_cbranch_scc0 .LBB1552_184
; %bb.187:                              ;   in Loop: Header=BB1552_186 Depth=1
                                        ; implicit-def: $vgpr16_vgpr17
                                        ; implicit-def: $vgpr20_vgpr21
	s_mov_b64 s[42:43], s[26:27]
	s_branch .LBB1552_185
.LBB1552_188:
	s_or_b64 exec, exec, s[38:39]
	v_cmp_gt_i64_e32 vcc, s[26:27], v[22:23]
	s_orn2_b64 s[18:19], vcc, exec
.LBB1552_189:
	s_or_b64 exec, exec, s[36:37]
.LBB1552_190:
	v_mul_lo_u32 v20, v9, s26
	v_mul_lo_u32 v21, v8, s27
	v_mad_u64_u32 v[16:17], s[36:37], v8, s26, 0
	v_add3_u32 v17, v17, v21, v20
	s_and_b64 vcc, exec, s[4:5]
	v_lshl_add_u64 v[16:17], v[16:17], 2, s[28:29]
	s_cbranch_vccnz .LBB1552_199
; %bb.191:
	global_load_dword v20, v[16:17], off
	global_load_dword v21, v[18:19], off
	s_mov_b64 s[14:15], -1
	s_waitcnt vmcnt(0)
	v_cmp_eq_u32_e32 vcc, v20, v21
	s_and_saveexec_b64 s[36:37], vcc
	s_cbranch_execz .LBB1552_198
; %bb.192:
	s_add_u32 s14, s26, -1
	v_lshl_add_u64 v[18:19], v[18:19], 0, 4
	v_lshl_add_u64 v[20:21], v[16:17], 0, 4
	s_addc_u32 s15, s27, -1
	s_mov_b64 s[38:39], 0
	s_mov_b64 s[42:43], 0
                                        ; implicit-def: $sgpr40_sgpr41
	s_branch .LBB1552_195
.LBB1552_193:                           ;   in Loop: Header=BB1552_195 Depth=1
	global_load_dword v22, v[20:21], off
	global_load_dword v23, v[18:19], off
	s_add_u32 s42, s42, 1
	s_addc_u32 s43, s43, 0
	s_andn2_b64 s[40:41], s[40:41], exec
	v_lshl_add_u64 v[18:19], v[18:19], 0, 4
	v_lshl_add_u64 v[20:21], v[20:21], 0, 4
	s_waitcnt vmcnt(0)
	v_cmp_ne_u32_e32 vcc, v22, v23
	s_and_b64 s[44:45], vcc, exec
	s_or_b64 s[40:41], s[40:41], s[44:45]
.LBB1552_194:                           ;   in Loop: Header=BB1552_195 Depth=1
	s_and_b64 s[44:45], exec, s[40:41]
	s_or_b64 s[38:39], s[44:45], s[38:39]
	v_mov_b64_e32 v[22:23], s[42:43]
	s_andn2_b64 exec, exec, s[38:39]
	s_cbranch_execz .LBB1552_197
.LBB1552_195:                           ; =>This Inner Loop Header: Depth=1
	s_or_b64 s[40:41], s[40:41], exec
	s_cmp_eq_u64 s[14:15], s[42:43]
	s_cbranch_scc0 .LBB1552_193
; %bb.196:                              ;   in Loop: Header=BB1552_195 Depth=1
                                        ; implicit-def: $vgpr18_vgpr19
                                        ; implicit-def: $vgpr20_vgpr21
	s_mov_b64 s[42:43], s[26:27]
	s_branch .LBB1552_194
.LBB1552_197:
	s_or_b64 exec, exec, s[38:39]
	v_cmp_gt_i64_e32 vcc, s[26:27], v[22:23]
	s_orn2_b64 s[14:15], vcc, exec
.LBB1552_198:
	s_or_b64 exec, exec, s[36:37]
.LBB1552_199:
	v_mul_lo_u32 v20, v7, s26
	v_mul_lo_u32 v21, v6, s27
	v_mad_u64_u32 v[18:19], s[36:37], v6, s26, 0
	v_add3_u32 v19, v19, v21, v20
	s_mov_b64 s[36:37], 0
	s_and_b64 vcc, exec, s[4:5]
	v_lshl_add_u64 v[18:19], v[18:19], 2, s[28:29]
	s_mov_b64 s[38:39], 0
	s_cbranch_vccnz .LBB1552_208
; %bb.200:
	global_load_dword v20, v[18:19], off
	global_load_dword v21, v[16:17], off
	s_mov_b64 s[38:39], -1
	s_waitcnt vmcnt(0)
	v_cmp_eq_u32_e32 vcc, v20, v21
	s_and_saveexec_b64 s[40:41], vcc
	s_cbranch_execz .LBB1552_207
; %bb.201:
	s_add_u32 s38, s26, -1
	v_lshl_add_u64 v[16:17], v[16:17], 0, 4
	v_lshl_add_u64 v[20:21], v[18:19], 0, 4
	s_addc_u32 s39, s27, -1
	s_mov_b64 s[42:43], 0
	s_mov_b64 s[46:47], 0
                                        ; implicit-def: $sgpr44_sgpr45
	s_branch .LBB1552_204
.LBB1552_202:                           ;   in Loop: Header=BB1552_204 Depth=1
	global_load_dword v22, v[20:21], off
	global_load_dword v23, v[16:17], off
	s_add_u32 s46, s46, 1
	s_addc_u32 s47, s47, 0
	s_andn2_b64 s[44:45], s[44:45], exec
	v_lshl_add_u64 v[16:17], v[16:17], 0, 4
	v_lshl_add_u64 v[20:21], v[20:21], 0, 4
	s_waitcnt vmcnt(0)
	v_cmp_ne_u32_e32 vcc, v22, v23
	s_and_b64 s[48:49], vcc, exec
	s_or_b64 s[44:45], s[44:45], s[48:49]
.LBB1552_203:                           ;   in Loop: Header=BB1552_204 Depth=1
	s_and_b64 s[48:49], exec, s[44:45]
	s_or_b64 s[42:43], s[48:49], s[42:43]
	v_mov_b64_e32 v[22:23], s[46:47]
	s_andn2_b64 exec, exec, s[42:43]
	s_cbranch_execz .LBB1552_206
.LBB1552_204:                           ; =>This Inner Loop Header: Depth=1
	s_or_b64 s[44:45], s[44:45], exec
	s_cmp_eq_u64 s[38:39], s[46:47]
	s_cbranch_scc0 .LBB1552_202
; %bb.205:                              ;   in Loop: Header=BB1552_204 Depth=1
                                        ; implicit-def: $vgpr16_vgpr17
                                        ; implicit-def: $vgpr20_vgpr21
	s_mov_b64 s[46:47], s[26:27]
	s_branch .LBB1552_203
.LBB1552_206:
	s_or_b64 exec, exec, s[42:43]
	v_cmp_gt_i64_e32 vcc, s[26:27], v[22:23]
	s_orn2_b64 s[38:39], vcc, exec
.LBB1552_207:
	s_or_b64 exec, exec, s[40:41]
.LBB1552_208:
	v_mul_lo_u32 v20, v13, s26
	v_mul_lo_u32 v21, v12, s27
	v_mad_u64_u32 v[16:17], s[40:41], v12, s26, 0
	v_add3_u32 v17, v17, v21, v20
	s_and_b64 vcc, exec, s[4:5]
	v_lshl_add_u64 v[16:17], v[16:17], 2, s[28:29]
	s_cbranch_vccnz .LBB1552_217
; %bb.209:
	global_load_dword v20, v[16:17], off
	global_load_dword v21, v[18:19], off
	s_mov_b64 s[36:37], -1
	s_waitcnt vmcnt(0)
	v_cmp_eq_u32_e32 vcc, v20, v21
	s_and_saveexec_b64 s[40:41], vcc
	s_cbranch_execz .LBB1552_216
; %bb.210:
	s_add_u32 s36, s26, -1
	v_lshl_add_u64 v[18:19], v[18:19], 0, 4
	v_lshl_add_u64 v[20:21], v[16:17], 0, 4
	s_addc_u32 s37, s27, -1
	s_mov_b64 s[42:43], 0
	s_mov_b64 s[46:47], 0
                                        ; implicit-def: $sgpr44_sgpr45
	s_branch .LBB1552_213
.LBB1552_211:                           ;   in Loop: Header=BB1552_213 Depth=1
	global_load_dword v22, v[20:21], off
	global_load_dword v23, v[18:19], off
	s_add_u32 s46, s46, 1
	s_addc_u32 s47, s47, 0
	s_andn2_b64 s[44:45], s[44:45], exec
	v_lshl_add_u64 v[18:19], v[18:19], 0, 4
	v_lshl_add_u64 v[20:21], v[20:21], 0, 4
	s_waitcnt vmcnt(0)
	v_cmp_ne_u32_e32 vcc, v22, v23
	s_and_b64 s[48:49], vcc, exec
	s_or_b64 s[44:45], s[44:45], s[48:49]
.LBB1552_212:                           ;   in Loop: Header=BB1552_213 Depth=1
	s_and_b64 s[48:49], exec, s[44:45]
	s_or_b64 s[42:43], s[48:49], s[42:43]
	v_mov_b64_e32 v[22:23], s[46:47]
	s_andn2_b64 exec, exec, s[42:43]
	s_cbranch_execz .LBB1552_215
.LBB1552_213:                           ; =>This Inner Loop Header: Depth=1
	s_or_b64 s[44:45], s[44:45], exec
	s_cmp_eq_u64 s[36:37], s[46:47]
	s_cbranch_scc0 .LBB1552_211
; %bb.214:                              ;   in Loop: Header=BB1552_213 Depth=1
                                        ; implicit-def: $vgpr18_vgpr19
                                        ; implicit-def: $vgpr20_vgpr21
	s_mov_b64 s[46:47], s[26:27]
	s_branch .LBB1552_212
.LBB1552_215:
	s_or_b64 exec, exec, s[42:43]
	v_cmp_gt_i64_e32 vcc, s[26:27], v[22:23]
	s_orn2_b64 s[36:37], vcc, exec
.LBB1552_216:
	s_or_b64 exec, exec, s[40:41]
.LBB1552_217:
	v_mul_lo_u32 v20, v11, s26
	v_mul_lo_u32 v21, v10, s27
	v_mad_u64_u32 v[18:19], s[40:41], v10, s26, 0
	v_add3_u32 v19, v19, v21, v20
	s_and_b64 vcc, exec, s[4:5]
	s_mov_b64 s[42:43], 0
	s_cbranch_vccnz .LBB1552_226
; %bb.218:
	v_lshl_add_u64 v[20:21], v[18:19], 2, s[28:29]
	global_load_dword v22, v[20:21], off
	global_load_dword v23, v[16:17], off
	s_mov_b64 s[42:43], -1
	s_waitcnt vmcnt(0)
	v_cmp_eq_u32_e32 vcc, v22, v23
	s_and_saveexec_b64 s[40:41], vcc
	s_cbranch_execz .LBB1552_225
; %bb.219:
	s_add_u32 s42, s26, -1
	v_lshl_add_u64 v[16:17], v[16:17], 0, 4
	v_lshl_add_u64 v[20:21], v[20:21], 0, 4
	s_addc_u32 s43, s27, -1
	s_mov_b64 s[44:45], 0
	s_mov_b64 s[48:49], 0
                                        ; implicit-def: $sgpr46_sgpr47
	s_branch .LBB1552_222
.LBB1552_220:                           ;   in Loop: Header=BB1552_222 Depth=1
	global_load_dword v22, v[20:21], off
	global_load_dword v23, v[16:17], off
	s_add_u32 s48, s48, 1
	s_addc_u32 s49, s49, 0
	s_andn2_b64 s[46:47], s[46:47], exec
	v_lshl_add_u64 v[16:17], v[16:17], 0, 4
	v_lshl_add_u64 v[20:21], v[20:21], 0, 4
	s_waitcnt vmcnt(0)
	v_cmp_ne_u32_e32 vcc, v22, v23
	s_and_b64 s[50:51], vcc, exec
	s_or_b64 s[46:47], s[46:47], s[50:51]
.LBB1552_221:                           ;   in Loop: Header=BB1552_222 Depth=1
	s_and_b64 s[50:51], exec, s[46:47]
	s_or_b64 s[44:45], s[50:51], s[44:45]
	v_mov_b64_e32 v[22:23], s[48:49]
	s_andn2_b64 exec, exec, s[44:45]
	s_cbranch_execz .LBB1552_224
.LBB1552_222:                           ; =>This Inner Loop Header: Depth=1
	s_or_b64 s[46:47], s[46:47], exec
	s_cmp_eq_u64 s[42:43], s[48:49]
	s_cbranch_scc0 .LBB1552_220
; %bb.223:                              ;   in Loop: Header=BB1552_222 Depth=1
                                        ; implicit-def: $vgpr16_vgpr17
                                        ; implicit-def: $vgpr20_vgpr21
	s_mov_b64 s[48:49], s[26:27]
	s_branch .LBB1552_221
.LBB1552_224:
	s_or_b64 exec, exec, s[44:45]
	v_cmp_gt_i64_e32 vcc, s[26:27], v[22:23]
	s_orn2_b64 s[42:43], vcc, exec
.LBB1552_225:
	s_or_b64 exec, exec, s[40:41]
.LBB1552_226:
	v_cndmask_b32_e64 v17, 0, 1, s[38:39]
	v_cndmask_b32_e64 v16, 0, 1, s[36:37]
	;; [unrolled: 1-line block ×3, first 2 shown]
	v_lshlrev_b16_e32 v17, 8, v17
	v_cndmask_b32_e64 v32, 0, 1, s[14:15]
	v_cndmask_b32_e64 v20, 0, 1, s[42:43]
	v_or_b32_sdwa v16, v16, v17 dst_sel:WORD_1 dst_unused:UNUSED_PAD src0_sel:DWORD src1_sel:DWORD
	v_lshlrev_b16_e32 v17, 8, v33
	v_lshlrev_b16_e32 v20, 8, v20
	v_or_b32_e32 v17, v32, v17
	v_or_b32_e32 v20, 1, v20
	v_and_b32_e32 v17, 0xffff, v17
	v_cndmask_b32_e64 v34, 0, 1, s[12:13]
	v_or_b32_sdwa v16, v20, v16 dst_sel:DWORD dst_unused:UNUSED_PAD src0_sel:WORD_0 src1_sel:DWORD
	v_lshl_or_b32 v17, v34, 16, v17
	v_cmp_ne_u32_e32 vcc, 0, v0
	s_waitcnt lgkmcnt(0)
	s_barrier
	s_waitcnt lgkmcnt(0)
                                        ; implicit-def: $sgpr18_sgpr19
                                        ; implicit-def: $vgpr20
	s_and_saveexec_b64 s[12:13], vcc
	s_xor_b64 s[12:13], exec, s[12:13]
	s_cbranch_execz .LBB1552_237
; %bb.227:
	s_mov_b32 s33, 0x3020104
	s_and_b64 vcc, exec, s[4:5]
	s_mov_b64 s[14:15], 0
	s_cbranch_vccnz .LBB1552_236
; %bb.228:
	v_add_u32_e32 v17, -8, v30
	ds_read_b64 v[20:21], v17
	v_lshl_add_u64 v[18:19], v[18:19], 2, s[28:29]
	s_mov_b64 s[14:15], -1
	s_waitcnt lgkmcnt(0)
	v_mul_lo_u32 v17, v21, s26
	v_mul_lo_u32 v22, v20, s27
	v_mad_u64_u32 v[20:21], s[4:5], v20, s26, 0
	v_add3_u32 v21, v21, v22, v17
	v_lshl_add_u64 v[20:21], v[20:21], 2, s[28:29]
	global_load_dword v17, v[20:21], off
	global_load_dword v22, v[18:19], off
	s_waitcnt vmcnt(0)
	v_cmp_eq_u32_e32 vcc, v17, v22
	s_and_saveexec_b64 s[4:5], vcc
	s_cbranch_execz .LBB1552_235
; %bb.229:
	s_add_u32 s14, s26, -1
	v_lshl_add_u64 v[18:19], v[18:19], 0, 4
	v_lshl_add_u64 v[20:21], v[20:21], 0, 4
	s_addc_u32 s15, s27, -1
	s_mov_b64 s[18:19], 0
	s_mov_b64 s[38:39], 0
                                        ; implicit-def: $sgpr36_sgpr37
	s_branch .LBB1552_232
.LBB1552_230:                           ;   in Loop: Header=BB1552_232 Depth=1
	global_load_dword v17, v[20:21], off
	global_load_dword v22, v[18:19], off
	s_add_u32 s38, s38, 1
	s_addc_u32 s39, s39, 0
	s_andn2_b64 s[36:37], s[36:37], exec
	v_lshl_add_u64 v[18:19], v[18:19], 0, 4
	v_lshl_add_u64 v[20:21], v[20:21], 0, 4
	s_waitcnt vmcnt(0)
	v_cmp_ne_u32_e32 vcc, v17, v22
	s_and_b64 s[40:41], vcc, exec
	s_or_b64 s[36:37], s[36:37], s[40:41]
.LBB1552_231:                           ;   in Loop: Header=BB1552_232 Depth=1
	s_and_b64 s[40:41], exec, s[36:37]
	s_or_b64 s[18:19], s[40:41], s[18:19]
	v_mov_b64_e32 v[22:23], s[38:39]
	s_andn2_b64 exec, exec, s[18:19]
	s_cbranch_execz .LBB1552_234
.LBB1552_232:                           ; =>This Inner Loop Header: Depth=1
	s_or_b64 s[36:37], s[36:37], exec
	s_cmp_eq_u64 s[14:15], s[38:39]
	s_cbranch_scc0 .LBB1552_230
; %bb.233:                              ;   in Loop: Header=BB1552_232 Depth=1
                                        ; implicit-def: $vgpr18_vgpr19
                                        ; implicit-def: $vgpr20_vgpr21
	s_mov_b64 s[38:39], s[26:27]
	s_branch .LBB1552_231
.LBB1552_234:
	s_or_b64 exec, exec, s[18:19]
	v_cmp_gt_i64_e32 vcc, s[26:27], v[22:23]
	s_orn2_b64 s[14:15], vcc, exec
.LBB1552_235:
	s_or_b64 exec, exec, s[4:5]
.LBB1552_236:
	v_perm_b32 v20, v16, v16, s33
	s_and_b64 s[18:19], s[14:15], exec
	s_or_b64 s[10:11], s[10:11], exec
                                        ; implicit-def: $vgpr16_vgpr17
.LBB1552_237:
	s_or_b64 exec, exec, s[12:13]
	s_branch .LBB1552_318
.LBB1552_238:
	v_cmp_gt_u32_e32 vcc, s3, v27
	s_mov_b64 s[12:13], 0
	s_mov_b64 s[4:5], 0
	s_and_saveexec_b64 s[14:15], vcc
	s_cbranch_execz .LBB1552_249
; %bb.239:
	s_andn2_b64 vcc, exec, s[6:7]
	s_mov_b64 s[18:19], 0
	s_cbranch_vccnz .LBB1552_248
; %bb.240:
	v_mul_lo_u32 v18, v5, s26
	v_mul_lo_u32 v19, v4, s27
	v_mad_u64_u32 v[16:17], s[4:5], v4, s26, 0
	v_add3_u32 v17, v17, v19, v18
	v_mul_lo_u32 v18, v15, s26
	v_mul_lo_u32 v19, v14, s27
	v_mad_u64_u32 v[20:21], s[4:5], v14, s26, 0
	v_add3_u32 v21, v21, v19, v18
	v_lshl_add_u64 v[18:19], v[16:17], 2, s[28:29]
	v_lshl_add_u64 v[16:17], v[20:21], 2, s[28:29]
	global_load_dword v20, v[18:19], off
	global_load_dword v21, v[16:17], off
	s_mov_b64 s[18:19], -1
	s_waitcnt vmcnt(0)
	v_cmp_eq_u32_e32 vcc, v20, v21
	s_and_saveexec_b64 s[4:5], vcc
	s_cbranch_execz .LBB1552_247
; %bb.241:
	s_add_u32 s18, s26, -1
	v_lshl_add_u64 v[16:17], v[16:17], 0, 4
	v_lshl_add_u64 v[18:19], v[18:19], 0, 4
	s_addc_u32 s19, s27, -1
	s_mov_b64 s[36:37], 0
	s_mov_b64 s[40:41], 0
                                        ; implicit-def: $sgpr38_sgpr39
	s_branch .LBB1552_244
.LBB1552_242:                           ;   in Loop: Header=BB1552_244 Depth=1
	global_load_dword v20, v[18:19], off
	global_load_dword v21, v[16:17], off
	s_add_u32 s40, s40, 1
	s_addc_u32 s41, s41, 0
	s_andn2_b64 s[38:39], s[38:39], exec
	v_lshl_add_u64 v[16:17], v[16:17], 0, 4
	v_lshl_add_u64 v[18:19], v[18:19], 0, 4
	s_waitcnt vmcnt(0)
	v_cmp_ne_u32_e32 vcc, v20, v21
	s_and_b64 s[42:43], vcc, exec
	s_or_b64 s[38:39], s[38:39], s[42:43]
.LBB1552_243:                           ;   in Loop: Header=BB1552_244 Depth=1
	s_and_b64 s[42:43], exec, s[38:39]
	s_or_b64 s[36:37], s[42:43], s[36:37]
	v_mov_b64_e32 v[20:21], s[40:41]
	s_andn2_b64 exec, exec, s[36:37]
	s_cbranch_execz .LBB1552_246
.LBB1552_244:                           ; =>This Inner Loop Header: Depth=1
	s_or_b64 s[38:39], s[38:39], exec
	s_cmp_eq_u64 s[18:19], s[40:41]
	s_cbranch_scc0 .LBB1552_242
; %bb.245:                              ;   in Loop: Header=BB1552_244 Depth=1
                                        ; implicit-def: $vgpr16_vgpr17
                                        ; implicit-def: $vgpr18_vgpr19
	s_mov_b64 s[40:41], s[26:27]
	s_branch .LBB1552_243
.LBB1552_246:
	s_or_b64 exec, exec, s[36:37]
	v_cmp_gt_i64_e32 vcc, s[26:27], v[20:21]
	s_orn2_b64 s[18:19], vcc, exec
.LBB1552_247:
	s_or_b64 exec, exec, s[4:5]
.LBB1552_248:
	s_and_b64 s[4:5], s[18:19], exec
.LBB1552_249:
	s_or_b64 exec, exec, s[14:15]
	v_cmp_gt_u32_e32 vcc, s3, v29
	s_and_saveexec_b64 s[14:15], vcc
	s_cbranch_execz .LBB1552_260
; %bb.250:
	s_andn2_b64 vcc, exec, s[6:7]
	s_mov_b64 s[18:19], 0
	s_cbranch_vccnz .LBB1552_259
; %bb.251:
	v_mul_lo_u32 v18, v3, s26
	v_mul_lo_u32 v19, v2, s27
	v_mad_u64_u32 v[16:17], s[12:13], v2, s26, 0
	v_add3_u32 v17, v17, v19, v18
	v_mul_lo_u32 v18, v5, s26
	v_mul_lo_u32 v19, v4, s27
	v_mad_u64_u32 v[20:21], s[12:13], v4, s26, 0
	v_add3_u32 v21, v21, v19, v18
	v_lshl_add_u64 v[18:19], v[16:17], 2, s[28:29]
	v_lshl_add_u64 v[16:17], v[20:21], 2, s[28:29]
	global_load_dword v20, v[18:19], off
	global_load_dword v21, v[16:17], off
	s_mov_b64 s[18:19], -1
	s_waitcnt vmcnt(0)
	v_cmp_eq_u32_e32 vcc, v20, v21
	s_and_saveexec_b64 s[12:13], vcc
	s_cbranch_execz .LBB1552_258
; %bb.252:
	s_add_u32 s18, s26, -1
	v_lshl_add_u64 v[16:17], v[16:17], 0, 4
	v_lshl_add_u64 v[18:19], v[18:19], 0, 4
	s_addc_u32 s19, s27, -1
	s_mov_b64 s[36:37], 0
	s_mov_b64 s[40:41], 0
                                        ; implicit-def: $sgpr38_sgpr39
	s_branch .LBB1552_255
.LBB1552_253:                           ;   in Loop: Header=BB1552_255 Depth=1
	global_load_dword v20, v[18:19], off
	global_load_dword v21, v[16:17], off
	s_add_u32 s40, s40, 1
	s_addc_u32 s41, s41, 0
	s_andn2_b64 s[38:39], s[38:39], exec
	v_lshl_add_u64 v[16:17], v[16:17], 0, 4
	v_lshl_add_u64 v[18:19], v[18:19], 0, 4
	s_waitcnt vmcnt(0)
	v_cmp_ne_u32_e32 vcc, v20, v21
	s_and_b64 s[42:43], vcc, exec
	s_or_b64 s[38:39], s[38:39], s[42:43]
.LBB1552_254:                           ;   in Loop: Header=BB1552_255 Depth=1
	s_and_b64 s[42:43], exec, s[38:39]
	s_or_b64 s[36:37], s[42:43], s[36:37]
	v_mov_b64_e32 v[20:21], s[40:41]
	s_andn2_b64 exec, exec, s[36:37]
	s_cbranch_execz .LBB1552_257
.LBB1552_255:                           ; =>This Inner Loop Header: Depth=1
	s_or_b64 s[38:39], s[38:39], exec
	s_cmp_eq_u64 s[18:19], s[40:41]
	s_cbranch_scc0 .LBB1552_253
; %bb.256:                              ;   in Loop: Header=BB1552_255 Depth=1
                                        ; implicit-def: $vgpr16_vgpr17
                                        ; implicit-def: $vgpr18_vgpr19
	s_mov_b64 s[40:41], s[26:27]
	s_branch .LBB1552_254
.LBB1552_257:
	s_or_b64 exec, exec, s[36:37]
	v_cmp_gt_i64_e32 vcc, s[26:27], v[20:21]
	s_orn2_b64 s[18:19], vcc, exec
.LBB1552_258:
	s_or_b64 exec, exec, s[12:13]
.LBB1552_259:
	s_and_b64 s[12:13], s[18:19], exec
.LBB1552_260:
	s_or_b64 exec, exec, s[14:15]
	v_cmp_gt_u32_e32 vcc, s3, v26
	s_mov_b64 s[18:19], 0
	s_mov_b64 s[14:15], 0
	s_and_saveexec_b64 s[36:37], vcc
	s_cbranch_execz .LBB1552_271
; %bb.261:
	s_andn2_b64 vcc, exec, s[6:7]
	s_mov_b64 s[38:39], 0
	s_cbranch_vccnz .LBB1552_270
; %bb.262:
	v_mul_lo_u32 v18, v9, s26
	v_mul_lo_u32 v19, v8, s27
	v_mad_u64_u32 v[16:17], s[14:15], v8, s26, 0
	v_add3_u32 v17, v17, v19, v18
	v_mul_lo_u32 v18, v3, s26
	v_mul_lo_u32 v19, v2, s27
	v_mad_u64_u32 v[20:21], s[14:15], v2, s26, 0
	v_add3_u32 v21, v21, v19, v18
	v_lshl_add_u64 v[18:19], v[16:17], 2, s[28:29]
	v_lshl_add_u64 v[16:17], v[20:21], 2, s[28:29]
	global_load_dword v20, v[18:19], off
	global_load_dword v21, v[16:17], off
	s_mov_b64 s[38:39], -1
	s_waitcnt vmcnt(0)
	v_cmp_eq_u32_e32 vcc, v20, v21
	s_and_saveexec_b64 s[14:15], vcc
	s_cbranch_execz .LBB1552_269
; %bb.263:
	s_add_u32 s38, s26, -1
	v_lshl_add_u64 v[16:17], v[16:17], 0, 4
	v_lshl_add_u64 v[18:19], v[18:19], 0, 4
	s_addc_u32 s39, s27, -1
	s_mov_b64 s[40:41], 0
	s_mov_b64 s[44:45], 0
                                        ; implicit-def: $sgpr42_sgpr43
	s_branch .LBB1552_266
.LBB1552_264:                           ;   in Loop: Header=BB1552_266 Depth=1
	global_load_dword v20, v[18:19], off
	global_load_dword v21, v[16:17], off
	s_add_u32 s44, s44, 1
	s_addc_u32 s45, s45, 0
	s_andn2_b64 s[42:43], s[42:43], exec
	v_lshl_add_u64 v[16:17], v[16:17], 0, 4
	v_lshl_add_u64 v[18:19], v[18:19], 0, 4
	s_waitcnt vmcnt(0)
	v_cmp_ne_u32_e32 vcc, v20, v21
	s_and_b64 s[46:47], vcc, exec
	s_or_b64 s[42:43], s[42:43], s[46:47]
.LBB1552_265:                           ;   in Loop: Header=BB1552_266 Depth=1
	s_and_b64 s[46:47], exec, s[42:43]
	s_or_b64 s[40:41], s[46:47], s[40:41]
	v_mov_b64_e32 v[20:21], s[44:45]
	s_andn2_b64 exec, exec, s[40:41]
	s_cbranch_execz .LBB1552_268
.LBB1552_266:                           ; =>This Inner Loop Header: Depth=1
	s_or_b64 s[42:43], s[42:43], exec
	s_cmp_eq_u64 s[38:39], s[44:45]
	s_cbranch_scc0 .LBB1552_264
; %bb.267:                              ;   in Loop: Header=BB1552_266 Depth=1
                                        ; implicit-def: $vgpr16_vgpr17
                                        ; implicit-def: $vgpr18_vgpr19
	s_mov_b64 s[44:45], s[26:27]
	s_branch .LBB1552_265
.LBB1552_268:
	s_or_b64 exec, exec, s[40:41]
	v_cmp_gt_i64_e32 vcc, s[26:27], v[20:21]
	s_orn2_b64 s[38:39], vcc, exec
.LBB1552_269:
	s_or_b64 exec, exec, s[14:15]
.LBB1552_270:
	s_and_b64 s[14:15], s[38:39], exec
.LBB1552_271:
	s_or_b64 exec, exec, s[36:37]
	v_cmp_gt_u32_e32 vcc, s3, v28
	s_and_saveexec_b64 s[36:37], vcc
	s_cbranch_execz .LBB1552_282
; %bb.272:
	s_andn2_b64 vcc, exec, s[6:7]
	s_mov_b64 s[38:39], 0
	s_cbranch_vccnz .LBB1552_281
; %bb.273:
	v_mul_lo_u32 v18, v7, s26
	v_mul_lo_u32 v19, v6, s27
	v_mad_u64_u32 v[16:17], s[18:19], v6, s26, 0
	v_add3_u32 v17, v17, v19, v18
	v_mul_lo_u32 v18, v9, s26
	v_mul_lo_u32 v19, v8, s27
	v_mad_u64_u32 v[20:21], s[18:19], v8, s26, 0
	v_add3_u32 v21, v21, v19, v18
	v_lshl_add_u64 v[18:19], v[16:17], 2, s[28:29]
	v_lshl_add_u64 v[16:17], v[20:21], 2, s[28:29]
	global_load_dword v20, v[18:19], off
	global_load_dword v21, v[16:17], off
	s_mov_b64 s[38:39], -1
	s_waitcnt vmcnt(0)
	v_cmp_eq_u32_e32 vcc, v20, v21
	s_and_saveexec_b64 s[18:19], vcc
	s_cbranch_execz .LBB1552_280
; %bb.274:
	s_add_u32 s38, s26, -1
	v_lshl_add_u64 v[16:17], v[16:17], 0, 4
	v_lshl_add_u64 v[18:19], v[18:19], 0, 4
	s_addc_u32 s39, s27, -1
	s_mov_b64 s[40:41], 0
	s_mov_b64 s[44:45], 0
                                        ; implicit-def: $sgpr42_sgpr43
	s_branch .LBB1552_277
.LBB1552_275:                           ;   in Loop: Header=BB1552_277 Depth=1
	global_load_dword v20, v[18:19], off
	global_load_dword v21, v[16:17], off
	s_add_u32 s44, s44, 1
	s_addc_u32 s45, s45, 0
	s_andn2_b64 s[42:43], s[42:43], exec
	v_lshl_add_u64 v[16:17], v[16:17], 0, 4
	v_lshl_add_u64 v[18:19], v[18:19], 0, 4
	s_waitcnt vmcnt(0)
	v_cmp_ne_u32_e32 vcc, v20, v21
	s_and_b64 s[46:47], vcc, exec
	s_or_b64 s[42:43], s[42:43], s[46:47]
.LBB1552_276:                           ;   in Loop: Header=BB1552_277 Depth=1
	s_and_b64 s[46:47], exec, s[42:43]
	s_or_b64 s[40:41], s[46:47], s[40:41]
	v_mov_b64_e32 v[20:21], s[44:45]
	s_andn2_b64 exec, exec, s[40:41]
	s_cbranch_execz .LBB1552_279
.LBB1552_277:                           ; =>This Inner Loop Header: Depth=1
	s_or_b64 s[42:43], s[42:43], exec
	s_cmp_eq_u64 s[38:39], s[44:45]
	s_cbranch_scc0 .LBB1552_275
; %bb.278:                              ;   in Loop: Header=BB1552_277 Depth=1
                                        ; implicit-def: $vgpr16_vgpr17
                                        ; implicit-def: $vgpr18_vgpr19
	s_mov_b64 s[44:45], s[26:27]
	s_branch .LBB1552_276
.LBB1552_279:
	s_or_b64 exec, exec, s[40:41]
	v_cmp_gt_i64_e32 vcc, s[26:27], v[20:21]
	s_orn2_b64 s[38:39], vcc, exec
.LBB1552_280:
	s_or_b64 exec, exec, s[18:19]
.LBB1552_281:
	s_and_b64 s[18:19], s[38:39], exec
.LBB1552_282:
	s_or_b64 exec, exec, s[36:37]
	v_cmp_gt_u32_e32 vcc, s3, v24
	s_mov_b64 s[36:37], 0
	s_mov_b64 s[38:39], 0
	s_and_saveexec_b64 s[40:41], vcc
	s_cbranch_execz .LBB1552_293
; %bb.283:
	s_andn2_b64 vcc, exec, s[6:7]
	s_mov_b64 s[42:43], 0
	s_cbranch_vccnz .LBB1552_292
; %bb.284:
	v_mul_lo_u32 v18, v13, s26
	v_mul_lo_u32 v19, v12, s27
	v_mad_u64_u32 v[16:17], s[38:39], v12, s26, 0
	v_add3_u32 v17, v17, v19, v18
	v_mul_lo_u32 v18, v7, s26
	v_mul_lo_u32 v19, v6, s27
	v_mad_u64_u32 v[20:21], s[38:39], v6, s26, 0
	v_add3_u32 v21, v21, v19, v18
	v_lshl_add_u64 v[18:19], v[16:17], 2, s[28:29]
	v_lshl_add_u64 v[16:17], v[20:21], 2, s[28:29]
	global_load_dword v20, v[18:19], off
	global_load_dword v21, v[16:17], off
	s_mov_b64 s[42:43], -1
	s_waitcnt vmcnt(0)
	v_cmp_eq_u32_e32 vcc, v20, v21
	s_and_saveexec_b64 s[38:39], vcc
	s_cbranch_execz .LBB1552_291
; %bb.285:
	s_add_u32 s42, s26, -1
	v_lshl_add_u64 v[16:17], v[16:17], 0, 4
	v_lshl_add_u64 v[18:19], v[18:19], 0, 4
	s_addc_u32 s43, s27, -1
	s_mov_b64 s[44:45], 0
	s_mov_b64 s[48:49], 0
                                        ; implicit-def: $sgpr46_sgpr47
	s_branch .LBB1552_288
.LBB1552_286:                           ;   in Loop: Header=BB1552_288 Depth=1
	global_load_dword v20, v[18:19], off
	global_load_dword v21, v[16:17], off
	s_add_u32 s48, s48, 1
	s_addc_u32 s49, s49, 0
	s_andn2_b64 s[46:47], s[46:47], exec
	v_lshl_add_u64 v[16:17], v[16:17], 0, 4
	v_lshl_add_u64 v[18:19], v[18:19], 0, 4
	s_waitcnt vmcnt(0)
	v_cmp_ne_u32_e32 vcc, v20, v21
	s_and_b64 s[50:51], vcc, exec
	s_or_b64 s[46:47], s[46:47], s[50:51]
.LBB1552_287:                           ;   in Loop: Header=BB1552_288 Depth=1
	s_and_b64 s[50:51], exec, s[46:47]
	s_or_b64 s[44:45], s[50:51], s[44:45]
	v_mov_b64_e32 v[20:21], s[48:49]
	s_andn2_b64 exec, exec, s[44:45]
	s_cbranch_execz .LBB1552_290
.LBB1552_288:                           ; =>This Inner Loop Header: Depth=1
	s_or_b64 s[46:47], s[46:47], exec
	s_cmp_eq_u64 s[42:43], s[48:49]
	s_cbranch_scc0 .LBB1552_286
; %bb.289:                              ;   in Loop: Header=BB1552_288 Depth=1
                                        ; implicit-def: $vgpr16_vgpr17
                                        ; implicit-def: $vgpr18_vgpr19
	s_mov_b64 s[48:49], s[26:27]
	s_branch .LBB1552_287
.LBB1552_290:
	s_or_b64 exec, exec, s[44:45]
	v_cmp_gt_i64_e32 vcc, s[26:27], v[20:21]
	s_orn2_b64 s[42:43], vcc, exec
.LBB1552_291:
	s_or_b64 exec, exec, s[38:39]
.LBB1552_292:
	s_and_b64 s[38:39], s[42:43], exec
.LBB1552_293:
	s_or_b64 exec, exec, s[40:41]
	v_cmp_gt_u32_e32 vcc, s3, v25
	s_and_saveexec_b64 s[40:41], vcc
	s_cbranch_execz .LBB1552_304
; %bb.294:
	s_andn2_b64 vcc, exec, s[6:7]
	s_mov_b64 s[42:43], 0
	s_cbranch_vccnz .LBB1552_303
; %bb.295:
	v_mul_lo_u32 v18, v11, s26
	v_mul_lo_u32 v19, v10, s27
	v_mad_u64_u32 v[16:17], s[36:37], v10, s26, 0
	v_add3_u32 v17, v17, v19, v18
	v_mul_lo_u32 v18, v13, s26
	v_mul_lo_u32 v19, v12, s27
	v_mad_u64_u32 v[20:21], s[36:37], v12, s26, 0
	v_add3_u32 v21, v21, v19, v18
	v_lshl_add_u64 v[18:19], v[16:17], 2, s[28:29]
	v_lshl_add_u64 v[16:17], v[20:21], 2, s[28:29]
	global_load_dword v20, v[18:19], off
	global_load_dword v21, v[16:17], off
	s_mov_b64 s[42:43], -1
	s_waitcnt vmcnt(0)
	v_cmp_eq_u32_e32 vcc, v20, v21
	s_and_saveexec_b64 s[36:37], vcc
	s_cbranch_execz .LBB1552_302
; %bb.296:
	s_add_u32 s42, s26, -1
	v_lshl_add_u64 v[16:17], v[16:17], 0, 4
	v_lshl_add_u64 v[18:19], v[18:19], 0, 4
	s_addc_u32 s43, s27, -1
	s_mov_b64 s[44:45], 0
	s_mov_b64 s[48:49], 0
                                        ; implicit-def: $sgpr46_sgpr47
	s_branch .LBB1552_299
.LBB1552_297:                           ;   in Loop: Header=BB1552_299 Depth=1
	global_load_dword v20, v[18:19], off
	global_load_dword v21, v[16:17], off
	s_add_u32 s48, s48, 1
	s_addc_u32 s49, s49, 0
	s_andn2_b64 s[46:47], s[46:47], exec
	v_lshl_add_u64 v[16:17], v[16:17], 0, 4
	v_lshl_add_u64 v[18:19], v[18:19], 0, 4
	s_waitcnt vmcnt(0)
	v_cmp_ne_u32_e32 vcc, v20, v21
	s_and_b64 s[50:51], vcc, exec
	s_or_b64 s[46:47], s[46:47], s[50:51]
.LBB1552_298:                           ;   in Loop: Header=BB1552_299 Depth=1
	s_and_b64 s[50:51], exec, s[46:47]
	s_or_b64 s[44:45], s[50:51], s[44:45]
	v_mov_b64_e32 v[20:21], s[48:49]
	s_andn2_b64 exec, exec, s[44:45]
	s_cbranch_execz .LBB1552_301
.LBB1552_299:                           ; =>This Inner Loop Header: Depth=1
	s_or_b64 s[46:47], s[46:47], exec
	s_cmp_eq_u64 s[42:43], s[48:49]
	s_cbranch_scc0 .LBB1552_297
; %bb.300:                              ;   in Loop: Header=BB1552_299 Depth=1
                                        ; implicit-def: $vgpr16_vgpr17
                                        ; implicit-def: $vgpr18_vgpr19
	s_mov_b64 s[48:49], s[26:27]
	s_branch .LBB1552_298
.LBB1552_301:
	s_or_b64 exec, exec, s[44:45]
	v_cmp_gt_i64_e32 vcc, s[26:27], v[20:21]
	s_orn2_b64 s[42:43], vcc, exec
.LBB1552_302:
	s_or_b64 exec, exec, s[36:37]
.LBB1552_303:
	s_and_b64 s[36:37], s[42:43], exec
.LBB1552_304:
	s_or_b64 exec, exec, s[40:41]
	v_cndmask_b32_e64 v17, 0, 1, s[18:19]
	v_cndmask_b32_e64 v16, 0, 1, s[38:39]
	;; [unrolled: 1-line block ×3, first 2 shown]
	v_lshlrev_b16_e32 v17, 8, v17
	v_cndmask_b32_e64 v32, 0, 1, s[14:15]
	v_cndmask_b32_e64 v18, 0, 1, s[36:37]
	v_or_b32_sdwa v16, v16, v17 dst_sel:WORD_1 dst_unused:UNUSED_PAD src0_sel:DWORD src1_sel:DWORD
	v_lshlrev_b16_e32 v17, 8, v33
	v_lshlrev_b16_e32 v18, 8, v18
	v_or_b32_e32 v17, v32, v17
	v_or_b32_e32 v18, 1, v18
	v_and_b32_e32 v17, 0xffff, v17
	v_cndmask_b32_e64 v34, 0, 1, s[4:5]
	v_or_b32_sdwa v16, v18, v16 dst_sel:DWORD dst_unused:UNUSED_PAD src0_sel:WORD_0 src1_sel:DWORD
	v_lshl_or_b32 v17, v34, 16, v17
	v_cmp_ne_u32_e32 vcc, 0, v0
	s_waitcnt lgkmcnt(0)
	s_barrier
	s_waitcnt lgkmcnt(0)
                                        ; implicit-def: $sgpr18_sgpr19
                                        ; implicit-def: $vgpr20
	s_and_saveexec_b64 s[4:5], vcc
	s_cbranch_execz .LBB1552_317
; %bb.305:
	v_cmp_gt_u32_e32 vcc, s3, v1
	s_mov_b32 s33, 0x3020104
	s_mov_b64 s[14:15], 0
	s_and_saveexec_b64 s[12:13], vcc
	s_cbranch_execz .LBB1552_316
; %bb.306:
	s_andn2_b64 vcc, exec, s[6:7]
	s_cbranch_vccnz .LBB1552_315
; %bb.307:
	v_add_u32_e32 v17, -8, v30
	ds_read_b64 v[18:19], v17
	v_mul_lo_u32 v17, v11, s26
	v_mad_u64_u32 v[22:23], s[6:7], v10, s26, 0
	s_mov_b64 s[14:15], -1
	s_waitcnt lgkmcnt(0)
	v_mul_lo_u32 v20, v19, s26
	v_mul_lo_u32 v21, v18, s27
	v_mad_u64_u32 v[18:19], s[6:7], v18, s26, 0
	v_add3_u32 v19, v19, v21, v20
	v_mul_lo_u32 v20, v10, s27
	v_add3_u32 v23, v23, v20, v17
	v_lshl_add_u64 v[20:21], v[18:19], 2, s[28:29]
	v_lshl_add_u64 v[18:19], v[22:23], 2, s[28:29]
	global_load_dword v17, v[20:21], off
	global_load_dword v22, v[18:19], off
	s_waitcnt vmcnt(0)
	v_cmp_eq_u32_e32 vcc, v17, v22
	s_and_saveexec_b64 s[6:7], vcc
	s_cbranch_execz .LBB1552_314
; %bb.308:
	s_add_u32 s14, s26, -1
	v_lshl_add_u64 v[18:19], v[18:19], 0, 4
	v_lshl_add_u64 v[20:21], v[20:21], 0, 4
	s_addc_u32 s15, s27, -1
	s_mov_b64 s[18:19], 0
	s_mov_b64 s[36:37], 0
                                        ; implicit-def: $sgpr28_sgpr29
	s_branch .LBB1552_311
.LBB1552_309:                           ;   in Loop: Header=BB1552_311 Depth=1
	global_load_dword v17, v[20:21], off
	global_load_dword v22, v[18:19], off
	s_add_u32 s36, s36, 1
	s_addc_u32 s37, s37, 0
	s_andn2_b64 s[28:29], s[28:29], exec
	v_lshl_add_u64 v[18:19], v[18:19], 0, 4
	v_lshl_add_u64 v[20:21], v[20:21], 0, 4
	s_waitcnt vmcnt(0)
	v_cmp_ne_u32_e32 vcc, v17, v22
	s_and_b64 s[38:39], vcc, exec
	s_or_b64 s[28:29], s[28:29], s[38:39]
.LBB1552_310:                           ;   in Loop: Header=BB1552_311 Depth=1
	s_and_b64 s[38:39], exec, s[28:29]
	s_or_b64 s[18:19], s[38:39], s[18:19]
	v_mov_b64_e32 v[22:23], s[36:37]
	s_andn2_b64 exec, exec, s[18:19]
	s_cbranch_execz .LBB1552_313
.LBB1552_311:                           ; =>This Inner Loop Header: Depth=1
	s_or_b64 s[28:29], s[28:29], exec
	s_cmp_eq_u64 s[14:15], s[36:37]
	s_cbranch_scc0 .LBB1552_309
; %bb.312:                              ;   in Loop: Header=BB1552_311 Depth=1
                                        ; implicit-def: $vgpr18_vgpr19
                                        ; implicit-def: $vgpr20_vgpr21
	s_mov_b64 s[36:37], s[26:27]
	s_branch .LBB1552_310
.LBB1552_313:
	s_or_b64 exec, exec, s[18:19]
	v_cmp_gt_i64_e32 vcc, s[26:27], v[22:23]
	s_orn2_b64 s[14:15], vcc, exec
.LBB1552_314:
	s_or_b64 exec, exec, s[6:7]
.LBB1552_315:
	s_and_b64 s[14:15], s[14:15], exec
.LBB1552_316:
	s_or_b64 exec, exec, s[12:13]
	v_perm_b32 v20, v16, v16, s33
	s_and_b64 s[18:19], s[14:15], exec
	s_or_b64 s[10:11], s[10:11], exec
                                        ; implicit-def: $vgpr16_vgpr17
.LBB1552_317:
	s_or_b64 exec, exec, s[4:5]
.LBB1552_318:
	s_and_saveexec_b64 s[4:5], s[10:11]
	s_cbranch_execz .LBB1552_320
; %bb.319:
	s_waitcnt lgkmcnt(0)
	v_lshlrev_b16_e32 v17, 8, v33
	v_and_b32_e32 v18, 0xff, v34
	v_or_b32_sdwa v17, v32, v17 dst_sel:DWORD dst_unused:UNUSED_PAD src0_sel:BYTE_0 src1_sel:DWORD
	v_lshlrev_b32_e32 v18, 16, v18
	s_movk_i32 s6, 0xff
	v_or_b32_sdwa v17, v17, v18 dst_sel:DWORD dst_unused:UNUSED_PAD src0_sel:WORD_0 src1_sel:DWORD
	v_lshrrev_b32_e32 v18, 24, v20
	v_lshlrev_b16_e32 v18, 8, v18
	v_and_b32_sdwa v19, v20, s6 dst_sel:DWORD dst_unused:UNUSED_PAD src0_sel:WORD_1 src1_sel:DWORD
	v_or_b32_sdwa v18, v19, v18 dst_sel:WORD_1 dst_unused:UNUSED_PAD src0_sel:DWORD src1_sel:DWORD
	v_mov_b32_e32 v19, 8
	v_cndmask_b32_e64 v16, 0, 1, s[18:19]
	v_lshrrev_b32_sdwa v19, v19, v20 dst_sel:BYTE_1 dst_unused:UNUSED_PAD src0_sel:DWORD src1_sel:DWORD
	s_nop 0
	v_or_b32_e32 v16, v16, v19
	v_or_b32_sdwa v16, v16, v18 dst_sel:DWORD dst_unused:UNUSED_PAD src0_sel:WORD_0 src1_sel:DWORD
.LBB1552_320:
	s_or_b64 exec, exec, s[4:5]
	s_andn2_b64 vcc, exec, s[8:9]
	s_cbranch_vccnz .LBB1552_322
; %bb.321:
	s_waitcnt lgkmcnt(0)
	v_and_b32_e32 v18, 0xffff0000, v16
	v_cmp_gt_u32_e32 vcc, s3, v1
	s_mov_b32 s4, 0x40c0100
	s_nop 0
	v_cndmask_b32_e32 v1, v18, v16, vcc
	v_and_b32_e32 v1, 0xffff00ff, v1
	v_cmp_gt_u32_e32 vcc, s3, v25
	s_nop 1
	v_cndmask_b32_e32 v1, v1, v16, vcc
	v_lshrrev_b32_e32 v18, 24, v1
	v_perm_b32 v1, v18, v1, s4
	v_cmp_gt_u32_e32 vcc, s3, v24
	v_and_b32_e32 v18, 0xffffff00, v17
	s_nop 0
	v_cndmask_b32_e32 v1, v1, v16, vcc
	v_and_b32_e32 v1, 0xffffff, v1
	v_cmp_gt_u32_e32 vcc, s3, v28
	s_nop 1
	v_cndmask_b32_e32 v1, v1, v16, vcc
	v_cmp_gt_u32_e32 vcc, s3, v26
	s_nop 1
	v_cndmask_b32_e32 v18, v18, v17, vcc
	v_and_b32_e32 v18, 0xffff00ff, v18
	v_cndmask_b32_e32 v1, v1, v16, vcc
	v_cmp_gt_u32_e32 vcc, s3, v29
	s_nop 1
	v_cndmask_b32_e32 v18, v18, v17, vcc
	v_lshrrev_b32_e32 v19, 24, v18
	v_cndmask_b32_e32 v1, v1, v16, vcc
	v_perm_b32 v18, v19, v18, s4
	v_cmp_gt_u32_e32 vcc, s3, v27
	s_mov_b32 s3, 0x3020104
	s_nop 0
	v_cndmask_b32_e32 v1, v1, v16, vcc
	v_cndmask_b32_e32 v16, v18, v17, vcc
	v_mov_b32_e32 v17, 8
	v_lshrrev_b32_sdwa v17, v17, v16 dst_sel:BYTE_1 dst_unused:UNUSED_PAD src0_sel:DWORD src1_sel:DWORD
	s_nop 0
	v_or_b32_sdwa v17, v16, v17 dst_sel:DWORD dst_unused:UNUSED_PAD src0_sel:BYTE_0 src1_sel:DWORD
	v_and_b32_e32 v17, 0xffff, v17
	v_bfe_u32 v16, v16, 16, 8
	v_lshl_or_b32 v17, v16, 16, v17
	v_perm_b32 v16, v1, v1, s3
.LBB1552_322:
	s_waitcnt lgkmcnt(0)
	v_and_b32_e32 v1, 0xff, v16
	v_bfe_u32 v29, v16, 8, 8
	v_bfe_u32 v31, v16, 16, 8
	v_alignbit_b32 v18, v17, v16, 24
	v_and_b32_e32 v33, 0xff, v18
	v_and_b32_e32 v35, 0xff, v17
	v_add3_u32 v19, v29, v1, v31
	v_bfe_u32 v36, v17, 8, 8
	v_bfe_u32 v18, v17, 16, 8
	v_add3_u32 v19, v19, v33, v35
	v_add3_u32 v39, v19, v36, v18
	v_mbcnt_lo_u32_b32 v18, -1, 0
	v_mbcnt_hi_u32_b32 v37, -1, v18
	v_and_b32_e32 v18, 15, v37
	v_cmp_eq_u32_e64 s[14:15], 0, v18
	v_cmp_lt_u32_e64 s[12:13], 1, v18
	v_cmp_lt_u32_e64 s[10:11], 3, v18
	v_cmp_lt_u32_e64 s[8:9], 7, v18
	v_and_b32_e32 v18, 16, v37
	v_cmp_eq_u32_e64 s[6:7], 0, v18
	v_or_b32_e32 v18, 63, v0
	v_cmp_lt_u32_e64 s[18:19], 31, v37
	v_lshrrev_b32_e32 v38, 6, v0
	v_cmp_eq_u32_e64 s[4:5], v18, v0
	s_and_b64 vcc, exec, s[16:17]
	s_barrier
	s_cbranch_vccz .LBB1552_349
; %bb.323:
	v_mov_b32_dpp v18, v39 row_shr:1 row_mask:0xf bank_mask:0xf
	v_cndmask_b32_e64 v18, v18, 0, s[14:15]
	v_add_u32_e32 v18, v18, v39
	s_nop 1
	v_mov_b32_dpp v19, v18 row_shr:2 row_mask:0xf bank_mask:0xf
	v_cndmask_b32_e64 v19, 0, v19, s[12:13]
	v_add_u32_e32 v18, v18, v19
	s_nop 1
	;; [unrolled: 4-line block ×4, first 2 shown]
	v_mov_b32_dpp v19, v18 row_bcast:15 row_mask:0xf bank_mask:0xf
	v_cndmask_b32_e64 v19, v19, 0, s[6:7]
	v_add_u32_e32 v18, v18, v19
	s_nop 1
	v_mov_b32_dpp v19, v18 row_bcast:31 row_mask:0xf bank_mask:0xf
	v_cndmask_b32_e64 v19, 0, v19, s[18:19]
	v_add_u32_e32 v18, v18, v19
	s_and_saveexec_b64 s[16:17], s[4:5]
	s_cbranch_execz .LBB1552_325
; %bb.324:
	v_lshlrev_b32_e32 v19, 2, v38
	ds_write_b32 v19, v18
.LBB1552_325:
	s_or_b64 exec, exec, s[16:17]
	v_cmp_gt_u32_e32 vcc, 8, v0
	s_waitcnt lgkmcnt(0)
	s_barrier
	s_and_saveexec_b64 s[16:17], vcc
	s_cbranch_execz .LBB1552_327
; %bb.326:
	v_lshlrev_b32_e32 v19, 2, v0
	ds_read_b32 v20, v19
	v_and_b32_e32 v21, 7, v37
	v_cmp_ne_u32_e32 vcc, 0, v21
	s_waitcnt lgkmcnt(0)
	v_mov_b32_dpp v22, v20 row_shr:1 row_mask:0xf bank_mask:0xf
	v_cndmask_b32_e32 v22, 0, v22, vcc
	v_add_u32_e32 v20, v22, v20
	v_cmp_lt_u32_e32 vcc, 1, v21
	s_nop 0
	v_mov_b32_dpp v22, v20 row_shr:2 row_mask:0xf bank_mask:0xf
	v_cndmask_b32_e32 v22, 0, v22, vcc
	v_add_u32_e32 v20, v20, v22
	v_cmp_lt_u32_e32 vcc, 3, v21
	s_nop 0
	v_mov_b32_dpp v22, v20 row_shr:4 row_mask:0xf bank_mask:0xf
	v_cndmask_b32_e32 v21, 0, v22, vcc
	v_add_u32_e32 v20, v20, v21
	ds_write_b32 v19, v20
.LBB1552_327:
	s_or_b64 exec, exec, s[16:17]
	v_cmp_gt_u32_e32 vcc, 64, v0
	v_cmp_lt_u32_e64 s[16:17], 63, v0
	s_waitcnt lgkmcnt(0)
	s_barrier
	s_waitcnt lgkmcnt(0)
                                        ; implicit-def: $vgpr28
	s_and_saveexec_b64 s[26:27], s[16:17]
	s_cbranch_execz .LBB1552_329
; %bb.328:
	v_lshl_add_u32 v19, v38, 2, -4
	ds_read_b32 v28, v19
	s_waitcnt lgkmcnt(0)
	v_add_u32_e32 v18, v28, v18
.LBB1552_329:
	s_or_b64 exec, exec, s[26:27]
	v_add_u32_e32 v19, -1, v37
	v_and_b32_e32 v20, 64, v37
	v_cmp_lt_i32_e64 s[16:17], v19, v20
	s_nop 1
	v_cndmask_b32_e64 v19, v19, v37, s[16:17]
	v_lshlrev_b32_e32 v19, 2, v19
	ds_bpermute_b32 v30, v19, v18
	v_cmp_eq_u32_e64 s[16:17], 0, v37
	s_and_saveexec_b64 s[26:27], vcc
	s_cbranch_execz .LBB1552_348
; %bb.330:
	v_mov_b32_e32 v25, 0
	ds_read_b32 v18, v25 offset:28
	s_and_saveexec_b64 s[28:29], s[16:17]
	s_cbranch_execz .LBB1552_332
; %bb.331:
	s_add_i32 s36, s2, 64
	s_mov_b32 s37, 0
	s_lshl_b64 s[36:37], s[36:37], 3
	s_add_u32 s36, s30, s36
	v_mov_b32_e32 v19, 1
	s_addc_u32 s37, s31, s37
	s_waitcnt lgkmcnt(0)
	global_store_dwordx2 v25, v[18:19], s[36:37] sc1
.LBB1552_332:
	s_or_b64 exec, exec, s[28:29]
	v_xad_u32 v20, v37, -1, s2
	v_add_u32_e32 v24, 64, v20
	v_lshl_add_u64 v[26:27], v[24:25], 3, s[30:31]
	global_load_dwordx2 v[22:23], v[26:27], off sc1
	s_waitcnt vmcnt(0)
	v_cmp_eq_u16_sdwa s[36:37], v23, v25 src0_sel:BYTE_0 src1_sel:DWORD
	s_and_saveexec_b64 s[28:29], s[36:37]
	s_cbranch_execz .LBB1552_336
; %bb.333:
	s_mov_b64 s[36:37], 0
	v_mov_b32_e32 v19, 0
.LBB1552_334:                           ; =>This Inner Loop Header: Depth=1
	global_load_dwordx2 v[22:23], v[26:27], off sc1
	s_waitcnt vmcnt(0)
	v_cmp_ne_u16_sdwa s[38:39], v23, v19 src0_sel:BYTE_0 src1_sel:DWORD
	s_or_b64 s[36:37], s[38:39], s[36:37]
	s_andn2_b64 exec, exec, s[36:37]
	s_cbranch_execnz .LBB1552_334
; %bb.335:
	s_or_b64 exec, exec, s[36:37]
.LBB1552_336:
	s_or_b64 exec, exec, s[28:29]
	v_and_b32_e32 v32, 63, v37
	v_mov_b32_e32 v19, 2
	v_cmp_ne_u32_e32 vcc, 63, v32
	v_cmp_eq_u16_sdwa s[28:29], v23, v19 src0_sel:BYTE_0 src1_sel:DWORD
	v_lshlrev_b64 v[24:25], v37, -1
	v_addc_co_u32_e32 v27, vcc, 0, v37, vcc
	v_and_b32_e32 v21, s29, v25
	v_lshlrev_b32_e32 v34, 2, v27
	v_or_b32_e32 v21, 0x80000000, v21
	ds_bpermute_b32 v27, v34, v22
	v_and_b32_e32 v26, s28, v24
	v_ffbl_b32_e32 v21, v21
	v_add_u32_e32 v21, 32, v21
	v_ffbl_b32_e32 v26, v26
	v_min_u32_e32 v21, v26, v21
	v_cmp_lt_u32_e32 vcc, v32, v21
	v_add_u32_e32 v41, 2, v32
	v_add_u32_e32 v43, 4, v32
	s_waitcnt lgkmcnt(0)
	v_cndmask_b32_e32 v26, 0, v27, vcc
	v_cmp_gt_u32_e32 vcc, 62, v32
	v_add_u32_e32 v22, v26, v22
	v_add_u32_e32 v45, 8, v32
	v_cndmask_b32_e64 v26, 0, 1, vcc
	v_lshlrev_b32_e32 v26, 1, v26
	v_add_lshl_u32 v40, v26, v37, 2
	ds_bpermute_b32 v26, v40, v22
	v_cmp_le_u32_e32 vcc, v41, v21
	v_add_u32_e32 v48, 16, v32
	v_add_u32_e32 v50, 32, v32
	s_waitcnt lgkmcnt(0)
	v_cndmask_b32_e32 v26, 0, v26, vcc
	v_cmp_gt_u32_e32 vcc, 60, v32
	v_add_u32_e32 v22, v22, v26
	s_nop 0
	v_cndmask_b32_e64 v26, 0, 1, vcc
	v_lshlrev_b32_e32 v26, 2, v26
	v_add_lshl_u32 v42, v26, v37, 2
	ds_bpermute_b32 v26, v42, v22
	v_cmp_le_u32_e32 vcc, v43, v21
	s_waitcnt lgkmcnt(0)
	s_nop 0
	v_cndmask_b32_e32 v26, 0, v26, vcc
	v_cmp_gt_u32_e32 vcc, 56, v32
	v_add_u32_e32 v22, v22, v26
	s_nop 0
	v_cndmask_b32_e64 v26, 0, 1, vcc
	v_lshlrev_b32_e32 v26, 3, v26
	v_add_lshl_u32 v44, v26, v37, 2
	ds_bpermute_b32 v26, v44, v22
	v_cmp_le_u32_e32 vcc, v45, v21
	s_waitcnt lgkmcnt(0)
	s_nop 0
	;; [unrolled: 11-line block ×4, first 2 shown]
	v_cndmask_b32_e32 v21, 0, v26, vcc
	v_add_u32_e32 v22, v22, v21
	v_mov_b32_e32 v21, 0
	s_branch .LBB1552_338
.LBB1552_337:                           ;   in Loop: Header=BB1552_338 Depth=1
	s_or_b64 exec, exec, s[28:29]
	v_cmp_eq_u16_sdwa s[28:29], v23, v19 src0_sel:BYTE_0 src1_sel:DWORD
	ds_bpermute_b32 v51, v34, v22
	v_subrev_u32_e32 v20, 64, v20
	v_and_b32_e32 v26, s29, v25
	v_or_b32_e32 v26, 0x80000000, v26
	v_and_b32_e32 v27, s28, v24
	v_ffbl_b32_e32 v26, v26
	v_add_u32_e32 v26, 32, v26
	v_ffbl_b32_e32 v27, v27
	v_min_u32_e32 v26, v27, v26
	v_cmp_lt_u32_e32 vcc, v32, v26
	s_waitcnt lgkmcnt(0)
	s_nop 0
	v_cndmask_b32_e32 v27, 0, v51, vcc
	v_add_u32_e32 v22, v27, v22
	ds_bpermute_b32 v27, v40, v22
	v_cmp_le_u32_e32 vcc, v41, v26
	s_waitcnt lgkmcnt(0)
	s_nop 0
	v_cndmask_b32_e32 v27, 0, v27, vcc
	v_add_u32_e32 v22, v22, v27
	ds_bpermute_b32 v27, v42, v22
	v_cmp_le_u32_e32 vcc, v43, v26
	;; [unrolled: 6-line block ×5, first 2 shown]
	s_waitcnt lgkmcnt(0)
	s_nop 0
	v_cndmask_b32_e32 v26, 0, v27, vcc
	v_add3_u32 v22, v26, v46, v22
.LBB1552_338:                           ; =>This Loop Header: Depth=1
                                        ;     Child Loop BB1552_341 Depth 2
	v_cmp_ne_u16_sdwa s[28:29], v23, v19 src0_sel:BYTE_0 src1_sel:DWORD
	v_mov_b32_e32 v46, v22
	s_nop 0
	v_cndmask_b32_e64 v23, 0, 1, s[28:29]
	;;#ASMSTART
	;;#ASMEND
	s_nop 0
	v_cmp_ne_u32_e32 vcc, 0, v23
	s_cmp_lg_u64 vcc, exec
	s_cbranch_scc1 .LBB1552_343
; %bb.339:                              ;   in Loop: Header=BB1552_338 Depth=1
	v_lshl_add_u64 v[26:27], v[20:21], 3, s[30:31]
	global_load_dwordx2 v[22:23], v[26:27], off sc1
	s_waitcnt vmcnt(0)
	v_cmp_eq_u16_sdwa s[36:37], v23, v21 src0_sel:BYTE_0 src1_sel:DWORD
	s_and_saveexec_b64 s[28:29], s[36:37]
	s_cbranch_execz .LBB1552_337
; %bb.340:                              ;   in Loop: Header=BB1552_338 Depth=1
	s_mov_b64 s[36:37], 0
.LBB1552_341:                           ;   Parent Loop BB1552_338 Depth=1
                                        ; =>  This Inner Loop Header: Depth=2
	global_load_dwordx2 v[22:23], v[26:27], off sc1
	s_waitcnt vmcnt(0)
	v_cmp_ne_u16_sdwa s[38:39], v23, v21 src0_sel:BYTE_0 src1_sel:DWORD
	s_or_b64 s[36:37], s[38:39], s[36:37]
	s_andn2_b64 exec, exec, s[36:37]
	s_cbranch_execnz .LBB1552_341
; %bb.342:                              ;   in Loop: Header=BB1552_338 Depth=1
	s_or_b64 exec, exec, s[36:37]
	s_branch .LBB1552_337
.LBB1552_343:                           ;   in Loop: Header=BB1552_338 Depth=1
                                        ; implicit-def: $vgpr22
                                        ; implicit-def: $vgpr23
	s_cbranch_execz .LBB1552_338
; %bb.344:
	s_and_saveexec_b64 s[28:29], s[16:17]
	s_cbranch_execz .LBB1552_346
; %bb.345:
	s_add_i32 s2, s2, 64
	s_mov_b32 s3, 0
	s_lshl_b64 s[2:3], s[2:3], 3
	s_add_u32 s2, s30, s2
	v_add_u32_e32 v20, v46, v18
	v_mov_b32_e32 v21, 2
	s_addc_u32 s3, s31, s3
	v_mov_b32_e32 v19, 0
	global_store_dwordx2 v19, v[20:21], s[2:3] sc1
	s_movk_i32 s2, 0x7000
	v_add_u32_e64 v19, s2, 0
	ds_write2_b32 v19, v18, v46 offset1:2
.LBB1552_346:
	s_or_b64 exec, exec, s[28:29]
	v_cmp_eq_u32_e32 vcc, 0, v0
	s_and_b64 exec, exec, vcc
	s_cbranch_execz .LBB1552_348
; %bb.347:
	v_mov_b32_e32 v18, 0
	ds_write_b32 v18, v46 offset:28
.LBB1552_348:
	s_or_b64 exec, exec, s[26:27]
	v_mov_b32_e32 v18, 0
	s_waitcnt lgkmcnt(0)
	s_barrier
	ds_read_b32 v18, v18 offset:28
	v_cndmask_b32_e64 v19, v30, v28, s[16:17]
	v_cmp_ne_u32_e32 vcc, 0, v0
	s_movk_i32 s2, 0x7000
	s_waitcnt lgkmcnt(0)
	v_cndmask_b32_e32 v19, 0, v19, vcc
	v_add_u32_e32 v34, v18, v19
	v_add_u32_e32 v32, v34, v1
	v_add_u32_e64 v18, s2, 0
	v_add_u32_e32 v30, v32, v29
	s_barrier
	ds_read2_b32 v[18:19], v18 offset1:2
	v_add_u32_e32 v28, v30, v31
	v_add_u32_e32 v26, v28, v33
	;; [unrolled: 1-line block ×4, first 2 shown]
	s_load_dwordx2 s[2:3], s[0:1], 0x28
	v_lshrrev_b64 v[20:21], 24, v[16:17]
	s_branch .LBB1552_359
.LBB1552_349:
                                        ; implicit-def: $vgpr22
                                        ; implicit-def: $vgpr24
                                        ; implicit-def: $vgpr26
                                        ; implicit-def: $vgpr28
                                        ; implicit-def: $vgpr30
                                        ; implicit-def: $vgpr32
                                        ; implicit-def: $vgpr34
                                        ; implicit-def: $vgpr19
	s_load_dwordx2 s[2:3], s[0:1], 0x28
	v_lshrrev_b64 v[20:21], 24, v[16:17]
	s_cbranch_execz .LBB1552_359
; %bb.350:
	s_waitcnt lgkmcnt(0)
	v_mov_b32_dpp v18, v39 row_shr:1 row_mask:0xf bank_mask:0xf
	v_cndmask_b32_e64 v18, v18, 0, s[14:15]
	v_add_u32_e32 v18, v18, v39
	s_nop 1
	v_mov_b32_dpp v19, v18 row_shr:2 row_mask:0xf bank_mask:0xf
	v_cndmask_b32_e64 v19, 0, v19, s[12:13]
	v_add_u32_e32 v18, v18, v19
	s_nop 1
	;; [unrolled: 4-line block ×4, first 2 shown]
	v_mov_b32_dpp v19, v18 row_bcast:15 row_mask:0xf bank_mask:0xf
	v_cndmask_b32_e64 v19, v19, 0, s[6:7]
	v_add_u32_e32 v18, v18, v19
	s_nop 1
	v_mov_b32_dpp v19, v18 row_bcast:31 row_mask:0xf bank_mask:0xf
	v_cndmask_b32_e64 v19, 0, v19, s[18:19]
	v_add_u32_e32 v18, v18, v19
	s_and_saveexec_b64 s[0:1], s[4:5]
	s_cbranch_execz .LBB1552_352
; %bb.351:
	v_lshlrev_b32_e32 v19, 2, v38
	ds_write_b32 v19, v18
.LBB1552_352:
	s_or_b64 exec, exec, s[0:1]
	v_cmp_gt_u32_e32 vcc, 8, v0
	s_waitcnt lgkmcnt(0)
	s_barrier
	s_and_saveexec_b64 s[0:1], vcc
	s_cbranch_execz .LBB1552_354
; %bb.353:
	v_lshlrev_b32_e32 v19, 2, v0
	ds_read_b32 v21, v19
	v_and_b32_e32 v22, 7, v37
	v_cmp_ne_u32_e32 vcc, 0, v22
	s_waitcnt lgkmcnt(0)
	v_mov_b32_dpp v23, v21 row_shr:1 row_mask:0xf bank_mask:0xf
	v_cndmask_b32_e32 v23, 0, v23, vcc
	v_add_u32_e32 v21, v23, v21
	v_cmp_lt_u32_e32 vcc, 1, v22
	s_nop 0
	v_mov_b32_dpp v23, v21 row_shr:2 row_mask:0xf bank_mask:0xf
	v_cndmask_b32_e32 v23, 0, v23, vcc
	v_add_u32_e32 v21, v21, v23
	v_cmp_lt_u32_e32 vcc, 3, v22
	s_nop 0
	v_mov_b32_dpp v23, v21 row_shr:4 row_mask:0xf bank_mask:0xf
	v_cndmask_b32_e32 v22, 0, v23, vcc
	v_add_u32_e32 v21, v21, v22
	ds_write_b32 v19, v21
.LBB1552_354:
	s_or_b64 exec, exec, s[0:1]
	v_cmp_lt_u32_e32 vcc, 63, v0
	v_mov_b32_e32 v19, 0
	v_mov_b32_e32 v21, 0
	s_waitcnt lgkmcnt(0)
	s_barrier
	s_and_saveexec_b64 s[0:1], vcc
	s_cbranch_execz .LBB1552_356
; %bb.355:
	v_lshl_add_u32 v21, v38, 2, -4
	ds_read_b32 v21, v21
.LBB1552_356:
	s_or_b64 exec, exec, s[0:1]
	v_add_u32_e32 v22, -1, v37
	v_and_b32_e32 v23, 64, v37
	v_cmp_lt_i32_e32 vcc, v22, v23
	s_waitcnt lgkmcnt(0)
	v_add_u32_e32 v18, v21, v18
	v_cndmask_b32_e32 v22, v22, v37, vcc
	v_lshlrev_b32_e32 v22, 2, v22
	ds_bpermute_b32 v22, v22, v18
	ds_read_b32 v18, v19 offset:28
	v_cmp_eq_u32_e32 vcc, 0, v0
	s_and_saveexec_b64 s[0:1], vcc
	s_cbranch_execz .LBB1552_358
; %bb.357:
	v_mov_b32_e32 v23, 0
	v_mov_b32_e32 v19, 2
	s_waitcnt lgkmcnt(0)
	global_store_dwordx2 v23, v[18:19], s[30:31] offset:512 sc1
.LBB1552_358:
	s_or_b64 exec, exec, s[0:1]
	v_cmp_eq_u32_e64 s[0:1], 0, v37
	v_mov_b32_e32 v19, 0
	s_waitcnt lgkmcnt(0)
	v_cndmask_b32_e64 v21, v22, v21, s[0:1]
	v_cndmask_b32_e64 v34, v21, 0, vcc
	v_add_u32_e32 v32, v34, v1
	v_add_u32_e32 v30, v32, v29
	;; [unrolled: 1-line block ×6, first 2 shown]
	s_barrier
.LBB1552_359:
	s_movk_i32 s0, 0x201
	s_waitcnt lgkmcnt(0)
	v_cmp_gt_u32_e32 vcc, s0, v18
	v_lshrrev_b32_e32 v21, 8, v16
	v_lshrrev_b32_e32 v1, 8, v17
	s_mov_b64 s[0:1], -1
	s_cbranch_vccnz .LBB1552_363
; %bb.360:
	s_and_b64 vcc, exec, s[0:1]
	s_cbranch_vccnz .LBB1552_385
.LBB1552_361:
	v_cmp_eq_u32_e32 vcc, 0, v0
	s_and_b64 s[0:1], vcc, s[24:25]
	s_and_saveexec_b64 s[2:3], s[0:1]
	s_cbranch_execnz .LBB1552_403
.LBB1552_362:
	s_endpgm
.LBB1552_363:
	v_add_u32_e32 v23, v19, v18
	v_cmp_lt_u32_e32 vcc, v34, v23
	s_or_b64 s[4:5], s[34:35], vcc
	s_and_saveexec_b64 s[0:1], s[4:5]
	s_cbranch_execz .LBB1552_366
; %bb.364:
	v_and_b32_e32 v25, 1, v16
	v_cmp_eq_u32_e32 vcc, 1, v25
	s_and_b64 exec, exec, vcc
	s_cbranch_execz .LBB1552_366
; %bb.365:
	s_lshl_b64 s[4:5], s[22:23], 3
	s_add_u32 s4, s2, s4
	s_addc_u32 s5, s3, s5
	v_mov_b32_e32 v35, 0
	v_lshl_add_u64 v[36:37], v[34:35], 3, s[4:5]
	global_store_dwordx2 v[36:37], v[10:11], off
.LBB1552_366:
	s_or_b64 exec, exec, s[0:1]
	v_cmp_lt_u32_e32 vcc, v32, v23
	s_or_b64 s[4:5], s[34:35], vcc
	s_and_saveexec_b64 s[0:1], s[4:5]
	s_cbranch_execz .LBB1552_369
; %bb.367:
	v_and_b32_e32 v25, 1, v21
	v_cmp_eq_u32_e32 vcc, 1, v25
	s_and_b64 exec, exec, vcc
	s_cbranch_execz .LBB1552_369
; %bb.368:
	s_lshl_b64 s[4:5], s[22:23], 3
	s_add_u32 s4, s2, s4
	s_addc_u32 s5, s3, s5
	v_mov_b32_e32 v33, 0
	v_lshl_add_u64 v[36:37], v[32:33], 3, s[4:5]
	global_store_dwordx2 v[36:37], v[12:13], off
.LBB1552_369:
	s_or_b64 exec, exec, s[0:1]
	v_cmp_lt_u32_e32 vcc, v30, v23
	s_or_b64 s[4:5], s[34:35], vcc
	s_and_saveexec_b64 s[0:1], s[4:5]
	s_cbranch_execz .LBB1552_372
; %bb.370:
	v_mov_b32_e32 v25, 1
	v_and_b32_sdwa v25, v25, v16 dst_sel:DWORD dst_unused:UNUSED_PAD src0_sel:DWORD src1_sel:WORD_1
	v_cmp_eq_u32_e32 vcc, 1, v25
	s_and_b64 exec, exec, vcc
	s_cbranch_execz .LBB1552_372
; %bb.371:
	s_lshl_b64 s[4:5], s[22:23], 3
	s_add_u32 s4, s2, s4
	s_addc_u32 s5, s3, s5
	v_mov_b32_e32 v31, 0
	v_lshl_add_u64 v[36:37], v[30:31], 3, s[4:5]
	global_store_dwordx2 v[36:37], v[6:7], off
.LBB1552_372:
	s_or_b64 exec, exec, s[0:1]
	v_cmp_lt_u32_e32 vcc, v28, v23
	s_or_b64 s[4:5], s[34:35], vcc
	s_and_saveexec_b64 s[0:1], s[4:5]
	s_cbranch_execz .LBB1552_375
; %bb.373:
	v_and_b32_e32 v25, 1, v20
	v_cmp_eq_u32_e32 vcc, 1, v25
	s_and_b64 exec, exec, vcc
	s_cbranch_execz .LBB1552_375
; %bb.374:
	s_lshl_b64 s[4:5], s[22:23], 3
	s_add_u32 s4, s2, s4
	s_addc_u32 s5, s3, s5
	v_mov_b32_e32 v29, 0
	v_lshl_add_u64 v[36:37], v[28:29], 3, s[4:5]
	global_store_dwordx2 v[36:37], v[8:9], off
.LBB1552_375:
	s_or_b64 exec, exec, s[0:1]
	v_cmp_lt_u32_e32 vcc, v26, v23
	s_or_b64 s[4:5], s[34:35], vcc
	s_and_saveexec_b64 s[0:1], s[4:5]
	s_cbranch_execz .LBB1552_378
; %bb.376:
	v_and_b32_e32 v25, 1, v17
	v_cmp_eq_u32_e32 vcc, 1, v25
	s_and_b64 exec, exec, vcc
	s_cbranch_execz .LBB1552_378
; %bb.377:
	s_lshl_b64 s[4:5], s[22:23], 3
	s_add_u32 s4, s2, s4
	s_addc_u32 s5, s3, s5
	v_mov_b32_e32 v27, 0
	v_lshl_add_u64 v[36:37], v[26:27], 3, s[4:5]
	global_store_dwordx2 v[36:37], v[2:3], off
.LBB1552_378:
	;; [unrolled: 18-line block ×3, first 2 shown]
	s_or_b64 exec, exec, s[0:1]
	v_cmp_lt_u32_e32 vcc, v22, v23
	s_or_b64 s[4:5], s[34:35], vcc
	s_and_saveexec_b64 s[0:1], s[4:5]
	s_cbranch_execz .LBB1552_384
; %bb.382:
	v_mov_b32_e32 v23, 1
	v_and_b32_sdwa v23, v23, v17 dst_sel:DWORD dst_unused:UNUSED_PAD src0_sel:DWORD src1_sel:WORD_1
	v_cmp_eq_u32_e32 vcc, 1, v23
	s_and_b64 exec, exec, vcc
	s_cbranch_execz .LBB1552_384
; %bb.383:
	s_lshl_b64 s[4:5], s[22:23], 3
	s_add_u32 s4, s2, s4
	s_addc_u32 s5, s3, s5
	v_mov_b32_e32 v23, 0
	v_lshl_add_u64 v[36:37], v[22:23], 3, s[4:5]
	global_store_dwordx2 v[36:37], v[14:15], off
.LBB1552_384:
	s_or_b64 exec, exec, s[0:1]
	s_branch .LBB1552_361
.LBB1552_385:
	v_and_b32_e32 v23, 1, v16
	v_cmp_eq_u32_e32 vcc, 1, v23
	s_and_saveexec_b64 s[0:1], vcc
	s_cbranch_execz .LBB1552_387
; %bb.386:
	v_sub_u32_e32 v23, v34, v19
	v_lshlrev_b32_e32 v23, 3, v23
	ds_write_b64 v23, v[10:11]
.LBB1552_387:
	s_or_b64 exec, exec, s[0:1]
	v_and_b32_e32 v10, 1, v21
	v_cmp_eq_u32_e32 vcc, 1, v10
	s_and_saveexec_b64 s[0:1], vcc
	s_cbranch_execz .LBB1552_389
; %bb.388:
	v_sub_u32_e32 v10, v32, v19
	v_lshlrev_b32_e32 v10, 3, v10
	ds_write_b64 v10, v[12:13]
.LBB1552_389:
	s_or_b64 exec, exec, s[0:1]
	v_mov_b32_e32 v10, 1
	v_and_b32_sdwa v10, v10, v16 dst_sel:DWORD dst_unused:UNUSED_PAD src0_sel:DWORD src1_sel:WORD_1
	v_cmp_eq_u32_e32 vcc, 1, v10
	s_and_saveexec_b64 s[0:1], vcc
	s_cbranch_execz .LBB1552_391
; %bb.390:
	v_sub_u32_e32 v10, v30, v19
	v_lshlrev_b32_e32 v10, 3, v10
	ds_write_b64 v10, v[6:7]
.LBB1552_391:
	s_or_b64 exec, exec, s[0:1]
	v_and_b32_e32 v6, 1, v20
	v_cmp_eq_u32_e32 vcc, 1, v6
	s_and_saveexec_b64 s[0:1], vcc
	s_cbranch_execz .LBB1552_393
; %bb.392:
	v_sub_u32_e32 v6, v28, v19
	v_lshlrev_b32_e32 v6, 3, v6
	ds_write_b64 v6, v[8:9]
.LBB1552_393:
	s_or_b64 exec, exec, s[0:1]
	v_and_b32_e32 v6, 1, v17
	;; [unrolled: 10-line block ×3, first 2 shown]
	v_cmp_eq_u32_e32 vcc, 1, v1
	s_and_saveexec_b64 s[0:1], vcc
	s_cbranch_execz .LBB1552_397
; %bb.396:
	v_sub_u32_e32 v1, v24, v19
	v_lshlrev_b32_e32 v1, 3, v1
	ds_write_b64 v1, v[4:5]
.LBB1552_397:
	s_or_b64 exec, exec, s[0:1]
	v_mov_b32_e32 v1, 1
	v_and_b32_sdwa v1, v1, v17 dst_sel:DWORD dst_unused:UNUSED_PAD src0_sel:DWORD src1_sel:WORD_1
	v_cmp_eq_u32_e32 vcc, 1, v1
	s_and_saveexec_b64 s[0:1], vcc
	s_cbranch_execz .LBB1552_399
; %bb.398:
	v_sub_u32_e32 v1, v22, v19
	v_lshlrev_b32_e32 v1, 3, v1
	ds_write_b64 v1, v[14:15]
.LBB1552_399:
	s_or_b64 exec, exec, s[0:1]
	v_cmp_lt_u32_e32 vcc, v0, v18
	s_waitcnt lgkmcnt(0)
	s_barrier
	s_and_saveexec_b64 s[0:1], vcc
	s_cbranch_execz .LBB1552_402
; %bb.400:
	v_mov_b32_e32 v5, 0
	v_mov_b32_e32 v4, v19
	s_lshl_b64 s[4:5], s[22:23], 3
	v_lshlrev_b64 v[6:7], 3, v[4:5]
	v_lshl_add_u64 v[6:7], s[4:5], 0, v[6:7]
	v_lshlrev_b32_e32 v2, 3, v0
	v_mov_b32_e32 v3, v5
	v_lshl_add_u64 v[4:5], s[2:3], 0, v[6:7]
	v_lshl_add_u64 v[4:5], v[4:5], 0, v[2:3]
	s_mov_b64 s[2:3], 0
	s_mov_b64 s[4:5], 0x1000
	v_mov_b32_e32 v1, v0
.LBB1552_401:                           ; =>This Inner Loop Header: Depth=1
	ds_read_b64 v[6:7], v2
	v_add_u32_e32 v1, 0x200, v1
	v_cmp_ge_u32_e32 vcc, v1, v18
	v_add_u32_e32 v2, 0x1000, v2
	s_or_b64 s[2:3], vcc, s[2:3]
	s_waitcnt lgkmcnt(0)
	global_store_dwordx2 v[4:5], v[6:7], off
	v_lshl_add_u64 v[4:5], v[4:5], 0, s[4:5]
	s_andn2_b64 exec, exec, s[2:3]
	s_cbranch_execnz .LBB1552_401
.LBB1552_402:
	s_or_b64 exec, exec, s[0:1]
	v_cmp_eq_u32_e32 vcc, 0, v0
	s_and_b64 s[0:1], vcc, s[24:25]
	s_and_saveexec_b64 s[2:3], s[0:1]
	s_cbranch_execz .LBB1552_362
.LBB1552_403:
	v_mov_b32_e32 v1, 0
	v_mov_b32_e32 v0, v18
	v_lshl_add_u64 v[2:3], s[22:23], 0, v[0:1]
	v_mov_b32_e32 v0, v19
	v_lshl_add_u64 v[2:3], v[2:3], 0, v[0:1]
	global_store_dwordx2 v1, v[2:3], s[20:21]
	s_endpgm
	.section	.rodata,"a",@progbits
	.p2align	6, 0x0
	.amdhsa_kernel _ZN7rocprim17ROCPRIM_400000_NS6detail17trampoline_kernelINS0_14default_configENS1_25partition_config_selectorILNS1_17partition_subalgoE8ElNS0_10empty_typeEbEEZZNS1_14partition_implILS5_8ELb0ES3_jPlPS6_PKS6_NS0_5tupleIJS9_S6_EEENSD_IJSA_SA_EEENS0_18inequality_wrapperIZN2at6native12_GLOBAL__N_124unique_dim_cuda_templateIjEESt5tupleIJNSH_6TensorESM_SM_EERKSM_lbbbEUlllE0_EEPmJS6_EEE10hipError_tPvRmT3_T4_T5_T6_T7_T9_mT8_P12ihipStream_tbDpT10_ENKUlT_T0_E_clISt17integral_constantIbLb0EES1C_EEDaS17_S18_EUlS17_E_NS1_11comp_targetILNS1_3genE5ELNS1_11target_archE942ELNS1_3gpuE9ELNS1_3repE0EEENS1_30default_config_static_selectorELNS0_4arch9wavefront6targetE1EEEvT1_
		.amdhsa_group_segment_fixed_size 28684
		.amdhsa_private_segment_fixed_size 0
		.amdhsa_kernarg_size 120
		.amdhsa_user_sgpr_count 2
		.amdhsa_user_sgpr_dispatch_ptr 0
		.amdhsa_user_sgpr_queue_ptr 0
		.amdhsa_user_sgpr_kernarg_segment_ptr 1
		.amdhsa_user_sgpr_dispatch_id 0
		.amdhsa_user_sgpr_kernarg_preload_length 0
		.amdhsa_user_sgpr_kernarg_preload_offset 0
		.amdhsa_user_sgpr_private_segment_size 0
		.amdhsa_uses_dynamic_stack 0
		.amdhsa_enable_private_segment 0
		.amdhsa_system_sgpr_workgroup_id_x 1
		.amdhsa_system_sgpr_workgroup_id_y 0
		.amdhsa_system_sgpr_workgroup_id_z 0
		.amdhsa_system_sgpr_workgroup_info 0
		.amdhsa_system_vgpr_workitem_id 0
		.amdhsa_next_free_vgpr 52
		.amdhsa_next_free_sgpr 52
		.amdhsa_accum_offset 52
		.amdhsa_reserve_vcc 1
		.amdhsa_float_round_mode_32 0
		.amdhsa_float_round_mode_16_64 0
		.amdhsa_float_denorm_mode_32 3
		.amdhsa_float_denorm_mode_16_64 3
		.amdhsa_dx10_clamp 1
		.amdhsa_ieee_mode 1
		.amdhsa_fp16_overflow 0
		.amdhsa_tg_split 0
		.amdhsa_exception_fp_ieee_invalid_op 0
		.amdhsa_exception_fp_denorm_src 0
		.amdhsa_exception_fp_ieee_div_zero 0
		.amdhsa_exception_fp_ieee_overflow 0
		.amdhsa_exception_fp_ieee_underflow 0
		.amdhsa_exception_fp_ieee_inexact 0
		.amdhsa_exception_int_div_zero 0
	.end_amdhsa_kernel
	.section	.text._ZN7rocprim17ROCPRIM_400000_NS6detail17trampoline_kernelINS0_14default_configENS1_25partition_config_selectorILNS1_17partition_subalgoE8ElNS0_10empty_typeEbEEZZNS1_14partition_implILS5_8ELb0ES3_jPlPS6_PKS6_NS0_5tupleIJS9_S6_EEENSD_IJSA_SA_EEENS0_18inequality_wrapperIZN2at6native12_GLOBAL__N_124unique_dim_cuda_templateIjEESt5tupleIJNSH_6TensorESM_SM_EERKSM_lbbbEUlllE0_EEPmJS6_EEE10hipError_tPvRmT3_T4_T5_T6_T7_T9_mT8_P12ihipStream_tbDpT10_ENKUlT_T0_E_clISt17integral_constantIbLb0EES1C_EEDaS17_S18_EUlS17_E_NS1_11comp_targetILNS1_3genE5ELNS1_11target_archE942ELNS1_3gpuE9ELNS1_3repE0EEENS1_30default_config_static_selectorELNS0_4arch9wavefront6targetE1EEEvT1_,"axG",@progbits,_ZN7rocprim17ROCPRIM_400000_NS6detail17trampoline_kernelINS0_14default_configENS1_25partition_config_selectorILNS1_17partition_subalgoE8ElNS0_10empty_typeEbEEZZNS1_14partition_implILS5_8ELb0ES3_jPlPS6_PKS6_NS0_5tupleIJS9_S6_EEENSD_IJSA_SA_EEENS0_18inequality_wrapperIZN2at6native12_GLOBAL__N_124unique_dim_cuda_templateIjEESt5tupleIJNSH_6TensorESM_SM_EERKSM_lbbbEUlllE0_EEPmJS6_EEE10hipError_tPvRmT3_T4_T5_T6_T7_T9_mT8_P12ihipStream_tbDpT10_ENKUlT_T0_E_clISt17integral_constantIbLb0EES1C_EEDaS17_S18_EUlS17_E_NS1_11comp_targetILNS1_3genE5ELNS1_11target_archE942ELNS1_3gpuE9ELNS1_3repE0EEENS1_30default_config_static_selectorELNS0_4arch9wavefront6targetE1EEEvT1_,comdat
.Lfunc_end1552:
	.size	_ZN7rocprim17ROCPRIM_400000_NS6detail17trampoline_kernelINS0_14default_configENS1_25partition_config_selectorILNS1_17partition_subalgoE8ElNS0_10empty_typeEbEEZZNS1_14partition_implILS5_8ELb0ES3_jPlPS6_PKS6_NS0_5tupleIJS9_S6_EEENSD_IJSA_SA_EEENS0_18inequality_wrapperIZN2at6native12_GLOBAL__N_124unique_dim_cuda_templateIjEESt5tupleIJNSH_6TensorESM_SM_EERKSM_lbbbEUlllE0_EEPmJS6_EEE10hipError_tPvRmT3_T4_T5_T6_T7_T9_mT8_P12ihipStream_tbDpT10_ENKUlT_T0_E_clISt17integral_constantIbLb0EES1C_EEDaS17_S18_EUlS17_E_NS1_11comp_targetILNS1_3genE5ELNS1_11target_archE942ELNS1_3gpuE9ELNS1_3repE0EEENS1_30default_config_static_selectorELNS0_4arch9wavefront6targetE1EEEvT1_, .Lfunc_end1552-_ZN7rocprim17ROCPRIM_400000_NS6detail17trampoline_kernelINS0_14default_configENS1_25partition_config_selectorILNS1_17partition_subalgoE8ElNS0_10empty_typeEbEEZZNS1_14partition_implILS5_8ELb0ES3_jPlPS6_PKS6_NS0_5tupleIJS9_S6_EEENSD_IJSA_SA_EEENS0_18inequality_wrapperIZN2at6native12_GLOBAL__N_124unique_dim_cuda_templateIjEESt5tupleIJNSH_6TensorESM_SM_EERKSM_lbbbEUlllE0_EEPmJS6_EEE10hipError_tPvRmT3_T4_T5_T6_T7_T9_mT8_P12ihipStream_tbDpT10_ENKUlT_T0_E_clISt17integral_constantIbLb0EES1C_EEDaS17_S18_EUlS17_E_NS1_11comp_targetILNS1_3genE5ELNS1_11target_archE942ELNS1_3gpuE9ELNS1_3repE0EEENS1_30default_config_static_selectorELNS0_4arch9wavefront6targetE1EEEvT1_
                                        ; -- End function
	.section	.AMDGPU.csdata,"",@progbits
; Kernel info:
; codeLenInByte = 12836
; NumSgprs: 58
; NumVgprs: 52
; NumAgprs: 0
; TotalNumVgprs: 52
; ScratchSize: 0
; MemoryBound: 0
; FloatMode: 240
; IeeeMode: 1
; LDSByteSize: 28684 bytes/workgroup (compile time only)
; SGPRBlocks: 7
; VGPRBlocks: 6
; NumSGPRsForWavesPerEU: 58
; NumVGPRsForWavesPerEU: 52
; AccumOffset: 52
; Occupancy: 4
; WaveLimiterHint : 1
; COMPUTE_PGM_RSRC2:SCRATCH_EN: 0
; COMPUTE_PGM_RSRC2:USER_SGPR: 2
; COMPUTE_PGM_RSRC2:TRAP_HANDLER: 0
; COMPUTE_PGM_RSRC2:TGID_X_EN: 1
; COMPUTE_PGM_RSRC2:TGID_Y_EN: 0
; COMPUTE_PGM_RSRC2:TGID_Z_EN: 0
; COMPUTE_PGM_RSRC2:TIDIG_COMP_CNT: 0
; COMPUTE_PGM_RSRC3_GFX90A:ACCUM_OFFSET: 12
; COMPUTE_PGM_RSRC3_GFX90A:TG_SPLIT: 0
	.section	.text._ZN7rocprim17ROCPRIM_400000_NS6detail17trampoline_kernelINS0_14default_configENS1_25partition_config_selectorILNS1_17partition_subalgoE8ElNS0_10empty_typeEbEEZZNS1_14partition_implILS5_8ELb0ES3_jPlPS6_PKS6_NS0_5tupleIJS9_S6_EEENSD_IJSA_SA_EEENS0_18inequality_wrapperIZN2at6native12_GLOBAL__N_124unique_dim_cuda_templateIjEESt5tupleIJNSH_6TensorESM_SM_EERKSM_lbbbEUlllE0_EEPmJS6_EEE10hipError_tPvRmT3_T4_T5_T6_T7_T9_mT8_P12ihipStream_tbDpT10_ENKUlT_T0_E_clISt17integral_constantIbLb0EES1C_EEDaS17_S18_EUlS17_E_NS1_11comp_targetILNS1_3genE4ELNS1_11target_archE910ELNS1_3gpuE8ELNS1_3repE0EEENS1_30default_config_static_selectorELNS0_4arch9wavefront6targetE1EEEvT1_,"axG",@progbits,_ZN7rocprim17ROCPRIM_400000_NS6detail17trampoline_kernelINS0_14default_configENS1_25partition_config_selectorILNS1_17partition_subalgoE8ElNS0_10empty_typeEbEEZZNS1_14partition_implILS5_8ELb0ES3_jPlPS6_PKS6_NS0_5tupleIJS9_S6_EEENSD_IJSA_SA_EEENS0_18inequality_wrapperIZN2at6native12_GLOBAL__N_124unique_dim_cuda_templateIjEESt5tupleIJNSH_6TensorESM_SM_EERKSM_lbbbEUlllE0_EEPmJS6_EEE10hipError_tPvRmT3_T4_T5_T6_T7_T9_mT8_P12ihipStream_tbDpT10_ENKUlT_T0_E_clISt17integral_constantIbLb0EES1C_EEDaS17_S18_EUlS17_E_NS1_11comp_targetILNS1_3genE4ELNS1_11target_archE910ELNS1_3gpuE8ELNS1_3repE0EEENS1_30default_config_static_selectorELNS0_4arch9wavefront6targetE1EEEvT1_,comdat
	.globl	_ZN7rocprim17ROCPRIM_400000_NS6detail17trampoline_kernelINS0_14default_configENS1_25partition_config_selectorILNS1_17partition_subalgoE8ElNS0_10empty_typeEbEEZZNS1_14partition_implILS5_8ELb0ES3_jPlPS6_PKS6_NS0_5tupleIJS9_S6_EEENSD_IJSA_SA_EEENS0_18inequality_wrapperIZN2at6native12_GLOBAL__N_124unique_dim_cuda_templateIjEESt5tupleIJNSH_6TensorESM_SM_EERKSM_lbbbEUlllE0_EEPmJS6_EEE10hipError_tPvRmT3_T4_T5_T6_T7_T9_mT8_P12ihipStream_tbDpT10_ENKUlT_T0_E_clISt17integral_constantIbLb0EES1C_EEDaS17_S18_EUlS17_E_NS1_11comp_targetILNS1_3genE4ELNS1_11target_archE910ELNS1_3gpuE8ELNS1_3repE0EEENS1_30default_config_static_selectorELNS0_4arch9wavefront6targetE1EEEvT1_ ; -- Begin function _ZN7rocprim17ROCPRIM_400000_NS6detail17trampoline_kernelINS0_14default_configENS1_25partition_config_selectorILNS1_17partition_subalgoE8ElNS0_10empty_typeEbEEZZNS1_14partition_implILS5_8ELb0ES3_jPlPS6_PKS6_NS0_5tupleIJS9_S6_EEENSD_IJSA_SA_EEENS0_18inequality_wrapperIZN2at6native12_GLOBAL__N_124unique_dim_cuda_templateIjEESt5tupleIJNSH_6TensorESM_SM_EERKSM_lbbbEUlllE0_EEPmJS6_EEE10hipError_tPvRmT3_T4_T5_T6_T7_T9_mT8_P12ihipStream_tbDpT10_ENKUlT_T0_E_clISt17integral_constantIbLb0EES1C_EEDaS17_S18_EUlS17_E_NS1_11comp_targetILNS1_3genE4ELNS1_11target_archE910ELNS1_3gpuE8ELNS1_3repE0EEENS1_30default_config_static_selectorELNS0_4arch9wavefront6targetE1EEEvT1_
	.p2align	8
	.type	_ZN7rocprim17ROCPRIM_400000_NS6detail17trampoline_kernelINS0_14default_configENS1_25partition_config_selectorILNS1_17partition_subalgoE8ElNS0_10empty_typeEbEEZZNS1_14partition_implILS5_8ELb0ES3_jPlPS6_PKS6_NS0_5tupleIJS9_S6_EEENSD_IJSA_SA_EEENS0_18inequality_wrapperIZN2at6native12_GLOBAL__N_124unique_dim_cuda_templateIjEESt5tupleIJNSH_6TensorESM_SM_EERKSM_lbbbEUlllE0_EEPmJS6_EEE10hipError_tPvRmT3_T4_T5_T6_T7_T9_mT8_P12ihipStream_tbDpT10_ENKUlT_T0_E_clISt17integral_constantIbLb0EES1C_EEDaS17_S18_EUlS17_E_NS1_11comp_targetILNS1_3genE4ELNS1_11target_archE910ELNS1_3gpuE8ELNS1_3repE0EEENS1_30default_config_static_selectorELNS0_4arch9wavefront6targetE1EEEvT1_,@function
_ZN7rocprim17ROCPRIM_400000_NS6detail17trampoline_kernelINS0_14default_configENS1_25partition_config_selectorILNS1_17partition_subalgoE8ElNS0_10empty_typeEbEEZZNS1_14partition_implILS5_8ELb0ES3_jPlPS6_PKS6_NS0_5tupleIJS9_S6_EEENSD_IJSA_SA_EEENS0_18inequality_wrapperIZN2at6native12_GLOBAL__N_124unique_dim_cuda_templateIjEESt5tupleIJNSH_6TensorESM_SM_EERKSM_lbbbEUlllE0_EEPmJS6_EEE10hipError_tPvRmT3_T4_T5_T6_T7_T9_mT8_P12ihipStream_tbDpT10_ENKUlT_T0_E_clISt17integral_constantIbLb0EES1C_EEDaS17_S18_EUlS17_E_NS1_11comp_targetILNS1_3genE4ELNS1_11target_archE910ELNS1_3gpuE8ELNS1_3repE0EEENS1_30default_config_static_selectorELNS0_4arch9wavefront6targetE1EEEvT1_: ; @_ZN7rocprim17ROCPRIM_400000_NS6detail17trampoline_kernelINS0_14default_configENS1_25partition_config_selectorILNS1_17partition_subalgoE8ElNS0_10empty_typeEbEEZZNS1_14partition_implILS5_8ELb0ES3_jPlPS6_PKS6_NS0_5tupleIJS9_S6_EEENSD_IJSA_SA_EEENS0_18inequality_wrapperIZN2at6native12_GLOBAL__N_124unique_dim_cuda_templateIjEESt5tupleIJNSH_6TensorESM_SM_EERKSM_lbbbEUlllE0_EEPmJS6_EEE10hipError_tPvRmT3_T4_T5_T6_T7_T9_mT8_P12ihipStream_tbDpT10_ENKUlT_T0_E_clISt17integral_constantIbLb0EES1C_EEDaS17_S18_EUlS17_E_NS1_11comp_targetILNS1_3genE4ELNS1_11target_archE910ELNS1_3gpuE8ELNS1_3repE0EEENS1_30default_config_static_selectorELNS0_4arch9wavefront6targetE1EEEvT1_
; %bb.0:
	.section	.rodata,"a",@progbits
	.p2align	6, 0x0
	.amdhsa_kernel _ZN7rocprim17ROCPRIM_400000_NS6detail17trampoline_kernelINS0_14default_configENS1_25partition_config_selectorILNS1_17partition_subalgoE8ElNS0_10empty_typeEbEEZZNS1_14partition_implILS5_8ELb0ES3_jPlPS6_PKS6_NS0_5tupleIJS9_S6_EEENSD_IJSA_SA_EEENS0_18inequality_wrapperIZN2at6native12_GLOBAL__N_124unique_dim_cuda_templateIjEESt5tupleIJNSH_6TensorESM_SM_EERKSM_lbbbEUlllE0_EEPmJS6_EEE10hipError_tPvRmT3_T4_T5_T6_T7_T9_mT8_P12ihipStream_tbDpT10_ENKUlT_T0_E_clISt17integral_constantIbLb0EES1C_EEDaS17_S18_EUlS17_E_NS1_11comp_targetILNS1_3genE4ELNS1_11target_archE910ELNS1_3gpuE8ELNS1_3repE0EEENS1_30default_config_static_selectorELNS0_4arch9wavefront6targetE1EEEvT1_
		.amdhsa_group_segment_fixed_size 0
		.amdhsa_private_segment_fixed_size 0
		.amdhsa_kernarg_size 120
		.amdhsa_user_sgpr_count 2
		.amdhsa_user_sgpr_dispatch_ptr 0
		.amdhsa_user_sgpr_queue_ptr 0
		.amdhsa_user_sgpr_kernarg_segment_ptr 1
		.amdhsa_user_sgpr_dispatch_id 0
		.amdhsa_user_sgpr_kernarg_preload_length 0
		.amdhsa_user_sgpr_kernarg_preload_offset 0
		.amdhsa_user_sgpr_private_segment_size 0
		.amdhsa_uses_dynamic_stack 0
		.amdhsa_enable_private_segment 0
		.amdhsa_system_sgpr_workgroup_id_x 1
		.amdhsa_system_sgpr_workgroup_id_y 0
		.amdhsa_system_sgpr_workgroup_id_z 0
		.amdhsa_system_sgpr_workgroup_info 0
		.amdhsa_system_vgpr_workitem_id 0
		.amdhsa_next_free_vgpr 1
		.amdhsa_next_free_sgpr 0
		.amdhsa_accum_offset 4
		.amdhsa_reserve_vcc 0
		.amdhsa_float_round_mode_32 0
		.amdhsa_float_round_mode_16_64 0
		.amdhsa_float_denorm_mode_32 3
		.amdhsa_float_denorm_mode_16_64 3
		.amdhsa_dx10_clamp 1
		.amdhsa_ieee_mode 1
		.amdhsa_fp16_overflow 0
		.amdhsa_tg_split 0
		.amdhsa_exception_fp_ieee_invalid_op 0
		.amdhsa_exception_fp_denorm_src 0
		.amdhsa_exception_fp_ieee_div_zero 0
		.amdhsa_exception_fp_ieee_overflow 0
		.amdhsa_exception_fp_ieee_underflow 0
		.amdhsa_exception_fp_ieee_inexact 0
		.amdhsa_exception_int_div_zero 0
	.end_amdhsa_kernel
	.section	.text._ZN7rocprim17ROCPRIM_400000_NS6detail17trampoline_kernelINS0_14default_configENS1_25partition_config_selectorILNS1_17partition_subalgoE8ElNS0_10empty_typeEbEEZZNS1_14partition_implILS5_8ELb0ES3_jPlPS6_PKS6_NS0_5tupleIJS9_S6_EEENSD_IJSA_SA_EEENS0_18inequality_wrapperIZN2at6native12_GLOBAL__N_124unique_dim_cuda_templateIjEESt5tupleIJNSH_6TensorESM_SM_EERKSM_lbbbEUlllE0_EEPmJS6_EEE10hipError_tPvRmT3_T4_T5_T6_T7_T9_mT8_P12ihipStream_tbDpT10_ENKUlT_T0_E_clISt17integral_constantIbLb0EES1C_EEDaS17_S18_EUlS17_E_NS1_11comp_targetILNS1_3genE4ELNS1_11target_archE910ELNS1_3gpuE8ELNS1_3repE0EEENS1_30default_config_static_selectorELNS0_4arch9wavefront6targetE1EEEvT1_,"axG",@progbits,_ZN7rocprim17ROCPRIM_400000_NS6detail17trampoline_kernelINS0_14default_configENS1_25partition_config_selectorILNS1_17partition_subalgoE8ElNS0_10empty_typeEbEEZZNS1_14partition_implILS5_8ELb0ES3_jPlPS6_PKS6_NS0_5tupleIJS9_S6_EEENSD_IJSA_SA_EEENS0_18inequality_wrapperIZN2at6native12_GLOBAL__N_124unique_dim_cuda_templateIjEESt5tupleIJNSH_6TensorESM_SM_EERKSM_lbbbEUlllE0_EEPmJS6_EEE10hipError_tPvRmT3_T4_T5_T6_T7_T9_mT8_P12ihipStream_tbDpT10_ENKUlT_T0_E_clISt17integral_constantIbLb0EES1C_EEDaS17_S18_EUlS17_E_NS1_11comp_targetILNS1_3genE4ELNS1_11target_archE910ELNS1_3gpuE8ELNS1_3repE0EEENS1_30default_config_static_selectorELNS0_4arch9wavefront6targetE1EEEvT1_,comdat
.Lfunc_end1553:
	.size	_ZN7rocprim17ROCPRIM_400000_NS6detail17trampoline_kernelINS0_14default_configENS1_25partition_config_selectorILNS1_17partition_subalgoE8ElNS0_10empty_typeEbEEZZNS1_14partition_implILS5_8ELb0ES3_jPlPS6_PKS6_NS0_5tupleIJS9_S6_EEENSD_IJSA_SA_EEENS0_18inequality_wrapperIZN2at6native12_GLOBAL__N_124unique_dim_cuda_templateIjEESt5tupleIJNSH_6TensorESM_SM_EERKSM_lbbbEUlllE0_EEPmJS6_EEE10hipError_tPvRmT3_T4_T5_T6_T7_T9_mT8_P12ihipStream_tbDpT10_ENKUlT_T0_E_clISt17integral_constantIbLb0EES1C_EEDaS17_S18_EUlS17_E_NS1_11comp_targetILNS1_3genE4ELNS1_11target_archE910ELNS1_3gpuE8ELNS1_3repE0EEENS1_30default_config_static_selectorELNS0_4arch9wavefront6targetE1EEEvT1_, .Lfunc_end1553-_ZN7rocprim17ROCPRIM_400000_NS6detail17trampoline_kernelINS0_14default_configENS1_25partition_config_selectorILNS1_17partition_subalgoE8ElNS0_10empty_typeEbEEZZNS1_14partition_implILS5_8ELb0ES3_jPlPS6_PKS6_NS0_5tupleIJS9_S6_EEENSD_IJSA_SA_EEENS0_18inequality_wrapperIZN2at6native12_GLOBAL__N_124unique_dim_cuda_templateIjEESt5tupleIJNSH_6TensorESM_SM_EERKSM_lbbbEUlllE0_EEPmJS6_EEE10hipError_tPvRmT3_T4_T5_T6_T7_T9_mT8_P12ihipStream_tbDpT10_ENKUlT_T0_E_clISt17integral_constantIbLb0EES1C_EEDaS17_S18_EUlS17_E_NS1_11comp_targetILNS1_3genE4ELNS1_11target_archE910ELNS1_3gpuE8ELNS1_3repE0EEENS1_30default_config_static_selectorELNS0_4arch9wavefront6targetE1EEEvT1_
                                        ; -- End function
	.section	.AMDGPU.csdata,"",@progbits
; Kernel info:
; codeLenInByte = 0
; NumSgprs: 6
; NumVgprs: 0
; NumAgprs: 0
; TotalNumVgprs: 0
; ScratchSize: 0
; MemoryBound: 0
; FloatMode: 240
; IeeeMode: 1
; LDSByteSize: 0 bytes/workgroup (compile time only)
; SGPRBlocks: 0
; VGPRBlocks: 0
; NumSGPRsForWavesPerEU: 6
; NumVGPRsForWavesPerEU: 1
; AccumOffset: 4
; Occupancy: 8
; WaveLimiterHint : 0
; COMPUTE_PGM_RSRC2:SCRATCH_EN: 0
; COMPUTE_PGM_RSRC2:USER_SGPR: 2
; COMPUTE_PGM_RSRC2:TRAP_HANDLER: 0
; COMPUTE_PGM_RSRC2:TGID_X_EN: 1
; COMPUTE_PGM_RSRC2:TGID_Y_EN: 0
; COMPUTE_PGM_RSRC2:TGID_Z_EN: 0
; COMPUTE_PGM_RSRC2:TIDIG_COMP_CNT: 0
; COMPUTE_PGM_RSRC3_GFX90A:ACCUM_OFFSET: 0
; COMPUTE_PGM_RSRC3_GFX90A:TG_SPLIT: 0
	.section	.text._ZN7rocprim17ROCPRIM_400000_NS6detail17trampoline_kernelINS0_14default_configENS1_25partition_config_selectorILNS1_17partition_subalgoE8ElNS0_10empty_typeEbEEZZNS1_14partition_implILS5_8ELb0ES3_jPlPS6_PKS6_NS0_5tupleIJS9_S6_EEENSD_IJSA_SA_EEENS0_18inequality_wrapperIZN2at6native12_GLOBAL__N_124unique_dim_cuda_templateIjEESt5tupleIJNSH_6TensorESM_SM_EERKSM_lbbbEUlllE0_EEPmJS6_EEE10hipError_tPvRmT3_T4_T5_T6_T7_T9_mT8_P12ihipStream_tbDpT10_ENKUlT_T0_E_clISt17integral_constantIbLb0EES1C_EEDaS17_S18_EUlS17_E_NS1_11comp_targetILNS1_3genE3ELNS1_11target_archE908ELNS1_3gpuE7ELNS1_3repE0EEENS1_30default_config_static_selectorELNS0_4arch9wavefront6targetE1EEEvT1_,"axG",@progbits,_ZN7rocprim17ROCPRIM_400000_NS6detail17trampoline_kernelINS0_14default_configENS1_25partition_config_selectorILNS1_17partition_subalgoE8ElNS0_10empty_typeEbEEZZNS1_14partition_implILS5_8ELb0ES3_jPlPS6_PKS6_NS0_5tupleIJS9_S6_EEENSD_IJSA_SA_EEENS0_18inequality_wrapperIZN2at6native12_GLOBAL__N_124unique_dim_cuda_templateIjEESt5tupleIJNSH_6TensorESM_SM_EERKSM_lbbbEUlllE0_EEPmJS6_EEE10hipError_tPvRmT3_T4_T5_T6_T7_T9_mT8_P12ihipStream_tbDpT10_ENKUlT_T0_E_clISt17integral_constantIbLb0EES1C_EEDaS17_S18_EUlS17_E_NS1_11comp_targetILNS1_3genE3ELNS1_11target_archE908ELNS1_3gpuE7ELNS1_3repE0EEENS1_30default_config_static_selectorELNS0_4arch9wavefront6targetE1EEEvT1_,comdat
	.globl	_ZN7rocprim17ROCPRIM_400000_NS6detail17trampoline_kernelINS0_14default_configENS1_25partition_config_selectorILNS1_17partition_subalgoE8ElNS0_10empty_typeEbEEZZNS1_14partition_implILS5_8ELb0ES3_jPlPS6_PKS6_NS0_5tupleIJS9_S6_EEENSD_IJSA_SA_EEENS0_18inequality_wrapperIZN2at6native12_GLOBAL__N_124unique_dim_cuda_templateIjEESt5tupleIJNSH_6TensorESM_SM_EERKSM_lbbbEUlllE0_EEPmJS6_EEE10hipError_tPvRmT3_T4_T5_T6_T7_T9_mT8_P12ihipStream_tbDpT10_ENKUlT_T0_E_clISt17integral_constantIbLb0EES1C_EEDaS17_S18_EUlS17_E_NS1_11comp_targetILNS1_3genE3ELNS1_11target_archE908ELNS1_3gpuE7ELNS1_3repE0EEENS1_30default_config_static_selectorELNS0_4arch9wavefront6targetE1EEEvT1_ ; -- Begin function _ZN7rocprim17ROCPRIM_400000_NS6detail17trampoline_kernelINS0_14default_configENS1_25partition_config_selectorILNS1_17partition_subalgoE8ElNS0_10empty_typeEbEEZZNS1_14partition_implILS5_8ELb0ES3_jPlPS6_PKS6_NS0_5tupleIJS9_S6_EEENSD_IJSA_SA_EEENS0_18inequality_wrapperIZN2at6native12_GLOBAL__N_124unique_dim_cuda_templateIjEESt5tupleIJNSH_6TensorESM_SM_EERKSM_lbbbEUlllE0_EEPmJS6_EEE10hipError_tPvRmT3_T4_T5_T6_T7_T9_mT8_P12ihipStream_tbDpT10_ENKUlT_T0_E_clISt17integral_constantIbLb0EES1C_EEDaS17_S18_EUlS17_E_NS1_11comp_targetILNS1_3genE3ELNS1_11target_archE908ELNS1_3gpuE7ELNS1_3repE0EEENS1_30default_config_static_selectorELNS0_4arch9wavefront6targetE1EEEvT1_
	.p2align	8
	.type	_ZN7rocprim17ROCPRIM_400000_NS6detail17trampoline_kernelINS0_14default_configENS1_25partition_config_selectorILNS1_17partition_subalgoE8ElNS0_10empty_typeEbEEZZNS1_14partition_implILS5_8ELb0ES3_jPlPS6_PKS6_NS0_5tupleIJS9_S6_EEENSD_IJSA_SA_EEENS0_18inequality_wrapperIZN2at6native12_GLOBAL__N_124unique_dim_cuda_templateIjEESt5tupleIJNSH_6TensorESM_SM_EERKSM_lbbbEUlllE0_EEPmJS6_EEE10hipError_tPvRmT3_T4_T5_T6_T7_T9_mT8_P12ihipStream_tbDpT10_ENKUlT_T0_E_clISt17integral_constantIbLb0EES1C_EEDaS17_S18_EUlS17_E_NS1_11comp_targetILNS1_3genE3ELNS1_11target_archE908ELNS1_3gpuE7ELNS1_3repE0EEENS1_30default_config_static_selectorELNS0_4arch9wavefront6targetE1EEEvT1_,@function
_ZN7rocprim17ROCPRIM_400000_NS6detail17trampoline_kernelINS0_14default_configENS1_25partition_config_selectorILNS1_17partition_subalgoE8ElNS0_10empty_typeEbEEZZNS1_14partition_implILS5_8ELb0ES3_jPlPS6_PKS6_NS0_5tupleIJS9_S6_EEENSD_IJSA_SA_EEENS0_18inequality_wrapperIZN2at6native12_GLOBAL__N_124unique_dim_cuda_templateIjEESt5tupleIJNSH_6TensorESM_SM_EERKSM_lbbbEUlllE0_EEPmJS6_EEE10hipError_tPvRmT3_T4_T5_T6_T7_T9_mT8_P12ihipStream_tbDpT10_ENKUlT_T0_E_clISt17integral_constantIbLb0EES1C_EEDaS17_S18_EUlS17_E_NS1_11comp_targetILNS1_3genE3ELNS1_11target_archE908ELNS1_3gpuE7ELNS1_3repE0EEENS1_30default_config_static_selectorELNS0_4arch9wavefront6targetE1EEEvT1_: ; @_ZN7rocprim17ROCPRIM_400000_NS6detail17trampoline_kernelINS0_14default_configENS1_25partition_config_selectorILNS1_17partition_subalgoE8ElNS0_10empty_typeEbEEZZNS1_14partition_implILS5_8ELb0ES3_jPlPS6_PKS6_NS0_5tupleIJS9_S6_EEENSD_IJSA_SA_EEENS0_18inequality_wrapperIZN2at6native12_GLOBAL__N_124unique_dim_cuda_templateIjEESt5tupleIJNSH_6TensorESM_SM_EERKSM_lbbbEUlllE0_EEPmJS6_EEE10hipError_tPvRmT3_T4_T5_T6_T7_T9_mT8_P12ihipStream_tbDpT10_ENKUlT_T0_E_clISt17integral_constantIbLb0EES1C_EEDaS17_S18_EUlS17_E_NS1_11comp_targetILNS1_3genE3ELNS1_11target_archE908ELNS1_3gpuE7ELNS1_3repE0EEENS1_30default_config_static_selectorELNS0_4arch9wavefront6targetE1EEEvT1_
; %bb.0:
	.section	.rodata,"a",@progbits
	.p2align	6, 0x0
	.amdhsa_kernel _ZN7rocprim17ROCPRIM_400000_NS6detail17trampoline_kernelINS0_14default_configENS1_25partition_config_selectorILNS1_17partition_subalgoE8ElNS0_10empty_typeEbEEZZNS1_14partition_implILS5_8ELb0ES3_jPlPS6_PKS6_NS0_5tupleIJS9_S6_EEENSD_IJSA_SA_EEENS0_18inequality_wrapperIZN2at6native12_GLOBAL__N_124unique_dim_cuda_templateIjEESt5tupleIJNSH_6TensorESM_SM_EERKSM_lbbbEUlllE0_EEPmJS6_EEE10hipError_tPvRmT3_T4_T5_T6_T7_T9_mT8_P12ihipStream_tbDpT10_ENKUlT_T0_E_clISt17integral_constantIbLb0EES1C_EEDaS17_S18_EUlS17_E_NS1_11comp_targetILNS1_3genE3ELNS1_11target_archE908ELNS1_3gpuE7ELNS1_3repE0EEENS1_30default_config_static_selectorELNS0_4arch9wavefront6targetE1EEEvT1_
		.amdhsa_group_segment_fixed_size 0
		.amdhsa_private_segment_fixed_size 0
		.amdhsa_kernarg_size 120
		.amdhsa_user_sgpr_count 2
		.amdhsa_user_sgpr_dispatch_ptr 0
		.amdhsa_user_sgpr_queue_ptr 0
		.amdhsa_user_sgpr_kernarg_segment_ptr 1
		.amdhsa_user_sgpr_dispatch_id 0
		.amdhsa_user_sgpr_kernarg_preload_length 0
		.amdhsa_user_sgpr_kernarg_preload_offset 0
		.amdhsa_user_sgpr_private_segment_size 0
		.amdhsa_uses_dynamic_stack 0
		.amdhsa_enable_private_segment 0
		.amdhsa_system_sgpr_workgroup_id_x 1
		.amdhsa_system_sgpr_workgroup_id_y 0
		.amdhsa_system_sgpr_workgroup_id_z 0
		.amdhsa_system_sgpr_workgroup_info 0
		.amdhsa_system_vgpr_workitem_id 0
		.amdhsa_next_free_vgpr 1
		.amdhsa_next_free_sgpr 0
		.amdhsa_accum_offset 4
		.amdhsa_reserve_vcc 0
		.amdhsa_float_round_mode_32 0
		.amdhsa_float_round_mode_16_64 0
		.amdhsa_float_denorm_mode_32 3
		.amdhsa_float_denorm_mode_16_64 3
		.amdhsa_dx10_clamp 1
		.amdhsa_ieee_mode 1
		.amdhsa_fp16_overflow 0
		.amdhsa_tg_split 0
		.amdhsa_exception_fp_ieee_invalid_op 0
		.amdhsa_exception_fp_denorm_src 0
		.amdhsa_exception_fp_ieee_div_zero 0
		.amdhsa_exception_fp_ieee_overflow 0
		.amdhsa_exception_fp_ieee_underflow 0
		.amdhsa_exception_fp_ieee_inexact 0
		.amdhsa_exception_int_div_zero 0
	.end_amdhsa_kernel
	.section	.text._ZN7rocprim17ROCPRIM_400000_NS6detail17trampoline_kernelINS0_14default_configENS1_25partition_config_selectorILNS1_17partition_subalgoE8ElNS0_10empty_typeEbEEZZNS1_14partition_implILS5_8ELb0ES3_jPlPS6_PKS6_NS0_5tupleIJS9_S6_EEENSD_IJSA_SA_EEENS0_18inequality_wrapperIZN2at6native12_GLOBAL__N_124unique_dim_cuda_templateIjEESt5tupleIJNSH_6TensorESM_SM_EERKSM_lbbbEUlllE0_EEPmJS6_EEE10hipError_tPvRmT3_T4_T5_T6_T7_T9_mT8_P12ihipStream_tbDpT10_ENKUlT_T0_E_clISt17integral_constantIbLb0EES1C_EEDaS17_S18_EUlS17_E_NS1_11comp_targetILNS1_3genE3ELNS1_11target_archE908ELNS1_3gpuE7ELNS1_3repE0EEENS1_30default_config_static_selectorELNS0_4arch9wavefront6targetE1EEEvT1_,"axG",@progbits,_ZN7rocprim17ROCPRIM_400000_NS6detail17trampoline_kernelINS0_14default_configENS1_25partition_config_selectorILNS1_17partition_subalgoE8ElNS0_10empty_typeEbEEZZNS1_14partition_implILS5_8ELb0ES3_jPlPS6_PKS6_NS0_5tupleIJS9_S6_EEENSD_IJSA_SA_EEENS0_18inequality_wrapperIZN2at6native12_GLOBAL__N_124unique_dim_cuda_templateIjEESt5tupleIJNSH_6TensorESM_SM_EERKSM_lbbbEUlllE0_EEPmJS6_EEE10hipError_tPvRmT3_T4_T5_T6_T7_T9_mT8_P12ihipStream_tbDpT10_ENKUlT_T0_E_clISt17integral_constantIbLb0EES1C_EEDaS17_S18_EUlS17_E_NS1_11comp_targetILNS1_3genE3ELNS1_11target_archE908ELNS1_3gpuE7ELNS1_3repE0EEENS1_30default_config_static_selectorELNS0_4arch9wavefront6targetE1EEEvT1_,comdat
.Lfunc_end1554:
	.size	_ZN7rocprim17ROCPRIM_400000_NS6detail17trampoline_kernelINS0_14default_configENS1_25partition_config_selectorILNS1_17partition_subalgoE8ElNS0_10empty_typeEbEEZZNS1_14partition_implILS5_8ELb0ES3_jPlPS6_PKS6_NS0_5tupleIJS9_S6_EEENSD_IJSA_SA_EEENS0_18inequality_wrapperIZN2at6native12_GLOBAL__N_124unique_dim_cuda_templateIjEESt5tupleIJNSH_6TensorESM_SM_EERKSM_lbbbEUlllE0_EEPmJS6_EEE10hipError_tPvRmT3_T4_T5_T6_T7_T9_mT8_P12ihipStream_tbDpT10_ENKUlT_T0_E_clISt17integral_constantIbLb0EES1C_EEDaS17_S18_EUlS17_E_NS1_11comp_targetILNS1_3genE3ELNS1_11target_archE908ELNS1_3gpuE7ELNS1_3repE0EEENS1_30default_config_static_selectorELNS0_4arch9wavefront6targetE1EEEvT1_, .Lfunc_end1554-_ZN7rocprim17ROCPRIM_400000_NS6detail17trampoline_kernelINS0_14default_configENS1_25partition_config_selectorILNS1_17partition_subalgoE8ElNS0_10empty_typeEbEEZZNS1_14partition_implILS5_8ELb0ES3_jPlPS6_PKS6_NS0_5tupleIJS9_S6_EEENSD_IJSA_SA_EEENS0_18inequality_wrapperIZN2at6native12_GLOBAL__N_124unique_dim_cuda_templateIjEESt5tupleIJNSH_6TensorESM_SM_EERKSM_lbbbEUlllE0_EEPmJS6_EEE10hipError_tPvRmT3_T4_T5_T6_T7_T9_mT8_P12ihipStream_tbDpT10_ENKUlT_T0_E_clISt17integral_constantIbLb0EES1C_EEDaS17_S18_EUlS17_E_NS1_11comp_targetILNS1_3genE3ELNS1_11target_archE908ELNS1_3gpuE7ELNS1_3repE0EEENS1_30default_config_static_selectorELNS0_4arch9wavefront6targetE1EEEvT1_
                                        ; -- End function
	.section	.AMDGPU.csdata,"",@progbits
; Kernel info:
; codeLenInByte = 0
; NumSgprs: 6
; NumVgprs: 0
; NumAgprs: 0
; TotalNumVgprs: 0
; ScratchSize: 0
; MemoryBound: 0
; FloatMode: 240
; IeeeMode: 1
; LDSByteSize: 0 bytes/workgroup (compile time only)
; SGPRBlocks: 0
; VGPRBlocks: 0
; NumSGPRsForWavesPerEU: 6
; NumVGPRsForWavesPerEU: 1
; AccumOffset: 4
; Occupancy: 8
; WaveLimiterHint : 0
; COMPUTE_PGM_RSRC2:SCRATCH_EN: 0
; COMPUTE_PGM_RSRC2:USER_SGPR: 2
; COMPUTE_PGM_RSRC2:TRAP_HANDLER: 0
; COMPUTE_PGM_RSRC2:TGID_X_EN: 1
; COMPUTE_PGM_RSRC2:TGID_Y_EN: 0
; COMPUTE_PGM_RSRC2:TGID_Z_EN: 0
; COMPUTE_PGM_RSRC2:TIDIG_COMP_CNT: 0
; COMPUTE_PGM_RSRC3_GFX90A:ACCUM_OFFSET: 0
; COMPUTE_PGM_RSRC3_GFX90A:TG_SPLIT: 0
	.section	.text._ZN7rocprim17ROCPRIM_400000_NS6detail17trampoline_kernelINS0_14default_configENS1_25partition_config_selectorILNS1_17partition_subalgoE8ElNS0_10empty_typeEbEEZZNS1_14partition_implILS5_8ELb0ES3_jPlPS6_PKS6_NS0_5tupleIJS9_S6_EEENSD_IJSA_SA_EEENS0_18inequality_wrapperIZN2at6native12_GLOBAL__N_124unique_dim_cuda_templateIjEESt5tupleIJNSH_6TensorESM_SM_EERKSM_lbbbEUlllE0_EEPmJS6_EEE10hipError_tPvRmT3_T4_T5_T6_T7_T9_mT8_P12ihipStream_tbDpT10_ENKUlT_T0_E_clISt17integral_constantIbLb0EES1C_EEDaS17_S18_EUlS17_E_NS1_11comp_targetILNS1_3genE2ELNS1_11target_archE906ELNS1_3gpuE6ELNS1_3repE0EEENS1_30default_config_static_selectorELNS0_4arch9wavefront6targetE1EEEvT1_,"axG",@progbits,_ZN7rocprim17ROCPRIM_400000_NS6detail17trampoline_kernelINS0_14default_configENS1_25partition_config_selectorILNS1_17partition_subalgoE8ElNS0_10empty_typeEbEEZZNS1_14partition_implILS5_8ELb0ES3_jPlPS6_PKS6_NS0_5tupleIJS9_S6_EEENSD_IJSA_SA_EEENS0_18inequality_wrapperIZN2at6native12_GLOBAL__N_124unique_dim_cuda_templateIjEESt5tupleIJNSH_6TensorESM_SM_EERKSM_lbbbEUlllE0_EEPmJS6_EEE10hipError_tPvRmT3_T4_T5_T6_T7_T9_mT8_P12ihipStream_tbDpT10_ENKUlT_T0_E_clISt17integral_constantIbLb0EES1C_EEDaS17_S18_EUlS17_E_NS1_11comp_targetILNS1_3genE2ELNS1_11target_archE906ELNS1_3gpuE6ELNS1_3repE0EEENS1_30default_config_static_selectorELNS0_4arch9wavefront6targetE1EEEvT1_,comdat
	.globl	_ZN7rocprim17ROCPRIM_400000_NS6detail17trampoline_kernelINS0_14default_configENS1_25partition_config_selectorILNS1_17partition_subalgoE8ElNS0_10empty_typeEbEEZZNS1_14partition_implILS5_8ELb0ES3_jPlPS6_PKS6_NS0_5tupleIJS9_S6_EEENSD_IJSA_SA_EEENS0_18inequality_wrapperIZN2at6native12_GLOBAL__N_124unique_dim_cuda_templateIjEESt5tupleIJNSH_6TensorESM_SM_EERKSM_lbbbEUlllE0_EEPmJS6_EEE10hipError_tPvRmT3_T4_T5_T6_T7_T9_mT8_P12ihipStream_tbDpT10_ENKUlT_T0_E_clISt17integral_constantIbLb0EES1C_EEDaS17_S18_EUlS17_E_NS1_11comp_targetILNS1_3genE2ELNS1_11target_archE906ELNS1_3gpuE6ELNS1_3repE0EEENS1_30default_config_static_selectorELNS0_4arch9wavefront6targetE1EEEvT1_ ; -- Begin function _ZN7rocprim17ROCPRIM_400000_NS6detail17trampoline_kernelINS0_14default_configENS1_25partition_config_selectorILNS1_17partition_subalgoE8ElNS0_10empty_typeEbEEZZNS1_14partition_implILS5_8ELb0ES3_jPlPS6_PKS6_NS0_5tupleIJS9_S6_EEENSD_IJSA_SA_EEENS0_18inequality_wrapperIZN2at6native12_GLOBAL__N_124unique_dim_cuda_templateIjEESt5tupleIJNSH_6TensorESM_SM_EERKSM_lbbbEUlllE0_EEPmJS6_EEE10hipError_tPvRmT3_T4_T5_T6_T7_T9_mT8_P12ihipStream_tbDpT10_ENKUlT_T0_E_clISt17integral_constantIbLb0EES1C_EEDaS17_S18_EUlS17_E_NS1_11comp_targetILNS1_3genE2ELNS1_11target_archE906ELNS1_3gpuE6ELNS1_3repE0EEENS1_30default_config_static_selectorELNS0_4arch9wavefront6targetE1EEEvT1_
	.p2align	8
	.type	_ZN7rocprim17ROCPRIM_400000_NS6detail17trampoline_kernelINS0_14default_configENS1_25partition_config_selectorILNS1_17partition_subalgoE8ElNS0_10empty_typeEbEEZZNS1_14partition_implILS5_8ELb0ES3_jPlPS6_PKS6_NS0_5tupleIJS9_S6_EEENSD_IJSA_SA_EEENS0_18inequality_wrapperIZN2at6native12_GLOBAL__N_124unique_dim_cuda_templateIjEESt5tupleIJNSH_6TensorESM_SM_EERKSM_lbbbEUlllE0_EEPmJS6_EEE10hipError_tPvRmT3_T4_T5_T6_T7_T9_mT8_P12ihipStream_tbDpT10_ENKUlT_T0_E_clISt17integral_constantIbLb0EES1C_EEDaS17_S18_EUlS17_E_NS1_11comp_targetILNS1_3genE2ELNS1_11target_archE906ELNS1_3gpuE6ELNS1_3repE0EEENS1_30default_config_static_selectorELNS0_4arch9wavefront6targetE1EEEvT1_,@function
_ZN7rocprim17ROCPRIM_400000_NS6detail17trampoline_kernelINS0_14default_configENS1_25partition_config_selectorILNS1_17partition_subalgoE8ElNS0_10empty_typeEbEEZZNS1_14partition_implILS5_8ELb0ES3_jPlPS6_PKS6_NS0_5tupleIJS9_S6_EEENSD_IJSA_SA_EEENS0_18inequality_wrapperIZN2at6native12_GLOBAL__N_124unique_dim_cuda_templateIjEESt5tupleIJNSH_6TensorESM_SM_EERKSM_lbbbEUlllE0_EEPmJS6_EEE10hipError_tPvRmT3_T4_T5_T6_T7_T9_mT8_P12ihipStream_tbDpT10_ENKUlT_T0_E_clISt17integral_constantIbLb0EES1C_EEDaS17_S18_EUlS17_E_NS1_11comp_targetILNS1_3genE2ELNS1_11target_archE906ELNS1_3gpuE6ELNS1_3repE0EEENS1_30default_config_static_selectorELNS0_4arch9wavefront6targetE1EEEvT1_: ; @_ZN7rocprim17ROCPRIM_400000_NS6detail17trampoline_kernelINS0_14default_configENS1_25partition_config_selectorILNS1_17partition_subalgoE8ElNS0_10empty_typeEbEEZZNS1_14partition_implILS5_8ELb0ES3_jPlPS6_PKS6_NS0_5tupleIJS9_S6_EEENSD_IJSA_SA_EEENS0_18inequality_wrapperIZN2at6native12_GLOBAL__N_124unique_dim_cuda_templateIjEESt5tupleIJNSH_6TensorESM_SM_EERKSM_lbbbEUlllE0_EEPmJS6_EEE10hipError_tPvRmT3_T4_T5_T6_T7_T9_mT8_P12ihipStream_tbDpT10_ENKUlT_T0_E_clISt17integral_constantIbLb0EES1C_EEDaS17_S18_EUlS17_E_NS1_11comp_targetILNS1_3genE2ELNS1_11target_archE906ELNS1_3gpuE6ELNS1_3repE0EEENS1_30default_config_static_selectorELNS0_4arch9wavefront6targetE1EEEvT1_
; %bb.0:
	.section	.rodata,"a",@progbits
	.p2align	6, 0x0
	.amdhsa_kernel _ZN7rocprim17ROCPRIM_400000_NS6detail17trampoline_kernelINS0_14default_configENS1_25partition_config_selectorILNS1_17partition_subalgoE8ElNS0_10empty_typeEbEEZZNS1_14partition_implILS5_8ELb0ES3_jPlPS6_PKS6_NS0_5tupleIJS9_S6_EEENSD_IJSA_SA_EEENS0_18inequality_wrapperIZN2at6native12_GLOBAL__N_124unique_dim_cuda_templateIjEESt5tupleIJNSH_6TensorESM_SM_EERKSM_lbbbEUlllE0_EEPmJS6_EEE10hipError_tPvRmT3_T4_T5_T6_T7_T9_mT8_P12ihipStream_tbDpT10_ENKUlT_T0_E_clISt17integral_constantIbLb0EES1C_EEDaS17_S18_EUlS17_E_NS1_11comp_targetILNS1_3genE2ELNS1_11target_archE906ELNS1_3gpuE6ELNS1_3repE0EEENS1_30default_config_static_selectorELNS0_4arch9wavefront6targetE1EEEvT1_
		.amdhsa_group_segment_fixed_size 0
		.amdhsa_private_segment_fixed_size 0
		.amdhsa_kernarg_size 120
		.amdhsa_user_sgpr_count 2
		.amdhsa_user_sgpr_dispatch_ptr 0
		.amdhsa_user_sgpr_queue_ptr 0
		.amdhsa_user_sgpr_kernarg_segment_ptr 1
		.amdhsa_user_sgpr_dispatch_id 0
		.amdhsa_user_sgpr_kernarg_preload_length 0
		.amdhsa_user_sgpr_kernarg_preload_offset 0
		.amdhsa_user_sgpr_private_segment_size 0
		.amdhsa_uses_dynamic_stack 0
		.amdhsa_enable_private_segment 0
		.amdhsa_system_sgpr_workgroup_id_x 1
		.amdhsa_system_sgpr_workgroup_id_y 0
		.amdhsa_system_sgpr_workgroup_id_z 0
		.amdhsa_system_sgpr_workgroup_info 0
		.amdhsa_system_vgpr_workitem_id 0
		.amdhsa_next_free_vgpr 1
		.amdhsa_next_free_sgpr 0
		.amdhsa_accum_offset 4
		.amdhsa_reserve_vcc 0
		.amdhsa_float_round_mode_32 0
		.amdhsa_float_round_mode_16_64 0
		.amdhsa_float_denorm_mode_32 3
		.amdhsa_float_denorm_mode_16_64 3
		.amdhsa_dx10_clamp 1
		.amdhsa_ieee_mode 1
		.amdhsa_fp16_overflow 0
		.amdhsa_tg_split 0
		.amdhsa_exception_fp_ieee_invalid_op 0
		.amdhsa_exception_fp_denorm_src 0
		.amdhsa_exception_fp_ieee_div_zero 0
		.amdhsa_exception_fp_ieee_overflow 0
		.amdhsa_exception_fp_ieee_underflow 0
		.amdhsa_exception_fp_ieee_inexact 0
		.amdhsa_exception_int_div_zero 0
	.end_amdhsa_kernel
	.section	.text._ZN7rocprim17ROCPRIM_400000_NS6detail17trampoline_kernelINS0_14default_configENS1_25partition_config_selectorILNS1_17partition_subalgoE8ElNS0_10empty_typeEbEEZZNS1_14partition_implILS5_8ELb0ES3_jPlPS6_PKS6_NS0_5tupleIJS9_S6_EEENSD_IJSA_SA_EEENS0_18inequality_wrapperIZN2at6native12_GLOBAL__N_124unique_dim_cuda_templateIjEESt5tupleIJNSH_6TensorESM_SM_EERKSM_lbbbEUlllE0_EEPmJS6_EEE10hipError_tPvRmT3_T4_T5_T6_T7_T9_mT8_P12ihipStream_tbDpT10_ENKUlT_T0_E_clISt17integral_constantIbLb0EES1C_EEDaS17_S18_EUlS17_E_NS1_11comp_targetILNS1_3genE2ELNS1_11target_archE906ELNS1_3gpuE6ELNS1_3repE0EEENS1_30default_config_static_selectorELNS0_4arch9wavefront6targetE1EEEvT1_,"axG",@progbits,_ZN7rocprim17ROCPRIM_400000_NS6detail17trampoline_kernelINS0_14default_configENS1_25partition_config_selectorILNS1_17partition_subalgoE8ElNS0_10empty_typeEbEEZZNS1_14partition_implILS5_8ELb0ES3_jPlPS6_PKS6_NS0_5tupleIJS9_S6_EEENSD_IJSA_SA_EEENS0_18inequality_wrapperIZN2at6native12_GLOBAL__N_124unique_dim_cuda_templateIjEESt5tupleIJNSH_6TensorESM_SM_EERKSM_lbbbEUlllE0_EEPmJS6_EEE10hipError_tPvRmT3_T4_T5_T6_T7_T9_mT8_P12ihipStream_tbDpT10_ENKUlT_T0_E_clISt17integral_constantIbLb0EES1C_EEDaS17_S18_EUlS17_E_NS1_11comp_targetILNS1_3genE2ELNS1_11target_archE906ELNS1_3gpuE6ELNS1_3repE0EEENS1_30default_config_static_selectorELNS0_4arch9wavefront6targetE1EEEvT1_,comdat
.Lfunc_end1555:
	.size	_ZN7rocprim17ROCPRIM_400000_NS6detail17trampoline_kernelINS0_14default_configENS1_25partition_config_selectorILNS1_17partition_subalgoE8ElNS0_10empty_typeEbEEZZNS1_14partition_implILS5_8ELb0ES3_jPlPS6_PKS6_NS0_5tupleIJS9_S6_EEENSD_IJSA_SA_EEENS0_18inequality_wrapperIZN2at6native12_GLOBAL__N_124unique_dim_cuda_templateIjEESt5tupleIJNSH_6TensorESM_SM_EERKSM_lbbbEUlllE0_EEPmJS6_EEE10hipError_tPvRmT3_T4_T5_T6_T7_T9_mT8_P12ihipStream_tbDpT10_ENKUlT_T0_E_clISt17integral_constantIbLb0EES1C_EEDaS17_S18_EUlS17_E_NS1_11comp_targetILNS1_3genE2ELNS1_11target_archE906ELNS1_3gpuE6ELNS1_3repE0EEENS1_30default_config_static_selectorELNS0_4arch9wavefront6targetE1EEEvT1_, .Lfunc_end1555-_ZN7rocprim17ROCPRIM_400000_NS6detail17trampoline_kernelINS0_14default_configENS1_25partition_config_selectorILNS1_17partition_subalgoE8ElNS0_10empty_typeEbEEZZNS1_14partition_implILS5_8ELb0ES3_jPlPS6_PKS6_NS0_5tupleIJS9_S6_EEENSD_IJSA_SA_EEENS0_18inequality_wrapperIZN2at6native12_GLOBAL__N_124unique_dim_cuda_templateIjEESt5tupleIJNSH_6TensorESM_SM_EERKSM_lbbbEUlllE0_EEPmJS6_EEE10hipError_tPvRmT3_T4_T5_T6_T7_T9_mT8_P12ihipStream_tbDpT10_ENKUlT_T0_E_clISt17integral_constantIbLb0EES1C_EEDaS17_S18_EUlS17_E_NS1_11comp_targetILNS1_3genE2ELNS1_11target_archE906ELNS1_3gpuE6ELNS1_3repE0EEENS1_30default_config_static_selectorELNS0_4arch9wavefront6targetE1EEEvT1_
                                        ; -- End function
	.section	.AMDGPU.csdata,"",@progbits
; Kernel info:
; codeLenInByte = 0
; NumSgprs: 6
; NumVgprs: 0
; NumAgprs: 0
; TotalNumVgprs: 0
; ScratchSize: 0
; MemoryBound: 0
; FloatMode: 240
; IeeeMode: 1
; LDSByteSize: 0 bytes/workgroup (compile time only)
; SGPRBlocks: 0
; VGPRBlocks: 0
; NumSGPRsForWavesPerEU: 6
; NumVGPRsForWavesPerEU: 1
; AccumOffset: 4
; Occupancy: 8
; WaveLimiterHint : 0
; COMPUTE_PGM_RSRC2:SCRATCH_EN: 0
; COMPUTE_PGM_RSRC2:USER_SGPR: 2
; COMPUTE_PGM_RSRC2:TRAP_HANDLER: 0
; COMPUTE_PGM_RSRC2:TGID_X_EN: 1
; COMPUTE_PGM_RSRC2:TGID_Y_EN: 0
; COMPUTE_PGM_RSRC2:TGID_Z_EN: 0
; COMPUTE_PGM_RSRC2:TIDIG_COMP_CNT: 0
; COMPUTE_PGM_RSRC3_GFX90A:ACCUM_OFFSET: 0
; COMPUTE_PGM_RSRC3_GFX90A:TG_SPLIT: 0
	.section	.text._ZN7rocprim17ROCPRIM_400000_NS6detail17trampoline_kernelINS0_14default_configENS1_25partition_config_selectorILNS1_17partition_subalgoE8ElNS0_10empty_typeEbEEZZNS1_14partition_implILS5_8ELb0ES3_jPlPS6_PKS6_NS0_5tupleIJS9_S6_EEENSD_IJSA_SA_EEENS0_18inequality_wrapperIZN2at6native12_GLOBAL__N_124unique_dim_cuda_templateIjEESt5tupleIJNSH_6TensorESM_SM_EERKSM_lbbbEUlllE0_EEPmJS6_EEE10hipError_tPvRmT3_T4_T5_T6_T7_T9_mT8_P12ihipStream_tbDpT10_ENKUlT_T0_E_clISt17integral_constantIbLb0EES1C_EEDaS17_S18_EUlS17_E_NS1_11comp_targetILNS1_3genE10ELNS1_11target_archE1200ELNS1_3gpuE4ELNS1_3repE0EEENS1_30default_config_static_selectorELNS0_4arch9wavefront6targetE1EEEvT1_,"axG",@progbits,_ZN7rocprim17ROCPRIM_400000_NS6detail17trampoline_kernelINS0_14default_configENS1_25partition_config_selectorILNS1_17partition_subalgoE8ElNS0_10empty_typeEbEEZZNS1_14partition_implILS5_8ELb0ES3_jPlPS6_PKS6_NS0_5tupleIJS9_S6_EEENSD_IJSA_SA_EEENS0_18inequality_wrapperIZN2at6native12_GLOBAL__N_124unique_dim_cuda_templateIjEESt5tupleIJNSH_6TensorESM_SM_EERKSM_lbbbEUlllE0_EEPmJS6_EEE10hipError_tPvRmT3_T4_T5_T6_T7_T9_mT8_P12ihipStream_tbDpT10_ENKUlT_T0_E_clISt17integral_constantIbLb0EES1C_EEDaS17_S18_EUlS17_E_NS1_11comp_targetILNS1_3genE10ELNS1_11target_archE1200ELNS1_3gpuE4ELNS1_3repE0EEENS1_30default_config_static_selectorELNS0_4arch9wavefront6targetE1EEEvT1_,comdat
	.globl	_ZN7rocprim17ROCPRIM_400000_NS6detail17trampoline_kernelINS0_14default_configENS1_25partition_config_selectorILNS1_17partition_subalgoE8ElNS0_10empty_typeEbEEZZNS1_14partition_implILS5_8ELb0ES3_jPlPS6_PKS6_NS0_5tupleIJS9_S6_EEENSD_IJSA_SA_EEENS0_18inequality_wrapperIZN2at6native12_GLOBAL__N_124unique_dim_cuda_templateIjEESt5tupleIJNSH_6TensorESM_SM_EERKSM_lbbbEUlllE0_EEPmJS6_EEE10hipError_tPvRmT3_T4_T5_T6_T7_T9_mT8_P12ihipStream_tbDpT10_ENKUlT_T0_E_clISt17integral_constantIbLb0EES1C_EEDaS17_S18_EUlS17_E_NS1_11comp_targetILNS1_3genE10ELNS1_11target_archE1200ELNS1_3gpuE4ELNS1_3repE0EEENS1_30default_config_static_selectorELNS0_4arch9wavefront6targetE1EEEvT1_ ; -- Begin function _ZN7rocprim17ROCPRIM_400000_NS6detail17trampoline_kernelINS0_14default_configENS1_25partition_config_selectorILNS1_17partition_subalgoE8ElNS0_10empty_typeEbEEZZNS1_14partition_implILS5_8ELb0ES3_jPlPS6_PKS6_NS0_5tupleIJS9_S6_EEENSD_IJSA_SA_EEENS0_18inequality_wrapperIZN2at6native12_GLOBAL__N_124unique_dim_cuda_templateIjEESt5tupleIJNSH_6TensorESM_SM_EERKSM_lbbbEUlllE0_EEPmJS6_EEE10hipError_tPvRmT3_T4_T5_T6_T7_T9_mT8_P12ihipStream_tbDpT10_ENKUlT_T0_E_clISt17integral_constantIbLb0EES1C_EEDaS17_S18_EUlS17_E_NS1_11comp_targetILNS1_3genE10ELNS1_11target_archE1200ELNS1_3gpuE4ELNS1_3repE0EEENS1_30default_config_static_selectorELNS0_4arch9wavefront6targetE1EEEvT1_
	.p2align	8
	.type	_ZN7rocprim17ROCPRIM_400000_NS6detail17trampoline_kernelINS0_14default_configENS1_25partition_config_selectorILNS1_17partition_subalgoE8ElNS0_10empty_typeEbEEZZNS1_14partition_implILS5_8ELb0ES3_jPlPS6_PKS6_NS0_5tupleIJS9_S6_EEENSD_IJSA_SA_EEENS0_18inequality_wrapperIZN2at6native12_GLOBAL__N_124unique_dim_cuda_templateIjEESt5tupleIJNSH_6TensorESM_SM_EERKSM_lbbbEUlllE0_EEPmJS6_EEE10hipError_tPvRmT3_T4_T5_T6_T7_T9_mT8_P12ihipStream_tbDpT10_ENKUlT_T0_E_clISt17integral_constantIbLb0EES1C_EEDaS17_S18_EUlS17_E_NS1_11comp_targetILNS1_3genE10ELNS1_11target_archE1200ELNS1_3gpuE4ELNS1_3repE0EEENS1_30default_config_static_selectorELNS0_4arch9wavefront6targetE1EEEvT1_,@function
_ZN7rocprim17ROCPRIM_400000_NS6detail17trampoline_kernelINS0_14default_configENS1_25partition_config_selectorILNS1_17partition_subalgoE8ElNS0_10empty_typeEbEEZZNS1_14partition_implILS5_8ELb0ES3_jPlPS6_PKS6_NS0_5tupleIJS9_S6_EEENSD_IJSA_SA_EEENS0_18inequality_wrapperIZN2at6native12_GLOBAL__N_124unique_dim_cuda_templateIjEESt5tupleIJNSH_6TensorESM_SM_EERKSM_lbbbEUlllE0_EEPmJS6_EEE10hipError_tPvRmT3_T4_T5_T6_T7_T9_mT8_P12ihipStream_tbDpT10_ENKUlT_T0_E_clISt17integral_constantIbLb0EES1C_EEDaS17_S18_EUlS17_E_NS1_11comp_targetILNS1_3genE10ELNS1_11target_archE1200ELNS1_3gpuE4ELNS1_3repE0EEENS1_30default_config_static_selectorELNS0_4arch9wavefront6targetE1EEEvT1_: ; @_ZN7rocprim17ROCPRIM_400000_NS6detail17trampoline_kernelINS0_14default_configENS1_25partition_config_selectorILNS1_17partition_subalgoE8ElNS0_10empty_typeEbEEZZNS1_14partition_implILS5_8ELb0ES3_jPlPS6_PKS6_NS0_5tupleIJS9_S6_EEENSD_IJSA_SA_EEENS0_18inequality_wrapperIZN2at6native12_GLOBAL__N_124unique_dim_cuda_templateIjEESt5tupleIJNSH_6TensorESM_SM_EERKSM_lbbbEUlllE0_EEPmJS6_EEE10hipError_tPvRmT3_T4_T5_T6_T7_T9_mT8_P12ihipStream_tbDpT10_ENKUlT_T0_E_clISt17integral_constantIbLb0EES1C_EEDaS17_S18_EUlS17_E_NS1_11comp_targetILNS1_3genE10ELNS1_11target_archE1200ELNS1_3gpuE4ELNS1_3repE0EEENS1_30default_config_static_selectorELNS0_4arch9wavefront6targetE1EEEvT1_
; %bb.0:
	.section	.rodata,"a",@progbits
	.p2align	6, 0x0
	.amdhsa_kernel _ZN7rocprim17ROCPRIM_400000_NS6detail17trampoline_kernelINS0_14default_configENS1_25partition_config_selectorILNS1_17partition_subalgoE8ElNS0_10empty_typeEbEEZZNS1_14partition_implILS5_8ELb0ES3_jPlPS6_PKS6_NS0_5tupleIJS9_S6_EEENSD_IJSA_SA_EEENS0_18inequality_wrapperIZN2at6native12_GLOBAL__N_124unique_dim_cuda_templateIjEESt5tupleIJNSH_6TensorESM_SM_EERKSM_lbbbEUlllE0_EEPmJS6_EEE10hipError_tPvRmT3_T4_T5_T6_T7_T9_mT8_P12ihipStream_tbDpT10_ENKUlT_T0_E_clISt17integral_constantIbLb0EES1C_EEDaS17_S18_EUlS17_E_NS1_11comp_targetILNS1_3genE10ELNS1_11target_archE1200ELNS1_3gpuE4ELNS1_3repE0EEENS1_30default_config_static_selectorELNS0_4arch9wavefront6targetE1EEEvT1_
		.amdhsa_group_segment_fixed_size 0
		.amdhsa_private_segment_fixed_size 0
		.amdhsa_kernarg_size 120
		.amdhsa_user_sgpr_count 2
		.amdhsa_user_sgpr_dispatch_ptr 0
		.amdhsa_user_sgpr_queue_ptr 0
		.amdhsa_user_sgpr_kernarg_segment_ptr 1
		.amdhsa_user_sgpr_dispatch_id 0
		.amdhsa_user_sgpr_kernarg_preload_length 0
		.amdhsa_user_sgpr_kernarg_preload_offset 0
		.amdhsa_user_sgpr_private_segment_size 0
		.amdhsa_uses_dynamic_stack 0
		.amdhsa_enable_private_segment 0
		.amdhsa_system_sgpr_workgroup_id_x 1
		.amdhsa_system_sgpr_workgroup_id_y 0
		.amdhsa_system_sgpr_workgroup_id_z 0
		.amdhsa_system_sgpr_workgroup_info 0
		.amdhsa_system_vgpr_workitem_id 0
		.amdhsa_next_free_vgpr 1
		.amdhsa_next_free_sgpr 0
		.amdhsa_accum_offset 4
		.amdhsa_reserve_vcc 0
		.amdhsa_float_round_mode_32 0
		.amdhsa_float_round_mode_16_64 0
		.amdhsa_float_denorm_mode_32 3
		.amdhsa_float_denorm_mode_16_64 3
		.amdhsa_dx10_clamp 1
		.amdhsa_ieee_mode 1
		.amdhsa_fp16_overflow 0
		.amdhsa_tg_split 0
		.amdhsa_exception_fp_ieee_invalid_op 0
		.amdhsa_exception_fp_denorm_src 0
		.amdhsa_exception_fp_ieee_div_zero 0
		.amdhsa_exception_fp_ieee_overflow 0
		.amdhsa_exception_fp_ieee_underflow 0
		.amdhsa_exception_fp_ieee_inexact 0
		.amdhsa_exception_int_div_zero 0
	.end_amdhsa_kernel
	.section	.text._ZN7rocprim17ROCPRIM_400000_NS6detail17trampoline_kernelINS0_14default_configENS1_25partition_config_selectorILNS1_17partition_subalgoE8ElNS0_10empty_typeEbEEZZNS1_14partition_implILS5_8ELb0ES3_jPlPS6_PKS6_NS0_5tupleIJS9_S6_EEENSD_IJSA_SA_EEENS0_18inequality_wrapperIZN2at6native12_GLOBAL__N_124unique_dim_cuda_templateIjEESt5tupleIJNSH_6TensorESM_SM_EERKSM_lbbbEUlllE0_EEPmJS6_EEE10hipError_tPvRmT3_T4_T5_T6_T7_T9_mT8_P12ihipStream_tbDpT10_ENKUlT_T0_E_clISt17integral_constantIbLb0EES1C_EEDaS17_S18_EUlS17_E_NS1_11comp_targetILNS1_3genE10ELNS1_11target_archE1200ELNS1_3gpuE4ELNS1_3repE0EEENS1_30default_config_static_selectorELNS0_4arch9wavefront6targetE1EEEvT1_,"axG",@progbits,_ZN7rocprim17ROCPRIM_400000_NS6detail17trampoline_kernelINS0_14default_configENS1_25partition_config_selectorILNS1_17partition_subalgoE8ElNS0_10empty_typeEbEEZZNS1_14partition_implILS5_8ELb0ES3_jPlPS6_PKS6_NS0_5tupleIJS9_S6_EEENSD_IJSA_SA_EEENS0_18inequality_wrapperIZN2at6native12_GLOBAL__N_124unique_dim_cuda_templateIjEESt5tupleIJNSH_6TensorESM_SM_EERKSM_lbbbEUlllE0_EEPmJS6_EEE10hipError_tPvRmT3_T4_T5_T6_T7_T9_mT8_P12ihipStream_tbDpT10_ENKUlT_T0_E_clISt17integral_constantIbLb0EES1C_EEDaS17_S18_EUlS17_E_NS1_11comp_targetILNS1_3genE10ELNS1_11target_archE1200ELNS1_3gpuE4ELNS1_3repE0EEENS1_30default_config_static_selectorELNS0_4arch9wavefront6targetE1EEEvT1_,comdat
.Lfunc_end1556:
	.size	_ZN7rocprim17ROCPRIM_400000_NS6detail17trampoline_kernelINS0_14default_configENS1_25partition_config_selectorILNS1_17partition_subalgoE8ElNS0_10empty_typeEbEEZZNS1_14partition_implILS5_8ELb0ES3_jPlPS6_PKS6_NS0_5tupleIJS9_S6_EEENSD_IJSA_SA_EEENS0_18inequality_wrapperIZN2at6native12_GLOBAL__N_124unique_dim_cuda_templateIjEESt5tupleIJNSH_6TensorESM_SM_EERKSM_lbbbEUlllE0_EEPmJS6_EEE10hipError_tPvRmT3_T4_T5_T6_T7_T9_mT8_P12ihipStream_tbDpT10_ENKUlT_T0_E_clISt17integral_constantIbLb0EES1C_EEDaS17_S18_EUlS17_E_NS1_11comp_targetILNS1_3genE10ELNS1_11target_archE1200ELNS1_3gpuE4ELNS1_3repE0EEENS1_30default_config_static_selectorELNS0_4arch9wavefront6targetE1EEEvT1_, .Lfunc_end1556-_ZN7rocprim17ROCPRIM_400000_NS6detail17trampoline_kernelINS0_14default_configENS1_25partition_config_selectorILNS1_17partition_subalgoE8ElNS0_10empty_typeEbEEZZNS1_14partition_implILS5_8ELb0ES3_jPlPS6_PKS6_NS0_5tupleIJS9_S6_EEENSD_IJSA_SA_EEENS0_18inequality_wrapperIZN2at6native12_GLOBAL__N_124unique_dim_cuda_templateIjEESt5tupleIJNSH_6TensorESM_SM_EERKSM_lbbbEUlllE0_EEPmJS6_EEE10hipError_tPvRmT3_T4_T5_T6_T7_T9_mT8_P12ihipStream_tbDpT10_ENKUlT_T0_E_clISt17integral_constantIbLb0EES1C_EEDaS17_S18_EUlS17_E_NS1_11comp_targetILNS1_3genE10ELNS1_11target_archE1200ELNS1_3gpuE4ELNS1_3repE0EEENS1_30default_config_static_selectorELNS0_4arch9wavefront6targetE1EEEvT1_
                                        ; -- End function
	.section	.AMDGPU.csdata,"",@progbits
; Kernel info:
; codeLenInByte = 0
; NumSgprs: 6
; NumVgprs: 0
; NumAgprs: 0
; TotalNumVgprs: 0
; ScratchSize: 0
; MemoryBound: 0
; FloatMode: 240
; IeeeMode: 1
; LDSByteSize: 0 bytes/workgroup (compile time only)
; SGPRBlocks: 0
; VGPRBlocks: 0
; NumSGPRsForWavesPerEU: 6
; NumVGPRsForWavesPerEU: 1
; AccumOffset: 4
; Occupancy: 8
; WaveLimiterHint : 0
; COMPUTE_PGM_RSRC2:SCRATCH_EN: 0
; COMPUTE_PGM_RSRC2:USER_SGPR: 2
; COMPUTE_PGM_RSRC2:TRAP_HANDLER: 0
; COMPUTE_PGM_RSRC2:TGID_X_EN: 1
; COMPUTE_PGM_RSRC2:TGID_Y_EN: 0
; COMPUTE_PGM_RSRC2:TGID_Z_EN: 0
; COMPUTE_PGM_RSRC2:TIDIG_COMP_CNT: 0
; COMPUTE_PGM_RSRC3_GFX90A:ACCUM_OFFSET: 0
; COMPUTE_PGM_RSRC3_GFX90A:TG_SPLIT: 0
	.section	.text._ZN7rocprim17ROCPRIM_400000_NS6detail17trampoline_kernelINS0_14default_configENS1_25partition_config_selectorILNS1_17partition_subalgoE8ElNS0_10empty_typeEbEEZZNS1_14partition_implILS5_8ELb0ES3_jPlPS6_PKS6_NS0_5tupleIJS9_S6_EEENSD_IJSA_SA_EEENS0_18inequality_wrapperIZN2at6native12_GLOBAL__N_124unique_dim_cuda_templateIjEESt5tupleIJNSH_6TensorESM_SM_EERKSM_lbbbEUlllE0_EEPmJS6_EEE10hipError_tPvRmT3_T4_T5_T6_T7_T9_mT8_P12ihipStream_tbDpT10_ENKUlT_T0_E_clISt17integral_constantIbLb0EES1C_EEDaS17_S18_EUlS17_E_NS1_11comp_targetILNS1_3genE9ELNS1_11target_archE1100ELNS1_3gpuE3ELNS1_3repE0EEENS1_30default_config_static_selectorELNS0_4arch9wavefront6targetE1EEEvT1_,"axG",@progbits,_ZN7rocprim17ROCPRIM_400000_NS6detail17trampoline_kernelINS0_14default_configENS1_25partition_config_selectorILNS1_17partition_subalgoE8ElNS0_10empty_typeEbEEZZNS1_14partition_implILS5_8ELb0ES3_jPlPS6_PKS6_NS0_5tupleIJS9_S6_EEENSD_IJSA_SA_EEENS0_18inequality_wrapperIZN2at6native12_GLOBAL__N_124unique_dim_cuda_templateIjEESt5tupleIJNSH_6TensorESM_SM_EERKSM_lbbbEUlllE0_EEPmJS6_EEE10hipError_tPvRmT3_T4_T5_T6_T7_T9_mT8_P12ihipStream_tbDpT10_ENKUlT_T0_E_clISt17integral_constantIbLb0EES1C_EEDaS17_S18_EUlS17_E_NS1_11comp_targetILNS1_3genE9ELNS1_11target_archE1100ELNS1_3gpuE3ELNS1_3repE0EEENS1_30default_config_static_selectorELNS0_4arch9wavefront6targetE1EEEvT1_,comdat
	.globl	_ZN7rocprim17ROCPRIM_400000_NS6detail17trampoline_kernelINS0_14default_configENS1_25partition_config_selectorILNS1_17partition_subalgoE8ElNS0_10empty_typeEbEEZZNS1_14partition_implILS5_8ELb0ES3_jPlPS6_PKS6_NS0_5tupleIJS9_S6_EEENSD_IJSA_SA_EEENS0_18inequality_wrapperIZN2at6native12_GLOBAL__N_124unique_dim_cuda_templateIjEESt5tupleIJNSH_6TensorESM_SM_EERKSM_lbbbEUlllE0_EEPmJS6_EEE10hipError_tPvRmT3_T4_T5_T6_T7_T9_mT8_P12ihipStream_tbDpT10_ENKUlT_T0_E_clISt17integral_constantIbLb0EES1C_EEDaS17_S18_EUlS17_E_NS1_11comp_targetILNS1_3genE9ELNS1_11target_archE1100ELNS1_3gpuE3ELNS1_3repE0EEENS1_30default_config_static_selectorELNS0_4arch9wavefront6targetE1EEEvT1_ ; -- Begin function _ZN7rocprim17ROCPRIM_400000_NS6detail17trampoline_kernelINS0_14default_configENS1_25partition_config_selectorILNS1_17partition_subalgoE8ElNS0_10empty_typeEbEEZZNS1_14partition_implILS5_8ELb0ES3_jPlPS6_PKS6_NS0_5tupleIJS9_S6_EEENSD_IJSA_SA_EEENS0_18inequality_wrapperIZN2at6native12_GLOBAL__N_124unique_dim_cuda_templateIjEESt5tupleIJNSH_6TensorESM_SM_EERKSM_lbbbEUlllE0_EEPmJS6_EEE10hipError_tPvRmT3_T4_T5_T6_T7_T9_mT8_P12ihipStream_tbDpT10_ENKUlT_T0_E_clISt17integral_constantIbLb0EES1C_EEDaS17_S18_EUlS17_E_NS1_11comp_targetILNS1_3genE9ELNS1_11target_archE1100ELNS1_3gpuE3ELNS1_3repE0EEENS1_30default_config_static_selectorELNS0_4arch9wavefront6targetE1EEEvT1_
	.p2align	8
	.type	_ZN7rocprim17ROCPRIM_400000_NS6detail17trampoline_kernelINS0_14default_configENS1_25partition_config_selectorILNS1_17partition_subalgoE8ElNS0_10empty_typeEbEEZZNS1_14partition_implILS5_8ELb0ES3_jPlPS6_PKS6_NS0_5tupleIJS9_S6_EEENSD_IJSA_SA_EEENS0_18inequality_wrapperIZN2at6native12_GLOBAL__N_124unique_dim_cuda_templateIjEESt5tupleIJNSH_6TensorESM_SM_EERKSM_lbbbEUlllE0_EEPmJS6_EEE10hipError_tPvRmT3_T4_T5_T6_T7_T9_mT8_P12ihipStream_tbDpT10_ENKUlT_T0_E_clISt17integral_constantIbLb0EES1C_EEDaS17_S18_EUlS17_E_NS1_11comp_targetILNS1_3genE9ELNS1_11target_archE1100ELNS1_3gpuE3ELNS1_3repE0EEENS1_30default_config_static_selectorELNS0_4arch9wavefront6targetE1EEEvT1_,@function
_ZN7rocprim17ROCPRIM_400000_NS6detail17trampoline_kernelINS0_14default_configENS1_25partition_config_selectorILNS1_17partition_subalgoE8ElNS0_10empty_typeEbEEZZNS1_14partition_implILS5_8ELb0ES3_jPlPS6_PKS6_NS0_5tupleIJS9_S6_EEENSD_IJSA_SA_EEENS0_18inequality_wrapperIZN2at6native12_GLOBAL__N_124unique_dim_cuda_templateIjEESt5tupleIJNSH_6TensorESM_SM_EERKSM_lbbbEUlllE0_EEPmJS6_EEE10hipError_tPvRmT3_T4_T5_T6_T7_T9_mT8_P12ihipStream_tbDpT10_ENKUlT_T0_E_clISt17integral_constantIbLb0EES1C_EEDaS17_S18_EUlS17_E_NS1_11comp_targetILNS1_3genE9ELNS1_11target_archE1100ELNS1_3gpuE3ELNS1_3repE0EEENS1_30default_config_static_selectorELNS0_4arch9wavefront6targetE1EEEvT1_: ; @_ZN7rocprim17ROCPRIM_400000_NS6detail17trampoline_kernelINS0_14default_configENS1_25partition_config_selectorILNS1_17partition_subalgoE8ElNS0_10empty_typeEbEEZZNS1_14partition_implILS5_8ELb0ES3_jPlPS6_PKS6_NS0_5tupleIJS9_S6_EEENSD_IJSA_SA_EEENS0_18inequality_wrapperIZN2at6native12_GLOBAL__N_124unique_dim_cuda_templateIjEESt5tupleIJNSH_6TensorESM_SM_EERKSM_lbbbEUlllE0_EEPmJS6_EEE10hipError_tPvRmT3_T4_T5_T6_T7_T9_mT8_P12ihipStream_tbDpT10_ENKUlT_T0_E_clISt17integral_constantIbLb0EES1C_EEDaS17_S18_EUlS17_E_NS1_11comp_targetILNS1_3genE9ELNS1_11target_archE1100ELNS1_3gpuE3ELNS1_3repE0EEENS1_30default_config_static_selectorELNS0_4arch9wavefront6targetE1EEEvT1_
; %bb.0:
	.section	.rodata,"a",@progbits
	.p2align	6, 0x0
	.amdhsa_kernel _ZN7rocprim17ROCPRIM_400000_NS6detail17trampoline_kernelINS0_14default_configENS1_25partition_config_selectorILNS1_17partition_subalgoE8ElNS0_10empty_typeEbEEZZNS1_14partition_implILS5_8ELb0ES3_jPlPS6_PKS6_NS0_5tupleIJS9_S6_EEENSD_IJSA_SA_EEENS0_18inequality_wrapperIZN2at6native12_GLOBAL__N_124unique_dim_cuda_templateIjEESt5tupleIJNSH_6TensorESM_SM_EERKSM_lbbbEUlllE0_EEPmJS6_EEE10hipError_tPvRmT3_T4_T5_T6_T7_T9_mT8_P12ihipStream_tbDpT10_ENKUlT_T0_E_clISt17integral_constantIbLb0EES1C_EEDaS17_S18_EUlS17_E_NS1_11comp_targetILNS1_3genE9ELNS1_11target_archE1100ELNS1_3gpuE3ELNS1_3repE0EEENS1_30default_config_static_selectorELNS0_4arch9wavefront6targetE1EEEvT1_
		.amdhsa_group_segment_fixed_size 0
		.amdhsa_private_segment_fixed_size 0
		.amdhsa_kernarg_size 120
		.amdhsa_user_sgpr_count 2
		.amdhsa_user_sgpr_dispatch_ptr 0
		.amdhsa_user_sgpr_queue_ptr 0
		.amdhsa_user_sgpr_kernarg_segment_ptr 1
		.amdhsa_user_sgpr_dispatch_id 0
		.amdhsa_user_sgpr_kernarg_preload_length 0
		.amdhsa_user_sgpr_kernarg_preload_offset 0
		.amdhsa_user_sgpr_private_segment_size 0
		.amdhsa_uses_dynamic_stack 0
		.amdhsa_enable_private_segment 0
		.amdhsa_system_sgpr_workgroup_id_x 1
		.amdhsa_system_sgpr_workgroup_id_y 0
		.amdhsa_system_sgpr_workgroup_id_z 0
		.amdhsa_system_sgpr_workgroup_info 0
		.amdhsa_system_vgpr_workitem_id 0
		.amdhsa_next_free_vgpr 1
		.amdhsa_next_free_sgpr 0
		.amdhsa_accum_offset 4
		.amdhsa_reserve_vcc 0
		.amdhsa_float_round_mode_32 0
		.amdhsa_float_round_mode_16_64 0
		.amdhsa_float_denorm_mode_32 3
		.amdhsa_float_denorm_mode_16_64 3
		.amdhsa_dx10_clamp 1
		.amdhsa_ieee_mode 1
		.amdhsa_fp16_overflow 0
		.amdhsa_tg_split 0
		.amdhsa_exception_fp_ieee_invalid_op 0
		.amdhsa_exception_fp_denorm_src 0
		.amdhsa_exception_fp_ieee_div_zero 0
		.amdhsa_exception_fp_ieee_overflow 0
		.amdhsa_exception_fp_ieee_underflow 0
		.amdhsa_exception_fp_ieee_inexact 0
		.amdhsa_exception_int_div_zero 0
	.end_amdhsa_kernel
	.section	.text._ZN7rocprim17ROCPRIM_400000_NS6detail17trampoline_kernelINS0_14default_configENS1_25partition_config_selectorILNS1_17partition_subalgoE8ElNS0_10empty_typeEbEEZZNS1_14partition_implILS5_8ELb0ES3_jPlPS6_PKS6_NS0_5tupleIJS9_S6_EEENSD_IJSA_SA_EEENS0_18inequality_wrapperIZN2at6native12_GLOBAL__N_124unique_dim_cuda_templateIjEESt5tupleIJNSH_6TensorESM_SM_EERKSM_lbbbEUlllE0_EEPmJS6_EEE10hipError_tPvRmT3_T4_T5_T6_T7_T9_mT8_P12ihipStream_tbDpT10_ENKUlT_T0_E_clISt17integral_constantIbLb0EES1C_EEDaS17_S18_EUlS17_E_NS1_11comp_targetILNS1_3genE9ELNS1_11target_archE1100ELNS1_3gpuE3ELNS1_3repE0EEENS1_30default_config_static_selectorELNS0_4arch9wavefront6targetE1EEEvT1_,"axG",@progbits,_ZN7rocprim17ROCPRIM_400000_NS6detail17trampoline_kernelINS0_14default_configENS1_25partition_config_selectorILNS1_17partition_subalgoE8ElNS0_10empty_typeEbEEZZNS1_14partition_implILS5_8ELb0ES3_jPlPS6_PKS6_NS0_5tupleIJS9_S6_EEENSD_IJSA_SA_EEENS0_18inequality_wrapperIZN2at6native12_GLOBAL__N_124unique_dim_cuda_templateIjEESt5tupleIJNSH_6TensorESM_SM_EERKSM_lbbbEUlllE0_EEPmJS6_EEE10hipError_tPvRmT3_T4_T5_T6_T7_T9_mT8_P12ihipStream_tbDpT10_ENKUlT_T0_E_clISt17integral_constantIbLb0EES1C_EEDaS17_S18_EUlS17_E_NS1_11comp_targetILNS1_3genE9ELNS1_11target_archE1100ELNS1_3gpuE3ELNS1_3repE0EEENS1_30default_config_static_selectorELNS0_4arch9wavefront6targetE1EEEvT1_,comdat
.Lfunc_end1557:
	.size	_ZN7rocprim17ROCPRIM_400000_NS6detail17trampoline_kernelINS0_14default_configENS1_25partition_config_selectorILNS1_17partition_subalgoE8ElNS0_10empty_typeEbEEZZNS1_14partition_implILS5_8ELb0ES3_jPlPS6_PKS6_NS0_5tupleIJS9_S6_EEENSD_IJSA_SA_EEENS0_18inequality_wrapperIZN2at6native12_GLOBAL__N_124unique_dim_cuda_templateIjEESt5tupleIJNSH_6TensorESM_SM_EERKSM_lbbbEUlllE0_EEPmJS6_EEE10hipError_tPvRmT3_T4_T5_T6_T7_T9_mT8_P12ihipStream_tbDpT10_ENKUlT_T0_E_clISt17integral_constantIbLb0EES1C_EEDaS17_S18_EUlS17_E_NS1_11comp_targetILNS1_3genE9ELNS1_11target_archE1100ELNS1_3gpuE3ELNS1_3repE0EEENS1_30default_config_static_selectorELNS0_4arch9wavefront6targetE1EEEvT1_, .Lfunc_end1557-_ZN7rocprim17ROCPRIM_400000_NS6detail17trampoline_kernelINS0_14default_configENS1_25partition_config_selectorILNS1_17partition_subalgoE8ElNS0_10empty_typeEbEEZZNS1_14partition_implILS5_8ELb0ES3_jPlPS6_PKS6_NS0_5tupleIJS9_S6_EEENSD_IJSA_SA_EEENS0_18inequality_wrapperIZN2at6native12_GLOBAL__N_124unique_dim_cuda_templateIjEESt5tupleIJNSH_6TensorESM_SM_EERKSM_lbbbEUlllE0_EEPmJS6_EEE10hipError_tPvRmT3_T4_T5_T6_T7_T9_mT8_P12ihipStream_tbDpT10_ENKUlT_T0_E_clISt17integral_constantIbLb0EES1C_EEDaS17_S18_EUlS17_E_NS1_11comp_targetILNS1_3genE9ELNS1_11target_archE1100ELNS1_3gpuE3ELNS1_3repE0EEENS1_30default_config_static_selectorELNS0_4arch9wavefront6targetE1EEEvT1_
                                        ; -- End function
	.section	.AMDGPU.csdata,"",@progbits
; Kernel info:
; codeLenInByte = 0
; NumSgprs: 6
; NumVgprs: 0
; NumAgprs: 0
; TotalNumVgprs: 0
; ScratchSize: 0
; MemoryBound: 0
; FloatMode: 240
; IeeeMode: 1
; LDSByteSize: 0 bytes/workgroup (compile time only)
; SGPRBlocks: 0
; VGPRBlocks: 0
; NumSGPRsForWavesPerEU: 6
; NumVGPRsForWavesPerEU: 1
; AccumOffset: 4
; Occupancy: 8
; WaveLimiterHint : 0
; COMPUTE_PGM_RSRC2:SCRATCH_EN: 0
; COMPUTE_PGM_RSRC2:USER_SGPR: 2
; COMPUTE_PGM_RSRC2:TRAP_HANDLER: 0
; COMPUTE_PGM_RSRC2:TGID_X_EN: 1
; COMPUTE_PGM_RSRC2:TGID_Y_EN: 0
; COMPUTE_PGM_RSRC2:TGID_Z_EN: 0
; COMPUTE_PGM_RSRC2:TIDIG_COMP_CNT: 0
; COMPUTE_PGM_RSRC3_GFX90A:ACCUM_OFFSET: 0
; COMPUTE_PGM_RSRC3_GFX90A:TG_SPLIT: 0
	.section	.text._ZN7rocprim17ROCPRIM_400000_NS6detail17trampoline_kernelINS0_14default_configENS1_25partition_config_selectorILNS1_17partition_subalgoE8ElNS0_10empty_typeEbEEZZNS1_14partition_implILS5_8ELb0ES3_jPlPS6_PKS6_NS0_5tupleIJS9_S6_EEENSD_IJSA_SA_EEENS0_18inequality_wrapperIZN2at6native12_GLOBAL__N_124unique_dim_cuda_templateIjEESt5tupleIJNSH_6TensorESM_SM_EERKSM_lbbbEUlllE0_EEPmJS6_EEE10hipError_tPvRmT3_T4_T5_T6_T7_T9_mT8_P12ihipStream_tbDpT10_ENKUlT_T0_E_clISt17integral_constantIbLb0EES1C_EEDaS17_S18_EUlS17_E_NS1_11comp_targetILNS1_3genE8ELNS1_11target_archE1030ELNS1_3gpuE2ELNS1_3repE0EEENS1_30default_config_static_selectorELNS0_4arch9wavefront6targetE1EEEvT1_,"axG",@progbits,_ZN7rocprim17ROCPRIM_400000_NS6detail17trampoline_kernelINS0_14default_configENS1_25partition_config_selectorILNS1_17partition_subalgoE8ElNS0_10empty_typeEbEEZZNS1_14partition_implILS5_8ELb0ES3_jPlPS6_PKS6_NS0_5tupleIJS9_S6_EEENSD_IJSA_SA_EEENS0_18inequality_wrapperIZN2at6native12_GLOBAL__N_124unique_dim_cuda_templateIjEESt5tupleIJNSH_6TensorESM_SM_EERKSM_lbbbEUlllE0_EEPmJS6_EEE10hipError_tPvRmT3_T4_T5_T6_T7_T9_mT8_P12ihipStream_tbDpT10_ENKUlT_T0_E_clISt17integral_constantIbLb0EES1C_EEDaS17_S18_EUlS17_E_NS1_11comp_targetILNS1_3genE8ELNS1_11target_archE1030ELNS1_3gpuE2ELNS1_3repE0EEENS1_30default_config_static_selectorELNS0_4arch9wavefront6targetE1EEEvT1_,comdat
	.globl	_ZN7rocprim17ROCPRIM_400000_NS6detail17trampoline_kernelINS0_14default_configENS1_25partition_config_selectorILNS1_17partition_subalgoE8ElNS0_10empty_typeEbEEZZNS1_14partition_implILS5_8ELb0ES3_jPlPS6_PKS6_NS0_5tupleIJS9_S6_EEENSD_IJSA_SA_EEENS0_18inequality_wrapperIZN2at6native12_GLOBAL__N_124unique_dim_cuda_templateIjEESt5tupleIJNSH_6TensorESM_SM_EERKSM_lbbbEUlllE0_EEPmJS6_EEE10hipError_tPvRmT3_T4_T5_T6_T7_T9_mT8_P12ihipStream_tbDpT10_ENKUlT_T0_E_clISt17integral_constantIbLb0EES1C_EEDaS17_S18_EUlS17_E_NS1_11comp_targetILNS1_3genE8ELNS1_11target_archE1030ELNS1_3gpuE2ELNS1_3repE0EEENS1_30default_config_static_selectorELNS0_4arch9wavefront6targetE1EEEvT1_ ; -- Begin function _ZN7rocprim17ROCPRIM_400000_NS6detail17trampoline_kernelINS0_14default_configENS1_25partition_config_selectorILNS1_17partition_subalgoE8ElNS0_10empty_typeEbEEZZNS1_14partition_implILS5_8ELb0ES3_jPlPS6_PKS6_NS0_5tupleIJS9_S6_EEENSD_IJSA_SA_EEENS0_18inequality_wrapperIZN2at6native12_GLOBAL__N_124unique_dim_cuda_templateIjEESt5tupleIJNSH_6TensorESM_SM_EERKSM_lbbbEUlllE0_EEPmJS6_EEE10hipError_tPvRmT3_T4_T5_T6_T7_T9_mT8_P12ihipStream_tbDpT10_ENKUlT_T0_E_clISt17integral_constantIbLb0EES1C_EEDaS17_S18_EUlS17_E_NS1_11comp_targetILNS1_3genE8ELNS1_11target_archE1030ELNS1_3gpuE2ELNS1_3repE0EEENS1_30default_config_static_selectorELNS0_4arch9wavefront6targetE1EEEvT1_
	.p2align	8
	.type	_ZN7rocprim17ROCPRIM_400000_NS6detail17trampoline_kernelINS0_14default_configENS1_25partition_config_selectorILNS1_17partition_subalgoE8ElNS0_10empty_typeEbEEZZNS1_14partition_implILS5_8ELb0ES3_jPlPS6_PKS6_NS0_5tupleIJS9_S6_EEENSD_IJSA_SA_EEENS0_18inequality_wrapperIZN2at6native12_GLOBAL__N_124unique_dim_cuda_templateIjEESt5tupleIJNSH_6TensorESM_SM_EERKSM_lbbbEUlllE0_EEPmJS6_EEE10hipError_tPvRmT3_T4_T5_T6_T7_T9_mT8_P12ihipStream_tbDpT10_ENKUlT_T0_E_clISt17integral_constantIbLb0EES1C_EEDaS17_S18_EUlS17_E_NS1_11comp_targetILNS1_3genE8ELNS1_11target_archE1030ELNS1_3gpuE2ELNS1_3repE0EEENS1_30default_config_static_selectorELNS0_4arch9wavefront6targetE1EEEvT1_,@function
_ZN7rocprim17ROCPRIM_400000_NS6detail17trampoline_kernelINS0_14default_configENS1_25partition_config_selectorILNS1_17partition_subalgoE8ElNS0_10empty_typeEbEEZZNS1_14partition_implILS5_8ELb0ES3_jPlPS6_PKS6_NS0_5tupleIJS9_S6_EEENSD_IJSA_SA_EEENS0_18inequality_wrapperIZN2at6native12_GLOBAL__N_124unique_dim_cuda_templateIjEESt5tupleIJNSH_6TensorESM_SM_EERKSM_lbbbEUlllE0_EEPmJS6_EEE10hipError_tPvRmT3_T4_T5_T6_T7_T9_mT8_P12ihipStream_tbDpT10_ENKUlT_T0_E_clISt17integral_constantIbLb0EES1C_EEDaS17_S18_EUlS17_E_NS1_11comp_targetILNS1_3genE8ELNS1_11target_archE1030ELNS1_3gpuE2ELNS1_3repE0EEENS1_30default_config_static_selectorELNS0_4arch9wavefront6targetE1EEEvT1_: ; @_ZN7rocprim17ROCPRIM_400000_NS6detail17trampoline_kernelINS0_14default_configENS1_25partition_config_selectorILNS1_17partition_subalgoE8ElNS0_10empty_typeEbEEZZNS1_14partition_implILS5_8ELb0ES3_jPlPS6_PKS6_NS0_5tupleIJS9_S6_EEENSD_IJSA_SA_EEENS0_18inequality_wrapperIZN2at6native12_GLOBAL__N_124unique_dim_cuda_templateIjEESt5tupleIJNSH_6TensorESM_SM_EERKSM_lbbbEUlllE0_EEPmJS6_EEE10hipError_tPvRmT3_T4_T5_T6_T7_T9_mT8_P12ihipStream_tbDpT10_ENKUlT_T0_E_clISt17integral_constantIbLb0EES1C_EEDaS17_S18_EUlS17_E_NS1_11comp_targetILNS1_3genE8ELNS1_11target_archE1030ELNS1_3gpuE2ELNS1_3repE0EEENS1_30default_config_static_selectorELNS0_4arch9wavefront6targetE1EEEvT1_
; %bb.0:
	.section	.rodata,"a",@progbits
	.p2align	6, 0x0
	.amdhsa_kernel _ZN7rocprim17ROCPRIM_400000_NS6detail17trampoline_kernelINS0_14default_configENS1_25partition_config_selectorILNS1_17partition_subalgoE8ElNS0_10empty_typeEbEEZZNS1_14partition_implILS5_8ELb0ES3_jPlPS6_PKS6_NS0_5tupleIJS9_S6_EEENSD_IJSA_SA_EEENS0_18inequality_wrapperIZN2at6native12_GLOBAL__N_124unique_dim_cuda_templateIjEESt5tupleIJNSH_6TensorESM_SM_EERKSM_lbbbEUlllE0_EEPmJS6_EEE10hipError_tPvRmT3_T4_T5_T6_T7_T9_mT8_P12ihipStream_tbDpT10_ENKUlT_T0_E_clISt17integral_constantIbLb0EES1C_EEDaS17_S18_EUlS17_E_NS1_11comp_targetILNS1_3genE8ELNS1_11target_archE1030ELNS1_3gpuE2ELNS1_3repE0EEENS1_30default_config_static_selectorELNS0_4arch9wavefront6targetE1EEEvT1_
		.amdhsa_group_segment_fixed_size 0
		.amdhsa_private_segment_fixed_size 0
		.amdhsa_kernarg_size 120
		.amdhsa_user_sgpr_count 2
		.amdhsa_user_sgpr_dispatch_ptr 0
		.amdhsa_user_sgpr_queue_ptr 0
		.amdhsa_user_sgpr_kernarg_segment_ptr 1
		.amdhsa_user_sgpr_dispatch_id 0
		.amdhsa_user_sgpr_kernarg_preload_length 0
		.amdhsa_user_sgpr_kernarg_preload_offset 0
		.amdhsa_user_sgpr_private_segment_size 0
		.amdhsa_uses_dynamic_stack 0
		.amdhsa_enable_private_segment 0
		.amdhsa_system_sgpr_workgroup_id_x 1
		.amdhsa_system_sgpr_workgroup_id_y 0
		.amdhsa_system_sgpr_workgroup_id_z 0
		.amdhsa_system_sgpr_workgroup_info 0
		.amdhsa_system_vgpr_workitem_id 0
		.amdhsa_next_free_vgpr 1
		.amdhsa_next_free_sgpr 0
		.amdhsa_accum_offset 4
		.amdhsa_reserve_vcc 0
		.amdhsa_float_round_mode_32 0
		.amdhsa_float_round_mode_16_64 0
		.amdhsa_float_denorm_mode_32 3
		.amdhsa_float_denorm_mode_16_64 3
		.amdhsa_dx10_clamp 1
		.amdhsa_ieee_mode 1
		.amdhsa_fp16_overflow 0
		.amdhsa_tg_split 0
		.amdhsa_exception_fp_ieee_invalid_op 0
		.amdhsa_exception_fp_denorm_src 0
		.amdhsa_exception_fp_ieee_div_zero 0
		.amdhsa_exception_fp_ieee_overflow 0
		.amdhsa_exception_fp_ieee_underflow 0
		.amdhsa_exception_fp_ieee_inexact 0
		.amdhsa_exception_int_div_zero 0
	.end_amdhsa_kernel
	.section	.text._ZN7rocprim17ROCPRIM_400000_NS6detail17trampoline_kernelINS0_14default_configENS1_25partition_config_selectorILNS1_17partition_subalgoE8ElNS0_10empty_typeEbEEZZNS1_14partition_implILS5_8ELb0ES3_jPlPS6_PKS6_NS0_5tupleIJS9_S6_EEENSD_IJSA_SA_EEENS0_18inequality_wrapperIZN2at6native12_GLOBAL__N_124unique_dim_cuda_templateIjEESt5tupleIJNSH_6TensorESM_SM_EERKSM_lbbbEUlllE0_EEPmJS6_EEE10hipError_tPvRmT3_T4_T5_T6_T7_T9_mT8_P12ihipStream_tbDpT10_ENKUlT_T0_E_clISt17integral_constantIbLb0EES1C_EEDaS17_S18_EUlS17_E_NS1_11comp_targetILNS1_3genE8ELNS1_11target_archE1030ELNS1_3gpuE2ELNS1_3repE0EEENS1_30default_config_static_selectorELNS0_4arch9wavefront6targetE1EEEvT1_,"axG",@progbits,_ZN7rocprim17ROCPRIM_400000_NS6detail17trampoline_kernelINS0_14default_configENS1_25partition_config_selectorILNS1_17partition_subalgoE8ElNS0_10empty_typeEbEEZZNS1_14partition_implILS5_8ELb0ES3_jPlPS6_PKS6_NS0_5tupleIJS9_S6_EEENSD_IJSA_SA_EEENS0_18inequality_wrapperIZN2at6native12_GLOBAL__N_124unique_dim_cuda_templateIjEESt5tupleIJNSH_6TensorESM_SM_EERKSM_lbbbEUlllE0_EEPmJS6_EEE10hipError_tPvRmT3_T4_T5_T6_T7_T9_mT8_P12ihipStream_tbDpT10_ENKUlT_T0_E_clISt17integral_constantIbLb0EES1C_EEDaS17_S18_EUlS17_E_NS1_11comp_targetILNS1_3genE8ELNS1_11target_archE1030ELNS1_3gpuE2ELNS1_3repE0EEENS1_30default_config_static_selectorELNS0_4arch9wavefront6targetE1EEEvT1_,comdat
.Lfunc_end1558:
	.size	_ZN7rocprim17ROCPRIM_400000_NS6detail17trampoline_kernelINS0_14default_configENS1_25partition_config_selectorILNS1_17partition_subalgoE8ElNS0_10empty_typeEbEEZZNS1_14partition_implILS5_8ELb0ES3_jPlPS6_PKS6_NS0_5tupleIJS9_S6_EEENSD_IJSA_SA_EEENS0_18inequality_wrapperIZN2at6native12_GLOBAL__N_124unique_dim_cuda_templateIjEESt5tupleIJNSH_6TensorESM_SM_EERKSM_lbbbEUlllE0_EEPmJS6_EEE10hipError_tPvRmT3_T4_T5_T6_T7_T9_mT8_P12ihipStream_tbDpT10_ENKUlT_T0_E_clISt17integral_constantIbLb0EES1C_EEDaS17_S18_EUlS17_E_NS1_11comp_targetILNS1_3genE8ELNS1_11target_archE1030ELNS1_3gpuE2ELNS1_3repE0EEENS1_30default_config_static_selectorELNS0_4arch9wavefront6targetE1EEEvT1_, .Lfunc_end1558-_ZN7rocprim17ROCPRIM_400000_NS6detail17trampoline_kernelINS0_14default_configENS1_25partition_config_selectorILNS1_17partition_subalgoE8ElNS0_10empty_typeEbEEZZNS1_14partition_implILS5_8ELb0ES3_jPlPS6_PKS6_NS0_5tupleIJS9_S6_EEENSD_IJSA_SA_EEENS0_18inequality_wrapperIZN2at6native12_GLOBAL__N_124unique_dim_cuda_templateIjEESt5tupleIJNSH_6TensorESM_SM_EERKSM_lbbbEUlllE0_EEPmJS6_EEE10hipError_tPvRmT3_T4_T5_T6_T7_T9_mT8_P12ihipStream_tbDpT10_ENKUlT_T0_E_clISt17integral_constantIbLb0EES1C_EEDaS17_S18_EUlS17_E_NS1_11comp_targetILNS1_3genE8ELNS1_11target_archE1030ELNS1_3gpuE2ELNS1_3repE0EEENS1_30default_config_static_selectorELNS0_4arch9wavefront6targetE1EEEvT1_
                                        ; -- End function
	.section	.AMDGPU.csdata,"",@progbits
; Kernel info:
; codeLenInByte = 0
; NumSgprs: 6
; NumVgprs: 0
; NumAgprs: 0
; TotalNumVgprs: 0
; ScratchSize: 0
; MemoryBound: 0
; FloatMode: 240
; IeeeMode: 1
; LDSByteSize: 0 bytes/workgroup (compile time only)
; SGPRBlocks: 0
; VGPRBlocks: 0
; NumSGPRsForWavesPerEU: 6
; NumVGPRsForWavesPerEU: 1
; AccumOffset: 4
; Occupancy: 8
; WaveLimiterHint : 0
; COMPUTE_PGM_RSRC2:SCRATCH_EN: 0
; COMPUTE_PGM_RSRC2:USER_SGPR: 2
; COMPUTE_PGM_RSRC2:TRAP_HANDLER: 0
; COMPUTE_PGM_RSRC2:TGID_X_EN: 1
; COMPUTE_PGM_RSRC2:TGID_Y_EN: 0
; COMPUTE_PGM_RSRC2:TGID_Z_EN: 0
; COMPUTE_PGM_RSRC2:TIDIG_COMP_CNT: 0
; COMPUTE_PGM_RSRC3_GFX90A:ACCUM_OFFSET: 0
; COMPUTE_PGM_RSRC3_GFX90A:TG_SPLIT: 0
	.section	.text._ZN7rocprim17ROCPRIM_400000_NS6detail17trampoline_kernelINS0_14default_configENS1_25partition_config_selectorILNS1_17partition_subalgoE8ElNS0_10empty_typeEbEEZZNS1_14partition_implILS5_8ELb0ES3_jPlPS6_PKS6_NS0_5tupleIJS9_S6_EEENSD_IJSA_SA_EEENS0_18inequality_wrapperIZN2at6native12_GLOBAL__N_124unique_dim_cuda_templateIjEESt5tupleIJNSH_6TensorESM_SM_EERKSM_lbbbEUlllE0_EEPmJS6_EEE10hipError_tPvRmT3_T4_T5_T6_T7_T9_mT8_P12ihipStream_tbDpT10_ENKUlT_T0_E_clISt17integral_constantIbLb1EES1C_EEDaS17_S18_EUlS17_E_NS1_11comp_targetILNS1_3genE0ELNS1_11target_archE4294967295ELNS1_3gpuE0ELNS1_3repE0EEENS1_30default_config_static_selectorELNS0_4arch9wavefront6targetE1EEEvT1_,"axG",@progbits,_ZN7rocprim17ROCPRIM_400000_NS6detail17trampoline_kernelINS0_14default_configENS1_25partition_config_selectorILNS1_17partition_subalgoE8ElNS0_10empty_typeEbEEZZNS1_14partition_implILS5_8ELb0ES3_jPlPS6_PKS6_NS0_5tupleIJS9_S6_EEENSD_IJSA_SA_EEENS0_18inequality_wrapperIZN2at6native12_GLOBAL__N_124unique_dim_cuda_templateIjEESt5tupleIJNSH_6TensorESM_SM_EERKSM_lbbbEUlllE0_EEPmJS6_EEE10hipError_tPvRmT3_T4_T5_T6_T7_T9_mT8_P12ihipStream_tbDpT10_ENKUlT_T0_E_clISt17integral_constantIbLb1EES1C_EEDaS17_S18_EUlS17_E_NS1_11comp_targetILNS1_3genE0ELNS1_11target_archE4294967295ELNS1_3gpuE0ELNS1_3repE0EEENS1_30default_config_static_selectorELNS0_4arch9wavefront6targetE1EEEvT1_,comdat
	.globl	_ZN7rocprim17ROCPRIM_400000_NS6detail17trampoline_kernelINS0_14default_configENS1_25partition_config_selectorILNS1_17partition_subalgoE8ElNS0_10empty_typeEbEEZZNS1_14partition_implILS5_8ELb0ES3_jPlPS6_PKS6_NS0_5tupleIJS9_S6_EEENSD_IJSA_SA_EEENS0_18inequality_wrapperIZN2at6native12_GLOBAL__N_124unique_dim_cuda_templateIjEESt5tupleIJNSH_6TensorESM_SM_EERKSM_lbbbEUlllE0_EEPmJS6_EEE10hipError_tPvRmT3_T4_T5_T6_T7_T9_mT8_P12ihipStream_tbDpT10_ENKUlT_T0_E_clISt17integral_constantIbLb1EES1C_EEDaS17_S18_EUlS17_E_NS1_11comp_targetILNS1_3genE0ELNS1_11target_archE4294967295ELNS1_3gpuE0ELNS1_3repE0EEENS1_30default_config_static_selectorELNS0_4arch9wavefront6targetE1EEEvT1_ ; -- Begin function _ZN7rocprim17ROCPRIM_400000_NS6detail17trampoline_kernelINS0_14default_configENS1_25partition_config_selectorILNS1_17partition_subalgoE8ElNS0_10empty_typeEbEEZZNS1_14partition_implILS5_8ELb0ES3_jPlPS6_PKS6_NS0_5tupleIJS9_S6_EEENSD_IJSA_SA_EEENS0_18inequality_wrapperIZN2at6native12_GLOBAL__N_124unique_dim_cuda_templateIjEESt5tupleIJNSH_6TensorESM_SM_EERKSM_lbbbEUlllE0_EEPmJS6_EEE10hipError_tPvRmT3_T4_T5_T6_T7_T9_mT8_P12ihipStream_tbDpT10_ENKUlT_T0_E_clISt17integral_constantIbLb1EES1C_EEDaS17_S18_EUlS17_E_NS1_11comp_targetILNS1_3genE0ELNS1_11target_archE4294967295ELNS1_3gpuE0ELNS1_3repE0EEENS1_30default_config_static_selectorELNS0_4arch9wavefront6targetE1EEEvT1_
	.p2align	8
	.type	_ZN7rocprim17ROCPRIM_400000_NS6detail17trampoline_kernelINS0_14default_configENS1_25partition_config_selectorILNS1_17partition_subalgoE8ElNS0_10empty_typeEbEEZZNS1_14partition_implILS5_8ELb0ES3_jPlPS6_PKS6_NS0_5tupleIJS9_S6_EEENSD_IJSA_SA_EEENS0_18inequality_wrapperIZN2at6native12_GLOBAL__N_124unique_dim_cuda_templateIjEESt5tupleIJNSH_6TensorESM_SM_EERKSM_lbbbEUlllE0_EEPmJS6_EEE10hipError_tPvRmT3_T4_T5_T6_T7_T9_mT8_P12ihipStream_tbDpT10_ENKUlT_T0_E_clISt17integral_constantIbLb1EES1C_EEDaS17_S18_EUlS17_E_NS1_11comp_targetILNS1_3genE0ELNS1_11target_archE4294967295ELNS1_3gpuE0ELNS1_3repE0EEENS1_30default_config_static_selectorELNS0_4arch9wavefront6targetE1EEEvT1_,@function
_ZN7rocprim17ROCPRIM_400000_NS6detail17trampoline_kernelINS0_14default_configENS1_25partition_config_selectorILNS1_17partition_subalgoE8ElNS0_10empty_typeEbEEZZNS1_14partition_implILS5_8ELb0ES3_jPlPS6_PKS6_NS0_5tupleIJS9_S6_EEENSD_IJSA_SA_EEENS0_18inequality_wrapperIZN2at6native12_GLOBAL__N_124unique_dim_cuda_templateIjEESt5tupleIJNSH_6TensorESM_SM_EERKSM_lbbbEUlllE0_EEPmJS6_EEE10hipError_tPvRmT3_T4_T5_T6_T7_T9_mT8_P12ihipStream_tbDpT10_ENKUlT_T0_E_clISt17integral_constantIbLb1EES1C_EEDaS17_S18_EUlS17_E_NS1_11comp_targetILNS1_3genE0ELNS1_11target_archE4294967295ELNS1_3gpuE0ELNS1_3repE0EEENS1_30default_config_static_selectorELNS0_4arch9wavefront6targetE1EEEvT1_: ; @_ZN7rocprim17ROCPRIM_400000_NS6detail17trampoline_kernelINS0_14default_configENS1_25partition_config_selectorILNS1_17partition_subalgoE8ElNS0_10empty_typeEbEEZZNS1_14partition_implILS5_8ELb0ES3_jPlPS6_PKS6_NS0_5tupleIJS9_S6_EEENSD_IJSA_SA_EEENS0_18inequality_wrapperIZN2at6native12_GLOBAL__N_124unique_dim_cuda_templateIjEESt5tupleIJNSH_6TensorESM_SM_EERKSM_lbbbEUlllE0_EEPmJS6_EEE10hipError_tPvRmT3_T4_T5_T6_T7_T9_mT8_P12ihipStream_tbDpT10_ENKUlT_T0_E_clISt17integral_constantIbLb1EES1C_EEDaS17_S18_EUlS17_E_NS1_11comp_targetILNS1_3genE0ELNS1_11target_archE4294967295ELNS1_3gpuE0ELNS1_3repE0EEENS1_30default_config_static_selectorELNS0_4arch9wavefront6targetE1EEEvT1_
; %bb.0:
	.section	.rodata,"a",@progbits
	.p2align	6, 0x0
	.amdhsa_kernel _ZN7rocprim17ROCPRIM_400000_NS6detail17trampoline_kernelINS0_14default_configENS1_25partition_config_selectorILNS1_17partition_subalgoE8ElNS0_10empty_typeEbEEZZNS1_14partition_implILS5_8ELb0ES3_jPlPS6_PKS6_NS0_5tupleIJS9_S6_EEENSD_IJSA_SA_EEENS0_18inequality_wrapperIZN2at6native12_GLOBAL__N_124unique_dim_cuda_templateIjEESt5tupleIJNSH_6TensorESM_SM_EERKSM_lbbbEUlllE0_EEPmJS6_EEE10hipError_tPvRmT3_T4_T5_T6_T7_T9_mT8_P12ihipStream_tbDpT10_ENKUlT_T0_E_clISt17integral_constantIbLb1EES1C_EEDaS17_S18_EUlS17_E_NS1_11comp_targetILNS1_3genE0ELNS1_11target_archE4294967295ELNS1_3gpuE0ELNS1_3repE0EEENS1_30default_config_static_selectorELNS0_4arch9wavefront6targetE1EEEvT1_
		.amdhsa_group_segment_fixed_size 0
		.amdhsa_private_segment_fixed_size 0
		.amdhsa_kernarg_size 136
		.amdhsa_user_sgpr_count 2
		.amdhsa_user_sgpr_dispatch_ptr 0
		.amdhsa_user_sgpr_queue_ptr 0
		.amdhsa_user_sgpr_kernarg_segment_ptr 1
		.amdhsa_user_sgpr_dispatch_id 0
		.amdhsa_user_sgpr_kernarg_preload_length 0
		.amdhsa_user_sgpr_kernarg_preload_offset 0
		.amdhsa_user_sgpr_private_segment_size 0
		.amdhsa_uses_dynamic_stack 0
		.amdhsa_enable_private_segment 0
		.amdhsa_system_sgpr_workgroup_id_x 1
		.amdhsa_system_sgpr_workgroup_id_y 0
		.amdhsa_system_sgpr_workgroup_id_z 0
		.amdhsa_system_sgpr_workgroup_info 0
		.amdhsa_system_vgpr_workitem_id 0
		.amdhsa_next_free_vgpr 1
		.amdhsa_next_free_sgpr 0
		.amdhsa_accum_offset 4
		.amdhsa_reserve_vcc 0
		.amdhsa_float_round_mode_32 0
		.amdhsa_float_round_mode_16_64 0
		.amdhsa_float_denorm_mode_32 3
		.amdhsa_float_denorm_mode_16_64 3
		.amdhsa_dx10_clamp 1
		.amdhsa_ieee_mode 1
		.amdhsa_fp16_overflow 0
		.amdhsa_tg_split 0
		.amdhsa_exception_fp_ieee_invalid_op 0
		.amdhsa_exception_fp_denorm_src 0
		.amdhsa_exception_fp_ieee_div_zero 0
		.amdhsa_exception_fp_ieee_overflow 0
		.amdhsa_exception_fp_ieee_underflow 0
		.amdhsa_exception_fp_ieee_inexact 0
		.amdhsa_exception_int_div_zero 0
	.end_amdhsa_kernel
	.section	.text._ZN7rocprim17ROCPRIM_400000_NS6detail17trampoline_kernelINS0_14default_configENS1_25partition_config_selectorILNS1_17partition_subalgoE8ElNS0_10empty_typeEbEEZZNS1_14partition_implILS5_8ELb0ES3_jPlPS6_PKS6_NS0_5tupleIJS9_S6_EEENSD_IJSA_SA_EEENS0_18inequality_wrapperIZN2at6native12_GLOBAL__N_124unique_dim_cuda_templateIjEESt5tupleIJNSH_6TensorESM_SM_EERKSM_lbbbEUlllE0_EEPmJS6_EEE10hipError_tPvRmT3_T4_T5_T6_T7_T9_mT8_P12ihipStream_tbDpT10_ENKUlT_T0_E_clISt17integral_constantIbLb1EES1C_EEDaS17_S18_EUlS17_E_NS1_11comp_targetILNS1_3genE0ELNS1_11target_archE4294967295ELNS1_3gpuE0ELNS1_3repE0EEENS1_30default_config_static_selectorELNS0_4arch9wavefront6targetE1EEEvT1_,"axG",@progbits,_ZN7rocprim17ROCPRIM_400000_NS6detail17trampoline_kernelINS0_14default_configENS1_25partition_config_selectorILNS1_17partition_subalgoE8ElNS0_10empty_typeEbEEZZNS1_14partition_implILS5_8ELb0ES3_jPlPS6_PKS6_NS0_5tupleIJS9_S6_EEENSD_IJSA_SA_EEENS0_18inequality_wrapperIZN2at6native12_GLOBAL__N_124unique_dim_cuda_templateIjEESt5tupleIJNSH_6TensorESM_SM_EERKSM_lbbbEUlllE0_EEPmJS6_EEE10hipError_tPvRmT3_T4_T5_T6_T7_T9_mT8_P12ihipStream_tbDpT10_ENKUlT_T0_E_clISt17integral_constantIbLb1EES1C_EEDaS17_S18_EUlS17_E_NS1_11comp_targetILNS1_3genE0ELNS1_11target_archE4294967295ELNS1_3gpuE0ELNS1_3repE0EEENS1_30default_config_static_selectorELNS0_4arch9wavefront6targetE1EEEvT1_,comdat
.Lfunc_end1559:
	.size	_ZN7rocprim17ROCPRIM_400000_NS6detail17trampoline_kernelINS0_14default_configENS1_25partition_config_selectorILNS1_17partition_subalgoE8ElNS0_10empty_typeEbEEZZNS1_14partition_implILS5_8ELb0ES3_jPlPS6_PKS6_NS0_5tupleIJS9_S6_EEENSD_IJSA_SA_EEENS0_18inequality_wrapperIZN2at6native12_GLOBAL__N_124unique_dim_cuda_templateIjEESt5tupleIJNSH_6TensorESM_SM_EERKSM_lbbbEUlllE0_EEPmJS6_EEE10hipError_tPvRmT3_T4_T5_T6_T7_T9_mT8_P12ihipStream_tbDpT10_ENKUlT_T0_E_clISt17integral_constantIbLb1EES1C_EEDaS17_S18_EUlS17_E_NS1_11comp_targetILNS1_3genE0ELNS1_11target_archE4294967295ELNS1_3gpuE0ELNS1_3repE0EEENS1_30default_config_static_selectorELNS0_4arch9wavefront6targetE1EEEvT1_, .Lfunc_end1559-_ZN7rocprim17ROCPRIM_400000_NS6detail17trampoline_kernelINS0_14default_configENS1_25partition_config_selectorILNS1_17partition_subalgoE8ElNS0_10empty_typeEbEEZZNS1_14partition_implILS5_8ELb0ES3_jPlPS6_PKS6_NS0_5tupleIJS9_S6_EEENSD_IJSA_SA_EEENS0_18inequality_wrapperIZN2at6native12_GLOBAL__N_124unique_dim_cuda_templateIjEESt5tupleIJNSH_6TensorESM_SM_EERKSM_lbbbEUlllE0_EEPmJS6_EEE10hipError_tPvRmT3_T4_T5_T6_T7_T9_mT8_P12ihipStream_tbDpT10_ENKUlT_T0_E_clISt17integral_constantIbLb1EES1C_EEDaS17_S18_EUlS17_E_NS1_11comp_targetILNS1_3genE0ELNS1_11target_archE4294967295ELNS1_3gpuE0ELNS1_3repE0EEENS1_30default_config_static_selectorELNS0_4arch9wavefront6targetE1EEEvT1_
                                        ; -- End function
	.section	.AMDGPU.csdata,"",@progbits
; Kernel info:
; codeLenInByte = 0
; NumSgprs: 6
; NumVgprs: 0
; NumAgprs: 0
; TotalNumVgprs: 0
; ScratchSize: 0
; MemoryBound: 0
; FloatMode: 240
; IeeeMode: 1
; LDSByteSize: 0 bytes/workgroup (compile time only)
; SGPRBlocks: 0
; VGPRBlocks: 0
; NumSGPRsForWavesPerEU: 6
; NumVGPRsForWavesPerEU: 1
; AccumOffset: 4
; Occupancy: 8
; WaveLimiterHint : 0
; COMPUTE_PGM_RSRC2:SCRATCH_EN: 0
; COMPUTE_PGM_RSRC2:USER_SGPR: 2
; COMPUTE_PGM_RSRC2:TRAP_HANDLER: 0
; COMPUTE_PGM_RSRC2:TGID_X_EN: 1
; COMPUTE_PGM_RSRC2:TGID_Y_EN: 0
; COMPUTE_PGM_RSRC2:TGID_Z_EN: 0
; COMPUTE_PGM_RSRC2:TIDIG_COMP_CNT: 0
; COMPUTE_PGM_RSRC3_GFX90A:ACCUM_OFFSET: 0
; COMPUTE_PGM_RSRC3_GFX90A:TG_SPLIT: 0
	.section	.text._ZN7rocprim17ROCPRIM_400000_NS6detail17trampoline_kernelINS0_14default_configENS1_25partition_config_selectorILNS1_17partition_subalgoE8ElNS0_10empty_typeEbEEZZNS1_14partition_implILS5_8ELb0ES3_jPlPS6_PKS6_NS0_5tupleIJS9_S6_EEENSD_IJSA_SA_EEENS0_18inequality_wrapperIZN2at6native12_GLOBAL__N_124unique_dim_cuda_templateIjEESt5tupleIJNSH_6TensorESM_SM_EERKSM_lbbbEUlllE0_EEPmJS6_EEE10hipError_tPvRmT3_T4_T5_T6_T7_T9_mT8_P12ihipStream_tbDpT10_ENKUlT_T0_E_clISt17integral_constantIbLb1EES1C_EEDaS17_S18_EUlS17_E_NS1_11comp_targetILNS1_3genE5ELNS1_11target_archE942ELNS1_3gpuE9ELNS1_3repE0EEENS1_30default_config_static_selectorELNS0_4arch9wavefront6targetE1EEEvT1_,"axG",@progbits,_ZN7rocprim17ROCPRIM_400000_NS6detail17trampoline_kernelINS0_14default_configENS1_25partition_config_selectorILNS1_17partition_subalgoE8ElNS0_10empty_typeEbEEZZNS1_14partition_implILS5_8ELb0ES3_jPlPS6_PKS6_NS0_5tupleIJS9_S6_EEENSD_IJSA_SA_EEENS0_18inequality_wrapperIZN2at6native12_GLOBAL__N_124unique_dim_cuda_templateIjEESt5tupleIJNSH_6TensorESM_SM_EERKSM_lbbbEUlllE0_EEPmJS6_EEE10hipError_tPvRmT3_T4_T5_T6_T7_T9_mT8_P12ihipStream_tbDpT10_ENKUlT_T0_E_clISt17integral_constantIbLb1EES1C_EEDaS17_S18_EUlS17_E_NS1_11comp_targetILNS1_3genE5ELNS1_11target_archE942ELNS1_3gpuE9ELNS1_3repE0EEENS1_30default_config_static_selectorELNS0_4arch9wavefront6targetE1EEEvT1_,comdat
	.globl	_ZN7rocprim17ROCPRIM_400000_NS6detail17trampoline_kernelINS0_14default_configENS1_25partition_config_selectorILNS1_17partition_subalgoE8ElNS0_10empty_typeEbEEZZNS1_14partition_implILS5_8ELb0ES3_jPlPS6_PKS6_NS0_5tupleIJS9_S6_EEENSD_IJSA_SA_EEENS0_18inequality_wrapperIZN2at6native12_GLOBAL__N_124unique_dim_cuda_templateIjEESt5tupleIJNSH_6TensorESM_SM_EERKSM_lbbbEUlllE0_EEPmJS6_EEE10hipError_tPvRmT3_T4_T5_T6_T7_T9_mT8_P12ihipStream_tbDpT10_ENKUlT_T0_E_clISt17integral_constantIbLb1EES1C_EEDaS17_S18_EUlS17_E_NS1_11comp_targetILNS1_3genE5ELNS1_11target_archE942ELNS1_3gpuE9ELNS1_3repE0EEENS1_30default_config_static_selectorELNS0_4arch9wavefront6targetE1EEEvT1_ ; -- Begin function _ZN7rocprim17ROCPRIM_400000_NS6detail17trampoline_kernelINS0_14default_configENS1_25partition_config_selectorILNS1_17partition_subalgoE8ElNS0_10empty_typeEbEEZZNS1_14partition_implILS5_8ELb0ES3_jPlPS6_PKS6_NS0_5tupleIJS9_S6_EEENSD_IJSA_SA_EEENS0_18inequality_wrapperIZN2at6native12_GLOBAL__N_124unique_dim_cuda_templateIjEESt5tupleIJNSH_6TensorESM_SM_EERKSM_lbbbEUlllE0_EEPmJS6_EEE10hipError_tPvRmT3_T4_T5_T6_T7_T9_mT8_P12ihipStream_tbDpT10_ENKUlT_T0_E_clISt17integral_constantIbLb1EES1C_EEDaS17_S18_EUlS17_E_NS1_11comp_targetILNS1_3genE5ELNS1_11target_archE942ELNS1_3gpuE9ELNS1_3repE0EEENS1_30default_config_static_selectorELNS0_4arch9wavefront6targetE1EEEvT1_
	.p2align	8
	.type	_ZN7rocprim17ROCPRIM_400000_NS6detail17trampoline_kernelINS0_14default_configENS1_25partition_config_selectorILNS1_17partition_subalgoE8ElNS0_10empty_typeEbEEZZNS1_14partition_implILS5_8ELb0ES3_jPlPS6_PKS6_NS0_5tupleIJS9_S6_EEENSD_IJSA_SA_EEENS0_18inequality_wrapperIZN2at6native12_GLOBAL__N_124unique_dim_cuda_templateIjEESt5tupleIJNSH_6TensorESM_SM_EERKSM_lbbbEUlllE0_EEPmJS6_EEE10hipError_tPvRmT3_T4_T5_T6_T7_T9_mT8_P12ihipStream_tbDpT10_ENKUlT_T0_E_clISt17integral_constantIbLb1EES1C_EEDaS17_S18_EUlS17_E_NS1_11comp_targetILNS1_3genE5ELNS1_11target_archE942ELNS1_3gpuE9ELNS1_3repE0EEENS1_30default_config_static_selectorELNS0_4arch9wavefront6targetE1EEEvT1_,@function
_ZN7rocprim17ROCPRIM_400000_NS6detail17trampoline_kernelINS0_14default_configENS1_25partition_config_selectorILNS1_17partition_subalgoE8ElNS0_10empty_typeEbEEZZNS1_14partition_implILS5_8ELb0ES3_jPlPS6_PKS6_NS0_5tupleIJS9_S6_EEENSD_IJSA_SA_EEENS0_18inequality_wrapperIZN2at6native12_GLOBAL__N_124unique_dim_cuda_templateIjEESt5tupleIJNSH_6TensorESM_SM_EERKSM_lbbbEUlllE0_EEPmJS6_EEE10hipError_tPvRmT3_T4_T5_T6_T7_T9_mT8_P12ihipStream_tbDpT10_ENKUlT_T0_E_clISt17integral_constantIbLb1EES1C_EEDaS17_S18_EUlS17_E_NS1_11comp_targetILNS1_3genE5ELNS1_11target_archE942ELNS1_3gpuE9ELNS1_3repE0EEENS1_30default_config_static_selectorELNS0_4arch9wavefront6targetE1EEEvT1_: ; @_ZN7rocprim17ROCPRIM_400000_NS6detail17trampoline_kernelINS0_14default_configENS1_25partition_config_selectorILNS1_17partition_subalgoE8ElNS0_10empty_typeEbEEZZNS1_14partition_implILS5_8ELb0ES3_jPlPS6_PKS6_NS0_5tupleIJS9_S6_EEENSD_IJSA_SA_EEENS0_18inequality_wrapperIZN2at6native12_GLOBAL__N_124unique_dim_cuda_templateIjEESt5tupleIJNSH_6TensorESM_SM_EERKSM_lbbbEUlllE0_EEPmJS6_EEE10hipError_tPvRmT3_T4_T5_T6_T7_T9_mT8_P12ihipStream_tbDpT10_ENKUlT_T0_E_clISt17integral_constantIbLb1EES1C_EEDaS17_S18_EUlS17_E_NS1_11comp_targetILNS1_3genE5ELNS1_11target_archE942ELNS1_3gpuE9ELNS1_3repE0EEENS1_30default_config_static_selectorELNS0_4arch9wavefront6targetE1EEEvT1_
; %bb.0:
	s_load_dwordx2 s[34:35], s[0:1], 0x28
	s_load_dwordx8 s[20:27], s[0:1], 0x40
	s_load_dwordx4 s[28:31], s[0:1], 0x60
	v_cmp_ne_u32_e64 s[2:3], 0, v0
	v_cmp_eq_u32_e64 s[18:19], 0, v0
	s_and_saveexec_b64 s[4:5], s[18:19]
	s_cbranch_execz .LBB1560_4
; %bb.1:
	s_mov_b64 s[8:9], exec
	v_mbcnt_lo_u32_b32 v1, s8, 0
	v_mbcnt_hi_u32_b32 v1, s9, v1
	v_cmp_eq_u32_e32 vcc, 0, v1
                                        ; implicit-def: $vgpr2
	s_and_saveexec_b64 s[6:7], vcc
	s_cbranch_execz .LBB1560_3
; %bb.2:
	s_load_dwordx2 s[10:11], s[0:1], 0x78
	s_bcnt1_i32_b64 s8, s[8:9]
	v_mov_b32_e32 v2, 0
	v_mov_b32_e32 v3, s8
	s_waitcnt lgkmcnt(0)
	global_atomic_add v2, v2, v3, s[10:11] sc0
.LBB1560_3:
	s_or_b64 exec, exec, s[6:7]
	s_waitcnt vmcnt(0)
	v_readfirstlane_b32 s6, v2
	v_mov_b32_e32 v2, 0
	s_nop 0
	v_add_u32_e32 v1, s6, v1
	ds_write_b32 v2, v1
.LBB1560_4:
	s_or_b64 exec, exec, s[4:5]
	v_mov_b32_e32 v3, 0
	s_load_dwordx4 s[4:7], s[0:1], 0x8
	s_load_dword s10, s[0:1], 0x70
	s_waitcnt lgkmcnt(0)
	s_barrier
	ds_read_b32 v1, v3
	s_waitcnt lgkmcnt(0)
	s_barrier
	global_load_dwordx2 v[4:5], v3, s[22:23]
	s_lshl_b64 s[0:1], s[6:7], 3
	s_mul_i32 s12, s10, 0xe00
	s_add_u32 s0, s4, s0
	s_addc_u32 s1, s5, s1
	s_add_i32 s4, s12, s6
	s_add_i32 s10, s10, -1
	s_sub_i32 s52, s24, s4
	s_add_u32 s4, s6, s12
	s_movk_i32 s11, 0xe00
	s_addc_u32 s5, s7, 0
	v_readfirstlane_b32 s33, v1
	v_mov_b32_e32 v6, s24
	v_mov_b32_e32 v7, s25
	v_mul_lo_u32 v2, v1, s11
	s_cmp_eq_u32 s33, s10
	v_cmp_ge_u64_e32 vcc, s[4:5], v[6:7]
	v_lshlrev_b64 v[6:7], 3, v[2:3]
	s_cselect_b64 s[24:25], -1, 0
	v_lshl_add_u64 v[18:19], s[0:1], 0, v[6:7]
	s_and_b64 s[0:1], vcc, s[24:25]
	s_xor_b64 s[36:37], s[0:1], -1
	s_mov_b64 s[8:9], -1
	s_and_b64 vcc, exec, s[36:37]
	s_waitcnt vmcnt(0)
	v_readfirstlane_b32 s22, v4
	v_readfirstlane_b32 s23, v5
	s_cbranch_vccz .LBB1560_6
; %bb.5:
	v_lshlrev_b32_e32 v2, 3, v0
	v_lshl_add_u64 v[4:5], v[18:19], 0, v[2:3]
	v_add_co_u32_e32 v8, vcc, 0x1000, v4
	v_readfirstlane_b32 s4, v18
	s_nop 0
	v_addc_co_u32_e32 v9, vcc, 0, v5, vcc
	v_add_co_u32_e32 v10, vcc, 0x2000, v4
	v_readfirstlane_b32 s5, v19
	s_nop 0
	v_addc_co_u32_e32 v11, vcc, 0, v5, vcc
	v_add_co_u32_e32 v12, vcc, 0x3000, v4
	s_mov_b64 s[8:9], 0
	s_nop 0
	v_addc_co_u32_e32 v13, vcc, 0, v5, vcc
	v_add_co_u32_e32 v14, vcc, 0x4000, v4
	global_load_dwordx2 v[6:7], v2, s[4:5]
	s_nop 0
	v_addc_co_u32_e32 v15, vcc, 0, v5, vcc
	global_load_dwordx2 v[16:17], v[8:9], off
	global_load_dwordx2 v[20:21], v[10:11], off
	;; [unrolled: 1-line block ×4, first 2 shown]
	v_add_co_u32_e32 v8, vcc, 0x5000, v4
	s_nop 1
	v_addc_co_u32_e32 v9, vcc, 0, v5, vcc
	v_add_co_u32_e32 v4, vcc, 0x6000, v4
	global_load_dwordx2 v[8:9], v[8:9], off
	s_nop 0
	v_addc_co_u32_e32 v5, vcc, 0, v5, vcc
	global_load_dwordx2 v[4:5], v[4:5], off
	s_waitcnt vmcnt(5)
	ds_write2st64_b64 v2, v[6:7], v[16:17] offset1:8
	s_waitcnt vmcnt(3)
	ds_write2st64_b64 v2, v[20:21], v[22:23] offset0:16 offset1:24
	s_waitcnt vmcnt(1)
	ds_write2st64_b64 v2, v[24:25], v[8:9] offset0:32 offset1:40
	s_waitcnt vmcnt(0)
	ds_write_b64 v2, v[4:5] offset:24576
	s_waitcnt lgkmcnt(0)
	s_barrier
.LBB1560_6:
	s_andn2_b64 vcc, exec, s[8:9]
	s_addk_i32 s52, 0xe00
	s_cbranch_vccnz .LBB1560_22
; %bb.7:
	v_cmp_gt_u32_e32 vcc, s52, v0
                                        ; implicit-def: $vgpr2_vgpr3_vgpr4_vgpr5_vgpr6_vgpr7_vgpr8_vgpr9_vgpr10_vgpr11_vgpr12_vgpr13_vgpr14_vgpr15_vgpr16_vgpr17
	s_and_saveexec_b64 s[4:5], vcc
	s_cbranch_execz .LBB1560_9
; %bb.8:
	v_lshlrev_b32_e32 v1, 3, v0
	v_readfirstlane_b32 s8, v18
	v_readfirstlane_b32 s9, v19
	s_nop 4
	global_load_dwordx2 v[2:3], v1, s[8:9]
.LBB1560_9:
	s_or_b64 exec, exec, s[4:5]
	v_or_b32_e32 v1, 0x200, v0
	v_cmp_gt_u32_e32 vcc, s52, v1
	s_and_saveexec_b64 s[4:5], vcc
	s_cbranch_execz .LBB1560_11
; %bb.10:
	v_lshlrev_b32_e32 v1, 3, v1
	v_readfirstlane_b32 s8, v18
	v_readfirstlane_b32 s9, v19
	s_nop 4
	global_load_dwordx2 v[4:5], v1, s[8:9]
.LBB1560_11:
	s_or_b64 exec, exec, s[4:5]
	v_or_b32_e32 v1, 0x400, v0
	v_cmp_gt_u32_e32 vcc, s52, v1
	;; [unrolled: 12-line block ×6, first 2 shown]
	s_and_saveexec_b64 s[4:5], vcc
	s_cbranch_execz .LBB1560_21
; %bb.20:
	v_lshlrev_b32_e32 v1, 3, v1
	v_readfirstlane_b32 s8, v18
	v_readfirstlane_b32 s9, v19
	s_nop 4
	global_load_dwordx2 v[14:15], v1, s[8:9]
.LBB1560_21:
	s_or_b64 exec, exec, s[4:5]
	v_lshlrev_b32_e32 v1, 3, v0
	s_waitcnt vmcnt(0)
	ds_write2st64_b64 v1, v[2:3], v[4:5] offset1:8
	ds_write2st64_b64 v1, v[6:7], v[8:9] offset0:16 offset1:24
	ds_write2st64_b64 v1, v[10:11], v[12:13] offset0:32 offset1:40
	ds_write_b64 v1, v[14:15] offset:24576
	s_waitcnt lgkmcnt(0)
	s_barrier
.LBB1560_22:
	v_mul_u32_u24_e32 v1, 7, v0
	v_lshlrev_b32_e32 v32, 3, v1
	ds_read2_b64 v[10:13], v32 offset1:1
	ds_read2_b64 v[6:9], v32 offset0:2 offset1:3
	ds_read2_b64 v[2:5], v32 offset0:4 offset1:5
	ds_read_b64 v[14:15], v32 offset:48
	s_cmp_lg_u32 s33, 0
	s_cselect_b64 s[16:17], -1, 0
	s_cmp_lg_u64 s[6:7], 0
	s_cselect_b64 s[4:5], -1, 0
	s_or_b64 s[4:5], s[4:5], s[16:17]
	v_mad_u32_u24 v27, v0, 7, 1
	v_mad_u32_u24 v26, v0, 7, 2
	v_mad_u32_u24 v30, v0, 7, 3
	v_mad_u32_u24 v28, v0, 7, 4
	v_mad_u32_u24 v31, v0, 7, 5
	v_mad_u32_u24 v29, v0, 7, 6
	s_mov_b64 s[8:9], 0
	s_and_b64 vcc, exec, s[4:5]
	v_cmp_gt_i64_e64 s[4:5], s[26:27], 0
	s_waitcnt lgkmcnt(0)
	s_barrier
	s_cbranch_vccz .LBB1560_31
; %bb.23:
	global_load_dwordx2 v[16:17], v[18:19], off offset:-8
	v_cndmask_b32_e64 v18, 0, 1, s[4:5]
	v_lshlrev_b32_e32 v33, 3, v0
	s_mov_b64 s[6:7], 0
	s_and_b64 vcc, exec, s[36:37]
	v_cmp_ne_u32_e64 s[4:5], 1, v18
	ds_write_b64 v33, v[14:15]
	s_cbranch_vccz .LBB1560_33
; %bb.24:
	v_mul_lo_u32 v20, v5, s26
	v_mul_lo_u32 v21, v4, s27
	v_mad_u64_u32 v[18:19], s[8:9], v4, s26, 0
	v_add3_u32 v19, v19, v21, v20
	s_and_b64 vcc, exec, s[4:5]
	v_lshl_add_u64 v[18:19], v[18:19], 2, s[28:29]
	s_cbranch_vccnz .LBB1560_36
; %bb.25:
	v_mul_lo_u32 v22, v15, s26
	v_mul_lo_u32 v23, v14, s27
	v_mad_u64_u32 v[20:21], s[6:7], v14, s26, 0
	v_add3_u32 v21, v21, v23, v22
	v_lshl_add_u64 v[20:21], v[20:21], 2, s[28:29]
	global_load_dword v22, v[18:19], off
	global_load_dword v23, v[20:21], off
	s_mov_b64 s[6:7], -1
	s_waitcnt vmcnt(0)
	v_cmp_eq_u32_e32 vcc, v22, v23
	s_and_saveexec_b64 s[8:9], vcc
	s_cbranch_execz .LBB1560_35
; %bb.26:
	s_add_u32 s6, s26, -1
	v_lshl_add_u64 v[20:21], v[20:21], 0, 4
	v_lshl_add_u64 v[22:23], v[18:19], 0, 4
	s_addc_u32 s7, s27, -1
	s_mov_b64 s[10:11], 0
	s_mov_b64 s[14:15], 0
                                        ; implicit-def: $sgpr12_sgpr13
	s_branch .LBB1560_29
.LBB1560_27:                            ;   in Loop: Header=BB1560_29 Depth=1
	global_load_dword v24, v[22:23], off
	global_load_dword v25, v[20:21], off
	s_add_u32 s14, s14, 1
	s_addc_u32 s15, s15, 0
	s_andn2_b64 s[12:13], s[12:13], exec
	v_lshl_add_u64 v[20:21], v[20:21], 0, 4
	v_lshl_add_u64 v[22:23], v[22:23], 0, 4
	s_waitcnt vmcnt(0)
	v_cmp_ne_u32_e32 vcc, v24, v25
	s_and_b64 s[38:39], vcc, exec
	s_or_b64 s[12:13], s[12:13], s[38:39]
.LBB1560_28:                            ;   in Loop: Header=BB1560_29 Depth=1
	s_and_b64 s[38:39], exec, s[12:13]
	s_or_b64 s[10:11], s[38:39], s[10:11]
	v_mov_b64_e32 v[24:25], s[14:15]
	s_andn2_b64 exec, exec, s[10:11]
	s_cbranch_execz .LBB1560_34
.LBB1560_29:                            ; =>This Inner Loop Header: Depth=1
	s_or_b64 s[12:13], s[12:13], exec
	s_cmp_eq_u64 s[6:7], s[14:15]
	s_cbranch_scc0 .LBB1560_27
; %bb.30:                               ;   in Loop: Header=BB1560_29 Depth=1
                                        ; implicit-def: $vgpr20_vgpr21
                                        ; implicit-def: $vgpr22_vgpr23
	s_mov_b64 s[14:15], s[26:27]
	s_branch .LBB1560_28
.LBB1560_31:
                                        ; implicit-def: $sgpr12_sgpr13
                                        ; implicit-def: $vgpr35
                                        ; implicit-def: $vgpr34
                                        ; implicit-def: $vgpr25
                                        ; implicit-def: $vgpr20
	s_branch .LBB1560_174
.LBB1560_32:
                                        ; implicit-def: $vgpr16_vgpr17
	s_branch .LBB1560_322
.LBB1560_33:
                                        ; implicit-def: $sgpr12_sgpr13
                                        ; implicit-def: $vgpr35
                                        ; implicit-def: $vgpr34
                                        ; implicit-def: $vgpr25
                                        ; implicit-def: $vgpr20
	s_cbranch_execnz .LBB1560_93
	s_branch .LBB1560_173
.LBB1560_34:
	s_or_b64 exec, exec, s[10:11]
	v_cmp_gt_i64_e32 vcc, s[26:27], v[24:25]
	s_orn2_b64 s[6:7], vcc, exec
.LBB1560_35:
	s_or_b64 exec, exec, s[8:9]
.LBB1560_36:
	v_mul_lo_u32 v22, v3, s26
	v_mul_lo_u32 v23, v2, s27
	v_mad_u64_u32 v[20:21], s[8:9], v2, s26, 0
	v_add3_u32 v21, v21, v23, v22
	s_mov_b64 s[8:9], 0
	s_and_b64 vcc, exec, s[4:5]
	v_lshl_add_u64 v[20:21], v[20:21], 2, s[28:29]
	s_mov_b64 s[10:11], 0
	s_cbranch_vccnz .LBB1560_45
; %bb.37:
	global_load_dword v22, v[20:21], off
	global_load_dword v23, v[18:19], off
	s_mov_b64 s[10:11], -1
	s_waitcnt vmcnt(0)
	v_cmp_eq_u32_e32 vcc, v22, v23
	s_and_saveexec_b64 s[12:13], vcc
	s_cbranch_execz .LBB1560_44
; %bb.38:
	s_add_u32 s10, s26, -1
	v_lshl_add_u64 v[18:19], v[18:19], 0, 4
	v_lshl_add_u64 v[22:23], v[20:21], 0, 4
	s_addc_u32 s11, s27, -1
	s_mov_b64 s[14:15], 0
	s_mov_b64 s[40:41], 0
                                        ; implicit-def: $sgpr38_sgpr39
	s_branch .LBB1560_41
.LBB1560_39:                            ;   in Loop: Header=BB1560_41 Depth=1
	global_load_dword v24, v[22:23], off
	global_load_dword v25, v[18:19], off
	s_add_u32 s40, s40, 1
	s_addc_u32 s41, s41, 0
	s_andn2_b64 s[38:39], s[38:39], exec
	v_lshl_add_u64 v[18:19], v[18:19], 0, 4
	v_lshl_add_u64 v[22:23], v[22:23], 0, 4
	s_waitcnt vmcnt(0)
	v_cmp_ne_u32_e32 vcc, v24, v25
	s_and_b64 s[42:43], vcc, exec
	s_or_b64 s[38:39], s[38:39], s[42:43]
.LBB1560_40:                            ;   in Loop: Header=BB1560_41 Depth=1
	s_and_b64 s[42:43], exec, s[38:39]
	s_or_b64 s[14:15], s[42:43], s[14:15]
	v_mov_b64_e32 v[24:25], s[40:41]
	s_andn2_b64 exec, exec, s[14:15]
	s_cbranch_execz .LBB1560_43
.LBB1560_41:                            ; =>This Inner Loop Header: Depth=1
	s_or_b64 s[38:39], s[38:39], exec
	s_cmp_eq_u64 s[10:11], s[40:41]
	s_cbranch_scc0 .LBB1560_39
; %bb.42:                               ;   in Loop: Header=BB1560_41 Depth=1
                                        ; implicit-def: $vgpr18_vgpr19
                                        ; implicit-def: $vgpr22_vgpr23
	s_mov_b64 s[40:41], s[26:27]
	s_branch .LBB1560_40
.LBB1560_43:
	s_or_b64 exec, exec, s[14:15]
	v_cmp_gt_i64_e32 vcc, s[26:27], v[24:25]
	s_orn2_b64 s[10:11], vcc, exec
.LBB1560_44:
	s_or_b64 exec, exec, s[12:13]
.LBB1560_45:
	v_mul_lo_u32 v22, v9, s26
	v_mul_lo_u32 v23, v8, s27
	v_mad_u64_u32 v[18:19], s[12:13], v8, s26, 0
	v_add3_u32 v19, v19, v23, v22
	s_and_b64 vcc, exec, s[4:5]
	v_lshl_add_u64 v[18:19], v[18:19], 2, s[28:29]
	s_cbranch_vccnz .LBB1560_54
; %bb.46:
	global_load_dword v22, v[18:19], off
	global_load_dword v23, v[20:21], off
	s_mov_b64 s[8:9], -1
	s_waitcnt vmcnt(0)
	v_cmp_eq_u32_e32 vcc, v22, v23
	s_and_saveexec_b64 s[12:13], vcc
	s_cbranch_execz .LBB1560_53
; %bb.47:
	s_add_u32 s8, s26, -1
	v_lshl_add_u64 v[20:21], v[20:21], 0, 4
	v_lshl_add_u64 v[22:23], v[18:19], 0, 4
	s_addc_u32 s9, s27, -1
	s_mov_b64 s[14:15], 0
	s_mov_b64 s[40:41], 0
                                        ; implicit-def: $sgpr38_sgpr39
	s_branch .LBB1560_50
.LBB1560_48:                            ;   in Loop: Header=BB1560_50 Depth=1
	global_load_dword v24, v[22:23], off
	global_load_dword v25, v[20:21], off
	s_add_u32 s40, s40, 1
	s_addc_u32 s41, s41, 0
	s_andn2_b64 s[38:39], s[38:39], exec
	v_lshl_add_u64 v[20:21], v[20:21], 0, 4
	v_lshl_add_u64 v[22:23], v[22:23], 0, 4
	s_waitcnt vmcnt(0)
	v_cmp_ne_u32_e32 vcc, v24, v25
	s_and_b64 s[42:43], vcc, exec
	s_or_b64 s[38:39], s[38:39], s[42:43]
.LBB1560_49:                            ;   in Loop: Header=BB1560_50 Depth=1
	s_and_b64 s[42:43], exec, s[38:39]
	s_or_b64 s[14:15], s[42:43], s[14:15]
	v_mov_b64_e32 v[24:25], s[40:41]
	s_andn2_b64 exec, exec, s[14:15]
	s_cbranch_execz .LBB1560_52
.LBB1560_50:                            ; =>This Inner Loop Header: Depth=1
	s_or_b64 s[38:39], s[38:39], exec
	s_cmp_eq_u64 s[8:9], s[40:41]
	s_cbranch_scc0 .LBB1560_48
; %bb.51:                               ;   in Loop: Header=BB1560_50 Depth=1
                                        ; implicit-def: $vgpr20_vgpr21
                                        ; implicit-def: $vgpr22_vgpr23
	s_mov_b64 s[40:41], s[26:27]
	s_branch .LBB1560_49
.LBB1560_52:
	s_or_b64 exec, exec, s[14:15]
	v_cmp_gt_i64_e32 vcc, s[26:27], v[24:25]
	s_orn2_b64 s[8:9], vcc, exec
.LBB1560_53:
	s_or_b64 exec, exec, s[12:13]
.LBB1560_54:
	v_mul_lo_u32 v22, v7, s26
	v_mul_lo_u32 v23, v6, s27
	v_mad_u64_u32 v[20:21], s[12:13], v6, s26, 0
	v_add3_u32 v21, v21, v23, v22
	s_mov_b64 s[12:13], 0
	s_and_b64 vcc, exec, s[4:5]
	v_lshl_add_u64 v[22:23], v[20:21], 2, s[28:29]
	s_mov_b64 s[14:15], 0
	s_cbranch_vccnz .LBB1560_63
; %bb.55:
	global_load_dword v20, v[22:23], off
	global_load_dword v21, v[18:19], off
	s_mov_b64 s[14:15], -1
	s_waitcnt vmcnt(0)
	v_cmp_eq_u32_e32 vcc, v20, v21
	s_and_saveexec_b64 s[38:39], vcc
	s_cbranch_execz .LBB1560_62
; %bb.56:
	s_add_u32 s14, s26, -1
	v_lshl_add_u64 v[18:19], v[18:19], 0, 4
	v_lshl_add_u64 v[20:21], v[22:23], 0, 4
	s_addc_u32 s15, s27, -1
	s_mov_b64 s[40:41], 0
	s_mov_b64 s[44:45], 0
                                        ; implicit-def: $sgpr42_sgpr43
	s_branch .LBB1560_59
.LBB1560_57:                            ;   in Loop: Header=BB1560_59 Depth=1
	global_load_dword v24, v[20:21], off
	global_load_dword v25, v[18:19], off
	s_add_u32 s44, s44, 1
	s_addc_u32 s45, s45, 0
	s_andn2_b64 s[42:43], s[42:43], exec
	v_lshl_add_u64 v[18:19], v[18:19], 0, 4
	v_lshl_add_u64 v[20:21], v[20:21], 0, 4
	s_waitcnt vmcnt(0)
	v_cmp_ne_u32_e32 vcc, v24, v25
	s_and_b64 s[46:47], vcc, exec
	s_or_b64 s[42:43], s[42:43], s[46:47]
.LBB1560_58:                            ;   in Loop: Header=BB1560_59 Depth=1
	s_and_b64 s[46:47], exec, s[42:43]
	s_or_b64 s[40:41], s[46:47], s[40:41]
	v_mov_b64_e32 v[24:25], s[44:45]
	s_andn2_b64 exec, exec, s[40:41]
	s_cbranch_execz .LBB1560_61
.LBB1560_59:                            ; =>This Inner Loop Header: Depth=1
	s_or_b64 s[42:43], s[42:43], exec
	s_cmp_eq_u64 s[14:15], s[44:45]
	s_cbranch_scc0 .LBB1560_57
; %bb.60:                               ;   in Loop: Header=BB1560_59 Depth=1
                                        ; implicit-def: $vgpr18_vgpr19
                                        ; implicit-def: $vgpr20_vgpr21
	s_mov_b64 s[44:45], s[26:27]
	s_branch .LBB1560_58
.LBB1560_61:
	s_or_b64 exec, exec, s[40:41]
	v_cmp_gt_i64_e32 vcc, s[26:27], v[24:25]
	s_orn2_b64 s[14:15], vcc, exec
.LBB1560_62:
	s_or_b64 exec, exec, s[38:39]
.LBB1560_63:
	v_mul_lo_u32 v20, v13, s26
	v_mul_lo_u32 v21, v12, s27
	v_mad_u64_u32 v[18:19], s[38:39], v12, s26, 0
	v_add3_u32 v19, v19, v21, v20
	s_and_b64 vcc, exec, s[4:5]
	v_lshl_add_u64 v[20:21], v[18:19], 2, s[28:29]
	s_cbranch_vccnz .LBB1560_72
; %bb.64:
	global_load_dword v18, v[20:21], off
	global_load_dword v19, v[22:23], off
	s_mov_b64 s[12:13], -1
	s_waitcnt vmcnt(0)
	v_cmp_eq_u32_e32 vcc, v18, v19
	s_and_saveexec_b64 s[38:39], vcc
	s_cbranch_execz .LBB1560_71
; %bb.65:
	s_add_u32 s12, s26, -1
	v_lshl_add_u64 v[18:19], v[22:23], 0, 4
	v_lshl_add_u64 v[22:23], v[20:21], 0, 4
	s_addc_u32 s13, s27, -1
	s_mov_b64 s[40:41], 0
	s_mov_b64 s[44:45], 0
                                        ; implicit-def: $sgpr42_sgpr43
	s_branch .LBB1560_68
.LBB1560_66:                            ;   in Loop: Header=BB1560_68 Depth=1
	global_load_dword v24, v[22:23], off
	global_load_dword v25, v[18:19], off
	s_add_u32 s44, s44, 1
	s_addc_u32 s45, s45, 0
	s_andn2_b64 s[42:43], s[42:43], exec
	v_lshl_add_u64 v[18:19], v[18:19], 0, 4
	v_lshl_add_u64 v[22:23], v[22:23], 0, 4
	s_waitcnt vmcnt(0)
	v_cmp_ne_u32_e32 vcc, v24, v25
	s_and_b64 s[46:47], vcc, exec
	s_or_b64 s[42:43], s[42:43], s[46:47]
.LBB1560_67:                            ;   in Loop: Header=BB1560_68 Depth=1
	s_and_b64 s[46:47], exec, s[42:43]
	s_or_b64 s[40:41], s[46:47], s[40:41]
	v_mov_b64_e32 v[24:25], s[44:45]
	s_andn2_b64 exec, exec, s[40:41]
	s_cbranch_execz .LBB1560_70
.LBB1560_68:                            ; =>This Inner Loop Header: Depth=1
	s_or_b64 s[42:43], s[42:43], exec
	s_cmp_eq_u64 s[12:13], s[44:45]
	s_cbranch_scc0 .LBB1560_66
; %bb.69:                               ;   in Loop: Header=BB1560_68 Depth=1
                                        ; implicit-def: $vgpr18_vgpr19
                                        ; implicit-def: $vgpr22_vgpr23
	s_mov_b64 s[44:45], s[26:27]
	s_branch .LBB1560_67
.LBB1560_70:
	s_or_b64 exec, exec, s[40:41]
	v_cmp_gt_i64_e32 vcc, s[26:27], v[24:25]
	s_orn2_b64 s[12:13], vcc, exec
.LBB1560_71:
	s_or_b64 exec, exec, s[38:39]
.LBB1560_72:
	v_mul_lo_u32 v22, v11, s26
	v_mul_lo_u32 v23, v10, s27
	v_mad_u64_u32 v[18:19], s[38:39], v10, s26, 0
	v_add3_u32 v19, v19, v23, v22
	s_mov_b64 s[40:41], 0
	s_and_b64 vcc, exec, s[4:5]
	v_lshl_add_u64 v[18:19], v[18:19], 2, s[28:29]
	s_cbranch_vccnz .LBB1560_81
; %bb.73:
	global_load_dword v22, v[18:19], off
	global_load_dword v23, v[20:21], off
	s_mov_b64 s[40:41], -1
	s_waitcnt vmcnt(0)
	v_cmp_eq_u32_e32 vcc, v22, v23
	s_and_saveexec_b64 s[38:39], vcc
	s_cbranch_execz .LBB1560_80
; %bb.74:
	s_add_u32 s40, s26, -1
	v_lshl_add_u64 v[20:21], v[20:21], 0, 4
	v_lshl_add_u64 v[22:23], v[18:19], 0, 4
	s_addc_u32 s41, s27, -1
	s_mov_b64 s[42:43], 0
	s_mov_b64 s[46:47], 0
                                        ; implicit-def: $sgpr44_sgpr45
	s_branch .LBB1560_77
.LBB1560_75:                            ;   in Loop: Header=BB1560_77 Depth=1
	global_load_dword v24, v[22:23], off
	global_load_dword v25, v[20:21], off
	s_add_u32 s46, s46, 1
	s_addc_u32 s47, s47, 0
	s_andn2_b64 s[44:45], s[44:45], exec
	v_lshl_add_u64 v[20:21], v[20:21], 0, 4
	v_lshl_add_u64 v[22:23], v[22:23], 0, 4
	s_waitcnt vmcnt(0)
	v_cmp_ne_u32_e32 vcc, v24, v25
	s_and_b64 s[48:49], vcc, exec
	s_or_b64 s[44:45], s[44:45], s[48:49]
.LBB1560_76:                            ;   in Loop: Header=BB1560_77 Depth=1
	s_and_b64 s[48:49], exec, s[44:45]
	s_or_b64 s[42:43], s[48:49], s[42:43]
	v_mov_b64_e32 v[24:25], s[46:47]
	s_andn2_b64 exec, exec, s[42:43]
	s_cbranch_execz .LBB1560_79
.LBB1560_77:                            ; =>This Inner Loop Header: Depth=1
	s_or_b64 s[44:45], s[44:45], exec
	s_cmp_eq_u64 s[40:41], s[46:47]
	s_cbranch_scc0 .LBB1560_75
; %bb.78:                               ;   in Loop: Header=BB1560_77 Depth=1
                                        ; implicit-def: $vgpr20_vgpr21
                                        ; implicit-def: $vgpr22_vgpr23
	s_mov_b64 s[46:47], s[26:27]
	s_branch .LBB1560_76
.LBB1560_79:
	s_or_b64 exec, exec, s[42:43]
	v_cmp_gt_i64_e32 vcc, s[26:27], v[24:25]
	s_orn2_b64 s[40:41], vcc, exec
.LBB1560_80:
	s_or_b64 exec, exec, s[38:39]
.LBB1560_81:
	s_waitcnt vmcnt(0)
	v_mov_b64_e32 v[20:21], v[16:17]
	s_waitcnt lgkmcnt(0)
	s_barrier
	s_and_saveexec_b64 s[38:39], s[2:3]
	s_cbranch_execz .LBB1560_83
; %bb.82:
	v_add_u32_e32 v20, -8, v33
	ds_read_b64 v[20:21], v20
.LBB1560_83:
	s_or_b64 exec, exec, s[38:39]
	v_cndmask_b32_e64 v23, 0, 1, s[14:15]
	v_cndmask_b32_e64 v22, 0, 1, s[12:13]
	;; [unrolled: 1-line block ×3, first 2 shown]
	v_lshlrev_b16_e32 v23, 8, v23
	v_lshlrev_b16_e32 v24, 8, v24
	v_or_b32_sdwa v36, v22, v23 dst_sel:WORD_1 dst_unused:UNUSED_PAD src0_sel:DWORD src1_sel:DWORD
	s_mov_b64 s[14:15], 0
	s_and_b64 vcc, exec, s[4:5]
	s_mov_b64 s[12:13], 0
	s_cbranch_vccnz .LBB1560_92
; %bb.84:
	s_waitcnt lgkmcnt(0)
	v_mul_lo_u32 v22, v21, s26
	v_mul_lo_u32 v23, v20, s27
	v_mad_u64_u32 v[20:21], s[12:13], v20, s26, 0
	v_add3_u32 v21, v21, v23, v22
	v_lshl_add_u64 v[20:21], v[20:21], 2, s[28:29]
	global_load_dword v22, v[20:21], off
	global_load_dword v23, v[18:19], off
	s_mov_b64 s[12:13], -1
	s_waitcnt vmcnt(0)
	v_cmp_eq_u32_e32 vcc, v22, v23
	s_and_saveexec_b64 s[38:39], vcc
	s_cbranch_execz .LBB1560_91
; %bb.85:
	s_add_u32 s12, s26, -1
	v_lshl_add_u64 v[18:19], v[18:19], 0, 4
	v_lshl_add_u64 v[20:21], v[20:21], 0, 4
	s_addc_u32 s13, s27, -1
	s_mov_b64 s[40:41], 0
	s_mov_b64 s[44:45], 0
                                        ; implicit-def: $sgpr42_sgpr43
	s_branch .LBB1560_88
.LBB1560_86:                            ;   in Loop: Header=BB1560_88 Depth=1
	global_load_dword v22, v[20:21], off
	global_load_dword v23, v[18:19], off
	s_add_u32 s44, s44, 1
	s_addc_u32 s45, s45, 0
	s_andn2_b64 s[42:43], s[42:43], exec
	v_lshl_add_u64 v[18:19], v[18:19], 0, 4
	v_lshl_add_u64 v[20:21], v[20:21], 0, 4
	s_waitcnt vmcnt(0)
	v_cmp_ne_u32_e32 vcc, v22, v23
	s_and_b64 s[46:47], vcc, exec
	s_or_b64 s[42:43], s[42:43], s[46:47]
.LBB1560_87:                            ;   in Loop: Header=BB1560_88 Depth=1
	s_and_b64 s[46:47], exec, s[42:43]
	s_or_b64 s[40:41], s[46:47], s[40:41]
	v_mov_b64_e32 v[22:23], s[44:45]
	s_andn2_b64 exec, exec, s[40:41]
	s_cbranch_execz .LBB1560_90
.LBB1560_88:                            ; =>This Inner Loop Header: Depth=1
	s_or_b64 s[42:43], s[42:43], exec
	s_cmp_eq_u64 s[12:13], s[44:45]
	s_cbranch_scc0 .LBB1560_86
; %bb.89:                               ;   in Loop: Header=BB1560_88 Depth=1
                                        ; implicit-def: $vgpr18_vgpr19
                                        ; implicit-def: $vgpr20_vgpr21
	s_mov_b64 s[44:45], s[26:27]
	s_branch .LBB1560_87
.LBB1560_90:
	s_or_b64 exec, exec, s[40:41]
	v_cmp_gt_i64_e32 vcc, s[26:27], v[22:23]
	s_orn2_b64 s[12:13], vcc, exec
.LBB1560_91:
	s_or_b64 exec, exec, s[38:39]
.LBB1560_92:
	v_cndmask_b32_e64 v25, 0, 1, s[8:9]
	v_cndmask_b32_e64 v34, 0, 1, s[10:11]
	;; [unrolled: 1-line block ×3, first 2 shown]
	s_waitcnt lgkmcnt(0)
	v_or_b32_e32 v20, v24, v36
	s_and_b64 vcc, exec, s[14:15]
	s_cbranch_vccz .LBB1560_173
.LBB1560_93:
	v_cmp_gt_u32_e32 vcc, s52, v29
	s_mov_b64 s[8:9], 0
	s_mov_b64 s[6:7], 0
	s_and_saveexec_b64 s[10:11], vcc
	s_cbranch_execz .LBB1560_104
; %bb.94:
	s_and_b64 vcc, exec, s[4:5]
	s_mov_b64 s[12:13], 0
	s_cbranch_vccnz .LBB1560_103
; %bb.95:
	v_mul_lo_u32 v20, v5, s26
	v_mul_lo_u32 v21, v4, s27
	v_mad_u64_u32 v[18:19], s[6:7], v4, s26, 0
	v_add3_u32 v19, v19, v21, v20
	v_mul_lo_u32 v20, v15, s26
	v_mul_lo_u32 v21, v14, s27
	v_mad_u64_u32 v[22:23], s[6:7], v14, s26, 0
	v_add3_u32 v23, v23, v21, v20
	v_lshl_add_u64 v[20:21], v[18:19], 2, s[28:29]
	v_lshl_add_u64 v[18:19], v[22:23], 2, s[28:29]
	global_load_dword v22, v[20:21], off
	global_load_dword v23, v[18:19], off
	s_mov_b64 s[12:13], -1
	s_waitcnt vmcnt(0)
	v_cmp_eq_u32_e32 vcc, v22, v23
	s_and_saveexec_b64 s[6:7], vcc
	s_cbranch_execz .LBB1560_102
; %bb.96:
	s_add_u32 s12, s26, -1
	v_lshl_add_u64 v[18:19], v[18:19], 0, 4
	v_lshl_add_u64 v[20:21], v[20:21], 0, 4
	s_addc_u32 s13, s27, -1
	s_mov_b64 s[14:15], 0
	s_mov_b64 s[40:41], 0
                                        ; implicit-def: $sgpr38_sgpr39
	s_branch .LBB1560_99
.LBB1560_97:                            ;   in Loop: Header=BB1560_99 Depth=1
	global_load_dword v22, v[20:21], off
	global_load_dword v23, v[18:19], off
	s_add_u32 s40, s40, 1
	s_addc_u32 s41, s41, 0
	s_andn2_b64 s[38:39], s[38:39], exec
	v_lshl_add_u64 v[18:19], v[18:19], 0, 4
	v_lshl_add_u64 v[20:21], v[20:21], 0, 4
	s_waitcnt vmcnt(0)
	v_cmp_ne_u32_e32 vcc, v22, v23
	s_and_b64 s[42:43], vcc, exec
	s_or_b64 s[38:39], s[38:39], s[42:43]
.LBB1560_98:                            ;   in Loop: Header=BB1560_99 Depth=1
	s_and_b64 s[42:43], exec, s[38:39]
	s_or_b64 s[14:15], s[42:43], s[14:15]
	v_mov_b64_e32 v[22:23], s[40:41]
	s_andn2_b64 exec, exec, s[14:15]
	s_cbranch_execz .LBB1560_101
.LBB1560_99:                            ; =>This Inner Loop Header: Depth=1
	s_or_b64 s[38:39], s[38:39], exec
	s_cmp_eq_u64 s[12:13], s[40:41]
	s_cbranch_scc0 .LBB1560_97
; %bb.100:                              ;   in Loop: Header=BB1560_99 Depth=1
                                        ; implicit-def: $vgpr18_vgpr19
                                        ; implicit-def: $vgpr20_vgpr21
	s_mov_b64 s[40:41], s[26:27]
	s_branch .LBB1560_98
.LBB1560_101:
	s_or_b64 exec, exec, s[14:15]
	v_cmp_gt_i64_e32 vcc, s[26:27], v[22:23]
	s_orn2_b64 s[12:13], vcc, exec
.LBB1560_102:
	s_or_b64 exec, exec, s[6:7]
.LBB1560_103:
	s_and_b64 s[6:7], s[12:13], exec
.LBB1560_104:
	s_or_b64 exec, exec, s[10:11]
	v_cmp_gt_u32_e32 vcc, s52, v31
	s_and_saveexec_b64 s[10:11], vcc
	s_cbranch_execz .LBB1560_115
; %bb.105:
	s_and_b64 vcc, exec, s[4:5]
	s_mov_b64 s[12:13], 0
	s_cbranch_vccnz .LBB1560_114
; %bb.106:
	v_mul_lo_u32 v20, v3, s26
	v_mul_lo_u32 v21, v2, s27
	v_mad_u64_u32 v[18:19], s[8:9], v2, s26, 0
	v_add3_u32 v19, v19, v21, v20
	v_mul_lo_u32 v20, v5, s26
	v_mul_lo_u32 v21, v4, s27
	v_mad_u64_u32 v[22:23], s[8:9], v4, s26, 0
	v_add3_u32 v23, v23, v21, v20
	v_lshl_add_u64 v[20:21], v[18:19], 2, s[28:29]
	v_lshl_add_u64 v[18:19], v[22:23], 2, s[28:29]
	global_load_dword v22, v[20:21], off
	global_load_dword v23, v[18:19], off
	s_mov_b64 s[12:13], -1
	s_waitcnt vmcnt(0)
	v_cmp_eq_u32_e32 vcc, v22, v23
	s_and_saveexec_b64 s[8:9], vcc
	s_cbranch_execz .LBB1560_113
; %bb.107:
	s_add_u32 s12, s26, -1
	v_lshl_add_u64 v[18:19], v[18:19], 0, 4
	v_lshl_add_u64 v[20:21], v[20:21], 0, 4
	s_addc_u32 s13, s27, -1
	s_mov_b64 s[14:15], 0
	s_mov_b64 s[40:41], 0
                                        ; implicit-def: $sgpr38_sgpr39
	s_branch .LBB1560_110
.LBB1560_108:                           ;   in Loop: Header=BB1560_110 Depth=1
	global_load_dword v22, v[20:21], off
	global_load_dword v23, v[18:19], off
	s_add_u32 s40, s40, 1
	s_addc_u32 s41, s41, 0
	s_andn2_b64 s[38:39], s[38:39], exec
	v_lshl_add_u64 v[18:19], v[18:19], 0, 4
	v_lshl_add_u64 v[20:21], v[20:21], 0, 4
	s_waitcnt vmcnt(0)
	v_cmp_ne_u32_e32 vcc, v22, v23
	s_and_b64 s[42:43], vcc, exec
	s_or_b64 s[38:39], s[38:39], s[42:43]
.LBB1560_109:                           ;   in Loop: Header=BB1560_110 Depth=1
	s_and_b64 s[42:43], exec, s[38:39]
	s_or_b64 s[14:15], s[42:43], s[14:15]
	v_mov_b64_e32 v[22:23], s[40:41]
	s_andn2_b64 exec, exec, s[14:15]
	s_cbranch_execz .LBB1560_112
.LBB1560_110:                           ; =>This Inner Loop Header: Depth=1
	s_or_b64 s[38:39], s[38:39], exec
	s_cmp_eq_u64 s[12:13], s[40:41]
	s_cbranch_scc0 .LBB1560_108
; %bb.111:                              ;   in Loop: Header=BB1560_110 Depth=1
                                        ; implicit-def: $vgpr18_vgpr19
                                        ; implicit-def: $vgpr20_vgpr21
	s_mov_b64 s[40:41], s[26:27]
	s_branch .LBB1560_109
.LBB1560_112:
	s_or_b64 exec, exec, s[14:15]
	v_cmp_gt_i64_e32 vcc, s[26:27], v[22:23]
	s_orn2_b64 s[12:13], vcc, exec
.LBB1560_113:
	s_or_b64 exec, exec, s[8:9]
.LBB1560_114:
	s_and_b64 s[8:9], s[12:13], exec
.LBB1560_115:
	s_or_b64 exec, exec, s[10:11]
	v_cmp_gt_u32_e32 vcc, s52, v28
	s_mov_b64 s[12:13], 0
	s_mov_b64 s[10:11], 0
	s_and_saveexec_b64 s[14:15], vcc
	s_cbranch_execz .LBB1560_126
; %bb.116:
	s_and_b64 vcc, exec, s[4:5]
	s_mov_b64 s[38:39], 0
	s_cbranch_vccnz .LBB1560_125
; %bb.117:
	v_mul_lo_u32 v20, v9, s26
	v_mul_lo_u32 v21, v8, s27
	v_mad_u64_u32 v[18:19], s[10:11], v8, s26, 0
	v_add3_u32 v19, v19, v21, v20
	v_mul_lo_u32 v20, v3, s26
	v_mul_lo_u32 v21, v2, s27
	v_mad_u64_u32 v[22:23], s[10:11], v2, s26, 0
	v_add3_u32 v23, v23, v21, v20
	v_lshl_add_u64 v[20:21], v[18:19], 2, s[28:29]
	v_lshl_add_u64 v[18:19], v[22:23], 2, s[28:29]
	global_load_dword v22, v[20:21], off
	global_load_dword v23, v[18:19], off
	s_mov_b64 s[38:39], -1
	s_waitcnt vmcnt(0)
	v_cmp_eq_u32_e32 vcc, v22, v23
	s_and_saveexec_b64 s[10:11], vcc
	s_cbranch_execz .LBB1560_124
; %bb.118:
	s_add_u32 s38, s26, -1
	v_lshl_add_u64 v[18:19], v[18:19], 0, 4
	v_lshl_add_u64 v[20:21], v[20:21], 0, 4
	s_addc_u32 s39, s27, -1
	s_mov_b64 s[40:41], 0
	s_mov_b64 s[44:45], 0
                                        ; implicit-def: $sgpr42_sgpr43
	s_branch .LBB1560_121
.LBB1560_119:                           ;   in Loop: Header=BB1560_121 Depth=1
	global_load_dword v22, v[20:21], off
	global_load_dword v23, v[18:19], off
	s_add_u32 s44, s44, 1
	s_addc_u32 s45, s45, 0
	s_andn2_b64 s[42:43], s[42:43], exec
	v_lshl_add_u64 v[18:19], v[18:19], 0, 4
	v_lshl_add_u64 v[20:21], v[20:21], 0, 4
	s_waitcnt vmcnt(0)
	v_cmp_ne_u32_e32 vcc, v22, v23
	s_and_b64 s[46:47], vcc, exec
	s_or_b64 s[42:43], s[42:43], s[46:47]
.LBB1560_120:                           ;   in Loop: Header=BB1560_121 Depth=1
	s_and_b64 s[46:47], exec, s[42:43]
	s_or_b64 s[40:41], s[46:47], s[40:41]
	v_mov_b64_e32 v[22:23], s[44:45]
	s_andn2_b64 exec, exec, s[40:41]
	s_cbranch_execz .LBB1560_123
.LBB1560_121:                           ; =>This Inner Loop Header: Depth=1
	s_or_b64 s[42:43], s[42:43], exec
	s_cmp_eq_u64 s[38:39], s[44:45]
	s_cbranch_scc0 .LBB1560_119
; %bb.122:                              ;   in Loop: Header=BB1560_121 Depth=1
                                        ; implicit-def: $vgpr18_vgpr19
                                        ; implicit-def: $vgpr20_vgpr21
	s_mov_b64 s[44:45], s[26:27]
	s_branch .LBB1560_120
.LBB1560_123:
	s_or_b64 exec, exec, s[40:41]
	v_cmp_gt_i64_e32 vcc, s[26:27], v[22:23]
	s_orn2_b64 s[38:39], vcc, exec
.LBB1560_124:
	s_or_b64 exec, exec, s[10:11]
.LBB1560_125:
	s_and_b64 s[10:11], s[38:39], exec
.LBB1560_126:
	s_or_b64 exec, exec, s[14:15]
	v_cmp_gt_u32_e32 vcc, s52, v30
	s_and_saveexec_b64 s[14:15], vcc
	s_cbranch_execz .LBB1560_137
; %bb.127:
	s_and_b64 vcc, exec, s[4:5]
	s_mov_b64 s[38:39], 0
	s_cbranch_vccnz .LBB1560_136
; %bb.128:
	v_mul_lo_u32 v20, v7, s26
	v_mul_lo_u32 v21, v6, s27
	v_mad_u64_u32 v[18:19], s[12:13], v6, s26, 0
	v_add3_u32 v19, v19, v21, v20
	v_mul_lo_u32 v20, v9, s26
	v_mul_lo_u32 v21, v8, s27
	v_mad_u64_u32 v[22:23], s[12:13], v8, s26, 0
	v_add3_u32 v23, v23, v21, v20
	v_lshl_add_u64 v[20:21], v[18:19], 2, s[28:29]
	v_lshl_add_u64 v[18:19], v[22:23], 2, s[28:29]
	global_load_dword v22, v[20:21], off
	global_load_dword v23, v[18:19], off
	s_mov_b64 s[38:39], -1
	s_waitcnt vmcnt(0)
	v_cmp_eq_u32_e32 vcc, v22, v23
	s_and_saveexec_b64 s[12:13], vcc
	s_cbranch_execz .LBB1560_135
; %bb.129:
	s_add_u32 s38, s26, -1
	v_lshl_add_u64 v[18:19], v[18:19], 0, 4
	v_lshl_add_u64 v[20:21], v[20:21], 0, 4
	s_addc_u32 s39, s27, -1
	s_mov_b64 s[40:41], 0
	s_mov_b64 s[44:45], 0
                                        ; implicit-def: $sgpr42_sgpr43
	s_branch .LBB1560_132
.LBB1560_130:                           ;   in Loop: Header=BB1560_132 Depth=1
	global_load_dword v22, v[20:21], off
	global_load_dword v23, v[18:19], off
	s_add_u32 s44, s44, 1
	s_addc_u32 s45, s45, 0
	s_andn2_b64 s[42:43], s[42:43], exec
	v_lshl_add_u64 v[18:19], v[18:19], 0, 4
	v_lshl_add_u64 v[20:21], v[20:21], 0, 4
	s_waitcnt vmcnt(0)
	v_cmp_ne_u32_e32 vcc, v22, v23
	s_and_b64 s[46:47], vcc, exec
	s_or_b64 s[42:43], s[42:43], s[46:47]
.LBB1560_131:                           ;   in Loop: Header=BB1560_132 Depth=1
	s_and_b64 s[46:47], exec, s[42:43]
	s_or_b64 s[40:41], s[46:47], s[40:41]
	v_mov_b64_e32 v[22:23], s[44:45]
	s_andn2_b64 exec, exec, s[40:41]
	s_cbranch_execz .LBB1560_134
.LBB1560_132:                           ; =>This Inner Loop Header: Depth=1
	s_or_b64 s[42:43], s[42:43], exec
	s_cmp_eq_u64 s[38:39], s[44:45]
	s_cbranch_scc0 .LBB1560_130
; %bb.133:                              ;   in Loop: Header=BB1560_132 Depth=1
                                        ; implicit-def: $vgpr18_vgpr19
                                        ; implicit-def: $vgpr20_vgpr21
	s_mov_b64 s[44:45], s[26:27]
	s_branch .LBB1560_131
.LBB1560_134:
	s_or_b64 exec, exec, s[40:41]
	v_cmp_gt_i64_e32 vcc, s[26:27], v[22:23]
	s_orn2_b64 s[38:39], vcc, exec
.LBB1560_135:
	s_or_b64 exec, exec, s[12:13]
.LBB1560_136:
	s_and_b64 s[12:13], s[38:39], exec
.LBB1560_137:
	s_or_b64 exec, exec, s[14:15]
	v_cmp_gt_u32_e32 vcc, s52, v26
	s_mov_b64 s[14:15], 0
	s_mov_b64 s[38:39], 0
	s_and_saveexec_b64 s[40:41], vcc
	s_cbranch_execz .LBB1560_148
; %bb.138:
	s_and_b64 vcc, exec, s[4:5]
	s_mov_b64 s[42:43], 0
	s_cbranch_vccnz .LBB1560_147
; %bb.139:
	v_mul_lo_u32 v20, v13, s26
	v_mul_lo_u32 v21, v12, s27
	v_mad_u64_u32 v[18:19], s[38:39], v12, s26, 0
	v_add3_u32 v19, v19, v21, v20
	v_mul_lo_u32 v20, v7, s26
	v_mul_lo_u32 v21, v6, s27
	v_mad_u64_u32 v[22:23], s[38:39], v6, s26, 0
	v_add3_u32 v23, v23, v21, v20
	v_lshl_add_u64 v[20:21], v[18:19], 2, s[28:29]
	v_lshl_add_u64 v[18:19], v[22:23], 2, s[28:29]
	global_load_dword v22, v[20:21], off
	global_load_dword v23, v[18:19], off
	s_mov_b64 s[42:43], -1
	s_waitcnt vmcnt(0)
	v_cmp_eq_u32_e32 vcc, v22, v23
	s_and_saveexec_b64 s[38:39], vcc
	s_cbranch_execz .LBB1560_146
; %bb.140:
	s_add_u32 s42, s26, -1
	v_lshl_add_u64 v[18:19], v[18:19], 0, 4
	v_lshl_add_u64 v[20:21], v[20:21], 0, 4
	s_addc_u32 s43, s27, -1
	s_mov_b64 s[44:45], 0
	s_mov_b64 s[48:49], 0
                                        ; implicit-def: $sgpr46_sgpr47
	s_branch .LBB1560_143
.LBB1560_141:                           ;   in Loop: Header=BB1560_143 Depth=1
	global_load_dword v22, v[20:21], off
	global_load_dword v23, v[18:19], off
	s_add_u32 s48, s48, 1
	s_addc_u32 s49, s49, 0
	s_andn2_b64 s[46:47], s[46:47], exec
	v_lshl_add_u64 v[18:19], v[18:19], 0, 4
	v_lshl_add_u64 v[20:21], v[20:21], 0, 4
	s_waitcnt vmcnt(0)
	v_cmp_ne_u32_e32 vcc, v22, v23
	s_and_b64 s[50:51], vcc, exec
	s_or_b64 s[46:47], s[46:47], s[50:51]
.LBB1560_142:                           ;   in Loop: Header=BB1560_143 Depth=1
	s_and_b64 s[50:51], exec, s[46:47]
	s_or_b64 s[44:45], s[50:51], s[44:45]
	v_mov_b64_e32 v[22:23], s[48:49]
	s_andn2_b64 exec, exec, s[44:45]
	s_cbranch_execz .LBB1560_145
.LBB1560_143:                           ; =>This Inner Loop Header: Depth=1
	s_or_b64 s[46:47], s[46:47], exec
	s_cmp_eq_u64 s[42:43], s[48:49]
	s_cbranch_scc0 .LBB1560_141
; %bb.144:                              ;   in Loop: Header=BB1560_143 Depth=1
                                        ; implicit-def: $vgpr18_vgpr19
                                        ; implicit-def: $vgpr20_vgpr21
	s_mov_b64 s[48:49], s[26:27]
	s_branch .LBB1560_142
.LBB1560_145:
	s_or_b64 exec, exec, s[44:45]
	v_cmp_gt_i64_e32 vcc, s[26:27], v[22:23]
	s_orn2_b64 s[42:43], vcc, exec
.LBB1560_146:
	s_or_b64 exec, exec, s[38:39]
.LBB1560_147:
	s_and_b64 s[38:39], s[42:43], exec
.LBB1560_148:
	s_or_b64 exec, exec, s[40:41]
	v_cmp_gt_u32_e32 vcc, s52, v27
	s_and_saveexec_b64 s[40:41], vcc
	s_cbranch_execz .LBB1560_159
; %bb.149:
	s_and_b64 vcc, exec, s[4:5]
	s_mov_b64 s[42:43], 0
	s_cbranch_vccnz .LBB1560_158
; %bb.150:
	v_mul_lo_u32 v20, v11, s26
	v_mul_lo_u32 v21, v10, s27
	v_mad_u64_u32 v[18:19], s[14:15], v10, s26, 0
	v_add3_u32 v19, v19, v21, v20
	v_mul_lo_u32 v20, v13, s26
	v_mul_lo_u32 v21, v12, s27
	v_mad_u64_u32 v[22:23], s[14:15], v12, s26, 0
	v_add3_u32 v23, v23, v21, v20
	v_lshl_add_u64 v[20:21], v[18:19], 2, s[28:29]
	v_lshl_add_u64 v[18:19], v[22:23], 2, s[28:29]
	global_load_dword v22, v[20:21], off
	global_load_dword v23, v[18:19], off
	s_mov_b64 s[42:43], -1
	s_waitcnt vmcnt(0)
	v_cmp_eq_u32_e32 vcc, v22, v23
	s_and_saveexec_b64 s[14:15], vcc
	s_cbranch_execz .LBB1560_157
; %bb.151:
	s_add_u32 s42, s26, -1
	v_lshl_add_u64 v[18:19], v[18:19], 0, 4
	v_lshl_add_u64 v[20:21], v[20:21], 0, 4
	s_addc_u32 s43, s27, -1
	s_mov_b64 s[44:45], 0
	s_mov_b64 s[48:49], 0
                                        ; implicit-def: $sgpr46_sgpr47
	s_branch .LBB1560_154
.LBB1560_152:                           ;   in Loop: Header=BB1560_154 Depth=1
	global_load_dword v22, v[20:21], off
	global_load_dword v23, v[18:19], off
	s_add_u32 s48, s48, 1
	s_addc_u32 s49, s49, 0
	s_andn2_b64 s[46:47], s[46:47], exec
	v_lshl_add_u64 v[18:19], v[18:19], 0, 4
	v_lshl_add_u64 v[20:21], v[20:21], 0, 4
	s_waitcnt vmcnt(0)
	v_cmp_ne_u32_e32 vcc, v22, v23
	s_and_b64 s[50:51], vcc, exec
	s_or_b64 s[46:47], s[46:47], s[50:51]
.LBB1560_153:                           ;   in Loop: Header=BB1560_154 Depth=1
	s_and_b64 s[50:51], exec, s[46:47]
	s_or_b64 s[44:45], s[50:51], s[44:45]
	v_mov_b64_e32 v[22:23], s[48:49]
	s_andn2_b64 exec, exec, s[44:45]
	s_cbranch_execz .LBB1560_156
.LBB1560_154:                           ; =>This Inner Loop Header: Depth=1
	s_or_b64 s[46:47], s[46:47], exec
	s_cmp_eq_u64 s[42:43], s[48:49]
	s_cbranch_scc0 .LBB1560_152
; %bb.155:                              ;   in Loop: Header=BB1560_154 Depth=1
                                        ; implicit-def: $vgpr18_vgpr19
                                        ; implicit-def: $vgpr20_vgpr21
	s_mov_b64 s[48:49], s[26:27]
	s_branch .LBB1560_153
.LBB1560_156:
	s_or_b64 exec, exec, s[44:45]
	v_cmp_gt_i64_e32 vcc, s[26:27], v[22:23]
	s_orn2_b64 s[42:43], vcc, exec
.LBB1560_157:
	s_or_b64 exec, exec, s[14:15]
.LBB1560_158:
	s_and_b64 s[14:15], s[42:43], exec
.LBB1560_159:
	s_or_b64 exec, exec, s[40:41]
	s_waitcnt lgkmcnt(0)
	s_barrier
	s_and_saveexec_b64 s[40:41], s[2:3]
	s_cbranch_execz .LBB1560_161
; %bb.160:
	s_waitcnt vmcnt(0)
	v_add_u32_e32 v16, -8, v33
	ds_read_b64 v[16:17], v16
.LBB1560_161:
	s_or_b64 exec, exec, s[40:41]
	v_cndmask_b32_e64 v19, 0, 1, s[12:13]
	v_cndmask_b32_e64 v18, 0, 1, s[38:39]
	;; [unrolled: 1-line block ×3, first 2 shown]
	v_lshlrev_b16_e32 v19, 8, v19
	v_cmp_gt_u32_e32 vcc, s52, v1
	v_lshlrev_b16_e32 v22, 8, v20
	v_or_b32_sdwa v23, v18, v19 dst_sel:WORD_1 dst_unused:UNUSED_PAD src0_sel:DWORD src1_sel:DWORD
	s_mov_b64 s[12:13], 0
	s_and_saveexec_b64 s[14:15], vcc
	s_cbranch_execz .LBB1560_172
; %bb.162:
	s_and_b64 vcc, exec, s[4:5]
	s_cbranch_vccnz .LBB1560_171
; %bb.163:
	s_waitcnt vmcnt(0) lgkmcnt(0)
	v_mul_lo_u32 v18, v17, s26
	v_mul_lo_u32 v19, v16, s27
	v_mad_u64_u32 v[16:17], s[4:5], v16, s26, 0
	v_add3_u32 v17, v17, v19, v18
	v_mul_lo_u32 v18, v11, s26
	v_mul_lo_u32 v19, v10, s27
	v_mad_u64_u32 v[20:21], s[4:5], v10, s26, 0
	v_add3_u32 v21, v21, v19, v18
	v_lshl_add_u64 v[18:19], v[16:17], 2, s[28:29]
	v_lshl_add_u64 v[16:17], v[20:21], 2, s[28:29]
	global_load_dword v20, v[18:19], off
	global_load_dword v21, v[16:17], off
	s_mov_b64 s[12:13], -1
	s_waitcnt vmcnt(0)
	v_cmp_eq_u32_e32 vcc, v20, v21
	s_and_saveexec_b64 s[4:5], vcc
	s_cbranch_execz .LBB1560_170
; %bb.164:
	s_add_u32 s12, s26, -1
	v_lshl_add_u64 v[16:17], v[16:17], 0, 4
	v_lshl_add_u64 v[18:19], v[18:19], 0, 4
	s_addc_u32 s13, s27, -1
	s_mov_b64 s[38:39], 0
	s_mov_b64 s[42:43], 0
                                        ; implicit-def: $sgpr40_sgpr41
	s_branch .LBB1560_167
.LBB1560_165:                           ;   in Loop: Header=BB1560_167 Depth=1
	global_load_dword v20, v[18:19], off
	global_load_dword v21, v[16:17], off
	s_add_u32 s42, s42, 1
	s_addc_u32 s43, s43, 0
	s_andn2_b64 s[40:41], s[40:41], exec
	v_lshl_add_u64 v[16:17], v[16:17], 0, 4
	v_lshl_add_u64 v[18:19], v[18:19], 0, 4
	s_waitcnt vmcnt(0)
	v_cmp_ne_u32_e32 vcc, v20, v21
	s_and_b64 s[44:45], vcc, exec
	s_or_b64 s[40:41], s[40:41], s[44:45]
.LBB1560_166:                           ;   in Loop: Header=BB1560_167 Depth=1
	s_and_b64 s[44:45], exec, s[40:41]
	s_or_b64 s[38:39], s[44:45], s[38:39]
	v_mov_b64_e32 v[20:21], s[42:43]
	s_andn2_b64 exec, exec, s[38:39]
	s_cbranch_execz .LBB1560_169
.LBB1560_167:                           ; =>This Inner Loop Header: Depth=1
	s_or_b64 s[40:41], s[40:41], exec
	s_cmp_eq_u64 s[12:13], s[42:43]
	s_cbranch_scc0 .LBB1560_165
; %bb.168:                              ;   in Loop: Header=BB1560_167 Depth=1
                                        ; implicit-def: $vgpr16_vgpr17
                                        ; implicit-def: $vgpr18_vgpr19
	s_mov_b64 s[42:43], s[26:27]
	s_branch .LBB1560_166
.LBB1560_169:
	s_or_b64 exec, exec, s[38:39]
	v_cmp_gt_i64_e32 vcc, s[26:27], v[20:21]
	s_orn2_b64 s[12:13], vcc, exec
.LBB1560_170:
	s_or_b64 exec, exec, s[4:5]
.LBB1560_171:
	s_and_b64 s[12:13], s[12:13], exec
.LBB1560_172:
	s_or_b64 exec, exec, s[14:15]
	v_cndmask_b32_e64 v25, 0, 1, s[10:11]
	v_cndmask_b32_e64 v34, 0, 1, s[8:9]
	;; [unrolled: 1-line block ×3, first 2 shown]
	v_or_b32_e32 v20, v22, v23
.LBB1560_173:
	s_mov_b64 s[8:9], -1
	s_cbranch_execnz .LBB1560_32
.LBB1560_174:
	s_movk_i32 s4, 0xffd0
	v_mad_i32_i24 v24, v0, s4, v32
	s_mov_b64 s[10:11], 0
	v_cmp_gt_i64_e64 s[6:7], s[26:27], 0
	s_and_b64 vcc, exec, s[36:37]
	ds_write_b64 v24, v[14:15]
	s_cbranch_vccz .LBB1560_182
; %bb.175:
	v_mul_lo_u32 v18, v5, s26
	v_mul_lo_u32 v19, v4, s27
	s_waitcnt vmcnt(0) lgkmcnt(1)
	v_mad_u64_u32 v[16:17], s[4:5], v4, s26, 0
	v_add3_u32 v17, v17, v19, v18
	v_cndmask_b32_e64 v18, 0, 1, s[6:7]
	v_cmp_ne_u32_e64 s[4:5], 1, v18
	s_andn2_b64 vcc, exec, s[6:7]
	v_lshl_add_u64 v[16:17], v[16:17], 2, s[28:29]
	s_cbranch_vccnz .LBB1560_185
; %bb.176:
	v_mul_lo_u32 v20, v15, s26
	v_mul_lo_u32 v21, v14, s27
	v_mad_u64_u32 v[18:19], s[10:11], v14, s26, 0
	v_add3_u32 v19, v19, v21, v20
	v_lshl_add_u64 v[18:19], v[18:19], 2, s[28:29]
	global_load_dword v20, v[16:17], off
	global_load_dword v21, v[18:19], off
	s_mov_b64 s[10:11], -1
	s_waitcnt vmcnt(0)
	v_cmp_eq_u32_e32 vcc, v20, v21
	s_and_saveexec_b64 s[12:13], vcc
	s_cbranch_execz .LBB1560_184
; %bb.177:
	s_add_u32 s10, s26, -1
	v_lshl_add_u64 v[18:19], v[18:19], 0, 4
	v_lshl_add_u64 v[20:21], v[16:17], 0, 4
	s_addc_u32 s11, s27, -1
	s_mov_b64 s[14:15], 0
	s_mov_b64 s[40:41], 0
                                        ; implicit-def: $sgpr38_sgpr39
	s_branch .LBB1560_180
.LBB1560_178:                           ;   in Loop: Header=BB1560_180 Depth=1
	global_load_dword v22, v[20:21], off
	global_load_dword v23, v[18:19], off
	s_add_u32 s40, s40, 1
	s_addc_u32 s41, s41, 0
	s_andn2_b64 s[38:39], s[38:39], exec
	v_lshl_add_u64 v[18:19], v[18:19], 0, 4
	v_lshl_add_u64 v[20:21], v[20:21], 0, 4
	s_waitcnt vmcnt(0)
	v_cmp_ne_u32_e32 vcc, v22, v23
	s_and_b64 s[42:43], vcc, exec
	s_or_b64 s[38:39], s[38:39], s[42:43]
.LBB1560_179:                           ;   in Loop: Header=BB1560_180 Depth=1
	s_and_b64 s[42:43], exec, s[38:39]
	s_or_b64 s[14:15], s[42:43], s[14:15]
	v_mov_b64_e32 v[22:23], s[40:41]
	s_andn2_b64 exec, exec, s[14:15]
	s_cbranch_execz .LBB1560_183
.LBB1560_180:                           ; =>This Inner Loop Header: Depth=1
	s_or_b64 s[38:39], s[38:39], exec
	s_cmp_eq_u64 s[10:11], s[40:41]
	s_cbranch_scc0 .LBB1560_178
; %bb.181:                              ;   in Loop: Header=BB1560_180 Depth=1
                                        ; implicit-def: $vgpr18_vgpr19
                                        ; implicit-def: $vgpr20_vgpr21
	s_mov_b64 s[40:41], s[26:27]
	s_branch .LBB1560_179
.LBB1560_182:
                                        ; implicit-def: $sgpr12_sgpr13
                                        ; implicit-def: $vgpr35
                                        ; implicit-def: $vgpr34
                                        ; implicit-def: $vgpr25
                                        ; implicit-def: $vgpr20
                                        ; implicit-def: $vgpr16_vgpr17
	s_cbranch_execnz .LBB1560_242
	s_branch .LBB1560_322
.LBB1560_183:
	s_or_b64 exec, exec, s[14:15]
	v_cmp_gt_i64_e32 vcc, s[26:27], v[22:23]
	s_orn2_b64 s[10:11], vcc, exec
.LBB1560_184:
	s_or_b64 exec, exec, s[12:13]
.LBB1560_185:
	v_mul_lo_u32 v20, v3, s26
	v_mul_lo_u32 v21, v2, s27
	v_mad_u64_u32 v[18:19], s[12:13], v2, s26, 0
	v_add3_u32 v19, v19, v21, v20
	s_mov_b64 s[12:13], 0
	s_and_b64 vcc, exec, s[4:5]
	v_lshl_add_u64 v[18:19], v[18:19], 2, s[28:29]
	s_mov_b64 s[14:15], 0
	s_cbranch_vccnz .LBB1560_194
; %bb.186:
	global_load_dword v20, v[18:19], off
	global_load_dword v21, v[16:17], off
	s_mov_b64 s[14:15], -1
	s_waitcnt vmcnt(0)
	v_cmp_eq_u32_e32 vcc, v20, v21
	s_and_saveexec_b64 s[38:39], vcc
	s_cbranch_execz .LBB1560_193
; %bb.187:
	s_add_u32 s14, s26, -1
	v_lshl_add_u64 v[16:17], v[16:17], 0, 4
	v_lshl_add_u64 v[20:21], v[18:19], 0, 4
	s_addc_u32 s15, s27, -1
	s_mov_b64 s[40:41], 0
	s_mov_b64 s[44:45], 0
                                        ; implicit-def: $sgpr42_sgpr43
	s_branch .LBB1560_190
.LBB1560_188:                           ;   in Loop: Header=BB1560_190 Depth=1
	global_load_dword v22, v[20:21], off
	global_load_dword v23, v[16:17], off
	s_add_u32 s44, s44, 1
	s_addc_u32 s45, s45, 0
	s_andn2_b64 s[42:43], s[42:43], exec
	v_lshl_add_u64 v[16:17], v[16:17], 0, 4
	v_lshl_add_u64 v[20:21], v[20:21], 0, 4
	s_waitcnt vmcnt(0)
	v_cmp_ne_u32_e32 vcc, v22, v23
	s_and_b64 s[46:47], vcc, exec
	s_or_b64 s[42:43], s[42:43], s[46:47]
.LBB1560_189:                           ;   in Loop: Header=BB1560_190 Depth=1
	s_and_b64 s[46:47], exec, s[42:43]
	s_or_b64 s[40:41], s[46:47], s[40:41]
	v_mov_b64_e32 v[22:23], s[44:45]
	s_andn2_b64 exec, exec, s[40:41]
	s_cbranch_execz .LBB1560_192
.LBB1560_190:                           ; =>This Inner Loop Header: Depth=1
	s_or_b64 s[42:43], s[42:43], exec
	s_cmp_eq_u64 s[14:15], s[44:45]
	s_cbranch_scc0 .LBB1560_188
; %bb.191:                              ;   in Loop: Header=BB1560_190 Depth=1
                                        ; implicit-def: $vgpr16_vgpr17
                                        ; implicit-def: $vgpr20_vgpr21
	s_mov_b64 s[44:45], s[26:27]
	s_branch .LBB1560_189
.LBB1560_192:
	s_or_b64 exec, exec, s[40:41]
	v_cmp_gt_i64_e32 vcc, s[26:27], v[22:23]
	s_orn2_b64 s[14:15], vcc, exec
.LBB1560_193:
	s_or_b64 exec, exec, s[38:39]
.LBB1560_194:
	v_mul_lo_u32 v20, v9, s26
	v_mul_lo_u32 v21, v8, s27
	v_mad_u64_u32 v[16:17], s[38:39], v8, s26, 0
	v_add3_u32 v17, v17, v21, v20
	s_and_b64 vcc, exec, s[4:5]
	v_lshl_add_u64 v[16:17], v[16:17], 2, s[28:29]
	s_cbranch_vccnz .LBB1560_203
; %bb.195:
	global_load_dword v20, v[16:17], off
	global_load_dword v21, v[18:19], off
	s_mov_b64 s[12:13], -1
	s_waitcnt vmcnt(0)
	v_cmp_eq_u32_e32 vcc, v20, v21
	s_and_saveexec_b64 s[38:39], vcc
	s_cbranch_execz .LBB1560_202
; %bb.196:
	s_add_u32 s12, s26, -1
	v_lshl_add_u64 v[18:19], v[18:19], 0, 4
	v_lshl_add_u64 v[20:21], v[16:17], 0, 4
	s_addc_u32 s13, s27, -1
	s_mov_b64 s[40:41], 0
	s_mov_b64 s[44:45], 0
                                        ; implicit-def: $sgpr42_sgpr43
	s_branch .LBB1560_199
.LBB1560_197:                           ;   in Loop: Header=BB1560_199 Depth=1
	global_load_dword v22, v[20:21], off
	global_load_dword v23, v[18:19], off
	s_add_u32 s44, s44, 1
	s_addc_u32 s45, s45, 0
	s_andn2_b64 s[42:43], s[42:43], exec
	v_lshl_add_u64 v[18:19], v[18:19], 0, 4
	v_lshl_add_u64 v[20:21], v[20:21], 0, 4
	s_waitcnt vmcnt(0)
	v_cmp_ne_u32_e32 vcc, v22, v23
	s_and_b64 s[46:47], vcc, exec
	s_or_b64 s[42:43], s[42:43], s[46:47]
.LBB1560_198:                           ;   in Loop: Header=BB1560_199 Depth=1
	s_and_b64 s[46:47], exec, s[42:43]
	s_or_b64 s[40:41], s[46:47], s[40:41]
	v_mov_b64_e32 v[22:23], s[44:45]
	s_andn2_b64 exec, exec, s[40:41]
	s_cbranch_execz .LBB1560_201
.LBB1560_199:                           ; =>This Inner Loop Header: Depth=1
	s_or_b64 s[42:43], s[42:43], exec
	s_cmp_eq_u64 s[12:13], s[44:45]
	s_cbranch_scc0 .LBB1560_197
; %bb.200:                              ;   in Loop: Header=BB1560_199 Depth=1
                                        ; implicit-def: $vgpr18_vgpr19
                                        ; implicit-def: $vgpr20_vgpr21
	s_mov_b64 s[44:45], s[26:27]
	s_branch .LBB1560_198
.LBB1560_201:
	s_or_b64 exec, exec, s[40:41]
	v_cmp_gt_i64_e32 vcc, s[26:27], v[22:23]
	s_orn2_b64 s[12:13], vcc, exec
.LBB1560_202:
	s_or_b64 exec, exec, s[38:39]
.LBB1560_203:
	v_mul_lo_u32 v20, v7, s26
	v_mul_lo_u32 v21, v6, s27
	v_mad_u64_u32 v[18:19], s[38:39], v6, s26, 0
	v_add3_u32 v19, v19, v21, v20
	s_mov_b64 s[38:39], 0
	s_and_b64 vcc, exec, s[4:5]
	v_lshl_add_u64 v[18:19], v[18:19], 2, s[28:29]
	s_mov_b64 s[40:41], 0
	s_cbranch_vccnz .LBB1560_212
; %bb.204:
	global_load_dword v20, v[18:19], off
	global_load_dword v21, v[16:17], off
	s_mov_b64 s[40:41], -1
	s_waitcnt vmcnt(0)
	v_cmp_eq_u32_e32 vcc, v20, v21
	s_and_saveexec_b64 s[42:43], vcc
	s_cbranch_execz .LBB1560_211
; %bb.205:
	s_add_u32 s40, s26, -1
	v_lshl_add_u64 v[16:17], v[16:17], 0, 4
	v_lshl_add_u64 v[20:21], v[18:19], 0, 4
	s_addc_u32 s41, s27, -1
	s_mov_b64 s[44:45], 0
	s_mov_b64 s[48:49], 0
                                        ; implicit-def: $sgpr46_sgpr47
	s_branch .LBB1560_208
.LBB1560_206:                           ;   in Loop: Header=BB1560_208 Depth=1
	global_load_dword v22, v[20:21], off
	global_load_dword v23, v[16:17], off
	s_add_u32 s48, s48, 1
	s_addc_u32 s49, s49, 0
	s_andn2_b64 s[46:47], s[46:47], exec
	v_lshl_add_u64 v[16:17], v[16:17], 0, 4
	v_lshl_add_u64 v[20:21], v[20:21], 0, 4
	s_waitcnt vmcnt(0)
	v_cmp_ne_u32_e32 vcc, v22, v23
	s_and_b64 s[50:51], vcc, exec
	s_or_b64 s[46:47], s[46:47], s[50:51]
.LBB1560_207:                           ;   in Loop: Header=BB1560_208 Depth=1
	s_and_b64 s[50:51], exec, s[46:47]
	s_or_b64 s[44:45], s[50:51], s[44:45]
	v_mov_b64_e32 v[22:23], s[48:49]
	s_andn2_b64 exec, exec, s[44:45]
	s_cbranch_execz .LBB1560_210
.LBB1560_208:                           ; =>This Inner Loop Header: Depth=1
	s_or_b64 s[46:47], s[46:47], exec
	s_cmp_eq_u64 s[40:41], s[48:49]
	s_cbranch_scc0 .LBB1560_206
; %bb.209:                              ;   in Loop: Header=BB1560_208 Depth=1
                                        ; implicit-def: $vgpr16_vgpr17
                                        ; implicit-def: $vgpr20_vgpr21
	s_mov_b64 s[48:49], s[26:27]
	s_branch .LBB1560_207
.LBB1560_210:
	s_or_b64 exec, exec, s[44:45]
	v_cmp_gt_i64_e32 vcc, s[26:27], v[22:23]
	s_orn2_b64 s[40:41], vcc, exec
.LBB1560_211:
	s_or_b64 exec, exec, s[42:43]
.LBB1560_212:
	v_mul_lo_u32 v20, v13, s26
	v_mul_lo_u32 v21, v12, s27
	v_mad_u64_u32 v[16:17], s[42:43], v12, s26, 0
	v_add3_u32 v17, v17, v21, v20
	s_and_b64 vcc, exec, s[4:5]
	v_lshl_add_u64 v[16:17], v[16:17], 2, s[28:29]
	s_cbranch_vccnz .LBB1560_221
; %bb.213:
	global_load_dword v20, v[16:17], off
	global_load_dword v21, v[18:19], off
	s_mov_b64 s[38:39], -1
	s_waitcnt vmcnt(0)
	v_cmp_eq_u32_e32 vcc, v20, v21
	s_and_saveexec_b64 s[42:43], vcc
	s_cbranch_execz .LBB1560_220
; %bb.214:
	s_add_u32 s38, s26, -1
	v_lshl_add_u64 v[18:19], v[18:19], 0, 4
	v_lshl_add_u64 v[20:21], v[16:17], 0, 4
	s_addc_u32 s39, s27, -1
	s_mov_b64 s[44:45], 0
	s_mov_b64 s[48:49], 0
                                        ; implicit-def: $sgpr46_sgpr47
	s_branch .LBB1560_217
.LBB1560_215:                           ;   in Loop: Header=BB1560_217 Depth=1
	global_load_dword v22, v[20:21], off
	global_load_dword v23, v[18:19], off
	s_add_u32 s48, s48, 1
	s_addc_u32 s49, s49, 0
	s_andn2_b64 s[46:47], s[46:47], exec
	v_lshl_add_u64 v[18:19], v[18:19], 0, 4
	v_lshl_add_u64 v[20:21], v[20:21], 0, 4
	s_waitcnt vmcnt(0)
	v_cmp_ne_u32_e32 vcc, v22, v23
	s_and_b64 s[50:51], vcc, exec
	s_or_b64 s[46:47], s[46:47], s[50:51]
.LBB1560_216:                           ;   in Loop: Header=BB1560_217 Depth=1
	s_and_b64 s[50:51], exec, s[46:47]
	s_or_b64 s[44:45], s[50:51], s[44:45]
	v_mov_b64_e32 v[22:23], s[48:49]
	s_andn2_b64 exec, exec, s[44:45]
	s_cbranch_execz .LBB1560_219
.LBB1560_217:                           ; =>This Inner Loop Header: Depth=1
	s_or_b64 s[46:47], s[46:47], exec
	s_cmp_eq_u64 s[38:39], s[48:49]
	s_cbranch_scc0 .LBB1560_215
; %bb.218:                              ;   in Loop: Header=BB1560_217 Depth=1
                                        ; implicit-def: $vgpr18_vgpr19
                                        ; implicit-def: $vgpr20_vgpr21
	s_mov_b64 s[48:49], s[26:27]
	s_branch .LBB1560_216
.LBB1560_219:
	s_or_b64 exec, exec, s[44:45]
	v_cmp_gt_i64_e32 vcc, s[26:27], v[22:23]
	s_orn2_b64 s[38:39], vcc, exec
.LBB1560_220:
	s_or_b64 exec, exec, s[42:43]
.LBB1560_221:
	v_mul_lo_u32 v20, v11, s26
	v_mul_lo_u32 v21, v10, s27
	v_mad_u64_u32 v[18:19], s[42:43], v10, s26, 0
	v_add3_u32 v19, v19, v21, v20
	s_and_b64 vcc, exec, s[4:5]
	s_mov_b64 s[44:45], 0
	s_cbranch_vccnz .LBB1560_230
; %bb.222:
	v_lshl_add_u64 v[20:21], v[18:19], 2, s[28:29]
	global_load_dword v22, v[20:21], off
	global_load_dword v23, v[16:17], off
	s_mov_b64 s[44:45], -1
	s_waitcnt vmcnt(0)
	v_cmp_eq_u32_e32 vcc, v22, v23
	s_and_saveexec_b64 s[42:43], vcc
	s_cbranch_execz .LBB1560_229
; %bb.223:
	s_add_u32 s44, s26, -1
	v_lshl_add_u64 v[16:17], v[16:17], 0, 4
	v_lshl_add_u64 v[20:21], v[20:21], 0, 4
	s_addc_u32 s45, s27, -1
	s_mov_b64 s[46:47], 0
	s_mov_b64 s[50:51], 0
                                        ; implicit-def: $sgpr48_sgpr49
	s_branch .LBB1560_226
.LBB1560_224:                           ;   in Loop: Header=BB1560_226 Depth=1
	global_load_dword v22, v[20:21], off
	global_load_dword v23, v[16:17], off
	s_add_u32 s50, s50, 1
	s_addc_u32 s51, s51, 0
	s_andn2_b64 s[48:49], s[48:49], exec
	v_lshl_add_u64 v[16:17], v[16:17], 0, 4
	v_lshl_add_u64 v[20:21], v[20:21], 0, 4
	s_waitcnt vmcnt(0)
	v_cmp_ne_u32_e32 vcc, v22, v23
	s_and_b64 s[54:55], vcc, exec
	s_or_b64 s[48:49], s[48:49], s[54:55]
.LBB1560_225:                           ;   in Loop: Header=BB1560_226 Depth=1
	s_and_b64 s[54:55], exec, s[48:49]
	s_or_b64 s[46:47], s[54:55], s[46:47]
	v_mov_b64_e32 v[22:23], s[50:51]
	s_andn2_b64 exec, exec, s[46:47]
	s_cbranch_execz .LBB1560_228
.LBB1560_226:                           ; =>This Inner Loop Header: Depth=1
	s_or_b64 s[48:49], s[48:49], exec
	s_cmp_eq_u64 s[44:45], s[50:51]
	s_cbranch_scc0 .LBB1560_224
; %bb.227:                              ;   in Loop: Header=BB1560_226 Depth=1
                                        ; implicit-def: $vgpr16_vgpr17
                                        ; implicit-def: $vgpr20_vgpr21
	s_mov_b64 s[50:51], s[26:27]
	s_branch .LBB1560_225
.LBB1560_228:
	s_or_b64 exec, exec, s[46:47]
	v_cmp_gt_i64_e32 vcc, s[26:27], v[22:23]
	s_orn2_b64 s[44:45], vcc, exec
.LBB1560_229:
	s_or_b64 exec, exec, s[42:43]
.LBB1560_230:
	v_cndmask_b32_e64 v17, 0, 1, s[40:41]
	v_cndmask_b32_e64 v16, 0, 1, s[38:39]
	v_cndmask_b32_e64 v34, 0, 1, s[14:15]
	v_lshlrev_b16_e32 v17, 8, v17
	v_cndmask_b32_e64 v25, 0, 1, s[12:13]
	v_cndmask_b32_e64 v20, 0, 1, s[44:45]
	v_or_b32_sdwa v16, v16, v17 dst_sel:WORD_1 dst_unused:UNUSED_PAD src0_sel:DWORD src1_sel:DWORD
	v_lshlrev_b16_e32 v17, 8, v34
	v_lshlrev_b16_e32 v20, 8, v20
	v_or_b32_e32 v17, v25, v17
	v_or_b32_e32 v20, 1, v20
	v_and_b32_e32 v17, 0xffff, v17
	v_cndmask_b32_e64 v35, 0, 1, s[10:11]
	v_or_b32_sdwa v16, v20, v16 dst_sel:DWORD dst_unused:UNUSED_PAD src0_sel:WORD_0 src1_sel:DWORD
	v_lshl_or_b32 v17, v35, 16, v17
	s_waitcnt lgkmcnt(0)
	s_barrier
	s_waitcnt lgkmcnt(0)
                                        ; implicit-def: $sgpr12_sgpr13
                                        ; implicit-def: $vgpr20
	s_and_saveexec_b64 s[10:11], s[2:3]
	s_xor_b64 s[10:11], exec, s[10:11]
	s_cbranch_execz .LBB1560_241
; %bb.231:
	s_mov_b32 s42, 0x3020104
	s_and_b64 vcc, exec, s[4:5]
	s_mov_b64 s[12:13], 0
	s_cbranch_vccnz .LBB1560_240
; %bb.232:
	v_add_u32_e32 v17, -8, v24
	ds_read_b64 v[20:21], v17
	v_lshl_add_u64 v[18:19], v[18:19], 2, s[28:29]
	s_mov_b64 s[12:13], -1
	s_waitcnt lgkmcnt(0)
	v_mul_lo_u32 v17, v21, s26
	v_mul_lo_u32 v22, v20, s27
	v_mad_u64_u32 v[20:21], s[4:5], v20, s26, 0
	v_add3_u32 v21, v21, v22, v17
	v_lshl_add_u64 v[20:21], v[20:21], 2, s[28:29]
	global_load_dword v17, v[20:21], off
	global_load_dword v22, v[18:19], off
	s_waitcnt vmcnt(0)
	v_cmp_eq_u32_e32 vcc, v17, v22
	s_and_saveexec_b64 s[4:5], vcc
	s_cbranch_execz .LBB1560_239
; %bb.233:
	s_add_u32 s12, s26, -1
	v_lshl_add_u64 v[18:19], v[18:19], 0, 4
	v_lshl_add_u64 v[20:21], v[20:21], 0, 4
	s_addc_u32 s13, s27, -1
	s_mov_b64 s[14:15], 0
	s_mov_b64 s[40:41], 0
                                        ; implicit-def: $sgpr38_sgpr39
	s_branch .LBB1560_236
.LBB1560_234:                           ;   in Loop: Header=BB1560_236 Depth=1
	global_load_dword v17, v[20:21], off
	global_load_dword v22, v[18:19], off
	s_add_u32 s40, s40, 1
	s_addc_u32 s41, s41, 0
	s_andn2_b64 s[38:39], s[38:39], exec
	v_lshl_add_u64 v[18:19], v[18:19], 0, 4
	v_lshl_add_u64 v[20:21], v[20:21], 0, 4
	s_waitcnt vmcnt(0)
	v_cmp_ne_u32_e32 vcc, v17, v22
	s_and_b64 s[44:45], vcc, exec
	s_or_b64 s[38:39], s[38:39], s[44:45]
.LBB1560_235:                           ;   in Loop: Header=BB1560_236 Depth=1
	s_and_b64 s[44:45], exec, s[38:39]
	s_or_b64 s[14:15], s[44:45], s[14:15]
	v_mov_b64_e32 v[22:23], s[40:41]
	s_andn2_b64 exec, exec, s[14:15]
	s_cbranch_execz .LBB1560_238
.LBB1560_236:                           ; =>This Inner Loop Header: Depth=1
	s_or_b64 s[38:39], s[38:39], exec
	s_cmp_eq_u64 s[12:13], s[40:41]
	s_cbranch_scc0 .LBB1560_234
; %bb.237:                              ;   in Loop: Header=BB1560_236 Depth=1
                                        ; implicit-def: $vgpr18_vgpr19
                                        ; implicit-def: $vgpr20_vgpr21
	s_mov_b64 s[40:41], s[26:27]
	s_branch .LBB1560_235
.LBB1560_238:
	s_or_b64 exec, exec, s[14:15]
	v_cmp_gt_i64_e32 vcc, s[26:27], v[22:23]
	s_orn2_b64 s[12:13], vcc, exec
.LBB1560_239:
	s_or_b64 exec, exec, s[4:5]
.LBB1560_240:
	v_perm_b32 v20, v16, v16, s42
	s_and_b64 s[12:13], s[12:13], exec
	s_or_b64 s[8:9], s[8:9], exec
                                        ; implicit-def: $vgpr16_vgpr17
.LBB1560_241:
	s_or_b64 exec, exec, s[10:11]
	s_branch .LBB1560_322
.LBB1560_242:
	v_cmp_gt_u32_e32 vcc, s52, v29
	s_mov_b64 s[10:11], 0
	s_mov_b64 s[4:5], 0
	s_and_saveexec_b64 s[12:13], vcc
	s_cbranch_execz .LBB1560_253
; %bb.243:
	s_andn2_b64 vcc, exec, s[6:7]
	s_mov_b64 s[14:15], 0
	s_cbranch_vccnz .LBB1560_252
; %bb.244:
	v_mul_lo_u32 v18, v5, s26
	v_mul_lo_u32 v19, v4, s27
	s_waitcnt vmcnt(0) lgkmcnt(1)
	v_mad_u64_u32 v[16:17], s[4:5], v4, s26, 0
	v_add3_u32 v17, v17, v19, v18
	v_mul_lo_u32 v18, v15, s26
	v_mul_lo_u32 v19, v14, s27
	v_mad_u64_u32 v[20:21], s[4:5], v14, s26, 0
	v_add3_u32 v21, v21, v19, v18
	v_lshl_add_u64 v[18:19], v[16:17], 2, s[28:29]
	v_lshl_add_u64 v[16:17], v[20:21], 2, s[28:29]
	global_load_dword v20, v[18:19], off
	global_load_dword v21, v[16:17], off
	s_mov_b64 s[14:15], -1
	s_waitcnt vmcnt(0)
	v_cmp_eq_u32_e32 vcc, v20, v21
	s_and_saveexec_b64 s[4:5], vcc
	s_cbranch_execz .LBB1560_251
; %bb.245:
	s_add_u32 s14, s26, -1
	v_lshl_add_u64 v[16:17], v[16:17], 0, 4
	v_lshl_add_u64 v[18:19], v[18:19], 0, 4
	s_addc_u32 s15, s27, -1
	s_mov_b64 s[38:39], 0
	s_mov_b64 s[42:43], 0
                                        ; implicit-def: $sgpr40_sgpr41
	s_branch .LBB1560_248
.LBB1560_246:                           ;   in Loop: Header=BB1560_248 Depth=1
	global_load_dword v20, v[18:19], off
	global_load_dword v21, v[16:17], off
	s_add_u32 s42, s42, 1
	s_addc_u32 s43, s43, 0
	s_andn2_b64 s[40:41], s[40:41], exec
	v_lshl_add_u64 v[16:17], v[16:17], 0, 4
	v_lshl_add_u64 v[18:19], v[18:19], 0, 4
	s_waitcnt vmcnt(0)
	v_cmp_ne_u32_e32 vcc, v20, v21
	s_and_b64 s[44:45], vcc, exec
	s_or_b64 s[40:41], s[40:41], s[44:45]
.LBB1560_247:                           ;   in Loop: Header=BB1560_248 Depth=1
	s_and_b64 s[44:45], exec, s[40:41]
	s_or_b64 s[38:39], s[44:45], s[38:39]
	v_mov_b64_e32 v[20:21], s[42:43]
	s_andn2_b64 exec, exec, s[38:39]
	s_cbranch_execz .LBB1560_250
.LBB1560_248:                           ; =>This Inner Loop Header: Depth=1
	s_or_b64 s[40:41], s[40:41], exec
	s_cmp_eq_u64 s[14:15], s[42:43]
	s_cbranch_scc0 .LBB1560_246
; %bb.249:                              ;   in Loop: Header=BB1560_248 Depth=1
                                        ; implicit-def: $vgpr16_vgpr17
                                        ; implicit-def: $vgpr18_vgpr19
	s_mov_b64 s[42:43], s[26:27]
	s_branch .LBB1560_247
.LBB1560_250:
	s_or_b64 exec, exec, s[38:39]
	v_cmp_gt_i64_e32 vcc, s[26:27], v[20:21]
	s_orn2_b64 s[14:15], vcc, exec
.LBB1560_251:
	s_or_b64 exec, exec, s[4:5]
.LBB1560_252:
	s_and_b64 s[4:5], s[14:15], exec
.LBB1560_253:
	s_or_b64 exec, exec, s[12:13]
	v_cmp_gt_u32_e32 vcc, s52, v31
	s_and_saveexec_b64 s[12:13], vcc
	s_cbranch_execz .LBB1560_264
; %bb.254:
	s_andn2_b64 vcc, exec, s[6:7]
	s_mov_b64 s[14:15], 0
	s_cbranch_vccnz .LBB1560_263
; %bb.255:
	v_mul_lo_u32 v18, v3, s26
	v_mul_lo_u32 v19, v2, s27
	s_waitcnt vmcnt(0) lgkmcnt(1)
	v_mad_u64_u32 v[16:17], s[10:11], v2, s26, 0
	v_add3_u32 v17, v17, v19, v18
	v_mul_lo_u32 v18, v5, s26
	v_mul_lo_u32 v19, v4, s27
	v_mad_u64_u32 v[20:21], s[10:11], v4, s26, 0
	v_add3_u32 v21, v21, v19, v18
	v_lshl_add_u64 v[18:19], v[16:17], 2, s[28:29]
	v_lshl_add_u64 v[16:17], v[20:21], 2, s[28:29]
	global_load_dword v20, v[18:19], off
	global_load_dword v21, v[16:17], off
	s_mov_b64 s[14:15], -1
	s_waitcnt vmcnt(0)
	v_cmp_eq_u32_e32 vcc, v20, v21
	s_and_saveexec_b64 s[10:11], vcc
	s_cbranch_execz .LBB1560_262
; %bb.256:
	s_add_u32 s14, s26, -1
	v_lshl_add_u64 v[16:17], v[16:17], 0, 4
	v_lshl_add_u64 v[18:19], v[18:19], 0, 4
	s_addc_u32 s15, s27, -1
	s_mov_b64 s[38:39], 0
	s_mov_b64 s[42:43], 0
                                        ; implicit-def: $sgpr40_sgpr41
	s_branch .LBB1560_259
.LBB1560_257:                           ;   in Loop: Header=BB1560_259 Depth=1
	global_load_dword v20, v[18:19], off
	global_load_dword v21, v[16:17], off
	s_add_u32 s42, s42, 1
	s_addc_u32 s43, s43, 0
	s_andn2_b64 s[40:41], s[40:41], exec
	v_lshl_add_u64 v[16:17], v[16:17], 0, 4
	v_lshl_add_u64 v[18:19], v[18:19], 0, 4
	s_waitcnt vmcnt(0)
	v_cmp_ne_u32_e32 vcc, v20, v21
	s_and_b64 s[44:45], vcc, exec
	s_or_b64 s[40:41], s[40:41], s[44:45]
.LBB1560_258:                           ;   in Loop: Header=BB1560_259 Depth=1
	s_and_b64 s[44:45], exec, s[40:41]
	s_or_b64 s[38:39], s[44:45], s[38:39]
	v_mov_b64_e32 v[20:21], s[42:43]
	s_andn2_b64 exec, exec, s[38:39]
	s_cbranch_execz .LBB1560_261
.LBB1560_259:                           ; =>This Inner Loop Header: Depth=1
	s_or_b64 s[40:41], s[40:41], exec
	s_cmp_eq_u64 s[14:15], s[42:43]
	s_cbranch_scc0 .LBB1560_257
; %bb.260:                              ;   in Loop: Header=BB1560_259 Depth=1
                                        ; implicit-def: $vgpr16_vgpr17
                                        ; implicit-def: $vgpr18_vgpr19
	s_mov_b64 s[42:43], s[26:27]
	s_branch .LBB1560_258
.LBB1560_261:
	s_or_b64 exec, exec, s[38:39]
	v_cmp_gt_i64_e32 vcc, s[26:27], v[20:21]
	s_orn2_b64 s[14:15], vcc, exec
.LBB1560_262:
	s_or_b64 exec, exec, s[10:11]
.LBB1560_263:
	s_and_b64 s[10:11], s[14:15], exec
.LBB1560_264:
	s_or_b64 exec, exec, s[12:13]
	v_cmp_gt_u32_e32 vcc, s52, v28
	s_mov_b64 s[14:15], 0
	s_mov_b64 s[12:13], 0
	s_and_saveexec_b64 s[38:39], vcc
	s_cbranch_execz .LBB1560_275
; %bb.265:
	s_andn2_b64 vcc, exec, s[6:7]
	s_mov_b64 s[40:41], 0
	s_cbranch_vccnz .LBB1560_274
; %bb.266:
	v_mul_lo_u32 v18, v9, s26
	v_mul_lo_u32 v19, v8, s27
	s_waitcnt vmcnt(0) lgkmcnt(1)
	v_mad_u64_u32 v[16:17], s[12:13], v8, s26, 0
	v_add3_u32 v17, v17, v19, v18
	v_mul_lo_u32 v18, v3, s26
	v_mul_lo_u32 v19, v2, s27
	v_mad_u64_u32 v[20:21], s[12:13], v2, s26, 0
	v_add3_u32 v21, v21, v19, v18
	v_lshl_add_u64 v[18:19], v[16:17], 2, s[28:29]
	v_lshl_add_u64 v[16:17], v[20:21], 2, s[28:29]
	global_load_dword v20, v[18:19], off
	global_load_dword v21, v[16:17], off
	s_mov_b64 s[40:41], -1
	s_waitcnt vmcnt(0)
	v_cmp_eq_u32_e32 vcc, v20, v21
	s_and_saveexec_b64 s[12:13], vcc
	s_cbranch_execz .LBB1560_273
; %bb.267:
	s_add_u32 s40, s26, -1
	v_lshl_add_u64 v[16:17], v[16:17], 0, 4
	v_lshl_add_u64 v[18:19], v[18:19], 0, 4
	s_addc_u32 s41, s27, -1
	s_mov_b64 s[42:43], 0
	s_mov_b64 s[46:47], 0
                                        ; implicit-def: $sgpr44_sgpr45
	s_branch .LBB1560_270
.LBB1560_268:                           ;   in Loop: Header=BB1560_270 Depth=1
	global_load_dword v20, v[18:19], off
	global_load_dword v21, v[16:17], off
	s_add_u32 s46, s46, 1
	s_addc_u32 s47, s47, 0
	s_andn2_b64 s[44:45], s[44:45], exec
	v_lshl_add_u64 v[16:17], v[16:17], 0, 4
	v_lshl_add_u64 v[18:19], v[18:19], 0, 4
	s_waitcnt vmcnt(0)
	v_cmp_ne_u32_e32 vcc, v20, v21
	s_and_b64 s[48:49], vcc, exec
	s_or_b64 s[44:45], s[44:45], s[48:49]
.LBB1560_269:                           ;   in Loop: Header=BB1560_270 Depth=1
	s_and_b64 s[48:49], exec, s[44:45]
	s_or_b64 s[42:43], s[48:49], s[42:43]
	v_mov_b64_e32 v[20:21], s[46:47]
	s_andn2_b64 exec, exec, s[42:43]
	s_cbranch_execz .LBB1560_272
.LBB1560_270:                           ; =>This Inner Loop Header: Depth=1
	s_or_b64 s[44:45], s[44:45], exec
	s_cmp_eq_u64 s[40:41], s[46:47]
	s_cbranch_scc0 .LBB1560_268
; %bb.271:                              ;   in Loop: Header=BB1560_270 Depth=1
                                        ; implicit-def: $vgpr16_vgpr17
                                        ; implicit-def: $vgpr18_vgpr19
	s_mov_b64 s[46:47], s[26:27]
	s_branch .LBB1560_269
.LBB1560_272:
	s_or_b64 exec, exec, s[42:43]
	v_cmp_gt_i64_e32 vcc, s[26:27], v[20:21]
	s_orn2_b64 s[40:41], vcc, exec
.LBB1560_273:
	s_or_b64 exec, exec, s[12:13]
.LBB1560_274:
	s_and_b64 s[12:13], s[40:41], exec
.LBB1560_275:
	s_or_b64 exec, exec, s[38:39]
	v_cmp_gt_u32_e32 vcc, s52, v30
	s_and_saveexec_b64 s[38:39], vcc
	s_cbranch_execz .LBB1560_286
; %bb.276:
	s_andn2_b64 vcc, exec, s[6:7]
	s_mov_b64 s[40:41], 0
	s_cbranch_vccnz .LBB1560_285
; %bb.277:
	v_mul_lo_u32 v18, v7, s26
	v_mul_lo_u32 v19, v6, s27
	s_waitcnt vmcnt(0) lgkmcnt(1)
	v_mad_u64_u32 v[16:17], s[14:15], v6, s26, 0
	v_add3_u32 v17, v17, v19, v18
	v_mul_lo_u32 v18, v9, s26
	v_mul_lo_u32 v19, v8, s27
	v_mad_u64_u32 v[20:21], s[14:15], v8, s26, 0
	v_add3_u32 v21, v21, v19, v18
	v_lshl_add_u64 v[18:19], v[16:17], 2, s[28:29]
	v_lshl_add_u64 v[16:17], v[20:21], 2, s[28:29]
	global_load_dword v20, v[18:19], off
	global_load_dword v21, v[16:17], off
	s_mov_b64 s[40:41], -1
	s_waitcnt vmcnt(0)
	v_cmp_eq_u32_e32 vcc, v20, v21
	s_and_saveexec_b64 s[14:15], vcc
	s_cbranch_execz .LBB1560_284
; %bb.278:
	s_add_u32 s40, s26, -1
	v_lshl_add_u64 v[16:17], v[16:17], 0, 4
	v_lshl_add_u64 v[18:19], v[18:19], 0, 4
	s_addc_u32 s41, s27, -1
	s_mov_b64 s[42:43], 0
	s_mov_b64 s[46:47], 0
                                        ; implicit-def: $sgpr44_sgpr45
	s_branch .LBB1560_281
.LBB1560_279:                           ;   in Loop: Header=BB1560_281 Depth=1
	global_load_dword v20, v[18:19], off
	global_load_dword v21, v[16:17], off
	s_add_u32 s46, s46, 1
	s_addc_u32 s47, s47, 0
	s_andn2_b64 s[44:45], s[44:45], exec
	v_lshl_add_u64 v[16:17], v[16:17], 0, 4
	v_lshl_add_u64 v[18:19], v[18:19], 0, 4
	s_waitcnt vmcnt(0)
	v_cmp_ne_u32_e32 vcc, v20, v21
	s_and_b64 s[48:49], vcc, exec
	s_or_b64 s[44:45], s[44:45], s[48:49]
.LBB1560_280:                           ;   in Loop: Header=BB1560_281 Depth=1
	s_and_b64 s[48:49], exec, s[44:45]
	s_or_b64 s[42:43], s[48:49], s[42:43]
	v_mov_b64_e32 v[20:21], s[46:47]
	s_andn2_b64 exec, exec, s[42:43]
	s_cbranch_execz .LBB1560_283
.LBB1560_281:                           ; =>This Inner Loop Header: Depth=1
	s_or_b64 s[44:45], s[44:45], exec
	s_cmp_eq_u64 s[40:41], s[46:47]
	s_cbranch_scc0 .LBB1560_279
; %bb.282:                              ;   in Loop: Header=BB1560_281 Depth=1
                                        ; implicit-def: $vgpr16_vgpr17
                                        ; implicit-def: $vgpr18_vgpr19
	s_mov_b64 s[46:47], s[26:27]
	s_branch .LBB1560_280
.LBB1560_283:
	s_or_b64 exec, exec, s[42:43]
	v_cmp_gt_i64_e32 vcc, s[26:27], v[20:21]
	s_orn2_b64 s[40:41], vcc, exec
.LBB1560_284:
	s_or_b64 exec, exec, s[14:15]
.LBB1560_285:
	s_and_b64 s[14:15], s[40:41], exec
.LBB1560_286:
	s_or_b64 exec, exec, s[38:39]
	v_cmp_gt_u32_e32 vcc, s52, v26
	s_mov_b64 s[38:39], 0
	s_mov_b64 s[40:41], 0
	s_and_saveexec_b64 s[42:43], vcc
	s_cbranch_execz .LBB1560_297
; %bb.287:
	s_andn2_b64 vcc, exec, s[6:7]
	s_mov_b64 s[44:45], 0
	s_cbranch_vccnz .LBB1560_296
; %bb.288:
	v_mul_lo_u32 v18, v13, s26
	v_mul_lo_u32 v19, v12, s27
	s_waitcnt vmcnt(0) lgkmcnt(1)
	v_mad_u64_u32 v[16:17], s[40:41], v12, s26, 0
	v_add3_u32 v17, v17, v19, v18
	v_mul_lo_u32 v18, v7, s26
	v_mul_lo_u32 v19, v6, s27
	v_mad_u64_u32 v[20:21], s[40:41], v6, s26, 0
	v_add3_u32 v21, v21, v19, v18
	v_lshl_add_u64 v[18:19], v[16:17], 2, s[28:29]
	v_lshl_add_u64 v[16:17], v[20:21], 2, s[28:29]
	global_load_dword v20, v[18:19], off
	global_load_dword v21, v[16:17], off
	s_mov_b64 s[44:45], -1
	s_waitcnt vmcnt(0)
	v_cmp_eq_u32_e32 vcc, v20, v21
	s_and_saveexec_b64 s[40:41], vcc
	s_cbranch_execz .LBB1560_295
; %bb.289:
	s_add_u32 s44, s26, -1
	v_lshl_add_u64 v[16:17], v[16:17], 0, 4
	v_lshl_add_u64 v[18:19], v[18:19], 0, 4
	s_addc_u32 s45, s27, -1
	s_mov_b64 s[46:47], 0
	s_mov_b64 s[50:51], 0
                                        ; implicit-def: $sgpr48_sgpr49
	s_branch .LBB1560_292
.LBB1560_290:                           ;   in Loop: Header=BB1560_292 Depth=1
	global_load_dword v20, v[18:19], off
	global_load_dword v21, v[16:17], off
	s_add_u32 s50, s50, 1
	s_addc_u32 s51, s51, 0
	s_andn2_b64 s[48:49], s[48:49], exec
	v_lshl_add_u64 v[16:17], v[16:17], 0, 4
	v_lshl_add_u64 v[18:19], v[18:19], 0, 4
	s_waitcnt vmcnt(0)
	v_cmp_ne_u32_e32 vcc, v20, v21
	s_and_b64 s[54:55], vcc, exec
	s_or_b64 s[48:49], s[48:49], s[54:55]
.LBB1560_291:                           ;   in Loop: Header=BB1560_292 Depth=1
	s_and_b64 s[54:55], exec, s[48:49]
	s_or_b64 s[46:47], s[54:55], s[46:47]
	v_mov_b64_e32 v[20:21], s[50:51]
	s_andn2_b64 exec, exec, s[46:47]
	s_cbranch_execz .LBB1560_294
.LBB1560_292:                           ; =>This Inner Loop Header: Depth=1
	s_or_b64 s[48:49], s[48:49], exec
	s_cmp_eq_u64 s[44:45], s[50:51]
	s_cbranch_scc0 .LBB1560_290
; %bb.293:                              ;   in Loop: Header=BB1560_292 Depth=1
                                        ; implicit-def: $vgpr16_vgpr17
                                        ; implicit-def: $vgpr18_vgpr19
	s_mov_b64 s[50:51], s[26:27]
	s_branch .LBB1560_291
.LBB1560_294:
	s_or_b64 exec, exec, s[46:47]
	v_cmp_gt_i64_e32 vcc, s[26:27], v[20:21]
	s_orn2_b64 s[44:45], vcc, exec
.LBB1560_295:
	s_or_b64 exec, exec, s[40:41]
.LBB1560_296:
	s_and_b64 s[40:41], s[44:45], exec
.LBB1560_297:
	s_or_b64 exec, exec, s[42:43]
	v_cmp_gt_u32_e32 vcc, s52, v27
	s_and_saveexec_b64 s[42:43], vcc
	s_cbranch_execz .LBB1560_308
; %bb.298:
	s_andn2_b64 vcc, exec, s[6:7]
	s_mov_b64 s[44:45], 0
	s_cbranch_vccnz .LBB1560_307
; %bb.299:
	v_mul_lo_u32 v18, v11, s26
	v_mul_lo_u32 v19, v10, s27
	s_waitcnt vmcnt(0) lgkmcnt(1)
	v_mad_u64_u32 v[16:17], s[38:39], v10, s26, 0
	v_add3_u32 v17, v17, v19, v18
	v_mul_lo_u32 v18, v13, s26
	v_mul_lo_u32 v19, v12, s27
	v_mad_u64_u32 v[20:21], s[38:39], v12, s26, 0
	v_add3_u32 v21, v21, v19, v18
	v_lshl_add_u64 v[18:19], v[16:17], 2, s[28:29]
	v_lshl_add_u64 v[16:17], v[20:21], 2, s[28:29]
	global_load_dword v20, v[18:19], off
	global_load_dword v21, v[16:17], off
	s_mov_b64 s[44:45], -1
	s_waitcnt vmcnt(0)
	v_cmp_eq_u32_e32 vcc, v20, v21
	s_and_saveexec_b64 s[38:39], vcc
	s_cbranch_execz .LBB1560_306
; %bb.300:
	s_add_u32 s44, s26, -1
	v_lshl_add_u64 v[16:17], v[16:17], 0, 4
	v_lshl_add_u64 v[18:19], v[18:19], 0, 4
	s_addc_u32 s45, s27, -1
	s_mov_b64 s[46:47], 0
	s_mov_b64 s[50:51], 0
                                        ; implicit-def: $sgpr48_sgpr49
	s_branch .LBB1560_303
.LBB1560_301:                           ;   in Loop: Header=BB1560_303 Depth=1
	global_load_dword v20, v[18:19], off
	global_load_dword v21, v[16:17], off
	s_add_u32 s50, s50, 1
	s_addc_u32 s51, s51, 0
	s_andn2_b64 s[48:49], s[48:49], exec
	v_lshl_add_u64 v[16:17], v[16:17], 0, 4
	v_lshl_add_u64 v[18:19], v[18:19], 0, 4
	s_waitcnt vmcnt(0)
	v_cmp_ne_u32_e32 vcc, v20, v21
	s_and_b64 s[54:55], vcc, exec
	s_or_b64 s[48:49], s[48:49], s[54:55]
.LBB1560_302:                           ;   in Loop: Header=BB1560_303 Depth=1
	s_and_b64 s[54:55], exec, s[48:49]
	s_or_b64 s[46:47], s[54:55], s[46:47]
	v_mov_b64_e32 v[20:21], s[50:51]
	s_andn2_b64 exec, exec, s[46:47]
	s_cbranch_execz .LBB1560_305
.LBB1560_303:                           ; =>This Inner Loop Header: Depth=1
	s_or_b64 s[48:49], s[48:49], exec
	s_cmp_eq_u64 s[44:45], s[50:51]
	s_cbranch_scc0 .LBB1560_301
; %bb.304:                              ;   in Loop: Header=BB1560_303 Depth=1
                                        ; implicit-def: $vgpr16_vgpr17
                                        ; implicit-def: $vgpr18_vgpr19
	s_mov_b64 s[50:51], s[26:27]
	s_branch .LBB1560_302
.LBB1560_305:
	s_or_b64 exec, exec, s[46:47]
	v_cmp_gt_i64_e32 vcc, s[26:27], v[20:21]
	s_orn2_b64 s[44:45], vcc, exec
.LBB1560_306:
	s_or_b64 exec, exec, s[38:39]
.LBB1560_307:
	s_and_b64 s[38:39], s[44:45], exec
.LBB1560_308:
	s_or_b64 exec, exec, s[42:43]
	s_waitcnt vmcnt(0) lgkmcnt(1)
	v_cndmask_b32_e64 v17, 0, 1, s[14:15]
	v_cndmask_b32_e64 v16, 0, 1, s[40:41]
	v_cndmask_b32_e64 v34, 0, 1, s[10:11]
	v_lshlrev_b16_e32 v17, 8, v17
	v_cndmask_b32_e64 v25, 0, 1, s[12:13]
	v_cndmask_b32_e64 v18, 0, 1, s[38:39]
	v_or_b32_sdwa v16, v16, v17 dst_sel:WORD_1 dst_unused:UNUSED_PAD src0_sel:DWORD src1_sel:DWORD
	v_lshlrev_b16_e32 v17, 8, v34
	v_lshlrev_b16_e32 v18, 8, v18
	v_or_b32_e32 v17, v25, v17
	v_or_b32_e32 v18, 1, v18
	v_and_b32_e32 v17, 0xffff, v17
	v_cndmask_b32_e64 v35, 0, 1, s[4:5]
	v_or_b32_sdwa v16, v18, v16 dst_sel:DWORD dst_unused:UNUSED_PAD src0_sel:WORD_0 src1_sel:DWORD
	v_lshl_or_b32 v17, v35, 16, v17
	s_waitcnt lgkmcnt(0)
	s_barrier
	s_waitcnt lgkmcnt(0)
                                        ; implicit-def: $sgpr12_sgpr13
                                        ; implicit-def: $vgpr20
	s_and_saveexec_b64 s[4:5], s[2:3]
	s_cbranch_execz .LBB1560_321
; %bb.309:
	v_cmp_gt_u32_e32 vcc, s52, v1
	s_mov_b32 s38, 0x3020104
	s_mov_b64 s[10:11], 0
	s_and_saveexec_b64 s[2:3], vcc
	s_cbranch_execz .LBB1560_320
; %bb.310:
	s_andn2_b64 vcc, exec, s[6:7]
	s_cbranch_vccnz .LBB1560_319
; %bb.311:
	v_add_u32_e32 v17, -8, v24
	ds_read_b64 v[18:19], v17
	v_mul_lo_u32 v17, v11, s26
	v_mad_u64_u32 v[22:23], s[6:7], v10, s26, 0
	s_mov_b64 s[10:11], -1
	s_waitcnt lgkmcnt(0)
	v_mul_lo_u32 v20, v19, s26
	v_mul_lo_u32 v21, v18, s27
	v_mad_u64_u32 v[18:19], s[6:7], v18, s26, 0
	v_add3_u32 v19, v19, v21, v20
	v_mul_lo_u32 v20, v10, s27
	v_add3_u32 v23, v23, v20, v17
	v_lshl_add_u64 v[20:21], v[18:19], 2, s[28:29]
	v_lshl_add_u64 v[18:19], v[22:23], 2, s[28:29]
	global_load_dword v17, v[20:21], off
	global_load_dword v22, v[18:19], off
	s_waitcnt vmcnt(0)
	v_cmp_eq_u32_e32 vcc, v17, v22
	s_and_saveexec_b64 s[6:7], vcc
	s_cbranch_execz .LBB1560_318
; %bb.312:
	s_add_u32 s10, s26, -1
	v_lshl_add_u64 v[18:19], v[18:19], 0, 4
	v_lshl_add_u64 v[20:21], v[20:21], 0, 4
	s_addc_u32 s11, s27, -1
	s_mov_b64 s[12:13], 0
	s_mov_b64 s[28:29], 0
                                        ; implicit-def: $sgpr14_sgpr15
	s_branch .LBB1560_315
.LBB1560_313:                           ;   in Loop: Header=BB1560_315 Depth=1
	global_load_dword v17, v[20:21], off
	global_load_dword v22, v[18:19], off
	s_add_u32 s28, s28, 1
	s_addc_u32 s29, s29, 0
	s_andn2_b64 s[14:15], s[14:15], exec
	v_lshl_add_u64 v[18:19], v[18:19], 0, 4
	v_lshl_add_u64 v[20:21], v[20:21], 0, 4
	s_waitcnt vmcnt(0)
	v_cmp_ne_u32_e32 vcc, v17, v22
	s_and_b64 s[40:41], vcc, exec
	s_or_b64 s[14:15], s[14:15], s[40:41]
.LBB1560_314:                           ;   in Loop: Header=BB1560_315 Depth=1
	s_and_b64 s[40:41], exec, s[14:15]
	s_or_b64 s[12:13], s[40:41], s[12:13]
	v_mov_b64_e32 v[22:23], s[28:29]
	s_andn2_b64 exec, exec, s[12:13]
	s_cbranch_execz .LBB1560_317
.LBB1560_315:                           ; =>This Inner Loop Header: Depth=1
	s_or_b64 s[14:15], s[14:15], exec
	s_cmp_eq_u64 s[10:11], s[28:29]
	s_cbranch_scc0 .LBB1560_313
; %bb.316:                              ;   in Loop: Header=BB1560_315 Depth=1
                                        ; implicit-def: $vgpr18_vgpr19
                                        ; implicit-def: $vgpr20_vgpr21
	s_mov_b64 s[28:29], s[26:27]
	s_branch .LBB1560_314
.LBB1560_317:
	s_or_b64 exec, exec, s[12:13]
	v_cmp_gt_i64_e32 vcc, s[26:27], v[22:23]
	s_orn2_b64 s[10:11], vcc, exec
.LBB1560_318:
	s_or_b64 exec, exec, s[6:7]
.LBB1560_319:
	s_and_b64 s[10:11], s[10:11], exec
.LBB1560_320:
	s_or_b64 exec, exec, s[2:3]
	v_perm_b32 v20, v16, v16, s38
	s_and_b64 s[12:13], s[10:11], exec
	s_or_b64 s[8:9], s[8:9], exec
                                        ; implicit-def: $vgpr16_vgpr17
.LBB1560_321:
	s_or_b64 exec, exec, s[4:5]
.LBB1560_322:
	s_and_saveexec_b64 s[2:3], s[8:9]
	s_cbranch_execz .LBB1560_324
; %bb.323:
	s_waitcnt vmcnt(0) lgkmcnt(0)
	v_lshlrev_b16_e32 v17, 8, v34
	v_and_b32_e32 v18, 0xff, v35
	v_or_b32_sdwa v17, v25, v17 dst_sel:DWORD dst_unused:UNUSED_PAD src0_sel:BYTE_0 src1_sel:DWORD
	v_lshlrev_b32_e32 v18, 16, v18
	s_movk_i32 s4, 0xff
	v_or_b32_sdwa v17, v17, v18 dst_sel:DWORD dst_unused:UNUSED_PAD src0_sel:WORD_0 src1_sel:DWORD
	v_lshrrev_b32_e32 v18, 24, v20
	v_lshlrev_b16_e32 v18, 8, v18
	v_and_b32_sdwa v19, v20, s4 dst_sel:DWORD dst_unused:UNUSED_PAD src0_sel:WORD_1 src1_sel:DWORD
	v_or_b32_sdwa v18, v19, v18 dst_sel:WORD_1 dst_unused:UNUSED_PAD src0_sel:DWORD src1_sel:DWORD
	v_mov_b32_e32 v19, 8
	v_cndmask_b32_e64 v16, 0, 1, s[12:13]
	v_lshrrev_b32_sdwa v19, v19, v20 dst_sel:BYTE_1 dst_unused:UNUSED_PAD src0_sel:DWORD src1_sel:DWORD
	s_nop 0
	v_or_b32_e32 v16, v16, v19
	v_or_b32_sdwa v16, v16, v18 dst_sel:DWORD dst_unused:UNUSED_PAD src0_sel:WORD_0 src1_sel:DWORD
.LBB1560_324:
	s_or_b64 exec, exec, s[2:3]
	s_andn2_b64 vcc, exec, s[0:1]
	s_cbranch_vccnz .LBB1560_326
; %bb.325:
	s_waitcnt vmcnt(0) lgkmcnt(0)
	v_and_b32_e32 v18, 0xffff0000, v16
	v_cmp_gt_u32_e32 vcc, s52, v1
	s_mov_b32 s0, 0x40c0100
	s_nop 0
	v_cndmask_b32_e32 v1, v18, v16, vcc
	v_and_b32_e32 v1, 0xffff00ff, v1
	v_cmp_gt_u32_e32 vcc, s52, v27
	s_nop 1
	v_cndmask_b32_e32 v1, v1, v16, vcc
	v_lshrrev_b32_e32 v18, 24, v1
	v_perm_b32 v1, v18, v1, s0
	v_cmp_gt_u32_e32 vcc, s52, v26
	v_and_b32_e32 v18, 0xffffff00, v17
	s_nop 0
	v_cndmask_b32_e32 v1, v1, v16, vcc
	v_and_b32_e32 v1, 0xffffff, v1
	v_cmp_gt_u32_e32 vcc, s52, v30
	s_nop 1
	v_cndmask_b32_e32 v1, v1, v16, vcc
	v_cmp_gt_u32_e32 vcc, s52, v28
	s_nop 1
	v_cndmask_b32_e32 v18, v18, v17, vcc
	v_and_b32_e32 v18, 0xffff00ff, v18
	v_cndmask_b32_e32 v1, v1, v16, vcc
	v_cmp_gt_u32_e32 vcc, s52, v31
	s_nop 1
	v_cndmask_b32_e32 v18, v18, v17, vcc
	v_lshrrev_b32_e32 v19, 24, v18
	v_cndmask_b32_e32 v1, v1, v16, vcc
	v_perm_b32 v18, v19, v18, s0
	v_cmp_gt_u32_e32 vcc, s52, v29
	s_mov_b32 s0, 0x3020104
	s_nop 0
	v_cndmask_b32_e32 v1, v1, v16, vcc
	v_cndmask_b32_e32 v16, v18, v17, vcc
	v_mov_b32_e32 v17, 8
	v_lshrrev_b32_sdwa v17, v17, v16 dst_sel:BYTE_1 dst_unused:UNUSED_PAD src0_sel:DWORD src1_sel:DWORD
	s_nop 0
	v_or_b32_sdwa v17, v16, v17 dst_sel:DWORD dst_unused:UNUSED_PAD src0_sel:BYTE_0 src1_sel:DWORD
	v_and_b32_e32 v17, 0xffff, v17
	v_bfe_u32 v16, v16, 16, 8
	v_lshl_or_b32 v17, v16, 16, v17
	v_perm_b32 v16, v1, v1, s0
.LBB1560_326:
	s_waitcnt vmcnt(0) lgkmcnt(0)
	v_and_b32_e32 v1, 0xff, v16
	v_bfe_u32 v29, v16, 8, 8
	v_bfe_u32 v31, v16, 16, 8
	v_alignbit_b32 v18, v17, v16, 24
	v_and_b32_e32 v33, 0xff, v18
	v_and_b32_e32 v35, 0xff, v17
	v_add3_u32 v19, v29, v1, v31
	v_bfe_u32 v36, v17, 8, 8
	v_bfe_u32 v18, v17, 16, 8
	v_add3_u32 v19, v19, v33, v35
	v_add3_u32 v39, v19, v36, v18
	v_mbcnt_lo_u32_b32 v18, -1, 0
	v_mbcnt_hi_u32_b32 v37, -1, v18
	v_and_b32_e32 v18, 15, v37
	v_cmp_eq_u32_e64 s[14:15], 0, v18
	v_cmp_lt_u32_e64 s[12:13], 1, v18
	v_cmp_lt_u32_e64 s[10:11], 3, v18
	;; [unrolled: 1-line block ×3, first 2 shown]
	v_and_b32_e32 v18, 16, v37
	v_cmp_eq_u32_e64 s[6:7], 0, v18
	v_or_b32_e32 v18, 63, v0
	v_cmp_lt_u32_e64 s[2:3], 31, v37
	v_lshrrev_b32_e32 v38, 6, v0
	v_cmp_eq_u32_e64 s[4:5], v18, v0
	s_and_b64 vcc, exec, s[16:17]
	s_barrier
	s_cbranch_vccz .LBB1560_357
; %bb.327:
	v_mov_b32_dpp v18, v39 row_shr:1 row_mask:0xf bank_mask:0xf
	v_cndmask_b32_e64 v18, v18, 0, s[14:15]
	v_add_u32_e32 v18, v18, v39
	s_nop 1
	v_mov_b32_dpp v19, v18 row_shr:2 row_mask:0xf bank_mask:0xf
	v_cndmask_b32_e64 v19, 0, v19, s[12:13]
	v_add_u32_e32 v18, v18, v19
	s_nop 1
	;; [unrolled: 4-line block ×4, first 2 shown]
	v_mov_b32_dpp v19, v18 row_bcast:15 row_mask:0xf bank_mask:0xf
	v_cndmask_b32_e64 v19, v19, 0, s[6:7]
	v_add_u32_e32 v18, v18, v19
	s_nop 1
	v_mov_b32_dpp v19, v18 row_bcast:31 row_mask:0xf bank_mask:0xf
	v_cndmask_b32_e64 v19, 0, v19, s[2:3]
	v_add_u32_e32 v18, v18, v19
	s_and_saveexec_b64 s[0:1], s[4:5]
	s_cbranch_execz .LBB1560_329
; %bb.328:
	v_lshlrev_b32_e32 v19, 2, v38
	ds_write_b32 v19, v18
.LBB1560_329:
	s_or_b64 exec, exec, s[0:1]
	v_cmp_gt_u32_e32 vcc, 8, v0
	s_waitcnt lgkmcnt(0)
	s_barrier
	s_and_saveexec_b64 s[0:1], vcc
	s_cbranch_execz .LBB1560_331
; %bb.330:
	v_lshlrev_b32_e32 v19, 2, v0
	ds_read_b32 v20, v19
	v_and_b32_e32 v21, 7, v37
	v_cmp_ne_u32_e32 vcc, 0, v21
	s_waitcnt lgkmcnt(0)
	v_mov_b32_dpp v22, v20 row_shr:1 row_mask:0xf bank_mask:0xf
	v_cndmask_b32_e32 v22, 0, v22, vcc
	v_add_u32_e32 v20, v22, v20
	v_cmp_lt_u32_e32 vcc, 1, v21
	s_nop 0
	v_mov_b32_dpp v22, v20 row_shr:2 row_mask:0xf bank_mask:0xf
	v_cndmask_b32_e32 v22, 0, v22, vcc
	v_add_u32_e32 v20, v20, v22
	v_cmp_lt_u32_e32 vcc, 3, v21
	s_nop 0
	v_mov_b32_dpp v22, v20 row_shr:4 row_mask:0xf bank_mask:0xf
	v_cndmask_b32_e32 v21, 0, v22, vcc
	v_add_u32_e32 v20, v20, v21
	ds_write_b32 v19, v20
.LBB1560_331:
	s_or_b64 exec, exec, s[0:1]
	v_cmp_gt_u32_e32 vcc, 64, v0
	v_cmp_lt_u32_e64 s[0:1], 63, v0
	s_waitcnt lgkmcnt(0)
	s_barrier
	s_waitcnt lgkmcnt(0)
                                        ; implicit-def: $vgpr28
	s_and_saveexec_b64 s[16:17], s[0:1]
	s_cbranch_execz .LBB1560_333
; %bb.332:
	v_lshl_add_u32 v19, v38, 2, -4
	ds_read_b32 v28, v19
	s_waitcnt lgkmcnt(0)
	v_add_u32_e32 v18, v28, v18
.LBB1560_333:
	s_or_b64 exec, exec, s[16:17]
	v_add_u32_e32 v19, -1, v37
	v_and_b32_e32 v20, 64, v37
	v_cmp_lt_i32_e64 s[0:1], v19, v20
	v_cmp_eq_u32_e64 s[16:17], 0, v37
	s_nop 0
	v_cndmask_b32_e64 v19, v19, v37, s[0:1]
	v_lshlrev_b32_e32 v19, 2, v19
	ds_bpermute_b32 v30, v19, v18
	s_and_saveexec_b64 s[0:1], vcc
	s_cbranch_execz .LBB1560_356
; %bb.334:
	v_mov_b32_e32 v27, 0
	ds_read_b32 v18, v27 offset:28
	s_and_saveexec_b64 s[26:27], s[16:17]
	s_cbranch_execz .LBB1560_336
; %bb.335:
	s_add_i32 s28, s33, 64
	s_mov_b32 s29, 0
	s_lshl_b64 s[28:29], s[28:29], 3
	s_add_u32 s28, s30, s28
	v_mov_b32_e32 v19, 1
	s_addc_u32 s29, s31, s29
	s_waitcnt lgkmcnt(0)
	global_store_dwordx2 v27, v[18:19], s[28:29] sc1
.LBB1560_336:
	s_or_b64 exec, exec, s[26:27]
	v_xad_u32 v20, v37, -1, s33
	v_add_u32_e32 v26, 64, v20
	v_lshl_add_u64 v[22:23], v[26:27], 3, s[30:31]
	global_load_dwordx2 v[24:25], v[22:23], off sc1
	s_waitcnt vmcnt(0)
	v_cmp_eq_u16_sdwa s[28:29], v25, v27 src0_sel:BYTE_0 src1_sel:DWORD
	s_and_saveexec_b64 s[26:27], s[28:29]
	s_cbranch_execz .LBB1560_342
; %bb.337:
	s_mov_b32 s38, 1
	s_mov_b64 s[28:29], 0
	v_mov_b32_e32 v19, 0
.LBB1560_338:                           ; =>This Loop Header: Depth=1
                                        ;     Child Loop BB1560_339 Depth 2
	s_max_u32 s39, s38, 1
.LBB1560_339:                           ;   Parent Loop BB1560_338 Depth=1
                                        ; =>  This Inner Loop Header: Depth=2
	s_add_i32 s39, s39, -1
	s_cmp_eq_u32 s39, 0
	s_sleep 1
	s_cbranch_scc0 .LBB1560_339
; %bb.340:                              ;   in Loop: Header=BB1560_338 Depth=1
	global_load_dwordx2 v[24:25], v[22:23], off sc1
	s_cmp_lt_u32 s38, 32
	s_cselect_b64 s[40:41], -1, 0
	s_cmp_lg_u64 s[40:41], 0
	s_addc_u32 s38, s38, 0
	s_waitcnt vmcnt(0)
	v_cmp_ne_u16_sdwa s[40:41], v25, v19 src0_sel:BYTE_0 src1_sel:DWORD
	s_or_b64 s[28:29], s[40:41], s[28:29]
	s_andn2_b64 exec, exec, s[28:29]
	s_cbranch_execnz .LBB1560_338
; %bb.341:
	s_or_b64 exec, exec, s[28:29]
.LBB1560_342:
	s_or_b64 exec, exec, s[26:27]
	v_and_b32_e32 v32, 63, v37
	v_mov_b32_e32 v19, 2
	v_cmp_ne_u32_e32 vcc, 63, v32
	v_cmp_eq_u16_sdwa s[26:27], v25, v19 src0_sel:BYTE_0 src1_sel:DWORD
	v_lshlrev_b64 v[22:23], v37, -1
	v_addc_co_u32_e32 v27, vcc, 0, v37, vcc
	v_and_b32_e32 v21, s27, v23
	v_lshlrev_b32_e32 v34, 2, v27
	v_or_b32_e32 v21, 0x80000000, v21
	ds_bpermute_b32 v27, v34, v24
	v_and_b32_e32 v26, s26, v22
	v_ffbl_b32_e32 v21, v21
	v_add_u32_e32 v21, 32, v21
	v_ffbl_b32_e32 v26, v26
	v_min_u32_e32 v21, v26, v21
	v_cmp_lt_u32_e32 vcc, v32, v21
	v_add_u32_e32 v41, 2, v32
	v_add_u32_e32 v43, 4, v32
	s_waitcnt lgkmcnt(0)
	v_cndmask_b32_e32 v26, 0, v27, vcc
	v_cmp_gt_u32_e32 vcc, 62, v32
	v_add_u32_e32 v24, v26, v24
	v_add_u32_e32 v45, 8, v32
	v_cndmask_b32_e64 v26, 0, 1, vcc
	v_lshlrev_b32_e32 v26, 1, v26
	v_add_lshl_u32 v40, v26, v37, 2
	ds_bpermute_b32 v26, v40, v24
	v_cmp_le_u32_e32 vcc, v41, v21
	v_add_u32_e32 v48, 16, v32
	v_add_u32_e32 v50, 32, v32
	s_waitcnt lgkmcnt(0)
	v_cndmask_b32_e32 v26, 0, v26, vcc
	v_cmp_gt_u32_e32 vcc, 60, v32
	v_add_u32_e32 v24, v24, v26
	s_nop 0
	v_cndmask_b32_e64 v26, 0, 1, vcc
	v_lshlrev_b32_e32 v26, 2, v26
	v_add_lshl_u32 v42, v26, v37, 2
	ds_bpermute_b32 v26, v42, v24
	v_cmp_le_u32_e32 vcc, v43, v21
	s_waitcnt lgkmcnt(0)
	s_nop 0
	v_cndmask_b32_e32 v26, 0, v26, vcc
	v_cmp_gt_u32_e32 vcc, 56, v32
	v_add_u32_e32 v24, v24, v26
	s_nop 0
	v_cndmask_b32_e64 v26, 0, 1, vcc
	v_lshlrev_b32_e32 v26, 3, v26
	v_add_lshl_u32 v44, v26, v37, 2
	ds_bpermute_b32 v26, v44, v24
	v_cmp_le_u32_e32 vcc, v45, v21
	s_waitcnt lgkmcnt(0)
	s_nop 0
	;; [unrolled: 11-line block ×4, first 2 shown]
	v_cndmask_b32_e32 v21, 0, v26, vcc
	v_add_u32_e32 v24, v24, v21
	v_mov_b32_e32 v21, 0
	s_branch .LBB1560_344
.LBB1560_343:                           ;   in Loop: Header=BB1560_344 Depth=1
	s_or_b64 exec, exec, s[26:27]
	v_cmp_eq_u16_sdwa s[26:27], v25, v19 src0_sel:BYTE_0 src1_sel:DWORD
	ds_bpermute_b32 v51, v34, v24
	v_subrev_u32_e32 v20, 64, v20
	v_and_b32_e32 v26, s27, v23
	v_or_b32_e32 v26, 0x80000000, v26
	v_and_b32_e32 v27, s26, v22
	v_ffbl_b32_e32 v26, v26
	v_add_u32_e32 v26, 32, v26
	v_ffbl_b32_e32 v27, v27
	v_min_u32_e32 v26, v27, v26
	v_cmp_lt_u32_e32 vcc, v32, v26
	s_waitcnt lgkmcnt(0)
	s_nop 0
	v_cndmask_b32_e32 v27, 0, v51, vcc
	v_add_u32_e32 v24, v27, v24
	ds_bpermute_b32 v27, v40, v24
	v_cmp_le_u32_e32 vcc, v41, v26
	s_waitcnt lgkmcnt(0)
	s_nop 0
	v_cndmask_b32_e32 v27, 0, v27, vcc
	v_add_u32_e32 v24, v24, v27
	ds_bpermute_b32 v27, v42, v24
	v_cmp_le_u32_e32 vcc, v43, v26
	s_waitcnt lgkmcnt(0)
	s_nop 0
	v_cndmask_b32_e32 v27, 0, v27, vcc
	v_add_u32_e32 v24, v24, v27
	ds_bpermute_b32 v27, v44, v24
	v_cmp_le_u32_e32 vcc, v45, v26
	s_waitcnt lgkmcnt(0)
	s_nop 0
	v_cndmask_b32_e32 v27, 0, v27, vcc
	v_add_u32_e32 v24, v24, v27
	ds_bpermute_b32 v27, v47, v24
	v_cmp_le_u32_e32 vcc, v48, v26
	s_waitcnt lgkmcnt(0)
	s_nop 0
	v_cndmask_b32_e32 v27, 0, v27, vcc
	v_add_u32_e32 v24, v24, v27
	ds_bpermute_b32 v27, v49, v24
	v_cmp_le_u32_e32 vcc, v50, v26
	s_waitcnt lgkmcnt(0)
	s_nop 0
	v_cndmask_b32_e32 v26, 0, v27, vcc
	v_add3_u32 v24, v26, v46, v24
.LBB1560_344:                           ; =>This Loop Header: Depth=1
                                        ;     Child Loop BB1560_347 Depth 2
                                        ;       Child Loop BB1560_348 Depth 3
	v_cmp_ne_u16_sdwa s[26:27], v25, v19 src0_sel:BYTE_0 src1_sel:DWORD
	v_mov_b32_e32 v46, v24
	s_nop 0
	v_cndmask_b32_e64 v25, 0, 1, s[26:27]
	;;#ASMSTART
	;;#ASMEND
	s_nop 0
	v_cmp_ne_u32_e32 vcc, 0, v25
	s_cmp_lg_u64 vcc, exec
	s_cbranch_scc1 .LBB1560_351
; %bb.345:                              ;   in Loop: Header=BB1560_344 Depth=1
	v_lshl_add_u64 v[26:27], v[20:21], 3, s[30:31]
	global_load_dwordx2 v[24:25], v[26:27], off sc1
	s_waitcnt vmcnt(0)
	v_cmp_eq_u16_sdwa s[28:29], v25, v21 src0_sel:BYTE_0 src1_sel:DWORD
	s_and_saveexec_b64 s[26:27], s[28:29]
	s_cbranch_execz .LBB1560_343
; %bb.346:                              ;   in Loop: Header=BB1560_344 Depth=1
	s_mov_b32 s38, 1
	s_mov_b64 s[28:29], 0
.LBB1560_347:                           ;   Parent Loop BB1560_344 Depth=1
                                        ; =>  This Loop Header: Depth=2
                                        ;       Child Loop BB1560_348 Depth 3
	s_max_u32 s39, s38, 1
.LBB1560_348:                           ;   Parent Loop BB1560_344 Depth=1
                                        ;     Parent Loop BB1560_347 Depth=2
                                        ; =>    This Inner Loop Header: Depth=3
	s_add_i32 s39, s39, -1
	s_cmp_eq_u32 s39, 0
	s_sleep 1
	s_cbranch_scc0 .LBB1560_348
; %bb.349:                              ;   in Loop: Header=BB1560_347 Depth=2
	global_load_dwordx2 v[24:25], v[26:27], off sc1
	s_cmp_lt_u32 s38, 32
	s_cselect_b64 s[40:41], -1, 0
	s_cmp_lg_u64 s[40:41], 0
	s_addc_u32 s38, s38, 0
	s_waitcnt vmcnt(0)
	v_cmp_ne_u16_sdwa s[40:41], v25, v21 src0_sel:BYTE_0 src1_sel:DWORD
	s_or_b64 s[28:29], s[40:41], s[28:29]
	s_andn2_b64 exec, exec, s[28:29]
	s_cbranch_execnz .LBB1560_347
; %bb.350:                              ;   in Loop: Header=BB1560_344 Depth=1
	s_or_b64 exec, exec, s[28:29]
	s_branch .LBB1560_343
.LBB1560_351:                           ;   in Loop: Header=BB1560_344 Depth=1
                                        ; implicit-def: $vgpr24
                                        ; implicit-def: $vgpr25
	s_cbranch_execz .LBB1560_344
; %bb.352:
	s_and_saveexec_b64 s[26:27], s[16:17]
	s_cbranch_execz .LBB1560_354
; %bb.353:
	s_add_i32 s28, s33, 64
	s_mov_b32 s29, 0
	s_lshl_b64 s[28:29], s[28:29], 3
	s_add_u32 s28, s30, s28
	v_add_u32_e32 v20, v46, v18
	v_mov_b32_e32 v21, 2
	s_addc_u32 s29, s31, s29
	v_mov_b32_e32 v19, 0
	global_store_dwordx2 v19, v[20:21], s[28:29] sc1
	s_movk_i32 s28, 0x7000
	v_add_u32_e64 v19, s28, 0
	ds_write2_b32 v19, v18, v46 offset1:2
.LBB1560_354:
	s_or_b64 exec, exec, s[26:27]
	s_and_b64 exec, exec, s[18:19]
	s_cbranch_execz .LBB1560_356
; %bb.355:
	v_mov_b32_e32 v18, 0
	ds_write_b32 v18, v46 offset:28
.LBB1560_356:
	s_or_b64 exec, exec, s[0:1]
	v_mov_b32_e32 v18, 0
	s_waitcnt lgkmcnt(0)
	s_barrier
	ds_read_b32 v18, v18 offset:28
	v_cndmask_b32_e64 v19, v30, v28, s[16:17]
	v_cndmask_b32_e64 v19, v19, 0, s[18:19]
	s_movk_i32 s0, 0x7000
	s_waitcnt lgkmcnt(0)
	v_add_u32_e32 v34, v18, v19
	v_add_u32_e32 v32, v34, v1
	v_add_u32_e64 v18, s0, 0
	v_add_u32_e32 v30, v32, v29
	s_barrier
	ds_read2_b32 v[18:19], v18 offset1:2
	v_add_u32_e32 v28, v30, v31
	v_add_u32_e32 v26, v28, v33
	v_add_u32_e32 v24, v26, v35
	v_add_u32_e32 v22, v24, v36
	v_lshrrev_b64 v[20:21], 24, v[16:17]
	s_branch .LBB1560_367
.LBB1560_357:
                                        ; implicit-def: $vgpr22
                                        ; implicit-def: $vgpr24
                                        ; implicit-def: $vgpr26
                                        ; implicit-def: $vgpr28
                                        ; implicit-def: $vgpr30
                                        ; implicit-def: $vgpr32
                                        ; implicit-def: $vgpr34
                                        ; implicit-def: $vgpr19
	v_lshrrev_b64 v[20:21], 24, v[16:17]
	s_cbranch_execz .LBB1560_367
; %bb.358:
	s_waitcnt lgkmcnt(0)
	v_mov_b32_dpp v18, v39 row_shr:1 row_mask:0xf bank_mask:0xf
	v_cndmask_b32_e64 v18, v18, 0, s[14:15]
	v_add_u32_e32 v18, v18, v39
	s_nop 1
	v_mov_b32_dpp v19, v18 row_shr:2 row_mask:0xf bank_mask:0xf
	v_cndmask_b32_e64 v19, 0, v19, s[12:13]
	v_add_u32_e32 v18, v18, v19
	s_nop 1
	;; [unrolled: 4-line block ×4, first 2 shown]
	v_mov_b32_dpp v19, v18 row_bcast:15 row_mask:0xf bank_mask:0xf
	v_cndmask_b32_e64 v19, v19, 0, s[6:7]
	v_add_u32_e32 v18, v18, v19
	s_nop 1
	v_mov_b32_dpp v19, v18 row_bcast:31 row_mask:0xf bank_mask:0xf
	v_cndmask_b32_e64 v19, 0, v19, s[2:3]
	v_add_u32_e32 v18, v18, v19
	s_and_saveexec_b64 s[0:1], s[4:5]
	s_cbranch_execz .LBB1560_360
; %bb.359:
	v_lshlrev_b32_e32 v19, 2, v38
	ds_write_b32 v19, v18
.LBB1560_360:
	s_or_b64 exec, exec, s[0:1]
	v_cmp_gt_u32_e32 vcc, 8, v0
	s_waitcnt lgkmcnt(0)
	s_barrier
	s_and_saveexec_b64 s[0:1], vcc
	s_cbranch_execz .LBB1560_362
; %bb.361:
	v_lshlrev_b32_e32 v19, 2, v0
	ds_read_b32 v21, v19
	v_and_b32_e32 v22, 7, v37
	v_cmp_ne_u32_e32 vcc, 0, v22
	s_waitcnt lgkmcnt(0)
	v_mov_b32_dpp v23, v21 row_shr:1 row_mask:0xf bank_mask:0xf
	v_cndmask_b32_e32 v23, 0, v23, vcc
	v_add_u32_e32 v21, v23, v21
	v_cmp_lt_u32_e32 vcc, 1, v22
	s_nop 0
	v_mov_b32_dpp v23, v21 row_shr:2 row_mask:0xf bank_mask:0xf
	v_cndmask_b32_e32 v23, 0, v23, vcc
	v_add_u32_e32 v21, v21, v23
	v_cmp_lt_u32_e32 vcc, 3, v22
	s_nop 0
	v_mov_b32_dpp v23, v21 row_shr:4 row_mask:0xf bank_mask:0xf
	v_cndmask_b32_e32 v22, 0, v23, vcc
	v_add_u32_e32 v21, v21, v22
	ds_write_b32 v19, v21
.LBB1560_362:
	s_or_b64 exec, exec, s[0:1]
	v_cmp_lt_u32_e32 vcc, 63, v0
	v_mov_b32_e32 v19, 0
	v_mov_b32_e32 v21, 0
	s_waitcnt lgkmcnt(0)
	s_barrier
	s_and_saveexec_b64 s[0:1], vcc
	s_cbranch_execz .LBB1560_364
; %bb.363:
	v_lshl_add_u32 v21, v38, 2, -4
	ds_read_b32 v21, v21
.LBB1560_364:
	s_or_b64 exec, exec, s[0:1]
	v_add_u32_e32 v22, -1, v37
	v_and_b32_e32 v23, 64, v37
	v_cmp_lt_i32_e32 vcc, v22, v23
	s_waitcnt lgkmcnt(0)
	v_add_u32_e32 v18, v21, v18
	v_cndmask_b32_e32 v22, v22, v37, vcc
	v_lshlrev_b32_e32 v22, 2, v22
	ds_bpermute_b32 v22, v22, v18
	ds_read_b32 v18, v19 offset:28
	s_and_saveexec_b64 s[0:1], s[18:19]
	s_cbranch_execz .LBB1560_366
; %bb.365:
	v_mov_b32_e32 v23, 0
	v_mov_b32_e32 v19, 2
	s_waitcnt lgkmcnt(0)
	global_store_dwordx2 v23, v[18:19], s[30:31] offset:512 sc1
.LBB1560_366:
	s_or_b64 exec, exec, s[0:1]
	v_cmp_eq_u32_e32 vcc, 0, v37
	v_mov_b32_e32 v19, 0
	s_waitcnt lgkmcnt(0)
	v_cndmask_b32_e32 v21, v22, v21, vcc
	v_cndmask_b32_e64 v34, v21, 0, s[18:19]
	v_add_u32_e32 v32, v34, v1
	v_add_u32_e32 v30, v32, v29
	;; [unrolled: 1-line block ×6, first 2 shown]
	s_barrier
.LBB1560_367:
	s_movk_i32 s0, 0x201
	s_waitcnt lgkmcnt(0)
	v_cmp_gt_u32_e32 vcc, s0, v18
	v_lshrrev_b32_e32 v21, 8, v16
	v_lshrrev_b32_e32 v1, 8, v17
	s_mov_b64 s[0:1], -1
	s_cbranch_vccnz .LBB1560_371
; %bb.368:
	s_and_b64 vcc, exec, s[0:1]
	s_cbranch_vccnz .LBB1560_393
.LBB1560_369:
	s_and_b64 s[0:1], s[18:19], s[24:25]
	s_and_saveexec_b64 s[2:3], s[0:1]
	s_cbranch_execnz .LBB1560_411
.LBB1560_370:
	s_endpgm
.LBB1560_371:
	v_add_u32_e32 v23, v19, v18
	v_cmp_lt_u32_e32 vcc, v34, v23
	s_or_b64 s[2:3], s[36:37], vcc
	s_and_saveexec_b64 s[0:1], s[2:3]
	s_cbranch_execz .LBB1560_374
; %bb.372:
	v_and_b32_e32 v25, 1, v16
	v_cmp_eq_u32_e32 vcc, 1, v25
	s_and_b64 exec, exec, vcc
	s_cbranch_execz .LBB1560_374
; %bb.373:
	s_lshl_b64 s[2:3], s[22:23], 3
	s_add_u32 s2, s34, s2
	s_addc_u32 s3, s35, s3
	v_mov_b32_e32 v35, 0
	v_lshl_add_u64 v[36:37], v[34:35], 3, s[2:3]
	global_store_dwordx2 v[36:37], v[10:11], off
.LBB1560_374:
	s_or_b64 exec, exec, s[0:1]
	v_cmp_lt_u32_e32 vcc, v32, v23
	s_or_b64 s[2:3], s[36:37], vcc
	s_and_saveexec_b64 s[0:1], s[2:3]
	s_cbranch_execz .LBB1560_377
; %bb.375:
	v_and_b32_e32 v25, 1, v21
	v_cmp_eq_u32_e32 vcc, 1, v25
	s_and_b64 exec, exec, vcc
	s_cbranch_execz .LBB1560_377
; %bb.376:
	s_lshl_b64 s[2:3], s[22:23], 3
	s_add_u32 s2, s34, s2
	s_addc_u32 s3, s35, s3
	v_mov_b32_e32 v33, 0
	v_lshl_add_u64 v[36:37], v[32:33], 3, s[2:3]
	global_store_dwordx2 v[36:37], v[12:13], off
.LBB1560_377:
	s_or_b64 exec, exec, s[0:1]
	v_cmp_lt_u32_e32 vcc, v30, v23
	s_or_b64 s[2:3], s[36:37], vcc
	s_and_saveexec_b64 s[0:1], s[2:3]
	s_cbranch_execz .LBB1560_380
; %bb.378:
	v_mov_b32_e32 v25, 1
	v_and_b32_sdwa v25, v25, v16 dst_sel:DWORD dst_unused:UNUSED_PAD src0_sel:DWORD src1_sel:WORD_1
	v_cmp_eq_u32_e32 vcc, 1, v25
	s_and_b64 exec, exec, vcc
	s_cbranch_execz .LBB1560_380
; %bb.379:
	s_lshl_b64 s[2:3], s[22:23], 3
	s_add_u32 s2, s34, s2
	s_addc_u32 s3, s35, s3
	v_mov_b32_e32 v31, 0
	v_lshl_add_u64 v[36:37], v[30:31], 3, s[2:3]
	global_store_dwordx2 v[36:37], v[6:7], off
.LBB1560_380:
	s_or_b64 exec, exec, s[0:1]
	v_cmp_lt_u32_e32 vcc, v28, v23
	s_or_b64 s[2:3], s[36:37], vcc
	s_and_saveexec_b64 s[0:1], s[2:3]
	s_cbranch_execz .LBB1560_383
; %bb.381:
	v_and_b32_e32 v25, 1, v20
	v_cmp_eq_u32_e32 vcc, 1, v25
	s_and_b64 exec, exec, vcc
	s_cbranch_execz .LBB1560_383
; %bb.382:
	s_lshl_b64 s[2:3], s[22:23], 3
	s_add_u32 s2, s34, s2
	s_addc_u32 s3, s35, s3
	v_mov_b32_e32 v29, 0
	v_lshl_add_u64 v[36:37], v[28:29], 3, s[2:3]
	global_store_dwordx2 v[36:37], v[8:9], off
.LBB1560_383:
	s_or_b64 exec, exec, s[0:1]
	v_cmp_lt_u32_e32 vcc, v26, v23
	s_or_b64 s[2:3], s[36:37], vcc
	s_and_saveexec_b64 s[0:1], s[2:3]
	s_cbranch_execz .LBB1560_386
; %bb.384:
	v_and_b32_e32 v25, 1, v17
	v_cmp_eq_u32_e32 vcc, 1, v25
	s_and_b64 exec, exec, vcc
	s_cbranch_execz .LBB1560_386
; %bb.385:
	s_lshl_b64 s[2:3], s[22:23], 3
	s_add_u32 s2, s34, s2
	s_addc_u32 s3, s35, s3
	v_mov_b32_e32 v27, 0
	v_lshl_add_u64 v[36:37], v[26:27], 3, s[2:3]
	global_store_dwordx2 v[36:37], v[2:3], off
.LBB1560_386:
	;; [unrolled: 18-line block ×3, first 2 shown]
	s_or_b64 exec, exec, s[0:1]
	v_cmp_lt_u32_e32 vcc, v22, v23
	s_or_b64 s[2:3], s[36:37], vcc
	s_and_saveexec_b64 s[0:1], s[2:3]
	s_cbranch_execz .LBB1560_392
; %bb.390:
	v_mov_b32_e32 v23, 1
	v_and_b32_sdwa v23, v23, v17 dst_sel:DWORD dst_unused:UNUSED_PAD src0_sel:DWORD src1_sel:WORD_1
	v_cmp_eq_u32_e32 vcc, 1, v23
	s_and_b64 exec, exec, vcc
	s_cbranch_execz .LBB1560_392
; %bb.391:
	s_lshl_b64 s[2:3], s[22:23], 3
	s_add_u32 s2, s34, s2
	s_addc_u32 s3, s35, s3
	v_mov_b32_e32 v23, 0
	v_lshl_add_u64 v[36:37], v[22:23], 3, s[2:3]
	global_store_dwordx2 v[36:37], v[14:15], off
.LBB1560_392:
	s_or_b64 exec, exec, s[0:1]
	s_branch .LBB1560_369
.LBB1560_393:
	v_and_b32_e32 v23, 1, v16
	v_cmp_eq_u32_e32 vcc, 1, v23
	s_and_saveexec_b64 s[0:1], vcc
	s_cbranch_execz .LBB1560_395
; %bb.394:
	v_sub_u32_e32 v23, v34, v19
	v_lshlrev_b32_e32 v23, 3, v23
	ds_write_b64 v23, v[10:11]
.LBB1560_395:
	s_or_b64 exec, exec, s[0:1]
	v_and_b32_e32 v10, 1, v21
	v_cmp_eq_u32_e32 vcc, 1, v10
	s_and_saveexec_b64 s[0:1], vcc
	s_cbranch_execz .LBB1560_397
; %bb.396:
	v_sub_u32_e32 v10, v32, v19
	v_lshlrev_b32_e32 v10, 3, v10
	ds_write_b64 v10, v[12:13]
.LBB1560_397:
	s_or_b64 exec, exec, s[0:1]
	v_mov_b32_e32 v10, 1
	v_and_b32_sdwa v10, v10, v16 dst_sel:DWORD dst_unused:UNUSED_PAD src0_sel:DWORD src1_sel:WORD_1
	v_cmp_eq_u32_e32 vcc, 1, v10
	s_and_saveexec_b64 s[0:1], vcc
	s_cbranch_execz .LBB1560_399
; %bb.398:
	v_sub_u32_e32 v10, v30, v19
	v_lshlrev_b32_e32 v10, 3, v10
	ds_write_b64 v10, v[6:7]
.LBB1560_399:
	s_or_b64 exec, exec, s[0:1]
	v_and_b32_e32 v6, 1, v20
	v_cmp_eq_u32_e32 vcc, 1, v6
	s_and_saveexec_b64 s[0:1], vcc
	s_cbranch_execz .LBB1560_401
; %bb.400:
	v_sub_u32_e32 v6, v28, v19
	v_lshlrev_b32_e32 v6, 3, v6
	ds_write_b64 v6, v[8:9]
.LBB1560_401:
	s_or_b64 exec, exec, s[0:1]
	v_and_b32_e32 v6, 1, v17
	;; [unrolled: 10-line block ×3, first 2 shown]
	v_cmp_eq_u32_e32 vcc, 1, v1
	s_and_saveexec_b64 s[0:1], vcc
	s_cbranch_execz .LBB1560_405
; %bb.404:
	v_sub_u32_e32 v1, v24, v19
	v_lshlrev_b32_e32 v1, 3, v1
	ds_write_b64 v1, v[4:5]
.LBB1560_405:
	s_or_b64 exec, exec, s[0:1]
	v_mov_b32_e32 v1, 1
	v_and_b32_sdwa v1, v1, v17 dst_sel:DWORD dst_unused:UNUSED_PAD src0_sel:DWORD src1_sel:WORD_1
	v_cmp_eq_u32_e32 vcc, 1, v1
	s_and_saveexec_b64 s[0:1], vcc
	s_cbranch_execz .LBB1560_407
; %bb.406:
	v_sub_u32_e32 v1, v22, v19
	v_lshlrev_b32_e32 v1, 3, v1
	ds_write_b64 v1, v[14:15]
.LBB1560_407:
	s_or_b64 exec, exec, s[0:1]
	v_cmp_lt_u32_e32 vcc, v0, v18
	s_waitcnt lgkmcnt(0)
	s_barrier
	s_and_saveexec_b64 s[0:1], vcc
	s_cbranch_execz .LBB1560_410
; %bb.408:
	v_mov_b32_e32 v5, 0
	v_mov_b32_e32 v4, v19
	s_lshl_b64 s[2:3], s[22:23], 3
	v_lshlrev_b64 v[6:7], 3, v[4:5]
	v_lshl_add_u64 v[6:7], s[2:3], 0, v[6:7]
	v_lshlrev_b32_e32 v2, 3, v0
	v_mov_b32_e32 v3, v5
	v_lshl_add_u64 v[4:5], s[34:35], 0, v[6:7]
	v_lshl_add_u64 v[4:5], v[4:5], 0, v[2:3]
	s_mov_b64 s[2:3], 0
	s_mov_b64 s[4:5], 0x1000
.LBB1560_409:                           ; =>This Inner Loop Header: Depth=1
	ds_read_b64 v[6:7], v2
	v_add_u32_e32 v0, 0x200, v0
	v_cmp_ge_u32_e32 vcc, v0, v18
	v_add_u32_e32 v2, 0x1000, v2
	s_or_b64 s[2:3], vcc, s[2:3]
	s_waitcnt lgkmcnt(0)
	global_store_dwordx2 v[4:5], v[6:7], off
	v_lshl_add_u64 v[4:5], v[4:5], 0, s[4:5]
	s_andn2_b64 exec, exec, s[2:3]
	s_cbranch_execnz .LBB1560_409
.LBB1560_410:
	s_or_b64 exec, exec, s[0:1]
	s_and_b64 s[0:1], s[18:19], s[24:25]
	s_and_saveexec_b64 s[2:3], s[0:1]
	s_cbranch_execz .LBB1560_370
.LBB1560_411:
	v_mov_b32_e32 v1, 0
	v_mov_b32_e32 v0, v18
	v_lshl_add_u64 v[2:3], s[22:23], 0, v[0:1]
	v_mov_b32_e32 v0, v19
	v_lshl_add_u64 v[2:3], v[2:3], 0, v[0:1]
	global_store_dwordx2 v1, v[2:3], s[20:21]
	s_endpgm
	.section	.rodata,"a",@progbits
	.p2align	6, 0x0
	.amdhsa_kernel _ZN7rocprim17ROCPRIM_400000_NS6detail17trampoline_kernelINS0_14default_configENS1_25partition_config_selectorILNS1_17partition_subalgoE8ElNS0_10empty_typeEbEEZZNS1_14partition_implILS5_8ELb0ES3_jPlPS6_PKS6_NS0_5tupleIJS9_S6_EEENSD_IJSA_SA_EEENS0_18inequality_wrapperIZN2at6native12_GLOBAL__N_124unique_dim_cuda_templateIjEESt5tupleIJNSH_6TensorESM_SM_EERKSM_lbbbEUlllE0_EEPmJS6_EEE10hipError_tPvRmT3_T4_T5_T6_T7_T9_mT8_P12ihipStream_tbDpT10_ENKUlT_T0_E_clISt17integral_constantIbLb1EES1C_EEDaS17_S18_EUlS17_E_NS1_11comp_targetILNS1_3genE5ELNS1_11target_archE942ELNS1_3gpuE9ELNS1_3repE0EEENS1_30default_config_static_selectorELNS0_4arch9wavefront6targetE1EEEvT1_
		.amdhsa_group_segment_fixed_size 28684
		.amdhsa_private_segment_fixed_size 0
		.amdhsa_kernarg_size 136
		.amdhsa_user_sgpr_count 2
		.amdhsa_user_sgpr_dispatch_ptr 0
		.amdhsa_user_sgpr_queue_ptr 0
		.amdhsa_user_sgpr_kernarg_segment_ptr 1
		.amdhsa_user_sgpr_dispatch_id 0
		.amdhsa_user_sgpr_kernarg_preload_length 0
		.amdhsa_user_sgpr_kernarg_preload_offset 0
		.amdhsa_user_sgpr_private_segment_size 0
		.amdhsa_uses_dynamic_stack 0
		.amdhsa_enable_private_segment 0
		.amdhsa_system_sgpr_workgroup_id_x 1
		.amdhsa_system_sgpr_workgroup_id_y 0
		.amdhsa_system_sgpr_workgroup_id_z 0
		.amdhsa_system_sgpr_workgroup_info 0
		.amdhsa_system_vgpr_workitem_id 0
		.amdhsa_next_free_vgpr 52
		.amdhsa_next_free_sgpr 56
		.amdhsa_accum_offset 52
		.amdhsa_reserve_vcc 1
		.amdhsa_float_round_mode_32 0
		.amdhsa_float_round_mode_16_64 0
		.amdhsa_float_denorm_mode_32 3
		.amdhsa_float_denorm_mode_16_64 3
		.amdhsa_dx10_clamp 1
		.amdhsa_ieee_mode 1
		.amdhsa_fp16_overflow 0
		.amdhsa_tg_split 0
		.amdhsa_exception_fp_ieee_invalid_op 0
		.amdhsa_exception_fp_denorm_src 0
		.amdhsa_exception_fp_ieee_div_zero 0
		.amdhsa_exception_fp_ieee_overflow 0
		.amdhsa_exception_fp_ieee_underflow 0
		.amdhsa_exception_fp_ieee_inexact 0
		.amdhsa_exception_int_div_zero 0
	.end_amdhsa_kernel
	.section	.text._ZN7rocprim17ROCPRIM_400000_NS6detail17trampoline_kernelINS0_14default_configENS1_25partition_config_selectorILNS1_17partition_subalgoE8ElNS0_10empty_typeEbEEZZNS1_14partition_implILS5_8ELb0ES3_jPlPS6_PKS6_NS0_5tupleIJS9_S6_EEENSD_IJSA_SA_EEENS0_18inequality_wrapperIZN2at6native12_GLOBAL__N_124unique_dim_cuda_templateIjEESt5tupleIJNSH_6TensorESM_SM_EERKSM_lbbbEUlllE0_EEPmJS6_EEE10hipError_tPvRmT3_T4_T5_T6_T7_T9_mT8_P12ihipStream_tbDpT10_ENKUlT_T0_E_clISt17integral_constantIbLb1EES1C_EEDaS17_S18_EUlS17_E_NS1_11comp_targetILNS1_3genE5ELNS1_11target_archE942ELNS1_3gpuE9ELNS1_3repE0EEENS1_30default_config_static_selectorELNS0_4arch9wavefront6targetE1EEEvT1_,"axG",@progbits,_ZN7rocprim17ROCPRIM_400000_NS6detail17trampoline_kernelINS0_14default_configENS1_25partition_config_selectorILNS1_17partition_subalgoE8ElNS0_10empty_typeEbEEZZNS1_14partition_implILS5_8ELb0ES3_jPlPS6_PKS6_NS0_5tupleIJS9_S6_EEENSD_IJSA_SA_EEENS0_18inequality_wrapperIZN2at6native12_GLOBAL__N_124unique_dim_cuda_templateIjEESt5tupleIJNSH_6TensorESM_SM_EERKSM_lbbbEUlllE0_EEPmJS6_EEE10hipError_tPvRmT3_T4_T5_T6_T7_T9_mT8_P12ihipStream_tbDpT10_ENKUlT_T0_E_clISt17integral_constantIbLb1EES1C_EEDaS17_S18_EUlS17_E_NS1_11comp_targetILNS1_3genE5ELNS1_11target_archE942ELNS1_3gpuE9ELNS1_3repE0EEENS1_30default_config_static_selectorELNS0_4arch9wavefront6targetE1EEEvT1_,comdat
.Lfunc_end1560:
	.size	_ZN7rocprim17ROCPRIM_400000_NS6detail17trampoline_kernelINS0_14default_configENS1_25partition_config_selectorILNS1_17partition_subalgoE8ElNS0_10empty_typeEbEEZZNS1_14partition_implILS5_8ELb0ES3_jPlPS6_PKS6_NS0_5tupleIJS9_S6_EEENSD_IJSA_SA_EEENS0_18inequality_wrapperIZN2at6native12_GLOBAL__N_124unique_dim_cuda_templateIjEESt5tupleIJNSH_6TensorESM_SM_EERKSM_lbbbEUlllE0_EEPmJS6_EEE10hipError_tPvRmT3_T4_T5_T6_T7_T9_mT8_P12ihipStream_tbDpT10_ENKUlT_T0_E_clISt17integral_constantIbLb1EES1C_EEDaS17_S18_EUlS17_E_NS1_11comp_targetILNS1_3genE5ELNS1_11target_archE942ELNS1_3gpuE9ELNS1_3repE0EEENS1_30default_config_static_selectorELNS0_4arch9wavefront6targetE1EEEvT1_, .Lfunc_end1560-_ZN7rocprim17ROCPRIM_400000_NS6detail17trampoline_kernelINS0_14default_configENS1_25partition_config_selectorILNS1_17partition_subalgoE8ElNS0_10empty_typeEbEEZZNS1_14partition_implILS5_8ELb0ES3_jPlPS6_PKS6_NS0_5tupleIJS9_S6_EEENSD_IJSA_SA_EEENS0_18inequality_wrapperIZN2at6native12_GLOBAL__N_124unique_dim_cuda_templateIjEESt5tupleIJNSH_6TensorESM_SM_EERKSM_lbbbEUlllE0_EEPmJS6_EEE10hipError_tPvRmT3_T4_T5_T6_T7_T9_mT8_P12ihipStream_tbDpT10_ENKUlT_T0_E_clISt17integral_constantIbLb1EES1C_EEDaS17_S18_EUlS17_E_NS1_11comp_targetILNS1_3genE5ELNS1_11target_archE942ELNS1_3gpuE9ELNS1_3repE0EEENS1_30default_config_static_selectorELNS0_4arch9wavefront6targetE1EEEvT1_
                                        ; -- End function
	.section	.AMDGPU.csdata,"",@progbits
; Kernel info:
; codeLenInByte = 13124
; NumSgprs: 62
; NumVgprs: 52
; NumAgprs: 0
; TotalNumVgprs: 52
; ScratchSize: 0
; MemoryBound: 0
; FloatMode: 240
; IeeeMode: 1
; LDSByteSize: 28684 bytes/workgroup (compile time only)
; SGPRBlocks: 7
; VGPRBlocks: 6
; NumSGPRsForWavesPerEU: 62
; NumVGPRsForWavesPerEU: 52
; AccumOffset: 52
; Occupancy: 4
; WaveLimiterHint : 1
; COMPUTE_PGM_RSRC2:SCRATCH_EN: 0
; COMPUTE_PGM_RSRC2:USER_SGPR: 2
; COMPUTE_PGM_RSRC2:TRAP_HANDLER: 0
; COMPUTE_PGM_RSRC2:TGID_X_EN: 1
; COMPUTE_PGM_RSRC2:TGID_Y_EN: 0
; COMPUTE_PGM_RSRC2:TGID_Z_EN: 0
; COMPUTE_PGM_RSRC2:TIDIG_COMP_CNT: 0
; COMPUTE_PGM_RSRC3_GFX90A:ACCUM_OFFSET: 12
; COMPUTE_PGM_RSRC3_GFX90A:TG_SPLIT: 0
	.section	.text._ZN7rocprim17ROCPRIM_400000_NS6detail17trampoline_kernelINS0_14default_configENS1_25partition_config_selectorILNS1_17partition_subalgoE8ElNS0_10empty_typeEbEEZZNS1_14partition_implILS5_8ELb0ES3_jPlPS6_PKS6_NS0_5tupleIJS9_S6_EEENSD_IJSA_SA_EEENS0_18inequality_wrapperIZN2at6native12_GLOBAL__N_124unique_dim_cuda_templateIjEESt5tupleIJNSH_6TensorESM_SM_EERKSM_lbbbEUlllE0_EEPmJS6_EEE10hipError_tPvRmT3_T4_T5_T6_T7_T9_mT8_P12ihipStream_tbDpT10_ENKUlT_T0_E_clISt17integral_constantIbLb1EES1C_EEDaS17_S18_EUlS17_E_NS1_11comp_targetILNS1_3genE4ELNS1_11target_archE910ELNS1_3gpuE8ELNS1_3repE0EEENS1_30default_config_static_selectorELNS0_4arch9wavefront6targetE1EEEvT1_,"axG",@progbits,_ZN7rocprim17ROCPRIM_400000_NS6detail17trampoline_kernelINS0_14default_configENS1_25partition_config_selectorILNS1_17partition_subalgoE8ElNS0_10empty_typeEbEEZZNS1_14partition_implILS5_8ELb0ES3_jPlPS6_PKS6_NS0_5tupleIJS9_S6_EEENSD_IJSA_SA_EEENS0_18inequality_wrapperIZN2at6native12_GLOBAL__N_124unique_dim_cuda_templateIjEESt5tupleIJNSH_6TensorESM_SM_EERKSM_lbbbEUlllE0_EEPmJS6_EEE10hipError_tPvRmT3_T4_T5_T6_T7_T9_mT8_P12ihipStream_tbDpT10_ENKUlT_T0_E_clISt17integral_constantIbLb1EES1C_EEDaS17_S18_EUlS17_E_NS1_11comp_targetILNS1_3genE4ELNS1_11target_archE910ELNS1_3gpuE8ELNS1_3repE0EEENS1_30default_config_static_selectorELNS0_4arch9wavefront6targetE1EEEvT1_,comdat
	.globl	_ZN7rocprim17ROCPRIM_400000_NS6detail17trampoline_kernelINS0_14default_configENS1_25partition_config_selectorILNS1_17partition_subalgoE8ElNS0_10empty_typeEbEEZZNS1_14partition_implILS5_8ELb0ES3_jPlPS6_PKS6_NS0_5tupleIJS9_S6_EEENSD_IJSA_SA_EEENS0_18inequality_wrapperIZN2at6native12_GLOBAL__N_124unique_dim_cuda_templateIjEESt5tupleIJNSH_6TensorESM_SM_EERKSM_lbbbEUlllE0_EEPmJS6_EEE10hipError_tPvRmT3_T4_T5_T6_T7_T9_mT8_P12ihipStream_tbDpT10_ENKUlT_T0_E_clISt17integral_constantIbLb1EES1C_EEDaS17_S18_EUlS17_E_NS1_11comp_targetILNS1_3genE4ELNS1_11target_archE910ELNS1_3gpuE8ELNS1_3repE0EEENS1_30default_config_static_selectorELNS0_4arch9wavefront6targetE1EEEvT1_ ; -- Begin function _ZN7rocprim17ROCPRIM_400000_NS6detail17trampoline_kernelINS0_14default_configENS1_25partition_config_selectorILNS1_17partition_subalgoE8ElNS0_10empty_typeEbEEZZNS1_14partition_implILS5_8ELb0ES3_jPlPS6_PKS6_NS0_5tupleIJS9_S6_EEENSD_IJSA_SA_EEENS0_18inequality_wrapperIZN2at6native12_GLOBAL__N_124unique_dim_cuda_templateIjEESt5tupleIJNSH_6TensorESM_SM_EERKSM_lbbbEUlllE0_EEPmJS6_EEE10hipError_tPvRmT3_T4_T5_T6_T7_T9_mT8_P12ihipStream_tbDpT10_ENKUlT_T0_E_clISt17integral_constantIbLb1EES1C_EEDaS17_S18_EUlS17_E_NS1_11comp_targetILNS1_3genE4ELNS1_11target_archE910ELNS1_3gpuE8ELNS1_3repE0EEENS1_30default_config_static_selectorELNS0_4arch9wavefront6targetE1EEEvT1_
	.p2align	8
	.type	_ZN7rocprim17ROCPRIM_400000_NS6detail17trampoline_kernelINS0_14default_configENS1_25partition_config_selectorILNS1_17partition_subalgoE8ElNS0_10empty_typeEbEEZZNS1_14partition_implILS5_8ELb0ES3_jPlPS6_PKS6_NS0_5tupleIJS9_S6_EEENSD_IJSA_SA_EEENS0_18inequality_wrapperIZN2at6native12_GLOBAL__N_124unique_dim_cuda_templateIjEESt5tupleIJNSH_6TensorESM_SM_EERKSM_lbbbEUlllE0_EEPmJS6_EEE10hipError_tPvRmT3_T4_T5_T6_T7_T9_mT8_P12ihipStream_tbDpT10_ENKUlT_T0_E_clISt17integral_constantIbLb1EES1C_EEDaS17_S18_EUlS17_E_NS1_11comp_targetILNS1_3genE4ELNS1_11target_archE910ELNS1_3gpuE8ELNS1_3repE0EEENS1_30default_config_static_selectorELNS0_4arch9wavefront6targetE1EEEvT1_,@function
_ZN7rocprim17ROCPRIM_400000_NS6detail17trampoline_kernelINS0_14default_configENS1_25partition_config_selectorILNS1_17partition_subalgoE8ElNS0_10empty_typeEbEEZZNS1_14partition_implILS5_8ELb0ES3_jPlPS6_PKS6_NS0_5tupleIJS9_S6_EEENSD_IJSA_SA_EEENS0_18inequality_wrapperIZN2at6native12_GLOBAL__N_124unique_dim_cuda_templateIjEESt5tupleIJNSH_6TensorESM_SM_EERKSM_lbbbEUlllE0_EEPmJS6_EEE10hipError_tPvRmT3_T4_T5_T6_T7_T9_mT8_P12ihipStream_tbDpT10_ENKUlT_T0_E_clISt17integral_constantIbLb1EES1C_EEDaS17_S18_EUlS17_E_NS1_11comp_targetILNS1_3genE4ELNS1_11target_archE910ELNS1_3gpuE8ELNS1_3repE0EEENS1_30default_config_static_selectorELNS0_4arch9wavefront6targetE1EEEvT1_: ; @_ZN7rocprim17ROCPRIM_400000_NS6detail17trampoline_kernelINS0_14default_configENS1_25partition_config_selectorILNS1_17partition_subalgoE8ElNS0_10empty_typeEbEEZZNS1_14partition_implILS5_8ELb0ES3_jPlPS6_PKS6_NS0_5tupleIJS9_S6_EEENSD_IJSA_SA_EEENS0_18inequality_wrapperIZN2at6native12_GLOBAL__N_124unique_dim_cuda_templateIjEESt5tupleIJNSH_6TensorESM_SM_EERKSM_lbbbEUlllE0_EEPmJS6_EEE10hipError_tPvRmT3_T4_T5_T6_T7_T9_mT8_P12ihipStream_tbDpT10_ENKUlT_T0_E_clISt17integral_constantIbLb1EES1C_EEDaS17_S18_EUlS17_E_NS1_11comp_targetILNS1_3genE4ELNS1_11target_archE910ELNS1_3gpuE8ELNS1_3repE0EEENS1_30default_config_static_selectorELNS0_4arch9wavefront6targetE1EEEvT1_
; %bb.0:
	.section	.rodata,"a",@progbits
	.p2align	6, 0x0
	.amdhsa_kernel _ZN7rocprim17ROCPRIM_400000_NS6detail17trampoline_kernelINS0_14default_configENS1_25partition_config_selectorILNS1_17partition_subalgoE8ElNS0_10empty_typeEbEEZZNS1_14partition_implILS5_8ELb0ES3_jPlPS6_PKS6_NS0_5tupleIJS9_S6_EEENSD_IJSA_SA_EEENS0_18inequality_wrapperIZN2at6native12_GLOBAL__N_124unique_dim_cuda_templateIjEESt5tupleIJNSH_6TensorESM_SM_EERKSM_lbbbEUlllE0_EEPmJS6_EEE10hipError_tPvRmT3_T4_T5_T6_T7_T9_mT8_P12ihipStream_tbDpT10_ENKUlT_T0_E_clISt17integral_constantIbLb1EES1C_EEDaS17_S18_EUlS17_E_NS1_11comp_targetILNS1_3genE4ELNS1_11target_archE910ELNS1_3gpuE8ELNS1_3repE0EEENS1_30default_config_static_selectorELNS0_4arch9wavefront6targetE1EEEvT1_
		.amdhsa_group_segment_fixed_size 0
		.amdhsa_private_segment_fixed_size 0
		.amdhsa_kernarg_size 136
		.amdhsa_user_sgpr_count 2
		.amdhsa_user_sgpr_dispatch_ptr 0
		.amdhsa_user_sgpr_queue_ptr 0
		.amdhsa_user_sgpr_kernarg_segment_ptr 1
		.amdhsa_user_sgpr_dispatch_id 0
		.amdhsa_user_sgpr_kernarg_preload_length 0
		.amdhsa_user_sgpr_kernarg_preload_offset 0
		.amdhsa_user_sgpr_private_segment_size 0
		.amdhsa_uses_dynamic_stack 0
		.amdhsa_enable_private_segment 0
		.amdhsa_system_sgpr_workgroup_id_x 1
		.amdhsa_system_sgpr_workgroup_id_y 0
		.amdhsa_system_sgpr_workgroup_id_z 0
		.amdhsa_system_sgpr_workgroup_info 0
		.amdhsa_system_vgpr_workitem_id 0
		.amdhsa_next_free_vgpr 1
		.amdhsa_next_free_sgpr 0
		.amdhsa_accum_offset 4
		.amdhsa_reserve_vcc 0
		.amdhsa_float_round_mode_32 0
		.amdhsa_float_round_mode_16_64 0
		.amdhsa_float_denorm_mode_32 3
		.amdhsa_float_denorm_mode_16_64 3
		.amdhsa_dx10_clamp 1
		.amdhsa_ieee_mode 1
		.amdhsa_fp16_overflow 0
		.amdhsa_tg_split 0
		.amdhsa_exception_fp_ieee_invalid_op 0
		.amdhsa_exception_fp_denorm_src 0
		.amdhsa_exception_fp_ieee_div_zero 0
		.amdhsa_exception_fp_ieee_overflow 0
		.amdhsa_exception_fp_ieee_underflow 0
		.amdhsa_exception_fp_ieee_inexact 0
		.amdhsa_exception_int_div_zero 0
	.end_amdhsa_kernel
	.section	.text._ZN7rocprim17ROCPRIM_400000_NS6detail17trampoline_kernelINS0_14default_configENS1_25partition_config_selectorILNS1_17partition_subalgoE8ElNS0_10empty_typeEbEEZZNS1_14partition_implILS5_8ELb0ES3_jPlPS6_PKS6_NS0_5tupleIJS9_S6_EEENSD_IJSA_SA_EEENS0_18inequality_wrapperIZN2at6native12_GLOBAL__N_124unique_dim_cuda_templateIjEESt5tupleIJNSH_6TensorESM_SM_EERKSM_lbbbEUlllE0_EEPmJS6_EEE10hipError_tPvRmT3_T4_T5_T6_T7_T9_mT8_P12ihipStream_tbDpT10_ENKUlT_T0_E_clISt17integral_constantIbLb1EES1C_EEDaS17_S18_EUlS17_E_NS1_11comp_targetILNS1_3genE4ELNS1_11target_archE910ELNS1_3gpuE8ELNS1_3repE0EEENS1_30default_config_static_selectorELNS0_4arch9wavefront6targetE1EEEvT1_,"axG",@progbits,_ZN7rocprim17ROCPRIM_400000_NS6detail17trampoline_kernelINS0_14default_configENS1_25partition_config_selectorILNS1_17partition_subalgoE8ElNS0_10empty_typeEbEEZZNS1_14partition_implILS5_8ELb0ES3_jPlPS6_PKS6_NS0_5tupleIJS9_S6_EEENSD_IJSA_SA_EEENS0_18inequality_wrapperIZN2at6native12_GLOBAL__N_124unique_dim_cuda_templateIjEESt5tupleIJNSH_6TensorESM_SM_EERKSM_lbbbEUlllE0_EEPmJS6_EEE10hipError_tPvRmT3_T4_T5_T6_T7_T9_mT8_P12ihipStream_tbDpT10_ENKUlT_T0_E_clISt17integral_constantIbLb1EES1C_EEDaS17_S18_EUlS17_E_NS1_11comp_targetILNS1_3genE4ELNS1_11target_archE910ELNS1_3gpuE8ELNS1_3repE0EEENS1_30default_config_static_selectorELNS0_4arch9wavefront6targetE1EEEvT1_,comdat
.Lfunc_end1561:
	.size	_ZN7rocprim17ROCPRIM_400000_NS6detail17trampoline_kernelINS0_14default_configENS1_25partition_config_selectorILNS1_17partition_subalgoE8ElNS0_10empty_typeEbEEZZNS1_14partition_implILS5_8ELb0ES3_jPlPS6_PKS6_NS0_5tupleIJS9_S6_EEENSD_IJSA_SA_EEENS0_18inequality_wrapperIZN2at6native12_GLOBAL__N_124unique_dim_cuda_templateIjEESt5tupleIJNSH_6TensorESM_SM_EERKSM_lbbbEUlllE0_EEPmJS6_EEE10hipError_tPvRmT3_T4_T5_T6_T7_T9_mT8_P12ihipStream_tbDpT10_ENKUlT_T0_E_clISt17integral_constantIbLb1EES1C_EEDaS17_S18_EUlS17_E_NS1_11comp_targetILNS1_3genE4ELNS1_11target_archE910ELNS1_3gpuE8ELNS1_3repE0EEENS1_30default_config_static_selectorELNS0_4arch9wavefront6targetE1EEEvT1_, .Lfunc_end1561-_ZN7rocprim17ROCPRIM_400000_NS6detail17trampoline_kernelINS0_14default_configENS1_25partition_config_selectorILNS1_17partition_subalgoE8ElNS0_10empty_typeEbEEZZNS1_14partition_implILS5_8ELb0ES3_jPlPS6_PKS6_NS0_5tupleIJS9_S6_EEENSD_IJSA_SA_EEENS0_18inequality_wrapperIZN2at6native12_GLOBAL__N_124unique_dim_cuda_templateIjEESt5tupleIJNSH_6TensorESM_SM_EERKSM_lbbbEUlllE0_EEPmJS6_EEE10hipError_tPvRmT3_T4_T5_T6_T7_T9_mT8_P12ihipStream_tbDpT10_ENKUlT_T0_E_clISt17integral_constantIbLb1EES1C_EEDaS17_S18_EUlS17_E_NS1_11comp_targetILNS1_3genE4ELNS1_11target_archE910ELNS1_3gpuE8ELNS1_3repE0EEENS1_30default_config_static_selectorELNS0_4arch9wavefront6targetE1EEEvT1_
                                        ; -- End function
	.section	.AMDGPU.csdata,"",@progbits
; Kernel info:
; codeLenInByte = 0
; NumSgprs: 6
; NumVgprs: 0
; NumAgprs: 0
; TotalNumVgprs: 0
; ScratchSize: 0
; MemoryBound: 0
; FloatMode: 240
; IeeeMode: 1
; LDSByteSize: 0 bytes/workgroup (compile time only)
; SGPRBlocks: 0
; VGPRBlocks: 0
; NumSGPRsForWavesPerEU: 6
; NumVGPRsForWavesPerEU: 1
; AccumOffset: 4
; Occupancy: 8
; WaveLimiterHint : 0
; COMPUTE_PGM_RSRC2:SCRATCH_EN: 0
; COMPUTE_PGM_RSRC2:USER_SGPR: 2
; COMPUTE_PGM_RSRC2:TRAP_HANDLER: 0
; COMPUTE_PGM_RSRC2:TGID_X_EN: 1
; COMPUTE_PGM_RSRC2:TGID_Y_EN: 0
; COMPUTE_PGM_RSRC2:TGID_Z_EN: 0
; COMPUTE_PGM_RSRC2:TIDIG_COMP_CNT: 0
; COMPUTE_PGM_RSRC3_GFX90A:ACCUM_OFFSET: 0
; COMPUTE_PGM_RSRC3_GFX90A:TG_SPLIT: 0
	.section	.text._ZN7rocprim17ROCPRIM_400000_NS6detail17trampoline_kernelINS0_14default_configENS1_25partition_config_selectorILNS1_17partition_subalgoE8ElNS0_10empty_typeEbEEZZNS1_14partition_implILS5_8ELb0ES3_jPlPS6_PKS6_NS0_5tupleIJS9_S6_EEENSD_IJSA_SA_EEENS0_18inequality_wrapperIZN2at6native12_GLOBAL__N_124unique_dim_cuda_templateIjEESt5tupleIJNSH_6TensorESM_SM_EERKSM_lbbbEUlllE0_EEPmJS6_EEE10hipError_tPvRmT3_T4_T5_T6_T7_T9_mT8_P12ihipStream_tbDpT10_ENKUlT_T0_E_clISt17integral_constantIbLb1EES1C_EEDaS17_S18_EUlS17_E_NS1_11comp_targetILNS1_3genE3ELNS1_11target_archE908ELNS1_3gpuE7ELNS1_3repE0EEENS1_30default_config_static_selectorELNS0_4arch9wavefront6targetE1EEEvT1_,"axG",@progbits,_ZN7rocprim17ROCPRIM_400000_NS6detail17trampoline_kernelINS0_14default_configENS1_25partition_config_selectorILNS1_17partition_subalgoE8ElNS0_10empty_typeEbEEZZNS1_14partition_implILS5_8ELb0ES3_jPlPS6_PKS6_NS0_5tupleIJS9_S6_EEENSD_IJSA_SA_EEENS0_18inequality_wrapperIZN2at6native12_GLOBAL__N_124unique_dim_cuda_templateIjEESt5tupleIJNSH_6TensorESM_SM_EERKSM_lbbbEUlllE0_EEPmJS6_EEE10hipError_tPvRmT3_T4_T5_T6_T7_T9_mT8_P12ihipStream_tbDpT10_ENKUlT_T0_E_clISt17integral_constantIbLb1EES1C_EEDaS17_S18_EUlS17_E_NS1_11comp_targetILNS1_3genE3ELNS1_11target_archE908ELNS1_3gpuE7ELNS1_3repE0EEENS1_30default_config_static_selectorELNS0_4arch9wavefront6targetE1EEEvT1_,comdat
	.globl	_ZN7rocprim17ROCPRIM_400000_NS6detail17trampoline_kernelINS0_14default_configENS1_25partition_config_selectorILNS1_17partition_subalgoE8ElNS0_10empty_typeEbEEZZNS1_14partition_implILS5_8ELb0ES3_jPlPS6_PKS6_NS0_5tupleIJS9_S6_EEENSD_IJSA_SA_EEENS0_18inequality_wrapperIZN2at6native12_GLOBAL__N_124unique_dim_cuda_templateIjEESt5tupleIJNSH_6TensorESM_SM_EERKSM_lbbbEUlllE0_EEPmJS6_EEE10hipError_tPvRmT3_T4_T5_T6_T7_T9_mT8_P12ihipStream_tbDpT10_ENKUlT_T0_E_clISt17integral_constantIbLb1EES1C_EEDaS17_S18_EUlS17_E_NS1_11comp_targetILNS1_3genE3ELNS1_11target_archE908ELNS1_3gpuE7ELNS1_3repE0EEENS1_30default_config_static_selectorELNS0_4arch9wavefront6targetE1EEEvT1_ ; -- Begin function _ZN7rocprim17ROCPRIM_400000_NS6detail17trampoline_kernelINS0_14default_configENS1_25partition_config_selectorILNS1_17partition_subalgoE8ElNS0_10empty_typeEbEEZZNS1_14partition_implILS5_8ELb0ES3_jPlPS6_PKS6_NS0_5tupleIJS9_S6_EEENSD_IJSA_SA_EEENS0_18inequality_wrapperIZN2at6native12_GLOBAL__N_124unique_dim_cuda_templateIjEESt5tupleIJNSH_6TensorESM_SM_EERKSM_lbbbEUlllE0_EEPmJS6_EEE10hipError_tPvRmT3_T4_T5_T6_T7_T9_mT8_P12ihipStream_tbDpT10_ENKUlT_T0_E_clISt17integral_constantIbLb1EES1C_EEDaS17_S18_EUlS17_E_NS1_11comp_targetILNS1_3genE3ELNS1_11target_archE908ELNS1_3gpuE7ELNS1_3repE0EEENS1_30default_config_static_selectorELNS0_4arch9wavefront6targetE1EEEvT1_
	.p2align	8
	.type	_ZN7rocprim17ROCPRIM_400000_NS6detail17trampoline_kernelINS0_14default_configENS1_25partition_config_selectorILNS1_17partition_subalgoE8ElNS0_10empty_typeEbEEZZNS1_14partition_implILS5_8ELb0ES3_jPlPS6_PKS6_NS0_5tupleIJS9_S6_EEENSD_IJSA_SA_EEENS0_18inequality_wrapperIZN2at6native12_GLOBAL__N_124unique_dim_cuda_templateIjEESt5tupleIJNSH_6TensorESM_SM_EERKSM_lbbbEUlllE0_EEPmJS6_EEE10hipError_tPvRmT3_T4_T5_T6_T7_T9_mT8_P12ihipStream_tbDpT10_ENKUlT_T0_E_clISt17integral_constantIbLb1EES1C_EEDaS17_S18_EUlS17_E_NS1_11comp_targetILNS1_3genE3ELNS1_11target_archE908ELNS1_3gpuE7ELNS1_3repE0EEENS1_30default_config_static_selectorELNS0_4arch9wavefront6targetE1EEEvT1_,@function
_ZN7rocprim17ROCPRIM_400000_NS6detail17trampoline_kernelINS0_14default_configENS1_25partition_config_selectorILNS1_17partition_subalgoE8ElNS0_10empty_typeEbEEZZNS1_14partition_implILS5_8ELb0ES3_jPlPS6_PKS6_NS0_5tupleIJS9_S6_EEENSD_IJSA_SA_EEENS0_18inequality_wrapperIZN2at6native12_GLOBAL__N_124unique_dim_cuda_templateIjEESt5tupleIJNSH_6TensorESM_SM_EERKSM_lbbbEUlllE0_EEPmJS6_EEE10hipError_tPvRmT3_T4_T5_T6_T7_T9_mT8_P12ihipStream_tbDpT10_ENKUlT_T0_E_clISt17integral_constantIbLb1EES1C_EEDaS17_S18_EUlS17_E_NS1_11comp_targetILNS1_3genE3ELNS1_11target_archE908ELNS1_3gpuE7ELNS1_3repE0EEENS1_30default_config_static_selectorELNS0_4arch9wavefront6targetE1EEEvT1_: ; @_ZN7rocprim17ROCPRIM_400000_NS6detail17trampoline_kernelINS0_14default_configENS1_25partition_config_selectorILNS1_17partition_subalgoE8ElNS0_10empty_typeEbEEZZNS1_14partition_implILS5_8ELb0ES3_jPlPS6_PKS6_NS0_5tupleIJS9_S6_EEENSD_IJSA_SA_EEENS0_18inequality_wrapperIZN2at6native12_GLOBAL__N_124unique_dim_cuda_templateIjEESt5tupleIJNSH_6TensorESM_SM_EERKSM_lbbbEUlllE0_EEPmJS6_EEE10hipError_tPvRmT3_T4_T5_T6_T7_T9_mT8_P12ihipStream_tbDpT10_ENKUlT_T0_E_clISt17integral_constantIbLb1EES1C_EEDaS17_S18_EUlS17_E_NS1_11comp_targetILNS1_3genE3ELNS1_11target_archE908ELNS1_3gpuE7ELNS1_3repE0EEENS1_30default_config_static_selectorELNS0_4arch9wavefront6targetE1EEEvT1_
; %bb.0:
	.section	.rodata,"a",@progbits
	.p2align	6, 0x0
	.amdhsa_kernel _ZN7rocprim17ROCPRIM_400000_NS6detail17trampoline_kernelINS0_14default_configENS1_25partition_config_selectorILNS1_17partition_subalgoE8ElNS0_10empty_typeEbEEZZNS1_14partition_implILS5_8ELb0ES3_jPlPS6_PKS6_NS0_5tupleIJS9_S6_EEENSD_IJSA_SA_EEENS0_18inequality_wrapperIZN2at6native12_GLOBAL__N_124unique_dim_cuda_templateIjEESt5tupleIJNSH_6TensorESM_SM_EERKSM_lbbbEUlllE0_EEPmJS6_EEE10hipError_tPvRmT3_T4_T5_T6_T7_T9_mT8_P12ihipStream_tbDpT10_ENKUlT_T0_E_clISt17integral_constantIbLb1EES1C_EEDaS17_S18_EUlS17_E_NS1_11comp_targetILNS1_3genE3ELNS1_11target_archE908ELNS1_3gpuE7ELNS1_3repE0EEENS1_30default_config_static_selectorELNS0_4arch9wavefront6targetE1EEEvT1_
		.amdhsa_group_segment_fixed_size 0
		.amdhsa_private_segment_fixed_size 0
		.amdhsa_kernarg_size 136
		.amdhsa_user_sgpr_count 2
		.amdhsa_user_sgpr_dispatch_ptr 0
		.amdhsa_user_sgpr_queue_ptr 0
		.amdhsa_user_sgpr_kernarg_segment_ptr 1
		.amdhsa_user_sgpr_dispatch_id 0
		.amdhsa_user_sgpr_kernarg_preload_length 0
		.amdhsa_user_sgpr_kernarg_preload_offset 0
		.amdhsa_user_sgpr_private_segment_size 0
		.amdhsa_uses_dynamic_stack 0
		.amdhsa_enable_private_segment 0
		.amdhsa_system_sgpr_workgroup_id_x 1
		.amdhsa_system_sgpr_workgroup_id_y 0
		.amdhsa_system_sgpr_workgroup_id_z 0
		.amdhsa_system_sgpr_workgroup_info 0
		.amdhsa_system_vgpr_workitem_id 0
		.amdhsa_next_free_vgpr 1
		.amdhsa_next_free_sgpr 0
		.amdhsa_accum_offset 4
		.amdhsa_reserve_vcc 0
		.amdhsa_float_round_mode_32 0
		.amdhsa_float_round_mode_16_64 0
		.amdhsa_float_denorm_mode_32 3
		.amdhsa_float_denorm_mode_16_64 3
		.amdhsa_dx10_clamp 1
		.amdhsa_ieee_mode 1
		.amdhsa_fp16_overflow 0
		.amdhsa_tg_split 0
		.amdhsa_exception_fp_ieee_invalid_op 0
		.amdhsa_exception_fp_denorm_src 0
		.amdhsa_exception_fp_ieee_div_zero 0
		.amdhsa_exception_fp_ieee_overflow 0
		.amdhsa_exception_fp_ieee_underflow 0
		.amdhsa_exception_fp_ieee_inexact 0
		.amdhsa_exception_int_div_zero 0
	.end_amdhsa_kernel
	.section	.text._ZN7rocprim17ROCPRIM_400000_NS6detail17trampoline_kernelINS0_14default_configENS1_25partition_config_selectorILNS1_17partition_subalgoE8ElNS0_10empty_typeEbEEZZNS1_14partition_implILS5_8ELb0ES3_jPlPS6_PKS6_NS0_5tupleIJS9_S6_EEENSD_IJSA_SA_EEENS0_18inequality_wrapperIZN2at6native12_GLOBAL__N_124unique_dim_cuda_templateIjEESt5tupleIJNSH_6TensorESM_SM_EERKSM_lbbbEUlllE0_EEPmJS6_EEE10hipError_tPvRmT3_T4_T5_T6_T7_T9_mT8_P12ihipStream_tbDpT10_ENKUlT_T0_E_clISt17integral_constantIbLb1EES1C_EEDaS17_S18_EUlS17_E_NS1_11comp_targetILNS1_3genE3ELNS1_11target_archE908ELNS1_3gpuE7ELNS1_3repE0EEENS1_30default_config_static_selectorELNS0_4arch9wavefront6targetE1EEEvT1_,"axG",@progbits,_ZN7rocprim17ROCPRIM_400000_NS6detail17trampoline_kernelINS0_14default_configENS1_25partition_config_selectorILNS1_17partition_subalgoE8ElNS0_10empty_typeEbEEZZNS1_14partition_implILS5_8ELb0ES3_jPlPS6_PKS6_NS0_5tupleIJS9_S6_EEENSD_IJSA_SA_EEENS0_18inequality_wrapperIZN2at6native12_GLOBAL__N_124unique_dim_cuda_templateIjEESt5tupleIJNSH_6TensorESM_SM_EERKSM_lbbbEUlllE0_EEPmJS6_EEE10hipError_tPvRmT3_T4_T5_T6_T7_T9_mT8_P12ihipStream_tbDpT10_ENKUlT_T0_E_clISt17integral_constantIbLb1EES1C_EEDaS17_S18_EUlS17_E_NS1_11comp_targetILNS1_3genE3ELNS1_11target_archE908ELNS1_3gpuE7ELNS1_3repE0EEENS1_30default_config_static_selectorELNS0_4arch9wavefront6targetE1EEEvT1_,comdat
.Lfunc_end1562:
	.size	_ZN7rocprim17ROCPRIM_400000_NS6detail17trampoline_kernelINS0_14default_configENS1_25partition_config_selectorILNS1_17partition_subalgoE8ElNS0_10empty_typeEbEEZZNS1_14partition_implILS5_8ELb0ES3_jPlPS6_PKS6_NS0_5tupleIJS9_S6_EEENSD_IJSA_SA_EEENS0_18inequality_wrapperIZN2at6native12_GLOBAL__N_124unique_dim_cuda_templateIjEESt5tupleIJNSH_6TensorESM_SM_EERKSM_lbbbEUlllE0_EEPmJS6_EEE10hipError_tPvRmT3_T4_T5_T6_T7_T9_mT8_P12ihipStream_tbDpT10_ENKUlT_T0_E_clISt17integral_constantIbLb1EES1C_EEDaS17_S18_EUlS17_E_NS1_11comp_targetILNS1_3genE3ELNS1_11target_archE908ELNS1_3gpuE7ELNS1_3repE0EEENS1_30default_config_static_selectorELNS0_4arch9wavefront6targetE1EEEvT1_, .Lfunc_end1562-_ZN7rocprim17ROCPRIM_400000_NS6detail17trampoline_kernelINS0_14default_configENS1_25partition_config_selectorILNS1_17partition_subalgoE8ElNS0_10empty_typeEbEEZZNS1_14partition_implILS5_8ELb0ES3_jPlPS6_PKS6_NS0_5tupleIJS9_S6_EEENSD_IJSA_SA_EEENS0_18inequality_wrapperIZN2at6native12_GLOBAL__N_124unique_dim_cuda_templateIjEESt5tupleIJNSH_6TensorESM_SM_EERKSM_lbbbEUlllE0_EEPmJS6_EEE10hipError_tPvRmT3_T4_T5_T6_T7_T9_mT8_P12ihipStream_tbDpT10_ENKUlT_T0_E_clISt17integral_constantIbLb1EES1C_EEDaS17_S18_EUlS17_E_NS1_11comp_targetILNS1_3genE3ELNS1_11target_archE908ELNS1_3gpuE7ELNS1_3repE0EEENS1_30default_config_static_selectorELNS0_4arch9wavefront6targetE1EEEvT1_
                                        ; -- End function
	.section	.AMDGPU.csdata,"",@progbits
; Kernel info:
; codeLenInByte = 0
; NumSgprs: 6
; NumVgprs: 0
; NumAgprs: 0
; TotalNumVgprs: 0
; ScratchSize: 0
; MemoryBound: 0
; FloatMode: 240
; IeeeMode: 1
; LDSByteSize: 0 bytes/workgroup (compile time only)
; SGPRBlocks: 0
; VGPRBlocks: 0
; NumSGPRsForWavesPerEU: 6
; NumVGPRsForWavesPerEU: 1
; AccumOffset: 4
; Occupancy: 8
; WaveLimiterHint : 0
; COMPUTE_PGM_RSRC2:SCRATCH_EN: 0
; COMPUTE_PGM_RSRC2:USER_SGPR: 2
; COMPUTE_PGM_RSRC2:TRAP_HANDLER: 0
; COMPUTE_PGM_RSRC2:TGID_X_EN: 1
; COMPUTE_PGM_RSRC2:TGID_Y_EN: 0
; COMPUTE_PGM_RSRC2:TGID_Z_EN: 0
; COMPUTE_PGM_RSRC2:TIDIG_COMP_CNT: 0
; COMPUTE_PGM_RSRC3_GFX90A:ACCUM_OFFSET: 0
; COMPUTE_PGM_RSRC3_GFX90A:TG_SPLIT: 0
	.section	.text._ZN7rocprim17ROCPRIM_400000_NS6detail17trampoline_kernelINS0_14default_configENS1_25partition_config_selectorILNS1_17partition_subalgoE8ElNS0_10empty_typeEbEEZZNS1_14partition_implILS5_8ELb0ES3_jPlPS6_PKS6_NS0_5tupleIJS9_S6_EEENSD_IJSA_SA_EEENS0_18inequality_wrapperIZN2at6native12_GLOBAL__N_124unique_dim_cuda_templateIjEESt5tupleIJNSH_6TensorESM_SM_EERKSM_lbbbEUlllE0_EEPmJS6_EEE10hipError_tPvRmT3_T4_T5_T6_T7_T9_mT8_P12ihipStream_tbDpT10_ENKUlT_T0_E_clISt17integral_constantIbLb1EES1C_EEDaS17_S18_EUlS17_E_NS1_11comp_targetILNS1_3genE2ELNS1_11target_archE906ELNS1_3gpuE6ELNS1_3repE0EEENS1_30default_config_static_selectorELNS0_4arch9wavefront6targetE1EEEvT1_,"axG",@progbits,_ZN7rocprim17ROCPRIM_400000_NS6detail17trampoline_kernelINS0_14default_configENS1_25partition_config_selectorILNS1_17partition_subalgoE8ElNS0_10empty_typeEbEEZZNS1_14partition_implILS5_8ELb0ES3_jPlPS6_PKS6_NS0_5tupleIJS9_S6_EEENSD_IJSA_SA_EEENS0_18inequality_wrapperIZN2at6native12_GLOBAL__N_124unique_dim_cuda_templateIjEESt5tupleIJNSH_6TensorESM_SM_EERKSM_lbbbEUlllE0_EEPmJS6_EEE10hipError_tPvRmT3_T4_T5_T6_T7_T9_mT8_P12ihipStream_tbDpT10_ENKUlT_T0_E_clISt17integral_constantIbLb1EES1C_EEDaS17_S18_EUlS17_E_NS1_11comp_targetILNS1_3genE2ELNS1_11target_archE906ELNS1_3gpuE6ELNS1_3repE0EEENS1_30default_config_static_selectorELNS0_4arch9wavefront6targetE1EEEvT1_,comdat
	.globl	_ZN7rocprim17ROCPRIM_400000_NS6detail17trampoline_kernelINS0_14default_configENS1_25partition_config_selectorILNS1_17partition_subalgoE8ElNS0_10empty_typeEbEEZZNS1_14partition_implILS5_8ELb0ES3_jPlPS6_PKS6_NS0_5tupleIJS9_S6_EEENSD_IJSA_SA_EEENS0_18inequality_wrapperIZN2at6native12_GLOBAL__N_124unique_dim_cuda_templateIjEESt5tupleIJNSH_6TensorESM_SM_EERKSM_lbbbEUlllE0_EEPmJS6_EEE10hipError_tPvRmT3_T4_T5_T6_T7_T9_mT8_P12ihipStream_tbDpT10_ENKUlT_T0_E_clISt17integral_constantIbLb1EES1C_EEDaS17_S18_EUlS17_E_NS1_11comp_targetILNS1_3genE2ELNS1_11target_archE906ELNS1_3gpuE6ELNS1_3repE0EEENS1_30default_config_static_selectorELNS0_4arch9wavefront6targetE1EEEvT1_ ; -- Begin function _ZN7rocprim17ROCPRIM_400000_NS6detail17trampoline_kernelINS0_14default_configENS1_25partition_config_selectorILNS1_17partition_subalgoE8ElNS0_10empty_typeEbEEZZNS1_14partition_implILS5_8ELb0ES3_jPlPS6_PKS6_NS0_5tupleIJS9_S6_EEENSD_IJSA_SA_EEENS0_18inequality_wrapperIZN2at6native12_GLOBAL__N_124unique_dim_cuda_templateIjEESt5tupleIJNSH_6TensorESM_SM_EERKSM_lbbbEUlllE0_EEPmJS6_EEE10hipError_tPvRmT3_T4_T5_T6_T7_T9_mT8_P12ihipStream_tbDpT10_ENKUlT_T0_E_clISt17integral_constantIbLb1EES1C_EEDaS17_S18_EUlS17_E_NS1_11comp_targetILNS1_3genE2ELNS1_11target_archE906ELNS1_3gpuE6ELNS1_3repE0EEENS1_30default_config_static_selectorELNS0_4arch9wavefront6targetE1EEEvT1_
	.p2align	8
	.type	_ZN7rocprim17ROCPRIM_400000_NS6detail17trampoline_kernelINS0_14default_configENS1_25partition_config_selectorILNS1_17partition_subalgoE8ElNS0_10empty_typeEbEEZZNS1_14partition_implILS5_8ELb0ES3_jPlPS6_PKS6_NS0_5tupleIJS9_S6_EEENSD_IJSA_SA_EEENS0_18inequality_wrapperIZN2at6native12_GLOBAL__N_124unique_dim_cuda_templateIjEESt5tupleIJNSH_6TensorESM_SM_EERKSM_lbbbEUlllE0_EEPmJS6_EEE10hipError_tPvRmT3_T4_T5_T6_T7_T9_mT8_P12ihipStream_tbDpT10_ENKUlT_T0_E_clISt17integral_constantIbLb1EES1C_EEDaS17_S18_EUlS17_E_NS1_11comp_targetILNS1_3genE2ELNS1_11target_archE906ELNS1_3gpuE6ELNS1_3repE0EEENS1_30default_config_static_selectorELNS0_4arch9wavefront6targetE1EEEvT1_,@function
_ZN7rocprim17ROCPRIM_400000_NS6detail17trampoline_kernelINS0_14default_configENS1_25partition_config_selectorILNS1_17partition_subalgoE8ElNS0_10empty_typeEbEEZZNS1_14partition_implILS5_8ELb0ES3_jPlPS6_PKS6_NS0_5tupleIJS9_S6_EEENSD_IJSA_SA_EEENS0_18inequality_wrapperIZN2at6native12_GLOBAL__N_124unique_dim_cuda_templateIjEESt5tupleIJNSH_6TensorESM_SM_EERKSM_lbbbEUlllE0_EEPmJS6_EEE10hipError_tPvRmT3_T4_T5_T6_T7_T9_mT8_P12ihipStream_tbDpT10_ENKUlT_T0_E_clISt17integral_constantIbLb1EES1C_EEDaS17_S18_EUlS17_E_NS1_11comp_targetILNS1_3genE2ELNS1_11target_archE906ELNS1_3gpuE6ELNS1_3repE0EEENS1_30default_config_static_selectorELNS0_4arch9wavefront6targetE1EEEvT1_: ; @_ZN7rocprim17ROCPRIM_400000_NS6detail17trampoline_kernelINS0_14default_configENS1_25partition_config_selectorILNS1_17partition_subalgoE8ElNS0_10empty_typeEbEEZZNS1_14partition_implILS5_8ELb0ES3_jPlPS6_PKS6_NS0_5tupleIJS9_S6_EEENSD_IJSA_SA_EEENS0_18inequality_wrapperIZN2at6native12_GLOBAL__N_124unique_dim_cuda_templateIjEESt5tupleIJNSH_6TensorESM_SM_EERKSM_lbbbEUlllE0_EEPmJS6_EEE10hipError_tPvRmT3_T4_T5_T6_T7_T9_mT8_P12ihipStream_tbDpT10_ENKUlT_T0_E_clISt17integral_constantIbLb1EES1C_EEDaS17_S18_EUlS17_E_NS1_11comp_targetILNS1_3genE2ELNS1_11target_archE906ELNS1_3gpuE6ELNS1_3repE0EEENS1_30default_config_static_selectorELNS0_4arch9wavefront6targetE1EEEvT1_
; %bb.0:
	.section	.rodata,"a",@progbits
	.p2align	6, 0x0
	.amdhsa_kernel _ZN7rocprim17ROCPRIM_400000_NS6detail17trampoline_kernelINS0_14default_configENS1_25partition_config_selectorILNS1_17partition_subalgoE8ElNS0_10empty_typeEbEEZZNS1_14partition_implILS5_8ELb0ES3_jPlPS6_PKS6_NS0_5tupleIJS9_S6_EEENSD_IJSA_SA_EEENS0_18inequality_wrapperIZN2at6native12_GLOBAL__N_124unique_dim_cuda_templateIjEESt5tupleIJNSH_6TensorESM_SM_EERKSM_lbbbEUlllE0_EEPmJS6_EEE10hipError_tPvRmT3_T4_T5_T6_T7_T9_mT8_P12ihipStream_tbDpT10_ENKUlT_T0_E_clISt17integral_constantIbLb1EES1C_EEDaS17_S18_EUlS17_E_NS1_11comp_targetILNS1_3genE2ELNS1_11target_archE906ELNS1_3gpuE6ELNS1_3repE0EEENS1_30default_config_static_selectorELNS0_4arch9wavefront6targetE1EEEvT1_
		.amdhsa_group_segment_fixed_size 0
		.amdhsa_private_segment_fixed_size 0
		.amdhsa_kernarg_size 136
		.amdhsa_user_sgpr_count 2
		.amdhsa_user_sgpr_dispatch_ptr 0
		.amdhsa_user_sgpr_queue_ptr 0
		.amdhsa_user_sgpr_kernarg_segment_ptr 1
		.amdhsa_user_sgpr_dispatch_id 0
		.amdhsa_user_sgpr_kernarg_preload_length 0
		.amdhsa_user_sgpr_kernarg_preload_offset 0
		.amdhsa_user_sgpr_private_segment_size 0
		.amdhsa_uses_dynamic_stack 0
		.amdhsa_enable_private_segment 0
		.amdhsa_system_sgpr_workgroup_id_x 1
		.amdhsa_system_sgpr_workgroup_id_y 0
		.amdhsa_system_sgpr_workgroup_id_z 0
		.amdhsa_system_sgpr_workgroup_info 0
		.amdhsa_system_vgpr_workitem_id 0
		.amdhsa_next_free_vgpr 1
		.amdhsa_next_free_sgpr 0
		.amdhsa_accum_offset 4
		.amdhsa_reserve_vcc 0
		.amdhsa_float_round_mode_32 0
		.amdhsa_float_round_mode_16_64 0
		.amdhsa_float_denorm_mode_32 3
		.amdhsa_float_denorm_mode_16_64 3
		.amdhsa_dx10_clamp 1
		.amdhsa_ieee_mode 1
		.amdhsa_fp16_overflow 0
		.amdhsa_tg_split 0
		.amdhsa_exception_fp_ieee_invalid_op 0
		.amdhsa_exception_fp_denorm_src 0
		.amdhsa_exception_fp_ieee_div_zero 0
		.amdhsa_exception_fp_ieee_overflow 0
		.amdhsa_exception_fp_ieee_underflow 0
		.amdhsa_exception_fp_ieee_inexact 0
		.amdhsa_exception_int_div_zero 0
	.end_amdhsa_kernel
	.section	.text._ZN7rocprim17ROCPRIM_400000_NS6detail17trampoline_kernelINS0_14default_configENS1_25partition_config_selectorILNS1_17partition_subalgoE8ElNS0_10empty_typeEbEEZZNS1_14partition_implILS5_8ELb0ES3_jPlPS6_PKS6_NS0_5tupleIJS9_S6_EEENSD_IJSA_SA_EEENS0_18inequality_wrapperIZN2at6native12_GLOBAL__N_124unique_dim_cuda_templateIjEESt5tupleIJNSH_6TensorESM_SM_EERKSM_lbbbEUlllE0_EEPmJS6_EEE10hipError_tPvRmT3_T4_T5_T6_T7_T9_mT8_P12ihipStream_tbDpT10_ENKUlT_T0_E_clISt17integral_constantIbLb1EES1C_EEDaS17_S18_EUlS17_E_NS1_11comp_targetILNS1_3genE2ELNS1_11target_archE906ELNS1_3gpuE6ELNS1_3repE0EEENS1_30default_config_static_selectorELNS0_4arch9wavefront6targetE1EEEvT1_,"axG",@progbits,_ZN7rocprim17ROCPRIM_400000_NS6detail17trampoline_kernelINS0_14default_configENS1_25partition_config_selectorILNS1_17partition_subalgoE8ElNS0_10empty_typeEbEEZZNS1_14partition_implILS5_8ELb0ES3_jPlPS6_PKS6_NS0_5tupleIJS9_S6_EEENSD_IJSA_SA_EEENS0_18inequality_wrapperIZN2at6native12_GLOBAL__N_124unique_dim_cuda_templateIjEESt5tupleIJNSH_6TensorESM_SM_EERKSM_lbbbEUlllE0_EEPmJS6_EEE10hipError_tPvRmT3_T4_T5_T6_T7_T9_mT8_P12ihipStream_tbDpT10_ENKUlT_T0_E_clISt17integral_constantIbLb1EES1C_EEDaS17_S18_EUlS17_E_NS1_11comp_targetILNS1_3genE2ELNS1_11target_archE906ELNS1_3gpuE6ELNS1_3repE0EEENS1_30default_config_static_selectorELNS0_4arch9wavefront6targetE1EEEvT1_,comdat
.Lfunc_end1563:
	.size	_ZN7rocprim17ROCPRIM_400000_NS6detail17trampoline_kernelINS0_14default_configENS1_25partition_config_selectorILNS1_17partition_subalgoE8ElNS0_10empty_typeEbEEZZNS1_14partition_implILS5_8ELb0ES3_jPlPS6_PKS6_NS0_5tupleIJS9_S6_EEENSD_IJSA_SA_EEENS0_18inequality_wrapperIZN2at6native12_GLOBAL__N_124unique_dim_cuda_templateIjEESt5tupleIJNSH_6TensorESM_SM_EERKSM_lbbbEUlllE0_EEPmJS6_EEE10hipError_tPvRmT3_T4_T5_T6_T7_T9_mT8_P12ihipStream_tbDpT10_ENKUlT_T0_E_clISt17integral_constantIbLb1EES1C_EEDaS17_S18_EUlS17_E_NS1_11comp_targetILNS1_3genE2ELNS1_11target_archE906ELNS1_3gpuE6ELNS1_3repE0EEENS1_30default_config_static_selectorELNS0_4arch9wavefront6targetE1EEEvT1_, .Lfunc_end1563-_ZN7rocprim17ROCPRIM_400000_NS6detail17trampoline_kernelINS0_14default_configENS1_25partition_config_selectorILNS1_17partition_subalgoE8ElNS0_10empty_typeEbEEZZNS1_14partition_implILS5_8ELb0ES3_jPlPS6_PKS6_NS0_5tupleIJS9_S6_EEENSD_IJSA_SA_EEENS0_18inequality_wrapperIZN2at6native12_GLOBAL__N_124unique_dim_cuda_templateIjEESt5tupleIJNSH_6TensorESM_SM_EERKSM_lbbbEUlllE0_EEPmJS6_EEE10hipError_tPvRmT3_T4_T5_T6_T7_T9_mT8_P12ihipStream_tbDpT10_ENKUlT_T0_E_clISt17integral_constantIbLb1EES1C_EEDaS17_S18_EUlS17_E_NS1_11comp_targetILNS1_3genE2ELNS1_11target_archE906ELNS1_3gpuE6ELNS1_3repE0EEENS1_30default_config_static_selectorELNS0_4arch9wavefront6targetE1EEEvT1_
                                        ; -- End function
	.section	.AMDGPU.csdata,"",@progbits
; Kernel info:
; codeLenInByte = 0
; NumSgprs: 6
; NumVgprs: 0
; NumAgprs: 0
; TotalNumVgprs: 0
; ScratchSize: 0
; MemoryBound: 0
; FloatMode: 240
; IeeeMode: 1
; LDSByteSize: 0 bytes/workgroup (compile time only)
; SGPRBlocks: 0
; VGPRBlocks: 0
; NumSGPRsForWavesPerEU: 6
; NumVGPRsForWavesPerEU: 1
; AccumOffset: 4
; Occupancy: 8
; WaveLimiterHint : 0
; COMPUTE_PGM_RSRC2:SCRATCH_EN: 0
; COMPUTE_PGM_RSRC2:USER_SGPR: 2
; COMPUTE_PGM_RSRC2:TRAP_HANDLER: 0
; COMPUTE_PGM_RSRC2:TGID_X_EN: 1
; COMPUTE_PGM_RSRC2:TGID_Y_EN: 0
; COMPUTE_PGM_RSRC2:TGID_Z_EN: 0
; COMPUTE_PGM_RSRC2:TIDIG_COMP_CNT: 0
; COMPUTE_PGM_RSRC3_GFX90A:ACCUM_OFFSET: 0
; COMPUTE_PGM_RSRC3_GFX90A:TG_SPLIT: 0
	.section	.text._ZN7rocprim17ROCPRIM_400000_NS6detail17trampoline_kernelINS0_14default_configENS1_25partition_config_selectorILNS1_17partition_subalgoE8ElNS0_10empty_typeEbEEZZNS1_14partition_implILS5_8ELb0ES3_jPlPS6_PKS6_NS0_5tupleIJS9_S6_EEENSD_IJSA_SA_EEENS0_18inequality_wrapperIZN2at6native12_GLOBAL__N_124unique_dim_cuda_templateIjEESt5tupleIJNSH_6TensorESM_SM_EERKSM_lbbbEUlllE0_EEPmJS6_EEE10hipError_tPvRmT3_T4_T5_T6_T7_T9_mT8_P12ihipStream_tbDpT10_ENKUlT_T0_E_clISt17integral_constantIbLb1EES1C_EEDaS17_S18_EUlS17_E_NS1_11comp_targetILNS1_3genE10ELNS1_11target_archE1200ELNS1_3gpuE4ELNS1_3repE0EEENS1_30default_config_static_selectorELNS0_4arch9wavefront6targetE1EEEvT1_,"axG",@progbits,_ZN7rocprim17ROCPRIM_400000_NS6detail17trampoline_kernelINS0_14default_configENS1_25partition_config_selectorILNS1_17partition_subalgoE8ElNS0_10empty_typeEbEEZZNS1_14partition_implILS5_8ELb0ES3_jPlPS6_PKS6_NS0_5tupleIJS9_S6_EEENSD_IJSA_SA_EEENS0_18inequality_wrapperIZN2at6native12_GLOBAL__N_124unique_dim_cuda_templateIjEESt5tupleIJNSH_6TensorESM_SM_EERKSM_lbbbEUlllE0_EEPmJS6_EEE10hipError_tPvRmT3_T4_T5_T6_T7_T9_mT8_P12ihipStream_tbDpT10_ENKUlT_T0_E_clISt17integral_constantIbLb1EES1C_EEDaS17_S18_EUlS17_E_NS1_11comp_targetILNS1_3genE10ELNS1_11target_archE1200ELNS1_3gpuE4ELNS1_3repE0EEENS1_30default_config_static_selectorELNS0_4arch9wavefront6targetE1EEEvT1_,comdat
	.globl	_ZN7rocprim17ROCPRIM_400000_NS6detail17trampoline_kernelINS0_14default_configENS1_25partition_config_selectorILNS1_17partition_subalgoE8ElNS0_10empty_typeEbEEZZNS1_14partition_implILS5_8ELb0ES3_jPlPS6_PKS6_NS0_5tupleIJS9_S6_EEENSD_IJSA_SA_EEENS0_18inequality_wrapperIZN2at6native12_GLOBAL__N_124unique_dim_cuda_templateIjEESt5tupleIJNSH_6TensorESM_SM_EERKSM_lbbbEUlllE0_EEPmJS6_EEE10hipError_tPvRmT3_T4_T5_T6_T7_T9_mT8_P12ihipStream_tbDpT10_ENKUlT_T0_E_clISt17integral_constantIbLb1EES1C_EEDaS17_S18_EUlS17_E_NS1_11comp_targetILNS1_3genE10ELNS1_11target_archE1200ELNS1_3gpuE4ELNS1_3repE0EEENS1_30default_config_static_selectorELNS0_4arch9wavefront6targetE1EEEvT1_ ; -- Begin function _ZN7rocprim17ROCPRIM_400000_NS6detail17trampoline_kernelINS0_14default_configENS1_25partition_config_selectorILNS1_17partition_subalgoE8ElNS0_10empty_typeEbEEZZNS1_14partition_implILS5_8ELb0ES3_jPlPS6_PKS6_NS0_5tupleIJS9_S6_EEENSD_IJSA_SA_EEENS0_18inequality_wrapperIZN2at6native12_GLOBAL__N_124unique_dim_cuda_templateIjEESt5tupleIJNSH_6TensorESM_SM_EERKSM_lbbbEUlllE0_EEPmJS6_EEE10hipError_tPvRmT3_T4_T5_T6_T7_T9_mT8_P12ihipStream_tbDpT10_ENKUlT_T0_E_clISt17integral_constantIbLb1EES1C_EEDaS17_S18_EUlS17_E_NS1_11comp_targetILNS1_3genE10ELNS1_11target_archE1200ELNS1_3gpuE4ELNS1_3repE0EEENS1_30default_config_static_selectorELNS0_4arch9wavefront6targetE1EEEvT1_
	.p2align	8
	.type	_ZN7rocprim17ROCPRIM_400000_NS6detail17trampoline_kernelINS0_14default_configENS1_25partition_config_selectorILNS1_17partition_subalgoE8ElNS0_10empty_typeEbEEZZNS1_14partition_implILS5_8ELb0ES3_jPlPS6_PKS6_NS0_5tupleIJS9_S6_EEENSD_IJSA_SA_EEENS0_18inequality_wrapperIZN2at6native12_GLOBAL__N_124unique_dim_cuda_templateIjEESt5tupleIJNSH_6TensorESM_SM_EERKSM_lbbbEUlllE0_EEPmJS6_EEE10hipError_tPvRmT3_T4_T5_T6_T7_T9_mT8_P12ihipStream_tbDpT10_ENKUlT_T0_E_clISt17integral_constantIbLb1EES1C_EEDaS17_S18_EUlS17_E_NS1_11comp_targetILNS1_3genE10ELNS1_11target_archE1200ELNS1_3gpuE4ELNS1_3repE0EEENS1_30default_config_static_selectorELNS0_4arch9wavefront6targetE1EEEvT1_,@function
_ZN7rocprim17ROCPRIM_400000_NS6detail17trampoline_kernelINS0_14default_configENS1_25partition_config_selectorILNS1_17partition_subalgoE8ElNS0_10empty_typeEbEEZZNS1_14partition_implILS5_8ELb0ES3_jPlPS6_PKS6_NS0_5tupleIJS9_S6_EEENSD_IJSA_SA_EEENS0_18inequality_wrapperIZN2at6native12_GLOBAL__N_124unique_dim_cuda_templateIjEESt5tupleIJNSH_6TensorESM_SM_EERKSM_lbbbEUlllE0_EEPmJS6_EEE10hipError_tPvRmT3_T4_T5_T6_T7_T9_mT8_P12ihipStream_tbDpT10_ENKUlT_T0_E_clISt17integral_constantIbLb1EES1C_EEDaS17_S18_EUlS17_E_NS1_11comp_targetILNS1_3genE10ELNS1_11target_archE1200ELNS1_3gpuE4ELNS1_3repE0EEENS1_30default_config_static_selectorELNS0_4arch9wavefront6targetE1EEEvT1_: ; @_ZN7rocprim17ROCPRIM_400000_NS6detail17trampoline_kernelINS0_14default_configENS1_25partition_config_selectorILNS1_17partition_subalgoE8ElNS0_10empty_typeEbEEZZNS1_14partition_implILS5_8ELb0ES3_jPlPS6_PKS6_NS0_5tupleIJS9_S6_EEENSD_IJSA_SA_EEENS0_18inequality_wrapperIZN2at6native12_GLOBAL__N_124unique_dim_cuda_templateIjEESt5tupleIJNSH_6TensorESM_SM_EERKSM_lbbbEUlllE0_EEPmJS6_EEE10hipError_tPvRmT3_T4_T5_T6_T7_T9_mT8_P12ihipStream_tbDpT10_ENKUlT_T0_E_clISt17integral_constantIbLb1EES1C_EEDaS17_S18_EUlS17_E_NS1_11comp_targetILNS1_3genE10ELNS1_11target_archE1200ELNS1_3gpuE4ELNS1_3repE0EEENS1_30default_config_static_selectorELNS0_4arch9wavefront6targetE1EEEvT1_
; %bb.0:
	.section	.rodata,"a",@progbits
	.p2align	6, 0x0
	.amdhsa_kernel _ZN7rocprim17ROCPRIM_400000_NS6detail17trampoline_kernelINS0_14default_configENS1_25partition_config_selectorILNS1_17partition_subalgoE8ElNS0_10empty_typeEbEEZZNS1_14partition_implILS5_8ELb0ES3_jPlPS6_PKS6_NS0_5tupleIJS9_S6_EEENSD_IJSA_SA_EEENS0_18inequality_wrapperIZN2at6native12_GLOBAL__N_124unique_dim_cuda_templateIjEESt5tupleIJNSH_6TensorESM_SM_EERKSM_lbbbEUlllE0_EEPmJS6_EEE10hipError_tPvRmT3_T4_T5_T6_T7_T9_mT8_P12ihipStream_tbDpT10_ENKUlT_T0_E_clISt17integral_constantIbLb1EES1C_EEDaS17_S18_EUlS17_E_NS1_11comp_targetILNS1_3genE10ELNS1_11target_archE1200ELNS1_3gpuE4ELNS1_3repE0EEENS1_30default_config_static_selectorELNS0_4arch9wavefront6targetE1EEEvT1_
		.amdhsa_group_segment_fixed_size 0
		.amdhsa_private_segment_fixed_size 0
		.amdhsa_kernarg_size 136
		.amdhsa_user_sgpr_count 2
		.amdhsa_user_sgpr_dispatch_ptr 0
		.amdhsa_user_sgpr_queue_ptr 0
		.amdhsa_user_sgpr_kernarg_segment_ptr 1
		.amdhsa_user_sgpr_dispatch_id 0
		.amdhsa_user_sgpr_kernarg_preload_length 0
		.amdhsa_user_sgpr_kernarg_preload_offset 0
		.amdhsa_user_sgpr_private_segment_size 0
		.amdhsa_uses_dynamic_stack 0
		.amdhsa_enable_private_segment 0
		.amdhsa_system_sgpr_workgroup_id_x 1
		.amdhsa_system_sgpr_workgroup_id_y 0
		.amdhsa_system_sgpr_workgroup_id_z 0
		.amdhsa_system_sgpr_workgroup_info 0
		.amdhsa_system_vgpr_workitem_id 0
		.amdhsa_next_free_vgpr 1
		.amdhsa_next_free_sgpr 0
		.amdhsa_accum_offset 4
		.amdhsa_reserve_vcc 0
		.amdhsa_float_round_mode_32 0
		.amdhsa_float_round_mode_16_64 0
		.amdhsa_float_denorm_mode_32 3
		.amdhsa_float_denorm_mode_16_64 3
		.amdhsa_dx10_clamp 1
		.amdhsa_ieee_mode 1
		.amdhsa_fp16_overflow 0
		.amdhsa_tg_split 0
		.amdhsa_exception_fp_ieee_invalid_op 0
		.amdhsa_exception_fp_denorm_src 0
		.amdhsa_exception_fp_ieee_div_zero 0
		.amdhsa_exception_fp_ieee_overflow 0
		.amdhsa_exception_fp_ieee_underflow 0
		.amdhsa_exception_fp_ieee_inexact 0
		.amdhsa_exception_int_div_zero 0
	.end_amdhsa_kernel
	.section	.text._ZN7rocprim17ROCPRIM_400000_NS6detail17trampoline_kernelINS0_14default_configENS1_25partition_config_selectorILNS1_17partition_subalgoE8ElNS0_10empty_typeEbEEZZNS1_14partition_implILS5_8ELb0ES3_jPlPS6_PKS6_NS0_5tupleIJS9_S6_EEENSD_IJSA_SA_EEENS0_18inequality_wrapperIZN2at6native12_GLOBAL__N_124unique_dim_cuda_templateIjEESt5tupleIJNSH_6TensorESM_SM_EERKSM_lbbbEUlllE0_EEPmJS6_EEE10hipError_tPvRmT3_T4_T5_T6_T7_T9_mT8_P12ihipStream_tbDpT10_ENKUlT_T0_E_clISt17integral_constantIbLb1EES1C_EEDaS17_S18_EUlS17_E_NS1_11comp_targetILNS1_3genE10ELNS1_11target_archE1200ELNS1_3gpuE4ELNS1_3repE0EEENS1_30default_config_static_selectorELNS0_4arch9wavefront6targetE1EEEvT1_,"axG",@progbits,_ZN7rocprim17ROCPRIM_400000_NS6detail17trampoline_kernelINS0_14default_configENS1_25partition_config_selectorILNS1_17partition_subalgoE8ElNS0_10empty_typeEbEEZZNS1_14partition_implILS5_8ELb0ES3_jPlPS6_PKS6_NS0_5tupleIJS9_S6_EEENSD_IJSA_SA_EEENS0_18inequality_wrapperIZN2at6native12_GLOBAL__N_124unique_dim_cuda_templateIjEESt5tupleIJNSH_6TensorESM_SM_EERKSM_lbbbEUlllE0_EEPmJS6_EEE10hipError_tPvRmT3_T4_T5_T6_T7_T9_mT8_P12ihipStream_tbDpT10_ENKUlT_T0_E_clISt17integral_constantIbLb1EES1C_EEDaS17_S18_EUlS17_E_NS1_11comp_targetILNS1_3genE10ELNS1_11target_archE1200ELNS1_3gpuE4ELNS1_3repE0EEENS1_30default_config_static_selectorELNS0_4arch9wavefront6targetE1EEEvT1_,comdat
.Lfunc_end1564:
	.size	_ZN7rocprim17ROCPRIM_400000_NS6detail17trampoline_kernelINS0_14default_configENS1_25partition_config_selectorILNS1_17partition_subalgoE8ElNS0_10empty_typeEbEEZZNS1_14partition_implILS5_8ELb0ES3_jPlPS6_PKS6_NS0_5tupleIJS9_S6_EEENSD_IJSA_SA_EEENS0_18inequality_wrapperIZN2at6native12_GLOBAL__N_124unique_dim_cuda_templateIjEESt5tupleIJNSH_6TensorESM_SM_EERKSM_lbbbEUlllE0_EEPmJS6_EEE10hipError_tPvRmT3_T4_T5_T6_T7_T9_mT8_P12ihipStream_tbDpT10_ENKUlT_T0_E_clISt17integral_constantIbLb1EES1C_EEDaS17_S18_EUlS17_E_NS1_11comp_targetILNS1_3genE10ELNS1_11target_archE1200ELNS1_3gpuE4ELNS1_3repE0EEENS1_30default_config_static_selectorELNS0_4arch9wavefront6targetE1EEEvT1_, .Lfunc_end1564-_ZN7rocprim17ROCPRIM_400000_NS6detail17trampoline_kernelINS0_14default_configENS1_25partition_config_selectorILNS1_17partition_subalgoE8ElNS0_10empty_typeEbEEZZNS1_14partition_implILS5_8ELb0ES3_jPlPS6_PKS6_NS0_5tupleIJS9_S6_EEENSD_IJSA_SA_EEENS0_18inequality_wrapperIZN2at6native12_GLOBAL__N_124unique_dim_cuda_templateIjEESt5tupleIJNSH_6TensorESM_SM_EERKSM_lbbbEUlllE0_EEPmJS6_EEE10hipError_tPvRmT3_T4_T5_T6_T7_T9_mT8_P12ihipStream_tbDpT10_ENKUlT_T0_E_clISt17integral_constantIbLb1EES1C_EEDaS17_S18_EUlS17_E_NS1_11comp_targetILNS1_3genE10ELNS1_11target_archE1200ELNS1_3gpuE4ELNS1_3repE0EEENS1_30default_config_static_selectorELNS0_4arch9wavefront6targetE1EEEvT1_
                                        ; -- End function
	.section	.AMDGPU.csdata,"",@progbits
; Kernel info:
; codeLenInByte = 0
; NumSgprs: 6
; NumVgprs: 0
; NumAgprs: 0
; TotalNumVgprs: 0
; ScratchSize: 0
; MemoryBound: 0
; FloatMode: 240
; IeeeMode: 1
; LDSByteSize: 0 bytes/workgroup (compile time only)
; SGPRBlocks: 0
; VGPRBlocks: 0
; NumSGPRsForWavesPerEU: 6
; NumVGPRsForWavesPerEU: 1
; AccumOffset: 4
; Occupancy: 8
; WaveLimiterHint : 0
; COMPUTE_PGM_RSRC2:SCRATCH_EN: 0
; COMPUTE_PGM_RSRC2:USER_SGPR: 2
; COMPUTE_PGM_RSRC2:TRAP_HANDLER: 0
; COMPUTE_PGM_RSRC2:TGID_X_EN: 1
; COMPUTE_PGM_RSRC2:TGID_Y_EN: 0
; COMPUTE_PGM_RSRC2:TGID_Z_EN: 0
; COMPUTE_PGM_RSRC2:TIDIG_COMP_CNT: 0
; COMPUTE_PGM_RSRC3_GFX90A:ACCUM_OFFSET: 0
; COMPUTE_PGM_RSRC3_GFX90A:TG_SPLIT: 0
	.section	.text._ZN7rocprim17ROCPRIM_400000_NS6detail17trampoline_kernelINS0_14default_configENS1_25partition_config_selectorILNS1_17partition_subalgoE8ElNS0_10empty_typeEbEEZZNS1_14partition_implILS5_8ELb0ES3_jPlPS6_PKS6_NS0_5tupleIJS9_S6_EEENSD_IJSA_SA_EEENS0_18inequality_wrapperIZN2at6native12_GLOBAL__N_124unique_dim_cuda_templateIjEESt5tupleIJNSH_6TensorESM_SM_EERKSM_lbbbEUlllE0_EEPmJS6_EEE10hipError_tPvRmT3_T4_T5_T6_T7_T9_mT8_P12ihipStream_tbDpT10_ENKUlT_T0_E_clISt17integral_constantIbLb1EES1C_EEDaS17_S18_EUlS17_E_NS1_11comp_targetILNS1_3genE9ELNS1_11target_archE1100ELNS1_3gpuE3ELNS1_3repE0EEENS1_30default_config_static_selectorELNS0_4arch9wavefront6targetE1EEEvT1_,"axG",@progbits,_ZN7rocprim17ROCPRIM_400000_NS6detail17trampoline_kernelINS0_14default_configENS1_25partition_config_selectorILNS1_17partition_subalgoE8ElNS0_10empty_typeEbEEZZNS1_14partition_implILS5_8ELb0ES3_jPlPS6_PKS6_NS0_5tupleIJS9_S6_EEENSD_IJSA_SA_EEENS0_18inequality_wrapperIZN2at6native12_GLOBAL__N_124unique_dim_cuda_templateIjEESt5tupleIJNSH_6TensorESM_SM_EERKSM_lbbbEUlllE0_EEPmJS6_EEE10hipError_tPvRmT3_T4_T5_T6_T7_T9_mT8_P12ihipStream_tbDpT10_ENKUlT_T0_E_clISt17integral_constantIbLb1EES1C_EEDaS17_S18_EUlS17_E_NS1_11comp_targetILNS1_3genE9ELNS1_11target_archE1100ELNS1_3gpuE3ELNS1_3repE0EEENS1_30default_config_static_selectorELNS0_4arch9wavefront6targetE1EEEvT1_,comdat
	.globl	_ZN7rocprim17ROCPRIM_400000_NS6detail17trampoline_kernelINS0_14default_configENS1_25partition_config_selectorILNS1_17partition_subalgoE8ElNS0_10empty_typeEbEEZZNS1_14partition_implILS5_8ELb0ES3_jPlPS6_PKS6_NS0_5tupleIJS9_S6_EEENSD_IJSA_SA_EEENS0_18inequality_wrapperIZN2at6native12_GLOBAL__N_124unique_dim_cuda_templateIjEESt5tupleIJNSH_6TensorESM_SM_EERKSM_lbbbEUlllE0_EEPmJS6_EEE10hipError_tPvRmT3_T4_T5_T6_T7_T9_mT8_P12ihipStream_tbDpT10_ENKUlT_T0_E_clISt17integral_constantIbLb1EES1C_EEDaS17_S18_EUlS17_E_NS1_11comp_targetILNS1_3genE9ELNS1_11target_archE1100ELNS1_3gpuE3ELNS1_3repE0EEENS1_30default_config_static_selectorELNS0_4arch9wavefront6targetE1EEEvT1_ ; -- Begin function _ZN7rocprim17ROCPRIM_400000_NS6detail17trampoline_kernelINS0_14default_configENS1_25partition_config_selectorILNS1_17partition_subalgoE8ElNS0_10empty_typeEbEEZZNS1_14partition_implILS5_8ELb0ES3_jPlPS6_PKS6_NS0_5tupleIJS9_S6_EEENSD_IJSA_SA_EEENS0_18inequality_wrapperIZN2at6native12_GLOBAL__N_124unique_dim_cuda_templateIjEESt5tupleIJNSH_6TensorESM_SM_EERKSM_lbbbEUlllE0_EEPmJS6_EEE10hipError_tPvRmT3_T4_T5_T6_T7_T9_mT8_P12ihipStream_tbDpT10_ENKUlT_T0_E_clISt17integral_constantIbLb1EES1C_EEDaS17_S18_EUlS17_E_NS1_11comp_targetILNS1_3genE9ELNS1_11target_archE1100ELNS1_3gpuE3ELNS1_3repE0EEENS1_30default_config_static_selectorELNS0_4arch9wavefront6targetE1EEEvT1_
	.p2align	8
	.type	_ZN7rocprim17ROCPRIM_400000_NS6detail17trampoline_kernelINS0_14default_configENS1_25partition_config_selectorILNS1_17partition_subalgoE8ElNS0_10empty_typeEbEEZZNS1_14partition_implILS5_8ELb0ES3_jPlPS6_PKS6_NS0_5tupleIJS9_S6_EEENSD_IJSA_SA_EEENS0_18inequality_wrapperIZN2at6native12_GLOBAL__N_124unique_dim_cuda_templateIjEESt5tupleIJNSH_6TensorESM_SM_EERKSM_lbbbEUlllE0_EEPmJS6_EEE10hipError_tPvRmT3_T4_T5_T6_T7_T9_mT8_P12ihipStream_tbDpT10_ENKUlT_T0_E_clISt17integral_constantIbLb1EES1C_EEDaS17_S18_EUlS17_E_NS1_11comp_targetILNS1_3genE9ELNS1_11target_archE1100ELNS1_3gpuE3ELNS1_3repE0EEENS1_30default_config_static_selectorELNS0_4arch9wavefront6targetE1EEEvT1_,@function
_ZN7rocprim17ROCPRIM_400000_NS6detail17trampoline_kernelINS0_14default_configENS1_25partition_config_selectorILNS1_17partition_subalgoE8ElNS0_10empty_typeEbEEZZNS1_14partition_implILS5_8ELb0ES3_jPlPS6_PKS6_NS0_5tupleIJS9_S6_EEENSD_IJSA_SA_EEENS0_18inequality_wrapperIZN2at6native12_GLOBAL__N_124unique_dim_cuda_templateIjEESt5tupleIJNSH_6TensorESM_SM_EERKSM_lbbbEUlllE0_EEPmJS6_EEE10hipError_tPvRmT3_T4_T5_T6_T7_T9_mT8_P12ihipStream_tbDpT10_ENKUlT_T0_E_clISt17integral_constantIbLb1EES1C_EEDaS17_S18_EUlS17_E_NS1_11comp_targetILNS1_3genE9ELNS1_11target_archE1100ELNS1_3gpuE3ELNS1_3repE0EEENS1_30default_config_static_selectorELNS0_4arch9wavefront6targetE1EEEvT1_: ; @_ZN7rocprim17ROCPRIM_400000_NS6detail17trampoline_kernelINS0_14default_configENS1_25partition_config_selectorILNS1_17partition_subalgoE8ElNS0_10empty_typeEbEEZZNS1_14partition_implILS5_8ELb0ES3_jPlPS6_PKS6_NS0_5tupleIJS9_S6_EEENSD_IJSA_SA_EEENS0_18inequality_wrapperIZN2at6native12_GLOBAL__N_124unique_dim_cuda_templateIjEESt5tupleIJNSH_6TensorESM_SM_EERKSM_lbbbEUlllE0_EEPmJS6_EEE10hipError_tPvRmT3_T4_T5_T6_T7_T9_mT8_P12ihipStream_tbDpT10_ENKUlT_T0_E_clISt17integral_constantIbLb1EES1C_EEDaS17_S18_EUlS17_E_NS1_11comp_targetILNS1_3genE9ELNS1_11target_archE1100ELNS1_3gpuE3ELNS1_3repE0EEENS1_30default_config_static_selectorELNS0_4arch9wavefront6targetE1EEEvT1_
; %bb.0:
	.section	.rodata,"a",@progbits
	.p2align	6, 0x0
	.amdhsa_kernel _ZN7rocprim17ROCPRIM_400000_NS6detail17trampoline_kernelINS0_14default_configENS1_25partition_config_selectorILNS1_17partition_subalgoE8ElNS0_10empty_typeEbEEZZNS1_14partition_implILS5_8ELb0ES3_jPlPS6_PKS6_NS0_5tupleIJS9_S6_EEENSD_IJSA_SA_EEENS0_18inequality_wrapperIZN2at6native12_GLOBAL__N_124unique_dim_cuda_templateIjEESt5tupleIJNSH_6TensorESM_SM_EERKSM_lbbbEUlllE0_EEPmJS6_EEE10hipError_tPvRmT3_T4_T5_T6_T7_T9_mT8_P12ihipStream_tbDpT10_ENKUlT_T0_E_clISt17integral_constantIbLb1EES1C_EEDaS17_S18_EUlS17_E_NS1_11comp_targetILNS1_3genE9ELNS1_11target_archE1100ELNS1_3gpuE3ELNS1_3repE0EEENS1_30default_config_static_selectorELNS0_4arch9wavefront6targetE1EEEvT1_
		.amdhsa_group_segment_fixed_size 0
		.amdhsa_private_segment_fixed_size 0
		.amdhsa_kernarg_size 136
		.amdhsa_user_sgpr_count 2
		.amdhsa_user_sgpr_dispatch_ptr 0
		.amdhsa_user_sgpr_queue_ptr 0
		.amdhsa_user_sgpr_kernarg_segment_ptr 1
		.amdhsa_user_sgpr_dispatch_id 0
		.amdhsa_user_sgpr_kernarg_preload_length 0
		.amdhsa_user_sgpr_kernarg_preload_offset 0
		.amdhsa_user_sgpr_private_segment_size 0
		.amdhsa_uses_dynamic_stack 0
		.amdhsa_enable_private_segment 0
		.amdhsa_system_sgpr_workgroup_id_x 1
		.amdhsa_system_sgpr_workgroup_id_y 0
		.amdhsa_system_sgpr_workgroup_id_z 0
		.amdhsa_system_sgpr_workgroup_info 0
		.amdhsa_system_vgpr_workitem_id 0
		.amdhsa_next_free_vgpr 1
		.amdhsa_next_free_sgpr 0
		.amdhsa_accum_offset 4
		.amdhsa_reserve_vcc 0
		.amdhsa_float_round_mode_32 0
		.amdhsa_float_round_mode_16_64 0
		.amdhsa_float_denorm_mode_32 3
		.amdhsa_float_denorm_mode_16_64 3
		.amdhsa_dx10_clamp 1
		.amdhsa_ieee_mode 1
		.amdhsa_fp16_overflow 0
		.amdhsa_tg_split 0
		.amdhsa_exception_fp_ieee_invalid_op 0
		.amdhsa_exception_fp_denorm_src 0
		.amdhsa_exception_fp_ieee_div_zero 0
		.amdhsa_exception_fp_ieee_overflow 0
		.amdhsa_exception_fp_ieee_underflow 0
		.amdhsa_exception_fp_ieee_inexact 0
		.amdhsa_exception_int_div_zero 0
	.end_amdhsa_kernel
	.section	.text._ZN7rocprim17ROCPRIM_400000_NS6detail17trampoline_kernelINS0_14default_configENS1_25partition_config_selectorILNS1_17partition_subalgoE8ElNS0_10empty_typeEbEEZZNS1_14partition_implILS5_8ELb0ES3_jPlPS6_PKS6_NS0_5tupleIJS9_S6_EEENSD_IJSA_SA_EEENS0_18inequality_wrapperIZN2at6native12_GLOBAL__N_124unique_dim_cuda_templateIjEESt5tupleIJNSH_6TensorESM_SM_EERKSM_lbbbEUlllE0_EEPmJS6_EEE10hipError_tPvRmT3_T4_T5_T6_T7_T9_mT8_P12ihipStream_tbDpT10_ENKUlT_T0_E_clISt17integral_constantIbLb1EES1C_EEDaS17_S18_EUlS17_E_NS1_11comp_targetILNS1_3genE9ELNS1_11target_archE1100ELNS1_3gpuE3ELNS1_3repE0EEENS1_30default_config_static_selectorELNS0_4arch9wavefront6targetE1EEEvT1_,"axG",@progbits,_ZN7rocprim17ROCPRIM_400000_NS6detail17trampoline_kernelINS0_14default_configENS1_25partition_config_selectorILNS1_17partition_subalgoE8ElNS0_10empty_typeEbEEZZNS1_14partition_implILS5_8ELb0ES3_jPlPS6_PKS6_NS0_5tupleIJS9_S6_EEENSD_IJSA_SA_EEENS0_18inequality_wrapperIZN2at6native12_GLOBAL__N_124unique_dim_cuda_templateIjEESt5tupleIJNSH_6TensorESM_SM_EERKSM_lbbbEUlllE0_EEPmJS6_EEE10hipError_tPvRmT3_T4_T5_T6_T7_T9_mT8_P12ihipStream_tbDpT10_ENKUlT_T0_E_clISt17integral_constantIbLb1EES1C_EEDaS17_S18_EUlS17_E_NS1_11comp_targetILNS1_3genE9ELNS1_11target_archE1100ELNS1_3gpuE3ELNS1_3repE0EEENS1_30default_config_static_selectorELNS0_4arch9wavefront6targetE1EEEvT1_,comdat
.Lfunc_end1565:
	.size	_ZN7rocprim17ROCPRIM_400000_NS6detail17trampoline_kernelINS0_14default_configENS1_25partition_config_selectorILNS1_17partition_subalgoE8ElNS0_10empty_typeEbEEZZNS1_14partition_implILS5_8ELb0ES3_jPlPS6_PKS6_NS0_5tupleIJS9_S6_EEENSD_IJSA_SA_EEENS0_18inequality_wrapperIZN2at6native12_GLOBAL__N_124unique_dim_cuda_templateIjEESt5tupleIJNSH_6TensorESM_SM_EERKSM_lbbbEUlllE0_EEPmJS6_EEE10hipError_tPvRmT3_T4_T5_T6_T7_T9_mT8_P12ihipStream_tbDpT10_ENKUlT_T0_E_clISt17integral_constantIbLb1EES1C_EEDaS17_S18_EUlS17_E_NS1_11comp_targetILNS1_3genE9ELNS1_11target_archE1100ELNS1_3gpuE3ELNS1_3repE0EEENS1_30default_config_static_selectorELNS0_4arch9wavefront6targetE1EEEvT1_, .Lfunc_end1565-_ZN7rocprim17ROCPRIM_400000_NS6detail17trampoline_kernelINS0_14default_configENS1_25partition_config_selectorILNS1_17partition_subalgoE8ElNS0_10empty_typeEbEEZZNS1_14partition_implILS5_8ELb0ES3_jPlPS6_PKS6_NS0_5tupleIJS9_S6_EEENSD_IJSA_SA_EEENS0_18inequality_wrapperIZN2at6native12_GLOBAL__N_124unique_dim_cuda_templateIjEESt5tupleIJNSH_6TensorESM_SM_EERKSM_lbbbEUlllE0_EEPmJS6_EEE10hipError_tPvRmT3_T4_T5_T6_T7_T9_mT8_P12ihipStream_tbDpT10_ENKUlT_T0_E_clISt17integral_constantIbLb1EES1C_EEDaS17_S18_EUlS17_E_NS1_11comp_targetILNS1_3genE9ELNS1_11target_archE1100ELNS1_3gpuE3ELNS1_3repE0EEENS1_30default_config_static_selectorELNS0_4arch9wavefront6targetE1EEEvT1_
                                        ; -- End function
	.section	.AMDGPU.csdata,"",@progbits
; Kernel info:
; codeLenInByte = 0
; NumSgprs: 6
; NumVgprs: 0
; NumAgprs: 0
; TotalNumVgprs: 0
; ScratchSize: 0
; MemoryBound: 0
; FloatMode: 240
; IeeeMode: 1
; LDSByteSize: 0 bytes/workgroup (compile time only)
; SGPRBlocks: 0
; VGPRBlocks: 0
; NumSGPRsForWavesPerEU: 6
; NumVGPRsForWavesPerEU: 1
; AccumOffset: 4
; Occupancy: 8
; WaveLimiterHint : 0
; COMPUTE_PGM_RSRC2:SCRATCH_EN: 0
; COMPUTE_PGM_RSRC2:USER_SGPR: 2
; COMPUTE_PGM_RSRC2:TRAP_HANDLER: 0
; COMPUTE_PGM_RSRC2:TGID_X_EN: 1
; COMPUTE_PGM_RSRC2:TGID_Y_EN: 0
; COMPUTE_PGM_RSRC2:TGID_Z_EN: 0
; COMPUTE_PGM_RSRC2:TIDIG_COMP_CNT: 0
; COMPUTE_PGM_RSRC3_GFX90A:ACCUM_OFFSET: 0
; COMPUTE_PGM_RSRC3_GFX90A:TG_SPLIT: 0
	.section	.text._ZN7rocprim17ROCPRIM_400000_NS6detail17trampoline_kernelINS0_14default_configENS1_25partition_config_selectorILNS1_17partition_subalgoE8ElNS0_10empty_typeEbEEZZNS1_14partition_implILS5_8ELb0ES3_jPlPS6_PKS6_NS0_5tupleIJS9_S6_EEENSD_IJSA_SA_EEENS0_18inequality_wrapperIZN2at6native12_GLOBAL__N_124unique_dim_cuda_templateIjEESt5tupleIJNSH_6TensorESM_SM_EERKSM_lbbbEUlllE0_EEPmJS6_EEE10hipError_tPvRmT3_T4_T5_T6_T7_T9_mT8_P12ihipStream_tbDpT10_ENKUlT_T0_E_clISt17integral_constantIbLb1EES1C_EEDaS17_S18_EUlS17_E_NS1_11comp_targetILNS1_3genE8ELNS1_11target_archE1030ELNS1_3gpuE2ELNS1_3repE0EEENS1_30default_config_static_selectorELNS0_4arch9wavefront6targetE1EEEvT1_,"axG",@progbits,_ZN7rocprim17ROCPRIM_400000_NS6detail17trampoline_kernelINS0_14default_configENS1_25partition_config_selectorILNS1_17partition_subalgoE8ElNS0_10empty_typeEbEEZZNS1_14partition_implILS5_8ELb0ES3_jPlPS6_PKS6_NS0_5tupleIJS9_S6_EEENSD_IJSA_SA_EEENS0_18inequality_wrapperIZN2at6native12_GLOBAL__N_124unique_dim_cuda_templateIjEESt5tupleIJNSH_6TensorESM_SM_EERKSM_lbbbEUlllE0_EEPmJS6_EEE10hipError_tPvRmT3_T4_T5_T6_T7_T9_mT8_P12ihipStream_tbDpT10_ENKUlT_T0_E_clISt17integral_constantIbLb1EES1C_EEDaS17_S18_EUlS17_E_NS1_11comp_targetILNS1_3genE8ELNS1_11target_archE1030ELNS1_3gpuE2ELNS1_3repE0EEENS1_30default_config_static_selectorELNS0_4arch9wavefront6targetE1EEEvT1_,comdat
	.globl	_ZN7rocprim17ROCPRIM_400000_NS6detail17trampoline_kernelINS0_14default_configENS1_25partition_config_selectorILNS1_17partition_subalgoE8ElNS0_10empty_typeEbEEZZNS1_14partition_implILS5_8ELb0ES3_jPlPS6_PKS6_NS0_5tupleIJS9_S6_EEENSD_IJSA_SA_EEENS0_18inequality_wrapperIZN2at6native12_GLOBAL__N_124unique_dim_cuda_templateIjEESt5tupleIJNSH_6TensorESM_SM_EERKSM_lbbbEUlllE0_EEPmJS6_EEE10hipError_tPvRmT3_T4_T5_T6_T7_T9_mT8_P12ihipStream_tbDpT10_ENKUlT_T0_E_clISt17integral_constantIbLb1EES1C_EEDaS17_S18_EUlS17_E_NS1_11comp_targetILNS1_3genE8ELNS1_11target_archE1030ELNS1_3gpuE2ELNS1_3repE0EEENS1_30default_config_static_selectorELNS0_4arch9wavefront6targetE1EEEvT1_ ; -- Begin function _ZN7rocprim17ROCPRIM_400000_NS6detail17trampoline_kernelINS0_14default_configENS1_25partition_config_selectorILNS1_17partition_subalgoE8ElNS0_10empty_typeEbEEZZNS1_14partition_implILS5_8ELb0ES3_jPlPS6_PKS6_NS0_5tupleIJS9_S6_EEENSD_IJSA_SA_EEENS0_18inequality_wrapperIZN2at6native12_GLOBAL__N_124unique_dim_cuda_templateIjEESt5tupleIJNSH_6TensorESM_SM_EERKSM_lbbbEUlllE0_EEPmJS6_EEE10hipError_tPvRmT3_T4_T5_T6_T7_T9_mT8_P12ihipStream_tbDpT10_ENKUlT_T0_E_clISt17integral_constantIbLb1EES1C_EEDaS17_S18_EUlS17_E_NS1_11comp_targetILNS1_3genE8ELNS1_11target_archE1030ELNS1_3gpuE2ELNS1_3repE0EEENS1_30default_config_static_selectorELNS0_4arch9wavefront6targetE1EEEvT1_
	.p2align	8
	.type	_ZN7rocprim17ROCPRIM_400000_NS6detail17trampoline_kernelINS0_14default_configENS1_25partition_config_selectorILNS1_17partition_subalgoE8ElNS0_10empty_typeEbEEZZNS1_14partition_implILS5_8ELb0ES3_jPlPS6_PKS6_NS0_5tupleIJS9_S6_EEENSD_IJSA_SA_EEENS0_18inequality_wrapperIZN2at6native12_GLOBAL__N_124unique_dim_cuda_templateIjEESt5tupleIJNSH_6TensorESM_SM_EERKSM_lbbbEUlllE0_EEPmJS6_EEE10hipError_tPvRmT3_T4_T5_T6_T7_T9_mT8_P12ihipStream_tbDpT10_ENKUlT_T0_E_clISt17integral_constantIbLb1EES1C_EEDaS17_S18_EUlS17_E_NS1_11comp_targetILNS1_3genE8ELNS1_11target_archE1030ELNS1_3gpuE2ELNS1_3repE0EEENS1_30default_config_static_selectorELNS0_4arch9wavefront6targetE1EEEvT1_,@function
_ZN7rocprim17ROCPRIM_400000_NS6detail17trampoline_kernelINS0_14default_configENS1_25partition_config_selectorILNS1_17partition_subalgoE8ElNS0_10empty_typeEbEEZZNS1_14partition_implILS5_8ELb0ES3_jPlPS6_PKS6_NS0_5tupleIJS9_S6_EEENSD_IJSA_SA_EEENS0_18inequality_wrapperIZN2at6native12_GLOBAL__N_124unique_dim_cuda_templateIjEESt5tupleIJNSH_6TensorESM_SM_EERKSM_lbbbEUlllE0_EEPmJS6_EEE10hipError_tPvRmT3_T4_T5_T6_T7_T9_mT8_P12ihipStream_tbDpT10_ENKUlT_T0_E_clISt17integral_constantIbLb1EES1C_EEDaS17_S18_EUlS17_E_NS1_11comp_targetILNS1_3genE8ELNS1_11target_archE1030ELNS1_3gpuE2ELNS1_3repE0EEENS1_30default_config_static_selectorELNS0_4arch9wavefront6targetE1EEEvT1_: ; @_ZN7rocprim17ROCPRIM_400000_NS6detail17trampoline_kernelINS0_14default_configENS1_25partition_config_selectorILNS1_17partition_subalgoE8ElNS0_10empty_typeEbEEZZNS1_14partition_implILS5_8ELb0ES3_jPlPS6_PKS6_NS0_5tupleIJS9_S6_EEENSD_IJSA_SA_EEENS0_18inequality_wrapperIZN2at6native12_GLOBAL__N_124unique_dim_cuda_templateIjEESt5tupleIJNSH_6TensorESM_SM_EERKSM_lbbbEUlllE0_EEPmJS6_EEE10hipError_tPvRmT3_T4_T5_T6_T7_T9_mT8_P12ihipStream_tbDpT10_ENKUlT_T0_E_clISt17integral_constantIbLb1EES1C_EEDaS17_S18_EUlS17_E_NS1_11comp_targetILNS1_3genE8ELNS1_11target_archE1030ELNS1_3gpuE2ELNS1_3repE0EEENS1_30default_config_static_selectorELNS0_4arch9wavefront6targetE1EEEvT1_
; %bb.0:
	.section	.rodata,"a",@progbits
	.p2align	6, 0x0
	.amdhsa_kernel _ZN7rocprim17ROCPRIM_400000_NS6detail17trampoline_kernelINS0_14default_configENS1_25partition_config_selectorILNS1_17partition_subalgoE8ElNS0_10empty_typeEbEEZZNS1_14partition_implILS5_8ELb0ES3_jPlPS6_PKS6_NS0_5tupleIJS9_S6_EEENSD_IJSA_SA_EEENS0_18inequality_wrapperIZN2at6native12_GLOBAL__N_124unique_dim_cuda_templateIjEESt5tupleIJNSH_6TensorESM_SM_EERKSM_lbbbEUlllE0_EEPmJS6_EEE10hipError_tPvRmT3_T4_T5_T6_T7_T9_mT8_P12ihipStream_tbDpT10_ENKUlT_T0_E_clISt17integral_constantIbLb1EES1C_EEDaS17_S18_EUlS17_E_NS1_11comp_targetILNS1_3genE8ELNS1_11target_archE1030ELNS1_3gpuE2ELNS1_3repE0EEENS1_30default_config_static_selectorELNS0_4arch9wavefront6targetE1EEEvT1_
		.amdhsa_group_segment_fixed_size 0
		.amdhsa_private_segment_fixed_size 0
		.amdhsa_kernarg_size 136
		.amdhsa_user_sgpr_count 2
		.amdhsa_user_sgpr_dispatch_ptr 0
		.amdhsa_user_sgpr_queue_ptr 0
		.amdhsa_user_sgpr_kernarg_segment_ptr 1
		.amdhsa_user_sgpr_dispatch_id 0
		.amdhsa_user_sgpr_kernarg_preload_length 0
		.amdhsa_user_sgpr_kernarg_preload_offset 0
		.amdhsa_user_sgpr_private_segment_size 0
		.amdhsa_uses_dynamic_stack 0
		.amdhsa_enable_private_segment 0
		.amdhsa_system_sgpr_workgroup_id_x 1
		.amdhsa_system_sgpr_workgroup_id_y 0
		.amdhsa_system_sgpr_workgroup_id_z 0
		.amdhsa_system_sgpr_workgroup_info 0
		.amdhsa_system_vgpr_workitem_id 0
		.amdhsa_next_free_vgpr 1
		.amdhsa_next_free_sgpr 0
		.amdhsa_accum_offset 4
		.amdhsa_reserve_vcc 0
		.amdhsa_float_round_mode_32 0
		.amdhsa_float_round_mode_16_64 0
		.amdhsa_float_denorm_mode_32 3
		.amdhsa_float_denorm_mode_16_64 3
		.amdhsa_dx10_clamp 1
		.amdhsa_ieee_mode 1
		.amdhsa_fp16_overflow 0
		.amdhsa_tg_split 0
		.amdhsa_exception_fp_ieee_invalid_op 0
		.amdhsa_exception_fp_denorm_src 0
		.amdhsa_exception_fp_ieee_div_zero 0
		.amdhsa_exception_fp_ieee_overflow 0
		.amdhsa_exception_fp_ieee_underflow 0
		.amdhsa_exception_fp_ieee_inexact 0
		.amdhsa_exception_int_div_zero 0
	.end_amdhsa_kernel
	.section	.text._ZN7rocprim17ROCPRIM_400000_NS6detail17trampoline_kernelINS0_14default_configENS1_25partition_config_selectorILNS1_17partition_subalgoE8ElNS0_10empty_typeEbEEZZNS1_14partition_implILS5_8ELb0ES3_jPlPS6_PKS6_NS0_5tupleIJS9_S6_EEENSD_IJSA_SA_EEENS0_18inequality_wrapperIZN2at6native12_GLOBAL__N_124unique_dim_cuda_templateIjEESt5tupleIJNSH_6TensorESM_SM_EERKSM_lbbbEUlllE0_EEPmJS6_EEE10hipError_tPvRmT3_T4_T5_T6_T7_T9_mT8_P12ihipStream_tbDpT10_ENKUlT_T0_E_clISt17integral_constantIbLb1EES1C_EEDaS17_S18_EUlS17_E_NS1_11comp_targetILNS1_3genE8ELNS1_11target_archE1030ELNS1_3gpuE2ELNS1_3repE0EEENS1_30default_config_static_selectorELNS0_4arch9wavefront6targetE1EEEvT1_,"axG",@progbits,_ZN7rocprim17ROCPRIM_400000_NS6detail17trampoline_kernelINS0_14default_configENS1_25partition_config_selectorILNS1_17partition_subalgoE8ElNS0_10empty_typeEbEEZZNS1_14partition_implILS5_8ELb0ES3_jPlPS6_PKS6_NS0_5tupleIJS9_S6_EEENSD_IJSA_SA_EEENS0_18inequality_wrapperIZN2at6native12_GLOBAL__N_124unique_dim_cuda_templateIjEESt5tupleIJNSH_6TensorESM_SM_EERKSM_lbbbEUlllE0_EEPmJS6_EEE10hipError_tPvRmT3_T4_T5_T6_T7_T9_mT8_P12ihipStream_tbDpT10_ENKUlT_T0_E_clISt17integral_constantIbLb1EES1C_EEDaS17_S18_EUlS17_E_NS1_11comp_targetILNS1_3genE8ELNS1_11target_archE1030ELNS1_3gpuE2ELNS1_3repE0EEENS1_30default_config_static_selectorELNS0_4arch9wavefront6targetE1EEEvT1_,comdat
.Lfunc_end1566:
	.size	_ZN7rocprim17ROCPRIM_400000_NS6detail17trampoline_kernelINS0_14default_configENS1_25partition_config_selectorILNS1_17partition_subalgoE8ElNS0_10empty_typeEbEEZZNS1_14partition_implILS5_8ELb0ES3_jPlPS6_PKS6_NS0_5tupleIJS9_S6_EEENSD_IJSA_SA_EEENS0_18inequality_wrapperIZN2at6native12_GLOBAL__N_124unique_dim_cuda_templateIjEESt5tupleIJNSH_6TensorESM_SM_EERKSM_lbbbEUlllE0_EEPmJS6_EEE10hipError_tPvRmT3_T4_T5_T6_T7_T9_mT8_P12ihipStream_tbDpT10_ENKUlT_T0_E_clISt17integral_constantIbLb1EES1C_EEDaS17_S18_EUlS17_E_NS1_11comp_targetILNS1_3genE8ELNS1_11target_archE1030ELNS1_3gpuE2ELNS1_3repE0EEENS1_30default_config_static_selectorELNS0_4arch9wavefront6targetE1EEEvT1_, .Lfunc_end1566-_ZN7rocprim17ROCPRIM_400000_NS6detail17trampoline_kernelINS0_14default_configENS1_25partition_config_selectorILNS1_17partition_subalgoE8ElNS0_10empty_typeEbEEZZNS1_14partition_implILS5_8ELb0ES3_jPlPS6_PKS6_NS0_5tupleIJS9_S6_EEENSD_IJSA_SA_EEENS0_18inequality_wrapperIZN2at6native12_GLOBAL__N_124unique_dim_cuda_templateIjEESt5tupleIJNSH_6TensorESM_SM_EERKSM_lbbbEUlllE0_EEPmJS6_EEE10hipError_tPvRmT3_T4_T5_T6_T7_T9_mT8_P12ihipStream_tbDpT10_ENKUlT_T0_E_clISt17integral_constantIbLb1EES1C_EEDaS17_S18_EUlS17_E_NS1_11comp_targetILNS1_3genE8ELNS1_11target_archE1030ELNS1_3gpuE2ELNS1_3repE0EEENS1_30default_config_static_selectorELNS0_4arch9wavefront6targetE1EEEvT1_
                                        ; -- End function
	.section	.AMDGPU.csdata,"",@progbits
; Kernel info:
; codeLenInByte = 0
; NumSgprs: 6
; NumVgprs: 0
; NumAgprs: 0
; TotalNumVgprs: 0
; ScratchSize: 0
; MemoryBound: 0
; FloatMode: 240
; IeeeMode: 1
; LDSByteSize: 0 bytes/workgroup (compile time only)
; SGPRBlocks: 0
; VGPRBlocks: 0
; NumSGPRsForWavesPerEU: 6
; NumVGPRsForWavesPerEU: 1
; AccumOffset: 4
; Occupancy: 8
; WaveLimiterHint : 0
; COMPUTE_PGM_RSRC2:SCRATCH_EN: 0
; COMPUTE_PGM_RSRC2:USER_SGPR: 2
; COMPUTE_PGM_RSRC2:TRAP_HANDLER: 0
; COMPUTE_PGM_RSRC2:TGID_X_EN: 1
; COMPUTE_PGM_RSRC2:TGID_Y_EN: 0
; COMPUTE_PGM_RSRC2:TGID_Z_EN: 0
; COMPUTE_PGM_RSRC2:TIDIG_COMP_CNT: 0
; COMPUTE_PGM_RSRC3_GFX90A:ACCUM_OFFSET: 0
; COMPUTE_PGM_RSRC3_GFX90A:TG_SPLIT: 0
	.section	.text._ZN7rocprim17ROCPRIM_400000_NS6detail17trampoline_kernelINS0_14default_configENS1_25partition_config_selectorILNS1_17partition_subalgoE8ElNS0_10empty_typeEbEEZZNS1_14partition_implILS5_8ELb0ES3_jPlPS6_PKS6_NS0_5tupleIJS9_S6_EEENSD_IJSA_SA_EEENS0_18inequality_wrapperIZN2at6native12_GLOBAL__N_124unique_dim_cuda_templateIjEESt5tupleIJNSH_6TensorESM_SM_EERKSM_lbbbEUlllE0_EEPmJS6_EEE10hipError_tPvRmT3_T4_T5_T6_T7_T9_mT8_P12ihipStream_tbDpT10_ENKUlT_T0_E_clISt17integral_constantIbLb1EES1B_IbLb0EEEEDaS17_S18_EUlS17_E_NS1_11comp_targetILNS1_3genE0ELNS1_11target_archE4294967295ELNS1_3gpuE0ELNS1_3repE0EEENS1_30default_config_static_selectorELNS0_4arch9wavefront6targetE1EEEvT1_,"axG",@progbits,_ZN7rocprim17ROCPRIM_400000_NS6detail17trampoline_kernelINS0_14default_configENS1_25partition_config_selectorILNS1_17partition_subalgoE8ElNS0_10empty_typeEbEEZZNS1_14partition_implILS5_8ELb0ES3_jPlPS6_PKS6_NS0_5tupleIJS9_S6_EEENSD_IJSA_SA_EEENS0_18inequality_wrapperIZN2at6native12_GLOBAL__N_124unique_dim_cuda_templateIjEESt5tupleIJNSH_6TensorESM_SM_EERKSM_lbbbEUlllE0_EEPmJS6_EEE10hipError_tPvRmT3_T4_T5_T6_T7_T9_mT8_P12ihipStream_tbDpT10_ENKUlT_T0_E_clISt17integral_constantIbLb1EES1B_IbLb0EEEEDaS17_S18_EUlS17_E_NS1_11comp_targetILNS1_3genE0ELNS1_11target_archE4294967295ELNS1_3gpuE0ELNS1_3repE0EEENS1_30default_config_static_selectorELNS0_4arch9wavefront6targetE1EEEvT1_,comdat
	.globl	_ZN7rocprim17ROCPRIM_400000_NS6detail17trampoline_kernelINS0_14default_configENS1_25partition_config_selectorILNS1_17partition_subalgoE8ElNS0_10empty_typeEbEEZZNS1_14partition_implILS5_8ELb0ES3_jPlPS6_PKS6_NS0_5tupleIJS9_S6_EEENSD_IJSA_SA_EEENS0_18inequality_wrapperIZN2at6native12_GLOBAL__N_124unique_dim_cuda_templateIjEESt5tupleIJNSH_6TensorESM_SM_EERKSM_lbbbEUlllE0_EEPmJS6_EEE10hipError_tPvRmT3_T4_T5_T6_T7_T9_mT8_P12ihipStream_tbDpT10_ENKUlT_T0_E_clISt17integral_constantIbLb1EES1B_IbLb0EEEEDaS17_S18_EUlS17_E_NS1_11comp_targetILNS1_3genE0ELNS1_11target_archE4294967295ELNS1_3gpuE0ELNS1_3repE0EEENS1_30default_config_static_selectorELNS0_4arch9wavefront6targetE1EEEvT1_ ; -- Begin function _ZN7rocprim17ROCPRIM_400000_NS6detail17trampoline_kernelINS0_14default_configENS1_25partition_config_selectorILNS1_17partition_subalgoE8ElNS0_10empty_typeEbEEZZNS1_14partition_implILS5_8ELb0ES3_jPlPS6_PKS6_NS0_5tupleIJS9_S6_EEENSD_IJSA_SA_EEENS0_18inequality_wrapperIZN2at6native12_GLOBAL__N_124unique_dim_cuda_templateIjEESt5tupleIJNSH_6TensorESM_SM_EERKSM_lbbbEUlllE0_EEPmJS6_EEE10hipError_tPvRmT3_T4_T5_T6_T7_T9_mT8_P12ihipStream_tbDpT10_ENKUlT_T0_E_clISt17integral_constantIbLb1EES1B_IbLb0EEEEDaS17_S18_EUlS17_E_NS1_11comp_targetILNS1_3genE0ELNS1_11target_archE4294967295ELNS1_3gpuE0ELNS1_3repE0EEENS1_30default_config_static_selectorELNS0_4arch9wavefront6targetE1EEEvT1_
	.p2align	8
	.type	_ZN7rocprim17ROCPRIM_400000_NS6detail17trampoline_kernelINS0_14default_configENS1_25partition_config_selectorILNS1_17partition_subalgoE8ElNS0_10empty_typeEbEEZZNS1_14partition_implILS5_8ELb0ES3_jPlPS6_PKS6_NS0_5tupleIJS9_S6_EEENSD_IJSA_SA_EEENS0_18inequality_wrapperIZN2at6native12_GLOBAL__N_124unique_dim_cuda_templateIjEESt5tupleIJNSH_6TensorESM_SM_EERKSM_lbbbEUlllE0_EEPmJS6_EEE10hipError_tPvRmT3_T4_T5_T6_T7_T9_mT8_P12ihipStream_tbDpT10_ENKUlT_T0_E_clISt17integral_constantIbLb1EES1B_IbLb0EEEEDaS17_S18_EUlS17_E_NS1_11comp_targetILNS1_3genE0ELNS1_11target_archE4294967295ELNS1_3gpuE0ELNS1_3repE0EEENS1_30default_config_static_selectorELNS0_4arch9wavefront6targetE1EEEvT1_,@function
_ZN7rocprim17ROCPRIM_400000_NS6detail17trampoline_kernelINS0_14default_configENS1_25partition_config_selectorILNS1_17partition_subalgoE8ElNS0_10empty_typeEbEEZZNS1_14partition_implILS5_8ELb0ES3_jPlPS6_PKS6_NS0_5tupleIJS9_S6_EEENSD_IJSA_SA_EEENS0_18inequality_wrapperIZN2at6native12_GLOBAL__N_124unique_dim_cuda_templateIjEESt5tupleIJNSH_6TensorESM_SM_EERKSM_lbbbEUlllE0_EEPmJS6_EEE10hipError_tPvRmT3_T4_T5_T6_T7_T9_mT8_P12ihipStream_tbDpT10_ENKUlT_T0_E_clISt17integral_constantIbLb1EES1B_IbLb0EEEEDaS17_S18_EUlS17_E_NS1_11comp_targetILNS1_3genE0ELNS1_11target_archE4294967295ELNS1_3gpuE0ELNS1_3repE0EEENS1_30default_config_static_selectorELNS0_4arch9wavefront6targetE1EEEvT1_: ; @_ZN7rocprim17ROCPRIM_400000_NS6detail17trampoline_kernelINS0_14default_configENS1_25partition_config_selectorILNS1_17partition_subalgoE8ElNS0_10empty_typeEbEEZZNS1_14partition_implILS5_8ELb0ES3_jPlPS6_PKS6_NS0_5tupleIJS9_S6_EEENSD_IJSA_SA_EEENS0_18inequality_wrapperIZN2at6native12_GLOBAL__N_124unique_dim_cuda_templateIjEESt5tupleIJNSH_6TensorESM_SM_EERKSM_lbbbEUlllE0_EEPmJS6_EEE10hipError_tPvRmT3_T4_T5_T6_T7_T9_mT8_P12ihipStream_tbDpT10_ENKUlT_T0_E_clISt17integral_constantIbLb1EES1B_IbLb0EEEEDaS17_S18_EUlS17_E_NS1_11comp_targetILNS1_3genE0ELNS1_11target_archE4294967295ELNS1_3gpuE0ELNS1_3repE0EEENS1_30default_config_static_selectorELNS0_4arch9wavefront6targetE1EEEvT1_
; %bb.0:
	.section	.rodata,"a",@progbits
	.p2align	6, 0x0
	.amdhsa_kernel _ZN7rocprim17ROCPRIM_400000_NS6detail17trampoline_kernelINS0_14default_configENS1_25partition_config_selectorILNS1_17partition_subalgoE8ElNS0_10empty_typeEbEEZZNS1_14partition_implILS5_8ELb0ES3_jPlPS6_PKS6_NS0_5tupleIJS9_S6_EEENSD_IJSA_SA_EEENS0_18inequality_wrapperIZN2at6native12_GLOBAL__N_124unique_dim_cuda_templateIjEESt5tupleIJNSH_6TensorESM_SM_EERKSM_lbbbEUlllE0_EEPmJS6_EEE10hipError_tPvRmT3_T4_T5_T6_T7_T9_mT8_P12ihipStream_tbDpT10_ENKUlT_T0_E_clISt17integral_constantIbLb1EES1B_IbLb0EEEEDaS17_S18_EUlS17_E_NS1_11comp_targetILNS1_3genE0ELNS1_11target_archE4294967295ELNS1_3gpuE0ELNS1_3repE0EEENS1_30default_config_static_selectorELNS0_4arch9wavefront6targetE1EEEvT1_
		.amdhsa_group_segment_fixed_size 0
		.amdhsa_private_segment_fixed_size 0
		.amdhsa_kernarg_size 120
		.amdhsa_user_sgpr_count 2
		.amdhsa_user_sgpr_dispatch_ptr 0
		.amdhsa_user_sgpr_queue_ptr 0
		.amdhsa_user_sgpr_kernarg_segment_ptr 1
		.amdhsa_user_sgpr_dispatch_id 0
		.amdhsa_user_sgpr_kernarg_preload_length 0
		.amdhsa_user_sgpr_kernarg_preload_offset 0
		.amdhsa_user_sgpr_private_segment_size 0
		.amdhsa_uses_dynamic_stack 0
		.amdhsa_enable_private_segment 0
		.amdhsa_system_sgpr_workgroup_id_x 1
		.amdhsa_system_sgpr_workgroup_id_y 0
		.amdhsa_system_sgpr_workgroup_id_z 0
		.amdhsa_system_sgpr_workgroup_info 0
		.amdhsa_system_vgpr_workitem_id 0
		.amdhsa_next_free_vgpr 1
		.amdhsa_next_free_sgpr 0
		.amdhsa_accum_offset 4
		.amdhsa_reserve_vcc 0
		.amdhsa_float_round_mode_32 0
		.amdhsa_float_round_mode_16_64 0
		.amdhsa_float_denorm_mode_32 3
		.amdhsa_float_denorm_mode_16_64 3
		.amdhsa_dx10_clamp 1
		.amdhsa_ieee_mode 1
		.amdhsa_fp16_overflow 0
		.amdhsa_tg_split 0
		.amdhsa_exception_fp_ieee_invalid_op 0
		.amdhsa_exception_fp_denorm_src 0
		.amdhsa_exception_fp_ieee_div_zero 0
		.amdhsa_exception_fp_ieee_overflow 0
		.amdhsa_exception_fp_ieee_underflow 0
		.amdhsa_exception_fp_ieee_inexact 0
		.amdhsa_exception_int_div_zero 0
	.end_amdhsa_kernel
	.section	.text._ZN7rocprim17ROCPRIM_400000_NS6detail17trampoline_kernelINS0_14default_configENS1_25partition_config_selectorILNS1_17partition_subalgoE8ElNS0_10empty_typeEbEEZZNS1_14partition_implILS5_8ELb0ES3_jPlPS6_PKS6_NS0_5tupleIJS9_S6_EEENSD_IJSA_SA_EEENS0_18inequality_wrapperIZN2at6native12_GLOBAL__N_124unique_dim_cuda_templateIjEESt5tupleIJNSH_6TensorESM_SM_EERKSM_lbbbEUlllE0_EEPmJS6_EEE10hipError_tPvRmT3_T4_T5_T6_T7_T9_mT8_P12ihipStream_tbDpT10_ENKUlT_T0_E_clISt17integral_constantIbLb1EES1B_IbLb0EEEEDaS17_S18_EUlS17_E_NS1_11comp_targetILNS1_3genE0ELNS1_11target_archE4294967295ELNS1_3gpuE0ELNS1_3repE0EEENS1_30default_config_static_selectorELNS0_4arch9wavefront6targetE1EEEvT1_,"axG",@progbits,_ZN7rocprim17ROCPRIM_400000_NS6detail17trampoline_kernelINS0_14default_configENS1_25partition_config_selectorILNS1_17partition_subalgoE8ElNS0_10empty_typeEbEEZZNS1_14partition_implILS5_8ELb0ES3_jPlPS6_PKS6_NS0_5tupleIJS9_S6_EEENSD_IJSA_SA_EEENS0_18inequality_wrapperIZN2at6native12_GLOBAL__N_124unique_dim_cuda_templateIjEESt5tupleIJNSH_6TensorESM_SM_EERKSM_lbbbEUlllE0_EEPmJS6_EEE10hipError_tPvRmT3_T4_T5_T6_T7_T9_mT8_P12ihipStream_tbDpT10_ENKUlT_T0_E_clISt17integral_constantIbLb1EES1B_IbLb0EEEEDaS17_S18_EUlS17_E_NS1_11comp_targetILNS1_3genE0ELNS1_11target_archE4294967295ELNS1_3gpuE0ELNS1_3repE0EEENS1_30default_config_static_selectorELNS0_4arch9wavefront6targetE1EEEvT1_,comdat
.Lfunc_end1567:
	.size	_ZN7rocprim17ROCPRIM_400000_NS6detail17trampoline_kernelINS0_14default_configENS1_25partition_config_selectorILNS1_17partition_subalgoE8ElNS0_10empty_typeEbEEZZNS1_14partition_implILS5_8ELb0ES3_jPlPS6_PKS6_NS0_5tupleIJS9_S6_EEENSD_IJSA_SA_EEENS0_18inequality_wrapperIZN2at6native12_GLOBAL__N_124unique_dim_cuda_templateIjEESt5tupleIJNSH_6TensorESM_SM_EERKSM_lbbbEUlllE0_EEPmJS6_EEE10hipError_tPvRmT3_T4_T5_T6_T7_T9_mT8_P12ihipStream_tbDpT10_ENKUlT_T0_E_clISt17integral_constantIbLb1EES1B_IbLb0EEEEDaS17_S18_EUlS17_E_NS1_11comp_targetILNS1_3genE0ELNS1_11target_archE4294967295ELNS1_3gpuE0ELNS1_3repE0EEENS1_30default_config_static_selectorELNS0_4arch9wavefront6targetE1EEEvT1_, .Lfunc_end1567-_ZN7rocprim17ROCPRIM_400000_NS6detail17trampoline_kernelINS0_14default_configENS1_25partition_config_selectorILNS1_17partition_subalgoE8ElNS0_10empty_typeEbEEZZNS1_14partition_implILS5_8ELb0ES3_jPlPS6_PKS6_NS0_5tupleIJS9_S6_EEENSD_IJSA_SA_EEENS0_18inequality_wrapperIZN2at6native12_GLOBAL__N_124unique_dim_cuda_templateIjEESt5tupleIJNSH_6TensorESM_SM_EERKSM_lbbbEUlllE0_EEPmJS6_EEE10hipError_tPvRmT3_T4_T5_T6_T7_T9_mT8_P12ihipStream_tbDpT10_ENKUlT_T0_E_clISt17integral_constantIbLb1EES1B_IbLb0EEEEDaS17_S18_EUlS17_E_NS1_11comp_targetILNS1_3genE0ELNS1_11target_archE4294967295ELNS1_3gpuE0ELNS1_3repE0EEENS1_30default_config_static_selectorELNS0_4arch9wavefront6targetE1EEEvT1_
                                        ; -- End function
	.section	.AMDGPU.csdata,"",@progbits
; Kernel info:
; codeLenInByte = 0
; NumSgprs: 6
; NumVgprs: 0
; NumAgprs: 0
; TotalNumVgprs: 0
; ScratchSize: 0
; MemoryBound: 0
; FloatMode: 240
; IeeeMode: 1
; LDSByteSize: 0 bytes/workgroup (compile time only)
; SGPRBlocks: 0
; VGPRBlocks: 0
; NumSGPRsForWavesPerEU: 6
; NumVGPRsForWavesPerEU: 1
; AccumOffset: 4
; Occupancy: 8
; WaveLimiterHint : 0
; COMPUTE_PGM_RSRC2:SCRATCH_EN: 0
; COMPUTE_PGM_RSRC2:USER_SGPR: 2
; COMPUTE_PGM_RSRC2:TRAP_HANDLER: 0
; COMPUTE_PGM_RSRC2:TGID_X_EN: 1
; COMPUTE_PGM_RSRC2:TGID_Y_EN: 0
; COMPUTE_PGM_RSRC2:TGID_Z_EN: 0
; COMPUTE_PGM_RSRC2:TIDIG_COMP_CNT: 0
; COMPUTE_PGM_RSRC3_GFX90A:ACCUM_OFFSET: 0
; COMPUTE_PGM_RSRC3_GFX90A:TG_SPLIT: 0
	.section	.text._ZN7rocprim17ROCPRIM_400000_NS6detail17trampoline_kernelINS0_14default_configENS1_25partition_config_selectorILNS1_17partition_subalgoE8ElNS0_10empty_typeEbEEZZNS1_14partition_implILS5_8ELb0ES3_jPlPS6_PKS6_NS0_5tupleIJS9_S6_EEENSD_IJSA_SA_EEENS0_18inequality_wrapperIZN2at6native12_GLOBAL__N_124unique_dim_cuda_templateIjEESt5tupleIJNSH_6TensorESM_SM_EERKSM_lbbbEUlllE0_EEPmJS6_EEE10hipError_tPvRmT3_T4_T5_T6_T7_T9_mT8_P12ihipStream_tbDpT10_ENKUlT_T0_E_clISt17integral_constantIbLb1EES1B_IbLb0EEEEDaS17_S18_EUlS17_E_NS1_11comp_targetILNS1_3genE5ELNS1_11target_archE942ELNS1_3gpuE9ELNS1_3repE0EEENS1_30default_config_static_selectorELNS0_4arch9wavefront6targetE1EEEvT1_,"axG",@progbits,_ZN7rocprim17ROCPRIM_400000_NS6detail17trampoline_kernelINS0_14default_configENS1_25partition_config_selectorILNS1_17partition_subalgoE8ElNS0_10empty_typeEbEEZZNS1_14partition_implILS5_8ELb0ES3_jPlPS6_PKS6_NS0_5tupleIJS9_S6_EEENSD_IJSA_SA_EEENS0_18inequality_wrapperIZN2at6native12_GLOBAL__N_124unique_dim_cuda_templateIjEESt5tupleIJNSH_6TensorESM_SM_EERKSM_lbbbEUlllE0_EEPmJS6_EEE10hipError_tPvRmT3_T4_T5_T6_T7_T9_mT8_P12ihipStream_tbDpT10_ENKUlT_T0_E_clISt17integral_constantIbLb1EES1B_IbLb0EEEEDaS17_S18_EUlS17_E_NS1_11comp_targetILNS1_3genE5ELNS1_11target_archE942ELNS1_3gpuE9ELNS1_3repE0EEENS1_30default_config_static_selectorELNS0_4arch9wavefront6targetE1EEEvT1_,comdat
	.globl	_ZN7rocprim17ROCPRIM_400000_NS6detail17trampoline_kernelINS0_14default_configENS1_25partition_config_selectorILNS1_17partition_subalgoE8ElNS0_10empty_typeEbEEZZNS1_14partition_implILS5_8ELb0ES3_jPlPS6_PKS6_NS0_5tupleIJS9_S6_EEENSD_IJSA_SA_EEENS0_18inequality_wrapperIZN2at6native12_GLOBAL__N_124unique_dim_cuda_templateIjEESt5tupleIJNSH_6TensorESM_SM_EERKSM_lbbbEUlllE0_EEPmJS6_EEE10hipError_tPvRmT3_T4_T5_T6_T7_T9_mT8_P12ihipStream_tbDpT10_ENKUlT_T0_E_clISt17integral_constantIbLb1EES1B_IbLb0EEEEDaS17_S18_EUlS17_E_NS1_11comp_targetILNS1_3genE5ELNS1_11target_archE942ELNS1_3gpuE9ELNS1_3repE0EEENS1_30default_config_static_selectorELNS0_4arch9wavefront6targetE1EEEvT1_ ; -- Begin function _ZN7rocprim17ROCPRIM_400000_NS6detail17trampoline_kernelINS0_14default_configENS1_25partition_config_selectorILNS1_17partition_subalgoE8ElNS0_10empty_typeEbEEZZNS1_14partition_implILS5_8ELb0ES3_jPlPS6_PKS6_NS0_5tupleIJS9_S6_EEENSD_IJSA_SA_EEENS0_18inequality_wrapperIZN2at6native12_GLOBAL__N_124unique_dim_cuda_templateIjEESt5tupleIJNSH_6TensorESM_SM_EERKSM_lbbbEUlllE0_EEPmJS6_EEE10hipError_tPvRmT3_T4_T5_T6_T7_T9_mT8_P12ihipStream_tbDpT10_ENKUlT_T0_E_clISt17integral_constantIbLb1EES1B_IbLb0EEEEDaS17_S18_EUlS17_E_NS1_11comp_targetILNS1_3genE5ELNS1_11target_archE942ELNS1_3gpuE9ELNS1_3repE0EEENS1_30default_config_static_selectorELNS0_4arch9wavefront6targetE1EEEvT1_
	.p2align	8
	.type	_ZN7rocprim17ROCPRIM_400000_NS6detail17trampoline_kernelINS0_14default_configENS1_25partition_config_selectorILNS1_17partition_subalgoE8ElNS0_10empty_typeEbEEZZNS1_14partition_implILS5_8ELb0ES3_jPlPS6_PKS6_NS0_5tupleIJS9_S6_EEENSD_IJSA_SA_EEENS0_18inequality_wrapperIZN2at6native12_GLOBAL__N_124unique_dim_cuda_templateIjEESt5tupleIJNSH_6TensorESM_SM_EERKSM_lbbbEUlllE0_EEPmJS6_EEE10hipError_tPvRmT3_T4_T5_T6_T7_T9_mT8_P12ihipStream_tbDpT10_ENKUlT_T0_E_clISt17integral_constantIbLb1EES1B_IbLb0EEEEDaS17_S18_EUlS17_E_NS1_11comp_targetILNS1_3genE5ELNS1_11target_archE942ELNS1_3gpuE9ELNS1_3repE0EEENS1_30default_config_static_selectorELNS0_4arch9wavefront6targetE1EEEvT1_,@function
_ZN7rocprim17ROCPRIM_400000_NS6detail17trampoline_kernelINS0_14default_configENS1_25partition_config_selectorILNS1_17partition_subalgoE8ElNS0_10empty_typeEbEEZZNS1_14partition_implILS5_8ELb0ES3_jPlPS6_PKS6_NS0_5tupleIJS9_S6_EEENSD_IJSA_SA_EEENS0_18inequality_wrapperIZN2at6native12_GLOBAL__N_124unique_dim_cuda_templateIjEESt5tupleIJNSH_6TensorESM_SM_EERKSM_lbbbEUlllE0_EEPmJS6_EEE10hipError_tPvRmT3_T4_T5_T6_T7_T9_mT8_P12ihipStream_tbDpT10_ENKUlT_T0_E_clISt17integral_constantIbLb1EES1B_IbLb0EEEEDaS17_S18_EUlS17_E_NS1_11comp_targetILNS1_3genE5ELNS1_11target_archE942ELNS1_3gpuE9ELNS1_3repE0EEENS1_30default_config_static_selectorELNS0_4arch9wavefront6targetE1EEEvT1_: ; @_ZN7rocprim17ROCPRIM_400000_NS6detail17trampoline_kernelINS0_14default_configENS1_25partition_config_selectorILNS1_17partition_subalgoE8ElNS0_10empty_typeEbEEZZNS1_14partition_implILS5_8ELb0ES3_jPlPS6_PKS6_NS0_5tupleIJS9_S6_EEENSD_IJSA_SA_EEENS0_18inequality_wrapperIZN2at6native12_GLOBAL__N_124unique_dim_cuda_templateIjEESt5tupleIJNSH_6TensorESM_SM_EERKSM_lbbbEUlllE0_EEPmJS6_EEE10hipError_tPvRmT3_T4_T5_T6_T7_T9_mT8_P12ihipStream_tbDpT10_ENKUlT_T0_E_clISt17integral_constantIbLb1EES1B_IbLb0EEEEDaS17_S18_EUlS17_E_NS1_11comp_targetILNS1_3genE5ELNS1_11target_archE942ELNS1_3gpuE9ELNS1_3repE0EEENS1_30default_config_static_selectorELNS0_4arch9wavefront6targetE1EEEvT1_
; %bb.0:
	s_load_dwordx8 s[20:27], s[0:1], 0x40
	s_load_dwordx4 s[4:7], s[0:1], 0x8
	s_load_dwordx4 s[28:31], s[0:1], 0x60
	s_load_dword s3, s[0:1], 0x70
	s_waitcnt lgkmcnt(0)
	v_mov_b32_e32 v2, s24
	s_lshl_b64 s[8:9], s[6:7], 3
	s_add_u32 s12, s4, s8
	s_mul_i32 s8, s3, 0xe00
	s_addc_u32 s13, s5, s9
	s_add_i32 s10, s3, -1
	s_add_i32 s3, s8, s6
	s_sub_i32 s3, s24, s3
	s_add_u32 s8, s6, s8
	s_addc_u32 s9, s7, 0
	v_mov_b32_e32 v3, s25
	s_cmp_eq_u32 s2, s10
	s_load_dwordx2 s[22:23], s[22:23], 0x0
	v_cmp_ge_u64_e32 vcc, s[8:9], v[2:3]
	s_cselect_b64 s[24:25], -1, 0
	s_mul_i32 s4, s2, 0xe00
	s_mov_b32 s5, 0
	s_and_b64 s[8:9], s[24:25], vcc
	s_xor_b64 s[34:35], s[8:9], -1
	s_lshl_b64 s[4:5], s[4:5], 3
	s_add_u32 s4, s12, s4
	s_mov_b64 s[10:11], -1
	s_addc_u32 s5, s13, s5
	s_and_b64 vcc, exec, s[34:35]
	s_cbranch_vccz .LBB1568_2
; %bb.1:
	v_lshlrev_b32_e32 v2, 3, v0
	v_mov_b32_e32 v3, 0
	v_lshl_add_u64 v[4:5], s[4:5], 0, v[2:3]
	v_add_co_u32_e32 v8, vcc, 0x1000, v4
	global_load_dwordx2 v[6:7], v2, s[4:5]
	s_nop 0
	v_addc_co_u32_e32 v9, vcc, 0, v5, vcc
	v_add_co_u32_e32 v10, vcc, 0x2000, v4
	s_mov_b64 s[10:11], 0
	s_nop 0
	v_addc_co_u32_e32 v11, vcc, 0, v5, vcc
	v_add_co_u32_e32 v12, vcc, 0x3000, v4
	s_nop 1
	v_addc_co_u32_e32 v13, vcc, 0, v5, vcc
	v_add_co_u32_e32 v14, vcc, 0x4000, v4
	s_nop 1
	v_addc_co_u32_e32 v15, vcc, 0, v5, vcc
	global_load_dwordx2 v[16:17], v[8:9], off
	global_load_dwordx2 v[18:19], v[10:11], off
	;; [unrolled: 1-line block ×4, first 2 shown]
	v_add_co_u32_e32 v8, vcc, 0x5000, v4
	s_nop 1
	v_addc_co_u32_e32 v9, vcc, 0, v5, vcc
	v_add_co_u32_e32 v4, vcc, 0x6000, v4
	global_load_dwordx2 v[8:9], v[8:9], off
	s_nop 0
	v_addc_co_u32_e32 v5, vcc, 0, v5, vcc
	global_load_dwordx2 v[4:5], v[4:5], off
	s_waitcnt vmcnt(5)
	ds_write2st64_b64 v2, v[6:7], v[16:17] offset1:8
	s_waitcnt vmcnt(3)
	ds_write2st64_b64 v2, v[18:19], v[20:21] offset0:16 offset1:24
	s_waitcnt vmcnt(1)
	ds_write2st64_b64 v2, v[22:23], v[8:9] offset0:32 offset1:40
	s_waitcnt vmcnt(0)
	ds_write_b64 v2, v[4:5] offset:24576
	s_waitcnt lgkmcnt(0)
	s_barrier
.LBB1568_2:
	s_andn2_b64 vcc, exec, s[10:11]
	s_addk_i32 s3, 0xe00
	s_cbranch_vccnz .LBB1568_18
; %bb.3:
	v_cmp_gt_u32_e32 vcc, s3, v0
                                        ; implicit-def: $vgpr2_vgpr3_vgpr4_vgpr5_vgpr6_vgpr7_vgpr8_vgpr9_vgpr10_vgpr11_vgpr12_vgpr13_vgpr14_vgpr15_vgpr16_vgpr17
	s_and_saveexec_b64 s[10:11], vcc
	s_cbranch_execz .LBB1568_5
; %bb.4:
	v_lshlrev_b32_e32 v1, 3, v0
	global_load_dwordx2 v[2:3], v1, s[4:5]
.LBB1568_5:
	s_or_b64 exec, exec, s[10:11]
	v_or_b32_e32 v1, 0x200, v0
	v_cmp_gt_u32_e32 vcc, s3, v1
	s_and_saveexec_b64 s[10:11], vcc
	s_cbranch_execz .LBB1568_7
; %bb.6:
	v_lshlrev_b32_e32 v1, 3, v1
	global_load_dwordx2 v[4:5], v1, s[4:5]
.LBB1568_7:
	s_or_b64 exec, exec, s[10:11]
	v_or_b32_e32 v1, 0x400, v0
	v_cmp_gt_u32_e32 vcc, s3, v1
	;; [unrolled: 9-line block ×6, first 2 shown]
	s_and_saveexec_b64 s[10:11], vcc
	s_cbranch_execz .LBB1568_17
; %bb.16:
	v_lshlrev_b32_e32 v1, 3, v1
	global_load_dwordx2 v[14:15], v1, s[4:5]
.LBB1568_17:
	s_or_b64 exec, exec, s[10:11]
	v_lshlrev_b32_e32 v1, 3, v0
	s_waitcnt vmcnt(0)
	ds_write2st64_b64 v1, v[2:3], v[4:5] offset1:8
	ds_write2st64_b64 v1, v[6:7], v[8:9] offset0:16 offset1:24
	ds_write2st64_b64 v1, v[10:11], v[12:13] offset0:32 offset1:40
	ds_write_b64 v1, v[14:15] offset:24576
	s_waitcnt lgkmcnt(0)
	s_barrier
.LBB1568_18:
	v_mul_u32_u24_e32 v1, 7, v0
	v_lshlrev_b32_e32 v30, 3, v1
	s_waitcnt lgkmcnt(0)
	ds_read2_b64 v[10:13], v30 offset1:1
	ds_read2_b64 v[6:9], v30 offset0:2 offset1:3
	ds_read2_b64 v[2:5], v30 offset0:4 offset1:5
	ds_read_b64 v[14:15], v30 offset:48
	s_cmp_lg_u32 s2, 0
	s_cselect_b64 s[16:17], -1, 0
	s_cmp_lg_u64 s[6:7], 0
	s_cselect_b64 s[6:7], -1, 0
	s_or_b64 s[6:7], s[16:17], s[6:7]
	v_mad_u32_u24 v25, v0, 7, 1
	v_mad_u32_u24 v24, v0, 7, 2
	v_mad_u32_u24 v28, v0, 7, 3
	v_mad_u32_u24 v26, v0, 7, 4
	v_mad_u32_u24 v29, v0, 7, 5
	v_mad_u32_u24 v27, v0, 7, 6
	s_mov_b64 s[10:11], 0
	s_and_b64 vcc, exec, s[6:7]
	v_cmp_gt_i64_e64 s[12:13], s[26:27], 0
	s_waitcnt lgkmcnt(0)
	s_barrier
	s_cbranch_vccz .LBB1568_27
; %bb.19:
	s_add_u32 s4, s4, -8
	s_addc_u32 s5, s5, -1
	s_load_dwordx2 s[6:7], s[4:5], 0x0
	v_cndmask_b32_e64 v16, 0, 1, s[12:13]
	v_lshlrev_b32_e32 v31, 3, v0
	s_and_b64 vcc, exec, s[34:35]
	v_cmp_ne_u32_e64 s[4:5], 1, v16
	ds_write_b64 v31, v[14:15]
	s_cbranch_vccz .LBB1568_29
; %bb.20:
	v_mul_lo_u32 v18, v5, s26
	v_mul_lo_u32 v19, v4, s27
	v_mad_u64_u32 v[16:17], s[12:13], v4, s26, 0
	v_add3_u32 v17, v17, v19, v18
	s_and_b64 vcc, exec, s[4:5]
	v_lshl_add_u64 v[16:17], v[16:17], 2, s[28:29]
	s_cbranch_vccnz .LBB1568_32
; %bb.21:
	v_mul_lo_u32 v20, v15, s26
	v_mul_lo_u32 v21, v14, s27
	v_mad_u64_u32 v[18:19], s[10:11], v14, s26, 0
	v_add3_u32 v19, v19, v21, v20
	v_lshl_add_u64 v[18:19], v[18:19], 2, s[28:29]
	global_load_dword v20, v[16:17], off
	global_load_dword v21, v[18:19], off
	s_mov_b64 s[10:11], -1
	s_waitcnt vmcnt(0)
	v_cmp_eq_u32_e32 vcc, v20, v21
	s_and_saveexec_b64 s[12:13], vcc
	s_cbranch_execz .LBB1568_31
; %bb.22:
	s_add_u32 s10, s26, -1
	v_lshl_add_u64 v[18:19], v[18:19], 0, 4
	v_lshl_add_u64 v[20:21], v[16:17], 0, 4
	s_addc_u32 s11, s27, -1
	s_mov_b64 s[14:15], 0
	s_mov_b64 s[36:37], 0
                                        ; implicit-def: $sgpr18_sgpr19
	s_branch .LBB1568_25
.LBB1568_23:                            ;   in Loop: Header=BB1568_25 Depth=1
	global_load_dword v22, v[20:21], off
	global_load_dword v23, v[18:19], off
	s_add_u32 s36, s36, 1
	s_addc_u32 s37, s37, 0
	s_andn2_b64 s[18:19], s[18:19], exec
	v_lshl_add_u64 v[18:19], v[18:19], 0, 4
	v_lshl_add_u64 v[20:21], v[20:21], 0, 4
	s_waitcnt vmcnt(0)
	v_cmp_ne_u32_e32 vcc, v22, v23
	s_and_b64 s[38:39], vcc, exec
	s_or_b64 s[18:19], s[18:19], s[38:39]
.LBB1568_24:                            ;   in Loop: Header=BB1568_25 Depth=1
	s_and_b64 s[38:39], exec, s[18:19]
	s_or_b64 s[14:15], s[38:39], s[14:15]
	v_mov_b64_e32 v[22:23], s[36:37]
	s_andn2_b64 exec, exec, s[14:15]
	s_cbranch_execz .LBB1568_30
.LBB1568_25:                            ; =>This Inner Loop Header: Depth=1
	s_or_b64 s[18:19], s[18:19], exec
	s_cmp_eq_u64 s[10:11], s[36:37]
	s_cbranch_scc0 .LBB1568_23
; %bb.26:                               ;   in Loop: Header=BB1568_25 Depth=1
                                        ; implicit-def: $vgpr18_vgpr19
                                        ; implicit-def: $vgpr20_vgpr21
	s_mov_b64 s[36:37], s[26:27]
	s_branch .LBB1568_24
.LBB1568_27:
                                        ; implicit-def: $sgpr18_sgpr19
                                        ; implicit-def: $vgpr34
                                        ; implicit-def: $vgpr33
                                        ; implicit-def: $vgpr32
                                        ; implicit-def: $vgpr20
	s_branch .LBB1568_170
.LBB1568_28:
                                        ; implicit-def: $vgpr16_vgpr17
	s_branch .LBB1568_318
.LBB1568_29:
                                        ; implicit-def: $sgpr18_sgpr19
                                        ; implicit-def: $vgpr34
                                        ; implicit-def: $vgpr33
                                        ; implicit-def: $vgpr32
                                        ; implicit-def: $vgpr20
	s_cbranch_execnz .LBB1568_89
	s_branch .LBB1568_169
.LBB1568_30:
	s_or_b64 exec, exec, s[14:15]
	v_cmp_gt_i64_e32 vcc, s[26:27], v[22:23]
	s_orn2_b64 s[10:11], vcc, exec
.LBB1568_31:
	s_or_b64 exec, exec, s[12:13]
.LBB1568_32:
	v_mul_lo_u32 v20, v3, s26
	v_mul_lo_u32 v21, v2, s27
	v_mad_u64_u32 v[18:19], s[12:13], v2, s26, 0
	v_add3_u32 v19, v19, v21, v20
	s_mov_b64 s[12:13], 0
	s_and_b64 vcc, exec, s[4:5]
	v_lshl_add_u64 v[18:19], v[18:19], 2, s[28:29]
	s_mov_b64 s[14:15], 0
	s_cbranch_vccnz .LBB1568_41
; %bb.33:
	global_load_dword v20, v[18:19], off
	global_load_dword v21, v[16:17], off
	s_mov_b64 s[14:15], -1
	s_waitcnt vmcnt(0)
	v_cmp_eq_u32_e32 vcc, v20, v21
	s_and_saveexec_b64 s[18:19], vcc
	s_cbranch_execz .LBB1568_40
; %bb.34:
	s_add_u32 s14, s26, -1
	v_lshl_add_u64 v[16:17], v[16:17], 0, 4
	v_lshl_add_u64 v[20:21], v[18:19], 0, 4
	s_addc_u32 s15, s27, -1
	s_mov_b64 s[36:37], 0
	s_mov_b64 s[40:41], 0
                                        ; implicit-def: $sgpr38_sgpr39
	s_branch .LBB1568_37
.LBB1568_35:                            ;   in Loop: Header=BB1568_37 Depth=1
	global_load_dword v22, v[20:21], off
	global_load_dword v23, v[16:17], off
	s_add_u32 s40, s40, 1
	s_addc_u32 s41, s41, 0
	s_andn2_b64 s[38:39], s[38:39], exec
	v_lshl_add_u64 v[16:17], v[16:17], 0, 4
	v_lshl_add_u64 v[20:21], v[20:21], 0, 4
	s_waitcnt vmcnt(0)
	v_cmp_ne_u32_e32 vcc, v22, v23
	s_and_b64 s[42:43], vcc, exec
	s_or_b64 s[38:39], s[38:39], s[42:43]
.LBB1568_36:                            ;   in Loop: Header=BB1568_37 Depth=1
	s_and_b64 s[42:43], exec, s[38:39]
	s_or_b64 s[36:37], s[42:43], s[36:37]
	v_mov_b64_e32 v[22:23], s[40:41]
	s_andn2_b64 exec, exec, s[36:37]
	s_cbranch_execz .LBB1568_39
.LBB1568_37:                            ; =>This Inner Loop Header: Depth=1
	s_or_b64 s[38:39], s[38:39], exec
	s_cmp_eq_u64 s[14:15], s[40:41]
	s_cbranch_scc0 .LBB1568_35
; %bb.38:                               ;   in Loop: Header=BB1568_37 Depth=1
                                        ; implicit-def: $vgpr16_vgpr17
                                        ; implicit-def: $vgpr20_vgpr21
	s_mov_b64 s[40:41], s[26:27]
	s_branch .LBB1568_36
.LBB1568_39:
	s_or_b64 exec, exec, s[36:37]
	v_cmp_gt_i64_e32 vcc, s[26:27], v[22:23]
	s_orn2_b64 s[14:15], vcc, exec
.LBB1568_40:
	s_or_b64 exec, exec, s[18:19]
.LBB1568_41:
	v_mul_lo_u32 v20, v9, s26
	v_mul_lo_u32 v21, v8, s27
	v_mad_u64_u32 v[16:17], s[18:19], v8, s26, 0
	v_add3_u32 v17, v17, v21, v20
	s_and_b64 vcc, exec, s[4:5]
	v_lshl_add_u64 v[16:17], v[16:17], 2, s[28:29]
	s_cbranch_vccnz .LBB1568_50
; %bb.42:
	global_load_dword v20, v[16:17], off
	global_load_dword v21, v[18:19], off
	s_mov_b64 s[12:13], -1
	s_waitcnt vmcnt(0)
	v_cmp_eq_u32_e32 vcc, v20, v21
	s_and_saveexec_b64 s[18:19], vcc
	s_cbranch_execz .LBB1568_49
; %bb.43:
	s_add_u32 s12, s26, -1
	v_lshl_add_u64 v[18:19], v[18:19], 0, 4
	v_lshl_add_u64 v[20:21], v[16:17], 0, 4
	s_addc_u32 s13, s27, -1
	s_mov_b64 s[36:37], 0
	s_mov_b64 s[40:41], 0
                                        ; implicit-def: $sgpr38_sgpr39
	s_branch .LBB1568_46
.LBB1568_44:                            ;   in Loop: Header=BB1568_46 Depth=1
	global_load_dword v22, v[20:21], off
	global_load_dword v23, v[18:19], off
	s_add_u32 s40, s40, 1
	s_addc_u32 s41, s41, 0
	s_andn2_b64 s[38:39], s[38:39], exec
	v_lshl_add_u64 v[18:19], v[18:19], 0, 4
	v_lshl_add_u64 v[20:21], v[20:21], 0, 4
	s_waitcnt vmcnt(0)
	v_cmp_ne_u32_e32 vcc, v22, v23
	s_and_b64 s[42:43], vcc, exec
	s_or_b64 s[38:39], s[38:39], s[42:43]
.LBB1568_45:                            ;   in Loop: Header=BB1568_46 Depth=1
	s_and_b64 s[42:43], exec, s[38:39]
	s_or_b64 s[36:37], s[42:43], s[36:37]
	v_mov_b64_e32 v[22:23], s[40:41]
	s_andn2_b64 exec, exec, s[36:37]
	s_cbranch_execz .LBB1568_48
.LBB1568_46:                            ; =>This Inner Loop Header: Depth=1
	s_or_b64 s[38:39], s[38:39], exec
	s_cmp_eq_u64 s[12:13], s[40:41]
	s_cbranch_scc0 .LBB1568_44
; %bb.47:                               ;   in Loop: Header=BB1568_46 Depth=1
                                        ; implicit-def: $vgpr18_vgpr19
                                        ; implicit-def: $vgpr20_vgpr21
	s_mov_b64 s[40:41], s[26:27]
	s_branch .LBB1568_45
.LBB1568_48:
	s_or_b64 exec, exec, s[36:37]
	v_cmp_gt_i64_e32 vcc, s[26:27], v[22:23]
	s_orn2_b64 s[12:13], vcc, exec
.LBB1568_49:
	s_or_b64 exec, exec, s[18:19]
.LBB1568_50:
	v_mul_lo_u32 v20, v7, s26
	v_mul_lo_u32 v21, v6, s27
	v_mad_u64_u32 v[18:19], s[18:19], v6, s26, 0
	v_add3_u32 v19, v19, v21, v20
	s_mov_b64 s[18:19], 0
	s_and_b64 vcc, exec, s[4:5]
	v_lshl_add_u64 v[20:21], v[18:19], 2, s[28:29]
	s_mov_b64 s[36:37], 0
	s_cbranch_vccnz .LBB1568_59
; %bb.51:
	global_load_dword v18, v[20:21], off
	global_load_dword v19, v[16:17], off
	s_mov_b64 s[36:37], -1
	s_waitcnt vmcnt(0)
	v_cmp_eq_u32_e32 vcc, v18, v19
	s_and_saveexec_b64 s[38:39], vcc
	s_cbranch_execz .LBB1568_58
; %bb.52:
	s_add_u32 s36, s26, -1
	v_lshl_add_u64 v[16:17], v[16:17], 0, 4
	v_lshl_add_u64 v[18:19], v[20:21], 0, 4
	s_addc_u32 s37, s27, -1
	s_mov_b64 s[40:41], 0
	s_mov_b64 s[44:45], 0
                                        ; implicit-def: $sgpr42_sgpr43
	s_branch .LBB1568_55
.LBB1568_53:                            ;   in Loop: Header=BB1568_55 Depth=1
	global_load_dword v22, v[18:19], off
	global_load_dword v23, v[16:17], off
	s_add_u32 s44, s44, 1
	s_addc_u32 s45, s45, 0
	s_andn2_b64 s[42:43], s[42:43], exec
	v_lshl_add_u64 v[16:17], v[16:17], 0, 4
	v_lshl_add_u64 v[18:19], v[18:19], 0, 4
	s_waitcnt vmcnt(0)
	v_cmp_ne_u32_e32 vcc, v22, v23
	s_and_b64 s[46:47], vcc, exec
	s_or_b64 s[42:43], s[42:43], s[46:47]
.LBB1568_54:                            ;   in Loop: Header=BB1568_55 Depth=1
	s_and_b64 s[46:47], exec, s[42:43]
	s_or_b64 s[40:41], s[46:47], s[40:41]
	v_mov_b64_e32 v[22:23], s[44:45]
	s_andn2_b64 exec, exec, s[40:41]
	s_cbranch_execz .LBB1568_57
.LBB1568_55:                            ; =>This Inner Loop Header: Depth=1
	s_or_b64 s[42:43], s[42:43], exec
	s_cmp_eq_u64 s[36:37], s[44:45]
	s_cbranch_scc0 .LBB1568_53
; %bb.56:                               ;   in Loop: Header=BB1568_55 Depth=1
                                        ; implicit-def: $vgpr16_vgpr17
                                        ; implicit-def: $vgpr18_vgpr19
	s_mov_b64 s[44:45], s[26:27]
	s_branch .LBB1568_54
.LBB1568_57:
	s_or_b64 exec, exec, s[40:41]
	v_cmp_gt_i64_e32 vcc, s[26:27], v[22:23]
	s_orn2_b64 s[36:37], vcc, exec
.LBB1568_58:
	s_or_b64 exec, exec, s[38:39]
.LBB1568_59:
	v_mul_lo_u32 v18, v13, s26
	v_mul_lo_u32 v19, v12, s27
	v_mad_u64_u32 v[16:17], s[38:39], v12, s26, 0
	v_add3_u32 v17, v17, v19, v18
	s_and_b64 vcc, exec, s[4:5]
	v_lshl_add_u64 v[18:19], v[16:17], 2, s[28:29]
	s_cbranch_vccnz .LBB1568_68
; %bb.60:
	global_load_dword v16, v[18:19], off
	global_load_dword v17, v[20:21], off
	s_mov_b64 s[18:19], -1
	s_waitcnt vmcnt(0)
	v_cmp_eq_u32_e32 vcc, v16, v17
	s_and_saveexec_b64 s[38:39], vcc
	s_cbranch_execz .LBB1568_67
; %bb.61:
	s_add_u32 s18, s26, -1
	v_lshl_add_u64 v[16:17], v[20:21], 0, 4
	v_lshl_add_u64 v[20:21], v[18:19], 0, 4
	s_addc_u32 s19, s27, -1
	s_mov_b64 s[40:41], 0
	s_mov_b64 s[44:45], 0
                                        ; implicit-def: $sgpr42_sgpr43
	s_branch .LBB1568_64
.LBB1568_62:                            ;   in Loop: Header=BB1568_64 Depth=1
	global_load_dword v22, v[20:21], off
	global_load_dword v23, v[16:17], off
	s_add_u32 s44, s44, 1
	s_addc_u32 s45, s45, 0
	s_andn2_b64 s[42:43], s[42:43], exec
	v_lshl_add_u64 v[16:17], v[16:17], 0, 4
	v_lshl_add_u64 v[20:21], v[20:21], 0, 4
	s_waitcnt vmcnt(0)
	v_cmp_ne_u32_e32 vcc, v22, v23
	s_and_b64 s[46:47], vcc, exec
	s_or_b64 s[42:43], s[42:43], s[46:47]
.LBB1568_63:                            ;   in Loop: Header=BB1568_64 Depth=1
	s_and_b64 s[46:47], exec, s[42:43]
	s_or_b64 s[40:41], s[46:47], s[40:41]
	v_mov_b64_e32 v[22:23], s[44:45]
	s_andn2_b64 exec, exec, s[40:41]
	s_cbranch_execz .LBB1568_66
.LBB1568_64:                            ; =>This Inner Loop Header: Depth=1
	s_or_b64 s[42:43], s[42:43], exec
	s_cmp_eq_u64 s[18:19], s[44:45]
	s_cbranch_scc0 .LBB1568_62
; %bb.65:                               ;   in Loop: Header=BB1568_64 Depth=1
                                        ; implicit-def: $vgpr16_vgpr17
                                        ; implicit-def: $vgpr20_vgpr21
	s_mov_b64 s[44:45], s[26:27]
	s_branch .LBB1568_63
.LBB1568_66:
	s_or_b64 exec, exec, s[40:41]
	v_cmp_gt_i64_e32 vcc, s[26:27], v[22:23]
	s_orn2_b64 s[18:19], vcc, exec
.LBB1568_67:
	s_or_b64 exec, exec, s[38:39]
.LBB1568_68:
	v_mul_lo_u32 v20, v11, s26
	v_mul_lo_u32 v21, v10, s27
	v_mad_u64_u32 v[16:17], s[38:39], v10, s26, 0
	v_add3_u32 v17, v17, v21, v20
	s_mov_b64 s[40:41], 0
	s_and_b64 vcc, exec, s[4:5]
	v_lshl_add_u64 v[16:17], v[16:17], 2, s[28:29]
	s_cbranch_vccnz .LBB1568_77
; %bb.69:
	global_load_dword v20, v[16:17], off
	global_load_dword v21, v[18:19], off
	s_mov_b64 s[40:41], -1
	s_waitcnt vmcnt(0)
	v_cmp_eq_u32_e32 vcc, v20, v21
	s_and_saveexec_b64 s[38:39], vcc
	s_cbranch_execz .LBB1568_76
; %bb.70:
	s_add_u32 s40, s26, -1
	v_lshl_add_u64 v[18:19], v[18:19], 0, 4
	v_lshl_add_u64 v[20:21], v[16:17], 0, 4
	s_addc_u32 s41, s27, -1
	s_mov_b64 s[42:43], 0
	s_mov_b64 s[46:47], 0
                                        ; implicit-def: $sgpr44_sgpr45
	s_branch .LBB1568_73
.LBB1568_71:                            ;   in Loop: Header=BB1568_73 Depth=1
	global_load_dword v22, v[20:21], off
	global_load_dword v23, v[18:19], off
	s_add_u32 s46, s46, 1
	s_addc_u32 s47, s47, 0
	s_andn2_b64 s[44:45], s[44:45], exec
	v_lshl_add_u64 v[18:19], v[18:19], 0, 4
	v_lshl_add_u64 v[20:21], v[20:21], 0, 4
	s_waitcnt vmcnt(0)
	v_cmp_ne_u32_e32 vcc, v22, v23
	s_and_b64 s[48:49], vcc, exec
	s_or_b64 s[44:45], s[44:45], s[48:49]
.LBB1568_72:                            ;   in Loop: Header=BB1568_73 Depth=1
	s_and_b64 s[48:49], exec, s[44:45]
	s_or_b64 s[42:43], s[48:49], s[42:43]
	v_mov_b64_e32 v[22:23], s[46:47]
	s_andn2_b64 exec, exec, s[42:43]
	s_cbranch_execz .LBB1568_75
.LBB1568_73:                            ; =>This Inner Loop Header: Depth=1
	s_or_b64 s[44:45], s[44:45], exec
	s_cmp_eq_u64 s[40:41], s[46:47]
	s_cbranch_scc0 .LBB1568_71
; %bb.74:                               ;   in Loop: Header=BB1568_73 Depth=1
                                        ; implicit-def: $vgpr18_vgpr19
                                        ; implicit-def: $vgpr20_vgpr21
	s_mov_b64 s[46:47], s[26:27]
	s_branch .LBB1568_72
.LBB1568_75:
	s_or_b64 exec, exec, s[42:43]
	v_cmp_gt_i64_e32 vcc, s[26:27], v[22:23]
	s_orn2_b64 s[40:41], vcc, exec
.LBB1568_76:
	s_or_b64 exec, exec, s[38:39]
.LBB1568_77:
	v_cmp_ne_u32_e32 vcc, 0, v0
	s_waitcnt lgkmcnt(0)
	v_mov_b64_e32 v[18:19], s[6:7]
	s_barrier
	s_and_saveexec_b64 s[38:39], vcc
	s_cbranch_execz .LBB1568_79
; %bb.78:
	v_add_u32_e32 v18, -8, v31
	ds_read_b64 v[18:19], v18
.LBB1568_79:
	s_or_b64 exec, exec, s[38:39]
	v_cndmask_b32_e64 v21, 0, 1, s[36:37]
	v_cndmask_b32_e64 v20, 0, 1, s[18:19]
	;; [unrolled: 1-line block ×3, first 2 shown]
	v_lshlrev_b16_e32 v21, 8, v21
	v_lshlrev_b16_e32 v22, 8, v22
	v_or_b32_sdwa v23, v20, v21 dst_sel:WORD_1 dst_unused:UNUSED_PAD src0_sel:DWORD src1_sel:DWORD
	s_mov_b64 s[36:37], 0
	s_and_b64 vcc, exec, s[4:5]
	s_mov_b64 s[18:19], 0
	s_cbranch_vccnz .LBB1568_88
; %bb.80:
	s_waitcnt lgkmcnt(0)
	v_mul_lo_u32 v20, v19, s26
	v_mul_lo_u32 v21, v18, s27
	v_mad_u64_u32 v[18:19], s[18:19], v18, s26, 0
	v_add3_u32 v19, v19, v21, v20
	v_lshl_add_u64 v[18:19], v[18:19], 2, s[28:29]
	global_load_dword v20, v[18:19], off
	global_load_dword v21, v[16:17], off
	s_mov_b64 s[18:19], -1
	s_waitcnt vmcnt(0)
	v_cmp_eq_u32_e32 vcc, v20, v21
	s_and_saveexec_b64 s[38:39], vcc
	s_cbranch_execz .LBB1568_87
; %bb.81:
	s_add_u32 s18, s26, -1
	v_lshl_add_u64 v[16:17], v[16:17], 0, 4
	v_lshl_add_u64 v[18:19], v[18:19], 0, 4
	s_addc_u32 s19, s27, -1
	s_mov_b64 s[40:41], 0
	s_mov_b64 s[44:45], 0
                                        ; implicit-def: $sgpr42_sgpr43
	s_branch .LBB1568_84
.LBB1568_82:                            ;   in Loop: Header=BB1568_84 Depth=1
	global_load_dword v20, v[18:19], off
	global_load_dword v21, v[16:17], off
	s_add_u32 s44, s44, 1
	s_addc_u32 s45, s45, 0
	s_andn2_b64 s[42:43], s[42:43], exec
	v_lshl_add_u64 v[16:17], v[16:17], 0, 4
	v_lshl_add_u64 v[18:19], v[18:19], 0, 4
	s_waitcnt vmcnt(0)
	v_cmp_ne_u32_e32 vcc, v20, v21
	s_and_b64 s[46:47], vcc, exec
	s_or_b64 s[42:43], s[42:43], s[46:47]
.LBB1568_83:                            ;   in Loop: Header=BB1568_84 Depth=1
	s_and_b64 s[46:47], exec, s[42:43]
	s_or_b64 s[40:41], s[46:47], s[40:41]
	v_mov_b64_e32 v[20:21], s[44:45]
	s_andn2_b64 exec, exec, s[40:41]
	s_cbranch_execz .LBB1568_86
.LBB1568_84:                            ; =>This Inner Loop Header: Depth=1
	s_or_b64 s[42:43], s[42:43], exec
	s_cmp_eq_u64 s[18:19], s[44:45]
	s_cbranch_scc0 .LBB1568_82
; %bb.85:                               ;   in Loop: Header=BB1568_84 Depth=1
                                        ; implicit-def: $vgpr16_vgpr17
                                        ; implicit-def: $vgpr18_vgpr19
	s_mov_b64 s[44:45], s[26:27]
	s_branch .LBB1568_83
.LBB1568_86:
	s_or_b64 exec, exec, s[40:41]
	v_cmp_gt_i64_e32 vcc, s[26:27], v[20:21]
	s_orn2_b64 s[18:19], vcc, exec
.LBB1568_87:
	s_or_b64 exec, exec, s[38:39]
.LBB1568_88:
	v_cndmask_b32_e64 v32, 0, 1, s[12:13]
	v_cndmask_b32_e64 v33, 0, 1, s[14:15]
	;; [unrolled: 1-line block ×3, first 2 shown]
	v_or_b32_e32 v20, v22, v23
	s_and_b64 vcc, exec, s[36:37]
	s_cbranch_vccz .LBB1568_169
.LBB1568_89:
	v_cmp_gt_u32_e32 vcc, s3, v27
	s_mov_b64 s[12:13], 0
	s_mov_b64 s[10:11], 0
	s_and_saveexec_b64 s[14:15], vcc
	s_cbranch_execz .LBB1568_100
; %bb.90:
	s_and_b64 vcc, exec, s[4:5]
	s_mov_b64 s[18:19], 0
	s_cbranch_vccnz .LBB1568_99
; %bb.91:
	s_waitcnt lgkmcnt(0)
	v_mul_lo_u32 v18, v5, s26
	v_mul_lo_u32 v19, v4, s27
	v_mad_u64_u32 v[16:17], s[10:11], v4, s26, 0
	v_add3_u32 v17, v17, v19, v18
	v_mul_lo_u32 v18, v15, s26
	v_mul_lo_u32 v19, v14, s27
	v_mad_u64_u32 v[20:21], s[10:11], v14, s26, 0
	v_add3_u32 v21, v21, v19, v18
	v_lshl_add_u64 v[18:19], v[16:17], 2, s[28:29]
	v_lshl_add_u64 v[16:17], v[20:21], 2, s[28:29]
	global_load_dword v20, v[18:19], off
	global_load_dword v21, v[16:17], off
	s_mov_b64 s[18:19], -1
	s_waitcnt vmcnt(0)
	v_cmp_eq_u32_e32 vcc, v20, v21
	s_and_saveexec_b64 s[10:11], vcc
	s_cbranch_execz .LBB1568_98
; %bb.92:
	s_add_u32 s18, s26, -1
	v_lshl_add_u64 v[16:17], v[16:17], 0, 4
	v_lshl_add_u64 v[18:19], v[18:19], 0, 4
	s_addc_u32 s19, s27, -1
	s_mov_b64 s[36:37], 0
	s_mov_b64 s[40:41], 0
                                        ; implicit-def: $sgpr38_sgpr39
	s_branch .LBB1568_95
.LBB1568_93:                            ;   in Loop: Header=BB1568_95 Depth=1
	global_load_dword v20, v[18:19], off
	global_load_dword v21, v[16:17], off
	s_add_u32 s40, s40, 1
	s_addc_u32 s41, s41, 0
	s_andn2_b64 s[38:39], s[38:39], exec
	v_lshl_add_u64 v[16:17], v[16:17], 0, 4
	v_lshl_add_u64 v[18:19], v[18:19], 0, 4
	s_waitcnt vmcnt(0)
	v_cmp_ne_u32_e32 vcc, v20, v21
	s_and_b64 s[42:43], vcc, exec
	s_or_b64 s[38:39], s[38:39], s[42:43]
.LBB1568_94:                            ;   in Loop: Header=BB1568_95 Depth=1
	s_and_b64 s[42:43], exec, s[38:39]
	s_or_b64 s[36:37], s[42:43], s[36:37]
	v_mov_b64_e32 v[20:21], s[40:41]
	s_andn2_b64 exec, exec, s[36:37]
	s_cbranch_execz .LBB1568_97
.LBB1568_95:                            ; =>This Inner Loop Header: Depth=1
	s_or_b64 s[38:39], s[38:39], exec
	s_cmp_eq_u64 s[18:19], s[40:41]
	s_cbranch_scc0 .LBB1568_93
; %bb.96:                               ;   in Loop: Header=BB1568_95 Depth=1
                                        ; implicit-def: $vgpr16_vgpr17
                                        ; implicit-def: $vgpr18_vgpr19
	s_mov_b64 s[40:41], s[26:27]
	s_branch .LBB1568_94
.LBB1568_97:
	s_or_b64 exec, exec, s[36:37]
	v_cmp_gt_i64_e32 vcc, s[26:27], v[20:21]
	s_orn2_b64 s[18:19], vcc, exec
.LBB1568_98:
	s_or_b64 exec, exec, s[10:11]
.LBB1568_99:
	s_and_b64 s[10:11], s[18:19], exec
.LBB1568_100:
	s_or_b64 exec, exec, s[14:15]
	v_cmp_gt_u32_e32 vcc, s3, v29
	s_and_saveexec_b64 s[14:15], vcc
	s_cbranch_execz .LBB1568_111
; %bb.101:
	s_and_b64 vcc, exec, s[4:5]
	s_mov_b64 s[18:19], 0
	s_cbranch_vccnz .LBB1568_110
; %bb.102:
	s_waitcnt lgkmcnt(0)
	v_mul_lo_u32 v18, v3, s26
	v_mul_lo_u32 v19, v2, s27
	v_mad_u64_u32 v[16:17], s[12:13], v2, s26, 0
	v_add3_u32 v17, v17, v19, v18
	v_mul_lo_u32 v18, v5, s26
	v_mul_lo_u32 v19, v4, s27
	v_mad_u64_u32 v[20:21], s[12:13], v4, s26, 0
	v_add3_u32 v21, v21, v19, v18
	v_lshl_add_u64 v[18:19], v[16:17], 2, s[28:29]
	v_lshl_add_u64 v[16:17], v[20:21], 2, s[28:29]
	global_load_dword v20, v[18:19], off
	global_load_dword v21, v[16:17], off
	s_mov_b64 s[18:19], -1
	s_waitcnt vmcnt(0)
	v_cmp_eq_u32_e32 vcc, v20, v21
	s_and_saveexec_b64 s[12:13], vcc
	s_cbranch_execz .LBB1568_109
; %bb.103:
	s_add_u32 s18, s26, -1
	v_lshl_add_u64 v[16:17], v[16:17], 0, 4
	v_lshl_add_u64 v[18:19], v[18:19], 0, 4
	s_addc_u32 s19, s27, -1
	s_mov_b64 s[36:37], 0
	s_mov_b64 s[40:41], 0
                                        ; implicit-def: $sgpr38_sgpr39
	s_branch .LBB1568_106
.LBB1568_104:                           ;   in Loop: Header=BB1568_106 Depth=1
	global_load_dword v20, v[18:19], off
	global_load_dword v21, v[16:17], off
	s_add_u32 s40, s40, 1
	s_addc_u32 s41, s41, 0
	s_andn2_b64 s[38:39], s[38:39], exec
	v_lshl_add_u64 v[16:17], v[16:17], 0, 4
	v_lshl_add_u64 v[18:19], v[18:19], 0, 4
	s_waitcnt vmcnt(0)
	v_cmp_ne_u32_e32 vcc, v20, v21
	s_and_b64 s[42:43], vcc, exec
	s_or_b64 s[38:39], s[38:39], s[42:43]
.LBB1568_105:                           ;   in Loop: Header=BB1568_106 Depth=1
	s_and_b64 s[42:43], exec, s[38:39]
	s_or_b64 s[36:37], s[42:43], s[36:37]
	v_mov_b64_e32 v[20:21], s[40:41]
	s_andn2_b64 exec, exec, s[36:37]
	s_cbranch_execz .LBB1568_108
.LBB1568_106:                           ; =>This Inner Loop Header: Depth=1
	s_or_b64 s[38:39], s[38:39], exec
	s_cmp_eq_u64 s[18:19], s[40:41]
	s_cbranch_scc0 .LBB1568_104
; %bb.107:                              ;   in Loop: Header=BB1568_106 Depth=1
                                        ; implicit-def: $vgpr16_vgpr17
                                        ; implicit-def: $vgpr18_vgpr19
	s_mov_b64 s[40:41], s[26:27]
	s_branch .LBB1568_105
.LBB1568_108:
	s_or_b64 exec, exec, s[36:37]
	v_cmp_gt_i64_e32 vcc, s[26:27], v[20:21]
	s_orn2_b64 s[18:19], vcc, exec
.LBB1568_109:
	s_or_b64 exec, exec, s[12:13]
.LBB1568_110:
	s_and_b64 s[12:13], s[18:19], exec
.LBB1568_111:
	s_or_b64 exec, exec, s[14:15]
	v_cmp_gt_u32_e32 vcc, s3, v26
	s_mov_b64 s[18:19], 0
	s_mov_b64 s[14:15], 0
	s_and_saveexec_b64 s[36:37], vcc
	s_cbranch_execz .LBB1568_122
; %bb.112:
	s_and_b64 vcc, exec, s[4:5]
	s_mov_b64 s[38:39], 0
	s_cbranch_vccnz .LBB1568_121
; %bb.113:
	s_waitcnt lgkmcnt(0)
	v_mul_lo_u32 v18, v9, s26
	v_mul_lo_u32 v19, v8, s27
	v_mad_u64_u32 v[16:17], s[14:15], v8, s26, 0
	v_add3_u32 v17, v17, v19, v18
	v_mul_lo_u32 v18, v3, s26
	v_mul_lo_u32 v19, v2, s27
	v_mad_u64_u32 v[20:21], s[14:15], v2, s26, 0
	v_add3_u32 v21, v21, v19, v18
	v_lshl_add_u64 v[18:19], v[16:17], 2, s[28:29]
	v_lshl_add_u64 v[16:17], v[20:21], 2, s[28:29]
	global_load_dword v20, v[18:19], off
	global_load_dword v21, v[16:17], off
	s_mov_b64 s[38:39], -1
	s_waitcnt vmcnt(0)
	v_cmp_eq_u32_e32 vcc, v20, v21
	s_and_saveexec_b64 s[14:15], vcc
	s_cbranch_execz .LBB1568_120
; %bb.114:
	s_add_u32 s38, s26, -1
	v_lshl_add_u64 v[16:17], v[16:17], 0, 4
	v_lshl_add_u64 v[18:19], v[18:19], 0, 4
	s_addc_u32 s39, s27, -1
	s_mov_b64 s[40:41], 0
	s_mov_b64 s[44:45], 0
                                        ; implicit-def: $sgpr42_sgpr43
	s_branch .LBB1568_117
.LBB1568_115:                           ;   in Loop: Header=BB1568_117 Depth=1
	global_load_dword v20, v[18:19], off
	global_load_dword v21, v[16:17], off
	s_add_u32 s44, s44, 1
	s_addc_u32 s45, s45, 0
	s_andn2_b64 s[42:43], s[42:43], exec
	v_lshl_add_u64 v[16:17], v[16:17], 0, 4
	v_lshl_add_u64 v[18:19], v[18:19], 0, 4
	s_waitcnt vmcnt(0)
	v_cmp_ne_u32_e32 vcc, v20, v21
	s_and_b64 s[46:47], vcc, exec
	s_or_b64 s[42:43], s[42:43], s[46:47]
.LBB1568_116:                           ;   in Loop: Header=BB1568_117 Depth=1
	s_and_b64 s[46:47], exec, s[42:43]
	s_or_b64 s[40:41], s[46:47], s[40:41]
	v_mov_b64_e32 v[20:21], s[44:45]
	s_andn2_b64 exec, exec, s[40:41]
	s_cbranch_execz .LBB1568_119
.LBB1568_117:                           ; =>This Inner Loop Header: Depth=1
	s_or_b64 s[42:43], s[42:43], exec
	s_cmp_eq_u64 s[38:39], s[44:45]
	s_cbranch_scc0 .LBB1568_115
; %bb.118:                              ;   in Loop: Header=BB1568_117 Depth=1
                                        ; implicit-def: $vgpr16_vgpr17
                                        ; implicit-def: $vgpr18_vgpr19
	s_mov_b64 s[44:45], s[26:27]
	s_branch .LBB1568_116
.LBB1568_119:
	s_or_b64 exec, exec, s[40:41]
	v_cmp_gt_i64_e32 vcc, s[26:27], v[20:21]
	s_orn2_b64 s[38:39], vcc, exec
.LBB1568_120:
	s_or_b64 exec, exec, s[14:15]
.LBB1568_121:
	s_and_b64 s[14:15], s[38:39], exec
.LBB1568_122:
	s_or_b64 exec, exec, s[36:37]
	v_cmp_gt_u32_e32 vcc, s3, v28
	s_and_saveexec_b64 s[36:37], vcc
	s_cbranch_execz .LBB1568_133
; %bb.123:
	s_and_b64 vcc, exec, s[4:5]
	s_mov_b64 s[38:39], 0
	s_cbranch_vccnz .LBB1568_132
; %bb.124:
	s_waitcnt lgkmcnt(0)
	v_mul_lo_u32 v18, v7, s26
	v_mul_lo_u32 v19, v6, s27
	v_mad_u64_u32 v[16:17], s[18:19], v6, s26, 0
	v_add3_u32 v17, v17, v19, v18
	v_mul_lo_u32 v18, v9, s26
	v_mul_lo_u32 v19, v8, s27
	v_mad_u64_u32 v[20:21], s[18:19], v8, s26, 0
	v_add3_u32 v21, v21, v19, v18
	v_lshl_add_u64 v[18:19], v[16:17], 2, s[28:29]
	v_lshl_add_u64 v[16:17], v[20:21], 2, s[28:29]
	global_load_dword v20, v[18:19], off
	global_load_dword v21, v[16:17], off
	s_mov_b64 s[38:39], -1
	s_waitcnt vmcnt(0)
	v_cmp_eq_u32_e32 vcc, v20, v21
	s_and_saveexec_b64 s[18:19], vcc
	s_cbranch_execz .LBB1568_131
; %bb.125:
	s_add_u32 s38, s26, -1
	v_lshl_add_u64 v[16:17], v[16:17], 0, 4
	v_lshl_add_u64 v[18:19], v[18:19], 0, 4
	s_addc_u32 s39, s27, -1
	s_mov_b64 s[40:41], 0
	s_mov_b64 s[44:45], 0
                                        ; implicit-def: $sgpr42_sgpr43
	s_branch .LBB1568_128
.LBB1568_126:                           ;   in Loop: Header=BB1568_128 Depth=1
	global_load_dword v20, v[18:19], off
	global_load_dword v21, v[16:17], off
	s_add_u32 s44, s44, 1
	s_addc_u32 s45, s45, 0
	s_andn2_b64 s[42:43], s[42:43], exec
	v_lshl_add_u64 v[16:17], v[16:17], 0, 4
	v_lshl_add_u64 v[18:19], v[18:19], 0, 4
	s_waitcnt vmcnt(0)
	v_cmp_ne_u32_e32 vcc, v20, v21
	s_and_b64 s[46:47], vcc, exec
	s_or_b64 s[42:43], s[42:43], s[46:47]
.LBB1568_127:                           ;   in Loop: Header=BB1568_128 Depth=1
	s_and_b64 s[46:47], exec, s[42:43]
	s_or_b64 s[40:41], s[46:47], s[40:41]
	v_mov_b64_e32 v[20:21], s[44:45]
	s_andn2_b64 exec, exec, s[40:41]
	s_cbranch_execz .LBB1568_130
.LBB1568_128:                           ; =>This Inner Loop Header: Depth=1
	s_or_b64 s[42:43], s[42:43], exec
	s_cmp_eq_u64 s[38:39], s[44:45]
	s_cbranch_scc0 .LBB1568_126
; %bb.129:                              ;   in Loop: Header=BB1568_128 Depth=1
                                        ; implicit-def: $vgpr16_vgpr17
                                        ; implicit-def: $vgpr18_vgpr19
	s_mov_b64 s[44:45], s[26:27]
	s_branch .LBB1568_127
.LBB1568_130:
	s_or_b64 exec, exec, s[40:41]
	v_cmp_gt_i64_e32 vcc, s[26:27], v[20:21]
	s_orn2_b64 s[38:39], vcc, exec
.LBB1568_131:
	s_or_b64 exec, exec, s[18:19]
.LBB1568_132:
	s_and_b64 s[18:19], s[38:39], exec
.LBB1568_133:
	s_or_b64 exec, exec, s[36:37]
	v_cmp_gt_u32_e32 vcc, s3, v24
	s_mov_b64 s[36:37], 0
	s_mov_b64 s[38:39], 0
	s_and_saveexec_b64 s[40:41], vcc
	s_cbranch_execz .LBB1568_144
; %bb.134:
	s_and_b64 vcc, exec, s[4:5]
	s_mov_b64 s[42:43], 0
	s_cbranch_vccnz .LBB1568_143
; %bb.135:
	s_waitcnt lgkmcnt(0)
	v_mul_lo_u32 v18, v13, s26
	v_mul_lo_u32 v19, v12, s27
	v_mad_u64_u32 v[16:17], s[38:39], v12, s26, 0
	v_add3_u32 v17, v17, v19, v18
	v_mul_lo_u32 v18, v7, s26
	v_mul_lo_u32 v19, v6, s27
	v_mad_u64_u32 v[20:21], s[38:39], v6, s26, 0
	v_add3_u32 v21, v21, v19, v18
	v_lshl_add_u64 v[18:19], v[16:17], 2, s[28:29]
	v_lshl_add_u64 v[16:17], v[20:21], 2, s[28:29]
	global_load_dword v20, v[18:19], off
	global_load_dword v21, v[16:17], off
	s_mov_b64 s[42:43], -1
	s_waitcnt vmcnt(0)
	v_cmp_eq_u32_e32 vcc, v20, v21
	s_and_saveexec_b64 s[38:39], vcc
	s_cbranch_execz .LBB1568_142
; %bb.136:
	s_add_u32 s42, s26, -1
	v_lshl_add_u64 v[16:17], v[16:17], 0, 4
	v_lshl_add_u64 v[18:19], v[18:19], 0, 4
	s_addc_u32 s43, s27, -1
	s_mov_b64 s[44:45], 0
	s_mov_b64 s[48:49], 0
                                        ; implicit-def: $sgpr46_sgpr47
	s_branch .LBB1568_139
.LBB1568_137:                           ;   in Loop: Header=BB1568_139 Depth=1
	global_load_dword v20, v[18:19], off
	global_load_dword v21, v[16:17], off
	s_add_u32 s48, s48, 1
	s_addc_u32 s49, s49, 0
	s_andn2_b64 s[46:47], s[46:47], exec
	v_lshl_add_u64 v[16:17], v[16:17], 0, 4
	v_lshl_add_u64 v[18:19], v[18:19], 0, 4
	s_waitcnt vmcnt(0)
	v_cmp_ne_u32_e32 vcc, v20, v21
	s_and_b64 s[50:51], vcc, exec
	s_or_b64 s[46:47], s[46:47], s[50:51]
.LBB1568_138:                           ;   in Loop: Header=BB1568_139 Depth=1
	s_and_b64 s[50:51], exec, s[46:47]
	s_or_b64 s[44:45], s[50:51], s[44:45]
	v_mov_b64_e32 v[20:21], s[48:49]
	s_andn2_b64 exec, exec, s[44:45]
	s_cbranch_execz .LBB1568_141
.LBB1568_139:                           ; =>This Inner Loop Header: Depth=1
	s_or_b64 s[46:47], s[46:47], exec
	s_cmp_eq_u64 s[42:43], s[48:49]
	s_cbranch_scc0 .LBB1568_137
; %bb.140:                              ;   in Loop: Header=BB1568_139 Depth=1
                                        ; implicit-def: $vgpr16_vgpr17
                                        ; implicit-def: $vgpr18_vgpr19
	s_mov_b64 s[48:49], s[26:27]
	s_branch .LBB1568_138
.LBB1568_141:
	s_or_b64 exec, exec, s[44:45]
	v_cmp_gt_i64_e32 vcc, s[26:27], v[20:21]
	s_orn2_b64 s[42:43], vcc, exec
.LBB1568_142:
	s_or_b64 exec, exec, s[38:39]
.LBB1568_143:
	s_and_b64 s[38:39], s[42:43], exec
.LBB1568_144:
	s_or_b64 exec, exec, s[40:41]
	v_cmp_gt_u32_e32 vcc, s3, v25
	s_and_saveexec_b64 s[40:41], vcc
	s_cbranch_execz .LBB1568_155
; %bb.145:
	s_and_b64 vcc, exec, s[4:5]
	s_mov_b64 s[42:43], 0
	s_cbranch_vccnz .LBB1568_154
; %bb.146:
	s_waitcnt lgkmcnt(0)
	v_mul_lo_u32 v18, v11, s26
	v_mul_lo_u32 v19, v10, s27
	v_mad_u64_u32 v[16:17], s[36:37], v10, s26, 0
	v_add3_u32 v17, v17, v19, v18
	v_mul_lo_u32 v18, v13, s26
	v_mul_lo_u32 v19, v12, s27
	v_mad_u64_u32 v[20:21], s[36:37], v12, s26, 0
	v_add3_u32 v21, v21, v19, v18
	v_lshl_add_u64 v[18:19], v[16:17], 2, s[28:29]
	v_lshl_add_u64 v[16:17], v[20:21], 2, s[28:29]
	global_load_dword v20, v[18:19], off
	global_load_dword v21, v[16:17], off
	s_mov_b64 s[42:43], -1
	s_waitcnt vmcnt(0)
	v_cmp_eq_u32_e32 vcc, v20, v21
	s_and_saveexec_b64 s[36:37], vcc
	s_cbranch_execz .LBB1568_153
; %bb.147:
	s_add_u32 s42, s26, -1
	v_lshl_add_u64 v[16:17], v[16:17], 0, 4
	v_lshl_add_u64 v[18:19], v[18:19], 0, 4
	s_addc_u32 s43, s27, -1
	s_mov_b64 s[44:45], 0
	s_mov_b64 s[48:49], 0
                                        ; implicit-def: $sgpr46_sgpr47
	s_branch .LBB1568_150
.LBB1568_148:                           ;   in Loop: Header=BB1568_150 Depth=1
	global_load_dword v20, v[18:19], off
	global_load_dword v21, v[16:17], off
	s_add_u32 s48, s48, 1
	s_addc_u32 s49, s49, 0
	s_andn2_b64 s[46:47], s[46:47], exec
	v_lshl_add_u64 v[16:17], v[16:17], 0, 4
	v_lshl_add_u64 v[18:19], v[18:19], 0, 4
	s_waitcnt vmcnt(0)
	v_cmp_ne_u32_e32 vcc, v20, v21
	s_and_b64 s[50:51], vcc, exec
	s_or_b64 s[46:47], s[46:47], s[50:51]
.LBB1568_149:                           ;   in Loop: Header=BB1568_150 Depth=1
	s_and_b64 s[50:51], exec, s[46:47]
	s_or_b64 s[44:45], s[50:51], s[44:45]
	v_mov_b64_e32 v[20:21], s[48:49]
	s_andn2_b64 exec, exec, s[44:45]
	s_cbranch_execz .LBB1568_152
.LBB1568_150:                           ; =>This Inner Loop Header: Depth=1
	s_or_b64 s[46:47], s[46:47], exec
	s_cmp_eq_u64 s[42:43], s[48:49]
	s_cbranch_scc0 .LBB1568_148
; %bb.151:                              ;   in Loop: Header=BB1568_150 Depth=1
                                        ; implicit-def: $vgpr16_vgpr17
                                        ; implicit-def: $vgpr18_vgpr19
	s_mov_b64 s[48:49], s[26:27]
	s_branch .LBB1568_149
.LBB1568_152:
	s_or_b64 exec, exec, s[44:45]
	v_cmp_gt_i64_e32 vcc, s[26:27], v[20:21]
	s_orn2_b64 s[42:43], vcc, exec
.LBB1568_153:
	s_or_b64 exec, exec, s[36:37]
.LBB1568_154:
	s_and_b64 s[36:37], s[42:43], exec
.LBB1568_155:
	s_or_b64 exec, exec, s[40:41]
	v_cmp_ne_u32_e32 vcc, 0, v0
	s_waitcnt lgkmcnt(0)
	v_mov_b64_e32 v[16:17], s[6:7]
	s_barrier
	s_and_saveexec_b64 s[6:7], vcc
	s_cbranch_execz .LBB1568_157
; %bb.156:
	v_add_u32_e32 v16, -8, v31
	ds_read_b64 v[16:17], v16
.LBB1568_157:
	s_or_b64 exec, exec, s[6:7]
	v_cndmask_b32_e64 v19, 0, 1, s[18:19]
	v_cndmask_b32_e64 v18, 0, 1, s[38:39]
	;; [unrolled: 1-line block ×3, first 2 shown]
	v_lshlrev_b16_e32 v19, 8, v19
	v_cmp_gt_u32_e32 vcc, s3, v1
	v_lshlrev_b16_e32 v22, 8, v20
	v_or_b32_sdwa v23, v18, v19 dst_sel:WORD_1 dst_unused:UNUSED_PAD src0_sel:DWORD src1_sel:DWORD
	s_mov_b64 s[18:19], 0
	s_and_saveexec_b64 s[6:7], vcc
	s_cbranch_execz .LBB1568_168
; %bb.158:
	s_and_b64 vcc, exec, s[4:5]
	s_cbranch_vccnz .LBB1568_167
; %bb.159:
	s_waitcnt lgkmcnt(0)
	v_mul_lo_u32 v18, v17, s26
	v_mul_lo_u32 v19, v16, s27
	v_mad_u64_u32 v[16:17], s[4:5], v16, s26, 0
	v_add3_u32 v17, v17, v19, v18
	v_mul_lo_u32 v18, v11, s26
	v_mul_lo_u32 v19, v10, s27
	v_mad_u64_u32 v[20:21], s[4:5], v10, s26, 0
	v_add3_u32 v21, v21, v19, v18
	v_lshl_add_u64 v[18:19], v[16:17], 2, s[28:29]
	v_lshl_add_u64 v[16:17], v[20:21], 2, s[28:29]
	global_load_dword v20, v[18:19], off
	global_load_dword v21, v[16:17], off
	s_mov_b64 s[18:19], -1
	s_waitcnt vmcnt(0)
	v_cmp_eq_u32_e32 vcc, v20, v21
	s_and_saveexec_b64 s[4:5], vcc
	s_cbranch_execz .LBB1568_166
; %bb.160:
	s_add_u32 s18, s26, -1
	v_lshl_add_u64 v[16:17], v[16:17], 0, 4
	v_lshl_add_u64 v[18:19], v[18:19], 0, 4
	s_addc_u32 s19, s27, -1
	s_mov_b64 s[36:37], 0
	s_mov_b64 s[40:41], 0
                                        ; implicit-def: $sgpr38_sgpr39
	s_branch .LBB1568_163
.LBB1568_161:                           ;   in Loop: Header=BB1568_163 Depth=1
	global_load_dword v20, v[18:19], off
	global_load_dword v21, v[16:17], off
	s_add_u32 s40, s40, 1
	s_addc_u32 s41, s41, 0
	s_andn2_b64 s[38:39], s[38:39], exec
	v_lshl_add_u64 v[16:17], v[16:17], 0, 4
	v_lshl_add_u64 v[18:19], v[18:19], 0, 4
	s_waitcnt vmcnt(0)
	v_cmp_ne_u32_e32 vcc, v20, v21
	s_and_b64 s[42:43], vcc, exec
	s_or_b64 s[38:39], s[38:39], s[42:43]
.LBB1568_162:                           ;   in Loop: Header=BB1568_163 Depth=1
	s_and_b64 s[42:43], exec, s[38:39]
	s_or_b64 s[36:37], s[42:43], s[36:37]
	v_mov_b64_e32 v[20:21], s[40:41]
	s_andn2_b64 exec, exec, s[36:37]
	s_cbranch_execz .LBB1568_165
.LBB1568_163:                           ; =>This Inner Loop Header: Depth=1
	s_or_b64 s[38:39], s[38:39], exec
	s_cmp_eq_u64 s[18:19], s[40:41]
	s_cbranch_scc0 .LBB1568_161
; %bb.164:                              ;   in Loop: Header=BB1568_163 Depth=1
                                        ; implicit-def: $vgpr16_vgpr17
                                        ; implicit-def: $vgpr18_vgpr19
	s_mov_b64 s[40:41], s[26:27]
	s_branch .LBB1568_162
.LBB1568_165:
	s_or_b64 exec, exec, s[36:37]
	v_cmp_gt_i64_e32 vcc, s[26:27], v[20:21]
	s_orn2_b64 s[18:19], vcc, exec
.LBB1568_166:
	s_or_b64 exec, exec, s[4:5]
.LBB1568_167:
	s_and_b64 s[18:19], s[18:19], exec
.LBB1568_168:
	s_or_b64 exec, exec, s[6:7]
	v_cndmask_b32_e64 v32, 0, 1, s[14:15]
	v_cndmask_b32_e64 v33, 0, 1, s[12:13]
	;; [unrolled: 1-line block ×3, first 2 shown]
	v_or_b32_e32 v20, v22, v23
.LBB1568_169:
	s_mov_b64 s[10:11], -1
	s_cbranch_execnz .LBB1568_28
.LBB1568_170:
	s_movk_i32 s4, 0xffd0
	v_mad_i32_i24 v30, v0, s4, v30
	s_mov_b64 s[12:13], 0
	s_waitcnt lgkmcnt(0)
	v_cmp_gt_i64_e64 s[6:7], s[26:27], 0
	s_and_b64 vcc, exec, s[34:35]
	ds_write_b64 v30, v[14:15]
	s_cbranch_vccz .LBB1568_178
; %bb.171:
	v_mul_lo_u32 v18, v5, s26
	v_mul_lo_u32 v19, v4, s27
	v_mad_u64_u32 v[16:17], s[4:5], v4, s26, 0
	v_add3_u32 v17, v17, v19, v18
	v_cndmask_b32_e64 v18, 0, 1, s[6:7]
	v_cmp_ne_u32_e64 s[4:5], 1, v18
	s_andn2_b64 vcc, exec, s[6:7]
	v_lshl_add_u64 v[16:17], v[16:17], 2, s[28:29]
	s_cbranch_vccnz .LBB1568_181
; %bb.172:
	v_mul_lo_u32 v20, v15, s26
	v_mul_lo_u32 v21, v14, s27
	v_mad_u64_u32 v[18:19], s[12:13], v14, s26, 0
	v_add3_u32 v19, v19, v21, v20
	v_lshl_add_u64 v[18:19], v[18:19], 2, s[28:29]
	global_load_dword v20, v[16:17], off
	global_load_dword v21, v[18:19], off
	s_mov_b64 s[12:13], -1
	s_waitcnt vmcnt(0)
	v_cmp_eq_u32_e32 vcc, v20, v21
	s_and_saveexec_b64 s[14:15], vcc
	s_cbranch_execz .LBB1568_180
; %bb.173:
	s_add_u32 s12, s26, -1
	v_lshl_add_u64 v[18:19], v[18:19], 0, 4
	v_lshl_add_u64 v[20:21], v[16:17], 0, 4
	s_addc_u32 s13, s27, -1
	s_mov_b64 s[18:19], 0
	s_mov_b64 s[38:39], 0
                                        ; implicit-def: $sgpr36_sgpr37
	s_branch .LBB1568_176
.LBB1568_174:                           ;   in Loop: Header=BB1568_176 Depth=1
	global_load_dword v22, v[20:21], off
	global_load_dword v23, v[18:19], off
	s_add_u32 s38, s38, 1
	s_addc_u32 s39, s39, 0
	s_andn2_b64 s[36:37], s[36:37], exec
	v_lshl_add_u64 v[18:19], v[18:19], 0, 4
	v_lshl_add_u64 v[20:21], v[20:21], 0, 4
	s_waitcnt vmcnt(0)
	v_cmp_ne_u32_e32 vcc, v22, v23
	s_and_b64 s[40:41], vcc, exec
	s_or_b64 s[36:37], s[36:37], s[40:41]
.LBB1568_175:                           ;   in Loop: Header=BB1568_176 Depth=1
	s_and_b64 s[40:41], exec, s[36:37]
	s_or_b64 s[18:19], s[40:41], s[18:19]
	v_mov_b64_e32 v[22:23], s[38:39]
	s_andn2_b64 exec, exec, s[18:19]
	s_cbranch_execz .LBB1568_179
.LBB1568_176:                           ; =>This Inner Loop Header: Depth=1
	s_or_b64 s[36:37], s[36:37], exec
	s_cmp_eq_u64 s[12:13], s[38:39]
	s_cbranch_scc0 .LBB1568_174
; %bb.177:                              ;   in Loop: Header=BB1568_176 Depth=1
                                        ; implicit-def: $vgpr18_vgpr19
                                        ; implicit-def: $vgpr20_vgpr21
	s_mov_b64 s[38:39], s[26:27]
	s_branch .LBB1568_175
.LBB1568_178:
                                        ; implicit-def: $sgpr18_sgpr19
                                        ; implicit-def: $vgpr34
                                        ; implicit-def: $vgpr33
                                        ; implicit-def: $vgpr32
                                        ; implicit-def: $vgpr20
                                        ; implicit-def: $vgpr16_vgpr17
	s_cbranch_execnz .LBB1568_238
	s_branch .LBB1568_318
.LBB1568_179:
	s_or_b64 exec, exec, s[18:19]
	v_cmp_gt_i64_e32 vcc, s[26:27], v[22:23]
	s_orn2_b64 s[12:13], vcc, exec
.LBB1568_180:
	s_or_b64 exec, exec, s[14:15]
.LBB1568_181:
	v_mul_lo_u32 v20, v3, s26
	v_mul_lo_u32 v21, v2, s27
	v_mad_u64_u32 v[18:19], s[14:15], v2, s26, 0
	v_add3_u32 v19, v19, v21, v20
	s_mov_b64 s[14:15], 0
	s_and_b64 vcc, exec, s[4:5]
	v_lshl_add_u64 v[18:19], v[18:19], 2, s[28:29]
	s_mov_b64 s[18:19], 0
	s_cbranch_vccnz .LBB1568_190
; %bb.182:
	global_load_dword v20, v[18:19], off
	global_load_dword v21, v[16:17], off
	s_mov_b64 s[18:19], -1
	s_waitcnt vmcnt(0)
	v_cmp_eq_u32_e32 vcc, v20, v21
	s_and_saveexec_b64 s[36:37], vcc
	s_cbranch_execz .LBB1568_189
; %bb.183:
	s_add_u32 s18, s26, -1
	v_lshl_add_u64 v[16:17], v[16:17], 0, 4
	v_lshl_add_u64 v[20:21], v[18:19], 0, 4
	s_addc_u32 s19, s27, -1
	s_mov_b64 s[38:39], 0
	s_mov_b64 s[42:43], 0
                                        ; implicit-def: $sgpr40_sgpr41
	s_branch .LBB1568_186
.LBB1568_184:                           ;   in Loop: Header=BB1568_186 Depth=1
	global_load_dword v22, v[20:21], off
	global_load_dword v23, v[16:17], off
	s_add_u32 s42, s42, 1
	s_addc_u32 s43, s43, 0
	s_andn2_b64 s[40:41], s[40:41], exec
	v_lshl_add_u64 v[16:17], v[16:17], 0, 4
	v_lshl_add_u64 v[20:21], v[20:21], 0, 4
	s_waitcnt vmcnt(0)
	v_cmp_ne_u32_e32 vcc, v22, v23
	s_and_b64 s[44:45], vcc, exec
	s_or_b64 s[40:41], s[40:41], s[44:45]
.LBB1568_185:                           ;   in Loop: Header=BB1568_186 Depth=1
	s_and_b64 s[44:45], exec, s[40:41]
	s_or_b64 s[38:39], s[44:45], s[38:39]
	v_mov_b64_e32 v[22:23], s[42:43]
	s_andn2_b64 exec, exec, s[38:39]
	s_cbranch_execz .LBB1568_188
.LBB1568_186:                           ; =>This Inner Loop Header: Depth=1
	s_or_b64 s[40:41], s[40:41], exec
	s_cmp_eq_u64 s[18:19], s[42:43]
	s_cbranch_scc0 .LBB1568_184
; %bb.187:                              ;   in Loop: Header=BB1568_186 Depth=1
                                        ; implicit-def: $vgpr16_vgpr17
                                        ; implicit-def: $vgpr20_vgpr21
	s_mov_b64 s[42:43], s[26:27]
	s_branch .LBB1568_185
.LBB1568_188:
	s_or_b64 exec, exec, s[38:39]
	v_cmp_gt_i64_e32 vcc, s[26:27], v[22:23]
	s_orn2_b64 s[18:19], vcc, exec
.LBB1568_189:
	s_or_b64 exec, exec, s[36:37]
.LBB1568_190:
	v_mul_lo_u32 v20, v9, s26
	v_mul_lo_u32 v21, v8, s27
	v_mad_u64_u32 v[16:17], s[36:37], v8, s26, 0
	v_add3_u32 v17, v17, v21, v20
	s_and_b64 vcc, exec, s[4:5]
	v_lshl_add_u64 v[16:17], v[16:17], 2, s[28:29]
	s_cbranch_vccnz .LBB1568_199
; %bb.191:
	global_load_dword v20, v[16:17], off
	global_load_dword v21, v[18:19], off
	s_mov_b64 s[14:15], -1
	s_waitcnt vmcnt(0)
	v_cmp_eq_u32_e32 vcc, v20, v21
	s_and_saveexec_b64 s[36:37], vcc
	s_cbranch_execz .LBB1568_198
; %bb.192:
	s_add_u32 s14, s26, -1
	v_lshl_add_u64 v[18:19], v[18:19], 0, 4
	v_lshl_add_u64 v[20:21], v[16:17], 0, 4
	s_addc_u32 s15, s27, -1
	s_mov_b64 s[38:39], 0
	s_mov_b64 s[42:43], 0
                                        ; implicit-def: $sgpr40_sgpr41
	s_branch .LBB1568_195
.LBB1568_193:                           ;   in Loop: Header=BB1568_195 Depth=1
	global_load_dword v22, v[20:21], off
	global_load_dword v23, v[18:19], off
	s_add_u32 s42, s42, 1
	s_addc_u32 s43, s43, 0
	s_andn2_b64 s[40:41], s[40:41], exec
	v_lshl_add_u64 v[18:19], v[18:19], 0, 4
	v_lshl_add_u64 v[20:21], v[20:21], 0, 4
	s_waitcnt vmcnt(0)
	v_cmp_ne_u32_e32 vcc, v22, v23
	s_and_b64 s[44:45], vcc, exec
	s_or_b64 s[40:41], s[40:41], s[44:45]
.LBB1568_194:                           ;   in Loop: Header=BB1568_195 Depth=1
	s_and_b64 s[44:45], exec, s[40:41]
	s_or_b64 s[38:39], s[44:45], s[38:39]
	v_mov_b64_e32 v[22:23], s[42:43]
	s_andn2_b64 exec, exec, s[38:39]
	s_cbranch_execz .LBB1568_197
.LBB1568_195:                           ; =>This Inner Loop Header: Depth=1
	s_or_b64 s[40:41], s[40:41], exec
	s_cmp_eq_u64 s[14:15], s[42:43]
	s_cbranch_scc0 .LBB1568_193
; %bb.196:                              ;   in Loop: Header=BB1568_195 Depth=1
                                        ; implicit-def: $vgpr18_vgpr19
                                        ; implicit-def: $vgpr20_vgpr21
	s_mov_b64 s[42:43], s[26:27]
	s_branch .LBB1568_194
.LBB1568_197:
	s_or_b64 exec, exec, s[38:39]
	v_cmp_gt_i64_e32 vcc, s[26:27], v[22:23]
	s_orn2_b64 s[14:15], vcc, exec
.LBB1568_198:
	s_or_b64 exec, exec, s[36:37]
.LBB1568_199:
	v_mul_lo_u32 v20, v7, s26
	v_mul_lo_u32 v21, v6, s27
	v_mad_u64_u32 v[18:19], s[36:37], v6, s26, 0
	v_add3_u32 v19, v19, v21, v20
	s_mov_b64 s[36:37], 0
	s_and_b64 vcc, exec, s[4:5]
	v_lshl_add_u64 v[18:19], v[18:19], 2, s[28:29]
	s_mov_b64 s[38:39], 0
	s_cbranch_vccnz .LBB1568_208
; %bb.200:
	global_load_dword v20, v[18:19], off
	global_load_dword v21, v[16:17], off
	s_mov_b64 s[38:39], -1
	s_waitcnt vmcnt(0)
	v_cmp_eq_u32_e32 vcc, v20, v21
	s_and_saveexec_b64 s[40:41], vcc
	s_cbranch_execz .LBB1568_207
; %bb.201:
	s_add_u32 s38, s26, -1
	v_lshl_add_u64 v[16:17], v[16:17], 0, 4
	v_lshl_add_u64 v[20:21], v[18:19], 0, 4
	s_addc_u32 s39, s27, -1
	s_mov_b64 s[42:43], 0
	s_mov_b64 s[46:47], 0
                                        ; implicit-def: $sgpr44_sgpr45
	s_branch .LBB1568_204
.LBB1568_202:                           ;   in Loop: Header=BB1568_204 Depth=1
	global_load_dword v22, v[20:21], off
	global_load_dword v23, v[16:17], off
	s_add_u32 s46, s46, 1
	s_addc_u32 s47, s47, 0
	s_andn2_b64 s[44:45], s[44:45], exec
	v_lshl_add_u64 v[16:17], v[16:17], 0, 4
	v_lshl_add_u64 v[20:21], v[20:21], 0, 4
	s_waitcnt vmcnt(0)
	v_cmp_ne_u32_e32 vcc, v22, v23
	s_and_b64 s[48:49], vcc, exec
	s_or_b64 s[44:45], s[44:45], s[48:49]
.LBB1568_203:                           ;   in Loop: Header=BB1568_204 Depth=1
	s_and_b64 s[48:49], exec, s[44:45]
	s_or_b64 s[42:43], s[48:49], s[42:43]
	v_mov_b64_e32 v[22:23], s[46:47]
	s_andn2_b64 exec, exec, s[42:43]
	s_cbranch_execz .LBB1568_206
.LBB1568_204:                           ; =>This Inner Loop Header: Depth=1
	s_or_b64 s[44:45], s[44:45], exec
	s_cmp_eq_u64 s[38:39], s[46:47]
	s_cbranch_scc0 .LBB1568_202
; %bb.205:                              ;   in Loop: Header=BB1568_204 Depth=1
                                        ; implicit-def: $vgpr16_vgpr17
                                        ; implicit-def: $vgpr20_vgpr21
	s_mov_b64 s[46:47], s[26:27]
	s_branch .LBB1568_203
.LBB1568_206:
	s_or_b64 exec, exec, s[42:43]
	v_cmp_gt_i64_e32 vcc, s[26:27], v[22:23]
	s_orn2_b64 s[38:39], vcc, exec
.LBB1568_207:
	s_or_b64 exec, exec, s[40:41]
.LBB1568_208:
	v_mul_lo_u32 v20, v13, s26
	v_mul_lo_u32 v21, v12, s27
	v_mad_u64_u32 v[16:17], s[40:41], v12, s26, 0
	v_add3_u32 v17, v17, v21, v20
	s_and_b64 vcc, exec, s[4:5]
	v_lshl_add_u64 v[16:17], v[16:17], 2, s[28:29]
	s_cbranch_vccnz .LBB1568_217
; %bb.209:
	global_load_dword v20, v[16:17], off
	global_load_dword v21, v[18:19], off
	s_mov_b64 s[36:37], -1
	s_waitcnt vmcnt(0)
	v_cmp_eq_u32_e32 vcc, v20, v21
	s_and_saveexec_b64 s[40:41], vcc
	s_cbranch_execz .LBB1568_216
; %bb.210:
	s_add_u32 s36, s26, -1
	v_lshl_add_u64 v[18:19], v[18:19], 0, 4
	v_lshl_add_u64 v[20:21], v[16:17], 0, 4
	s_addc_u32 s37, s27, -1
	s_mov_b64 s[42:43], 0
	s_mov_b64 s[46:47], 0
                                        ; implicit-def: $sgpr44_sgpr45
	s_branch .LBB1568_213
.LBB1568_211:                           ;   in Loop: Header=BB1568_213 Depth=1
	global_load_dword v22, v[20:21], off
	global_load_dword v23, v[18:19], off
	s_add_u32 s46, s46, 1
	s_addc_u32 s47, s47, 0
	s_andn2_b64 s[44:45], s[44:45], exec
	v_lshl_add_u64 v[18:19], v[18:19], 0, 4
	v_lshl_add_u64 v[20:21], v[20:21], 0, 4
	s_waitcnt vmcnt(0)
	v_cmp_ne_u32_e32 vcc, v22, v23
	s_and_b64 s[48:49], vcc, exec
	s_or_b64 s[44:45], s[44:45], s[48:49]
.LBB1568_212:                           ;   in Loop: Header=BB1568_213 Depth=1
	s_and_b64 s[48:49], exec, s[44:45]
	s_or_b64 s[42:43], s[48:49], s[42:43]
	v_mov_b64_e32 v[22:23], s[46:47]
	s_andn2_b64 exec, exec, s[42:43]
	s_cbranch_execz .LBB1568_215
.LBB1568_213:                           ; =>This Inner Loop Header: Depth=1
	s_or_b64 s[44:45], s[44:45], exec
	s_cmp_eq_u64 s[36:37], s[46:47]
	s_cbranch_scc0 .LBB1568_211
; %bb.214:                              ;   in Loop: Header=BB1568_213 Depth=1
                                        ; implicit-def: $vgpr18_vgpr19
                                        ; implicit-def: $vgpr20_vgpr21
	s_mov_b64 s[46:47], s[26:27]
	s_branch .LBB1568_212
.LBB1568_215:
	s_or_b64 exec, exec, s[42:43]
	v_cmp_gt_i64_e32 vcc, s[26:27], v[22:23]
	s_orn2_b64 s[36:37], vcc, exec
.LBB1568_216:
	s_or_b64 exec, exec, s[40:41]
.LBB1568_217:
	v_mul_lo_u32 v20, v11, s26
	v_mul_lo_u32 v21, v10, s27
	v_mad_u64_u32 v[18:19], s[40:41], v10, s26, 0
	v_add3_u32 v19, v19, v21, v20
	s_and_b64 vcc, exec, s[4:5]
	s_mov_b64 s[42:43], 0
	s_cbranch_vccnz .LBB1568_226
; %bb.218:
	v_lshl_add_u64 v[20:21], v[18:19], 2, s[28:29]
	global_load_dword v22, v[20:21], off
	global_load_dword v23, v[16:17], off
	s_mov_b64 s[42:43], -1
	s_waitcnt vmcnt(0)
	v_cmp_eq_u32_e32 vcc, v22, v23
	s_and_saveexec_b64 s[40:41], vcc
	s_cbranch_execz .LBB1568_225
; %bb.219:
	s_add_u32 s42, s26, -1
	v_lshl_add_u64 v[16:17], v[16:17], 0, 4
	v_lshl_add_u64 v[20:21], v[20:21], 0, 4
	s_addc_u32 s43, s27, -1
	s_mov_b64 s[44:45], 0
	s_mov_b64 s[48:49], 0
                                        ; implicit-def: $sgpr46_sgpr47
	s_branch .LBB1568_222
.LBB1568_220:                           ;   in Loop: Header=BB1568_222 Depth=1
	global_load_dword v22, v[20:21], off
	global_load_dword v23, v[16:17], off
	s_add_u32 s48, s48, 1
	s_addc_u32 s49, s49, 0
	s_andn2_b64 s[46:47], s[46:47], exec
	v_lshl_add_u64 v[16:17], v[16:17], 0, 4
	v_lshl_add_u64 v[20:21], v[20:21], 0, 4
	s_waitcnt vmcnt(0)
	v_cmp_ne_u32_e32 vcc, v22, v23
	s_and_b64 s[50:51], vcc, exec
	s_or_b64 s[46:47], s[46:47], s[50:51]
.LBB1568_221:                           ;   in Loop: Header=BB1568_222 Depth=1
	s_and_b64 s[50:51], exec, s[46:47]
	s_or_b64 s[44:45], s[50:51], s[44:45]
	v_mov_b64_e32 v[22:23], s[48:49]
	s_andn2_b64 exec, exec, s[44:45]
	s_cbranch_execz .LBB1568_224
.LBB1568_222:                           ; =>This Inner Loop Header: Depth=1
	s_or_b64 s[46:47], s[46:47], exec
	s_cmp_eq_u64 s[42:43], s[48:49]
	s_cbranch_scc0 .LBB1568_220
; %bb.223:                              ;   in Loop: Header=BB1568_222 Depth=1
                                        ; implicit-def: $vgpr16_vgpr17
                                        ; implicit-def: $vgpr20_vgpr21
	s_mov_b64 s[48:49], s[26:27]
	s_branch .LBB1568_221
.LBB1568_224:
	s_or_b64 exec, exec, s[44:45]
	v_cmp_gt_i64_e32 vcc, s[26:27], v[22:23]
	s_orn2_b64 s[42:43], vcc, exec
.LBB1568_225:
	s_or_b64 exec, exec, s[40:41]
.LBB1568_226:
	v_cndmask_b32_e64 v17, 0, 1, s[38:39]
	v_cndmask_b32_e64 v16, 0, 1, s[36:37]
	;; [unrolled: 1-line block ×3, first 2 shown]
	v_lshlrev_b16_e32 v17, 8, v17
	v_cndmask_b32_e64 v32, 0, 1, s[14:15]
	v_cndmask_b32_e64 v20, 0, 1, s[42:43]
	v_or_b32_sdwa v16, v16, v17 dst_sel:WORD_1 dst_unused:UNUSED_PAD src0_sel:DWORD src1_sel:DWORD
	v_lshlrev_b16_e32 v17, 8, v33
	v_lshlrev_b16_e32 v20, 8, v20
	v_or_b32_e32 v17, v32, v17
	v_or_b32_e32 v20, 1, v20
	v_and_b32_e32 v17, 0xffff, v17
	v_cndmask_b32_e64 v34, 0, 1, s[12:13]
	v_or_b32_sdwa v16, v20, v16 dst_sel:DWORD dst_unused:UNUSED_PAD src0_sel:WORD_0 src1_sel:DWORD
	v_lshl_or_b32 v17, v34, 16, v17
	v_cmp_ne_u32_e32 vcc, 0, v0
	s_waitcnt lgkmcnt(0)
	s_barrier
	s_waitcnt lgkmcnt(0)
                                        ; implicit-def: $sgpr18_sgpr19
                                        ; implicit-def: $vgpr20
	s_and_saveexec_b64 s[12:13], vcc
	s_xor_b64 s[12:13], exec, s[12:13]
	s_cbranch_execz .LBB1568_237
; %bb.227:
	s_mov_b32 s33, 0x3020104
	s_and_b64 vcc, exec, s[4:5]
	s_mov_b64 s[14:15], 0
	s_cbranch_vccnz .LBB1568_236
; %bb.228:
	v_add_u32_e32 v17, -8, v30
	ds_read_b64 v[20:21], v17
	v_lshl_add_u64 v[18:19], v[18:19], 2, s[28:29]
	s_mov_b64 s[14:15], -1
	s_waitcnt lgkmcnt(0)
	v_mul_lo_u32 v17, v21, s26
	v_mul_lo_u32 v22, v20, s27
	v_mad_u64_u32 v[20:21], s[4:5], v20, s26, 0
	v_add3_u32 v21, v21, v22, v17
	v_lshl_add_u64 v[20:21], v[20:21], 2, s[28:29]
	global_load_dword v17, v[20:21], off
	global_load_dword v22, v[18:19], off
	s_waitcnt vmcnt(0)
	v_cmp_eq_u32_e32 vcc, v17, v22
	s_and_saveexec_b64 s[4:5], vcc
	s_cbranch_execz .LBB1568_235
; %bb.229:
	s_add_u32 s14, s26, -1
	v_lshl_add_u64 v[18:19], v[18:19], 0, 4
	v_lshl_add_u64 v[20:21], v[20:21], 0, 4
	s_addc_u32 s15, s27, -1
	s_mov_b64 s[18:19], 0
	s_mov_b64 s[38:39], 0
                                        ; implicit-def: $sgpr36_sgpr37
	s_branch .LBB1568_232
.LBB1568_230:                           ;   in Loop: Header=BB1568_232 Depth=1
	global_load_dword v17, v[20:21], off
	global_load_dword v22, v[18:19], off
	s_add_u32 s38, s38, 1
	s_addc_u32 s39, s39, 0
	s_andn2_b64 s[36:37], s[36:37], exec
	v_lshl_add_u64 v[18:19], v[18:19], 0, 4
	v_lshl_add_u64 v[20:21], v[20:21], 0, 4
	s_waitcnt vmcnt(0)
	v_cmp_ne_u32_e32 vcc, v17, v22
	s_and_b64 s[40:41], vcc, exec
	s_or_b64 s[36:37], s[36:37], s[40:41]
.LBB1568_231:                           ;   in Loop: Header=BB1568_232 Depth=1
	s_and_b64 s[40:41], exec, s[36:37]
	s_or_b64 s[18:19], s[40:41], s[18:19]
	v_mov_b64_e32 v[22:23], s[38:39]
	s_andn2_b64 exec, exec, s[18:19]
	s_cbranch_execz .LBB1568_234
.LBB1568_232:                           ; =>This Inner Loop Header: Depth=1
	s_or_b64 s[36:37], s[36:37], exec
	s_cmp_eq_u64 s[14:15], s[38:39]
	s_cbranch_scc0 .LBB1568_230
; %bb.233:                              ;   in Loop: Header=BB1568_232 Depth=1
                                        ; implicit-def: $vgpr18_vgpr19
                                        ; implicit-def: $vgpr20_vgpr21
	s_mov_b64 s[38:39], s[26:27]
	s_branch .LBB1568_231
.LBB1568_234:
	s_or_b64 exec, exec, s[18:19]
	v_cmp_gt_i64_e32 vcc, s[26:27], v[22:23]
	s_orn2_b64 s[14:15], vcc, exec
.LBB1568_235:
	s_or_b64 exec, exec, s[4:5]
.LBB1568_236:
	v_perm_b32 v20, v16, v16, s33
	s_and_b64 s[18:19], s[14:15], exec
	s_or_b64 s[10:11], s[10:11], exec
                                        ; implicit-def: $vgpr16_vgpr17
.LBB1568_237:
	s_or_b64 exec, exec, s[12:13]
	s_branch .LBB1568_318
.LBB1568_238:
	v_cmp_gt_u32_e32 vcc, s3, v27
	s_mov_b64 s[12:13], 0
	s_mov_b64 s[4:5], 0
	s_and_saveexec_b64 s[14:15], vcc
	s_cbranch_execz .LBB1568_249
; %bb.239:
	s_andn2_b64 vcc, exec, s[6:7]
	s_mov_b64 s[18:19], 0
	s_cbranch_vccnz .LBB1568_248
; %bb.240:
	v_mul_lo_u32 v18, v5, s26
	v_mul_lo_u32 v19, v4, s27
	v_mad_u64_u32 v[16:17], s[4:5], v4, s26, 0
	v_add3_u32 v17, v17, v19, v18
	v_mul_lo_u32 v18, v15, s26
	v_mul_lo_u32 v19, v14, s27
	v_mad_u64_u32 v[20:21], s[4:5], v14, s26, 0
	v_add3_u32 v21, v21, v19, v18
	v_lshl_add_u64 v[18:19], v[16:17], 2, s[28:29]
	v_lshl_add_u64 v[16:17], v[20:21], 2, s[28:29]
	global_load_dword v20, v[18:19], off
	global_load_dword v21, v[16:17], off
	s_mov_b64 s[18:19], -1
	s_waitcnt vmcnt(0)
	v_cmp_eq_u32_e32 vcc, v20, v21
	s_and_saveexec_b64 s[4:5], vcc
	s_cbranch_execz .LBB1568_247
; %bb.241:
	s_add_u32 s18, s26, -1
	v_lshl_add_u64 v[16:17], v[16:17], 0, 4
	v_lshl_add_u64 v[18:19], v[18:19], 0, 4
	s_addc_u32 s19, s27, -1
	s_mov_b64 s[36:37], 0
	s_mov_b64 s[40:41], 0
                                        ; implicit-def: $sgpr38_sgpr39
	s_branch .LBB1568_244
.LBB1568_242:                           ;   in Loop: Header=BB1568_244 Depth=1
	global_load_dword v20, v[18:19], off
	global_load_dword v21, v[16:17], off
	s_add_u32 s40, s40, 1
	s_addc_u32 s41, s41, 0
	s_andn2_b64 s[38:39], s[38:39], exec
	v_lshl_add_u64 v[16:17], v[16:17], 0, 4
	v_lshl_add_u64 v[18:19], v[18:19], 0, 4
	s_waitcnt vmcnt(0)
	v_cmp_ne_u32_e32 vcc, v20, v21
	s_and_b64 s[42:43], vcc, exec
	s_or_b64 s[38:39], s[38:39], s[42:43]
.LBB1568_243:                           ;   in Loop: Header=BB1568_244 Depth=1
	s_and_b64 s[42:43], exec, s[38:39]
	s_or_b64 s[36:37], s[42:43], s[36:37]
	v_mov_b64_e32 v[20:21], s[40:41]
	s_andn2_b64 exec, exec, s[36:37]
	s_cbranch_execz .LBB1568_246
.LBB1568_244:                           ; =>This Inner Loop Header: Depth=1
	s_or_b64 s[38:39], s[38:39], exec
	s_cmp_eq_u64 s[18:19], s[40:41]
	s_cbranch_scc0 .LBB1568_242
; %bb.245:                              ;   in Loop: Header=BB1568_244 Depth=1
                                        ; implicit-def: $vgpr16_vgpr17
                                        ; implicit-def: $vgpr18_vgpr19
	s_mov_b64 s[40:41], s[26:27]
	s_branch .LBB1568_243
.LBB1568_246:
	s_or_b64 exec, exec, s[36:37]
	v_cmp_gt_i64_e32 vcc, s[26:27], v[20:21]
	s_orn2_b64 s[18:19], vcc, exec
.LBB1568_247:
	s_or_b64 exec, exec, s[4:5]
.LBB1568_248:
	s_and_b64 s[4:5], s[18:19], exec
.LBB1568_249:
	s_or_b64 exec, exec, s[14:15]
	v_cmp_gt_u32_e32 vcc, s3, v29
	s_and_saveexec_b64 s[14:15], vcc
	s_cbranch_execz .LBB1568_260
; %bb.250:
	s_andn2_b64 vcc, exec, s[6:7]
	s_mov_b64 s[18:19], 0
	s_cbranch_vccnz .LBB1568_259
; %bb.251:
	v_mul_lo_u32 v18, v3, s26
	v_mul_lo_u32 v19, v2, s27
	v_mad_u64_u32 v[16:17], s[12:13], v2, s26, 0
	v_add3_u32 v17, v17, v19, v18
	v_mul_lo_u32 v18, v5, s26
	v_mul_lo_u32 v19, v4, s27
	v_mad_u64_u32 v[20:21], s[12:13], v4, s26, 0
	v_add3_u32 v21, v21, v19, v18
	v_lshl_add_u64 v[18:19], v[16:17], 2, s[28:29]
	v_lshl_add_u64 v[16:17], v[20:21], 2, s[28:29]
	global_load_dword v20, v[18:19], off
	global_load_dword v21, v[16:17], off
	s_mov_b64 s[18:19], -1
	s_waitcnt vmcnt(0)
	v_cmp_eq_u32_e32 vcc, v20, v21
	s_and_saveexec_b64 s[12:13], vcc
	s_cbranch_execz .LBB1568_258
; %bb.252:
	s_add_u32 s18, s26, -1
	v_lshl_add_u64 v[16:17], v[16:17], 0, 4
	v_lshl_add_u64 v[18:19], v[18:19], 0, 4
	s_addc_u32 s19, s27, -1
	s_mov_b64 s[36:37], 0
	s_mov_b64 s[40:41], 0
                                        ; implicit-def: $sgpr38_sgpr39
	s_branch .LBB1568_255
.LBB1568_253:                           ;   in Loop: Header=BB1568_255 Depth=1
	global_load_dword v20, v[18:19], off
	global_load_dword v21, v[16:17], off
	s_add_u32 s40, s40, 1
	s_addc_u32 s41, s41, 0
	s_andn2_b64 s[38:39], s[38:39], exec
	v_lshl_add_u64 v[16:17], v[16:17], 0, 4
	v_lshl_add_u64 v[18:19], v[18:19], 0, 4
	s_waitcnt vmcnt(0)
	v_cmp_ne_u32_e32 vcc, v20, v21
	s_and_b64 s[42:43], vcc, exec
	s_or_b64 s[38:39], s[38:39], s[42:43]
.LBB1568_254:                           ;   in Loop: Header=BB1568_255 Depth=1
	s_and_b64 s[42:43], exec, s[38:39]
	s_or_b64 s[36:37], s[42:43], s[36:37]
	v_mov_b64_e32 v[20:21], s[40:41]
	s_andn2_b64 exec, exec, s[36:37]
	s_cbranch_execz .LBB1568_257
.LBB1568_255:                           ; =>This Inner Loop Header: Depth=1
	s_or_b64 s[38:39], s[38:39], exec
	s_cmp_eq_u64 s[18:19], s[40:41]
	s_cbranch_scc0 .LBB1568_253
; %bb.256:                              ;   in Loop: Header=BB1568_255 Depth=1
                                        ; implicit-def: $vgpr16_vgpr17
                                        ; implicit-def: $vgpr18_vgpr19
	s_mov_b64 s[40:41], s[26:27]
	s_branch .LBB1568_254
.LBB1568_257:
	s_or_b64 exec, exec, s[36:37]
	v_cmp_gt_i64_e32 vcc, s[26:27], v[20:21]
	s_orn2_b64 s[18:19], vcc, exec
.LBB1568_258:
	s_or_b64 exec, exec, s[12:13]
.LBB1568_259:
	s_and_b64 s[12:13], s[18:19], exec
.LBB1568_260:
	s_or_b64 exec, exec, s[14:15]
	v_cmp_gt_u32_e32 vcc, s3, v26
	s_mov_b64 s[18:19], 0
	s_mov_b64 s[14:15], 0
	s_and_saveexec_b64 s[36:37], vcc
	s_cbranch_execz .LBB1568_271
; %bb.261:
	s_andn2_b64 vcc, exec, s[6:7]
	s_mov_b64 s[38:39], 0
	s_cbranch_vccnz .LBB1568_270
; %bb.262:
	v_mul_lo_u32 v18, v9, s26
	v_mul_lo_u32 v19, v8, s27
	v_mad_u64_u32 v[16:17], s[14:15], v8, s26, 0
	v_add3_u32 v17, v17, v19, v18
	v_mul_lo_u32 v18, v3, s26
	v_mul_lo_u32 v19, v2, s27
	v_mad_u64_u32 v[20:21], s[14:15], v2, s26, 0
	v_add3_u32 v21, v21, v19, v18
	v_lshl_add_u64 v[18:19], v[16:17], 2, s[28:29]
	v_lshl_add_u64 v[16:17], v[20:21], 2, s[28:29]
	global_load_dword v20, v[18:19], off
	global_load_dword v21, v[16:17], off
	s_mov_b64 s[38:39], -1
	s_waitcnt vmcnt(0)
	v_cmp_eq_u32_e32 vcc, v20, v21
	s_and_saveexec_b64 s[14:15], vcc
	s_cbranch_execz .LBB1568_269
; %bb.263:
	s_add_u32 s38, s26, -1
	v_lshl_add_u64 v[16:17], v[16:17], 0, 4
	v_lshl_add_u64 v[18:19], v[18:19], 0, 4
	s_addc_u32 s39, s27, -1
	s_mov_b64 s[40:41], 0
	s_mov_b64 s[44:45], 0
                                        ; implicit-def: $sgpr42_sgpr43
	s_branch .LBB1568_266
.LBB1568_264:                           ;   in Loop: Header=BB1568_266 Depth=1
	global_load_dword v20, v[18:19], off
	global_load_dword v21, v[16:17], off
	s_add_u32 s44, s44, 1
	s_addc_u32 s45, s45, 0
	s_andn2_b64 s[42:43], s[42:43], exec
	v_lshl_add_u64 v[16:17], v[16:17], 0, 4
	v_lshl_add_u64 v[18:19], v[18:19], 0, 4
	s_waitcnt vmcnt(0)
	v_cmp_ne_u32_e32 vcc, v20, v21
	s_and_b64 s[46:47], vcc, exec
	s_or_b64 s[42:43], s[42:43], s[46:47]
.LBB1568_265:                           ;   in Loop: Header=BB1568_266 Depth=1
	s_and_b64 s[46:47], exec, s[42:43]
	s_or_b64 s[40:41], s[46:47], s[40:41]
	v_mov_b64_e32 v[20:21], s[44:45]
	s_andn2_b64 exec, exec, s[40:41]
	s_cbranch_execz .LBB1568_268
.LBB1568_266:                           ; =>This Inner Loop Header: Depth=1
	s_or_b64 s[42:43], s[42:43], exec
	s_cmp_eq_u64 s[38:39], s[44:45]
	s_cbranch_scc0 .LBB1568_264
; %bb.267:                              ;   in Loop: Header=BB1568_266 Depth=1
                                        ; implicit-def: $vgpr16_vgpr17
                                        ; implicit-def: $vgpr18_vgpr19
	s_mov_b64 s[44:45], s[26:27]
	s_branch .LBB1568_265
.LBB1568_268:
	s_or_b64 exec, exec, s[40:41]
	v_cmp_gt_i64_e32 vcc, s[26:27], v[20:21]
	s_orn2_b64 s[38:39], vcc, exec
.LBB1568_269:
	s_or_b64 exec, exec, s[14:15]
.LBB1568_270:
	s_and_b64 s[14:15], s[38:39], exec
.LBB1568_271:
	s_or_b64 exec, exec, s[36:37]
	v_cmp_gt_u32_e32 vcc, s3, v28
	s_and_saveexec_b64 s[36:37], vcc
	s_cbranch_execz .LBB1568_282
; %bb.272:
	s_andn2_b64 vcc, exec, s[6:7]
	s_mov_b64 s[38:39], 0
	s_cbranch_vccnz .LBB1568_281
; %bb.273:
	v_mul_lo_u32 v18, v7, s26
	v_mul_lo_u32 v19, v6, s27
	v_mad_u64_u32 v[16:17], s[18:19], v6, s26, 0
	v_add3_u32 v17, v17, v19, v18
	v_mul_lo_u32 v18, v9, s26
	v_mul_lo_u32 v19, v8, s27
	v_mad_u64_u32 v[20:21], s[18:19], v8, s26, 0
	v_add3_u32 v21, v21, v19, v18
	v_lshl_add_u64 v[18:19], v[16:17], 2, s[28:29]
	v_lshl_add_u64 v[16:17], v[20:21], 2, s[28:29]
	global_load_dword v20, v[18:19], off
	global_load_dword v21, v[16:17], off
	s_mov_b64 s[38:39], -1
	s_waitcnt vmcnt(0)
	v_cmp_eq_u32_e32 vcc, v20, v21
	s_and_saveexec_b64 s[18:19], vcc
	s_cbranch_execz .LBB1568_280
; %bb.274:
	s_add_u32 s38, s26, -1
	v_lshl_add_u64 v[16:17], v[16:17], 0, 4
	v_lshl_add_u64 v[18:19], v[18:19], 0, 4
	s_addc_u32 s39, s27, -1
	s_mov_b64 s[40:41], 0
	s_mov_b64 s[44:45], 0
                                        ; implicit-def: $sgpr42_sgpr43
	s_branch .LBB1568_277
.LBB1568_275:                           ;   in Loop: Header=BB1568_277 Depth=1
	global_load_dword v20, v[18:19], off
	global_load_dword v21, v[16:17], off
	s_add_u32 s44, s44, 1
	s_addc_u32 s45, s45, 0
	s_andn2_b64 s[42:43], s[42:43], exec
	v_lshl_add_u64 v[16:17], v[16:17], 0, 4
	v_lshl_add_u64 v[18:19], v[18:19], 0, 4
	s_waitcnt vmcnt(0)
	v_cmp_ne_u32_e32 vcc, v20, v21
	s_and_b64 s[46:47], vcc, exec
	s_or_b64 s[42:43], s[42:43], s[46:47]
.LBB1568_276:                           ;   in Loop: Header=BB1568_277 Depth=1
	s_and_b64 s[46:47], exec, s[42:43]
	s_or_b64 s[40:41], s[46:47], s[40:41]
	v_mov_b64_e32 v[20:21], s[44:45]
	s_andn2_b64 exec, exec, s[40:41]
	s_cbranch_execz .LBB1568_279
.LBB1568_277:                           ; =>This Inner Loop Header: Depth=1
	s_or_b64 s[42:43], s[42:43], exec
	s_cmp_eq_u64 s[38:39], s[44:45]
	s_cbranch_scc0 .LBB1568_275
; %bb.278:                              ;   in Loop: Header=BB1568_277 Depth=1
                                        ; implicit-def: $vgpr16_vgpr17
                                        ; implicit-def: $vgpr18_vgpr19
	s_mov_b64 s[44:45], s[26:27]
	s_branch .LBB1568_276
.LBB1568_279:
	s_or_b64 exec, exec, s[40:41]
	v_cmp_gt_i64_e32 vcc, s[26:27], v[20:21]
	s_orn2_b64 s[38:39], vcc, exec
.LBB1568_280:
	s_or_b64 exec, exec, s[18:19]
.LBB1568_281:
	s_and_b64 s[18:19], s[38:39], exec
.LBB1568_282:
	s_or_b64 exec, exec, s[36:37]
	v_cmp_gt_u32_e32 vcc, s3, v24
	s_mov_b64 s[36:37], 0
	s_mov_b64 s[38:39], 0
	s_and_saveexec_b64 s[40:41], vcc
	s_cbranch_execz .LBB1568_293
; %bb.283:
	s_andn2_b64 vcc, exec, s[6:7]
	s_mov_b64 s[42:43], 0
	s_cbranch_vccnz .LBB1568_292
; %bb.284:
	v_mul_lo_u32 v18, v13, s26
	v_mul_lo_u32 v19, v12, s27
	v_mad_u64_u32 v[16:17], s[38:39], v12, s26, 0
	v_add3_u32 v17, v17, v19, v18
	v_mul_lo_u32 v18, v7, s26
	v_mul_lo_u32 v19, v6, s27
	v_mad_u64_u32 v[20:21], s[38:39], v6, s26, 0
	v_add3_u32 v21, v21, v19, v18
	v_lshl_add_u64 v[18:19], v[16:17], 2, s[28:29]
	v_lshl_add_u64 v[16:17], v[20:21], 2, s[28:29]
	global_load_dword v20, v[18:19], off
	global_load_dword v21, v[16:17], off
	s_mov_b64 s[42:43], -1
	s_waitcnt vmcnt(0)
	v_cmp_eq_u32_e32 vcc, v20, v21
	s_and_saveexec_b64 s[38:39], vcc
	s_cbranch_execz .LBB1568_291
; %bb.285:
	s_add_u32 s42, s26, -1
	v_lshl_add_u64 v[16:17], v[16:17], 0, 4
	v_lshl_add_u64 v[18:19], v[18:19], 0, 4
	s_addc_u32 s43, s27, -1
	s_mov_b64 s[44:45], 0
	s_mov_b64 s[48:49], 0
                                        ; implicit-def: $sgpr46_sgpr47
	s_branch .LBB1568_288
.LBB1568_286:                           ;   in Loop: Header=BB1568_288 Depth=1
	global_load_dword v20, v[18:19], off
	global_load_dword v21, v[16:17], off
	s_add_u32 s48, s48, 1
	s_addc_u32 s49, s49, 0
	s_andn2_b64 s[46:47], s[46:47], exec
	v_lshl_add_u64 v[16:17], v[16:17], 0, 4
	v_lshl_add_u64 v[18:19], v[18:19], 0, 4
	s_waitcnt vmcnt(0)
	v_cmp_ne_u32_e32 vcc, v20, v21
	s_and_b64 s[50:51], vcc, exec
	s_or_b64 s[46:47], s[46:47], s[50:51]
.LBB1568_287:                           ;   in Loop: Header=BB1568_288 Depth=1
	s_and_b64 s[50:51], exec, s[46:47]
	s_or_b64 s[44:45], s[50:51], s[44:45]
	v_mov_b64_e32 v[20:21], s[48:49]
	s_andn2_b64 exec, exec, s[44:45]
	s_cbranch_execz .LBB1568_290
.LBB1568_288:                           ; =>This Inner Loop Header: Depth=1
	s_or_b64 s[46:47], s[46:47], exec
	s_cmp_eq_u64 s[42:43], s[48:49]
	s_cbranch_scc0 .LBB1568_286
; %bb.289:                              ;   in Loop: Header=BB1568_288 Depth=1
                                        ; implicit-def: $vgpr16_vgpr17
                                        ; implicit-def: $vgpr18_vgpr19
	s_mov_b64 s[48:49], s[26:27]
	s_branch .LBB1568_287
.LBB1568_290:
	s_or_b64 exec, exec, s[44:45]
	v_cmp_gt_i64_e32 vcc, s[26:27], v[20:21]
	s_orn2_b64 s[42:43], vcc, exec
.LBB1568_291:
	s_or_b64 exec, exec, s[38:39]
.LBB1568_292:
	s_and_b64 s[38:39], s[42:43], exec
.LBB1568_293:
	s_or_b64 exec, exec, s[40:41]
	v_cmp_gt_u32_e32 vcc, s3, v25
	s_and_saveexec_b64 s[40:41], vcc
	s_cbranch_execz .LBB1568_304
; %bb.294:
	s_andn2_b64 vcc, exec, s[6:7]
	s_mov_b64 s[42:43], 0
	s_cbranch_vccnz .LBB1568_303
; %bb.295:
	v_mul_lo_u32 v18, v11, s26
	v_mul_lo_u32 v19, v10, s27
	v_mad_u64_u32 v[16:17], s[36:37], v10, s26, 0
	v_add3_u32 v17, v17, v19, v18
	v_mul_lo_u32 v18, v13, s26
	v_mul_lo_u32 v19, v12, s27
	v_mad_u64_u32 v[20:21], s[36:37], v12, s26, 0
	v_add3_u32 v21, v21, v19, v18
	v_lshl_add_u64 v[18:19], v[16:17], 2, s[28:29]
	v_lshl_add_u64 v[16:17], v[20:21], 2, s[28:29]
	global_load_dword v20, v[18:19], off
	global_load_dword v21, v[16:17], off
	s_mov_b64 s[42:43], -1
	s_waitcnt vmcnt(0)
	v_cmp_eq_u32_e32 vcc, v20, v21
	s_and_saveexec_b64 s[36:37], vcc
	s_cbranch_execz .LBB1568_302
; %bb.296:
	s_add_u32 s42, s26, -1
	v_lshl_add_u64 v[16:17], v[16:17], 0, 4
	v_lshl_add_u64 v[18:19], v[18:19], 0, 4
	s_addc_u32 s43, s27, -1
	s_mov_b64 s[44:45], 0
	s_mov_b64 s[48:49], 0
                                        ; implicit-def: $sgpr46_sgpr47
	s_branch .LBB1568_299
.LBB1568_297:                           ;   in Loop: Header=BB1568_299 Depth=1
	global_load_dword v20, v[18:19], off
	global_load_dword v21, v[16:17], off
	s_add_u32 s48, s48, 1
	s_addc_u32 s49, s49, 0
	s_andn2_b64 s[46:47], s[46:47], exec
	v_lshl_add_u64 v[16:17], v[16:17], 0, 4
	v_lshl_add_u64 v[18:19], v[18:19], 0, 4
	s_waitcnt vmcnt(0)
	v_cmp_ne_u32_e32 vcc, v20, v21
	s_and_b64 s[50:51], vcc, exec
	s_or_b64 s[46:47], s[46:47], s[50:51]
.LBB1568_298:                           ;   in Loop: Header=BB1568_299 Depth=1
	s_and_b64 s[50:51], exec, s[46:47]
	s_or_b64 s[44:45], s[50:51], s[44:45]
	v_mov_b64_e32 v[20:21], s[48:49]
	s_andn2_b64 exec, exec, s[44:45]
	s_cbranch_execz .LBB1568_301
.LBB1568_299:                           ; =>This Inner Loop Header: Depth=1
	s_or_b64 s[46:47], s[46:47], exec
	s_cmp_eq_u64 s[42:43], s[48:49]
	s_cbranch_scc0 .LBB1568_297
; %bb.300:                              ;   in Loop: Header=BB1568_299 Depth=1
                                        ; implicit-def: $vgpr16_vgpr17
                                        ; implicit-def: $vgpr18_vgpr19
	s_mov_b64 s[48:49], s[26:27]
	s_branch .LBB1568_298
.LBB1568_301:
	s_or_b64 exec, exec, s[44:45]
	v_cmp_gt_i64_e32 vcc, s[26:27], v[20:21]
	s_orn2_b64 s[42:43], vcc, exec
.LBB1568_302:
	s_or_b64 exec, exec, s[36:37]
.LBB1568_303:
	s_and_b64 s[36:37], s[42:43], exec
.LBB1568_304:
	s_or_b64 exec, exec, s[40:41]
	v_cndmask_b32_e64 v17, 0, 1, s[18:19]
	v_cndmask_b32_e64 v16, 0, 1, s[38:39]
	;; [unrolled: 1-line block ×3, first 2 shown]
	v_lshlrev_b16_e32 v17, 8, v17
	v_cndmask_b32_e64 v32, 0, 1, s[14:15]
	v_cndmask_b32_e64 v18, 0, 1, s[36:37]
	v_or_b32_sdwa v16, v16, v17 dst_sel:WORD_1 dst_unused:UNUSED_PAD src0_sel:DWORD src1_sel:DWORD
	v_lshlrev_b16_e32 v17, 8, v33
	v_lshlrev_b16_e32 v18, 8, v18
	v_or_b32_e32 v17, v32, v17
	v_or_b32_e32 v18, 1, v18
	v_and_b32_e32 v17, 0xffff, v17
	v_cndmask_b32_e64 v34, 0, 1, s[4:5]
	v_or_b32_sdwa v16, v18, v16 dst_sel:DWORD dst_unused:UNUSED_PAD src0_sel:WORD_0 src1_sel:DWORD
	v_lshl_or_b32 v17, v34, 16, v17
	v_cmp_ne_u32_e32 vcc, 0, v0
	s_waitcnt lgkmcnt(0)
	s_barrier
	s_waitcnt lgkmcnt(0)
                                        ; implicit-def: $sgpr18_sgpr19
                                        ; implicit-def: $vgpr20
	s_and_saveexec_b64 s[4:5], vcc
	s_cbranch_execz .LBB1568_317
; %bb.305:
	v_cmp_gt_u32_e32 vcc, s3, v1
	s_mov_b32 s33, 0x3020104
	s_mov_b64 s[14:15], 0
	s_and_saveexec_b64 s[12:13], vcc
	s_cbranch_execz .LBB1568_316
; %bb.306:
	s_andn2_b64 vcc, exec, s[6:7]
	s_cbranch_vccnz .LBB1568_315
; %bb.307:
	v_add_u32_e32 v17, -8, v30
	ds_read_b64 v[18:19], v17
	v_mul_lo_u32 v17, v11, s26
	v_mad_u64_u32 v[22:23], s[6:7], v10, s26, 0
	s_mov_b64 s[14:15], -1
	s_waitcnt lgkmcnt(0)
	v_mul_lo_u32 v20, v19, s26
	v_mul_lo_u32 v21, v18, s27
	v_mad_u64_u32 v[18:19], s[6:7], v18, s26, 0
	v_add3_u32 v19, v19, v21, v20
	v_mul_lo_u32 v20, v10, s27
	v_add3_u32 v23, v23, v20, v17
	v_lshl_add_u64 v[20:21], v[18:19], 2, s[28:29]
	v_lshl_add_u64 v[18:19], v[22:23], 2, s[28:29]
	global_load_dword v17, v[20:21], off
	global_load_dword v22, v[18:19], off
	s_waitcnt vmcnt(0)
	v_cmp_eq_u32_e32 vcc, v17, v22
	s_and_saveexec_b64 s[6:7], vcc
	s_cbranch_execz .LBB1568_314
; %bb.308:
	s_add_u32 s14, s26, -1
	v_lshl_add_u64 v[18:19], v[18:19], 0, 4
	v_lshl_add_u64 v[20:21], v[20:21], 0, 4
	s_addc_u32 s15, s27, -1
	s_mov_b64 s[18:19], 0
	s_mov_b64 s[36:37], 0
                                        ; implicit-def: $sgpr28_sgpr29
	s_branch .LBB1568_311
.LBB1568_309:                           ;   in Loop: Header=BB1568_311 Depth=1
	global_load_dword v17, v[20:21], off
	global_load_dword v22, v[18:19], off
	s_add_u32 s36, s36, 1
	s_addc_u32 s37, s37, 0
	s_andn2_b64 s[28:29], s[28:29], exec
	v_lshl_add_u64 v[18:19], v[18:19], 0, 4
	v_lshl_add_u64 v[20:21], v[20:21], 0, 4
	s_waitcnt vmcnt(0)
	v_cmp_ne_u32_e32 vcc, v17, v22
	s_and_b64 s[38:39], vcc, exec
	s_or_b64 s[28:29], s[28:29], s[38:39]
.LBB1568_310:                           ;   in Loop: Header=BB1568_311 Depth=1
	s_and_b64 s[38:39], exec, s[28:29]
	s_or_b64 s[18:19], s[38:39], s[18:19]
	v_mov_b64_e32 v[22:23], s[36:37]
	s_andn2_b64 exec, exec, s[18:19]
	s_cbranch_execz .LBB1568_313
.LBB1568_311:                           ; =>This Inner Loop Header: Depth=1
	s_or_b64 s[28:29], s[28:29], exec
	s_cmp_eq_u64 s[14:15], s[36:37]
	s_cbranch_scc0 .LBB1568_309
; %bb.312:                              ;   in Loop: Header=BB1568_311 Depth=1
                                        ; implicit-def: $vgpr18_vgpr19
                                        ; implicit-def: $vgpr20_vgpr21
	s_mov_b64 s[36:37], s[26:27]
	s_branch .LBB1568_310
.LBB1568_313:
	s_or_b64 exec, exec, s[18:19]
	v_cmp_gt_i64_e32 vcc, s[26:27], v[22:23]
	s_orn2_b64 s[14:15], vcc, exec
.LBB1568_314:
	s_or_b64 exec, exec, s[6:7]
.LBB1568_315:
	s_and_b64 s[14:15], s[14:15], exec
.LBB1568_316:
	s_or_b64 exec, exec, s[12:13]
	v_perm_b32 v20, v16, v16, s33
	s_and_b64 s[18:19], s[14:15], exec
	s_or_b64 s[10:11], s[10:11], exec
                                        ; implicit-def: $vgpr16_vgpr17
.LBB1568_317:
	s_or_b64 exec, exec, s[4:5]
.LBB1568_318:
	s_and_saveexec_b64 s[4:5], s[10:11]
	s_cbranch_execz .LBB1568_320
; %bb.319:
	s_waitcnt lgkmcnt(0)
	v_lshlrev_b16_e32 v17, 8, v33
	v_and_b32_e32 v18, 0xff, v34
	v_or_b32_sdwa v17, v32, v17 dst_sel:DWORD dst_unused:UNUSED_PAD src0_sel:BYTE_0 src1_sel:DWORD
	v_lshlrev_b32_e32 v18, 16, v18
	s_movk_i32 s6, 0xff
	v_or_b32_sdwa v17, v17, v18 dst_sel:DWORD dst_unused:UNUSED_PAD src0_sel:WORD_0 src1_sel:DWORD
	v_lshrrev_b32_e32 v18, 24, v20
	v_lshlrev_b16_e32 v18, 8, v18
	v_and_b32_sdwa v19, v20, s6 dst_sel:DWORD dst_unused:UNUSED_PAD src0_sel:WORD_1 src1_sel:DWORD
	v_or_b32_sdwa v18, v19, v18 dst_sel:WORD_1 dst_unused:UNUSED_PAD src0_sel:DWORD src1_sel:DWORD
	v_mov_b32_e32 v19, 8
	v_cndmask_b32_e64 v16, 0, 1, s[18:19]
	v_lshrrev_b32_sdwa v19, v19, v20 dst_sel:BYTE_1 dst_unused:UNUSED_PAD src0_sel:DWORD src1_sel:DWORD
	s_nop 0
	v_or_b32_e32 v16, v16, v19
	v_or_b32_sdwa v16, v16, v18 dst_sel:DWORD dst_unused:UNUSED_PAD src0_sel:WORD_0 src1_sel:DWORD
.LBB1568_320:
	s_or_b64 exec, exec, s[4:5]
	s_andn2_b64 vcc, exec, s[8:9]
	s_cbranch_vccnz .LBB1568_322
; %bb.321:
	s_waitcnt lgkmcnt(0)
	v_and_b32_e32 v18, 0xffff0000, v16
	v_cmp_gt_u32_e32 vcc, s3, v1
	s_mov_b32 s4, 0x40c0100
	s_nop 0
	v_cndmask_b32_e32 v1, v18, v16, vcc
	v_and_b32_e32 v1, 0xffff00ff, v1
	v_cmp_gt_u32_e32 vcc, s3, v25
	s_nop 1
	v_cndmask_b32_e32 v1, v1, v16, vcc
	v_lshrrev_b32_e32 v18, 24, v1
	v_perm_b32 v1, v18, v1, s4
	v_cmp_gt_u32_e32 vcc, s3, v24
	v_and_b32_e32 v18, 0xffffff00, v17
	s_nop 0
	v_cndmask_b32_e32 v1, v1, v16, vcc
	v_and_b32_e32 v1, 0xffffff, v1
	v_cmp_gt_u32_e32 vcc, s3, v28
	s_nop 1
	v_cndmask_b32_e32 v1, v1, v16, vcc
	v_cmp_gt_u32_e32 vcc, s3, v26
	s_nop 1
	v_cndmask_b32_e32 v18, v18, v17, vcc
	v_and_b32_e32 v18, 0xffff00ff, v18
	v_cndmask_b32_e32 v1, v1, v16, vcc
	v_cmp_gt_u32_e32 vcc, s3, v29
	s_nop 1
	v_cndmask_b32_e32 v18, v18, v17, vcc
	v_lshrrev_b32_e32 v19, 24, v18
	v_cndmask_b32_e32 v1, v1, v16, vcc
	v_perm_b32 v18, v19, v18, s4
	v_cmp_gt_u32_e32 vcc, s3, v27
	s_mov_b32 s3, 0x3020104
	s_nop 0
	v_cndmask_b32_e32 v1, v1, v16, vcc
	v_cndmask_b32_e32 v16, v18, v17, vcc
	v_mov_b32_e32 v17, 8
	v_lshrrev_b32_sdwa v17, v17, v16 dst_sel:BYTE_1 dst_unused:UNUSED_PAD src0_sel:DWORD src1_sel:DWORD
	s_nop 0
	v_or_b32_sdwa v17, v16, v17 dst_sel:DWORD dst_unused:UNUSED_PAD src0_sel:BYTE_0 src1_sel:DWORD
	v_and_b32_e32 v17, 0xffff, v17
	v_bfe_u32 v16, v16, 16, 8
	v_lshl_or_b32 v17, v16, 16, v17
	v_perm_b32 v16, v1, v1, s3
.LBB1568_322:
	s_waitcnt lgkmcnt(0)
	v_and_b32_e32 v1, 0xff, v16
	v_bfe_u32 v29, v16, 8, 8
	v_bfe_u32 v31, v16, 16, 8
	v_alignbit_b32 v18, v17, v16, 24
	v_and_b32_e32 v33, 0xff, v18
	v_and_b32_e32 v35, 0xff, v17
	v_add3_u32 v19, v29, v1, v31
	v_bfe_u32 v36, v17, 8, 8
	v_bfe_u32 v18, v17, 16, 8
	v_add3_u32 v19, v19, v33, v35
	v_add3_u32 v39, v19, v36, v18
	v_mbcnt_lo_u32_b32 v18, -1, 0
	v_mbcnt_hi_u32_b32 v37, -1, v18
	v_and_b32_e32 v18, 15, v37
	v_cmp_eq_u32_e64 s[14:15], 0, v18
	v_cmp_lt_u32_e64 s[12:13], 1, v18
	v_cmp_lt_u32_e64 s[10:11], 3, v18
	;; [unrolled: 1-line block ×3, first 2 shown]
	v_and_b32_e32 v18, 16, v37
	v_cmp_eq_u32_e64 s[6:7], 0, v18
	v_or_b32_e32 v18, 63, v0
	v_cmp_lt_u32_e64 s[18:19], 31, v37
	v_lshrrev_b32_e32 v38, 6, v0
	v_cmp_eq_u32_e64 s[4:5], v18, v0
	s_and_b64 vcc, exec, s[16:17]
	s_barrier
	s_cbranch_vccz .LBB1568_353
; %bb.323:
	v_mov_b32_dpp v18, v39 row_shr:1 row_mask:0xf bank_mask:0xf
	v_cndmask_b32_e64 v18, v18, 0, s[14:15]
	v_add_u32_e32 v18, v18, v39
	s_nop 1
	v_mov_b32_dpp v19, v18 row_shr:2 row_mask:0xf bank_mask:0xf
	v_cndmask_b32_e64 v19, 0, v19, s[12:13]
	v_add_u32_e32 v18, v18, v19
	s_nop 1
	;; [unrolled: 4-line block ×4, first 2 shown]
	v_mov_b32_dpp v19, v18 row_bcast:15 row_mask:0xf bank_mask:0xf
	v_cndmask_b32_e64 v19, v19, 0, s[6:7]
	v_add_u32_e32 v18, v18, v19
	s_nop 1
	v_mov_b32_dpp v19, v18 row_bcast:31 row_mask:0xf bank_mask:0xf
	v_cndmask_b32_e64 v19, 0, v19, s[18:19]
	v_add_u32_e32 v18, v18, v19
	s_and_saveexec_b64 s[16:17], s[4:5]
	s_cbranch_execz .LBB1568_325
; %bb.324:
	v_lshlrev_b32_e32 v19, 2, v38
	ds_write_b32 v19, v18
.LBB1568_325:
	s_or_b64 exec, exec, s[16:17]
	v_cmp_gt_u32_e32 vcc, 8, v0
	s_waitcnt lgkmcnt(0)
	s_barrier
	s_and_saveexec_b64 s[16:17], vcc
	s_cbranch_execz .LBB1568_327
; %bb.326:
	v_lshlrev_b32_e32 v19, 2, v0
	ds_read_b32 v20, v19
	v_and_b32_e32 v21, 7, v37
	v_cmp_ne_u32_e32 vcc, 0, v21
	s_waitcnt lgkmcnt(0)
	v_mov_b32_dpp v22, v20 row_shr:1 row_mask:0xf bank_mask:0xf
	v_cndmask_b32_e32 v22, 0, v22, vcc
	v_add_u32_e32 v20, v22, v20
	v_cmp_lt_u32_e32 vcc, 1, v21
	s_nop 0
	v_mov_b32_dpp v22, v20 row_shr:2 row_mask:0xf bank_mask:0xf
	v_cndmask_b32_e32 v22, 0, v22, vcc
	v_add_u32_e32 v20, v20, v22
	v_cmp_lt_u32_e32 vcc, 3, v21
	s_nop 0
	v_mov_b32_dpp v22, v20 row_shr:4 row_mask:0xf bank_mask:0xf
	v_cndmask_b32_e32 v21, 0, v22, vcc
	v_add_u32_e32 v20, v20, v21
	ds_write_b32 v19, v20
.LBB1568_327:
	s_or_b64 exec, exec, s[16:17]
	v_cmp_gt_u32_e32 vcc, 64, v0
	v_cmp_lt_u32_e64 s[16:17], 63, v0
	s_waitcnt lgkmcnt(0)
	s_barrier
	s_waitcnt lgkmcnt(0)
                                        ; implicit-def: $vgpr28
	s_and_saveexec_b64 s[26:27], s[16:17]
	s_cbranch_execz .LBB1568_329
; %bb.328:
	v_lshl_add_u32 v19, v38, 2, -4
	ds_read_b32 v28, v19
	s_waitcnt lgkmcnt(0)
	v_add_u32_e32 v18, v28, v18
.LBB1568_329:
	s_or_b64 exec, exec, s[26:27]
	v_add_u32_e32 v19, -1, v37
	v_and_b32_e32 v20, 64, v37
	v_cmp_lt_i32_e64 s[16:17], v19, v20
	s_nop 1
	v_cndmask_b32_e64 v19, v19, v37, s[16:17]
	v_lshlrev_b32_e32 v19, 2, v19
	ds_bpermute_b32 v30, v19, v18
	v_cmp_eq_u32_e64 s[16:17], 0, v37
	s_and_saveexec_b64 s[26:27], vcc
	s_cbranch_execz .LBB1568_352
; %bb.330:
	v_mov_b32_e32 v27, 0
	ds_read_b32 v18, v27 offset:28
	s_and_saveexec_b64 s[28:29], s[16:17]
	s_cbranch_execz .LBB1568_332
; %bb.331:
	s_add_i32 s36, s2, 64
	s_mov_b32 s37, 0
	s_lshl_b64 s[36:37], s[36:37], 3
	s_add_u32 s36, s30, s36
	v_mov_b32_e32 v19, 1
	s_addc_u32 s37, s31, s37
	s_waitcnt lgkmcnt(0)
	global_store_dwordx2 v27, v[18:19], s[36:37] sc1
.LBB1568_332:
	s_or_b64 exec, exec, s[28:29]
	v_xad_u32 v20, v37, -1, s2
	v_add_u32_e32 v26, 64, v20
	v_lshl_add_u64 v[22:23], v[26:27], 3, s[30:31]
	global_load_dwordx2 v[24:25], v[22:23], off sc1
	s_waitcnt vmcnt(0)
	v_cmp_eq_u16_sdwa s[36:37], v25, v27 src0_sel:BYTE_0 src1_sel:DWORD
	s_and_saveexec_b64 s[28:29], s[36:37]
	s_cbranch_execz .LBB1568_338
; %bb.333:
	s_mov_b32 s3, 1
	s_mov_b64 s[36:37], 0
	v_mov_b32_e32 v19, 0
.LBB1568_334:                           ; =>This Loop Header: Depth=1
                                        ;     Child Loop BB1568_335 Depth 2
	s_max_u32 s33, s3, 1
.LBB1568_335:                           ;   Parent Loop BB1568_334 Depth=1
                                        ; =>  This Inner Loop Header: Depth=2
	s_add_i32 s33, s33, -1
	s_cmp_eq_u32 s33, 0
	s_sleep 1
	s_cbranch_scc0 .LBB1568_335
; %bb.336:                              ;   in Loop: Header=BB1568_334 Depth=1
	global_load_dwordx2 v[24:25], v[22:23], off sc1
	s_cmp_lt_u32 s3, 32
	s_cselect_b64 s[38:39], -1, 0
	s_cmp_lg_u64 s[38:39], 0
	s_addc_u32 s3, s3, 0
	s_waitcnt vmcnt(0)
	v_cmp_ne_u16_sdwa s[38:39], v25, v19 src0_sel:BYTE_0 src1_sel:DWORD
	s_or_b64 s[36:37], s[38:39], s[36:37]
	s_andn2_b64 exec, exec, s[36:37]
	s_cbranch_execnz .LBB1568_334
; %bb.337:
	s_or_b64 exec, exec, s[36:37]
.LBB1568_338:
	s_or_b64 exec, exec, s[28:29]
	v_and_b32_e32 v32, 63, v37
	v_mov_b32_e32 v19, 2
	v_cmp_ne_u32_e32 vcc, 63, v32
	v_cmp_eq_u16_sdwa s[28:29], v25, v19 src0_sel:BYTE_0 src1_sel:DWORD
	v_lshlrev_b64 v[22:23], v37, -1
	v_addc_co_u32_e32 v27, vcc, 0, v37, vcc
	v_and_b32_e32 v21, s29, v23
	v_lshlrev_b32_e32 v34, 2, v27
	v_or_b32_e32 v21, 0x80000000, v21
	ds_bpermute_b32 v27, v34, v24
	v_and_b32_e32 v26, s28, v22
	v_ffbl_b32_e32 v21, v21
	v_add_u32_e32 v21, 32, v21
	v_ffbl_b32_e32 v26, v26
	v_min_u32_e32 v21, v26, v21
	v_cmp_lt_u32_e32 vcc, v32, v21
	v_add_u32_e32 v41, 2, v32
	v_add_u32_e32 v43, 4, v32
	s_waitcnt lgkmcnt(0)
	v_cndmask_b32_e32 v26, 0, v27, vcc
	v_cmp_gt_u32_e32 vcc, 62, v32
	v_add_u32_e32 v24, v26, v24
	v_add_u32_e32 v45, 8, v32
	v_cndmask_b32_e64 v26, 0, 1, vcc
	v_lshlrev_b32_e32 v26, 1, v26
	v_add_lshl_u32 v40, v26, v37, 2
	ds_bpermute_b32 v26, v40, v24
	v_cmp_le_u32_e32 vcc, v41, v21
	v_add_u32_e32 v48, 16, v32
	v_add_u32_e32 v50, 32, v32
	s_waitcnt lgkmcnt(0)
	v_cndmask_b32_e32 v26, 0, v26, vcc
	v_cmp_gt_u32_e32 vcc, 60, v32
	v_add_u32_e32 v24, v24, v26
	s_nop 0
	v_cndmask_b32_e64 v26, 0, 1, vcc
	v_lshlrev_b32_e32 v26, 2, v26
	v_add_lshl_u32 v42, v26, v37, 2
	ds_bpermute_b32 v26, v42, v24
	v_cmp_le_u32_e32 vcc, v43, v21
	s_waitcnt lgkmcnt(0)
	s_nop 0
	v_cndmask_b32_e32 v26, 0, v26, vcc
	v_cmp_gt_u32_e32 vcc, 56, v32
	v_add_u32_e32 v24, v24, v26
	s_nop 0
	v_cndmask_b32_e64 v26, 0, 1, vcc
	v_lshlrev_b32_e32 v26, 3, v26
	v_add_lshl_u32 v44, v26, v37, 2
	ds_bpermute_b32 v26, v44, v24
	v_cmp_le_u32_e32 vcc, v45, v21
	s_waitcnt lgkmcnt(0)
	s_nop 0
	;; [unrolled: 11-line block ×4, first 2 shown]
	v_cndmask_b32_e32 v21, 0, v26, vcc
	v_add_u32_e32 v24, v24, v21
	v_mov_b32_e32 v21, 0
	s_branch .LBB1568_340
.LBB1568_339:                           ;   in Loop: Header=BB1568_340 Depth=1
	s_or_b64 exec, exec, s[28:29]
	v_cmp_eq_u16_sdwa s[28:29], v25, v19 src0_sel:BYTE_0 src1_sel:DWORD
	ds_bpermute_b32 v51, v34, v24
	v_subrev_u32_e32 v20, 64, v20
	v_and_b32_e32 v26, s29, v23
	v_or_b32_e32 v26, 0x80000000, v26
	v_and_b32_e32 v27, s28, v22
	v_ffbl_b32_e32 v26, v26
	v_add_u32_e32 v26, 32, v26
	v_ffbl_b32_e32 v27, v27
	v_min_u32_e32 v26, v27, v26
	v_cmp_lt_u32_e32 vcc, v32, v26
	s_waitcnt lgkmcnt(0)
	s_nop 0
	v_cndmask_b32_e32 v27, 0, v51, vcc
	v_add_u32_e32 v24, v27, v24
	ds_bpermute_b32 v27, v40, v24
	v_cmp_le_u32_e32 vcc, v41, v26
	s_waitcnt lgkmcnt(0)
	s_nop 0
	v_cndmask_b32_e32 v27, 0, v27, vcc
	v_add_u32_e32 v24, v24, v27
	ds_bpermute_b32 v27, v42, v24
	v_cmp_le_u32_e32 vcc, v43, v26
	;; [unrolled: 6-line block ×5, first 2 shown]
	s_waitcnt lgkmcnt(0)
	s_nop 0
	v_cndmask_b32_e32 v26, 0, v27, vcc
	v_add3_u32 v24, v26, v46, v24
.LBB1568_340:                           ; =>This Loop Header: Depth=1
                                        ;     Child Loop BB1568_343 Depth 2
                                        ;       Child Loop BB1568_344 Depth 3
	v_cmp_ne_u16_sdwa s[28:29], v25, v19 src0_sel:BYTE_0 src1_sel:DWORD
	v_mov_b32_e32 v46, v24
	s_nop 0
	v_cndmask_b32_e64 v25, 0, 1, s[28:29]
	;;#ASMSTART
	;;#ASMEND
	s_nop 0
	v_cmp_ne_u32_e32 vcc, 0, v25
	s_cmp_lg_u64 vcc, exec
	s_cbranch_scc1 .LBB1568_347
; %bb.341:                              ;   in Loop: Header=BB1568_340 Depth=1
	v_lshl_add_u64 v[26:27], v[20:21], 3, s[30:31]
	global_load_dwordx2 v[24:25], v[26:27], off sc1
	s_waitcnt vmcnt(0)
	v_cmp_eq_u16_sdwa s[36:37], v25, v21 src0_sel:BYTE_0 src1_sel:DWORD
	s_and_saveexec_b64 s[28:29], s[36:37]
	s_cbranch_execz .LBB1568_339
; %bb.342:                              ;   in Loop: Header=BB1568_340 Depth=1
	s_mov_b32 s3, 1
	s_mov_b64 s[36:37], 0
.LBB1568_343:                           ;   Parent Loop BB1568_340 Depth=1
                                        ; =>  This Loop Header: Depth=2
                                        ;       Child Loop BB1568_344 Depth 3
	s_max_u32 s33, s3, 1
.LBB1568_344:                           ;   Parent Loop BB1568_340 Depth=1
                                        ;     Parent Loop BB1568_343 Depth=2
                                        ; =>    This Inner Loop Header: Depth=3
	s_add_i32 s33, s33, -1
	s_cmp_eq_u32 s33, 0
	s_sleep 1
	s_cbranch_scc0 .LBB1568_344
; %bb.345:                              ;   in Loop: Header=BB1568_343 Depth=2
	global_load_dwordx2 v[24:25], v[26:27], off sc1
	s_cmp_lt_u32 s3, 32
	s_cselect_b64 s[38:39], -1, 0
	s_cmp_lg_u64 s[38:39], 0
	s_addc_u32 s3, s3, 0
	s_waitcnt vmcnt(0)
	v_cmp_ne_u16_sdwa s[38:39], v25, v21 src0_sel:BYTE_0 src1_sel:DWORD
	s_or_b64 s[36:37], s[38:39], s[36:37]
	s_andn2_b64 exec, exec, s[36:37]
	s_cbranch_execnz .LBB1568_343
; %bb.346:                              ;   in Loop: Header=BB1568_340 Depth=1
	s_or_b64 exec, exec, s[36:37]
	s_branch .LBB1568_339
.LBB1568_347:                           ;   in Loop: Header=BB1568_340 Depth=1
                                        ; implicit-def: $vgpr24
                                        ; implicit-def: $vgpr25
	s_cbranch_execz .LBB1568_340
; %bb.348:
	s_and_saveexec_b64 s[28:29], s[16:17]
	s_cbranch_execz .LBB1568_350
; %bb.349:
	s_add_i32 s2, s2, 64
	s_mov_b32 s3, 0
	s_lshl_b64 s[2:3], s[2:3], 3
	s_add_u32 s2, s30, s2
	v_add_u32_e32 v20, v46, v18
	v_mov_b32_e32 v21, 2
	s_addc_u32 s3, s31, s3
	v_mov_b32_e32 v19, 0
	global_store_dwordx2 v19, v[20:21], s[2:3] sc1
	s_movk_i32 s2, 0x7000
	v_add_u32_e64 v19, s2, 0
	ds_write2_b32 v19, v18, v46 offset1:2
.LBB1568_350:
	s_or_b64 exec, exec, s[28:29]
	v_cmp_eq_u32_e32 vcc, 0, v0
	s_and_b64 exec, exec, vcc
	s_cbranch_execz .LBB1568_352
; %bb.351:
	v_mov_b32_e32 v18, 0
	ds_write_b32 v18, v46 offset:28
.LBB1568_352:
	s_or_b64 exec, exec, s[26:27]
	v_mov_b32_e32 v18, 0
	s_waitcnt lgkmcnt(0)
	s_barrier
	ds_read_b32 v18, v18 offset:28
	v_cndmask_b32_e64 v19, v30, v28, s[16:17]
	v_cmp_ne_u32_e32 vcc, 0, v0
	s_movk_i32 s2, 0x7000
	s_waitcnt lgkmcnt(0)
	v_cndmask_b32_e32 v19, 0, v19, vcc
	v_add_u32_e32 v34, v18, v19
	v_add_u32_e32 v32, v34, v1
	v_add_u32_e64 v18, s2, 0
	v_add_u32_e32 v30, v32, v29
	s_barrier
	ds_read2_b32 v[18:19], v18 offset1:2
	v_add_u32_e32 v28, v30, v31
	v_add_u32_e32 v26, v28, v33
	;; [unrolled: 1-line block ×4, first 2 shown]
	s_load_dwordx2 s[2:3], s[0:1], 0x28
	v_lshrrev_b64 v[20:21], 24, v[16:17]
	s_branch .LBB1568_363
.LBB1568_353:
                                        ; implicit-def: $vgpr22
                                        ; implicit-def: $vgpr24
                                        ; implicit-def: $vgpr26
                                        ; implicit-def: $vgpr28
                                        ; implicit-def: $vgpr30
                                        ; implicit-def: $vgpr32
                                        ; implicit-def: $vgpr34
                                        ; implicit-def: $vgpr19
	s_load_dwordx2 s[2:3], s[0:1], 0x28
	v_lshrrev_b64 v[20:21], 24, v[16:17]
	s_cbranch_execz .LBB1568_363
; %bb.354:
	s_waitcnt lgkmcnt(0)
	v_mov_b32_dpp v18, v39 row_shr:1 row_mask:0xf bank_mask:0xf
	v_cndmask_b32_e64 v18, v18, 0, s[14:15]
	v_add_u32_e32 v18, v18, v39
	s_nop 1
	v_mov_b32_dpp v19, v18 row_shr:2 row_mask:0xf bank_mask:0xf
	v_cndmask_b32_e64 v19, 0, v19, s[12:13]
	v_add_u32_e32 v18, v18, v19
	s_nop 1
	;; [unrolled: 4-line block ×4, first 2 shown]
	v_mov_b32_dpp v19, v18 row_bcast:15 row_mask:0xf bank_mask:0xf
	v_cndmask_b32_e64 v19, v19, 0, s[6:7]
	v_add_u32_e32 v18, v18, v19
	s_nop 1
	v_mov_b32_dpp v19, v18 row_bcast:31 row_mask:0xf bank_mask:0xf
	v_cndmask_b32_e64 v19, 0, v19, s[18:19]
	v_add_u32_e32 v18, v18, v19
	s_and_saveexec_b64 s[0:1], s[4:5]
	s_cbranch_execz .LBB1568_356
; %bb.355:
	v_lshlrev_b32_e32 v19, 2, v38
	ds_write_b32 v19, v18
.LBB1568_356:
	s_or_b64 exec, exec, s[0:1]
	v_cmp_gt_u32_e32 vcc, 8, v0
	s_waitcnt lgkmcnt(0)
	s_barrier
	s_and_saveexec_b64 s[0:1], vcc
	s_cbranch_execz .LBB1568_358
; %bb.357:
	v_lshlrev_b32_e32 v19, 2, v0
	ds_read_b32 v21, v19
	v_and_b32_e32 v22, 7, v37
	v_cmp_ne_u32_e32 vcc, 0, v22
	s_waitcnt lgkmcnt(0)
	v_mov_b32_dpp v23, v21 row_shr:1 row_mask:0xf bank_mask:0xf
	v_cndmask_b32_e32 v23, 0, v23, vcc
	v_add_u32_e32 v21, v23, v21
	v_cmp_lt_u32_e32 vcc, 1, v22
	s_nop 0
	v_mov_b32_dpp v23, v21 row_shr:2 row_mask:0xf bank_mask:0xf
	v_cndmask_b32_e32 v23, 0, v23, vcc
	v_add_u32_e32 v21, v21, v23
	v_cmp_lt_u32_e32 vcc, 3, v22
	s_nop 0
	v_mov_b32_dpp v23, v21 row_shr:4 row_mask:0xf bank_mask:0xf
	v_cndmask_b32_e32 v22, 0, v23, vcc
	v_add_u32_e32 v21, v21, v22
	ds_write_b32 v19, v21
.LBB1568_358:
	s_or_b64 exec, exec, s[0:1]
	v_cmp_lt_u32_e32 vcc, 63, v0
	v_mov_b32_e32 v19, 0
	v_mov_b32_e32 v21, 0
	s_waitcnt lgkmcnt(0)
	s_barrier
	s_and_saveexec_b64 s[0:1], vcc
	s_cbranch_execz .LBB1568_360
; %bb.359:
	v_lshl_add_u32 v21, v38, 2, -4
	ds_read_b32 v21, v21
.LBB1568_360:
	s_or_b64 exec, exec, s[0:1]
	v_add_u32_e32 v22, -1, v37
	v_and_b32_e32 v23, 64, v37
	v_cmp_lt_i32_e32 vcc, v22, v23
	s_waitcnt lgkmcnt(0)
	v_add_u32_e32 v18, v21, v18
	v_cndmask_b32_e32 v22, v22, v37, vcc
	v_lshlrev_b32_e32 v22, 2, v22
	ds_bpermute_b32 v22, v22, v18
	ds_read_b32 v18, v19 offset:28
	v_cmp_eq_u32_e32 vcc, 0, v0
	s_and_saveexec_b64 s[0:1], vcc
	s_cbranch_execz .LBB1568_362
; %bb.361:
	v_mov_b32_e32 v23, 0
	v_mov_b32_e32 v19, 2
	s_waitcnt lgkmcnt(0)
	global_store_dwordx2 v23, v[18:19], s[30:31] offset:512 sc1
.LBB1568_362:
	s_or_b64 exec, exec, s[0:1]
	v_cmp_eq_u32_e64 s[0:1], 0, v37
	v_mov_b32_e32 v19, 0
	s_waitcnt lgkmcnt(0)
	v_cndmask_b32_e64 v21, v22, v21, s[0:1]
	v_cndmask_b32_e64 v34, v21, 0, vcc
	v_add_u32_e32 v32, v34, v1
	v_add_u32_e32 v30, v32, v29
	;; [unrolled: 1-line block ×6, first 2 shown]
	s_barrier
.LBB1568_363:
	s_movk_i32 s0, 0x201
	s_waitcnt lgkmcnt(0)
	v_cmp_gt_u32_e32 vcc, s0, v18
	v_lshrrev_b32_e32 v21, 8, v16
	v_lshrrev_b32_e32 v1, 8, v17
	s_mov_b64 s[0:1], -1
	s_cbranch_vccnz .LBB1568_367
; %bb.364:
	s_and_b64 vcc, exec, s[0:1]
	s_cbranch_vccnz .LBB1568_389
.LBB1568_365:
	v_cmp_eq_u32_e32 vcc, 0, v0
	s_and_b64 s[0:1], vcc, s[24:25]
	s_and_saveexec_b64 s[2:3], s[0:1]
	s_cbranch_execnz .LBB1568_407
.LBB1568_366:
	s_endpgm
.LBB1568_367:
	v_add_u32_e32 v23, v19, v18
	v_cmp_lt_u32_e32 vcc, v34, v23
	s_or_b64 s[4:5], s[34:35], vcc
	s_and_saveexec_b64 s[0:1], s[4:5]
	s_cbranch_execz .LBB1568_370
; %bb.368:
	v_and_b32_e32 v25, 1, v16
	v_cmp_eq_u32_e32 vcc, 1, v25
	s_and_b64 exec, exec, vcc
	s_cbranch_execz .LBB1568_370
; %bb.369:
	s_lshl_b64 s[4:5], s[22:23], 3
	s_add_u32 s4, s2, s4
	s_addc_u32 s5, s3, s5
	v_mov_b32_e32 v35, 0
	v_lshl_add_u64 v[36:37], v[34:35], 3, s[4:5]
	global_store_dwordx2 v[36:37], v[10:11], off
.LBB1568_370:
	s_or_b64 exec, exec, s[0:1]
	v_cmp_lt_u32_e32 vcc, v32, v23
	s_or_b64 s[4:5], s[34:35], vcc
	s_and_saveexec_b64 s[0:1], s[4:5]
	s_cbranch_execz .LBB1568_373
; %bb.371:
	v_and_b32_e32 v25, 1, v21
	v_cmp_eq_u32_e32 vcc, 1, v25
	s_and_b64 exec, exec, vcc
	s_cbranch_execz .LBB1568_373
; %bb.372:
	s_lshl_b64 s[4:5], s[22:23], 3
	s_add_u32 s4, s2, s4
	s_addc_u32 s5, s3, s5
	v_mov_b32_e32 v33, 0
	v_lshl_add_u64 v[36:37], v[32:33], 3, s[4:5]
	global_store_dwordx2 v[36:37], v[12:13], off
.LBB1568_373:
	s_or_b64 exec, exec, s[0:1]
	v_cmp_lt_u32_e32 vcc, v30, v23
	s_or_b64 s[4:5], s[34:35], vcc
	s_and_saveexec_b64 s[0:1], s[4:5]
	s_cbranch_execz .LBB1568_376
; %bb.374:
	v_mov_b32_e32 v25, 1
	v_and_b32_sdwa v25, v25, v16 dst_sel:DWORD dst_unused:UNUSED_PAD src0_sel:DWORD src1_sel:WORD_1
	v_cmp_eq_u32_e32 vcc, 1, v25
	s_and_b64 exec, exec, vcc
	s_cbranch_execz .LBB1568_376
; %bb.375:
	s_lshl_b64 s[4:5], s[22:23], 3
	s_add_u32 s4, s2, s4
	s_addc_u32 s5, s3, s5
	v_mov_b32_e32 v31, 0
	v_lshl_add_u64 v[36:37], v[30:31], 3, s[4:5]
	global_store_dwordx2 v[36:37], v[6:7], off
.LBB1568_376:
	s_or_b64 exec, exec, s[0:1]
	v_cmp_lt_u32_e32 vcc, v28, v23
	s_or_b64 s[4:5], s[34:35], vcc
	s_and_saveexec_b64 s[0:1], s[4:5]
	s_cbranch_execz .LBB1568_379
; %bb.377:
	v_and_b32_e32 v25, 1, v20
	v_cmp_eq_u32_e32 vcc, 1, v25
	s_and_b64 exec, exec, vcc
	s_cbranch_execz .LBB1568_379
; %bb.378:
	s_lshl_b64 s[4:5], s[22:23], 3
	s_add_u32 s4, s2, s4
	s_addc_u32 s5, s3, s5
	v_mov_b32_e32 v29, 0
	v_lshl_add_u64 v[36:37], v[28:29], 3, s[4:5]
	global_store_dwordx2 v[36:37], v[8:9], off
.LBB1568_379:
	s_or_b64 exec, exec, s[0:1]
	v_cmp_lt_u32_e32 vcc, v26, v23
	s_or_b64 s[4:5], s[34:35], vcc
	s_and_saveexec_b64 s[0:1], s[4:5]
	s_cbranch_execz .LBB1568_382
; %bb.380:
	v_and_b32_e32 v25, 1, v17
	v_cmp_eq_u32_e32 vcc, 1, v25
	s_and_b64 exec, exec, vcc
	s_cbranch_execz .LBB1568_382
; %bb.381:
	s_lshl_b64 s[4:5], s[22:23], 3
	s_add_u32 s4, s2, s4
	s_addc_u32 s5, s3, s5
	v_mov_b32_e32 v27, 0
	v_lshl_add_u64 v[36:37], v[26:27], 3, s[4:5]
	global_store_dwordx2 v[36:37], v[2:3], off
.LBB1568_382:
	;; [unrolled: 18-line block ×3, first 2 shown]
	s_or_b64 exec, exec, s[0:1]
	v_cmp_lt_u32_e32 vcc, v22, v23
	s_or_b64 s[4:5], s[34:35], vcc
	s_and_saveexec_b64 s[0:1], s[4:5]
	s_cbranch_execz .LBB1568_388
; %bb.386:
	v_mov_b32_e32 v23, 1
	v_and_b32_sdwa v23, v23, v17 dst_sel:DWORD dst_unused:UNUSED_PAD src0_sel:DWORD src1_sel:WORD_1
	v_cmp_eq_u32_e32 vcc, 1, v23
	s_and_b64 exec, exec, vcc
	s_cbranch_execz .LBB1568_388
; %bb.387:
	s_lshl_b64 s[4:5], s[22:23], 3
	s_add_u32 s4, s2, s4
	s_addc_u32 s5, s3, s5
	v_mov_b32_e32 v23, 0
	v_lshl_add_u64 v[36:37], v[22:23], 3, s[4:5]
	global_store_dwordx2 v[36:37], v[14:15], off
.LBB1568_388:
	s_or_b64 exec, exec, s[0:1]
	s_branch .LBB1568_365
.LBB1568_389:
	v_and_b32_e32 v23, 1, v16
	v_cmp_eq_u32_e32 vcc, 1, v23
	s_and_saveexec_b64 s[0:1], vcc
	s_cbranch_execz .LBB1568_391
; %bb.390:
	v_sub_u32_e32 v23, v34, v19
	v_lshlrev_b32_e32 v23, 3, v23
	ds_write_b64 v23, v[10:11]
.LBB1568_391:
	s_or_b64 exec, exec, s[0:1]
	v_and_b32_e32 v10, 1, v21
	v_cmp_eq_u32_e32 vcc, 1, v10
	s_and_saveexec_b64 s[0:1], vcc
	s_cbranch_execz .LBB1568_393
; %bb.392:
	v_sub_u32_e32 v10, v32, v19
	v_lshlrev_b32_e32 v10, 3, v10
	ds_write_b64 v10, v[12:13]
.LBB1568_393:
	s_or_b64 exec, exec, s[0:1]
	v_mov_b32_e32 v10, 1
	v_and_b32_sdwa v10, v10, v16 dst_sel:DWORD dst_unused:UNUSED_PAD src0_sel:DWORD src1_sel:WORD_1
	v_cmp_eq_u32_e32 vcc, 1, v10
	s_and_saveexec_b64 s[0:1], vcc
	s_cbranch_execz .LBB1568_395
; %bb.394:
	v_sub_u32_e32 v10, v30, v19
	v_lshlrev_b32_e32 v10, 3, v10
	ds_write_b64 v10, v[6:7]
.LBB1568_395:
	s_or_b64 exec, exec, s[0:1]
	v_and_b32_e32 v6, 1, v20
	v_cmp_eq_u32_e32 vcc, 1, v6
	s_and_saveexec_b64 s[0:1], vcc
	s_cbranch_execz .LBB1568_397
; %bb.396:
	v_sub_u32_e32 v6, v28, v19
	v_lshlrev_b32_e32 v6, 3, v6
	ds_write_b64 v6, v[8:9]
.LBB1568_397:
	s_or_b64 exec, exec, s[0:1]
	v_and_b32_e32 v6, 1, v17
	;; [unrolled: 10-line block ×3, first 2 shown]
	v_cmp_eq_u32_e32 vcc, 1, v1
	s_and_saveexec_b64 s[0:1], vcc
	s_cbranch_execz .LBB1568_401
; %bb.400:
	v_sub_u32_e32 v1, v24, v19
	v_lshlrev_b32_e32 v1, 3, v1
	ds_write_b64 v1, v[4:5]
.LBB1568_401:
	s_or_b64 exec, exec, s[0:1]
	v_mov_b32_e32 v1, 1
	v_and_b32_sdwa v1, v1, v17 dst_sel:DWORD dst_unused:UNUSED_PAD src0_sel:DWORD src1_sel:WORD_1
	v_cmp_eq_u32_e32 vcc, 1, v1
	s_and_saveexec_b64 s[0:1], vcc
	s_cbranch_execz .LBB1568_403
; %bb.402:
	v_sub_u32_e32 v1, v22, v19
	v_lshlrev_b32_e32 v1, 3, v1
	ds_write_b64 v1, v[14:15]
.LBB1568_403:
	s_or_b64 exec, exec, s[0:1]
	v_cmp_lt_u32_e32 vcc, v0, v18
	s_waitcnt lgkmcnt(0)
	s_barrier
	s_and_saveexec_b64 s[0:1], vcc
	s_cbranch_execz .LBB1568_406
; %bb.404:
	v_mov_b32_e32 v5, 0
	v_mov_b32_e32 v4, v19
	s_lshl_b64 s[4:5], s[22:23], 3
	v_lshlrev_b64 v[6:7], 3, v[4:5]
	v_lshl_add_u64 v[6:7], s[4:5], 0, v[6:7]
	v_lshlrev_b32_e32 v2, 3, v0
	v_mov_b32_e32 v3, v5
	v_lshl_add_u64 v[4:5], s[2:3], 0, v[6:7]
	v_lshl_add_u64 v[4:5], v[4:5], 0, v[2:3]
	s_mov_b64 s[2:3], 0
	s_mov_b64 s[4:5], 0x1000
	v_mov_b32_e32 v1, v0
.LBB1568_405:                           ; =>This Inner Loop Header: Depth=1
	ds_read_b64 v[6:7], v2
	v_add_u32_e32 v1, 0x200, v1
	v_cmp_ge_u32_e32 vcc, v1, v18
	v_add_u32_e32 v2, 0x1000, v2
	s_or_b64 s[2:3], vcc, s[2:3]
	s_waitcnt lgkmcnt(0)
	global_store_dwordx2 v[4:5], v[6:7], off
	v_lshl_add_u64 v[4:5], v[4:5], 0, s[4:5]
	s_andn2_b64 exec, exec, s[2:3]
	s_cbranch_execnz .LBB1568_405
.LBB1568_406:
	s_or_b64 exec, exec, s[0:1]
	v_cmp_eq_u32_e32 vcc, 0, v0
	s_and_b64 s[0:1], vcc, s[24:25]
	s_and_saveexec_b64 s[2:3], s[0:1]
	s_cbranch_execz .LBB1568_366
.LBB1568_407:
	v_mov_b32_e32 v1, 0
	v_mov_b32_e32 v0, v18
	v_lshl_add_u64 v[2:3], s[22:23], 0, v[0:1]
	v_mov_b32_e32 v0, v19
	v_lshl_add_u64 v[2:3], v[2:3], 0, v[0:1]
	global_store_dwordx2 v1, v[2:3], s[20:21]
	s_endpgm
	.section	.rodata,"a",@progbits
	.p2align	6, 0x0
	.amdhsa_kernel _ZN7rocprim17ROCPRIM_400000_NS6detail17trampoline_kernelINS0_14default_configENS1_25partition_config_selectorILNS1_17partition_subalgoE8ElNS0_10empty_typeEbEEZZNS1_14partition_implILS5_8ELb0ES3_jPlPS6_PKS6_NS0_5tupleIJS9_S6_EEENSD_IJSA_SA_EEENS0_18inequality_wrapperIZN2at6native12_GLOBAL__N_124unique_dim_cuda_templateIjEESt5tupleIJNSH_6TensorESM_SM_EERKSM_lbbbEUlllE0_EEPmJS6_EEE10hipError_tPvRmT3_T4_T5_T6_T7_T9_mT8_P12ihipStream_tbDpT10_ENKUlT_T0_E_clISt17integral_constantIbLb1EES1B_IbLb0EEEEDaS17_S18_EUlS17_E_NS1_11comp_targetILNS1_3genE5ELNS1_11target_archE942ELNS1_3gpuE9ELNS1_3repE0EEENS1_30default_config_static_selectorELNS0_4arch9wavefront6targetE1EEEvT1_
		.amdhsa_group_segment_fixed_size 28684
		.amdhsa_private_segment_fixed_size 0
		.amdhsa_kernarg_size 120
		.amdhsa_user_sgpr_count 2
		.amdhsa_user_sgpr_dispatch_ptr 0
		.amdhsa_user_sgpr_queue_ptr 0
		.amdhsa_user_sgpr_kernarg_segment_ptr 1
		.amdhsa_user_sgpr_dispatch_id 0
		.amdhsa_user_sgpr_kernarg_preload_length 0
		.amdhsa_user_sgpr_kernarg_preload_offset 0
		.amdhsa_user_sgpr_private_segment_size 0
		.amdhsa_uses_dynamic_stack 0
		.amdhsa_enable_private_segment 0
		.amdhsa_system_sgpr_workgroup_id_x 1
		.amdhsa_system_sgpr_workgroup_id_y 0
		.amdhsa_system_sgpr_workgroup_id_z 0
		.amdhsa_system_sgpr_workgroup_info 0
		.amdhsa_system_vgpr_workitem_id 0
		.amdhsa_next_free_vgpr 52
		.amdhsa_next_free_sgpr 52
		.amdhsa_accum_offset 52
		.amdhsa_reserve_vcc 1
		.amdhsa_float_round_mode_32 0
		.amdhsa_float_round_mode_16_64 0
		.amdhsa_float_denorm_mode_32 3
		.amdhsa_float_denorm_mode_16_64 3
		.amdhsa_dx10_clamp 1
		.amdhsa_ieee_mode 1
		.amdhsa_fp16_overflow 0
		.amdhsa_tg_split 0
		.amdhsa_exception_fp_ieee_invalid_op 0
		.amdhsa_exception_fp_denorm_src 0
		.amdhsa_exception_fp_ieee_div_zero 0
		.amdhsa_exception_fp_ieee_overflow 0
		.amdhsa_exception_fp_ieee_underflow 0
		.amdhsa_exception_fp_ieee_inexact 0
		.amdhsa_exception_int_div_zero 0
	.end_amdhsa_kernel
	.section	.text._ZN7rocprim17ROCPRIM_400000_NS6detail17trampoline_kernelINS0_14default_configENS1_25partition_config_selectorILNS1_17partition_subalgoE8ElNS0_10empty_typeEbEEZZNS1_14partition_implILS5_8ELb0ES3_jPlPS6_PKS6_NS0_5tupleIJS9_S6_EEENSD_IJSA_SA_EEENS0_18inequality_wrapperIZN2at6native12_GLOBAL__N_124unique_dim_cuda_templateIjEESt5tupleIJNSH_6TensorESM_SM_EERKSM_lbbbEUlllE0_EEPmJS6_EEE10hipError_tPvRmT3_T4_T5_T6_T7_T9_mT8_P12ihipStream_tbDpT10_ENKUlT_T0_E_clISt17integral_constantIbLb1EES1B_IbLb0EEEEDaS17_S18_EUlS17_E_NS1_11comp_targetILNS1_3genE5ELNS1_11target_archE942ELNS1_3gpuE9ELNS1_3repE0EEENS1_30default_config_static_selectorELNS0_4arch9wavefront6targetE1EEEvT1_,"axG",@progbits,_ZN7rocprim17ROCPRIM_400000_NS6detail17trampoline_kernelINS0_14default_configENS1_25partition_config_selectorILNS1_17partition_subalgoE8ElNS0_10empty_typeEbEEZZNS1_14partition_implILS5_8ELb0ES3_jPlPS6_PKS6_NS0_5tupleIJS9_S6_EEENSD_IJSA_SA_EEENS0_18inequality_wrapperIZN2at6native12_GLOBAL__N_124unique_dim_cuda_templateIjEESt5tupleIJNSH_6TensorESM_SM_EERKSM_lbbbEUlllE0_EEPmJS6_EEE10hipError_tPvRmT3_T4_T5_T6_T7_T9_mT8_P12ihipStream_tbDpT10_ENKUlT_T0_E_clISt17integral_constantIbLb1EES1B_IbLb0EEEEDaS17_S18_EUlS17_E_NS1_11comp_targetILNS1_3genE5ELNS1_11target_archE942ELNS1_3gpuE9ELNS1_3repE0EEENS1_30default_config_static_selectorELNS0_4arch9wavefront6targetE1EEEvT1_,comdat
.Lfunc_end1568:
	.size	_ZN7rocprim17ROCPRIM_400000_NS6detail17trampoline_kernelINS0_14default_configENS1_25partition_config_selectorILNS1_17partition_subalgoE8ElNS0_10empty_typeEbEEZZNS1_14partition_implILS5_8ELb0ES3_jPlPS6_PKS6_NS0_5tupleIJS9_S6_EEENSD_IJSA_SA_EEENS0_18inequality_wrapperIZN2at6native12_GLOBAL__N_124unique_dim_cuda_templateIjEESt5tupleIJNSH_6TensorESM_SM_EERKSM_lbbbEUlllE0_EEPmJS6_EEE10hipError_tPvRmT3_T4_T5_T6_T7_T9_mT8_P12ihipStream_tbDpT10_ENKUlT_T0_E_clISt17integral_constantIbLb1EES1B_IbLb0EEEEDaS17_S18_EUlS17_E_NS1_11comp_targetILNS1_3genE5ELNS1_11target_archE942ELNS1_3gpuE9ELNS1_3repE0EEENS1_30default_config_static_selectorELNS0_4arch9wavefront6targetE1EEEvT1_, .Lfunc_end1568-_ZN7rocprim17ROCPRIM_400000_NS6detail17trampoline_kernelINS0_14default_configENS1_25partition_config_selectorILNS1_17partition_subalgoE8ElNS0_10empty_typeEbEEZZNS1_14partition_implILS5_8ELb0ES3_jPlPS6_PKS6_NS0_5tupleIJS9_S6_EEENSD_IJSA_SA_EEENS0_18inequality_wrapperIZN2at6native12_GLOBAL__N_124unique_dim_cuda_templateIjEESt5tupleIJNSH_6TensorESM_SM_EERKSM_lbbbEUlllE0_EEPmJS6_EEE10hipError_tPvRmT3_T4_T5_T6_T7_T9_mT8_P12ihipStream_tbDpT10_ENKUlT_T0_E_clISt17integral_constantIbLb1EES1B_IbLb0EEEEDaS17_S18_EUlS17_E_NS1_11comp_targetILNS1_3genE5ELNS1_11target_archE942ELNS1_3gpuE9ELNS1_3repE0EEENS1_30default_config_static_selectorELNS0_4arch9wavefront6targetE1EEEvT1_
                                        ; -- End function
	.section	.AMDGPU.csdata,"",@progbits
; Kernel info:
; codeLenInByte = 12916
; NumSgprs: 58
; NumVgprs: 52
; NumAgprs: 0
; TotalNumVgprs: 52
; ScratchSize: 0
; MemoryBound: 0
; FloatMode: 240
; IeeeMode: 1
; LDSByteSize: 28684 bytes/workgroup (compile time only)
; SGPRBlocks: 7
; VGPRBlocks: 6
; NumSGPRsForWavesPerEU: 58
; NumVGPRsForWavesPerEU: 52
; AccumOffset: 52
; Occupancy: 4
; WaveLimiterHint : 1
; COMPUTE_PGM_RSRC2:SCRATCH_EN: 0
; COMPUTE_PGM_RSRC2:USER_SGPR: 2
; COMPUTE_PGM_RSRC2:TRAP_HANDLER: 0
; COMPUTE_PGM_RSRC2:TGID_X_EN: 1
; COMPUTE_PGM_RSRC2:TGID_Y_EN: 0
; COMPUTE_PGM_RSRC2:TGID_Z_EN: 0
; COMPUTE_PGM_RSRC2:TIDIG_COMP_CNT: 0
; COMPUTE_PGM_RSRC3_GFX90A:ACCUM_OFFSET: 12
; COMPUTE_PGM_RSRC3_GFX90A:TG_SPLIT: 0
	.section	.text._ZN7rocprim17ROCPRIM_400000_NS6detail17trampoline_kernelINS0_14default_configENS1_25partition_config_selectorILNS1_17partition_subalgoE8ElNS0_10empty_typeEbEEZZNS1_14partition_implILS5_8ELb0ES3_jPlPS6_PKS6_NS0_5tupleIJS9_S6_EEENSD_IJSA_SA_EEENS0_18inequality_wrapperIZN2at6native12_GLOBAL__N_124unique_dim_cuda_templateIjEESt5tupleIJNSH_6TensorESM_SM_EERKSM_lbbbEUlllE0_EEPmJS6_EEE10hipError_tPvRmT3_T4_T5_T6_T7_T9_mT8_P12ihipStream_tbDpT10_ENKUlT_T0_E_clISt17integral_constantIbLb1EES1B_IbLb0EEEEDaS17_S18_EUlS17_E_NS1_11comp_targetILNS1_3genE4ELNS1_11target_archE910ELNS1_3gpuE8ELNS1_3repE0EEENS1_30default_config_static_selectorELNS0_4arch9wavefront6targetE1EEEvT1_,"axG",@progbits,_ZN7rocprim17ROCPRIM_400000_NS6detail17trampoline_kernelINS0_14default_configENS1_25partition_config_selectorILNS1_17partition_subalgoE8ElNS0_10empty_typeEbEEZZNS1_14partition_implILS5_8ELb0ES3_jPlPS6_PKS6_NS0_5tupleIJS9_S6_EEENSD_IJSA_SA_EEENS0_18inequality_wrapperIZN2at6native12_GLOBAL__N_124unique_dim_cuda_templateIjEESt5tupleIJNSH_6TensorESM_SM_EERKSM_lbbbEUlllE0_EEPmJS6_EEE10hipError_tPvRmT3_T4_T5_T6_T7_T9_mT8_P12ihipStream_tbDpT10_ENKUlT_T0_E_clISt17integral_constantIbLb1EES1B_IbLb0EEEEDaS17_S18_EUlS17_E_NS1_11comp_targetILNS1_3genE4ELNS1_11target_archE910ELNS1_3gpuE8ELNS1_3repE0EEENS1_30default_config_static_selectorELNS0_4arch9wavefront6targetE1EEEvT1_,comdat
	.globl	_ZN7rocprim17ROCPRIM_400000_NS6detail17trampoline_kernelINS0_14default_configENS1_25partition_config_selectorILNS1_17partition_subalgoE8ElNS0_10empty_typeEbEEZZNS1_14partition_implILS5_8ELb0ES3_jPlPS6_PKS6_NS0_5tupleIJS9_S6_EEENSD_IJSA_SA_EEENS0_18inequality_wrapperIZN2at6native12_GLOBAL__N_124unique_dim_cuda_templateIjEESt5tupleIJNSH_6TensorESM_SM_EERKSM_lbbbEUlllE0_EEPmJS6_EEE10hipError_tPvRmT3_T4_T5_T6_T7_T9_mT8_P12ihipStream_tbDpT10_ENKUlT_T0_E_clISt17integral_constantIbLb1EES1B_IbLb0EEEEDaS17_S18_EUlS17_E_NS1_11comp_targetILNS1_3genE4ELNS1_11target_archE910ELNS1_3gpuE8ELNS1_3repE0EEENS1_30default_config_static_selectorELNS0_4arch9wavefront6targetE1EEEvT1_ ; -- Begin function _ZN7rocprim17ROCPRIM_400000_NS6detail17trampoline_kernelINS0_14default_configENS1_25partition_config_selectorILNS1_17partition_subalgoE8ElNS0_10empty_typeEbEEZZNS1_14partition_implILS5_8ELb0ES3_jPlPS6_PKS6_NS0_5tupleIJS9_S6_EEENSD_IJSA_SA_EEENS0_18inequality_wrapperIZN2at6native12_GLOBAL__N_124unique_dim_cuda_templateIjEESt5tupleIJNSH_6TensorESM_SM_EERKSM_lbbbEUlllE0_EEPmJS6_EEE10hipError_tPvRmT3_T4_T5_T6_T7_T9_mT8_P12ihipStream_tbDpT10_ENKUlT_T0_E_clISt17integral_constantIbLb1EES1B_IbLb0EEEEDaS17_S18_EUlS17_E_NS1_11comp_targetILNS1_3genE4ELNS1_11target_archE910ELNS1_3gpuE8ELNS1_3repE0EEENS1_30default_config_static_selectorELNS0_4arch9wavefront6targetE1EEEvT1_
	.p2align	8
	.type	_ZN7rocprim17ROCPRIM_400000_NS6detail17trampoline_kernelINS0_14default_configENS1_25partition_config_selectorILNS1_17partition_subalgoE8ElNS0_10empty_typeEbEEZZNS1_14partition_implILS5_8ELb0ES3_jPlPS6_PKS6_NS0_5tupleIJS9_S6_EEENSD_IJSA_SA_EEENS0_18inequality_wrapperIZN2at6native12_GLOBAL__N_124unique_dim_cuda_templateIjEESt5tupleIJNSH_6TensorESM_SM_EERKSM_lbbbEUlllE0_EEPmJS6_EEE10hipError_tPvRmT3_T4_T5_T6_T7_T9_mT8_P12ihipStream_tbDpT10_ENKUlT_T0_E_clISt17integral_constantIbLb1EES1B_IbLb0EEEEDaS17_S18_EUlS17_E_NS1_11comp_targetILNS1_3genE4ELNS1_11target_archE910ELNS1_3gpuE8ELNS1_3repE0EEENS1_30default_config_static_selectorELNS0_4arch9wavefront6targetE1EEEvT1_,@function
_ZN7rocprim17ROCPRIM_400000_NS6detail17trampoline_kernelINS0_14default_configENS1_25partition_config_selectorILNS1_17partition_subalgoE8ElNS0_10empty_typeEbEEZZNS1_14partition_implILS5_8ELb0ES3_jPlPS6_PKS6_NS0_5tupleIJS9_S6_EEENSD_IJSA_SA_EEENS0_18inequality_wrapperIZN2at6native12_GLOBAL__N_124unique_dim_cuda_templateIjEESt5tupleIJNSH_6TensorESM_SM_EERKSM_lbbbEUlllE0_EEPmJS6_EEE10hipError_tPvRmT3_T4_T5_T6_T7_T9_mT8_P12ihipStream_tbDpT10_ENKUlT_T0_E_clISt17integral_constantIbLb1EES1B_IbLb0EEEEDaS17_S18_EUlS17_E_NS1_11comp_targetILNS1_3genE4ELNS1_11target_archE910ELNS1_3gpuE8ELNS1_3repE0EEENS1_30default_config_static_selectorELNS0_4arch9wavefront6targetE1EEEvT1_: ; @_ZN7rocprim17ROCPRIM_400000_NS6detail17trampoline_kernelINS0_14default_configENS1_25partition_config_selectorILNS1_17partition_subalgoE8ElNS0_10empty_typeEbEEZZNS1_14partition_implILS5_8ELb0ES3_jPlPS6_PKS6_NS0_5tupleIJS9_S6_EEENSD_IJSA_SA_EEENS0_18inequality_wrapperIZN2at6native12_GLOBAL__N_124unique_dim_cuda_templateIjEESt5tupleIJNSH_6TensorESM_SM_EERKSM_lbbbEUlllE0_EEPmJS6_EEE10hipError_tPvRmT3_T4_T5_T6_T7_T9_mT8_P12ihipStream_tbDpT10_ENKUlT_T0_E_clISt17integral_constantIbLb1EES1B_IbLb0EEEEDaS17_S18_EUlS17_E_NS1_11comp_targetILNS1_3genE4ELNS1_11target_archE910ELNS1_3gpuE8ELNS1_3repE0EEENS1_30default_config_static_selectorELNS0_4arch9wavefront6targetE1EEEvT1_
; %bb.0:
	.section	.rodata,"a",@progbits
	.p2align	6, 0x0
	.amdhsa_kernel _ZN7rocprim17ROCPRIM_400000_NS6detail17trampoline_kernelINS0_14default_configENS1_25partition_config_selectorILNS1_17partition_subalgoE8ElNS0_10empty_typeEbEEZZNS1_14partition_implILS5_8ELb0ES3_jPlPS6_PKS6_NS0_5tupleIJS9_S6_EEENSD_IJSA_SA_EEENS0_18inequality_wrapperIZN2at6native12_GLOBAL__N_124unique_dim_cuda_templateIjEESt5tupleIJNSH_6TensorESM_SM_EERKSM_lbbbEUlllE0_EEPmJS6_EEE10hipError_tPvRmT3_T4_T5_T6_T7_T9_mT8_P12ihipStream_tbDpT10_ENKUlT_T0_E_clISt17integral_constantIbLb1EES1B_IbLb0EEEEDaS17_S18_EUlS17_E_NS1_11comp_targetILNS1_3genE4ELNS1_11target_archE910ELNS1_3gpuE8ELNS1_3repE0EEENS1_30default_config_static_selectorELNS0_4arch9wavefront6targetE1EEEvT1_
		.amdhsa_group_segment_fixed_size 0
		.amdhsa_private_segment_fixed_size 0
		.amdhsa_kernarg_size 120
		.amdhsa_user_sgpr_count 2
		.amdhsa_user_sgpr_dispatch_ptr 0
		.amdhsa_user_sgpr_queue_ptr 0
		.amdhsa_user_sgpr_kernarg_segment_ptr 1
		.amdhsa_user_sgpr_dispatch_id 0
		.amdhsa_user_sgpr_kernarg_preload_length 0
		.amdhsa_user_sgpr_kernarg_preload_offset 0
		.amdhsa_user_sgpr_private_segment_size 0
		.amdhsa_uses_dynamic_stack 0
		.amdhsa_enable_private_segment 0
		.amdhsa_system_sgpr_workgroup_id_x 1
		.amdhsa_system_sgpr_workgroup_id_y 0
		.amdhsa_system_sgpr_workgroup_id_z 0
		.amdhsa_system_sgpr_workgroup_info 0
		.amdhsa_system_vgpr_workitem_id 0
		.amdhsa_next_free_vgpr 1
		.amdhsa_next_free_sgpr 0
		.amdhsa_accum_offset 4
		.amdhsa_reserve_vcc 0
		.amdhsa_float_round_mode_32 0
		.amdhsa_float_round_mode_16_64 0
		.amdhsa_float_denorm_mode_32 3
		.amdhsa_float_denorm_mode_16_64 3
		.amdhsa_dx10_clamp 1
		.amdhsa_ieee_mode 1
		.amdhsa_fp16_overflow 0
		.amdhsa_tg_split 0
		.amdhsa_exception_fp_ieee_invalid_op 0
		.amdhsa_exception_fp_denorm_src 0
		.amdhsa_exception_fp_ieee_div_zero 0
		.amdhsa_exception_fp_ieee_overflow 0
		.amdhsa_exception_fp_ieee_underflow 0
		.amdhsa_exception_fp_ieee_inexact 0
		.amdhsa_exception_int_div_zero 0
	.end_amdhsa_kernel
	.section	.text._ZN7rocprim17ROCPRIM_400000_NS6detail17trampoline_kernelINS0_14default_configENS1_25partition_config_selectorILNS1_17partition_subalgoE8ElNS0_10empty_typeEbEEZZNS1_14partition_implILS5_8ELb0ES3_jPlPS6_PKS6_NS0_5tupleIJS9_S6_EEENSD_IJSA_SA_EEENS0_18inequality_wrapperIZN2at6native12_GLOBAL__N_124unique_dim_cuda_templateIjEESt5tupleIJNSH_6TensorESM_SM_EERKSM_lbbbEUlllE0_EEPmJS6_EEE10hipError_tPvRmT3_T4_T5_T6_T7_T9_mT8_P12ihipStream_tbDpT10_ENKUlT_T0_E_clISt17integral_constantIbLb1EES1B_IbLb0EEEEDaS17_S18_EUlS17_E_NS1_11comp_targetILNS1_3genE4ELNS1_11target_archE910ELNS1_3gpuE8ELNS1_3repE0EEENS1_30default_config_static_selectorELNS0_4arch9wavefront6targetE1EEEvT1_,"axG",@progbits,_ZN7rocprim17ROCPRIM_400000_NS6detail17trampoline_kernelINS0_14default_configENS1_25partition_config_selectorILNS1_17partition_subalgoE8ElNS0_10empty_typeEbEEZZNS1_14partition_implILS5_8ELb0ES3_jPlPS6_PKS6_NS0_5tupleIJS9_S6_EEENSD_IJSA_SA_EEENS0_18inequality_wrapperIZN2at6native12_GLOBAL__N_124unique_dim_cuda_templateIjEESt5tupleIJNSH_6TensorESM_SM_EERKSM_lbbbEUlllE0_EEPmJS6_EEE10hipError_tPvRmT3_T4_T5_T6_T7_T9_mT8_P12ihipStream_tbDpT10_ENKUlT_T0_E_clISt17integral_constantIbLb1EES1B_IbLb0EEEEDaS17_S18_EUlS17_E_NS1_11comp_targetILNS1_3genE4ELNS1_11target_archE910ELNS1_3gpuE8ELNS1_3repE0EEENS1_30default_config_static_selectorELNS0_4arch9wavefront6targetE1EEEvT1_,comdat
.Lfunc_end1569:
	.size	_ZN7rocprim17ROCPRIM_400000_NS6detail17trampoline_kernelINS0_14default_configENS1_25partition_config_selectorILNS1_17partition_subalgoE8ElNS0_10empty_typeEbEEZZNS1_14partition_implILS5_8ELb0ES3_jPlPS6_PKS6_NS0_5tupleIJS9_S6_EEENSD_IJSA_SA_EEENS0_18inequality_wrapperIZN2at6native12_GLOBAL__N_124unique_dim_cuda_templateIjEESt5tupleIJNSH_6TensorESM_SM_EERKSM_lbbbEUlllE0_EEPmJS6_EEE10hipError_tPvRmT3_T4_T5_T6_T7_T9_mT8_P12ihipStream_tbDpT10_ENKUlT_T0_E_clISt17integral_constantIbLb1EES1B_IbLb0EEEEDaS17_S18_EUlS17_E_NS1_11comp_targetILNS1_3genE4ELNS1_11target_archE910ELNS1_3gpuE8ELNS1_3repE0EEENS1_30default_config_static_selectorELNS0_4arch9wavefront6targetE1EEEvT1_, .Lfunc_end1569-_ZN7rocprim17ROCPRIM_400000_NS6detail17trampoline_kernelINS0_14default_configENS1_25partition_config_selectorILNS1_17partition_subalgoE8ElNS0_10empty_typeEbEEZZNS1_14partition_implILS5_8ELb0ES3_jPlPS6_PKS6_NS0_5tupleIJS9_S6_EEENSD_IJSA_SA_EEENS0_18inequality_wrapperIZN2at6native12_GLOBAL__N_124unique_dim_cuda_templateIjEESt5tupleIJNSH_6TensorESM_SM_EERKSM_lbbbEUlllE0_EEPmJS6_EEE10hipError_tPvRmT3_T4_T5_T6_T7_T9_mT8_P12ihipStream_tbDpT10_ENKUlT_T0_E_clISt17integral_constantIbLb1EES1B_IbLb0EEEEDaS17_S18_EUlS17_E_NS1_11comp_targetILNS1_3genE4ELNS1_11target_archE910ELNS1_3gpuE8ELNS1_3repE0EEENS1_30default_config_static_selectorELNS0_4arch9wavefront6targetE1EEEvT1_
                                        ; -- End function
	.section	.AMDGPU.csdata,"",@progbits
; Kernel info:
; codeLenInByte = 0
; NumSgprs: 6
; NumVgprs: 0
; NumAgprs: 0
; TotalNumVgprs: 0
; ScratchSize: 0
; MemoryBound: 0
; FloatMode: 240
; IeeeMode: 1
; LDSByteSize: 0 bytes/workgroup (compile time only)
; SGPRBlocks: 0
; VGPRBlocks: 0
; NumSGPRsForWavesPerEU: 6
; NumVGPRsForWavesPerEU: 1
; AccumOffset: 4
; Occupancy: 8
; WaveLimiterHint : 0
; COMPUTE_PGM_RSRC2:SCRATCH_EN: 0
; COMPUTE_PGM_RSRC2:USER_SGPR: 2
; COMPUTE_PGM_RSRC2:TRAP_HANDLER: 0
; COMPUTE_PGM_RSRC2:TGID_X_EN: 1
; COMPUTE_PGM_RSRC2:TGID_Y_EN: 0
; COMPUTE_PGM_RSRC2:TGID_Z_EN: 0
; COMPUTE_PGM_RSRC2:TIDIG_COMP_CNT: 0
; COMPUTE_PGM_RSRC3_GFX90A:ACCUM_OFFSET: 0
; COMPUTE_PGM_RSRC3_GFX90A:TG_SPLIT: 0
	.section	.text._ZN7rocprim17ROCPRIM_400000_NS6detail17trampoline_kernelINS0_14default_configENS1_25partition_config_selectorILNS1_17partition_subalgoE8ElNS0_10empty_typeEbEEZZNS1_14partition_implILS5_8ELb0ES3_jPlPS6_PKS6_NS0_5tupleIJS9_S6_EEENSD_IJSA_SA_EEENS0_18inequality_wrapperIZN2at6native12_GLOBAL__N_124unique_dim_cuda_templateIjEESt5tupleIJNSH_6TensorESM_SM_EERKSM_lbbbEUlllE0_EEPmJS6_EEE10hipError_tPvRmT3_T4_T5_T6_T7_T9_mT8_P12ihipStream_tbDpT10_ENKUlT_T0_E_clISt17integral_constantIbLb1EES1B_IbLb0EEEEDaS17_S18_EUlS17_E_NS1_11comp_targetILNS1_3genE3ELNS1_11target_archE908ELNS1_3gpuE7ELNS1_3repE0EEENS1_30default_config_static_selectorELNS0_4arch9wavefront6targetE1EEEvT1_,"axG",@progbits,_ZN7rocprim17ROCPRIM_400000_NS6detail17trampoline_kernelINS0_14default_configENS1_25partition_config_selectorILNS1_17partition_subalgoE8ElNS0_10empty_typeEbEEZZNS1_14partition_implILS5_8ELb0ES3_jPlPS6_PKS6_NS0_5tupleIJS9_S6_EEENSD_IJSA_SA_EEENS0_18inequality_wrapperIZN2at6native12_GLOBAL__N_124unique_dim_cuda_templateIjEESt5tupleIJNSH_6TensorESM_SM_EERKSM_lbbbEUlllE0_EEPmJS6_EEE10hipError_tPvRmT3_T4_T5_T6_T7_T9_mT8_P12ihipStream_tbDpT10_ENKUlT_T0_E_clISt17integral_constantIbLb1EES1B_IbLb0EEEEDaS17_S18_EUlS17_E_NS1_11comp_targetILNS1_3genE3ELNS1_11target_archE908ELNS1_3gpuE7ELNS1_3repE0EEENS1_30default_config_static_selectorELNS0_4arch9wavefront6targetE1EEEvT1_,comdat
	.globl	_ZN7rocprim17ROCPRIM_400000_NS6detail17trampoline_kernelINS0_14default_configENS1_25partition_config_selectorILNS1_17partition_subalgoE8ElNS0_10empty_typeEbEEZZNS1_14partition_implILS5_8ELb0ES3_jPlPS6_PKS6_NS0_5tupleIJS9_S6_EEENSD_IJSA_SA_EEENS0_18inequality_wrapperIZN2at6native12_GLOBAL__N_124unique_dim_cuda_templateIjEESt5tupleIJNSH_6TensorESM_SM_EERKSM_lbbbEUlllE0_EEPmJS6_EEE10hipError_tPvRmT3_T4_T5_T6_T7_T9_mT8_P12ihipStream_tbDpT10_ENKUlT_T0_E_clISt17integral_constantIbLb1EES1B_IbLb0EEEEDaS17_S18_EUlS17_E_NS1_11comp_targetILNS1_3genE3ELNS1_11target_archE908ELNS1_3gpuE7ELNS1_3repE0EEENS1_30default_config_static_selectorELNS0_4arch9wavefront6targetE1EEEvT1_ ; -- Begin function _ZN7rocprim17ROCPRIM_400000_NS6detail17trampoline_kernelINS0_14default_configENS1_25partition_config_selectorILNS1_17partition_subalgoE8ElNS0_10empty_typeEbEEZZNS1_14partition_implILS5_8ELb0ES3_jPlPS6_PKS6_NS0_5tupleIJS9_S6_EEENSD_IJSA_SA_EEENS0_18inequality_wrapperIZN2at6native12_GLOBAL__N_124unique_dim_cuda_templateIjEESt5tupleIJNSH_6TensorESM_SM_EERKSM_lbbbEUlllE0_EEPmJS6_EEE10hipError_tPvRmT3_T4_T5_T6_T7_T9_mT8_P12ihipStream_tbDpT10_ENKUlT_T0_E_clISt17integral_constantIbLb1EES1B_IbLb0EEEEDaS17_S18_EUlS17_E_NS1_11comp_targetILNS1_3genE3ELNS1_11target_archE908ELNS1_3gpuE7ELNS1_3repE0EEENS1_30default_config_static_selectorELNS0_4arch9wavefront6targetE1EEEvT1_
	.p2align	8
	.type	_ZN7rocprim17ROCPRIM_400000_NS6detail17trampoline_kernelINS0_14default_configENS1_25partition_config_selectorILNS1_17partition_subalgoE8ElNS0_10empty_typeEbEEZZNS1_14partition_implILS5_8ELb0ES3_jPlPS6_PKS6_NS0_5tupleIJS9_S6_EEENSD_IJSA_SA_EEENS0_18inequality_wrapperIZN2at6native12_GLOBAL__N_124unique_dim_cuda_templateIjEESt5tupleIJNSH_6TensorESM_SM_EERKSM_lbbbEUlllE0_EEPmJS6_EEE10hipError_tPvRmT3_T4_T5_T6_T7_T9_mT8_P12ihipStream_tbDpT10_ENKUlT_T0_E_clISt17integral_constantIbLb1EES1B_IbLb0EEEEDaS17_S18_EUlS17_E_NS1_11comp_targetILNS1_3genE3ELNS1_11target_archE908ELNS1_3gpuE7ELNS1_3repE0EEENS1_30default_config_static_selectorELNS0_4arch9wavefront6targetE1EEEvT1_,@function
_ZN7rocprim17ROCPRIM_400000_NS6detail17trampoline_kernelINS0_14default_configENS1_25partition_config_selectorILNS1_17partition_subalgoE8ElNS0_10empty_typeEbEEZZNS1_14partition_implILS5_8ELb0ES3_jPlPS6_PKS6_NS0_5tupleIJS9_S6_EEENSD_IJSA_SA_EEENS0_18inequality_wrapperIZN2at6native12_GLOBAL__N_124unique_dim_cuda_templateIjEESt5tupleIJNSH_6TensorESM_SM_EERKSM_lbbbEUlllE0_EEPmJS6_EEE10hipError_tPvRmT3_T4_T5_T6_T7_T9_mT8_P12ihipStream_tbDpT10_ENKUlT_T0_E_clISt17integral_constantIbLb1EES1B_IbLb0EEEEDaS17_S18_EUlS17_E_NS1_11comp_targetILNS1_3genE3ELNS1_11target_archE908ELNS1_3gpuE7ELNS1_3repE0EEENS1_30default_config_static_selectorELNS0_4arch9wavefront6targetE1EEEvT1_: ; @_ZN7rocprim17ROCPRIM_400000_NS6detail17trampoline_kernelINS0_14default_configENS1_25partition_config_selectorILNS1_17partition_subalgoE8ElNS0_10empty_typeEbEEZZNS1_14partition_implILS5_8ELb0ES3_jPlPS6_PKS6_NS0_5tupleIJS9_S6_EEENSD_IJSA_SA_EEENS0_18inequality_wrapperIZN2at6native12_GLOBAL__N_124unique_dim_cuda_templateIjEESt5tupleIJNSH_6TensorESM_SM_EERKSM_lbbbEUlllE0_EEPmJS6_EEE10hipError_tPvRmT3_T4_T5_T6_T7_T9_mT8_P12ihipStream_tbDpT10_ENKUlT_T0_E_clISt17integral_constantIbLb1EES1B_IbLb0EEEEDaS17_S18_EUlS17_E_NS1_11comp_targetILNS1_3genE3ELNS1_11target_archE908ELNS1_3gpuE7ELNS1_3repE0EEENS1_30default_config_static_selectorELNS0_4arch9wavefront6targetE1EEEvT1_
; %bb.0:
	.section	.rodata,"a",@progbits
	.p2align	6, 0x0
	.amdhsa_kernel _ZN7rocprim17ROCPRIM_400000_NS6detail17trampoline_kernelINS0_14default_configENS1_25partition_config_selectorILNS1_17partition_subalgoE8ElNS0_10empty_typeEbEEZZNS1_14partition_implILS5_8ELb0ES3_jPlPS6_PKS6_NS0_5tupleIJS9_S6_EEENSD_IJSA_SA_EEENS0_18inequality_wrapperIZN2at6native12_GLOBAL__N_124unique_dim_cuda_templateIjEESt5tupleIJNSH_6TensorESM_SM_EERKSM_lbbbEUlllE0_EEPmJS6_EEE10hipError_tPvRmT3_T4_T5_T6_T7_T9_mT8_P12ihipStream_tbDpT10_ENKUlT_T0_E_clISt17integral_constantIbLb1EES1B_IbLb0EEEEDaS17_S18_EUlS17_E_NS1_11comp_targetILNS1_3genE3ELNS1_11target_archE908ELNS1_3gpuE7ELNS1_3repE0EEENS1_30default_config_static_selectorELNS0_4arch9wavefront6targetE1EEEvT1_
		.amdhsa_group_segment_fixed_size 0
		.amdhsa_private_segment_fixed_size 0
		.amdhsa_kernarg_size 120
		.amdhsa_user_sgpr_count 2
		.amdhsa_user_sgpr_dispatch_ptr 0
		.amdhsa_user_sgpr_queue_ptr 0
		.amdhsa_user_sgpr_kernarg_segment_ptr 1
		.amdhsa_user_sgpr_dispatch_id 0
		.amdhsa_user_sgpr_kernarg_preload_length 0
		.amdhsa_user_sgpr_kernarg_preload_offset 0
		.amdhsa_user_sgpr_private_segment_size 0
		.amdhsa_uses_dynamic_stack 0
		.amdhsa_enable_private_segment 0
		.amdhsa_system_sgpr_workgroup_id_x 1
		.amdhsa_system_sgpr_workgroup_id_y 0
		.amdhsa_system_sgpr_workgroup_id_z 0
		.amdhsa_system_sgpr_workgroup_info 0
		.amdhsa_system_vgpr_workitem_id 0
		.amdhsa_next_free_vgpr 1
		.amdhsa_next_free_sgpr 0
		.amdhsa_accum_offset 4
		.amdhsa_reserve_vcc 0
		.amdhsa_float_round_mode_32 0
		.amdhsa_float_round_mode_16_64 0
		.amdhsa_float_denorm_mode_32 3
		.amdhsa_float_denorm_mode_16_64 3
		.amdhsa_dx10_clamp 1
		.amdhsa_ieee_mode 1
		.amdhsa_fp16_overflow 0
		.amdhsa_tg_split 0
		.amdhsa_exception_fp_ieee_invalid_op 0
		.amdhsa_exception_fp_denorm_src 0
		.amdhsa_exception_fp_ieee_div_zero 0
		.amdhsa_exception_fp_ieee_overflow 0
		.amdhsa_exception_fp_ieee_underflow 0
		.amdhsa_exception_fp_ieee_inexact 0
		.amdhsa_exception_int_div_zero 0
	.end_amdhsa_kernel
	.section	.text._ZN7rocprim17ROCPRIM_400000_NS6detail17trampoline_kernelINS0_14default_configENS1_25partition_config_selectorILNS1_17partition_subalgoE8ElNS0_10empty_typeEbEEZZNS1_14partition_implILS5_8ELb0ES3_jPlPS6_PKS6_NS0_5tupleIJS9_S6_EEENSD_IJSA_SA_EEENS0_18inequality_wrapperIZN2at6native12_GLOBAL__N_124unique_dim_cuda_templateIjEESt5tupleIJNSH_6TensorESM_SM_EERKSM_lbbbEUlllE0_EEPmJS6_EEE10hipError_tPvRmT3_T4_T5_T6_T7_T9_mT8_P12ihipStream_tbDpT10_ENKUlT_T0_E_clISt17integral_constantIbLb1EES1B_IbLb0EEEEDaS17_S18_EUlS17_E_NS1_11comp_targetILNS1_3genE3ELNS1_11target_archE908ELNS1_3gpuE7ELNS1_3repE0EEENS1_30default_config_static_selectorELNS0_4arch9wavefront6targetE1EEEvT1_,"axG",@progbits,_ZN7rocprim17ROCPRIM_400000_NS6detail17trampoline_kernelINS0_14default_configENS1_25partition_config_selectorILNS1_17partition_subalgoE8ElNS0_10empty_typeEbEEZZNS1_14partition_implILS5_8ELb0ES3_jPlPS6_PKS6_NS0_5tupleIJS9_S6_EEENSD_IJSA_SA_EEENS0_18inequality_wrapperIZN2at6native12_GLOBAL__N_124unique_dim_cuda_templateIjEESt5tupleIJNSH_6TensorESM_SM_EERKSM_lbbbEUlllE0_EEPmJS6_EEE10hipError_tPvRmT3_T4_T5_T6_T7_T9_mT8_P12ihipStream_tbDpT10_ENKUlT_T0_E_clISt17integral_constantIbLb1EES1B_IbLb0EEEEDaS17_S18_EUlS17_E_NS1_11comp_targetILNS1_3genE3ELNS1_11target_archE908ELNS1_3gpuE7ELNS1_3repE0EEENS1_30default_config_static_selectorELNS0_4arch9wavefront6targetE1EEEvT1_,comdat
.Lfunc_end1570:
	.size	_ZN7rocprim17ROCPRIM_400000_NS6detail17trampoline_kernelINS0_14default_configENS1_25partition_config_selectorILNS1_17partition_subalgoE8ElNS0_10empty_typeEbEEZZNS1_14partition_implILS5_8ELb0ES3_jPlPS6_PKS6_NS0_5tupleIJS9_S6_EEENSD_IJSA_SA_EEENS0_18inequality_wrapperIZN2at6native12_GLOBAL__N_124unique_dim_cuda_templateIjEESt5tupleIJNSH_6TensorESM_SM_EERKSM_lbbbEUlllE0_EEPmJS6_EEE10hipError_tPvRmT3_T4_T5_T6_T7_T9_mT8_P12ihipStream_tbDpT10_ENKUlT_T0_E_clISt17integral_constantIbLb1EES1B_IbLb0EEEEDaS17_S18_EUlS17_E_NS1_11comp_targetILNS1_3genE3ELNS1_11target_archE908ELNS1_3gpuE7ELNS1_3repE0EEENS1_30default_config_static_selectorELNS0_4arch9wavefront6targetE1EEEvT1_, .Lfunc_end1570-_ZN7rocprim17ROCPRIM_400000_NS6detail17trampoline_kernelINS0_14default_configENS1_25partition_config_selectorILNS1_17partition_subalgoE8ElNS0_10empty_typeEbEEZZNS1_14partition_implILS5_8ELb0ES3_jPlPS6_PKS6_NS0_5tupleIJS9_S6_EEENSD_IJSA_SA_EEENS0_18inequality_wrapperIZN2at6native12_GLOBAL__N_124unique_dim_cuda_templateIjEESt5tupleIJNSH_6TensorESM_SM_EERKSM_lbbbEUlllE0_EEPmJS6_EEE10hipError_tPvRmT3_T4_T5_T6_T7_T9_mT8_P12ihipStream_tbDpT10_ENKUlT_T0_E_clISt17integral_constantIbLb1EES1B_IbLb0EEEEDaS17_S18_EUlS17_E_NS1_11comp_targetILNS1_3genE3ELNS1_11target_archE908ELNS1_3gpuE7ELNS1_3repE0EEENS1_30default_config_static_selectorELNS0_4arch9wavefront6targetE1EEEvT1_
                                        ; -- End function
	.section	.AMDGPU.csdata,"",@progbits
; Kernel info:
; codeLenInByte = 0
; NumSgprs: 6
; NumVgprs: 0
; NumAgprs: 0
; TotalNumVgprs: 0
; ScratchSize: 0
; MemoryBound: 0
; FloatMode: 240
; IeeeMode: 1
; LDSByteSize: 0 bytes/workgroup (compile time only)
; SGPRBlocks: 0
; VGPRBlocks: 0
; NumSGPRsForWavesPerEU: 6
; NumVGPRsForWavesPerEU: 1
; AccumOffset: 4
; Occupancy: 8
; WaveLimiterHint : 0
; COMPUTE_PGM_RSRC2:SCRATCH_EN: 0
; COMPUTE_PGM_RSRC2:USER_SGPR: 2
; COMPUTE_PGM_RSRC2:TRAP_HANDLER: 0
; COMPUTE_PGM_RSRC2:TGID_X_EN: 1
; COMPUTE_PGM_RSRC2:TGID_Y_EN: 0
; COMPUTE_PGM_RSRC2:TGID_Z_EN: 0
; COMPUTE_PGM_RSRC2:TIDIG_COMP_CNT: 0
; COMPUTE_PGM_RSRC3_GFX90A:ACCUM_OFFSET: 0
; COMPUTE_PGM_RSRC3_GFX90A:TG_SPLIT: 0
	.section	.text._ZN7rocprim17ROCPRIM_400000_NS6detail17trampoline_kernelINS0_14default_configENS1_25partition_config_selectorILNS1_17partition_subalgoE8ElNS0_10empty_typeEbEEZZNS1_14partition_implILS5_8ELb0ES3_jPlPS6_PKS6_NS0_5tupleIJS9_S6_EEENSD_IJSA_SA_EEENS0_18inequality_wrapperIZN2at6native12_GLOBAL__N_124unique_dim_cuda_templateIjEESt5tupleIJNSH_6TensorESM_SM_EERKSM_lbbbEUlllE0_EEPmJS6_EEE10hipError_tPvRmT3_T4_T5_T6_T7_T9_mT8_P12ihipStream_tbDpT10_ENKUlT_T0_E_clISt17integral_constantIbLb1EES1B_IbLb0EEEEDaS17_S18_EUlS17_E_NS1_11comp_targetILNS1_3genE2ELNS1_11target_archE906ELNS1_3gpuE6ELNS1_3repE0EEENS1_30default_config_static_selectorELNS0_4arch9wavefront6targetE1EEEvT1_,"axG",@progbits,_ZN7rocprim17ROCPRIM_400000_NS6detail17trampoline_kernelINS0_14default_configENS1_25partition_config_selectorILNS1_17partition_subalgoE8ElNS0_10empty_typeEbEEZZNS1_14partition_implILS5_8ELb0ES3_jPlPS6_PKS6_NS0_5tupleIJS9_S6_EEENSD_IJSA_SA_EEENS0_18inequality_wrapperIZN2at6native12_GLOBAL__N_124unique_dim_cuda_templateIjEESt5tupleIJNSH_6TensorESM_SM_EERKSM_lbbbEUlllE0_EEPmJS6_EEE10hipError_tPvRmT3_T4_T5_T6_T7_T9_mT8_P12ihipStream_tbDpT10_ENKUlT_T0_E_clISt17integral_constantIbLb1EES1B_IbLb0EEEEDaS17_S18_EUlS17_E_NS1_11comp_targetILNS1_3genE2ELNS1_11target_archE906ELNS1_3gpuE6ELNS1_3repE0EEENS1_30default_config_static_selectorELNS0_4arch9wavefront6targetE1EEEvT1_,comdat
	.globl	_ZN7rocprim17ROCPRIM_400000_NS6detail17trampoline_kernelINS0_14default_configENS1_25partition_config_selectorILNS1_17partition_subalgoE8ElNS0_10empty_typeEbEEZZNS1_14partition_implILS5_8ELb0ES3_jPlPS6_PKS6_NS0_5tupleIJS9_S6_EEENSD_IJSA_SA_EEENS0_18inequality_wrapperIZN2at6native12_GLOBAL__N_124unique_dim_cuda_templateIjEESt5tupleIJNSH_6TensorESM_SM_EERKSM_lbbbEUlllE0_EEPmJS6_EEE10hipError_tPvRmT3_T4_T5_T6_T7_T9_mT8_P12ihipStream_tbDpT10_ENKUlT_T0_E_clISt17integral_constantIbLb1EES1B_IbLb0EEEEDaS17_S18_EUlS17_E_NS1_11comp_targetILNS1_3genE2ELNS1_11target_archE906ELNS1_3gpuE6ELNS1_3repE0EEENS1_30default_config_static_selectorELNS0_4arch9wavefront6targetE1EEEvT1_ ; -- Begin function _ZN7rocprim17ROCPRIM_400000_NS6detail17trampoline_kernelINS0_14default_configENS1_25partition_config_selectorILNS1_17partition_subalgoE8ElNS0_10empty_typeEbEEZZNS1_14partition_implILS5_8ELb0ES3_jPlPS6_PKS6_NS0_5tupleIJS9_S6_EEENSD_IJSA_SA_EEENS0_18inequality_wrapperIZN2at6native12_GLOBAL__N_124unique_dim_cuda_templateIjEESt5tupleIJNSH_6TensorESM_SM_EERKSM_lbbbEUlllE0_EEPmJS6_EEE10hipError_tPvRmT3_T4_T5_T6_T7_T9_mT8_P12ihipStream_tbDpT10_ENKUlT_T0_E_clISt17integral_constantIbLb1EES1B_IbLb0EEEEDaS17_S18_EUlS17_E_NS1_11comp_targetILNS1_3genE2ELNS1_11target_archE906ELNS1_3gpuE6ELNS1_3repE0EEENS1_30default_config_static_selectorELNS0_4arch9wavefront6targetE1EEEvT1_
	.p2align	8
	.type	_ZN7rocprim17ROCPRIM_400000_NS6detail17trampoline_kernelINS0_14default_configENS1_25partition_config_selectorILNS1_17partition_subalgoE8ElNS0_10empty_typeEbEEZZNS1_14partition_implILS5_8ELb0ES3_jPlPS6_PKS6_NS0_5tupleIJS9_S6_EEENSD_IJSA_SA_EEENS0_18inequality_wrapperIZN2at6native12_GLOBAL__N_124unique_dim_cuda_templateIjEESt5tupleIJNSH_6TensorESM_SM_EERKSM_lbbbEUlllE0_EEPmJS6_EEE10hipError_tPvRmT3_T4_T5_T6_T7_T9_mT8_P12ihipStream_tbDpT10_ENKUlT_T0_E_clISt17integral_constantIbLb1EES1B_IbLb0EEEEDaS17_S18_EUlS17_E_NS1_11comp_targetILNS1_3genE2ELNS1_11target_archE906ELNS1_3gpuE6ELNS1_3repE0EEENS1_30default_config_static_selectorELNS0_4arch9wavefront6targetE1EEEvT1_,@function
_ZN7rocprim17ROCPRIM_400000_NS6detail17trampoline_kernelINS0_14default_configENS1_25partition_config_selectorILNS1_17partition_subalgoE8ElNS0_10empty_typeEbEEZZNS1_14partition_implILS5_8ELb0ES3_jPlPS6_PKS6_NS0_5tupleIJS9_S6_EEENSD_IJSA_SA_EEENS0_18inequality_wrapperIZN2at6native12_GLOBAL__N_124unique_dim_cuda_templateIjEESt5tupleIJNSH_6TensorESM_SM_EERKSM_lbbbEUlllE0_EEPmJS6_EEE10hipError_tPvRmT3_T4_T5_T6_T7_T9_mT8_P12ihipStream_tbDpT10_ENKUlT_T0_E_clISt17integral_constantIbLb1EES1B_IbLb0EEEEDaS17_S18_EUlS17_E_NS1_11comp_targetILNS1_3genE2ELNS1_11target_archE906ELNS1_3gpuE6ELNS1_3repE0EEENS1_30default_config_static_selectorELNS0_4arch9wavefront6targetE1EEEvT1_: ; @_ZN7rocprim17ROCPRIM_400000_NS6detail17trampoline_kernelINS0_14default_configENS1_25partition_config_selectorILNS1_17partition_subalgoE8ElNS0_10empty_typeEbEEZZNS1_14partition_implILS5_8ELb0ES3_jPlPS6_PKS6_NS0_5tupleIJS9_S6_EEENSD_IJSA_SA_EEENS0_18inequality_wrapperIZN2at6native12_GLOBAL__N_124unique_dim_cuda_templateIjEESt5tupleIJNSH_6TensorESM_SM_EERKSM_lbbbEUlllE0_EEPmJS6_EEE10hipError_tPvRmT3_T4_T5_T6_T7_T9_mT8_P12ihipStream_tbDpT10_ENKUlT_T0_E_clISt17integral_constantIbLb1EES1B_IbLb0EEEEDaS17_S18_EUlS17_E_NS1_11comp_targetILNS1_3genE2ELNS1_11target_archE906ELNS1_3gpuE6ELNS1_3repE0EEENS1_30default_config_static_selectorELNS0_4arch9wavefront6targetE1EEEvT1_
; %bb.0:
	.section	.rodata,"a",@progbits
	.p2align	6, 0x0
	.amdhsa_kernel _ZN7rocprim17ROCPRIM_400000_NS6detail17trampoline_kernelINS0_14default_configENS1_25partition_config_selectorILNS1_17partition_subalgoE8ElNS0_10empty_typeEbEEZZNS1_14partition_implILS5_8ELb0ES3_jPlPS6_PKS6_NS0_5tupleIJS9_S6_EEENSD_IJSA_SA_EEENS0_18inequality_wrapperIZN2at6native12_GLOBAL__N_124unique_dim_cuda_templateIjEESt5tupleIJNSH_6TensorESM_SM_EERKSM_lbbbEUlllE0_EEPmJS6_EEE10hipError_tPvRmT3_T4_T5_T6_T7_T9_mT8_P12ihipStream_tbDpT10_ENKUlT_T0_E_clISt17integral_constantIbLb1EES1B_IbLb0EEEEDaS17_S18_EUlS17_E_NS1_11comp_targetILNS1_3genE2ELNS1_11target_archE906ELNS1_3gpuE6ELNS1_3repE0EEENS1_30default_config_static_selectorELNS0_4arch9wavefront6targetE1EEEvT1_
		.amdhsa_group_segment_fixed_size 0
		.amdhsa_private_segment_fixed_size 0
		.amdhsa_kernarg_size 120
		.amdhsa_user_sgpr_count 2
		.amdhsa_user_sgpr_dispatch_ptr 0
		.amdhsa_user_sgpr_queue_ptr 0
		.amdhsa_user_sgpr_kernarg_segment_ptr 1
		.amdhsa_user_sgpr_dispatch_id 0
		.amdhsa_user_sgpr_kernarg_preload_length 0
		.amdhsa_user_sgpr_kernarg_preload_offset 0
		.amdhsa_user_sgpr_private_segment_size 0
		.amdhsa_uses_dynamic_stack 0
		.amdhsa_enable_private_segment 0
		.amdhsa_system_sgpr_workgroup_id_x 1
		.amdhsa_system_sgpr_workgroup_id_y 0
		.amdhsa_system_sgpr_workgroup_id_z 0
		.amdhsa_system_sgpr_workgroup_info 0
		.amdhsa_system_vgpr_workitem_id 0
		.amdhsa_next_free_vgpr 1
		.amdhsa_next_free_sgpr 0
		.amdhsa_accum_offset 4
		.amdhsa_reserve_vcc 0
		.amdhsa_float_round_mode_32 0
		.amdhsa_float_round_mode_16_64 0
		.amdhsa_float_denorm_mode_32 3
		.amdhsa_float_denorm_mode_16_64 3
		.amdhsa_dx10_clamp 1
		.amdhsa_ieee_mode 1
		.amdhsa_fp16_overflow 0
		.amdhsa_tg_split 0
		.amdhsa_exception_fp_ieee_invalid_op 0
		.amdhsa_exception_fp_denorm_src 0
		.amdhsa_exception_fp_ieee_div_zero 0
		.amdhsa_exception_fp_ieee_overflow 0
		.amdhsa_exception_fp_ieee_underflow 0
		.amdhsa_exception_fp_ieee_inexact 0
		.amdhsa_exception_int_div_zero 0
	.end_amdhsa_kernel
	.section	.text._ZN7rocprim17ROCPRIM_400000_NS6detail17trampoline_kernelINS0_14default_configENS1_25partition_config_selectorILNS1_17partition_subalgoE8ElNS0_10empty_typeEbEEZZNS1_14partition_implILS5_8ELb0ES3_jPlPS6_PKS6_NS0_5tupleIJS9_S6_EEENSD_IJSA_SA_EEENS0_18inequality_wrapperIZN2at6native12_GLOBAL__N_124unique_dim_cuda_templateIjEESt5tupleIJNSH_6TensorESM_SM_EERKSM_lbbbEUlllE0_EEPmJS6_EEE10hipError_tPvRmT3_T4_T5_T6_T7_T9_mT8_P12ihipStream_tbDpT10_ENKUlT_T0_E_clISt17integral_constantIbLb1EES1B_IbLb0EEEEDaS17_S18_EUlS17_E_NS1_11comp_targetILNS1_3genE2ELNS1_11target_archE906ELNS1_3gpuE6ELNS1_3repE0EEENS1_30default_config_static_selectorELNS0_4arch9wavefront6targetE1EEEvT1_,"axG",@progbits,_ZN7rocprim17ROCPRIM_400000_NS6detail17trampoline_kernelINS0_14default_configENS1_25partition_config_selectorILNS1_17partition_subalgoE8ElNS0_10empty_typeEbEEZZNS1_14partition_implILS5_8ELb0ES3_jPlPS6_PKS6_NS0_5tupleIJS9_S6_EEENSD_IJSA_SA_EEENS0_18inequality_wrapperIZN2at6native12_GLOBAL__N_124unique_dim_cuda_templateIjEESt5tupleIJNSH_6TensorESM_SM_EERKSM_lbbbEUlllE0_EEPmJS6_EEE10hipError_tPvRmT3_T4_T5_T6_T7_T9_mT8_P12ihipStream_tbDpT10_ENKUlT_T0_E_clISt17integral_constantIbLb1EES1B_IbLb0EEEEDaS17_S18_EUlS17_E_NS1_11comp_targetILNS1_3genE2ELNS1_11target_archE906ELNS1_3gpuE6ELNS1_3repE0EEENS1_30default_config_static_selectorELNS0_4arch9wavefront6targetE1EEEvT1_,comdat
.Lfunc_end1571:
	.size	_ZN7rocprim17ROCPRIM_400000_NS6detail17trampoline_kernelINS0_14default_configENS1_25partition_config_selectorILNS1_17partition_subalgoE8ElNS0_10empty_typeEbEEZZNS1_14partition_implILS5_8ELb0ES3_jPlPS6_PKS6_NS0_5tupleIJS9_S6_EEENSD_IJSA_SA_EEENS0_18inequality_wrapperIZN2at6native12_GLOBAL__N_124unique_dim_cuda_templateIjEESt5tupleIJNSH_6TensorESM_SM_EERKSM_lbbbEUlllE0_EEPmJS6_EEE10hipError_tPvRmT3_T4_T5_T6_T7_T9_mT8_P12ihipStream_tbDpT10_ENKUlT_T0_E_clISt17integral_constantIbLb1EES1B_IbLb0EEEEDaS17_S18_EUlS17_E_NS1_11comp_targetILNS1_3genE2ELNS1_11target_archE906ELNS1_3gpuE6ELNS1_3repE0EEENS1_30default_config_static_selectorELNS0_4arch9wavefront6targetE1EEEvT1_, .Lfunc_end1571-_ZN7rocprim17ROCPRIM_400000_NS6detail17trampoline_kernelINS0_14default_configENS1_25partition_config_selectorILNS1_17partition_subalgoE8ElNS0_10empty_typeEbEEZZNS1_14partition_implILS5_8ELb0ES3_jPlPS6_PKS6_NS0_5tupleIJS9_S6_EEENSD_IJSA_SA_EEENS0_18inequality_wrapperIZN2at6native12_GLOBAL__N_124unique_dim_cuda_templateIjEESt5tupleIJNSH_6TensorESM_SM_EERKSM_lbbbEUlllE0_EEPmJS6_EEE10hipError_tPvRmT3_T4_T5_T6_T7_T9_mT8_P12ihipStream_tbDpT10_ENKUlT_T0_E_clISt17integral_constantIbLb1EES1B_IbLb0EEEEDaS17_S18_EUlS17_E_NS1_11comp_targetILNS1_3genE2ELNS1_11target_archE906ELNS1_3gpuE6ELNS1_3repE0EEENS1_30default_config_static_selectorELNS0_4arch9wavefront6targetE1EEEvT1_
                                        ; -- End function
	.section	.AMDGPU.csdata,"",@progbits
; Kernel info:
; codeLenInByte = 0
; NumSgprs: 6
; NumVgprs: 0
; NumAgprs: 0
; TotalNumVgprs: 0
; ScratchSize: 0
; MemoryBound: 0
; FloatMode: 240
; IeeeMode: 1
; LDSByteSize: 0 bytes/workgroup (compile time only)
; SGPRBlocks: 0
; VGPRBlocks: 0
; NumSGPRsForWavesPerEU: 6
; NumVGPRsForWavesPerEU: 1
; AccumOffset: 4
; Occupancy: 8
; WaveLimiterHint : 0
; COMPUTE_PGM_RSRC2:SCRATCH_EN: 0
; COMPUTE_PGM_RSRC2:USER_SGPR: 2
; COMPUTE_PGM_RSRC2:TRAP_HANDLER: 0
; COMPUTE_PGM_RSRC2:TGID_X_EN: 1
; COMPUTE_PGM_RSRC2:TGID_Y_EN: 0
; COMPUTE_PGM_RSRC2:TGID_Z_EN: 0
; COMPUTE_PGM_RSRC2:TIDIG_COMP_CNT: 0
; COMPUTE_PGM_RSRC3_GFX90A:ACCUM_OFFSET: 0
; COMPUTE_PGM_RSRC3_GFX90A:TG_SPLIT: 0
	.section	.text._ZN7rocprim17ROCPRIM_400000_NS6detail17trampoline_kernelINS0_14default_configENS1_25partition_config_selectorILNS1_17partition_subalgoE8ElNS0_10empty_typeEbEEZZNS1_14partition_implILS5_8ELb0ES3_jPlPS6_PKS6_NS0_5tupleIJS9_S6_EEENSD_IJSA_SA_EEENS0_18inequality_wrapperIZN2at6native12_GLOBAL__N_124unique_dim_cuda_templateIjEESt5tupleIJNSH_6TensorESM_SM_EERKSM_lbbbEUlllE0_EEPmJS6_EEE10hipError_tPvRmT3_T4_T5_T6_T7_T9_mT8_P12ihipStream_tbDpT10_ENKUlT_T0_E_clISt17integral_constantIbLb1EES1B_IbLb0EEEEDaS17_S18_EUlS17_E_NS1_11comp_targetILNS1_3genE10ELNS1_11target_archE1200ELNS1_3gpuE4ELNS1_3repE0EEENS1_30default_config_static_selectorELNS0_4arch9wavefront6targetE1EEEvT1_,"axG",@progbits,_ZN7rocprim17ROCPRIM_400000_NS6detail17trampoline_kernelINS0_14default_configENS1_25partition_config_selectorILNS1_17partition_subalgoE8ElNS0_10empty_typeEbEEZZNS1_14partition_implILS5_8ELb0ES3_jPlPS6_PKS6_NS0_5tupleIJS9_S6_EEENSD_IJSA_SA_EEENS0_18inequality_wrapperIZN2at6native12_GLOBAL__N_124unique_dim_cuda_templateIjEESt5tupleIJNSH_6TensorESM_SM_EERKSM_lbbbEUlllE0_EEPmJS6_EEE10hipError_tPvRmT3_T4_T5_T6_T7_T9_mT8_P12ihipStream_tbDpT10_ENKUlT_T0_E_clISt17integral_constantIbLb1EES1B_IbLb0EEEEDaS17_S18_EUlS17_E_NS1_11comp_targetILNS1_3genE10ELNS1_11target_archE1200ELNS1_3gpuE4ELNS1_3repE0EEENS1_30default_config_static_selectorELNS0_4arch9wavefront6targetE1EEEvT1_,comdat
	.globl	_ZN7rocprim17ROCPRIM_400000_NS6detail17trampoline_kernelINS0_14default_configENS1_25partition_config_selectorILNS1_17partition_subalgoE8ElNS0_10empty_typeEbEEZZNS1_14partition_implILS5_8ELb0ES3_jPlPS6_PKS6_NS0_5tupleIJS9_S6_EEENSD_IJSA_SA_EEENS0_18inequality_wrapperIZN2at6native12_GLOBAL__N_124unique_dim_cuda_templateIjEESt5tupleIJNSH_6TensorESM_SM_EERKSM_lbbbEUlllE0_EEPmJS6_EEE10hipError_tPvRmT3_T4_T5_T6_T7_T9_mT8_P12ihipStream_tbDpT10_ENKUlT_T0_E_clISt17integral_constantIbLb1EES1B_IbLb0EEEEDaS17_S18_EUlS17_E_NS1_11comp_targetILNS1_3genE10ELNS1_11target_archE1200ELNS1_3gpuE4ELNS1_3repE0EEENS1_30default_config_static_selectorELNS0_4arch9wavefront6targetE1EEEvT1_ ; -- Begin function _ZN7rocprim17ROCPRIM_400000_NS6detail17trampoline_kernelINS0_14default_configENS1_25partition_config_selectorILNS1_17partition_subalgoE8ElNS0_10empty_typeEbEEZZNS1_14partition_implILS5_8ELb0ES3_jPlPS6_PKS6_NS0_5tupleIJS9_S6_EEENSD_IJSA_SA_EEENS0_18inequality_wrapperIZN2at6native12_GLOBAL__N_124unique_dim_cuda_templateIjEESt5tupleIJNSH_6TensorESM_SM_EERKSM_lbbbEUlllE0_EEPmJS6_EEE10hipError_tPvRmT3_T4_T5_T6_T7_T9_mT8_P12ihipStream_tbDpT10_ENKUlT_T0_E_clISt17integral_constantIbLb1EES1B_IbLb0EEEEDaS17_S18_EUlS17_E_NS1_11comp_targetILNS1_3genE10ELNS1_11target_archE1200ELNS1_3gpuE4ELNS1_3repE0EEENS1_30default_config_static_selectorELNS0_4arch9wavefront6targetE1EEEvT1_
	.p2align	8
	.type	_ZN7rocprim17ROCPRIM_400000_NS6detail17trampoline_kernelINS0_14default_configENS1_25partition_config_selectorILNS1_17partition_subalgoE8ElNS0_10empty_typeEbEEZZNS1_14partition_implILS5_8ELb0ES3_jPlPS6_PKS6_NS0_5tupleIJS9_S6_EEENSD_IJSA_SA_EEENS0_18inequality_wrapperIZN2at6native12_GLOBAL__N_124unique_dim_cuda_templateIjEESt5tupleIJNSH_6TensorESM_SM_EERKSM_lbbbEUlllE0_EEPmJS6_EEE10hipError_tPvRmT3_T4_T5_T6_T7_T9_mT8_P12ihipStream_tbDpT10_ENKUlT_T0_E_clISt17integral_constantIbLb1EES1B_IbLb0EEEEDaS17_S18_EUlS17_E_NS1_11comp_targetILNS1_3genE10ELNS1_11target_archE1200ELNS1_3gpuE4ELNS1_3repE0EEENS1_30default_config_static_selectorELNS0_4arch9wavefront6targetE1EEEvT1_,@function
_ZN7rocprim17ROCPRIM_400000_NS6detail17trampoline_kernelINS0_14default_configENS1_25partition_config_selectorILNS1_17partition_subalgoE8ElNS0_10empty_typeEbEEZZNS1_14partition_implILS5_8ELb0ES3_jPlPS6_PKS6_NS0_5tupleIJS9_S6_EEENSD_IJSA_SA_EEENS0_18inequality_wrapperIZN2at6native12_GLOBAL__N_124unique_dim_cuda_templateIjEESt5tupleIJNSH_6TensorESM_SM_EERKSM_lbbbEUlllE0_EEPmJS6_EEE10hipError_tPvRmT3_T4_T5_T6_T7_T9_mT8_P12ihipStream_tbDpT10_ENKUlT_T0_E_clISt17integral_constantIbLb1EES1B_IbLb0EEEEDaS17_S18_EUlS17_E_NS1_11comp_targetILNS1_3genE10ELNS1_11target_archE1200ELNS1_3gpuE4ELNS1_3repE0EEENS1_30default_config_static_selectorELNS0_4arch9wavefront6targetE1EEEvT1_: ; @_ZN7rocprim17ROCPRIM_400000_NS6detail17trampoline_kernelINS0_14default_configENS1_25partition_config_selectorILNS1_17partition_subalgoE8ElNS0_10empty_typeEbEEZZNS1_14partition_implILS5_8ELb0ES3_jPlPS6_PKS6_NS0_5tupleIJS9_S6_EEENSD_IJSA_SA_EEENS0_18inequality_wrapperIZN2at6native12_GLOBAL__N_124unique_dim_cuda_templateIjEESt5tupleIJNSH_6TensorESM_SM_EERKSM_lbbbEUlllE0_EEPmJS6_EEE10hipError_tPvRmT3_T4_T5_T6_T7_T9_mT8_P12ihipStream_tbDpT10_ENKUlT_T0_E_clISt17integral_constantIbLb1EES1B_IbLb0EEEEDaS17_S18_EUlS17_E_NS1_11comp_targetILNS1_3genE10ELNS1_11target_archE1200ELNS1_3gpuE4ELNS1_3repE0EEENS1_30default_config_static_selectorELNS0_4arch9wavefront6targetE1EEEvT1_
; %bb.0:
	.section	.rodata,"a",@progbits
	.p2align	6, 0x0
	.amdhsa_kernel _ZN7rocprim17ROCPRIM_400000_NS6detail17trampoline_kernelINS0_14default_configENS1_25partition_config_selectorILNS1_17partition_subalgoE8ElNS0_10empty_typeEbEEZZNS1_14partition_implILS5_8ELb0ES3_jPlPS6_PKS6_NS0_5tupleIJS9_S6_EEENSD_IJSA_SA_EEENS0_18inequality_wrapperIZN2at6native12_GLOBAL__N_124unique_dim_cuda_templateIjEESt5tupleIJNSH_6TensorESM_SM_EERKSM_lbbbEUlllE0_EEPmJS6_EEE10hipError_tPvRmT3_T4_T5_T6_T7_T9_mT8_P12ihipStream_tbDpT10_ENKUlT_T0_E_clISt17integral_constantIbLb1EES1B_IbLb0EEEEDaS17_S18_EUlS17_E_NS1_11comp_targetILNS1_3genE10ELNS1_11target_archE1200ELNS1_3gpuE4ELNS1_3repE0EEENS1_30default_config_static_selectorELNS0_4arch9wavefront6targetE1EEEvT1_
		.amdhsa_group_segment_fixed_size 0
		.amdhsa_private_segment_fixed_size 0
		.amdhsa_kernarg_size 120
		.amdhsa_user_sgpr_count 2
		.amdhsa_user_sgpr_dispatch_ptr 0
		.amdhsa_user_sgpr_queue_ptr 0
		.amdhsa_user_sgpr_kernarg_segment_ptr 1
		.amdhsa_user_sgpr_dispatch_id 0
		.amdhsa_user_sgpr_kernarg_preload_length 0
		.amdhsa_user_sgpr_kernarg_preload_offset 0
		.amdhsa_user_sgpr_private_segment_size 0
		.amdhsa_uses_dynamic_stack 0
		.amdhsa_enable_private_segment 0
		.amdhsa_system_sgpr_workgroup_id_x 1
		.amdhsa_system_sgpr_workgroup_id_y 0
		.amdhsa_system_sgpr_workgroup_id_z 0
		.amdhsa_system_sgpr_workgroup_info 0
		.amdhsa_system_vgpr_workitem_id 0
		.amdhsa_next_free_vgpr 1
		.amdhsa_next_free_sgpr 0
		.amdhsa_accum_offset 4
		.amdhsa_reserve_vcc 0
		.amdhsa_float_round_mode_32 0
		.amdhsa_float_round_mode_16_64 0
		.amdhsa_float_denorm_mode_32 3
		.amdhsa_float_denorm_mode_16_64 3
		.amdhsa_dx10_clamp 1
		.amdhsa_ieee_mode 1
		.amdhsa_fp16_overflow 0
		.amdhsa_tg_split 0
		.amdhsa_exception_fp_ieee_invalid_op 0
		.amdhsa_exception_fp_denorm_src 0
		.amdhsa_exception_fp_ieee_div_zero 0
		.amdhsa_exception_fp_ieee_overflow 0
		.amdhsa_exception_fp_ieee_underflow 0
		.amdhsa_exception_fp_ieee_inexact 0
		.amdhsa_exception_int_div_zero 0
	.end_amdhsa_kernel
	.section	.text._ZN7rocprim17ROCPRIM_400000_NS6detail17trampoline_kernelINS0_14default_configENS1_25partition_config_selectorILNS1_17partition_subalgoE8ElNS0_10empty_typeEbEEZZNS1_14partition_implILS5_8ELb0ES3_jPlPS6_PKS6_NS0_5tupleIJS9_S6_EEENSD_IJSA_SA_EEENS0_18inequality_wrapperIZN2at6native12_GLOBAL__N_124unique_dim_cuda_templateIjEESt5tupleIJNSH_6TensorESM_SM_EERKSM_lbbbEUlllE0_EEPmJS6_EEE10hipError_tPvRmT3_T4_T5_T6_T7_T9_mT8_P12ihipStream_tbDpT10_ENKUlT_T0_E_clISt17integral_constantIbLb1EES1B_IbLb0EEEEDaS17_S18_EUlS17_E_NS1_11comp_targetILNS1_3genE10ELNS1_11target_archE1200ELNS1_3gpuE4ELNS1_3repE0EEENS1_30default_config_static_selectorELNS0_4arch9wavefront6targetE1EEEvT1_,"axG",@progbits,_ZN7rocprim17ROCPRIM_400000_NS6detail17trampoline_kernelINS0_14default_configENS1_25partition_config_selectorILNS1_17partition_subalgoE8ElNS0_10empty_typeEbEEZZNS1_14partition_implILS5_8ELb0ES3_jPlPS6_PKS6_NS0_5tupleIJS9_S6_EEENSD_IJSA_SA_EEENS0_18inequality_wrapperIZN2at6native12_GLOBAL__N_124unique_dim_cuda_templateIjEESt5tupleIJNSH_6TensorESM_SM_EERKSM_lbbbEUlllE0_EEPmJS6_EEE10hipError_tPvRmT3_T4_T5_T6_T7_T9_mT8_P12ihipStream_tbDpT10_ENKUlT_T0_E_clISt17integral_constantIbLb1EES1B_IbLb0EEEEDaS17_S18_EUlS17_E_NS1_11comp_targetILNS1_3genE10ELNS1_11target_archE1200ELNS1_3gpuE4ELNS1_3repE0EEENS1_30default_config_static_selectorELNS0_4arch9wavefront6targetE1EEEvT1_,comdat
.Lfunc_end1572:
	.size	_ZN7rocprim17ROCPRIM_400000_NS6detail17trampoline_kernelINS0_14default_configENS1_25partition_config_selectorILNS1_17partition_subalgoE8ElNS0_10empty_typeEbEEZZNS1_14partition_implILS5_8ELb0ES3_jPlPS6_PKS6_NS0_5tupleIJS9_S6_EEENSD_IJSA_SA_EEENS0_18inequality_wrapperIZN2at6native12_GLOBAL__N_124unique_dim_cuda_templateIjEESt5tupleIJNSH_6TensorESM_SM_EERKSM_lbbbEUlllE0_EEPmJS6_EEE10hipError_tPvRmT3_T4_T5_T6_T7_T9_mT8_P12ihipStream_tbDpT10_ENKUlT_T0_E_clISt17integral_constantIbLb1EES1B_IbLb0EEEEDaS17_S18_EUlS17_E_NS1_11comp_targetILNS1_3genE10ELNS1_11target_archE1200ELNS1_3gpuE4ELNS1_3repE0EEENS1_30default_config_static_selectorELNS0_4arch9wavefront6targetE1EEEvT1_, .Lfunc_end1572-_ZN7rocprim17ROCPRIM_400000_NS6detail17trampoline_kernelINS0_14default_configENS1_25partition_config_selectorILNS1_17partition_subalgoE8ElNS0_10empty_typeEbEEZZNS1_14partition_implILS5_8ELb0ES3_jPlPS6_PKS6_NS0_5tupleIJS9_S6_EEENSD_IJSA_SA_EEENS0_18inequality_wrapperIZN2at6native12_GLOBAL__N_124unique_dim_cuda_templateIjEESt5tupleIJNSH_6TensorESM_SM_EERKSM_lbbbEUlllE0_EEPmJS6_EEE10hipError_tPvRmT3_T4_T5_T6_T7_T9_mT8_P12ihipStream_tbDpT10_ENKUlT_T0_E_clISt17integral_constantIbLb1EES1B_IbLb0EEEEDaS17_S18_EUlS17_E_NS1_11comp_targetILNS1_3genE10ELNS1_11target_archE1200ELNS1_3gpuE4ELNS1_3repE0EEENS1_30default_config_static_selectorELNS0_4arch9wavefront6targetE1EEEvT1_
                                        ; -- End function
	.section	.AMDGPU.csdata,"",@progbits
; Kernel info:
; codeLenInByte = 0
; NumSgprs: 6
; NumVgprs: 0
; NumAgprs: 0
; TotalNumVgprs: 0
; ScratchSize: 0
; MemoryBound: 0
; FloatMode: 240
; IeeeMode: 1
; LDSByteSize: 0 bytes/workgroup (compile time only)
; SGPRBlocks: 0
; VGPRBlocks: 0
; NumSGPRsForWavesPerEU: 6
; NumVGPRsForWavesPerEU: 1
; AccumOffset: 4
; Occupancy: 8
; WaveLimiterHint : 0
; COMPUTE_PGM_RSRC2:SCRATCH_EN: 0
; COMPUTE_PGM_RSRC2:USER_SGPR: 2
; COMPUTE_PGM_RSRC2:TRAP_HANDLER: 0
; COMPUTE_PGM_RSRC2:TGID_X_EN: 1
; COMPUTE_PGM_RSRC2:TGID_Y_EN: 0
; COMPUTE_PGM_RSRC2:TGID_Z_EN: 0
; COMPUTE_PGM_RSRC2:TIDIG_COMP_CNT: 0
; COMPUTE_PGM_RSRC3_GFX90A:ACCUM_OFFSET: 0
; COMPUTE_PGM_RSRC3_GFX90A:TG_SPLIT: 0
	.section	.text._ZN7rocprim17ROCPRIM_400000_NS6detail17trampoline_kernelINS0_14default_configENS1_25partition_config_selectorILNS1_17partition_subalgoE8ElNS0_10empty_typeEbEEZZNS1_14partition_implILS5_8ELb0ES3_jPlPS6_PKS6_NS0_5tupleIJS9_S6_EEENSD_IJSA_SA_EEENS0_18inequality_wrapperIZN2at6native12_GLOBAL__N_124unique_dim_cuda_templateIjEESt5tupleIJNSH_6TensorESM_SM_EERKSM_lbbbEUlllE0_EEPmJS6_EEE10hipError_tPvRmT3_T4_T5_T6_T7_T9_mT8_P12ihipStream_tbDpT10_ENKUlT_T0_E_clISt17integral_constantIbLb1EES1B_IbLb0EEEEDaS17_S18_EUlS17_E_NS1_11comp_targetILNS1_3genE9ELNS1_11target_archE1100ELNS1_3gpuE3ELNS1_3repE0EEENS1_30default_config_static_selectorELNS0_4arch9wavefront6targetE1EEEvT1_,"axG",@progbits,_ZN7rocprim17ROCPRIM_400000_NS6detail17trampoline_kernelINS0_14default_configENS1_25partition_config_selectorILNS1_17partition_subalgoE8ElNS0_10empty_typeEbEEZZNS1_14partition_implILS5_8ELb0ES3_jPlPS6_PKS6_NS0_5tupleIJS9_S6_EEENSD_IJSA_SA_EEENS0_18inequality_wrapperIZN2at6native12_GLOBAL__N_124unique_dim_cuda_templateIjEESt5tupleIJNSH_6TensorESM_SM_EERKSM_lbbbEUlllE0_EEPmJS6_EEE10hipError_tPvRmT3_T4_T5_T6_T7_T9_mT8_P12ihipStream_tbDpT10_ENKUlT_T0_E_clISt17integral_constantIbLb1EES1B_IbLb0EEEEDaS17_S18_EUlS17_E_NS1_11comp_targetILNS1_3genE9ELNS1_11target_archE1100ELNS1_3gpuE3ELNS1_3repE0EEENS1_30default_config_static_selectorELNS0_4arch9wavefront6targetE1EEEvT1_,comdat
	.globl	_ZN7rocprim17ROCPRIM_400000_NS6detail17trampoline_kernelINS0_14default_configENS1_25partition_config_selectorILNS1_17partition_subalgoE8ElNS0_10empty_typeEbEEZZNS1_14partition_implILS5_8ELb0ES3_jPlPS6_PKS6_NS0_5tupleIJS9_S6_EEENSD_IJSA_SA_EEENS0_18inequality_wrapperIZN2at6native12_GLOBAL__N_124unique_dim_cuda_templateIjEESt5tupleIJNSH_6TensorESM_SM_EERKSM_lbbbEUlllE0_EEPmJS6_EEE10hipError_tPvRmT3_T4_T5_T6_T7_T9_mT8_P12ihipStream_tbDpT10_ENKUlT_T0_E_clISt17integral_constantIbLb1EES1B_IbLb0EEEEDaS17_S18_EUlS17_E_NS1_11comp_targetILNS1_3genE9ELNS1_11target_archE1100ELNS1_3gpuE3ELNS1_3repE0EEENS1_30default_config_static_selectorELNS0_4arch9wavefront6targetE1EEEvT1_ ; -- Begin function _ZN7rocprim17ROCPRIM_400000_NS6detail17trampoline_kernelINS0_14default_configENS1_25partition_config_selectorILNS1_17partition_subalgoE8ElNS0_10empty_typeEbEEZZNS1_14partition_implILS5_8ELb0ES3_jPlPS6_PKS6_NS0_5tupleIJS9_S6_EEENSD_IJSA_SA_EEENS0_18inequality_wrapperIZN2at6native12_GLOBAL__N_124unique_dim_cuda_templateIjEESt5tupleIJNSH_6TensorESM_SM_EERKSM_lbbbEUlllE0_EEPmJS6_EEE10hipError_tPvRmT3_T4_T5_T6_T7_T9_mT8_P12ihipStream_tbDpT10_ENKUlT_T0_E_clISt17integral_constantIbLb1EES1B_IbLb0EEEEDaS17_S18_EUlS17_E_NS1_11comp_targetILNS1_3genE9ELNS1_11target_archE1100ELNS1_3gpuE3ELNS1_3repE0EEENS1_30default_config_static_selectorELNS0_4arch9wavefront6targetE1EEEvT1_
	.p2align	8
	.type	_ZN7rocprim17ROCPRIM_400000_NS6detail17trampoline_kernelINS0_14default_configENS1_25partition_config_selectorILNS1_17partition_subalgoE8ElNS0_10empty_typeEbEEZZNS1_14partition_implILS5_8ELb0ES3_jPlPS6_PKS6_NS0_5tupleIJS9_S6_EEENSD_IJSA_SA_EEENS0_18inequality_wrapperIZN2at6native12_GLOBAL__N_124unique_dim_cuda_templateIjEESt5tupleIJNSH_6TensorESM_SM_EERKSM_lbbbEUlllE0_EEPmJS6_EEE10hipError_tPvRmT3_T4_T5_T6_T7_T9_mT8_P12ihipStream_tbDpT10_ENKUlT_T0_E_clISt17integral_constantIbLb1EES1B_IbLb0EEEEDaS17_S18_EUlS17_E_NS1_11comp_targetILNS1_3genE9ELNS1_11target_archE1100ELNS1_3gpuE3ELNS1_3repE0EEENS1_30default_config_static_selectorELNS0_4arch9wavefront6targetE1EEEvT1_,@function
_ZN7rocprim17ROCPRIM_400000_NS6detail17trampoline_kernelINS0_14default_configENS1_25partition_config_selectorILNS1_17partition_subalgoE8ElNS0_10empty_typeEbEEZZNS1_14partition_implILS5_8ELb0ES3_jPlPS6_PKS6_NS0_5tupleIJS9_S6_EEENSD_IJSA_SA_EEENS0_18inequality_wrapperIZN2at6native12_GLOBAL__N_124unique_dim_cuda_templateIjEESt5tupleIJNSH_6TensorESM_SM_EERKSM_lbbbEUlllE0_EEPmJS6_EEE10hipError_tPvRmT3_T4_T5_T6_T7_T9_mT8_P12ihipStream_tbDpT10_ENKUlT_T0_E_clISt17integral_constantIbLb1EES1B_IbLb0EEEEDaS17_S18_EUlS17_E_NS1_11comp_targetILNS1_3genE9ELNS1_11target_archE1100ELNS1_3gpuE3ELNS1_3repE0EEENS1_30default_config_static_selectorELNS0_4arch9wavefront6targetE1EEEvT1_: ; @_ZN7rocprim17ROCPRIM_400000_NS6detail17trampoline_kernelINS0_14default_configENS1_25partition_config_selectorILNS1_17partition_subalgoE8ElNS0_10empty_typeEbEEZZNS1_14partition_implILS5_8ELb0ES3_jPlPS6_PKS6_NS0_5tupleIJS9_S6_EEENSD_IJSA_SA_EEENS0_18inequality_wrapperIZN2at6native12_GLOBAL__N_124unique_dim_cuda_templateIjEESt5tupleIJNSH_6TensorESM_SM_EERKSM_lbbbEUlllE0_EEPmJS6_EEE10hipError_tPvRmT3_T4_T5_T6_T7_T9_mT8_P12ihipStream_tbDpT10_ENKUlT_T0_E_clISt17integral_constantIbLb1EES1B_IbLb0EEEEDaS17_S18_EUlS17_E_NS1_11comp_targetILNS1_3genE9ELNS1_11target_archE1100ELNS1_3gpuE3ELNS1_3repE0EEENS1_30default_config_static_selectorELNS0_4arch9wavefront6targetE1EEEvT1_
; %bb.0:
	.section	.rodata,"a",@progbits
	.p2align	6, 0x0
	.amdhsa_kernel _ZN7rocprim17ROCPRIM_400000_NS6detail17trampoline_kernelINS0_14default_configENS1_25partition_config_selectorILNS1_17partition_subalgoE8ElNS0_10empty_typeEbEEZZNS1_14partition_implILS5_8ELb0ES3_jPlPS6_PKS6_NS0_5tupleIJS9_S6_EEENSD_IJSA_SA_EEENS0_18inequality_wrapperIZN2at6native12_GLOBAL__N_124unique_dim_cuda_templateIjEESt5tupleIJNSH_6TensorESM_SM_EERKSM_lbbbEUlllE0_EEPmJS6_EEE10hipError_tPvRmT3_T4_T5_T6_T7_T9_mT8_P12ihipStream_tbDpT10_ENKUlT_T0_E_clISt17integral_constantIbLb1EES1B_IbLb0EEEEDaS17_S18_EUlS17_E_NS1_11comp_targetILNS1_3genE9ELNS1_11target_archE1100ELNS1_3gpuE3ELNS1_3repE0EEENS1_30default_config_static_selectorELNS0_4arch9wavefront6targetE1EEEvT1_
		.amdhsa_group_segment_fixed_size 0
		.amdhsa_private_segment_fixed_size 0
		.amdhsa_kernarg_size 120
		.amdhsa_user_sgpr_count 2
		.amdhsa_user_sgpr_dispatch_ptr 0
		.amdhsa_user_sgpr_queue_ptr 0
		.amdhsa_user_sgpr_kernarg_segment_ptr 1
		.amdhsa_user_sgpr_dispatch_id 0
		.amdhsa_user_sgpr_kernarg_preload_length 0
		.amdhsa_user_sgpr_kernarg_preload_offset 0
		.amdhsa_user_sgpr_private_segment_size 0
		.amdhsa_uses_dynamic_stack 0
		.amdhsa_enable_private_segment 0
		.amdhsa_system_sgpr_workgroup_id_x 1
		.amdhsa_system_sgpr_workgroup_id_y 0
		.amdhsa_system_sgpr_workgroup_id_z 0
		.amdhsa_system_sgpr_workgroup_info 0
		.amdhsa_system_vgpr_workitem_id 0
		.amdhsa_next_free_vgpr 1
		.amdhsa_next_free_sgpr 0
		.amdhsa_accum_offset 4
		.amdhsa_reserve_vcc 0
		.amdhsa_float_round_mode_32 0
		.amdhsa_float_round_mode_16_64 0
		.amdhsa_float_denorm_mode_32 3
		.amdhsa_float_denorm_mode_16_64 3
		.amdhsa_dx10_clamp 1
		.amdhsa_ieee_mode 1
		.amdhsa_fp16_overflow 0
		.amdhsa_tg_split 0
		.amdhsa_exception_fp_ieee_invalid_op 0
		.amdhsa_exception_fp_denorm_src 0
		.amdhsa_exception_fp_ieee_div_zero 0
		.amdhsa_exception_fp_ieee_overflow 0
		.amdhsa_exception_fp_ieee_underflow 0
		.amdhsa_exception_fp_ieee_inexact 0
		.amdhsa_exception_int_div_zero 0
	.end_amdhsa_kernel
	.section	.text._ZN7rocprim17ROCPRIM_400000_NS6detail17trampoline_kernelINS0_14default_configENS1_25partition_config_selectorILNS1_17partition_subalgoE8ElNS0_10empty_typeEbEEZZNS1_14partition_implILS5_8ELb0ES3_jPlPS6_PKS6_NS0_5tupleIJS9_S6_EEENSD_IJSA_SA_EEENS0_18inequality_wrapperIZN2at6native12_GLOBAL__N_124unique_dim_cuda_templateIjEESt5tupleIJNSH_6TensorESM_SM_EERKSM_lbbbEUlllE0_EEPmJS6_EEE10hipError_tPvRmT3_T4_T5_T6_T7_T9_mT8_P12ihipStream_tbDpT10_ENKUlT_T0_E_clISt17integral_constantIbLb1EES1B_IbLb0EEEEDaS17_S18_EUlS17_E_NS1_11comp_targetILNS1_3genE9ELNS1_11target_archE1100ELNS1_3gpuE3ELNS1_3repE0EEENS1_30default_config_static_selectorELNS0_4arch9wavefront6targetE1EEEvT1_,"axG",@progbits,_ZN7rocprim17ROCPRIM_400000_NS6detail17trampoline_kernelINS0_14default_configENS1_25partition_config_selectorILNS1_17partition_subalgoE8ElNS0_10empty_typeEbEEZZNS1_14partition_implILS5_8ELb0ES3_jPlPS6_PKS6_NS0_5tupleIJS9_S6_EEENSD_IJSA_SA_EEENS0_18inequality_wrapperIZN2at6native12_GLOBAL__N_124unique_dim_cuda_templateIjEESt5tupleIJNSH_6TensorESM_SM_EERKSM_lbbbEUlllE0_EEPmJS6_EEE10hipError_tPvRmT3_T4_T5_T6_T7_T9_mT8_P12ihipStream_tbDpT10_ENKUlT_T0_E_clISt17integral_constantIbLb1EES1B_IbLb0EEEEDaS17_S18_EUlS17_E_NS1_11comp_targetILNS1_3genE9ELNS1_11target_archE1100ELNS1_3gpuE3ELNS1_3repE0EEENS1_30default_config_static_selectorELNS0_4arch9wavefront6targetE1EEEvT1_,comdat
.Lfunc_end1573:
	.size	_ZN7rocprim17ROCPRIM_400000_NS6detail17trampoline_kernelINS0_14default_configENS1_25partition_config_selectorILNS1_17partition_subalgoE8ElNS0_10empty_typeEbEEZZNS1_14partition_implILS5_8ELb0ES3_jPlPS6_PKS6_NS0_5tupleIJS9_S6_EEENSD_IJSA_SA_EEENS0_18inequality_wrapperIZN2at6native12_GLOBAL__N_124unique_dim_cuda_templateIjEESt5tupleIJNSH_6TensorESM_SM_EERKSM_lbbbEUlllE0_EEPmJS6_EEE10hipError_tPvRmT3_T4_T5_T6_T7_T9_mT8_P12ihipStream_tbDpT10_ENKUlT_T0_E_clISt17integral_constantIbLb1EES1B_IbLb0EEEEDaS17_S18_EUlS17_E_NS1_11comp_targetILNS1_3genE9ELNS1_11target_archE1100ELNS1_3gpuE3ELNS1_3repE0EEENS1_30default_config_static_selectorELNS0_4arch9wavefront6targetE1EEEvT1_, .Lfunc_end1573-_ZN7rocprim17ROCPRIM_400000_NS6detail17trampoline_kernelINS0_14default_configENS1_25partition_config_selectorILNS1_17partition_subalgoE8ElNS0_10empty_typeEbEEZZNS1_14partition_implILS5_8ELb0ES3_jPlPS6_PKS6_NS0_5tupleIJS9_S6_EEENSD_IJSA_SA_EEENS0_18inequality_wrapperIZN2at6native12_GLOBAL__N_124unique_dim_cuda_templateIjEESt5tupleIJNSH_6TensorESM_SM_EERKSM_lbbbEUlllE0_EEPmJS6_EEE10hipError_tPvRmT3_T4_T5_T6_T7_T9_mT8_P12ihipStream_tbDpT10_ENKUlT_T0_E_clISt17integral_constantIbLb1EES1B_IbLb0EEEEDaS17_S18_EUlS17_E_NS1_11comp_targetILNS1_3genE9ELNS1_11target_archE1100ELNS1_3gpuE3ELNS1_3repE0EEENS1_30default_config_static_selectorELNS0_4arch9wavefront6targetE1EEEvT1_
                                        ; -- End function
	.section	.AMDGPU.csdata,"",@progbits
; Kernel info:
; codeLenInByte = 0
; NumSgprs: 6
; NumVgprs: 0
; NumAgprs: 0
; TotalNumVgprs: 0
; ScratchSize: 0
; MemoryBound: 0
; FloatMode: 240
; IeeeMode: 1
; LDSByteSize: 0 bytes/workgroup (compile time only)
; SGPRBlocks: 0
; VGPRBlocks: 0
; NumSGPRsForWavesPerEU: 6
; NumVGPRsForWavesPerEU: 1
; AccumOffset: 4
; Occupancy: 8
; WaveLimiterHint : 0
; COMPUTE_PGM_RSRC2:SCRATCH_EN: 0
; COMPUTE_PGM_RSRC2:USER_SGPR: 2
; COMPUTE_PGM_RSRC2:TRAP_HANDLER: 0
; COMPUTE_PGM_RSRC2:TGID_X_EN: 1
; COMPUTE_PGM_RSRC2:TGID_Y_EN: 0
; COMPUTE_PGM_RSRC2:TGID_Z_EN: 0
; COMPUTE_PGM_RSRC2:TIDIG_COMP_CNT: 0
; COMPUTE_PGM_RSRC3_GFX90A:ACCUM_OFFSET: 0
; COMPUTE_PGM_RSRC3_GFX90A:TG_SPLIT: 0
	.section	.text._ZN7rocprim17ROCPRIM_400000_NS6detail17trampoline_kernelINS0_14default_configENS1_25partition_config_selectorILNS1_17partition_subalgoE8ElNS0_10empty_typeEbEEZZNS1_14partition_implILS5_8ELb0ES3_jPlPS6_PKS6_NS0_5tupleIJS9_S6_EEENSD_IJSA_SA_EEENS0_18inequality_wrapperIZN2at6native12_GLOBAL__N_124unique_dim_cuda_templateIjEESt5tupleIJNSH_6TensorESM_SM_EERKSM_lbbbEUlllE0_EEPmJS6_EEE10hipError_tPvRmT3_T4_T5_T6_T7_T9_mT8_P12ihipStream_tbDpT10_ENKUlT_T0_E_clISt17integral_constantIbLb1EES1B_IbLb0EEEEDaS17_S18_EUlS17_E_NS1_11comp_targetILNS1_3genE8ELNS1_11target_archE1030ELNS1_3gpuE2ELNS1_3repE0EEENS1_30default_config_static_selectorELNS0_4arch9wavefront6targetE1EEEvT1_,"axG",@progbits,_ZN7rocprim17ROCPRIM_400000_NS6detail17trampoline_kernelINS0_14default_configENS1_25partition_config_selectorILNS1_17partition_subalgoE8ElNS0_10empty_typeEbEEZZNS1_14partition_implILS5_8ELb0ES3_jPlPS6_PKS6_NS0_5tupleIJS9_S6_EEENSD_IJSA_SA_EEENS0_18inequality_wrapperIZN2at6native12_GLOBAL__N_124unique_dim_cuda_templateIjEESt5tupleIJNSH_6TensorESM_SM_EERKSM_lbbbEUlllE0_EEPmJS6_EEE10hipError_tPvRmT3_T4_T5_T6_T7_T9_mT8_P12ihipStream_tbDpT10_ENKUlT_T0_E_clISt17integral_constantIbLb1EES1B_IbLb0EEEEDaS17_S18_EUlS17_E_NS1_11comp_targetILNS1_3genE8ELNS1_11target_archE1030ELNS1_3gpuE2ELNS1_3repE0EEENS1_30default_config_static_selectorELNS0_4arch9wavefront6targetE1EEEvT1_,comdat
	.globl	_ZN7rocprim17ROCPRIM_400000_NS6detail17trampoline_kernelINS0_14default_configENS1_25partition_config_selectorILNS1_17partition_subalgoE8ElNS0_10empty_typeEbEEZZNS1_14partition_implILS5_8ELb0ES3_jPlPS6_PKS6_NS0_5tupleIJS9_S6_EEENSD_IJSA_SA_EEENS0_18inequality_wrapperIZN2at6native12_GLOBAL__N_124unique_dim_cuda_templateIjEESt5tupleIJNSH_6TensorESM_SM_EERKSM_lbbbEUlllE0_EEPmJS6_EEE10hipError_tPvRmT3_T4_T5_T6_T7_T9_mT8_P12ihipStream_tbDpT10_ENKUlT_T0_E_clISt17integral_constantIbLb1EES1B_IbLb0EEEEDaS17_S18_EUlS17_E_NS1_11comp_targetILNS1_3genE8ELNS1_11target_archE1030ELNS1_3gpuE2ELNS1_3repE0EEENS1_30default_config_static_selectorELNS0_4arch9wavefront6targetE1EEEvT1_ ; -- Begin function _ZN7rocprim17ROCPRIM_400000_NS6detail17trampoline_kernelINS0_14default_configENS1_25partition_config_selectorILNS1_17partition_subalgoE8ElNS0_10empty_typeEbEEZZNS1_14partition_implILS5_8ELb0ES3_jPlPS6_PKS6_NS0_5tupleIJS9_S6_EEENSD_IJSA_SA_EEENS0_18inequality_wrapperIZN2at6native12_GLOBAL__N_124unique_dim_cuda_templateIjEESt5tupleIJNSH_6TensorESM_SM_EERKSM_lbbbEUlllE0_EEPmJS6_EEE10hipError_tPvRmT3_T4_T5_T6_T7_T9_mT8_P12ihipStream_tbDpT10_ENKUlT_T0_E_clISt17integral_constantIbLb1EES1B_IbLb0EEEEDaS17_S18_EUlS17_E_NS1_11comp_targetILNS1_3genE8ELNS1_11target_archE1030ELNS1_3gpuE2ELNS1_3repE0EEENS1_30default_config_static_selectorELNS0_4arch9wavefront6targetE1EEEvT1_
	.p2align	8
	.type	_ZN7rocprim17ROCPRIM_400000_NS6detail17trampoline_kernelINS0_14default_configENS1_25partition_config_selectorILNS1_17partition_subalgoE8ElNS0_10empty_typeEbEEZZNS1_14partition_implILS5_8ELb0ES3_jPlPS6_PKS6_NS0_5tupleIJS9_S6_EEENSD_IJSA_SA_EEENS0_18inequality_wrapperIZN2at6native12_GLOBAL__N_124unique_dim_cuda_templateIjEESt5tupleIJNSH_6TensorESM_SM_EERKSM_lbbbEUlllE0_EEPmJS6_EEE10hipError_tPvRmT3_T4_T5_T6_T7_T9_mT8_P12ihipStream_tbDpT10_ENKUlT_T0_E_clISt17integral_constantIbLb1EES1B_IbLb0EEEEDaS17_S18_EUlS17_E_NS1_11comp_targetILNS1_3genE8ELNS1_11target_archE1030ELNS1_3gpuE2ELNS1_3repE0EEENS1_30default_config_static_selectorELNS0_4arch9wavefront6targetE1EEEvT1_,@function
_ZN7rocprim17ROCPRIM_400000_NS6detail17trampoline_kernelINS0_14default_configENS1_25partition_config_selectorILNS1_17partition_subalgoE8ElNS0_10empty_typeEbEEZZNS1_14partition_implILS5_8ELb0ES3_jPlPS6_PKS6_NS0_5tupleIJS9_S6_EEENSD_IJSA_SA_EEENS0_18inequality_wrapperIZN2at6native12_GLOBAL__N_124unique_dim_cuda_templateIjEESt5tupleIJNSH_6TensorESM_SM_EERKSM_lbbbEUlllE0_EEPmJS6_EEE10hipError_tPvRmT3_T4_T5_T6_T7_T9_mT8_P12ihipStream_tbDpT10_ENKUlT_T0_E_clISt17integral_constantIbLb1EES1B_IbLb0EEEEDaS17_S18_EUlS17_E_NS1_11comp_targetILNS1_3genE8ELNS1_11target_archE1030ELNS1_3gpuE2ELNS1_3repE0EEENS1_30default_config_static_selectorELNS0_4arch9wavefront6targetE1EEEvT1_: ; @_ZN7rocprim17ROCPRIM_400000_NS6detail17trampoline_kernelINS0_14default_configENS1_25partition_config_selectorILNS1_17partition_subalgoE8ElNS0_10empty_typeEbEEZZNS1_14partition_implILS5_8ELb0ES3_jPlPS6_PKS6_NS0_5tupleIJS9_S6_EEENSD_IJSA_SA_EEENS0_18inequality_wrapperIZN2at6native12_GLOBAL__N_124unique_dim_cuda_templateIjEESt5tupleIJNSH_6TensorESM_SM_EERKSM_lbbbEUlllE0_EEPmJS6_EEE10hipError_tPvRmT3_T4_T5_T6_T7_T9_mT8_P12ihipStream_tbDpT10_ENKUlT_T0_E_clISt17integral_constantIbLb1EES1B_IbLb0EEEEDaS17_S18_EUlS17_E_NS1_11comp_targetILNS1_3genE8ELNS1_11target_archE1030ELNS1_3gpuE2ELNS1_3repE0EEENS1_30default_config_static_selectorELNS0_4arch9wavefront6targetE1EEEvT1_
; %bb.0:
	.section	.rodata,"a",@progbits
	.p2align	6, 0x0
	.amdhsa_kernel _ZN7rocprim17ROCPRIM_400000_NS6detail17trampoline_kernelINS0_14default_configENS1_25partition_config_selectorILNS1_17partition_subalgoE8ElNS0_10empty_typeEbEEZZNS1_14partition_implILS5_8ELb0ES3_jPlPS6_PKS6_NS0_5tupleIJS9_S6_EEENSD_IJSA_SA_EEENS0_18inequality_wrapperIZN2at6native12_GLOBAL__N_124unique_dim_cuda_templateIjEESt5tupleIJNSH_6TensorESM_SM_EERKSM_lbbbEUlllE0_EEPmJS6_EEE10hipError_tPvRmT3_T4_T5_T6_T7_T9_mT8_P12ihipStream_tbDpT10_ENKUlT_T0_E_clISt17integral_constantIbLb1EES1B_IbLb0EEEEDaS17_S18_EUlS17_E_NS1_11comp_targetILNS1_3genE8ELNS1_11target_archE1030ELNS1_3gpuE2ELNS1_3repE0EEENS1_30default_config_static_selectorELNS0_4arch9wavefront6targetE1EEEvT1_
		.amdhsa_group_segment_fixed_size 0
		.amdhsa_private_segment_fixed_size 0
		.amdhsa_kernarg_size 120
		.amdhsa_user_sgpr_count 2
		.amdhsa_user_sgpr_dispatch_ptr 0
		.amdhsa_user_sgpr_queue_ptr 0
		.amdhsa_user_sgpr_kernarg_segment_ptr 1
		.amdhsa_user_sgpr_dispatch_id 0
		.amdhsa_user_sgpr_kernarg_preload_length 0
		.amdhsa_user_sgpr_kernarg_preload_offset 0
		.amdhsa_user_sgpr_private_segment_size 0
		.amdhsa_uses_dynamic_stack 0
		.amdhsa_enable_private_segment 0
		.amdhsa_system_sgpr_workgroup_id_x 1
		.amdhsa_system_sgpr_workgroup_id_y 0
		.amdhsa_system_sgpr_workgroup_id_z 0
		.amdhsa_system_sgpr_workgroup_info 0
		.amdhsa_system_vgpr_workitem_id 0
		.amdhsa_next_free_vgpr 1
		.amdhsa_next_free_sgpr 0
		.amdhsa_accum_offset 4
		.amdhsa_reserve_vcc 0
		.amdhsa_float_round_mode_32 0
		.amdhsa_float_round_mode_16_64 0
		.amdhsa_float_denorm_mode_32 3
		.amdhsa_float_denorm_mode_16_64 3
		.amdhsa_dx10_clamp 1
		.amdhsa_ieee_mode 1
		.amdhsa_fp16_overflow 0
		.amdhsa_tg_split 0
		.amdhsa_exception_fp_ieee_invalid_op 0
		.amdhsa_exception_fp_denorm_src 0
		.amdhsa_exception_fp_ieee_div_zero 0
		.amdhsa_exception_fp_ieee_overflow 0
		.amdhsa_exception_fp_ieee_underflow 0
		.amdhsa_exception_fp_ieee_inexact 0
		.amdhsa_exception_int_div_zero 0
	.end_amdhsa_kernel
	.section	.text._ZN7rocprim17ROCPRIM_400000_NS6detail17trampoline_kernelINS0_14default_configENS1_25partition_config_selectorILNS1_17partition_subalgoE8ElNS0_10empty_typeEbEEZZNS1_14partition_implILS5_8ELb0ES3_jPlPS6_PKS6_NS0_5tupleIJS9_S6_EEENSD_IJSA_SA_EEENS0_18inequality_wrapperIZN2at6native12_GLOBAL__N_124unique_dim_cuda_templateIjEESt5tupleIJNSH_6TensorESM_SM_EERKSM_lbbbEUlllE0_EEPmJS6_EEE10hipError_tPvRmT3_T4_T5_T6_T7_T9_mT8_P12ihipStream_tbDpT10_ENKUlT_T0_E_clISt17integral_constantIbLb1EES1B_IbLb0EEEEDaS17_S18_EUlS17_E_NS1_11comp_targetILNS1_3genE8ELNS1_11target_archE1030ELNS1_3gpuE2ELNS1_3repE0EEENS1_30default_config_static_selectorELNS0_4arch9wavefront6targetE1EEEvT1_,"axG",@progbits,_ZN7rocprim17ROCPRIM_400000_NS6detail17trampoline_kernelINS0_14default_configENS1_25partition_config_selectorILNS1_17partition_subalgoE8ElNS0_10empty_typeEbEEZZNS1_14partition_implILS5_8ELb0ES3_jPlPS6_PKS6_NS0_5tupleIJS9_S6_EEENSD_IJSA_SA_EEENS0_18inequality_wrapperIZN2at6native12_GLOBAL__N_124unique_dim_cuda_templateIjEESt5tupleIJNSH_6TensorESM_SM_EERKSM_lbbbEUlllE0_EEPmJS6_EEE10hipError_tPvRmT3_T4_T5_T6_T7_T9_mT8_P12ihipStream_tbDpT10_ENKUlT_T0_E_clISt17integral_constantIbLb1EES1B_IbLb0EEEEDaS17_S18_EUlS17_E_NS1_11comp_targetILNS1_3genE8ELNS1_11target_archE1030ELNS1_3gpuE2ELNS1_3repE0EEENS1_30default_config_static_selectorELNS0_4arch9wavefront6targetE1EEEvT1_,comdat
.Lfunc_end1574:
	.size	_ZN7rocprim17ROCPRIM_400000_NS6detail17trampoline_kernelINS0_14default_configENS1_25partition_config_selectorILNS1_17partition_subalgoE8ElNS0_10empty_typeEbEEZZNS1_14partition_implILS5_8ELb0ES3_jPlPS6_PKS6_NS0_5tupleIJS9_S6_EEENSD_IJSA_SA_EEENS0_18inequality_wrapperIZN2at6native12_GLOBAL__N_124unique_dim_cuda_templateIjEESt5tupleIJNSH_6TensorESM_SM_EERKSM_lbbbEUlllE0_EEPmJS6_EEE10hipError_tPvRmT3_T4_T5_T6_T7_T9_mT8_P12ihipStream_tbDpT10_ENKUlT_T0_E_clISt17integral_constantIbLb1EES1B_IbLb0EEEEDaS17_S18_EUlS17_E_NS1_11comp_targetILNS1_3genE8ELNS1_11target_archE1030ELNS1_3gpuE2ELNS1_3repE0EEENS1_30default_config_static_selectorELNS0_4arch9wavefront6targetE1EEEvT1_, .Lfunc_end1574-_ZN7rocprim17ROCPRIM_400000_NS6detail17trampoline_kernelINS0_14default_configENS1_25partition_config_selectorILNS1_17partition_subalgoE8ElNS0_10empty_typeEbEEZZNS1_14partition_implILS5_8ELb0ES3_jPlPS6_PKS6_NS0_5tupleIJS9_S6_EEENSD_IJSA_SA_EEENS0_18inequality_wrapperIZN2at6native12_GLOBAL__N_124unique_dim_cuda_templateIjEESt5tupleIJNSH_6TensorESM_SM_EERKSM_lbbbEUlllE0_EEPmJS6_EEE10hipError_tPvRmT3_T4_T5_T6_T7_T9_mT8_P12ihipStream_tbDpT10_ENKUlT_T0_E_clISt17integral_constantIbLb1EES1B_IbLb0EEEEDaS17_S18_EUlS17_E_NS1_11comp_targetILNS1_3genE8ELNS1_11target_archE1030ELNS1_3gpuE2ELNS1_3repE0EEENS1_30default_config_static_selectorELNS0_4arch9wavefront6targetE1EEEvT1_
                                        ; -- End function
	.section	.AMDGPU.csdata,"",@progbits
; Kernel info:
; codeLenInByte = 0
; NumSgprs: 6
; NumVgprs: 0
; NumAgprs: 0
; TotalNumVgprs: 0
; ScratchSize: 0
; MemoryBound: 0
; FloatMode: 240
; IeeeMode: 1
; LDSByteSize: 0 bytes/workgroup (compile time only)
; SGPRBlocks: 0
; VGPRBlocks: 0
; NumSGPRsForWavesPerEU: 6
; NumVGPRsForWavesPerEU: 1
; AccumOffset: 4
; Occupancy: 8
; WaveLimiterHint : 0
; COMPUTE_PGM_RSRC2:SCRATCH_EN: 0
; COMPUTE_PGM_RSRC2:USER_SGPR: 2
; COMPUTE_PGM_RSRC2:TRAP_HANDLER: 0
; COMPUTE_PGM_RSRC2:TGID_X_EN: 1
; COMPUTE_PGM_RSRC2:TGID_Y_EN: 0
; COMPUTE_PGM_RSRC2:TGID_Z_EN: 0
; COMPUTE_PGM_RSRC2:TIDIG_COMP_CNT: 0
; COMPUTE_PGM_RSRC3_GFX90A:ACCUM_OFFSET: 0
; COMPUTE_PGM_RSRC3_GFX90A:TG_SPLIT: 0
	.section	.text._ZN7rocprim17ROCPRIM_400000_NS6detail17trampoline_kernelINS0_14default_configENS1_25partition_config_selectorILNS1_17partition_subalgoE8ElNS0_10empty_typeEbEEZZNS1_14partition_implILS5_8ELb0ES3_jPlPS6_PKS6_NS0_5tupleIJS9_S6_EEENSD_IJSA_SA_EEENS0_18inequality_wrapperIZN2at6native12_GLOBAL__N_124unique_dim_cuda_templateIjEESt5tupleIJNSH_6TensorESM_SM_EERKSM_lbbbEUlllE0_EEPmJS6_EEE10hipError_tPvRmT3_T4_T5_T6_T7_T9_mT8_P12ihipStream_tbDpT10_ENKUlT_T0_E_clISt17integral_constantIbLb0EES1B_IbLb1EEEEDaS17_S18_EUlS17_E_NS1_11comp_targetILNS1_3genE0ELNS1_11target_archE4294967295ELNS1_3gpuE0ELNS1_3repE0EEENS1_30default_config_static_selectorELNS0_4arch9wavefront6targetE1EEEvT1_,"axG",@progbits,_ZN7rocprim17ROCPRIM_400000_NS6detail17trampoline_kernelINS0_14default_configENS1_25partition_config_selectorILNS1_17partition_subalgoE8ElNS0_10empty_typeEbEEZZNS1_14partition_implILS5_8ELb0ES3_jPlPS6_PKS6_NS0_5tupleIJS9_S6_EEENSD_IJSA_SA_EEENS0_18inequality_wrapperIZN2at6native12_GLOBAL__N_124unique_dim_cuda_templateIjEESt5tupleIJNSH_6TensorESM_SM_EERKSM_lbbbEUlllE0_EEPmJS6_EEE10hipError_tPvRmT3_T4_T5_T6_T7_T9_mT8_P12ihipStream_tbDpT10_ENKUlT_T0_E_clISt17integral_constantIbLb0EES1B_IbLb1EEEEDaS17_S18_EUlS17_E_NS1_11comp_targetILNS1_3genE0ELNS1_11target_archE4294967295ELNS1_3gpuE0ELNS1_3repE0EEENS1_30default_config_static_selectorELNS0_4arch9wavefront6targetE1EEEvT1_,comdat
	.globl	_ZN7rocprim17ROCPRIM_400000_NS6detail17trampoline_kernelINS0_14default_configENS1_25partition_config_selectorILNS1_17partition_subalgoE8ElNS0_10empty_typeEbEEZZNS1_14partition_implILS5_8ELb0ES3_jPlPS6_PKS6_NS0_5tupleIJS9_S6_EEENSD_IJSA_SA_EEENS0_18inequality_wrapperIZN2at6native12_GLOBAL__N_124unique_dim_cuda_templateIjEESt5tupleIJNSH_6TensorESM_SM_EERKSM_lbbbEUlllE0_EEPmJS6_EEE10hipError_tPvRmT3_T4_T5_T6_T7_T9_mT8_P12ihipStream_tbDpT10_ENKUlT_T0_E_clISt17integral_constantIbLb0EES1B_IbLb1EEEEDaS17_S18_EUlS17_E_NS1_11comp_targetILNS1_3genE0ELNS1_11target_archE4294967295ELNS1_3gpuE0ELNS1_3repE0EEENS1_30default_config_static_selectorELNS0_4arch9wavefront6targetE1EEEvT1_ ; -- Begin function _ZN7rocprim17ROCPRIM_400000_NS6detail17trampoline_kernelINS0_14default_configENS1_25partition_config_selectorILNS1_17partition_subalgoE8ElNS0_10empty_typeEbEEZZNS1_14partition_implILS5_8ELb0ES3_jPlPS6_PKS6_NS0_5tupleIJS9_S6_EEENSD_IJSA_SA_EEENS0_18inequality_wrapperIZN2at6native12_GLOBAL__N_124unique_dim_cuda_templateIjEESt5tupleIJNSH_6TensorESM_SM_EERKSM_lbbbEUlllE0_EEPmJS6_EEE10hipError_tPvRmT3_T4_T5_T6_T7_T9_mT8_P12ihipStream_tbDpT10_ENKUlT_T0_E_clISt17integral_constantIbLb0EES1B_IbLb1EEEEDaS17_S18_EUlS17_E_NS1_11comp_targetILNS1_3genE0ELNS1_11target_archE4294967295ELNS1_3gpuE0ELNS1_3repE0EEENS1_30default_config_static_selectorELNS0_4arch9wavefront6targetE1EEEvT1_
	.p2align	8
	.type	_ZN7rocprim17ROCPRIM_400000_NS6detail17trampoline_kernelINS0_14default_configENS1_25partition_config_selectorILNS1_17partition_subalgoE8ElNS0_10empty_typeEbEEZZNS1_14partition_implILS5_8ELb0ES3_jPlPS6_PKS6_NS0_5tupleIJS9_S6_EEENSD_IJSA_SA_EEENS0_18inequality_wrapperIZN2at6native12_GLOBAL__N_124unique_dim_cuda_templateIjEESt5tupleIJNSH_6TensorESM_SM_EERKSM_lbbbEUlllE0_EEPmJS6_EEE10hipError_tPvRmT3_T4_T5_T6_T7_T9_mT8_P12ihipStream_tbDpT10_ENKUlT_T0_E_clISt17integral_constantIbLb0EES1B_IbLb1EEEEDaS17_S18_EUlS17_E_NS1_11comp_targetILNS1_3genE0ELNS1_11target_archE4294967295ELNS1_3gpuE0ELNS1_3repE0EEENS1_30default_config_static_selectorELNS0_4arch9wavefront6targetE1EEEvT1_,@function
_ZN7rocprim17ROCPRIM_400000_NS6detail17trampoline_kernelINS0_14default_configENS1_25partition_config_selectorILNS1_17partition_subalgoE8ElNS0_10empty_typeEbEEZZNS1_14partition_implILS5_8ELb0ES3_jPlPS6_PKS6_NS0_5tupleIJS9_S6_EEENSD_IJSA_SA_EEENS0_18inequality_wrapperIZN2at6native12_GLOBAL__N_124unique_dim_cuda_templateIjEESt5tupleIJNSH_6TensorESM_SM_EERKSM_lbbbEUlllE0_EEPmJS6_EEE10hipError_tPvRmT3_T4_T5_T6_T7_T9_mT8_P12ihipStream_tbDpT10_ENKUlT_T0_E_clISt17integral_constantIbLb0EES1B_IbLb1EEEEDaS17_S18_EUlS17_E_NS1_11comp_targetILNS1_3genE0ELNS1_11target_archE4294967295ELNS1_3gpuE0ELNS1_3repE0EEENS1_30default_config_static_selectorELNS0_4arch9wavefront6targetE1EEEvT1_: ; @_ZN7rocprim17ROCPRIM_400000_NS6detail17trampoline_kernelINS0_14default_configENS1_25partition_config_selectorILNS1_17partition_subalgoE8ElNS0_10empty_typeEbEEZZNS1_14partition_implILS5_8ELb0ES3_jPlPS6_PKS6_NS0_5tupleIJS9_S6_EEENSD_IJSA_SA_EEENS0_18inequality_wrapperIZN2at6native12_GLOBAL__N_124unique_dim_cuda_templateIjEESt5tupleIJNSH_6TensorESM_SM_EERKSM_lbbbEUlllE0_EEPmJS6_EEE10hipError_tPvRmT3_T4_T5_T6_T7_T9_mT8_P12ihipStream_tbDpT10_ENKUlT_T0_E_clISt17integral_constantIbLb0EES1B_IbLb1EEEEDaS17_S18_EUlS17_E_NS1_11comp_targetILNS1_3genE0ELNS1_11target_archE4294967295ELNS1_3gpuE0ELNS1_3repE0EEENS1_30default_config_static_selectorELNS0_4arch9wavefront6targetE1EEEvT1_
; %bb.0:
	.section	.rodata,"a",@progbits
	.p2align	6, 0x0
	.amdhsa_kernel _ZN7rocprim17ROCPRIM_400000_NS6detail17trampoline_kernelINS0_14default_configENS1_25partition_config_selectorILNS1_17partition_subalgoE8ElNS0_10empty_typeEbEEZZNS1_14partition_implILS5_8ELb0ES3_jPlPS6_PKS6_NS0_5tupleIJS9_S6_EEENSD_IJSA_SA_EEENS0_18inequality_wrapperIZN2at6native12_GLOBAL__N_124unique_dim_cuda_templateIjEESt5tupleIJNSH_6TensorESM_SM_EERKSM_lbbbEUlllE0_EEPmJS6_EEE10hipError_tPvRmT3_T4_T5_T6_T7_T9_mT8_P12ihipStream_tbDpT10_ENKUlT_T0_E_clISt17integral_constantIbLb0EES1B_IbLb1EEEEDaS17_S18_EUlS17_E_NS1_11comp_targetILNS1_3genE0ELNS1_11target_archE4294967295ELNS1_3gpuE0ELNS1_3repE0EEENS1_30default_config_static_selectorELNS0_4arch9wavefront6targetE1EEEvT1_
		.amdhsa_group_segment_fixed_size 0
		.amdhsa_private_segment_fixed_size 0
		.amdhsa_kernarg_size 136
		.amdhsa_user_sgpr_count 2
		.amdhsa_user_sgpr_dispatch_ptr 0
		.amdhsa_user_sgpr_queue_ptr 0
		.amdhsa_user_sgpr_kernarg_segment_ptr 1
		.amdhsa_user_sgpr_dispatch_id 0
		.amdhsa_user_sgpr_kernarg_preload_length 0
		.amdhsa_user_sgpr_kernarg_preload_offset 0
		.amdhsa_user_sgpr_private_segment_size 0
		.amdhsa_uses_dynamic_stack 0
		.amdhsa_enable_private_segment 0
		.amdhsa_system_sgpr_workgroup_id_x 1
		.amdhsa_system_sgpr_workgroup_id_y 0
		.amdhsa_system_sgpr_workgroup_id_z 0
		.amdhsa_system_sgpr_workgroup_info 0
		.amdhsa_system_vgpr_workitem_id 0
		.amdhsa_next_free_vgpr 1
		.amdhsa_next_free_sgpr 0
		.amdhsa_accum_offset 4
		.amdhsa_reserve_vcc 0
		.amdhsa_float_round_mode_32 0
		.amdhsa_float_round_mode_16_64 0
		.amdhsa_float_denorm_mode_32 3
		.amdhsa_float_denorm_mode_16_64 3
		.amdhsa_dx10_clamp 1
		.amdhsa_ieee_mode 1
		.amdhsa_fp16_overflow 0
		.amdhsa_tg_split 0
		.amdhsa_exception_fp_ieee_invalid_op 0
		.amdhsa_exception_fp_denorm_src 0
		.amdhsa_exception_fp_ieee_div_zero 0
		.amdhsa_exception_fp_ieee_overflow 0
		.amdhsa_exception_fp_ieee_underflow 0
		.amdhsa_exception_fp_ieee_inexact 0
		.amdhsa_exception_int_div_zero 0
	.end_amdhsa_kernel
	.section	.text._ZN7rocprim17ROCPRIM_400000_NS6detail17trampoline_kernelINS0_14default_configENS1_25partition_config_selectorILNS1_17partition_subalgoE8ElNS0_10empty_typeEbEEZZNS1_14partition_implILS5_8ELb0ES3_jPlPS6_PKS6_NS0_5tupleIJS9_S6_EEENSD_IJSA_SA_EEENS0_18inequality_wrapperIZN2at6native12_GLOBAL__N_124unique_dim_cuda_templateIjEESt5tupleIJNSH_6TensorESM_SM_EERKSM_lbbbEUlllE0_EEPmJS6_EEE10hipError_tPvRmT3_T4_T5_T6_T7_T9_mT8_P12ihipStream_tbDpT10_ENKUlT_T0_E_clISt17integral_constantIbLb0EES1B_IbLb1EEEEDaS17_S18_EUlS17_E_NS1_11comp_targetILNS1_3genE0ELNS1_11target_archE4294967295ELNS1_3gpuE0ELNS1_3repE0EEENS1_30default_config_static_selectorELNS0_4arch9wavefront6targetE1EEEvT1_,"axG",@progbits,_ZN7rocprim17ROCPRIM_400000_NS6detail17trampoline_kernelINS0_14default_configENS1_25partition_config_selectorILNS1_17partition_subalgoE8ElNS0_10empty_typeEbEEZZNS1_14partition_implILS5_8ELb0ES3_jPlPS6_PKS6_NS0_5tupleIJS9_S6_EEENSD_IJSA_SA_EEENS0_18inequality_wrapperIZN2at6native12_GLOBAL__N_124unique_dim_cuda_templateIjEESt5tupleIJNSH_6TensorESM_SM_EERKSM_lbbbEUlllE0_EEPmJS6_EEE10hipError_tPvRmT3_T4_T5_T6_T7_T9_mT8_P12ihipStream_tbDpT10_ENKUlT_T0_E_clISt17integral_constantIbLb0EES1B_IbLb1EEEEDaS17_S18_EUlS17_E_NS1_11comp_targetILNS1_3genE0ELNS1_11target_archE4294967295ELNS1_3gpuE0ELNS1_3repE0EEENS1_30default_config_static_selectorELNS0_4arch9wavefront6targetE1EEEvT1_,comdat
.Lfunc_end1575:
	.size	_ZN7rocprim17ROCPRIM_400000_NS6detail17trampoline_kernelINS0_14default_configENS1_25partition_config_selectorILNS1_17partition_subalgoE8ElNS0_10empty_typeEbEEZZNS1_14partition_implILS5_8ELb0ES3_jPlPS6_PKS6_NS0_5tupleIJS9_S6_EEENSD_IJSA_SA_EEENS0_18inequality_wrapperIZN2at6native12_GLOBAL__N_124unique_dim_cuda_templateIjEESt5tupleIJNSH_6TensorESM_SM_EERKSM_lbbbEUlllE0_EEPmJS6_EEE10hipError_tPvRmT3_T4_T5_T6_T7_T9_mT8_P12ihipStream_tbDpT10_ENKUlT_T0_E_clISt17integral_constantIbLb0EES1B_IbLb1EEEEDaS17_S18_EUlS17_E_NS1_11comp_targetILNS1_3genE0ELNS1_11target_archE4294967295ELNS1_3gpuE0ELNS1_3repE0EEENS1_30default_config_static_selectorELNS0_4arch9wavefront6targetE1EEEvT1_, .Lfunc_end1575-_ZN7rocprim17ROCPRIM_400000_NS6detail17trampoline_kernelINS0_14default_configENS1_25partition_config_selectorILNS1_17partition_subalgoE8ElNS0_10empty_typeEbEEZZNS1_14partition_implILS5_8ELb0ES3_jPlPS6_PKS6_NS0_5tupleIJS9_S6_EEENSD_IJSA_SA_EEENS0_18inequality_wrapperIZN2at6native12_GLOBAL__N_124unique_dim_cuda_templateIjEESt5tupleIJNSH_6TensorESM_SM_EERKSM_lbbbEUlllE0_EEPmJS6_EEE10hipError_tPvRmT3_T4_T5_T6_T7_T9_mT8_P12ihipStream_tbDpT10_ENKUlT_T0_E_clISt17integral_constantIbLb0EES1B_IbLb1EEEEDaS17_S18_EUlS17_E_NS1_11comp_targetILNS1_3genE0ELNS1_11target_archE4294967295ELNS1_3gpuE0ELNS1_3repE0EEENS1_30default_config_static_selectorELNS0_4arch9wavefront6targetE1EEEvT1_
                                        ; -- End function
	.section	.AMDGPU.csdata,"",@progbits
; Kernel info:
; codeLenInByte = 0
; NumSgprs: 6
; NumVgprs: 0
; NumAgprs: 0
; TotalNumVgprs: 0
; ScratchSize: 0
; MemoryBound: 0
; FloatMode: 240
; IeeeMode: 1
; LDSByteSize: 0 bytes/workgroup (compile time only)
; SGPRBlocks: 0
; VGPRBlocks: 0
; NumSGPRsForWavesPerEU: 6
; NumVGPRsForWavesPerEU: 1
; AccumOffset: 4
; Occupancy: 8
; WaveLimiterHint : 0
; COMPUTE_PGM_RSRC2:SCRATCH_EN: 0
; COMPUTE_PGM_RSRC2:USER_SGPR: 2
; COMPUTE_PGM_RSRC2:TRAP_HANDLER: 0
; COMPUTE_PGM_RSRC2:TGID_X_EN: 1
; COMPUTE_PGM_RSRC2:TGID_Y_EN: 0
; COMPUTE_PGM_RSRC2:TGID_Z_EN: 0
; COMPUTE_PGM_RSRC2:TIDIG_COMP_CNT: 0
; COMPUTE_PGM_RSRC3_GFX90A:ACCUM_OFFSET: 0
; COMPUTE_PGM_RSRC3_GFX90A:TG_SPLIT: 0
	.section	.text._ZN7rocprim17ROCPRIM_400000_NS6detail17trampoline_kernelINS0_14default_configENS1_25partition_config_selectorILNS1_17partition_subalgoE8ElNS0_10empty_typeEbEEZZNS1_14partition_implILS5_8ELb0ES3_jPlPS6_PKS6_NS0_5tupleIJS9_S6_EEENSD_IJSA_SA_EEENS0_18inequality_wrapperIZN2at6native12_GLOBAL__N_124unique_dim_cuda_templateIjEESt5tupleIJNSH_6TensorESM_SM_EERKSM_lbbbEUlllE0_EEPmJS6_EEE10hipError_tPvRmT3_T4_T5_T6_T7_T9_mT8_P12ihipStream_tbDpT10_ENKUlT_T0_E_clISt17integral_constantIbLb0EES1B_IbLb1EEEEDaS17_S18_EUlS17_E_NS1_11comp_targetILNS1_3genE5ELNS1_11target_archE942ELNS1_3gpuE9ELNS1_3repE0EEENS1_30default_config_static_selectorELNS0_4arch9wavefront6targetE1EEEvT1_,"axG",@progbits,_ZN7rocprim17ROCPRIM_400000_NS6detail17trampoline_kernelINS0_14default_configENS1_25partition_config_selectorILNS1_17partition_subalgoE8ElNS0_10empty_typeEbEEZZNS1_14partition_implILS5_8ELb0ES3_jPlPS6_PKS6_NS0_5tupleIJS9_S6_EEENSD_IJSA_SA_EEENS0_18inequality_wrapperIZN2at6native12_GLOBAL__N_124unique_dim_cuda_templateIjEESt5tupleIJNSH_6TensorESM_SM_EERKSM_lbbbEUlllE0_EEPmJS6_EEE10hipError_tPvRmT3_T4_T5_T6_T7_T9_mT8_P12ihipStream_tbDpT10_ENKUlT_T0_E_clISt17integral_constantIbLb0EES1B_IbLb1EEEEDaS17_S18_EUlS17_E_NS1_11comp_targetILNS1_3genE5ELNS1_11target_archE942ELNS1_3gpuE9ELNS1_3repE0EEENS1_30default_config_static_selectorELNS0_4arch9wavefront6targetE1EEEvT1_,comdat
	.globl	_ZN7rocprim17ROCPRIM_400000_NS6detail17trampoline_kernelINS0_14default_configENS1_25partition_config_selectorILNS1_17partition_subalgoE8ElNS0_10empty_typeEbEEZZNS1_14partition_implILS5_8ELb0ES3_jPlPS6_PKS6_NS0_5tupleIJS9_S6_EEENSD_IJSA_SA_EEENS0_18inequality_wrapperIZN2at6native12_GLOBAL__N_124unique_dim_cuda_templateIjEESt5tupleIJNSH_6TensorESM_SM_EERKSM_lbbbEUlllE0_EEPmJS6_EEE10hipError_tPvRmT3_T4_T5_T6_T7_T9_mT8_P12ihipStream_tbDpT10_ENKUlT_T0_E_clISt17integral_constantIbLb0EES1B_IbLb1EEEEDaS17_S18_EUlS17_E_NS1_11comp_targetILNS1_3genE5ELNS1_11target_archE942ELNS1_3gpuE9ELNS1_3repE0EEENS1_30default_config_static_selectorELNS0_4arch9wavefront6targetE1EEEvT1_ ; -- Begin function _ZN7rocprim17ROCPRIM_400000_NS6detail17trampoline_kernelINS0_14default_configENS1_25partition_config_selectorILNS1_17partition_subalgoE8ElNS0_10empty_typeEbEEZZNS1_14partition_implILS5_8ELb0ES3_jPlPS6_PKS6_NS0_5tupleIJS9_S6_EEENSD_IJSA_SA_EEENS0_18inequality_wrapperIZN2at6native12_GLOBAL__N_124unique_dim_cuda_templateIjEESt5tupleIJNSH_6TensorESM_SM_EERKSM_lbbbEUlllE0_EEPmJS6_EEE10hipError_tPvRmT3_T4_T5_T6_T7_T9_mT8_P12ihipStream_tbDpT10_ENKUlT_T0_E_clISt17integral_constantIbLb0EES1B_IbLb1EEEEDaS17_S18_EUlS17_E_NS1_11comp_targetILNS1_3genE5ELNS1_11target_archE942ELNS1_3gpuE9ELNS1_3repE0EEENS1_30default_config_static_selectorELNS0_4arch9wavefront6targetE1EEEvT1_
	.p2align	8
	.type	_ZN7rocprim17ROCPRIM_400000_NS6detail17trampoline_kernelINS0_14default_configENS1_25partition_config_selectorILNS1_17partition_subalgoE8ElNS0_10empty_typeEbEEZZNS1_14partition_implILS5_8ELb0ES3_jPlPS6_PKS6_NS0_5tupleIJS9_S6_EEENSD_IJSA_SA_EEENS0_18inequality_wrapperIZN2at6native12_GLOBAL__N_124unique_dim_cuda_templateIjEESt5tupleIJNSH_6TensorESM_SM_EERKSM_lbbbEUlllE0_EEPmJS6_EEE10hipError_tPvRmT3_T4_T5_T6_T7_T9_mT8_P12ihipStream_tbDpT10_ENKUlT_T0_E_clISt17integral_constantIbLb0EES1B_IbLb1EEEEDaS17_S18_EUlS17_E_NS1_11comp_targetILNS1_3genE5ELNS1_11target_archE942ELNS1_3gpuE9ELNS1_3repE0EEENS1_30default_config_static_selectorELNS0_4arch9wavefront6targetE1EEEvT1_,@function
_ZN7rocprim17ROCPRIM_400000_NS6detail17trampoline_kernelINS0_14default_configENS1_25partition_config_selectorILNS1_17partition_subalgoE8ElNS0_10empty_typeEbEEZZNS1_14partition_implILS5_8ELb0ES3_jPlPS6_PKS6_NS0_5tupleIJS9_S6_EEENSD_IJSA_SA_EEENS0_18inequality_wrapperIZN2at6native12_GLOBAL__N_124unique_dim_cuda_templateIjEESt5tupleIJNSH_6TensorESM_SM_EERKSM_lbbbEUlllE0_EEPmJS6_EEE10hipError_tPvRmT3_T4_T5_T6_T7_T9_mT8_P12ihipStream_tbDpT10_ENKUlT_T0_E_clISt17integral_constantIbLb0EES1B_IbLb1EEEEDaS17_S18_EUlS17_E_NS1_11comp_targetILNS1_3genE5ELNS1_11target_archE942ELNS1_3gpuE9ELNS1_3repE0EEENS1_30default_config_static_selectorELNS0_4arch9wavefront6targetE1EEEvT1_: ; @_ZN7rocprim17ROCPRIM_400000_NS6detail17trampoline_kernelINS0_14default_configENS1_25partition_config_selectorILNS1_17partition_subalgoE8ElNS0_10empty_typeEbEEZZNS1_14partition_implILS5_8ELb0ES3_jPlPS6_PKS6_NS0_5tupleIJS9_S6_EEENSD_IJSA_SA_EEENS0_18inequality_wrapperIZN2at6native12_GLOBAL__N_124unique_dim_cuda_templateIjEESt5tupleIJNSH_6TensorESM_SM_EERKSM_lbbbEUlllE0_EEPmJS6_EEE10hipError_tPvRmT3_T4_T5_T6_T7_T9_mT8_P12ihipStream_tbDpT10_ENKUlT_T0_E_clISt17integral_constantIbLb0EES1B_IbLb1EEEEDaS17_S18_EUlS17_E_NS1_11comp_targetILNS1_3genE5ELNS1_11target_archE942ELNS1_3gpuE9ELNS1_3repE0EEENS1_30default_config_static_selectorELNS0_4arch9wavefront6targetE1EEEvT1_
; %bb.0:
	s_load_dwordx2 s[34:35], s[0:1], 0x28
	s_load_dwordx8 s[20:27], s[0:1], 0x40
	s_load_dwordx4 s[28:31], s[0:1], 0x60
	v_cmp_ne_u32_e64 s[2:3], 0, v0
	v_cmp_eq_u32_e64 s[18:19], 0, v0
	s_and_saveexec_b64 s[4:5], s[18:19]
	s_cbranch_execz .LBB1576_4
; %bb.1:
	s_mov_b64 s[8:9], exec
	v_mbcnt_lo_u32_b32 v1, s8, 0
	v_mbcnt_hi_u32_b32 v1, s9, v1
	v_cmp_eq_u32_e32 vcc, 0, v1
                                        ; implicit-def: $vgpr2
	s_and_saveexec_b64 s[6:7], vcc
	s_cbranch_execz .LBB1576_3
; %bb.2:
	s_load_dwordx2 s[10:11], s[0:1], 0x78
	s_bcnt1_i32_b64 s8, s[8:9]
	v_mov_b32_e32 v2, 0
	v_mov_b32_e32 v3, s8
	s_waitcnt lgkmcnt(0)
	global_atomic_add v2, v2, v3, s[10:11] sc0
.LBB1576_3:
	s_or_b64 exec, exec, s[6:7]
	s_waitcnt vmcnt(0)
	v_readfirstlane_b32 s6, v2
	v_mov_b32_e32 v2, 0
	s_nop 0
	v_add_u32_e32 v1, s6, v1
	ds_write_b32 v2, v1
.LBB1576_4:
	s_or_b64 exec, exec, s[4:5]
	v_mov_b32_e32 v3, 0
	s_load_dwordx4 s[4:7], s[0:1], 0x8
	s_load_dword s10, s[0:1], 0x70
	s_waitcnt lgkmcnt(0)
	s_barrier
	ds_read_b32 v1, v3
	s_waitcnt lgkmcnt(0)
	s_barrier
	global_load_dwordx2 v[4:5], v3, s[22:23]
	s_lshl_b64 s[0:1], s[6:7], 3
	s_mul_i32 s12, s10, 0xe00
	s_add_u32 s0, s4, s0
	s_addc_u32 s1, s5, s1
	s_add_i32 s4, s12, s6
	s_add_i32 s10, s10, -1
	s_sub_i32 s52, s24, s4
	s_add_u32 s4, s6, s12
	s_movk_i32 s11, 0xe00
	s_addc_u32 s5, s7, 0
	v_readfirstlane_b32 s33, v1
	v_mov_b32_e32 v6, s24
	v_mov_b32_e32 v7, s25
	v_mul_lo_u32 v2, v1, s11
	s_cmp_eq_u32 s33, s10
	v_cmp_ge_u64_e32 vcc, s[4:5], v[6:7]
	v_lshlrev_b64 v[6:7], 3, v[2:3]
	s_cselect_b64 s[24:25], -1, 0
	v_lshl_add_u64 v[18:19], s[0:1], 0, v[6:7]
	s_and_b64 s[0:1], vcc, s[24:25]
	s_xor_b64 s[36:37], s[0:1], -1
	s_mov_b64 s[8:9], -1
	s_and_b64 vcc, exec, s[36:37]
	s_waitcnt vmcnt(0)
	v_readfirstlane_b32 s22, v4
	v_readfirstlane_b32 s23, v5
	s_cbranch_vccz .LBB1576_6
; %bb.5:
	v_lshlrev_b32_e32 v2, 3, v0
	v_lshl_add_u64 v[4:5], v[18:19], 0, v[2:3]
	v_add_co_u32_e32 v8, vcc, 0x1000, v4
	v_readfirstlane_b32 s4, v18
	s_nop 0
	v_addc_co_u32_e32 v9, vcc, 0, v5, vcc
	v_add_co_u32_e32 v10, vcc, 0x2000, v4
	v_readfirstlane_b32 s5, v19
	s_nop 0
	v_addc_co_u32_e32 v11, vcc, 0, v5, vcc
	v_add_co_u32_e32 v12, vcc, 0x3000, v4
	s_mov_b64 s[8:9], 0
	s_nop 0
	v_addc_co_u32_e32 v13, vcc, 0, v5, vcc
	v_add_co_u32_e32 v14, vcc, 0x4000, v4
	global_load_dwordx2 v[6:7], v2, s[4:5]
	s_nop 0
	v_addc_co_u32_e32 v15, vcc, 0, v5, vcc
	global_load_dwordx2 v[16:17], v[8:9], off
	global_load_dwordx2 v[20:21], v[10:11], off
	;; [unrolled: 1-line block ×4, first 2 shown]
	v_add_co_u32_e32 v8, vcc, 0x5000, v4
	s_nop 1
	v_addc_co_u32_e32 v9, vcc, 0, v5, vcc
	v_add_co_u32_e32 v4, vcc, 0x6000, v4
	global_load_dwordx2 v[8:9], v[8:9], off
	s_nop 0
	v_addc_co_u32_e32 v5, vcc, 0, v5, vcc
	global_load_dwordx2 v[4:5], v[4:5], off
	s_waitcnt vmcnt(5)
	ds_write2st64_b64 v2, v[6:7], v[16:17] offset1:8
	s_waitcnt vmcnt(3)
	ds_write2st64_b64 v2, v[20:21], v[22:23] offset0:16 offset1:24
	s_waitcnt vmcnt(1)
	ds_write2st64_b64 v2, v[24:25], v[8:9] offset0:32 offset1:40
	s_waitcnt vmcnt(0)
	ds_write_b64 v2, v[4:5] offset:24576
	s_waitcnt lgkmcnt(0)
	s_barrier
.LBB1576_6:
	s_andn2_b64 vcc, exec, s[8:9]
	s_addk_i32 s52, 0xe00
	s_cbranch_vccnz .LBB1576_22
; %bb.7:
	v_cmp_gt_u32_e32 vcc, s52, v0
                                        ; implicit-def: $vgpr2_vgpr3_vgpr4_vgpr5_vgpr6_vgpr7_vgpr8_vgpr9_vgpr10_vgpr11_vgpr12_vgpr13_vgpr14_vgpr15_vgpr16_vgpr17
	s_and_saveexec_b64 s[4:5], vcc
	s_cbranch_execz .LBB1576_9
; %bb.8:
	v_lshlrev_b32_e32 v1, 3, v0
	v_readfirstlane_b32 s8, v18
	v_readfirstlane_b32 s9, v19
	s_nop 4
	global_load_dwordx2 v[2:3], v1, s[8:9]
.LBB1576_9:
	s_or_b64 exec, exec, s[4:5]
	v_or_b32_e32 v1, 0x200, v0
	v_cmp_gt_u32_e32 vcc, s52, v1
	s_and_saveexec_b64 s[4:5], vcc
	s_cbranch_execz .LBB1576_11
; %bb.10:
	v_lshlrev_b32_e32 v1, 3, v1
	v_readfirstlane_b32 s8, v18
	v_readfirstlane_b32 s9, v19
	s_nop 4
	global_load_dwordx2 v[4:5], v1, s[8:9]
.LBB1576_11:
	s_or_b64 exec, exec, s[4:5]
	v_or_b32_e32 v1, 0x400, v0
	v_cmp_gt_u32_e32 vcc, s52, v1
	;; [unrolled: 12-line block ×6, first 2 shown]
	s_and_saveexec_b64 s[4:5], vcc
	s_cbranch_execz .LBB1576_21
; %bb.20:
	v_lshlrev_b32_e32 v1, 3, v1
	v_readfirstlane_b32 s8, v18
	v_readfirstlane_b32 s9, v19
	s_nop 4
	global_load_dwordx2 v[14:15], v1, s[8:9]
.LBB1576_21:
	s_or_b64 exec, exec, s[4:5]
	v_lshlrev_b32_e32 v1, 3, v0
	s_waitcnt vmcnt(0)
	ds_write2st64_b64 v1, v[2:3], v[4:5] offset1:8
	ds_write2st64_b64 v1, v[6:7], v[8:9] offset0:16 offset1:24
	ds_write2st64_b64 v1, v[10:11], v[12:13] offset0:32 offset1:40
	ds_write_b64 v1, v[14:15] offset:24576
	s_waitcnt lgkmcnt(0)
	s_barrier
.LBB1576_22:
	v_mul_u32_u24_e32 v1, 7, v0
	v_lshlrev_b32_e32 v32, 3, v1
	ds_read2_b64 v[10:13], v32 offset1:1
	ds_read2_b64 v[6:9], v32 offset0:2 offset1:3
	ds_read2_b64 v[2:5], v32 offset0:4 offset1:5
	ds_read_b64 v[14:15], v32 offset:48
	s_cmp_lg_u32 s33, 0
	s_cselect_b64 s[16:17], -1, 0
	s_cmp_lg_u64 s[6:7], 0
	s_cselect_b64 s[4:5], -1, 0
	s_or_b64 s[4:5], s[4:5], s[16:17]
	v_mad_u32_u24 v27, v0, 7, 1
	v_mad_u32_u24 v26, v0, 7, 2
	;; [unrolled: 1-line block ×6, first 2 shown]
	s_mov_b64 s[8:9], 0
	s_and_b64 vcc, exec, s[4:5]
	v_cmp_gt_i64_e64 s[4:5], s[26:27], 0
	s_waitcnt lgkmcnt(0)
	s_barrier
	s_cbranch_vccz .LBB1576_31
; %bb.23:
	global_load_dwordx2 v[16:17], v[18:19], off offset:-8
	v_cndmask_b32_e64 v18, 0, 1, s[4:5]
	v_lshlrev_b32_e32 v33, 3, v0
	s_mov_b64 s[6:7], 0
	s_and_b64 vcc, exec, s[36:37]
	v_cmp_ne_u32_e64 s[4:5], 1, v18
	ds_write_b64 v33, v[14:15]
	s_cbranch_vccz .LBB1576_33
; %bb.24:
	v_mul_lo_u32 v20, v5, s26
	v_mul_lo_u32 v21, v4, s27
	v_mad_u64_u32 v[18:19], s[8:9], v4, s26, 0
	v_add3_u32 v19, v19, v21, v20
	s_and_b64 vcc, exec, s[4:5]
	v_lshl_add_u64 v[18:19], v[18:19], 2, s[28:29]
	s_cbranch_vccnz .LBB1576_36
; %bb.25:
	v_mul_lo_u32 v22, v15, s26
	v_mul_lo_u32 v23, v14, s27
	v_mad_u64_u32 v[20:21], s[6:7], v14, s26, 0
	v_add3_u32 v21, v21, v23, v22
	v_lshl_add_u64 v[20:21], v[20:21], 2, s[28:29]
	global_load_dword v22, v[18:19], off
	global_load_dword v23, v[20:21], off
	s_mov_b64 s[6:7], -1
	s_waitcnt vmcnt(0)
	v_cmp_eq_u32_e32 vcc, v22, v23
	s_and_saveexec_b64 s[8:9], vcc
	s_cbranch_execz .LBB1576_35
; %bb.26:
	s_add_u32 s6, s26, -1
	v_lshl_add_u64 v[20:21], v[20:21], 0, 4
	v_lshl_add_u64 v[22:23], v[18:19], 0, 4
	s_addc_u32 s7, s27, -1
	s_mov_b64 s[10:11], 0
	s_mov_b64 s[14:15], 0
                                        ; implicit-def: $sgpr12_sgpr13
	s_branch .LBB1576_29
.LBB1576_27:                            ;   in Loop: Header=BB1576_29 Depth=1
	global_load_dword v24, v[22:23], off
	global_load_dword v25, v[20:21], off
	s_add_u32 s14, s14, 1
	s_addc_u32 s15, s15, 0
	s_andn2_b64 s[12:13], s[12:13], exec
	v_lshl_add_u64 v[20:21], v[20:21], 0, 4
	v_lshl_add_u64 v[22:23], v[22:23], 0, 4
	s_waitcnt vmcnt(0)
	v_cmp_ne_u32_e32 vcc, v24, v25
	s_and_b64 s[38:39], vcc, exec
	s_or_b64 s[12:13], s[12:13], s[38:39]
.LBB1576_28:                            ;   in Loop: Header=BB1576_29 Depth=1
	s_and_b64 s[38:39], exec, s[12:13]
	s_or_b64 s[10:11], s[38:39], s[10:11]
	v_mov_b64_e32 v[24:25], s[14:15]
	s_andn2_b64 exec, exec, s[10:11]
	s_cbranch_execz .LBB1576_34
.LBB1576_29:                            ; =>This Inner Loop Header: Depth=1
	s_or_b64 s[12:13], s[12:13], exec
	s_cmp_eq_u64 s[6:7], s[14:15]
	s_cbranch_scc0 .LBB1576_27
; %bb.30:                               ;   in Loop: Header=BB1576_29 Depth=1
                                        ; implicit-def: $vgpr20_vgpr21
                                        ; implicit-def: $vgpr22_vgpr23
	s_mov_b64 s[14:15], s[26:27]
	s_branch .LBB1576_28
.LBB1576_31:
                                        ; implicit-def: $sgpr12_sgpr13
                                        ; implicit-def: $vgpr35
                                        ; implicit-def: $vgpr34
                                        ; implicit-def: $vgpr25
                                        ; implicit-def: $vgpr20
	s_branch .LBB1576_174
.LBB1576_32:
                                        ; implicit-def: $vgpr16_vgpr17
	s_branch .LBB1576_322
.LBB1576_33:
                                        ; implicit-def: $sgpr12_sgpr13
                                        ; implicit-def: $vgpr35
                                        ; implicit-def: $vgpr34
                                        ; implicit-def: $vgpr25
                                        ; implicit-def: $vgpr20
	s_cbranch_execnz .LBB1576_93
	s_branch .LBB1576_173
.LBB1576_34:
	s_or_b64 exec, exec, s[10:11]
	v_cmp_gt_i64_e32 vcc, s[26:27], v[24:25]
	s_orn2_b64 s[6:7], vcc, exec
.LBB1576_35:
	s_or_b64 exec, exec, s[8:9]
.LBB1576_36:
	v_mul_lo_u32 v22, v3, s26
	v_mul_lo_u32 v23, v2, s27
	v_mad_u64_u32 v[20:21], s[8:9], v2, s26, 0
	v_add3_u32 v21, v21, v23, v22
	s_mov_b64 s[8:9], 0
	s_and_b64 vcc, exec, s[4:5]
	v_lshl_add_u64 v[20:21], v[20:21], 2, s[28:29]
	s_mov_b64 s[10:11], 0
	s_cbranch_vccnz .LBB1576_45
; %bb.37:
	global_load_dword v22, v[20:21], off
	global_load_dword v23, v[18:19], off
	s_mov_b64 s[10:11], -1
	s_waitcnt vmcnt(0)
	v_cmp_eq_u32_e32 vcc, v22, v23
	s_and_saveexec_b64 s[12:13], vcc
	s_cbranch_execz .LBB1576_44
; %bb.38:
	s_add_u32 s10, s26, -1
	v_lshl_add_u64 v[18:19], v[18:19], 0, 4
	v_lshl_add_u64 v[22:23], v[20:21], 0, 4
	s_addc_u32 s11, s27, -1
	s_mov_b64 s[14:15], 0
	s_mov_b64 s[40:41], 0
                                        ; implicit-def: $sgpr38_sgpr39
	s_branch .LBB1576_41
.LBB1576_39:                            ;   in Loop: Header=BB1576_41 Depth=1
	global_load_dword v24, v[22:23], off
	global_load_dword v25, v[18:19], off
	s_add_u32 s40, s40, 1
	s_addc_u32 s41, s41, 0
	s_andn2_b64 s[38:39], s[38:39], exec
	v_lshl_add_u64 v[18:19], v[18:19], 0, 4
	v_lshl_add_u64 v[22:23], v[22:23], 0, 4
	s_waitcnt vmcnt(0)
	v_cmp_ne_u32_e32 vcc, v24, v25
	s_and_b64 s[42:43], vcc, exec
	s_or_b64 s[38:39], s[38:39], s[42:43]
.LBB1576_40:                            ;   in Loop: Header=BB1576_41 Depth=1
	s_and_b64 s[42:43], exec, s[38:39]
	s_or_b64 s[14:15], s[42:43], s[14:15]
	v_mov_b64_e32 v[24:25], s[40:41]
	s_andn2_b64 exec, exec, s[14:15]
	s_cbranch_execz .LBB1576_43
.LBB1576_41:                            ; =>This Inner Loop Header: Depth=1
	s_or_b64 s[38:39], s[38:39], exec
	s_cmp_eq_u64 s[10:11], s[40:41]
	s_cbranch_scc0 .LBB1576_39
; %bb.42:                               ;   in Loop: Header=BB1576_41 Depth=1
                                        ; implicit-def: $vgpr18_vgpr19
                                        ; implicit-def: $vgpr22_vgpr23
	s_mov_b64 s[40:41], s[26:27]
	s_branch .LBB1576_40
.LBB1576_43:
	s_or_b64 exec, exec, s[14:15]
	v_cmp_gt_i64_e32 vcc, s[26:27], v[24:25]
	s_orn2_b64 s[10:11], vcc, exec
.LBB1576_44:
	s_or_b64 exec, exec, s[12:13]
.LBB1576_45:
	v_mul_lo_u32 v22, v9, s26
	v_mul_lo_u32 v23, v8, s27
	v_mad_u64_u32 v[18:19], s[12:13], v8, s26, 0
	v_add3_u32 v19, v19, v23, v22
	s_and_b64 vcc, exec, s[4:5]
	v_lshl_add_u64 v[18:19], v[18:19], 2, s[28:29]
	s_cbranch_vccnz .LBB1576_54
; %bb.46:
	global_load_dword v22, v[18:19], off
	global_load_dword v23, v[20:21], off
	s_mov_b64 s[8:9], -1
	s_waitcnt vmcnt(0)
	v_cmp_eq_u32_e32 vcc, v22, v23
	s_and_saveexec_b64 s[12:13], vcc
	s_cbranch_execz .LBB1576_53
; %bb.47:
	s_add_u32 s8, s26, -1
	v_lshl_add_u64 v[20:21], v[20:21], 0, 4
	v_lshl_add_u64 v[22:23], v[18:19], 0, 4
	s_addc_u32 s9, s27, -1
	s_mov_b64 s[14:15], 0
	s_mov_b64 s[40:41], 0
                                        ; implicit-def: $sgpr38_sgpr39
	s_branch .LBB1576_50
.LBB1576_48:                            ;   in Loop: Header=BB1576_50 Depth=1
	global_load_dword v24, v[22:23], off
	global_load_dword v25, v[20:21], off
	s_add_u32 s40, s40, 1
	s_addc_u32 s41, s41, 0
	s_andn2_b64 s[38:39], s[38:39], exec
	v_lshl_add_u64 v[20:21], v[20:21], 0, 4
	v_lshl_add_u64 v[22:23], v[22:23], 0, 4
	s_waitcnt vmcnt(0)
	v_cmp_ne_u32_e32 vcc, v24, v25
	s_and_b64 s[42:43], vcc, exec
	s_or_b64 s[38:39], s[38:39], s[42:43]
.LBB1576_49:                            ;   in Loop: Header=BB1576_50 Depth=1
	s_and_b64 s[42:43], exec, s[38:39]
	s_or_b64 s[14:15], s[42:43], s[14:15]
	v_mov_b64_e32 v[24:25], s[40:41]
	s_andn2_b64 exec, exec, s[14:15]
	s_cbranch_execz .LBB1576_52
.LBB1576_50:                            ; =>This Inner Loop Header: Depth=1
	s_or_b64 s[38:39], s[38:39], exec
	s_cmp_eq_u64 s[8:9], s[40:41]
	s_cbranch_scc0 .LBB1576_48
; %bb.51:                               ;   in Loop: Header=BB1576_50 Depth=1
                                        ; implicit-def: $vgpr20_vgpr21
                                        ; implicit-def: $vgpr22_vgpr23
	s_mov_b64 s[40:41], s[26:27]
	s_branch .LBB1576_49
.LBB1576_52:
	s_or_b64 exec, exec, s[14:15]
	v_cmp_gt_i64_e32 vcc, s[26:27], v[24:25]
	s_orn2_b64 s[8:9], vcc, exec
.LBB1576_53:
	s_or_b64 exec, exec, s[12:13]
.LBB1576_54:
	v_mul_lo_u32 v22, v7, s26
	v_mul_lo_u32 v23, v6, s27
	v_mad_u64_u32 v[20:21], s[12:13], v6, s26, 0
	v_add3_u32 v21, v21, v23, v22
	s_mov_b64 s[12:13], 0
	s_and_b64 vcc, exec, s[4:5]
	v_lshl_add_u64 v[22:23], v[20:21], 2, s[28:29]
	s_mov_b64 s[14:15], 0
	s_cbranch_vccnz .LBB1576_63
; %bb.55:
	global_load_dword v20, v[22:23], off
	global_load_dword v21, v[18:19], off
	s_mov_b64 s[14:15], -1
	s_waitcnt vmcnt(0)
	v_cmp_eq_u32_e32 vcc, v20, v21
	s_and_saveexec_b64 s[38:39], vcc
	s_cbranch_execz .LBB1576_62
; %bb.56:
	s_add_u32 s14, s26, -1
	v_lshl_add_u64 v[18:19], v[18:19], 0, 4
	v_lshl_add_u64 v[20:21], v[22:23], 0, 4
	s_addc_u32 s15, s27, -1
	s_mov_b64 s[40:41], 0
	s_mov_b64 s[44:45], 0
                                        ; implicit-def: $sgpr42_sgpr43
	s_branch .LBB1576_59
.LBB1576_57:                            ;   in Loop: Header=BB1576_59 Depth=1
	global_load_dword v24, v[20:21], off
	global_load_dword v25, v[18:19], off
	s_add_u32 s44, s44, 1
	s_addc_u32 s45, s45, 0
	s_andn2_b64 s[42:43], s[42:43], exec
	v_lshl_add_u64 v[18:19], v[18:19], 0, 4
	v_lshl_add_u64 v[20:21], v[20:21], 0, 4
	s_waitcnt vmcnt(0)
	v_cmp_ne_u32_e32 vcc, v24, v25
	s_and_b64 s[46:47], vcc, exec
	s_or_b64 s[42:43], s[42:43], s[46:47]
.LBB1576_58:                            ;   in Loop: Header=BB1576_59 Depth=1
	s_and_b64 s[46:47], exec, s[42:43]
	s_or_b64 s[40:41], s[46:47], s[40:41]
	v_mov_b64_e32 v[24:25], s[44:45]
	s_andn2_b64 exec, exec, s[40:41]
	s_cbranch_execz .LBB1576_61
.LBB1576_59:                            ; =>This Inner Loop Header: Depth=1
	s_or_b64 s[42:43], s[42:43], exec
	s_cmp_eq_u64 s[14:15], s[44:45]
	s_cbranch_scc0 .LBB1576_57
; %bb.60:                               ;   in Loop: Header=BB1576_59 Depth=1
                                        ; implicit-def: $vgpr18_vgpr19
                                        ; implicit-def: $vgpr20_vgpr21
	s_mov_b64 s[44:45], s[26:27]
	s_branch .LBB1576_58
.LBB1576_61:
	s_or_b64 exec, exec, s[40:41]
	v_cmp_gt_i64_e32 vcc, s[26:27], v[24:25]
	s_orn2_b64 s[14:15], vcc, exec
.LBB1576_62:
	s_or_b64 exec, exec, s[38:39]
.LBB1576_63:
	v_mul_lo_u32 v20, v13, s26
	v_mul_lo_u32 v21, v12, s27
	v_mad_u64_u32 v[18:19], s[38:39], v12, s26, 0
	v_add3_u32 v19, v19, v21, v20
	s_and_b64 vcc, exec, s[4:5]
	v_lshl_add_u64 v[20:21], v[18:19], 2, s[28:29]
	s_cbranch_vccnz .LBB1576_72
; %bb.64:
	global_load_dword v18, v[20:21], off
	global_load_dword v19, v[22:23], off
	s_mov_b64 s[12:13], -1
	s_waitcnt vmcnt(0)
	v_cmp_eq_u32_e32 vcc, v18, v19
	s_and_saveexec_b64 s[38:39], vcc
	s_cbranch_execz .LBB1576_71
; %bb.65:
	s_add_u32 s12, s26, -1
	v_lshl_add_u64 v[18:19], v[22:23], 0, 4
	v_lshl_add_u64 v[22:23], v[20:21], 0, 4
	s_addc_u32 s13, s27, -1
	s_mov_b64 s[40:41], 0
	s_mov_b64 s[44:45], 0
                                        ; implicit-def: $sgpr42_sgpr43
	s_branch .LBB1576_68
.LBB1576_66:                            ;   in Loop: Header=BB1576_68 Depth=1
	global_load_dword v24, v[22:23], off
	global_load_dword v25, v[18:19], off
	s_add_u32 s44, s44, 1
	s_addc_u32 s45, s45, 0
	s_andn2_b64 s[42:43], s[42:43], exec
	v_lshl_add_u64 v[18:19], v[18:19], 0, 4
	v_lshl_add_u64 v[22:23], v[22:23], 0, 4
	s_waitcnt vmcnt(0)
	v_cmp_ne_u32_e32 vcc, v24, v25
	s_and_b64 s[46:47], vcc, exec
	s_or_b64 s[42:43], s[42:43], s[46:47]
.LBB1576_67:                            ;   in Loop: Header=BB1576_68 Depth=1
	s_and_b64 s[46:47], exec, s[42:43]
	s_or_b64 s[40:41], s[46:47], s[40:41]
	v_mov_b64_e32 v[24:25], s[44:45]
	s_andn2_b64 exec, exec, s[40:41]
	s_cbranch_execz .LBB1576_70
.LBB1576_68:                            ; =>This Inner Loop Header: Depth=1
	s_or_b64 s[42:43], s[42:43], exec
	s_cmp_eq_u64 s[12:13], s[44:45]
	s_cbranch_scc0 .LBB1576_66
; %bb.69:                               ;   in Loop: Header=BB1576_68 Depth=1
                                        ; implicit-def: $vgpr18_vgpr19
                                        ; implicit-def: $vgpr22_vgpr23
	s_mov_b64 s[44:45], s[26:27]
	s_branch .LBB1576_67
.LBB1576_70:
	s_or_b64 exec, exec, s[40:41]
	v_cmp_gt_i64_e32 vcc, s[26:27], v[24:25]
	s_orn2_b64 s[12:13], vcc, exec
.LBB1576_71:
	s_or_b64 exec, exec, s[38:39]
.LBB1576_72:
	v_mul_lo_u32 v22, v11, s26
	v_mul_lo_u32 v23, v10, s27
	v_mad_u64_u32 v[18:19], s[38:39], v10, s26, 0
	v_add3_u32 v19, v19, v23, v22
	s_mov_b64 s[40:41], 0
	s_and_b64 vcc, exec, s[4:5]
	v_lshl_add_u64 v[18:19], v[18:19], 2, s[28:29]
	s_cbranch_vccnz .LBB1576_81
; %bb.73:
	global_load_dword v22, v[18:19], off
	global_load_dword v23, v[20:21], off
	s_mov_b64 s[40:41], -1
	s_waitcnt vmcnt(0)
	v_cmp_eq_u32_e32 vcc, v22, v23
	s_and_saveexec_b64 s[38:39], vcc
	s_cbranch_execz .LBB1576_80
; %bb.74:
	s_add_u32 s40, s26, -1
	v_lshl_add_u64 v[20:21], v[20:21], 0, 4
	v_lshl_add_u64 v[22:23], v[18:19], 0, 4
	s_addc_u32 s41, s27, -1
	s_mov_b64 s[42:43], 0
	s_mov_b64 s[46:47], 0
                                        ; implicit-def: $sgpr44_sgpr45
	s_branch .LBB1576_77
.LBB1576_75:                            ;   in Loop: Header=BB1576_77 Depth=1
	global_load_dword v24, v[22:23], off
	global_load_dword v25, v[20:21], off
	s_add_u32 s46, s46, 1
	s_addc_u32 s47, s47, 0
	s_andn2_b64 s[44:45], s[44:45], exec
	v_lshl_add_u64 v[20:21], v[20:21], 0, 4
	v_lshl_add_u64 v[22:23], v[22:23], 0, 4
	s_waitcnt vmcnt(0)
	v_cmp_ne_u32_e32 vcc, v24, v25
	s_and_b64 s[48:49], vcc, exec
	s_or_b64 s[44:45], s[44:45], s[48:49]
.LBB1576_76:                            ;   in Loop: Header=BB1576_77 Depth=1
	s_and_b64 s[48:49], exec, s[44:45]
	s_or_b64 s[42:43], s[48:49], s[42:43]
	v_mov_b64_e32 v[24:25], s[46:47]
	s_andn2_b64 exec, exec, s[42:43]
	s_cbranch_execz .LBB1576_79
.LBB1576_77:                            ; =>This Inner Loop Header: Depth=1
	s_or_b64 s[44:45], s[44:45], exec
	s_cmp_eq_u64 s[40:41], s[46:47]
	s_cbranch_scc0 .LBB1576_75
; %bb.78:                               ;   in Loop: Header=BB1576_77 Depth=1
                                        ; implicit-def: $vgpr20_vgpr21
                                        ; implicit-def: $vgpr22_vgpr23
	s_mov_b64 s[46:47], s[26:27]
	s_branch .LBB1576_76
.LBB1576_79:
	s_or_b64 exec, exec, s[42:43]
	v_cmp_gt_i64_e32 vcc, s[26:27], v[24:25]
	s_orn2_b64 s[40:41], vcc, exec
.LBB1576_80:
	s_or_b64 exec, exec, s[38:39]
.LBB1576_81:
	s_waitcnt vmcnt(0)
	v_mov_b64_e32 v[20:21], v[16:17]
	s_waitcnt lgkmcnt(0)
	s_barrier
	s_and_saveexec_b64 s[38:39], s[2:3]
	s_cbranch_execz .LBB1576_83
; %bb.82:
	v_add_u32_e32 v20, -8, v33
	ds_read_b64 v[20:21], v20
.LBB1576_83:
	s_or_b64 exec, exec, s[38:39]
	v_cndmask_b32_e64 v23, 0, 1, s[14:15]
	v_cndmask_b32_e64 v22, 0, 1, s[12:13]
	v_cndmask_b32_e64 v24, 0, 1, s[40:41]
	v_lshlrev_b16_e32 v23, 8, v23
	v_lshlrev_b16_e32 v24, 8, v24
	v_or_b32_sdwa v36, v22, v23 dst_sel:WORD_1 dst_unused:UNUSED_PAD src0_sel:DWORD src1_sel:DWORD
	s_mov_b64 s[14:15], 0
	s_and_b64 vcc, exec, s[4:5]
	s_mov_b64 s[12:13], 0
	s_cbranch_vccnz .LBB1576_92
; %bb.84:
	s_waitcnt lgkmcnt(0)
	v_mul_lo_u32 v22, v21, s26
	v_mul_lo_u32 v23, v20, s27
	v_mad_u64_u32 v[20:21], s[12:13], v20, s26, 0
	v_add3_u32 v21, v21, v23, v22
	v_lshl_add_u64 v[20:21], v[20:21], 2, s[28:29]
	global_load_dword v22, v[20:21], off
	global_load_dword v23, v[18:19], off
	s_mov_b64 s[12:13], -1
	s_waitcnt vmcnt(0)
	v_cmp_eq_u32_e32 vcc, v22, v23
	s_and_saveexec_b64 s[38:39], vcc
	s_cbranch_execz .LBB1576_91
; %bb.85:
	s_add_u32 s12, s26, -1
	v_lshl_add_u64 v[18:19], v[18:19], 0, 4
	v_lshl_add_u64 v[20:21], v[20:21], 0, 4
	s_addc_u32 s13, s27, -1
	s_mov_b64 s[40:41], 0
	s_mov_b64 s[44:45], 0
                                        ; implicit-def: $sgpr42_sgpr43
	s_branch .LBB1576_88
.LBB1576_86:                            ;   in Loop: Header=BB1576_88 Depth=1
	global_load_dword v22, v[20:21], off
	global_load_dword v23, v[18:19], off
	s_add_u32 s44, s44, 1
	s_addc_u32 s45, s45, 0
	s_andn2_b64 s[42:43], s[42:43], exec
	v_lshl_add_u64 v[18:19], v[18:19], 0, 4
	v_lshl_add_u64 v[20:21], v[20:21], 0, 4
	s_waitcnt vmcnt(0)
	v_cmp_ne_u32_e32 vcc, v22, v23
	s_and_b64 s[46:47], vcc, exec
	s_or_b64 s[42:43], s[42:43], s[46:47]
.LBB1576_87:                            ;   in Loop: Header=BB1576_88 Depth=1
	s_and_b64 s[46:47], exec, s[42:43]
	s_or_b64 s[40:41], s[46:47], s[40:41]
	v_mov_b64_e32 v[22:23], s[44:45]
	s_andn2_b64 exec, exec, s[40:41]
	s_cbranch_execz .LBB1576_90
.LBB1576_88:                            ; =>This Inner Loop Header: Depth=1
	s_or_b64 s[42:43], s[42:43], exec
	s_cmp_eq_u64 s[12:13], s[44:45]
	s_cbranch_scc0 .LBB1576_86
; %bb.89:                               ;   in Loop: Header=BB1576_88 Depth=1
                                        ; implicit-def: $vgpr18_vgpr19
                                        ; implicit-def: $vgpr20_vgpr21
	s_mov_b64 s[44:45], s[26:27]
	s_branch .LBB1576_87
.LBB1576_90:
	s_or_b64 exec, exec, s[40:41]
	v_cmp_gt_i64_e32 vcc, s[26:27], v[22:23]
	s_orn2_b64 s[12:13], vcc, exec
.LBB1576_91:
	s_or_b64 exec, exec, s[38:39]
.LBB1576_92:
	v_cndmask_b32_e64 v25, 0, 1, s[8:9]
	v_cndmask_b32_e64 v34, 0, 1, s[10:11]
	v_cndmask_b32_e64 v35, 0, 1, s[6:7]
	s_waitcnt lgkmcnt(0)
	v_or_b32_e32 v20, v24, v36
	s_and_b64 vcc, exec, s[14:15]
	s_cbranch_vccz .LBB1576_173
.LBB1576_93:
	v_cmp_gt_u32_e32 vcc, s52, v29
	s_mov_b64 s[8:9], 0
	s_mov_b64 s[6:7], 0
	s_and_saveexec_b64 s[10:11], vcc
	s_cbranch_execz .LBB1576_104
; %bb.94:
	s_and_b64 vcc, exec, s[4:5]
	s_mov_b64 s[12:13], 0
	s_cbranch_vccnz .LBB1576_103
; %bb.95:
	v_mul_lo_u32 v20, v5, s26
	v_mul_lo_u32 v21, v4, s27
	v_mad_u64_u32 v[18:19], s[6:7], v4, s26, 0
	v_add3_u32 v19, v19, v21, v20
	v_mul_lo_u32 v20, v15, s26
	v_mul_lo_u32 v21, v14, s27
	v_mad_u64_u32 v[22:23], s[6:7], v14, s26, 0
	v_add3_u32 v23, v23, v21, v20
	v_lshl_add_u64 v[20:21], v[18:19], 2, s[28:29]
	v_lshl_add_u64 v[18:19], v[22:23], 2, s[28:29]
	global_load_dword v22, v[20:21], off
	global_load_dword v23, v[18:19], off
	s_mov_b64 s[12:13], -1
	s_waitcnt vmcnt(0)
	v_cmp_eq_u32_e32 vcc, v22, v23
	s_and_saveexec_b64 s[6:7], vcc
	s_cbranch_execz .LBB1576_102
; %bb.96:
	s_add_u32 s12, s26, -1
	v_lshl_add_u64 v[18:19], v[18:19], 0, 4
	v_lshl_add_u64 v[20:21], v[20:21], 0, 4
	s_addc_u32 s13, s27, -1
	s_mov_b64 s[14:15], 0
	s_mov_b64 s[40:41], 0
                                        ; implicit-def: $sgpr38_sgpr39
	s_branch .LBB1576_99
.LBB1576_97:                            ;   in Loop: Header=BB1576_99 Depth=1
	global_load_dword v22, v[20:21], off
	global_load_dword v23, v[18:19], off
	s_add_u32 s40, s40, 1
	s_addc_u32 s41, s41, 0
	s_andn2_b64 s[38:39], s[38:39], exec
	v_lshl_add_u64 v[18:19], v[18:19], 0, 4
	v_lshl_add_u64 v[20:21], v[20:21], 0, 4
	s_waitcnt vmcnt(0)
	v_cmp_ne_u32_e32 vcc, v22, v23
	s_and_b64 s[42:43], vcc, exec
	s_or_b64 s[38:39], s[38:39], s[42:43]
.LBB1576_98:                            ;   in Loop: Header=BB1576_99 Depth=1
	s_and_b64 s[42:43], exec, s[38:39]
	s_or_b64 s[14:15], s[42:43], s[14:15]
	v_mov_b64_e32 v[22:23], s[40:41]
	s_andn2_b64 exec, exec, s[14:15]
	s_cbranch_execz .LBB1576_101
.LBB1576_99:                            ; =>This Inner Loop Header: Depth=1
	s_or_b64 s[38:39], s[38:39], exec
	s_cmp_eq_u64 s[12:13], s[40:41]
	s_cbranch_scc0 .LBB1576_97
; %bb.100:                              ;   in Loop: Header=BB1576_99 Depth=1
                                        ; implicit-def: $vgpr18_vgpr19
                                        ; implicit-def: $vgpr20_vgpr21
	s_mov_b64 s[40:41], s[26:27]
	s_branch .LBB1576_98
.LBB1576_101:
	s_or_b64 exec, exec, s[14:15]
	v_cmp_gt_i64_e32 vcc, s[26:27], v[22:23]
	s_orn2_b64 s[12:13], vcc, exec
.LBB1576_102:
	s_or_b64 exec, exec, s[6:7]
.LBB1576_103:
	s_and_b64 s[6:7], s[12:13], exec
.LBB1576_104:
	s_or_b64 exec, exec, s[10:11]
	v_cmp_gt_u32_e32 vcc, s52, v31
	s_and_saveexec_b64 s[10:11], vcc
	s_cbranch_execz .LBB1576_115
; %bb.105:
	s_and_b64 vcc, exec, s[4:5]
	s_mov_b64 s[12:13], 0
	s_cbranch_vccnz .LBB1576_114
; %bb.106:
	v_mul_lo_u32 v20, v3, s26
	v_mul_lo_u32 v21, v2, s27
	v_mad_u64_u32 v[18:19], s[8:9], v2, s26, 0
	v_add3_u32 v19, v19, v21, v20
	v_mul_lo_u32 v20, v5, s26
	v_mul_lo_u32 v21, v4, s27
	v_mad_u64_u32 v[22:23], s[8:9], v4, s26, 0
	v_add3_u32 v23, v23, v21, v20
	v_lshl_add_u64 v[20:21], v[18:19], 2, s[28:29]
	v_lshl_add_u64 v[18:19], v[22:23], 2, s[28:29]
	global_load_dword v22, v[20:21], off
	global_load_dword v23, v[18:19], off
	s_mov_b64 s[12:13], -1
	s_waitcnt vmcnt(0)
	v_cmp_eq_u32_e32 vcc, v22, v23
	s_and_saveexec_b64 s[8:9], vcc
	s_cbranch_execz .LBB1576_113
; %bb.107:
	s_add_u32 s12, s26, -1
	v_lshl_add_u64 v[18:19], v[18:19], 0, 4
	v_lshl_add_u64 v[20:21], v[20:21], 0, 4
	s_addc_u32 s13, s27, -1
	s_mov_b64 s[14:15], 0
	s_mov_b64 s[40:41], 0
                                        ; implicit-def: $sgpr38_sgpr39
	s_branch .LBB1576_110
.LBB1576_108:                           ;   in Loop: Header=BB1576_110 Depth=1
	global_load_dword v22, v[20:21], off
	global_load_dword v23, v[18:19], off
	s_add_u32 s40, s40, 1
	s_addc_u32 s41, s41, 0
	s_andn2_b64 s[38:39], s[38:39], exec
	v_lshl_add_u64 v[18:19], v[18:19], 0, 4
	v_lshl_add_u64 v[20:21], v[20:21], 0, 4
	s_waitcnt vmcnt(0)
	v_cmp_ne_u32_e32 vcc, v22, v23
	s_and_b64 s[42:43], vcc, exec
	s_or_b64 s[38:39], s[38:39], s[42:43]
.LBB1576_109:                           ;   in Loop: Header=BB1576_110 Depth=1
	s_and_b64 s[42:43], exec, s[38:39]
	s_or_b64 s[14:15], s[42:43], s[14:15]
	v_mov_b64_e32 v[22:23], s[40:41]
	s_andn2_b64 exec, exec, s[14:15]
	s_cbranch_execz .LBB1576_112
.LBB1576_110:                           ; =>This Inner Loop Header: Depth=1
	s_or_b64 s[38:39], s[38:39], exec
	s_cmp_eq_u64 s[12:13], s[40:41]
	s_cbranch_scc0 .LBB1576_108
; %bb.111:                              ;   in Loop: Header=BB1576_110 Depth=1
                                        ; implicit-def: $vgpr18_vgpr19
                                        ; implicit-def: $vgpr20_vgpr21
	s_mov_b64 s[40:41], s[26:27]
	s_branch .LBB1576_109
.LBB1576_112:
	s_or_b64 exec, exec, s[14:15]
	v_cmp_gt_i64_e32 vcc, s[26:27], v[22:23]
	s_orn2_b64 s[12:13], vcc, exec
.LBB1576_113:
	s_or_b64 exec, exec, s[8:9]
.LBB1576_114:
	s_and_b64 s[8:9], s[12:13], exec
.LBB1576_115:
	s_or_b64 exec, exec, s[10:11]
	v_cmp_gt_u32_e32 vcc, s52, v28
	s_mov_b64 s[12:13], 0
	s_mov_b64 s[10:11], 0
	s_and_saveexec_b64 s[14:15], vcc
	s_cbranch_execz .LBB1576_126
; %bb.116:
	s_and_b64 vcc, exec, s[4:5]
	s_mov_b64 s[38:39], 0
	s_cbranch_vccnz .LBB1576_125
; %bb.117:
	v_mul_lo_u32 v20, v9, s26
	v_mul_lo_u32 v21, v8, s27
	v_mad_u64_u32 v[18:19], s[10:11], v8, s26, 0
	v_add3_u32 v19, v19, v21, v20
	v_mul_lo_u32 v20, v3, s26
	v_mul_lo_u32 v21, v2, s27
	v_mad_u64_u32 v[22:23], s[10:11], v2, s26, 0
	v_add3_u32 v23, v23, v21, v20
	v_lshl_add_u64 v[20:21], v[18:19], 2, s[28:29]
	v_lshl_add_u64 v[18:19], v[22:23], 2, s[28:29]
	global_load_dword v22, v[20:21], off
	global_load_dword v23, v[18:19], off
	s_mov_b64 s[38:39], -1
	s_waitcnt vmcnt(0)
	v_cmp_eq_u32_e32 vcc, v22, v23
	s_and_saveexec_b64 s[10:11], vcc
	s_cbranch_execz .LBB1576_124
; %bb.118:
	s_add_u32 s38, s26, -1
	v_lshl_add_u64 v[18:19], v[18:19], 0, 4
	v_lshl_add_u64 v[20:21], v[20:21], 0, 4
	s_addc_u32 s39, s27, -1
	s_mov_b64 s[40:41], 0
	s_mov_b64 s[44:45], 0
                                        ; implicit-def: $sgpr42_sgpr43
	s_branch .LBB1576_121
.LBB1576_119:                           ;   in Loop: Header=BB1576_121 Depth=1
	global_load_dword v22, v[20:21], off
	global_load_dword v23, v[18:19], off
	s_add_u32 s44, s44, 1
	s_addc_u32 s45, s45, 0
	s_andn2_b64 s[42:43], s[42:43], exec
	v_lshl_add_u64 v[18:19], v[18:19], 0, 4
	v_lshl_add_u64 v[20:21], v[20:21], 0, 4
	s_waitcnt vmcnt(0)
	v_cmp_ne_u32_e32 vcc, v22, v23
	s_and_b64 s[46:47], vcc, exec
	s_or_b64 s[42:43], s[42:43], s[46:47]
.LBB1576_120:                           ;   in Loop: Header=BB1576_121 Depth=1
	s_and_b64 s[46:47], exec, s[42:43]
	s_or_b64 s[40:41], s[46:47], s[40:41]
	v_mov_b64_e32 v[22:23], s[44:45]
	s_andn2_b64 exec, exec, s[40:41]
	s_cbranch_execz .LBB1576_123
.LBB1576_121:                           ; =>This Inner Loop Header: Depth=1
	s_or_b64 s[42:43], s[42:43], exec
	s_cmp_eq_u64 s[38:39], s[44:45]
	s_cbranch_scc0 .LBB1576_119
; %bb.122:                              ;   in Loop: Header=BB1576_121 Depth=1
                                        ; implicit-def: $vgpr18_vgpr19
                                        ; implicit-def: $vgpr20_vgpr21
	s_mov_b64 s[44:45], s[26:27]
	s_branch .LBB1576_120
.LBB1576_123:
	s_or_b64 exec, exec, s[40:41]
	v_cmp_gt_i64_e32 vcc, s[26:27], v[22:23]
	s_orn2_b64 s[38:39], vcc, exec
.LBB1576_124:
	s_or_b64 exec, exec, s[10:11]
.LBB1576_125:
	s_and_b64 s[10:11], s[38:39], exec
.LBB1576_126:
	s_or_b64 exec, exec, s[14:15]
	v_cmp_gt_u32_e32 vcc, s52, v30
	s_and_saveexec_b64 s[14:15], vcc
	s_cbranch_execz .LBB1576_137
; %bb.127:
	s_and_b64 vcc, exec, s[4:5]
	s_mov_b64 s[38:39], 0
	s_cbranch_vccnz .LBB1576_136
; %bb.128:
	v_mul_lo_u32 v20, v7, s26
	v_mul_lo_u32 v21, v6, s27
	v_mad_u64_u32 v[18:19], s[12:13], v6, s26, 0
	v_add3_u32 v19, v19, v21, v20
	v_mul_lo_u32 v20, v9, s26
	v_mul_lo_u32 v21, v8, s27
	v_mad_u64_u32 v[22:23], s[12:13], v8, s26, 0
	v_add3_u32 v23, v23, v21, v20
	v_lshl_add_u64 v[20:21], v[18:19], 2, s[28:29]
	v_lshl_add_u64 v[18:19], v[22:23], 2, s[28:29]
	global_load_dword v22, v[20:21], off
	global_load_dword v23, v[18:19], off
	s_mov_b64 s[38:39], -1
	s_waitcnt vmcnt(0)
	v_cmp_eq_u32_e32 vcc, v22, v23
	s_and_saveexec_b64 s[12:13], vcc
	s_cbranch_execz .LBB1576_135
; %bb.129:
	s_add_u32 s38, s26, -1
	v_lshl_add_u64 v[18:19], v[18:19], 0, 4
	v_lshl_add_u64 v[20:21], v[20:21], 0, 4
	s_addc_u32 s39, s27, -1
	s_mov_b64 s[40:41], 0
	s_mov_b64 s[44:45], 0
                                        ; implicit-def: $sgpr42_sgpr43
	s_branch .LBB1576_132
.LBB1576_130:                           ;   in Loop: Header=BB1576_132 Depth=1
	global_load_dword v22, v[20:21], off
	global_load_dword v23, v[18:19], off
	s_add_u32 s44, s44, 1
	s_addc_u32 s45, s45, 0
	s_andn2_b64 s[42:43], s[42:43], exec
	v_lshl_add_u64 v[18:19], v[18:19], 0, 4
	v_lshl_add_u64 v[20:21], v[20:21], 0, 4
	s_waitcnt vmcnt(0)
	v_cmp_ne_u32_e32 vcc, v22, v23
	s_and_b64 s[46:47], vcc, exec
	s_or_b64 s[42:43], s[42:43], s[46:47]
.LBB1576_131:                           ;   in Loop: Header=BB1576_132 Depth=1
	s_and_b64 s[46:47], exec, s[42:43]
	s_or_b64 s[40:41], s[46:47], s[40:41]
	v_mov_b64_e32 v[22:23], s[44:45]
	s_andn2_b64 exec, exec, s[40:41]
	s_cbranch_execz .LBB1576_134
.LBB1576_132:                           ; =>This Inner Loop Header: Depth=1
	s_or_b64 s[42:43], s[42:43], exec
	s_cmp_eq_u64 s[38:39], s[44:45]
	s_cbranch_scc0 .LBB1576_130
; %bb.133:                              ;   in Loop: Header=BB1576_132 Depth=1
                                        ; implicit-def: $vgpr18_vgpr19
                                        ; implicit-def: $vgpr20_vgpr21
	s_mov_b64 s[44:45], s[26:27]
	s_branch .LBB1576_131
.LBB1576_134:
	s_or_b64 exec, exec, s[40:41]
	v_cmp_gt_i64_e32 vcc, s[26:27], v[22:23]
	s_orn2_b64 s[38:39], vcc, exec
.LBB1576_135:
	s_or_b64 exec, exec, s[12:13]
.LBB1576_136:
	s_and_b64 s[12:13], s[38:39], exec
.LBB1576_137:
	s_or_b64 exec, exec, s[14:15]
	v_cmp_gt_u32_e32 vcc, s52, v26
	s_mov_b64 s[14:15], 0
	s_mov_b64 s[38:39], 0
	s_and_saveexec_b64 s[40:41], vcc
	s_cbranch_execz .LBB1576_148
; %bb.138:
	s_and_b64 vcc, exec, s[4:5]
	s_mov_b64 s[42:43], 0
	s_cbranch_vccnz .LBB1576_147
; %bb.139:
	v_mul_lo_u32 v20, v13, s26
	v_mul_lo_u32 v21, v12, s27
	v_mad_u64_u32 v[18:19], s[38:39], v12, s26, 0
	v_add3_u32 v19, v19, v21, v20
	v_mul_lo_u32 v20, v7, s26
	v_mul_lo_u32 v21, v6, s27
	v_mad_u64_u32 v[22:23], s[38:39], v6, s26, 0
	v_add3_u32 v23, v23, v21, v20
	v_lshl_add_u64 v[20:21], v[18:19], 2, s[28:29]
	v_lshl_add_u64 v[18:19], v[22:23], 2, s[28:29]
	global_load_dword v22, v[20:21], off
	global_load_dword v23, v[18:19], off
	s_mov_b64 s[42:43], -1
	s_waitcnt vmcnt(0)
	v_cmp_eq_u32_e32 vcc, v22, v23
	s_and_saveexec_b64 s[38:39], vcc
	s_cbranch_execz .LBB1576_146
; %bb.140:
	s_add_u32 s42, s26, -1
	v_lshl_add_u64 v[18:19], v[18:19], 0, 4
	v_lshl_add_u64 v[20:21], v[20:21], 0, 4
	s_addc_u32 s43, s27, -1
	s_mov_b64 s[44:45], 0
	s_mov_b64 s[48:49], 0
                                        ; implicit-def: $sgpr46_sgpr47
	s_branch .LBB1576_143
.LBB1576_141:                           ;   in Loop: Header=BB1576_143 Depth=1
	global_load_dword v22, v[20:21], off
	global_load_dword v23, v[18:19], off
	s_add_u32 s48, s48, 1
	s_addc_u32 s49, s49, 0
	s_andn2_b64 s[46:47], s[46:47], exec
	v_lshl_add_u64 v[18:19], v[18:19], 0, 4
	v_lshl_add_u64 v[20:21], v[20:21], 0, 4
	s_waitcnt vmcnt(0)
	v_cmp_ne_u32_e32 vcc, v22, v23
	s_and_b64 s[50:51], vcc, exec
	s_or_b64 s[46:47], s[46:47], s[50:51]
.LBB1576_142:                           ;   in Loop: Header=BB1576_143 Depth=1
	s_and_b64 s[50:51], exec, s[46:47]
	s_or_b64 s[44:45], s[50:51], s[44:45]
	v_mov_b64_e32 v[22:23], s[48:49]
	s_andn2_b64 exec, exec, s[44:45]
	s_cbranch_execz .LBB1576_145
.LBB1576_143:                           ; =>This Inner Loop Header: Depth=1
	s_or_b64 s[46:47], s[46:47], exec
	s_cmp_eq_u64 s[42:43], s[48:49]
	s_cbranch_scc0 .LBB1576_141
; %bb.144:                              ;   in Loop: Header=BB1576_143 Depth=1
                                        ; implicit-def: $vgpr18_vgpr19
                                        ; implicit-def: $vgpr20_vgpr21
	s_mov_b64 s[48:49], s[26:27]
	s_branch .LBB1576_142
.LBB1576_145:
	s_or_b64 exec, exec, s[44:45]
	v_cmp_gt_i64_e32 vcc, s[26:27], v[22:23]
	s_orn2_b64 s[42:43], vcc, exec
.LBB1576_146:
	s_or_b64 exec, exec, s[38:39]
.LBB1576_147:
	s_and_b64 s[38:39], s[42:43], exec
.LBB1576_148:
	s_or_b64 exec, exec, s[40:41]
	v_cmp_gt_u32_e32 vcc, s52, v27
	s_and_saveexec_b64 s[40:41], vcc
	s_cbranch_execz .LBB1576_159
; %bb.149:
	s_and_b64 vcc, exec, s[4:5]
	s_mov_b64 s[42:43], 0
	s_cbranch_vccnz .LBB1576_158
; %bb.150:
	v_mul_lo_u32 v20, v11, s26
	v_mul_lo_u32 v21, v10, s27
	v_mad_u64_u32 v[18:19], s[14:15], v10, s26, 0
	v_add3_u32 v19, v19, v21, v20
	v_mul_lo_u32 v20, v13, s26
	v_mul_lo_u32 v21, v12, s27
	v_mad_u64_u32 v[22:23], s[14:15], v12, s26, 0
	v_add3_u32 v23, v23, v21, v20
	v_lshl_add_u64 v[20:21], v[18:19], 2, s[28:29]
	v_lshl_add_u64 v[18:19], v[22:23], 2, s[28:29]
	global_load_dword v22, v[20:21], off
	global_load_dword v23, v[18:19], off
	s_mov_b64 s[42:43], -1
	s_waitcnt vmcnt(0)
	v_cmp_eq_u32_e32 vcc, v22, v23
	s_and_saveexec_b64 s[14:15], vcc
	s_cbranch_execz .LBB1576_157
; %bb.151:
	s_add_u32 s42, s26, -1
	v_lshl_add_u64 v[18:19], v[18:19], 0, 4
	v_lshl_add_u64 v[20:21], v[20:21], 0, 4
	s_addc_u32 s43, s27, -1
	s_mov_b64 s[44:45], 0
	s_mov_b64 s[48:49], 0
                                        ; implicit-def: $sgpr46_sgpr47
	s_branch .LBB1576_154
.LBB1576_152:                           ;   in Loop: Header=BB1576_154 Depth=1
	global_load_dword v22, v[20:21], off
	global_load_dword v23, v[18:19], off
	s_add_u32 s48, s48, 1
	s_addc_u32 s49, s49, 0
	s_andn2_b64 s[46:47], s[46:47], exec
	v_lshl_add_u64 v[18:19], v[18:19], 0, 4
	v_lshl_add_u64 v[20:21], v[20:21], 0, 4
	s_waitcnt vmcnt(0)
	v_cmp_ne_u32_e32 vcc, v22, v23
	s_and_b64 s[50:51], vcc, exec
	s_or_b64 s[46:47], s[46:47], s[50:51]
.LBB1576_153:                           ;   in Loop: Header=BB1576_154 Depth=1
	s_and_b64 s[50:51], exec, s[46:47]
	s_or_b64 s[44:45], s[50:51], s[44:45]
	v_mov_b64_e32 v[22:23], s[48:49]
	s_andn2_b64 exec, exec, s[44:45]
	s_cbranch_execz .LBB1576_156
.LBB1576_154:                           ; =>This Inner Loop Header: Depth=1
	s_or_b64 s[46:47], s[46:47], exec
	s_cmp_eq_u64 s[42:43], s[48:49]
	s_cbranch_scc0 .LBB1576_152
; %bb.155:                              ;   in Loop: Header=BB1576_154 Depth=1
                                        ; implicit-def: $vgpr18_vgpr19
                                        ; implicit-def: $vgpr20_vgpr21
	s_mov_b64 s[48:49], s[26:27]
	s_branch .LBB1576_153
.LBB1576_156:
	s_or_b64 exec, exec, s[44:45]
	v_cmp_gt_i64_e32 vcc, s[26:27], v[22:23]
	s_orn2_b64 s[42:43], vcc, exec
.LBB1576_157:
	s_or_b64 exec, exec, s[14:15]
.LBB1576_158:
	s_and_b64 s[14:15], s[42:43], exec
.LBB1576_159:
	s_or_b64 exec, exec, s[40:41]
	s_waitcnt lgkmcnt(0)
	s_barrier
	s_and_saveexec_b64 s[40:41], s[2:3]
	s_cbranch_execz .LBB1576_161
; %bb.160:
	s_waitcnt vmcnt(0)
	v_add_u32_e32 v16, -8, v33
	ds_read_b64 v[16:17], v16
.LBB1576_161:
	s_or_b64 exec, exec, s[40:41]
	v_cndmask_b32_e64 v19, 0, 1, s[12:13]
	v_cndmask_b32_e64 v18, 0, 1, s[38:39]
	v_cndmask_b32_e64 v20, 0, 1, s[14:15]
	v_lshlrev_b16_e32 v19, 8, v19
	v_cmp_gt_u32_e32 vcc, s52, v1
	v_lshlrev_b16_e32 v22, 8, v20
	v_or_b32_sdwa v23, v18, v19 dst_sel:WORD_1 dst_unused:UNUSED_PAD src0_sel:DWORD src1_sel:DWORD
	s_mov_b64 s[12:13], 0
	s_and_saveexec_b64 s[14:15], vcc
	s_cbranch_execz .LBB1576_172
; %bb.162:
	s_and_b64 vcc, exec, s[4:5]
	s_cbranch_vccnz .LBB1576_171
; %bb.163:
	s_waitcnt vmcnt(0) lgkmcnt(0)
	v_mul_lo_u32 v18, v17, s26
	v_mul_lo_u32 v19, v16, s27
	v_mad_u64_u32 v[16:17], s[4:5], v16, s26, 0
	v_add3_u32 v17, v17, v19, v18
	v_mul_lo_u32 v18, v11, s26
	v_mul_lo_u32 v19, v10, s27
	v_mad_u64_u32 v[20:21], s[4:5], v10, s26, 0
	v_add3_u32 v21, v21, v19, v18
	v_lshl_add_u64 v[18:19], v[16:17], 2, s[28:29]
	v_lshl_add_u64 v[16:17], v[20:21], 2, s[28:29]
	global_load_dword v20, v[18:19], off
	global_load_dword v21, v[16:17], off
	s_mov_b64 s[12:13], -1
	s_waitcnt vmcnt(0)
	v_cmp_eq_u32_e32 vcc, v20, v21
	s_and_saveexec_b64 s[4:5], vcc
	s_cbranch_execz .LBB1576_170
; %bb.164:
	s_add_u32 s12, s26, -1
	v_lshl_add_u64 v[16:17], v[16:17], 0, 4
	v_lshl_add_u64 v[18:19], v[18:19], 0, 4
	s_addc_u32 s13, s27, -1
	s_mov_b64 s[38:39], 0
	s_mov_b64 s[42:43], 0
                                        ; implicit-def: $sgpr40_sgpr41
	s_branch .LBB1576_167
.LBB1576_165:                           ;   in Loop: Header=BB1576_167 Depth=1
	global_load_dword v20, v[18:19], off
	global_load_dword v21, v[16:17], off
	s_add_u32 s42, s42, 1
	s_addc_u32 s43, s43, 0
	s_andn2_b64 s[40:41], s[40:41], exec
	v_lshl_add_u64 v[16:17], v[16:17], 0, 4
	v_lshl_add_u64 v[18:19], v[18:19], 0, 4
	s_waitcnt vmcnt(0)
	v_cmp_ne_u32_e32 vcc, v20, v21
	s_and_b64 s[44:45], vcc, exec
	s_or_b64 s[40:41], s[40:41], s[44:45]
.LBB1576_166:                           ;   in Loop: Header=BB1576_167 Depth=1
	s_and_b64 s[44:45], exec, s[40:41]
	s_or_b64 s[38:39], s[44:45], s[38:39]
	v_mov_b64_e32 v[20:21], s[42:43]
	s_andn2_b64 exec, exec, s[38:39]
	s_cbranch_execz .LBB1576_169
.LBB1576_167:                           ; =>This Inner Loop Header: Depth=1
	s_or_b64 s[40:41], s[40:41], exec
	s_cmp_eq_u64 s[12:13], s[42:43]
	s_cbranch_scc0 .LBB1576_165
; %bb.168:                              ;   in Loop: Header=BB1576_167 Depth=1
                                        ; implicit-def: $vgpr16_vgpr17
                                        ; implicit-def: $vgpr18_vgpr19
	s_mov_b64 s[42:43], s[26:27]
	s_branch .LBB1576_166
.LBB1576_169:
	s_or_b64 exec, exec, s[38:39]
	v_cmp_gt_i64_e32 vcc, s[26:27], v[20:21]
	s_orn2_b64 s[12:13], vcc, exec
.LBB1576_170:
	s_or_b64 exec, exec, s[4:5]
.LBB1576_171:
	s_and_b64 s[12:13], s[12:13], exec
.LBB1576_172:
	s_or_b64 exec, exec, s[14:15]
	v_cndmask_b32_e64 v25, 0, 1, s[10:11]
	v_cndmask_b32_e64 v34, 0, 1, s[8:9]
	;; [unrolled: 1-line block ×3, first 2 shown]
	v_or_b32_e32 v20, v22, v23
.LBB1576_173:
	s_mov_b64 s[8:9], -1
	s_cbranch_execnz .LBB1576_32
.LBB1576_174:
	s_movk_i32 s4, 0xffd0
	v_mad_i32_i24 v24, v0, s4, v32
	s_mov_b64 s[10:11], 0
	v_cmp_gt_i64_e64 s[6:7], s[26:27], 0
	s_and_b64 vcc, exec, s[36:37]
	ds_write_b64 v24, v[14:15]
	s_cbranch_vccz .LBB1576_182
; %bb.175:
	v_mul_lo_u32 v18, v5, s26
	v_mul_lo_u32 v19, v4, s27
	s_waitcnt vmcnt(0) lgkmcnt(1)
	v_mad_u64_u32 v[16:17], s[4:5], v4, s26, 0
	v_add3_u32 v17, v17, v19, v18
	v_cndmask_b32_e64 v18, 0, 1, s[6:7]
	v_cmp_ne_u32_e64 s[4:5], 1, v18
	s_andn2_b64 vcc, exec, s[6:7]
	v_lshl_add_u64 v[16:17], v[16:17], 2, s[28:29]
	s_cbranch_vccnz .LBB1576_185
; %bb.176:
	v_mul_lo_u32 v20, v15, s26
	v_mul_lo_u32 v21, v14, s27
	v_mad_u64_u32 v[18:19], s[10:11], v14, s26, 0
	v_add3_u32 v19, v19, v21, v20
	v_lshl_add_u64 v[18:19], v[18:19], 2, s[28:29]
	global_load_dword v20, v[16:17], off
	global_load_dword v21, v[18:19], off
	s_mov_b64 s[10:11], -1
	s_waitcnt vmcnt(0)
	v_cmp_eq_u32_e32 vcc, v20, v21
	s_and_saveexec_b64 s[12:13], vcc
	s_cbranch_execz .LBB1576_184
; %bb.177:
	s_add_u32 s10, s26, -1
	v_lshl_add_u64 v[18:19], v[18:19], 0, 4
	v_lshl_add_u64 v[20:21], v[16:17], 0, 4
	s_addc_u32 s11, s27, -1
	s_mov_b64 s[14:15], 0
	s_mov_b64 s[40:41], 0
                                        ; implicit-def: $sgpr38_sgpr39
	s_branch .LBB1576_180
.LBB1576_178:                           ;   in Loop: Header=BB1576_180 Depth=1
	global_load_dword v22, v[20:21], off
	global_load_dword v23, v[18:19], off
	s_add_u32 s40, s40, 1
	s_addc_u32 s41, s41, 0
	s_andn2_b64 s[38:39], s[38:39], exec
	v_lshl_add_u64 v[18:19], v[18:19], 0, 4
	v_lshl_add_u64 v[20:21], v[20:21], 0, 4
	s_waitcnt vmcnt(0)
	v_cmp_ne_u32_e32 vcc, v22, v23
	s_and_b64 s[42:43], vcc, exec
	s_or_b64 s[38:39], s[38:39], s[42:43]
.LBB1576_179:                           ;   in Loop: Header=BB1576_180 Depth=1
	s_and_b64 s[42:43], exec, s[38:39]
	s_or_b64 s[14:15], s[42:43], s[14:15]
	v_mov_b64_e32 v[22:23], s[40:41]
	s_andn2_b64 exec, exec, s[14:15]
	s_cbranch_execz .LBB1576_183
.LBB1576_180:                           ; =>This Inner Loop Header: Depth=1
	s_or_b64 s[38:39], s[38:39], exec
	s_cmp_eq_u64 s[10:11], s[40:41]
	s_cbranch_scc0 .LBB1576_178
; %bb.181:                              ;   in Loop: Header=BB1576_180 Depth=1
                                        ; implicit-def: $vgpr18_vgpr19
                                        ; implicit-def: $vgpr20_vgpr21
	s_mov_b64 s[40:41], s[26:27]
	s_branch .LBB1576_179
.LBB1576_182:
                                        ; implicit-def: $sgpr12_sgpr13
                                        ; implicit-def: $vgpr35
                                        ; implicit-def: $vgpr34
                                        ; implicit-def: $vgpr25
                                        ; implicit-def: $vgpr20
                                        ; implicit-def: $vgpr16_vgpr17
	s_cbranch_execnz .LBB1576_242
	s_branch .LBB1576_322
.LBB1576_183:
	s_or_b64 exec, exec, s[14:15]
	v_cmp_gt_i64_e32 vcc, s[26:27], v[22:23]
	s_orn2_b64 s[10:11], vcc, exec
.LBB1576_184:
	s_or_b64 exec, exec, s[12:13]
.LBB1576_185:
	v_mul_lo_u32 v20, v3, s26
	v_mul_lo_u32 v21, v2, s27
	v_mad_u64_u32 v[18:19], s[12:13], v2, s26, 0
	v_add3_u32 v19, v19, v21, v20
	s_mov_b64 s[12:13], 0
	s_and_b64 vcc, exec, s[4:5]
	v_lshl_add_u64 v[18:19], v[18:19], 2, s[28:29]
	s_mov_b64 s[14:15], 0
	s_cbranch_vccnz .LBB1576_194
; %bb.186:
	global_load_dword v20, v[18:19], off
	global_load_dword v21, v[16:17], off
	s_mov_b64 s[14:15], -1
	s_waitcnt vmcnt(0)
	v_cmp_eq_u32_e32 vcc, v20, v21
	s_and_saveexec_b64 s[38:39], vcc
	s_cbranch_execz .LBB1576_193
; %bb.187:
	s_add_u32 s14, s26, -1
	v_lshl_add_u64 v[16:17], v[16:17], 0, 4
	v_lshl_add_u64 v[20:21], v[18:19], 0, 4
	s_addc_u32 s15, s27, -1
	s_mov_b64 s[40:41], 0
	s_mov_b64 s[44:45], 0
                                        ; implicit-def: $sgpr42_sgpr43
	s_branch .LBB1576_190
.LBB1576_188:                           ;   in Loop: Header=BB1576_190 Depth=1
	global_load_dword v22, v[20:21], off
	global_load_dword v23, v[16:17], off
	s_add_u32 s44, s44, 1
	s_addc_u32 s45, s45, 0
	s_andn2_b64 s[42:43], s[42:43], exec
	v_lshl_add_u64 v[16:17], v[16:17], 0, 4
	v_lshl_add_u64 v[20:21], v[20:21], 0, 4
	s_waitcnt vmcnt(0)
	v_cmp_ne_u32_e32 vcc, v22, v23
	s_and_b64 s[46:47], vcc, exec
	s_or_b64 s[42:43], s[42:43], s[46:47]
.LBB1576_189:                           ;   in Loop: Header=BB1576_190 Depth=1
	s_and_b64 s[46:47], exec, s[42:43]
	s_or_b64 s[40:41], s[46:47], s[40:41]
	v_mov_b64_e32 v[22:23], s[44:45]
	s_andn2_b64 exec, exec, s[40:41]
	s_cbranch_execz .LBB1576_192
.LBB1576_190:                           ; =>This Inner Loop Header: Depth=1
	s_or_b64 s[42:43], s[42:43], exec
	s_cmp_eq_u64 s[14:15], s[44:45]
	s_cbranch_scc0 .LBB1576_188
; %bb.191:                              ;   in Loop: Header=BB1576_190 Depth=1
                                        ; implicit-def: $vgpr16_vgpr17
                                        ; implicit-def: $vgpr20_vgpr21
	s_mov_b64 s[44:45], s[26:27]
	s_branch .LBB1576_189
.LBB1576_192:
	s_or_b64 exec, exec, s[40:41]
	v_cmp_gt_i64_e32 vcc, s[26:27], v[22:23]
	s_orn2_b64 s[14:15], vcc, exec
.LBB1576_193:
	s_or_b64 exec, exec, s[38:39]
.LBB1576_194:
	v_mul_lo_u32 v20, v9, s26
	v_mul_lo_u32 v21, v8, s27
	v_mad_u64_u32 v[16:17], s[38:39], v8, s26, 0
	v_add3_u32 v17, v17, v21, v20
	s_and_b64 vcc, exec, s[4:5]
	v_lshl_add_u64 v[16:17], v[16:17], 2, s[28:29]
	s_cbranch_vccnz .LBB1576_203
; %bb.195:
	global_load_dword v20, v[16:17], off
	global_load_dword v21, v[18:19], off
	s_mov_b64 s[12:13], -1
	s_waitcnt vmcnt(0)
	v_cmp_eq_u32_e32 vcc, v20, v21
	s_and_saveexec_b64 s[38:39], vcc
	s_cbranch_execz .LBB1576_202
; %bb.196:
	s_add_u32 s12, s26, -1
	v_lshl_add_u64 v[18:19], v[18:19], 0, 4
	v_lshl_add_u64 v[20:21], v[16:17], 0, 4
	s_addc_u32 s13, s27, -1
	s_mov_b64 s[40:41], 0
	s_mov_b64 s[44:45], 0
                                        ; implicit-def: $sgpr42_sgpr43
	s_branch .LBB1576_199
.LBB1576_197:                           ;   in Loop: Header=BB1576_199 Depth=1
	global_load_dword v22, v[20:21], off
	global_load_dword v23, v[18:19], off
	s_add_u32 s44, s44, 1
	s_addc_u32 s45, s45, 0
	s_andn2_b64 s[42:43], s[42:43], exec
	v_lshl_add_u64 v[18:19], v[18:19], 0, 4
	v_lshl_add_u64 v[20:21], v[20:21], 0, 4
	s_waitcnt vmcnt(0)
	v_cmp_ne_u32_e32 vcc, v22, v23
	s_and_b64 s[46:47], vcc, exec
	s_or_b64 s[42:43], s[42:43], s[46:47]
.LBB1576_198:                           ;   in Loop: Header=BB1576_199 Depth=1
	s_and_b64 s[46:47], exec, s[42:43]
	s_or_b64 s[40:41], s[46:47], s[40:41]
	v_mov_b64_e32 v[22:23], s[44:45]
	s_andn2_b64 exec, exec, s[40:41]
	s_cbranch_execz .LBB1576_201
.LBB1576_199:                           ; =>This Inner Loop Header: Depth=1
	s_or_b64 s[42:43], s[42:43], exec
	s_cmp_eq_u64 s[12:13], s[44:45]
	s_cbranch_scc0 .LBB1576_197
; %bb.200:                              ;   in Loop: Header=BB1576_199 Depth=1
                                        ; implicit-def: $vgpr18_vgpr19
                                        ; implicit-def: $vgpr20_vgpr21
	s_mov_b64 s[44:45], s[26:27]
	s_branch .LBB1576_198
.LBB1576_201:
	s_or_b64 exec, exec, s[40:41]
	v_cmp_gt_i64_e32 vcc, s[26:27], v[22:23]
	s_orn2_b64 s[12:13], vcc, exec
.LBB1576_202:
	s_or_b64 exec, exec, s[38:39]
.LBB1576_203:
	v_mul_lo_u32 v20, v7, s26
	v_mul_lo_u32 v21, v6, s27
	v_mad_u64_u32 v[18:19], s[38:39], v6, s26, 0
	v_add3_u32 v19, v19, v21, v20
	s_mov_b64 s[38:39], 0
	s_and_b64 vcc, exec, s[4:5]
	v_lshl_add_u64 v[18:19], v[18:19], 2, s[28:29]
	s_mov_b64 s[40:41], 0
	s_cbranch_vccnz .LBB1576_212
; %bb.204:
	global_load_dword v20, v[18:19], off
	global_load_dword v21, v[16:17], off
	s_mov_b64 s[40:41], -1
	s_waitcnt vmcnt(0)
	v_cmp_eq_u32_e32 vcc, v20, v21
	s_and_saveexec_b64 s[42:43], vcc
	s_cbranch_execz .LBB1576_211
; %bb.205:
	s_add_u32 s40, s26, -1
	v_lshl_add_u64 v[16:17], v[16:17], 0, 4
	v_lshl_add_u64 v[20:21], v[18:19], 0, 4
	s_addc_u32 s41, s27, -1
	s_mov_b64 s[44:45], 0
	s_mov_b64 s[48:49], 0
                                        ; implicit-def: $sgpr46_sgpr47
	s_branch .LBB1576_208
.LBB1576_206:                           ;   in Loop: Header=BB1576_208 Depth=1
	global_load_dword v22, v[20:21], off
	global_load_dword v23, v[16:17], off
	s_add_u32 s48, s48, 1
	s_addc_u32 s49, s49, 0
	s_andn2_b64 s[46:47], s[46:47], exec
	v_lshl_add_u64 v[16:17], v[16:17], 0, 4
	v_lshl_add_u64 v[20:21], v[20:21], 0, 4
	s_waitcnt vmcnt(0)
	v_cmp_ne_u32_e32 vcc, v22, v23
	s_and_b64 s[50:51], vcc, exec
	s_or_b64 s[46:47], s[46:47], s[50:51]
.LBB1576_207:                           ;   in Loop: Header=BB1576_208 Depth=1
	s_and_b64 s[50:51], exec, s[46:47]
	s_or_b64 s[44:45], s[50:51], s[44:45]
	v_mov_b64_e32 v[22:23], s[48:49]
	s_andn2_b64 exec, exec, s[44:45]
	s_cbranch_execz .LBB1576_210
.LBB1576_208:                           ; =>This Inner Loop Header: Depth=1
	s_or_b64 s[46:47], s[46:47], exec
	s_cmp_eq_u64 s[40:41], s[48:49]
	s_cbranch_scc0 .LBB1576_206
; %bb.209:                              ;   in Loop: Header=BB1576_208 Depth=1
                                        ; implicit-def: $vgpr16_vgpr17
                                        ; implicit-def: $vgpr20_vgpr21
	s_mov_b64 s[48:49], s[26:27]
	s_branch .LBB1576_207
.LBB1576_210:
	s_or_b64 exec, exec, s[44:45]
	v_cmp_gt_i64_e32 vcc, s[26:27], v[22:23]
	s_orn2_b64 s[40:41], vcc, exec
.LBB1576_211:
	s_or_b64 exec, exec, s[42:43]
.LBB1576_212:
	v_mul_lo_u32 v20, v13, s26
	v_mul_lo_u32 v21, v12, s27
	v_mad_u64_u32 v[16:17], s[42:43], v12, s26, 0
	v_add3_u32 v17, v17, v21, v20
	s_and_b64 vcc, exec, s[4:5]
	v_lshl_add_u64 v[16:17], v[16:17], 2, s[28:29]
	s_cbranch_vccnz .LBB1576_221
; %bb.213:
	global_load_dword v20, v[16:17], off
	global_load_dword v21, v[18:19], off
	s_mov_b64 s[38:39], -1
	s_waitcnt vmcnt(0)
	v_cmp_eq_u32_e32 vcc, v20, v21
	s_and_saveexec_b64 s[42:43], vcc
	s_cbranch_execz .LBB1576_220
; %bb.214:
	s_add_u32 s38, s26, -1
	v_lshl_add_u64 v[18:19], v[18:19], 0, 4
	v_lshl_add_u64 v[20:21], v[16:17], 0, 4
	s_addc_u32 s39, s27, -1
	s_mov_b64 s[44:45], 0
	s_mov_b64 s[48:49], 0
                                        ; implicit-def: $sgpr46_sgpr47
	s_branch .LBB1576_217
.LBB1576_215:                           ;   in Loop: Header=BB1576_217 Depth=1
	global_load_dword v22, v[20:21], off
	global_load_dword v23, v[18:19], off
	s_add_u32 s48, s48, 1
	s_addc_u32 s49, s49, 0
	s_andn2_b64 s[46:47], s[46:47], exec
	v_lshl_add_u64 v[18:19], v[18:19], 0, 4
	v_lshl_add_u64 v[20:21], v[20:21], 0, 4
	s_waitcnt vmcnt(0)
	v_cmp_ne_u32_e32 vcc, v22, v23
	s_and_b64 s[50:51], vcc, exec
	s_or_b64 s[46:47], s[46:47], s[50:51]
.LBB1576_216:                           ;   in Loop: Header=BB1576_217 Depth=1
	s_and_b64 s[50:51], exec, s[46:47]
	s_or_b64 s[44:45], s[50:51], s[44:45]
	v_mov_b64_e32 v[22:23], s[48:49]
	s_andn2_b64 exec, exec, s[44:45]
	s_cbranch_execz .LBB1576_219
.LBB1576_217:                           ; =>This Inner Loop Header: Depth=1
	s_or_b64 s[46:47], s[46:47], exec
	s_cmp_eq_u64 s[38:39], s[48:49]
	s_cbranch_scc0 .LBB1576_215
; %bb.218:                              ;   in Loop: Header=BB1576_217 Depth=1
                                        ; implicit-def: $vgpr18_vgpr19
                                        ; implicit-def: $vgpr20_vgpr21
	s_mov_b64 s[48:49], s[26:27]
	s_branch .LBB1576_216
.LBB1576_219:
	s_or_b64 exec, exec, s[44:45]
	v_cmp_gt_i64_e32 vcc, s[26:27], v[22:23]
	s_orn2_b64 s[38:39], vcc, exec
.LBB1576_220:
	s_or_b64 exec, exec, s[42:43]
.LBB1576_221:
	v_mul_lo_u32 v20, v11, s26
	v_mul_lo_u32 v21, v10, s27
	v_mad_u64_u32 v[18:19], s[42:43], v10, s26, 0
	v_add3_u32 v19, v19, v21, v20
	s_and_b64 vcc, exec, s[4:5]
	s_mov_b64 s[44:45], 0
	s_cbranch_vccnz .LBB1576_230
; %bb.222:
	v_lshl_add_u64 v[20:21], v[18:19], 2, s[28:29]
	global_load_dword v22, v[20:21], off
	global_load_dword v23, v[16:17], off
	s_mov_b64 s[44:45], -1
	s_waitcnt vmcnt(0)
	v_cmp_eq_u32_e32 vcc, v22, v23
	s_and_saveexec_b64 s[42:43], vcc
	s_cbranch_execz .LBB1576_229
; %bb.223:
	s_add_u32 s44, s26, -1
	v_lshl_add_u64 v[16:17], v[16:17], 0, 4
	v_lshl_add_u64 v[20:21], v[20:21], 0, 4
	s_addc_u32 s45, s27, -1
	s_mov_b64 s[46:47], 0
	s_mov_b64 s[50:51], 0
                                        ; implicit-def: $sgpr48_sgpr49
	s_branch .LBB1576_226
.LBB1576_224:                           ;   in Loop: Header=BB1576_226 Depth=1
	global_load_dword v22, v[20:21], off
	global_load_dword v23, v[16:17], off
	s_add_u32 s50, s50, 1
	s_addc_u32 s51, s51, 0
	s_andn2_b64 s[48:49], s[48:49], exec
	v_lshl_add_u64 v[16:17], v[16:17], 0, 4
	v_lshl_add_u64 v[20:21], v[20:21], 0, 4
	s_waitcnt vmcnt(0)
	v_cmp_ne_u32_e32 vcc, v22, v23
	s_and_b64 s[54:55], vcc, exec
	s_or_b64 s[48:49], s[48:49], s[54:55]
.LBB1576_225:                           ;   in Loop: Header=BB1576_226 Depth=1
	s_and_b64 s[54:55], exec, s[48:49]
	s_or_b64 s[46:47], s[54:55], s[46:47]
	v_mov_b64_e32 v[22:23], s[50:51]
	s_andn2_b64 exec, exec, s[46:47]
	s_cbranch_execz .LBB1576_228
.LBB1576_226:                           ; =>This Inner Loop Header: Depth=1
	s_or_b64 s[48:49], s[48:49], exec
	s_cmp_eq_u64 s[44:45], s[50:51]
	s_cbranch_scc0 .LBB1576_224
; %bb.227:                              ;   in Loop: Header=BB1576_226 Depth=1
                                        ; implicit-def: $vgpr16_vgpr17
                                        ; implicit-def: $vgpr20_vgpr21
	s_mov_b64 s[50:51], s[26:27]
	s_branch .LBB1576_225
.LBB1576_228:
	s_or_b64 exec, exec, s[46:47]
	v_cmp_gt_i64_e32 vcc, s[26:27], v[22:23]
	s_orn2_b64 s[44:45], vcc, exec
.LBB1576_229:
	s_or_b64 exec, exec, s[42:43]
.LBB1576_230:
	v_cndmask_b32_e64 v17, 0, 1, s[40:41]
	v_cndmask_b32_e64 v16, 0, 1, s[38:39]
	;; [unrolled: 1-line block ×3, first 2 shown]
	v_lshlrev_b16_e32 v17, 8, v17
	v_cndmask_b32_e64 v25, 0, 1, s[12:13]
	v_cndmask_b32_e64 v20, 0, 1, s[44:45]
	v_or_b32_sdwa v16, v16, v17 dst_sel:WORD_1 dst_unused:UNUSED_PAD src0_sel:DWORD src1_sel:DWORD
	v_lshlrev_b16_e32 v17, 8, v34
	v_lshlrev_b16_e32 v20, 8, v20
	v_or_b32_e32 v17, v25, v17
	v_or_b32_e32 v20, 1, v20
	v_and_b32_e32 v17, 0xffff, v17
	v_cndmask_b32_e64 v35, 0, 1, s[10:11]
	v_or_b32_sdwa v16, v20, v16 dst_sel:DWORD dst_unused:UNUSED_PAD src0_sel:WORD_0 src1_sel:DWORD
	v_lshl_or_b32 v17, v35, 16, v17
	s_waitcnt lgkmcnt(0)
	s_barrier
	s_waitcnt lgkmcnt(0)
                                        ; implicit-def: $sgpr12_sgpr13
                                        ; implicit-def: $vgpr20
	s_and_saveexec_b64 s[10:11], s[2:3]
	s_xor_b64 s[10:11], exec, s[10:11]
	s_cbranch_execz .LBB1576_241
; %bb.231:
	s_mov_b32 s42, 0x3020104
	s_and_b64 vcc, exec, s[4:5]
	s_mov_b64 s[12:13], 0
	s_cbranch_vccnz .LBB1576_240
; %bb.232:
	v_add_u32_e32 v17, -8, v24
	ds_read_b64 v[20:21], v17
	v_lshl_add_u64 v[18:19], v[18:19], 2, s[28:29]
	s_mov_b64 s[12:13], -1
	s_waitcnt lgkmcnt(0)
	v_mul_lo_u32 v17, v21, s26
	v_mul_lo_u32 v22, v20, s27
	v_mad_u64_u32 v[20:21], s[4:5], v20, s26, 0
	v_add3_u32 v21, v21, v22, v17
	v_lshl_add_u64 v[20:21], v[20:21], 2, s[28:29]
	global_load_dword v17, v[20:21], off
	global_load_dword v22, v[18:19], off
	s_waitcnt vmcnt(0)
	v_cmp_eq_u32_e32 vcc, v17, v22
	s_and_saveexec_b64 s[4:5], vcc
	s_cbranch_execz .LBB1576_239
; %bb.233:
	s_add_u32 s12, s26, -1
	v_lshl_add_u64 v[18:19], v[18:19], 0, 4
	v_lshl_add_u64 v[20:21], v[20:21], 0, 4
	s_addc_u32 s13, s27, -1
	s_mov_b64 s[14:15], 0
	s_mov_b64 s[40:41], 0
                                        ; implicit-def: $sgpr38_sgpr39
	s_branch .LBB1576_236
.LBB1576_234:                           ;   in Loop: Header=BB1576_236 Depth=1
	global_load_dword v17, v[20:21], off
	global_load_dword v22, v[18:19], off
	s_add_u32 s40, s40, 1
	s_addc_u32 s41, s41, 0
	s_andn2_b64 s[38:39], s[38:39], exec
	v_lshl_add_u64 v[18:19], v[18:19], 0, 4
	v_lshl_add_u64 v[20:21], v[20:21], 0, 4
	s_waitcnt vmcnt(0)
	v_cmp_ne_u32_e32 vcc, v17, v22
	s_and_b64 s[44:45], vcc, exec
	s_or_b64 s[38:39], s[38:39], s[44:45]
.LBB1576_235:                           ;   in Loop: Header=BB1576_236 Depth=1
	s_and_b64 s[44:45], exec, s[38:39]
	s_or_b64 s[14:15], s[44:45], s[14:15]
	v_mov_b64_e32 v[22:23], s[40:41]
	s_andn2_b64 exec, exec, s[14:15]
	s_cbranch_execz .LBB1576_238
.LBB1576_236:                           ; =>This Inner Loop Header: Depth=1
	s_or_b64 s[38:39], s[38:39], exec
	s_cmp_eq_u64 s[12:13], s[40:41]
	s_cbranch_scc0 .LBB1576_234
; %bb.237:                              ;   in Loop: Header=BB1576_236 Depth=1
                                        ; implicit-def: $vgpr18_vgpr19
                                        ; implicit-def: $vgpr20_vgpr21
	s_mov_b64 s[40:41], s[26:27]
	s_branch .LBB1576_235
.LBB1576_238:
	s_or_b64 exec, exec, s[14:15]
	v_cmp_gt_i64_e32 vcc, s[26:27], v[22:23]
	s_orn2_b64 s[12:13], vcc, exec
.LBB1576_239:
	s_or_b64 exec, exec, s[4:5]
.LBB1576_240:
	v_perm_b32 v20, v16, v16, s42
	s_and_b64 s[12:13], s[12:13], exec
	s_or_b64 s[8:9], s[8:9], exec
                                        ; implicit-def: $vgpr16_vgpr17
.LBB1576_241:
	s_or_b64 exec, exec, s[10:11]
	s_branch .LBB1576_322
.LBB1576_242:
	v_cmp_gt_u32_e32 vcc, s52, v29
	s_mov_b64 s[10:11], 0
	s_mov_b64 s[4:5], 0
	s_and_saveexec_b64 s[12:13], vcc
	s_cbranch_execz .LBB1576_253
; %bb.243:
	s_andn2_b64 vcc, exec, s[6:7]
	s_mov_b64 s[14:15], 0
	s_cbranch_vccnz .LBB1576_252
; %bb.244:
	v_mul_lo_u32 v18, v5, s26
	v_mul_lo_u32 v19, v4, s27
	s_waitcnt vmcnt(0) lgkmcnt(1)
	v_mad_u64_u32 v[16:17], s[4:5], v4, s26, 0
	v_add3_u32 v17, v17, v19, v18
	v_mul_lo_u32 v18, v15, s26
	v_mul_lo_u32 v19, v14, s27
	v_mad_u64_u32 v[20:21], s[4:5], v14, s26, 0
	v_add3_u32 v21, v21, v19, v18
	v_lshl_add_u64 v[18:19], v[16:17], 2, s[28:29]
	v_lshl_add_u64 v[16:17], v[20:21], 2, s[28:29]
	global_load_dword v20, v[18:19], off
	global_load_dword v21, v[16:17], off
	s_mov_b64 s[14:15], -1
	s_waitcnt vmcnt(0)
	v_cmp_eq_u32_e32 vcc, v20, v21
	s_and_saveexec_b64 s[4:5], vcc
	s_cbranch_execz .LBB1576_251
; %bb.245:
	s_add_u32 s14, s26, -1
	v_lshl_add_u64 v[16:17], v[16:17], 0, 4
	v_lshl_add_u64 v[18:19], v[18:19], 0, 4
	s_addc_u32 s15, s27, -1
	s_mov_b64 s[38:39], 0
	s_mov_b64 s[42:43], 0
                                        ; implicit-def: $sgpr40_sgpr41
	s_branch .LBB1576_248
.LBB1576_246:                           ;   in Loop: Header=BB1576_248 Depth=1
	global_load_dword v20, v[18:19], off
	global_load_dword v21, v[16:17], off
	s_add_u32 s42, s42, 1
	s_addc_u32 s43, s43, 0
	s_andn2_b64 s[40:41], s[40:41], exec
	v_lshl_add_u64 v[16:17], v[16:17], 0, 4
	v_lshl_add_u64 v[18:19], v[18:19], 0, 4
	s_waitcnt vmcnt(0)
	v_cmp_ne_u32_e32 vcc, v20, v21
	s_and_b64 s[44:45], vcc, exec
	s_or_b64 s[40:41], s[40:41], s[44:45]
.LBB1576_247:                           ;   in Loop: Header=BB1576_248 Depth=1
	s_and_b64 s[44:45], exec, s[40:41]
	s_or_b64 s[38:39], s[44:45], s[38:39]
	v_mov_b64_e32 v[20:21], s[42:43]
	s_andn2_b64 exec, exec, s[38:39]
	s_cbranch_execz .LBB1576_250
.LBB1576_248:                           ; =>This Inner Loop Header: Depth=1
	s_or_b64 s[40:41], s[40:41], exec
	s_cmp_eq_u64 s[14:15], s[42:43]
	s_cbranch_scc0 .LBB1576_246
; %bb.249:                              ;   in Loop: Header=BB1576_248 Depth=1
                                        ; implicit-def: $vgpr16_vgpr17
                                        ; implicit-def: $vgpr18_vgpr19
	s_mov_b64 s[42:43], s[26:27]
	s_branch .LBB1576_247
.LBB1576_250:
	s_or_b64 exec, exec, s[38:39]
	v_cmp_gt_i64_e32 vcc, s[26:27], v[20:21]
	s_orn2_b64 s[14:15], vcc, exec
.LBB1576_251:
	s_or_b64 exec, exec, s[4:5]
.LBB1576_252:
	s_and_b64 s[4:5], s[14:15], exec
.LBB1576_253:
	s_or_b64 exec, exec, s[12:13]
	v_cmp_gt_u32_e32 vcc, s52, v31
	s_and_saveexec_b64 s[12:13], vcc
	s_cbranch_execz .LBB1576_264
; %bb.254:
	s_andn2_b64 vcc, exec, s[6:7]
	s_mov_b64 s[14:15], 0
	s_cbranch_vccnz .LBB1576_263
; %bb.255:
	v_mul_lo_u32 v18, v3, s26
	v_mul_lo_u32 v19, v2, s27
	s_waitcnt vmcnt(0) lgkmcnt(1)
	v_mad_u64_u32 v[16:17], s[10:11], v2, s26, 0
	v_add3_u32 v17, v17, v19, v18
	v_mul_lo_u32 v18, v5, s26
	v_mul_lo_u32 v19, v4, s27
	v_mad_u64_u32 v[20:21], s[10:11], v4, s26, 0
	v_add3_u32 v21, v21, v19, v18
	v_lshl_add_u64 v[18:19], v[16:17], 2, s[28:29]
	v_lshl_add_u64 v[16:17], v[20:21], 2, s[28:29]
	global_load_dword v20, v[18:19], off
	global_load_dword v21, v[16:17], off
	s_mov_b64 s[14:15], -1
	s_waitcnt vmcnt(0)
	v_cmp_eq_u32_e32 vcc, v20, v21
	s_and_saveexec_b64 s[10:11], vcc
	s_cbranch_execz .LBB1576_262
; %bb.256:
	s_add_u32 s14, s26, -1
	v_lshl_add_u64 v[16:17], v[16:17], 0, 4
	v_lshl_add_u64 v[18:19], v[18:19], 0, 4
	s_addc_u32 s15, s27, -1
	s_mov_b64 s[38:39], 0
	s_mov_b64 s[42:43], 0
                                        ; implicit-def: $sgpr40_sgpr41
	s_branch .LBB1576_259
.LBB1576_257:                           ;   in Loop: Header=BB1576_259 Depth=1
	global_load_dword v20, v[18:19], off
	global_load_dword v21, v[16:17], off
	s_add_u32 s42, s42, 1
	s_addc_u32 s43, s43, 0
	s_andn2_b64 s[40:41], s[40:41], exec
	v_lshl_add_u64 v[16:17], v[16:17], 0, 4
	v_lshl_add_u64 v[18:19], v[18:19], 0, 4
	s_waitcnt vmcnt(0)
	v_cmp_ne_u32_e32 vcc, v20, v21
	s_and_b64 s[44:45], vcc, exec
	s_or_b64 s[40:41], s[40:41], s[44:45]
.LBB1576_258:                           ;   in Loop: Header=BB1576_259 Depth=1
	s_and_b64 s[44:45], exec, s[40:41]
	s_or_b64 s[38:39], s[44:45], s[38:39]
	v_mov_b64_e32 v[20:21], s[42:43]
	s_andn2_b64 exec, exec, s[38:39]
	s_cbranch_execz .LBB1576_261
.LBB1576_259:                           ; =>This Inner Loop Header: Depth=1
	s_or_b64 s[40:41], s[40:41], exec
	s_cmp_eq_u64 s[14:15], s[42:43]
	s_cbranch_scc0 .LBB1576_257
; %bb.260:                              ;   in Loop: Header=BB1576_259 Depth=1
                                        ; implicit-def: $vgpr16_vgpr17
                                        ; implicit-def: $vgpr18_vgpr19
	s_mov_b64 s[42:43], s[26:27]
	s_branch .LBB1576_258
.LBB1576_261:
	s_or_b64 exec, exec, s[38:39]
	v_cmp_gt_i64_e32 vcc, s[26:27], v[20:21]
	s_orn2_b64 s[14:15], vcc, exec
.LBB1576_262:
	s_or_b64 exec, exec, s[10:11]
.LBB1576_263:
	s_and_b64 s[10:11], s[14:15], exec
.LBB1576_264:
	s_or_b64 exec, exec, s[12:13]
	v_cmp_gt_u32_e32 vcc, s52, v28
	s_mov_b64 s[14:15], 0
	s_mov_b64 s[12:13], 0
	s_and_saveexec_b64 s[38:39], vcc
	s_cbranch_execz .LBB1576_275
; %bb.265:
	s_andn2_b64 vcc, exec, s[6:7]
	s_mov_b64 s[40:41], 0
	s_cbranch_vccnz .LBB1576_274
; %bb.266:
	v_mul_lo_u32 v18, v9, s26
	v_mul_lo_u32 v19, v8, s27
	s_waitcnt vmcnt(0) lgkmcnt(1)
	v_mad_u64_u32 v[16:17], s[12:13], v8, s26, 0
	v_add3_u32 v17, v17, v19, v18
	v_mul_lo_u32 v18, v3, s26
	v_mul_lo_u32 v19, v2, s27
	v_mad_u64_u32 v[20:21], s[12:13], v2, s26, 0
	v_add3_u32 v21, v21, v19, v18
	v_lshl_add_u64 v[18:19], v[16:17], 2, s[28:29]
	v_lshl_add_u64 v[16:17], v[20:21], 2, s[28:29]
	global_load_dword v20, v[18:19], off
	global_load_dword v21, v[16:17], off
	s_mov_b64 s[40:41], -1
	s_waitcnt vmcnt(0)
	v_cmp_eq_u32_e32 vcc, v20, v21
	s_and_saveexec_b64 s[12:13], vcc
	s_cbranch_execz .LBB1576_273
; %bb.267:
	s_add_u32 s40, s26, -1
	v_lshl_add_u64 v[16:17], v[16:17], 0, 4
	v_lshl_add_u64 v[18:19], v[18:19], 0, 4
	s_addc_u32 s41, s27, -1
	s_mov_b64 s[42:43], 0
	s_mov_b64 s[46:47], 0
                                        ; implicit-def: $sgpr44_sgpr45
	s_branch .LBB1576_270
.LBB1576_268:                           ;   in Loop: Header=BB1576_270 Depth=1
	global_load_dword v20, v[18:19], off
	global_load_dword v21, v[16:17], off
	s_add_u32 s46, s46, 1
	s_addc_u32 s47, s47, 0
	s_andn2_b64 s[44:45], s[44:45], exec
	v_lshl_add_u64 v[16:17], v[16:17], 0, 4
	v_lshl_add_u64 v[18:19], v[18:19], 0, 4
	s_waitcnt vmcnt(0)
	v_cmp_ne_u32_e32 vcc, v20, v21
	s_and_b64 s[48:49], vcc, exec
	s_or_b64 s[44:45], s[44:45], s[48:49]
.LBB1576_269:                           ;   in Loop: Header=BB1576_270 Depth=1
	s_and_b64 s[48:49], exec, s[44:45]
	s_or_b64 s[42:43], s[48:49], s[42:43]
	v_mov_b64_e32 v[20:21], s[46:47]
	s_andn2_b64 exec, exec, s[42:43]
	s_cbranch_execz .LBB1576_272
.LBB1576_270:                           ; =>This Inner Loop Header: Depth=1
	s_or_b64 s[44:45], s[44:45], exec
	s_cmp_eq_u64 s[40:41], s[46:47]
	s_cbranch_scc0 .LBB1576_268
; %bb.271:                              ;   in Loop: Header=BB1576_270 Depth=1
                                        ; implicit-def: $vgpr16_vgpr17
                                        ; implicit-def: $vgpr18_vgpr19
	s_mov_b64 s[46:47], s[26:27]
	s_branch .LBB1576_269
.LBB1576_272:
	s_or_b64 exec, exec, s[42:43]
	v_cmp_gt_i64_e32 vcc, s[26:27], v[20:21]
	s_orn2_b64 s[40:41], vcc, exec
.LBB1576_273:
	s_or_b64 exec, exec, s[12:13]
.LBB1576_274:
	s_and_b64 s[12:13], s[40:41], exec
.LBB1576_275:
	s_or_b64 exec, exec, s[38:39]
	v_cmp_gt_u32_e32 vcc, s52, v30
	s_and_saveexec_b64 s[38:39], vcc
	s_cbranch_execz .LBB1576_286
; %bb.276:
	s_andn2_b64 vcc, exec, s[6:7]
	s_mov_b64 s[40:41], 0
	s_cbranch_vccnz .LBB1576_285
; %bb.277:
	v_mul_lo_u32 v18, v7, s26
	v_mul_lo_u32 v19, v6, s27
	s_waitcnt vmcnt(0) lgkmcnt(1)
	v_mad_u64_u32 v[16:17], s[14:15], v6, s26, 0
	v_add3_u32 v17, v17, v19, v18
	v_mul_lo_u32 v18, v9, s26
	v_mul_lo_u32 v19, v8, s27
	v_mad_u64_u32 v[20:21], s[14:15], v8, s26, 0
	v_add3_u32 v21, v21, v19, v18
	v_lshl_add_u64 v[18:19], v[16:17], 2, s[28:29]
	v_lshl_add_u64 v[16:17], v[20:21], 2, s[28:29]
	global_load_dword v20, v[18:19], off
	global_load_dword v21, v[16:17], off
	s_mov_b64 s[40:41], -1
	s_waitcnt vmcnt(0)
	v_cmp_eq_u32_e32 vcc, v20, v21
	s_and_saveexec_b64 s[14:15], vcc
	s_cbranch_execz .LBB1576_284
; %bb.278:
	s_add_u32 s40, s26, -1
	v_lshl_add_u64 v[16:17], v[16:17], 0, 4
	v_lshl_add_u64 v[18:19], v[18:19], 0, 4
	s_addc_u32 s41, s27, -1
	s_mov_b64 s[42:43], 0
	s_mov_b64 s[46:47], 0
                                        ; implicit-def: $sgpr44_sgpr45
	s_branch .LBB1576_281
.LBB1576_279:                           ;   in Loop: Header=BB1576_281 Depth=1
	global_load_dword v20, v[18:19], off
	global_load_dword v21, v[16:17], off
	s_add_u32 s46, s46, 1
	s_addc_u32 s47, s47, 0
	s_andn2_b64 s[44:45], s[44:45], exec
	v_lshl_add_u64 v[16:17], v[16:17], 0, 4
	v_lshl_add_u64 v[18:19], v[18:19], 0, 4
	s_waitcnt vmcnt(0)
	v_cmp_ne_u32_e32 vcc, v20, v21
	s_and_b64 s[48:49], vcc, exec
	s_or_b64 s[44:45], s[44:45], s[48:49]
.LBB1576_280:                           ;   in Loop: Header=BB1576_281 Depth=1
	s_and_b64 s[48:49], exec, s[44:45]
	s_or_b64 s[42:43], s[48:49], s[42:43]
	v_mov_b64_e32 v[20:21], s[46:47]
	s_andn2_b64 exec, exec, s[42:43]
	s_cbranch_execz .LBB1576_283
.LBB1576_281:                           ; =>This Inner Loop Header: Depth=1
	s_or_b64 s[44:45], s[44:45], exec
	s_cmp_eq_u64 s[40:41], s[46:47]
	s_cbranch_scc0 .LBB1576_279
; %bb.282:                              ;   in Loop: Header=BB1576_281 Depth=1
                                        ; implicit-def: $vgpr16_vgpr17
                                        ; implicit-def: $vgpr18_vgpr19
	s_mov_b64 s[46:47], s[26:27]
	s_branch .LBB1576_280
.LBB1576_283:
	s_or_b64 exec, exec, s[42:43]
	v_cmp_gt_i64_e32 vcc, s[26:27], v[20:21]
	s_orn2_b64 s[40:41], vcc, exec
.LBB1576_284:
	s_or_b64 exec, exec, s[14:15]
.LBB1576_285:
	s_and_b64 s[14:15], s[40:41], exec
.LBB1576_286:
	s_or_b64 exec, exec, s[38:39]
	v_cmp_gt_u32_e32 vcc, s52, v26
	s_mov_b64 s[38:39], 0
	s_mov_b64 s[40:41], 0
	s_and_saveexec_b64 s[42:43], vcc
	s_cbranch_execz .LBB1576_297
; %bb.287:
	s_andn2_b64 vcc, exec, s[6:7]
	s_mov_b64 s[44:45], 0
	s_cbranch_vccnz .LBB1576_296
; %bb.288:
	v_mul_lo_u32 v18, v13, s26
	v_mul_lo_u32 v19, v12, s27
	s_waitcnt vmcnt(0) lgkmcnt(1)
	v_mad_u64_u32 v[16:17], s[40:41], v12, s26, 0
	v_add3_u32 v17, v17, v19, v18
	v_mul_lo_u32 v18, v7, s26
	v_mul_lo_u32 v19, v6, s27
	v_mad_u64_u32 v[20:21], s[40:41], v6, s26, 0
	v_add3_u32 v21, v21, v19, v18
	v_lshl_add_u64 v[18:19], v[16:17], 2, s[28:29]
	v_lshl_add_u64 v[16:17], v[20:21], 2, s[28:29]
	global_load_dword v20, v[18:19], off
	global_load_dword v21, v[16:17], off
	s_mov_b64 s[44:45], -1
	s_waitcnt vmcnt(0)
	v_cmp_eq_u32_e32 vcc, v20, v21
	s_and_saveexec_b64 s[40:41], vcc
	s_cbranch_execz .LBB1576_295
; %bb.289:
	s_add_u32 s44, s26, -1
	v_lshl_add_u64 v[16:17], v[16:17], 0, 4
	v_lshl_add_u64 v[18:19], v[18:19], 0, 4
	s_addc_u32 s45, s27, -1
	s_mov_b64 s[46:47], 0
	s_mov_b64 s[50:51], 0
                                        ; implicit-def: $sgpr48_sgpr49
	s_branch .LBB1576_292
.LBB1576_290:                           ;   in Loop: Header=BB1576_292 Depth=1
	global_load_dword v20, v[18:19], off
	global_load_dword v21, v[16:17], off
	s_add_u32 s50, s50, 1
	s_addc_u32 s51, s51, 0
	s_andn2_b64 s[48:49], s[48:49], exec
	v_lshl_add_u64 v[16:17], v[16:17], 0, 4
	v_lshl_add_u64 v[18:19], v[18:19], 0, 4
	s_waitcnt vmcnt(0)
	v_cmp_ne_u32_e32 vcc, v20, v21
	s_and_b64 s[54:55], vcc, exec
	s_or_b64 s[48:49], s[48:49], s[54:55]
.LBB1576_291:                           ;   in Loop: Header=BB1576_292 Depth=1
	s_and_b64 s[54:55], exec, s[48:49]
	s_or_b64 s[46:47], s[54:55], s[46:47]
	v_mov_b64_e32 v[20:21], s[50:51]
	s_andn2_b64 exec, exec, s[46:47]
	s_cbranch_execz .LBB1576_294
.LBB1576_292:                           ; =>This Inner Loop Header: Depth=1
	s_or_b64 s[48:49], s[48:49], exec
	s_cmp_eq_u64 s[44:45], s[50:51]
	s_cbranch_scc0 .LBB1576_290
; %bb.293:                              ;   in Loop: Header=BB1576_292 Depth=1
                                        ; implicit-def: $vgpr16_vgpr17
                                        ; implicit-def: $vgpr18_vgpr19
	s_mov_b64 s[50:51], s[26:27]
	s_branch .LBB1576_291
.LBB1576_294:
	s_or_b64 exec, exec, s[46:47]
	v_cmp_gt_i64_e32 vcc, s[26:27], v[20:21]
	s_orn2_b64 s[44:45], vcc, exec
.LBB1576_295:
	s_or_b64 exec, exec, s[40:41]
.LBB1576_296:
	s_and_b64 s[40:41], s[44:45], exec
.LBB1576_297:
	s_or_b64 exec, exec, s[42:43]
	v_cmp_gt_u32_e32 vcc, s52, v27
	s_and_saveexec_b64 s[42:43], vcc
	s_cbranch_execz .LBB1576_308
; %bb.298:
	s_andn2_b64 vcc, exec, s[6:7]
	s_mov_b64 s[44:45], 0
	s_cbranch_vccnz .LBB1576_307
; %bb.299:
	v_mul_lo_u32 v18, v11, s26
	v_mul_lo_u32 v19, v10, s27
	s_waitcnt vmcnt(0) lgkmcnt(1)
	v_mad_u64_u32 v[16:17], s[38:39], v10, s26, 0
	v_add3_u32 v17, v17, v19, v18
	v_mul_lo_u32 v18, v13, s26
	v_mul_lo_u32 v19, v12, s27
	v_mad_u64_u32 v[20:21], s[38:39], v12, s26, 0
	v_add3_u32 v21, v21, v19, v18
	v_lshl_add_u64 v[18:19], v[16:17], 2, s[28:29]
	v_lshl_add_u64 v[16:17], v[20:21], 2, s[28:29]
	global_load_dword v20, v[18:19], off
	global_load_dword v21, v[16:17], off
	s_mov_b64 s[44:45], -1
	s_waitcnt vmcnt(0)
	v_cmp_eq_u32_e32 vcc, v20, v21
	s_and_saveexec_b64 s[38:39], vcc
	s_cbranch_execz .LBB1576_306
; %bb.300:
	s_add_u32 s44, s26, -1
	v_lshl_add_u64 v[16:17], v[16:17], 0, 4
	v_lshl_add_u64 v[18:19], v[18:19], 0, 4
	s_addc_u32 s45, s27, -1
	s_mov_b64 s[46:47], 0
	s_mov_b64 s[50:51], 0
                                        ; implicit-def: $sgpr48_sgpr49
	s_branch .LBB1576_303
.LBB1576_301:                           ;   in Loop: Header=BB1576_303 Depth=1
	global_load_dword v20, v[18:19], off
	global_load_dword v21, v[16:17], off
	s_add_u32 s50, s50, 1
	s_addc_u32 s51, s51, 0
	s_andn2_b64 s[48:49], s[48:49], exec
	v_lshl_add_u64 v[16:17], v[16:17], 0, 4
	v_lshl_add_u64 v[18:19], v[18:19], 0, 4
	s_waitcnt vmcnt(0)
	v_cmp_ne_u32_e32 vcc, v20, v21
	s_and_b64 s[54:55], vcc, exec
	s_or_b64 s[48:49], s[48:49], s[54:55]
.LBB1576_302:                           ;   in Loop: Header=BB1576_303 Depth=1
	s_and_b64 s[54:55], exec, s[48:49]
	s_or_b64 s[46:47], s[54:55], s[46:47]
	v_mov_b64_e32 v[20:21], s[50:51]
	s_andn2_b64 exec, exec, s[46:47]
	s_cbranch_execz .LBB1576_305
.LBB1576_303:                           ; =>This Inner Loop Header: Depth=1
	s_or_b64 s[48:49], s[48:49], exec
	s_cmp_eq_u64 s[44:45], s[50:51]
	s_cbranch_scc0 .LBB1576_301
; %bb.304:                              ;   in Loop: Header=BB1576_303 Depth=1
                                        ; implicit-def: $vgpr16_vgpr17
                                        ; implicit-def: $vgpr18_vgpr19
	s_mov_b64 s[50:51], s[26:27]
	s_branch .LBB1576_302
.LBB1576_305:
	s_or_b64 exec, exec, s[46:47]
	v_cmp_gt_i64_e32 vcc, s[26:27], v[20:21]
	s_orn2_b64 s[44:45], vcc, exec
.LBB1576_306:
	s_or_b64 exec, exec, s[38:39]
.LBB1576_307:
	s_and_b64 s[38:39], s[44:45], exec
.LBB1576_308:
	s_or_b64 exec, exec, s[42:43]
	s_waitcnt vmcnt(0) lgkmcnt(1)
	v_cndmask_b32_e64 v17, 0, 1, s[14:15]
	v_cndmask_b32_e64 v16, 0, 1, s[40:41]
	;; [unrolled: 1-line block ×3, first 2 shown]
	v_lshlrev_b16_e32 v17, 8, v17
	v_cndmask_b32_e64 v25, 0, 1, s[12:13]
	v_cndmask_b32_e64 v18, 0, 1, s[38:39]
	v_or_b32_sdwa v16, v16, v17 dst_sel:WORD_1 dst_unused:UNUSED_PAD src0_sel:DWORD src1_sel:DWORD
	v_lshlrev_b16_e32 v17, 8, v34
	v_lshlrev_b16_e32 v18, 8, v18
	v_or_b32_e32 v17, v25, v17
	v_or_b32_e32 v18, 1, v18
	v_and_b32_e32 v17, 0xffff, v17
	v_cndmask_b32_e64 v35, 0, 1, s[4:5]
	v_or_b32_sdwa v16, v18, v16 dst_sel:DWORD dst_unused:UNUSED_PAD src0_sel:WORD_0 src1_sel:DWORD
	v_lshl_or_b32 v17, v35, 16, v17
	s_waitcnt lgkmcnt(0)
	s_barrier
	s_waitcnt lgkmcnt(0)
                                        ; implicit-def: $sgpr12_sgpr13
                                        ; implicit-def: $vgpr20
	s_and_saveexec_b64 s[4:5], s[2:3]
	s_cbranch_execz .LBB1576_321
; %bb.309:
	v_cmp_gt_u32_e32 vcc, s52, v1
	s_mov_b32 s38, 0x3020104
	s_mov_b64 s[10:11], 0
	s_and_saveexec_b64 s[2:3], vcc
	s_cbranch_execz .LBB1576_320
; %bb.310:
	s_andn2_b64 vcc, exec, s[6:7]
	s_cbranch_vccnz .LBB1576_319
; %bb.311:
	v_add_u32_e32 v17, -8, v24
	ds_read_b64 v[18:19], v17
	v_mul_lo_u32 v17, v11, s26
	v_mad_u64_u32 v[22:23], s[6:7], v10, s26, 0
	s_mov_b64 s[10:11], -1
	s_waitcnt lgkmcnt(0)
	v_mul_lo_u32 v20, v19, s26
	v_mul_lo_u32 v21, v18, s27
	v_mad_u64_u32 v[18:19], s[6:7], v18, s26, 0
	v_add3_u32 v19, v19, v21, v20
	v_mul_lo_u32 v20, v10, s27
	v_add3_u32 v23, v23, v20, v17
	v_lshl_add_u64 v[20:21], v[18:19], 2, s[28:29]
	v_lshl_add_u64 v[18:19], v[22:23], 2, s[28:29]
	global_load_dword v17, v[20:21], off
	global_load_dword v22, v[18:19], off
	s_waitcnt vmcnt(0)
	v_cmp_eq_u32_e32 vcc, v17, v22
	s_and_saveexec_b64 s[6:7], vcc
	s_cbranch_execz .LBB1576_318
; %bb.312:
	s_add_u32 s10, s26, -1
	v_lshl_add_u64 v[18:19], v[18:19], 0, 4
	v_lshl_add_u64 v[20:21], v[20:21], 0, 4
	s_addc_u32 s11, s27, -1
	s_mov_b64 s[12:13], 0
	s_mov_b64 s[28:29], 0
                                        ; implicit-def: $sgpr14_sgpr15
	s_branch .LBB1576_315
.LBB1576_313:                           ;   in Loop: Header=BB1576_315 Depth=1
	global_load_dword v17, v[20:21], off
	global_load_dword v22, v[18:19], off
	s_add_u32 s28, s28, 1
	s_addc_u32 s29, s29, 0
	s_andn2_b64 s[14:15], s[14:15], exec
	v_lshl_add_u64 v[18:19], v[18:19], 0, 4
	v_lshl_add_u64 v[20:21], v[20:21], 0, 4
	s_waitcnt vmcnt(0)
	v_cmp_ne_u32_e32 vcc, v17, v22
	s_and_b64 s[40:41], vcc, exec
	s_or_b64 s[14:15], s[14:15], s[40:41]
.LBB1576_314:                           ;   in Loop: Header=BB1576_315 Depth=1
	s_and_b64 s[40:41], exec, s[14:15]
	s_or_b64 s[12:13], s[40:41], s[12:13]
	v_mov_b64_e32 v[22:23], s[28:29]
	s_andn2_b64 exec, exec, s[12:13]
	s_cbranch_execz .LBB1576_317
.LBB1576_315:                           ; =>This Inner Loop Header: Depth=1
	s_or_b64 s[14:15], s[14:15], exec
	s_cmp_eq_u64 s[10:11], s[28:29]
	s_cbranch_scc0 .LBB1576_313
; %bb.316:                              ;   in Loop: Header=BB1576_315 Depth=1
                                        ; implicit-def: $vgpr18_vgpr19
                                        ; implicit-def: $vgpr20_vgpr21
	s_mov_b64 s[28:29], s[26:27]
	s_branch .LBB1576_314
.LBB1576_317:
	s_or_b64 exec, exec, s[12:13]
	v_cmp_gt_i64_e32 vcc, s[26:27], v[22:23]
	s_orn2_b64 s[10:11], vcc, exec
.LBB1576_318:
	s_or_b64 exec, exec, s[6:7]
.LBB1576_319:
	s_and_b64 s[10:11], s[10:11], exec
.LBB1576_320:
	s_or_b64 exec, exec, s[2:3]
	v_perm_b32 v20, v16, v16, s38
	s_and_b64 s[12:13], s[10:11], exec
	s_or_b64 s[8:9], s[8:9], exec
                                        ; implicit-def: $vgpr16_vgpr17
.LBB1576_321:
	s_or_b64 exec, exec, s[4:5]
.LBB1576_322:
	s_and_saveexec_b64 s[2:3], s[8:9]
	s_cbranch_execz .LBB1576_324
; %bb.323:
	s_waitcnt vmcnt(0) lgkmcnt(0)
	v_lshlrev_b16_e32 v17, 8, v34
	v_and_b32_e32 v18, 0xff, v35
	v_or_b32_sdwa v17, v25, v17 dst_sel:DWORD dst_unused:UNUSED_PAD src0_sel:BYTE_0 src1_sel:DWORD
	v_lshlrev_b32_e32 v18, 16, v18
	s_movk_i32 s4, 0xff
	v_or_b32_sdwa v17, v17, v18 dst_sel:DWORD dst_unused:UNUSED_PAD src0_sel:WORD_0 src1_sel:DWORD
	v_lshrrev_b32_e32 v18, 24, v20
	v_lshlrev_b16_e32 v18, 8, v18
	v_and_b32_sdwa v19, v20, s4 dst_sel:DWORD dst_unused:UNUSED_PAD src0_sel:WORD_1 src1_sel:DWORD
	v_or_b32_sdwa v18, v19, v18 dst_sel:WORD_1 dst_unused:UNUSED_PAD src0_sel:DWORD src1_sel:DWORD
	v_mov_b32_e32 v19, 8
	v_cndmask_b32_e64 v16, 0, 1, s[12:13]
	v_lshrrev_b32_sdwa v19, v19, v20 dst_sel:BYTE_1 dst_unused:UNUSED_PAD src0_sel:DWORD src1_sel:DWORD
	s_nop 0
	v_or_b32_e32 v16, v16, v19
	v_or_b32_sdwa v16, v16, v18 dst_sel:DWORD dst_unused:UNUSED_PAD src0_sel:WORD_0 src1_sel:DWORD
.LBB1576_324:
	s_or_b64 exec, exec, s[2:3]
	s_andn2_b64 vcc, exec, s[0:1]
	s_cbranch_vccnz .LBB1576_326
; %bb.325:
	s_waitcnt vmcnt(0) lgkmcnt(0)
	v_and_b32_e32 v18, 0xffff0000, v16
	v_cmp_gt_u32_e32 vcc, s52, v1
	s_mov_b32 s0, 0x40c0100
	s_nop 0
	v_cndmask_b32_e32 v1, v18, v16, vcc
	v_and_b32_e32 v1, 0xffff00ff, v1
	v_cmp_gt_u32_e32 vcc, s52, v27
	s_nop 1
	v_cndmask_b32_e32 v1, v1, v16, vcc
	v_lshrrev_b32_e32 v18, 24, v1
	v_perm_b32 v1, v18, v1, s0
	v_cmp_gt_u32_e32 vcc, s52, v26
	v_and_b32_e32 v18, 0xffffff00, v17
	s_nop 0
	v_cndmask_b32_e32 v1, v1, v16, vcc
	v_and_b32_e32 v1, 0xffffff, v1
	v_cmp_gt_u32_e32 vcc, s52, v30
	s_nop 1
	v_cndmask_b32_e32 v1, v1, v16, vcc
	v_cmp_gt_u32_e32 vcc, s52, v28
	s_nop 1
	v_cndmask_b32_e32 v18, v18, v17, vcc
	v_and_b32_e32 v18, 0xffff00ff, v18
	v_cndmask_b32_e32 v1, v1, v16, vcc
	v_cmp_gt_u32_e32 vcc, s52, v31
	s_nop 1
	v_cndmask_b32_e32 v18, v18, v17, vcc
	v_lshrrev_b32_e32 v19, 24, v18
	v_cndmask_b32_e32 v1, v1, v16, vcc
	v_perm_b32 v18, v19, v18, s0
	v_cmp_gt_u32_e32 vcc, s52, v29
	s_mov_b32 s0, 0x3020104
	s_nop 0
	v_cndmask_b32_e32 v1, v1, v16, vcc
	v_cndmask_b32_e32 v16, v18, v17, vcc
	v_mov_b32_e32 v17, 8
	v_lshrrev_b32_sdwa v17, v17, v16 dst_sel:BYTE_1 dst_unused:UNUSED_PAD src0_sel:DWORD src1_sel:DWORD
	s_nop 0
	v_or_b32_sdwa v17, v16, v17 dst_sel:DWORD dst_unused:UNUSED_PAD src0_sel:BYTE_0 src1_sel:DWORD
	v_and_b32_e32 v17, 0xffff, v17
	v_bfe_u32 v16, v16, 16, 8
	v_lshl_or_b32 v17, v16, 16, v17
	v_perm_b32 v16, v1, v1, s0
.LBB1576_326:
	s_waitcnt vmcnt(0) lgkmcnt(0)
	v_and_b32_e32 v1, 0xff, v16
	v_bfe_u32 v29, v16, 8, 8
	v_bfe_u32 v31, v16, 16, 8
	v_alignbit_b32 v18, v17, v16, 24
	v_and_b32_e32 v33, 0xff, v18
	v_and_b32_e32 v35, 0xff, v17
	v_add3_u32 v19, v29, v1, v31
	v_bfe_u32 v36, v17, 8, 8
	v_bfe_u32 v18, v17, 16, 8
	v_add3_u32 v19, v19, v33, v35
	v_add3_u32 v39, v19, v36, v18
	v_mbcnt_lo_u32_b32 v18, -1, 0
	v_mbcnt_hi_u32_b32 v37, -1, v18
	v_and_b32_e32 v18, 15, v37
	v_cmp_eq_u32_e64 s[14:15], 0, v18
	v_cmp_lt_u32_e64 s[12:13], 1, v18
	v_cmp_lt_u32_e64 s[10:11], 3, v18
	;; [unrolled: 1-line block ×3, first 2 shown]
	v_and_b32_e32 v18, 16, v37
	v_cmp_eq_u32_e64 s[6:7], 0, v18
	v_or_b32_e32 v18, 63, v0
	v_cmp_lt_u32_e64 s[2:3], 31, v37
	v_lshrrev_b32_e32 v38, 6, v0
	v_cmp_eq_u32_e64 s[4:5], v18, v0
	s_and_b64 vcc, exec, s[16:17]
	s_barrier
	s_cbranch_vccz .LBB1576_353
; %bb.327:
	v_mov_b32_dpp v18, v39 row_shr:1 row_mask:0xf bank_mask:0xf
	v_cndmask_b32_e64 v18, v18, 0, s[14:15]
	v_add_u32_e32 v18, v18, v39
	s_nop 1
	v_mov_b32_dpp v19, v18 row_shr:2 row_mask:0xf bank_mask:0xf
	v_cndmask_b32_e64 v19, 0, v19, s[12:13]
	v_add_u32_e32 v18, v18, v19
	s_nop 1
	;; [unrolled: 4-line block ×4, first 2 shown]
	v_mov_b32_dpp v19, v18 row_bcast:15 row_mask:0xf bank_mask:0xf
	v_cndmask_b32_e64 v19, v19, 0, s[6:7]
	v_add_u32_e32 v18, v18, v19
	s_nop 1
	v_mov_b32_dpp v19, v18 row_bcast:31 row_mask:0xf bank_mask:0xf
	v_cndmask_b32_e64 v19, 0, v19, s[2:3]
	v_add_u32_e32 v18, v18, v19
	s_and_saveexec_b64 s[0:1], s[4:5]
	s_cbranch_execz .LBB1576_329
; %bb.328:
	v_lshlrev_b32_e32 v19, 2, v38
	ds_write_b32 v19, v18
.LBB1576_329:
	s_or_b64 exec, exec, s[0:1]
	v_cmp_gt_u32_e32 vcc, 8, v0
	s_waitcnt lgkmcnt(0)
	s_barrier
	s_and_saveexec_b64 s[0:1], vcc
	s_cbranch_execz .LBB1576_331
; %bb.330:
	v_lshlrev_b32_e32 v19, 2, v0
	ds_read_b32 v20, v19
	v_and_b32_e32 v21, 7, v37
	v_cmp_ne_u32_e32 vcc, 0, v21
	s_waitcnt lgkmcnt(0)
	v_mov_b32_dpp v22, v20 row_shr:1 row_mask:0xf bank_mask:0xf
	v_cndmask_b32_e32 v22, 0, v22, vcc
	v_add_u32_e32 v20, v22, v20
	v_cmp_lt_u32_e32 vcc, 1, v21
	s_nop 0
	v_mov_b32_dpp v22, v20 row_shr:2 row_mask:0xf bank_mask:0xf
	v_cndmask_b32_e32 v22, 0, v22, vcc
	v_add_u32_e32 v20, v20, v22
	v_cmp_lt_u32_e32 vcc, 3, v21
	s_nop 0
	v_mov_b32_dpp v22, v20 row_shr:4 row_mask:0xf bank_mask:0xf
	v_cndmask_b32_e32 v21, 0, v22, vcc
	v_add_u32_e32 v20, v20, v21
	ds_write_b32 v19, v20
.LBB1576_331:
	s_or_b64 exec, exec, s[0:1]
	v_cmp_gt_u32_e32 vcc, 64, v0
	v_cmp_lt_u32_e64 s[0:1], 63, v0
	s_waitcnt lgkmcnt(0)
	s_barrier
	s_waitcnt lgkmcnt(0)
                                        ; implicit-def: $vgpr28
	s_and_saveexec_b64 s[16:17], s[0:1]
	s_cbranch_execz .LBB1576_333
; %bb.332:
	v_lshl_add_u32 v19, v38, 2, -4
	ds_read_b32 v28, v19
	s_waitcnt lgkmcnt(0)
	v_add_u32_e32 v18, v28, v18
.LBB1576_333:
	s_or_b64 exec, exec, s[16:17]
	v_add_u32_e32 v19, -1, v37
	v_and_b32_e32 v20, 64, v37
	v_cmp_lt_i32_e64 s[0:1], v19, v20
	v_cmp_eq_u32_e64 s[16:17], 0, v37
	s_nop 0
	v_cndmask_b32_e64 v19, v19, v37, s[0:1]
	v_lshlrev_b32_e32 v19, 2, v19
	ds_bpermute_b32 v30, v19, v18
	s_and_saveexec_b64 s[0:1], vcc
	s_cbranch_execz .LBB1576_352
; %bb.334:
	v_mov_b32_e32 v25, 0
	ds_read_b32 v18, v25 offset:28
	s_and_saveexec_b64 s[26:27], s[16:17]
	s_cbranch_execz .LBB1576_336
; %bb.335:
	s_add_i32 s28, s33, 64
	s_mov_b32 s29, 0
	s_lshl_b64 s[28:29], s[28:29], 3
	s_add_u32 s28, s30, s28
	v_mov_b32_e32 v19, 1
	s_addc_u32 s29, s31, s29
	s_waitcnt lgkmcnt(0)
	global_store_dwordx2 v25, v[18:19], s[28:29] sc1
.LBB1576_336:
	s_or_b64 exec, exec, s[26:27]
	v_xad_u32 v20, v37, -1, s33
	v_add_u32_e32 v24, 64, v20
	v_lshl_add_u64 v[26:27], v[24:25], 3, s[30:31]
	global_load_dwordx2 v[22:23], v[26:27], off sc1
	s_waitcnt vmcnt(0)
	v_cmp_eq_u16_sdwa s[28:29], v23, v25 src0_sel:BYTE_0 src1_sel:DWORD
	s_and_saveexec_b64 s[26:27], s[28:29]
	s_cbranch_execz .LBB1576_340
; %bb.337:
	s_mov_b64 s[28:29], 0
	v_mov_b32_e32 v19, 0
.LBB1576_338:                           ; =>This Inner Loop Header: Depth=1
	global_load_dwordx2 v[22:23], v[26:27], off sc1
	s_waitcnt vmcnt(0)
	v_cmp_ne_u16_sdwa s[38:39], v23, v19 src0_sel:BYTE_0 src1_sel:DWORD
	s_or_b64 s[28:29], s[38:39], s[28:29]
	s_andn2_b64 exec, exec, s[28:29]
	s_cbranch_execnz .LBB1576_338
; %bb.339:
	s_or_b64 exec, exec, s[28:29]
.LBB1576_340:
	s_or_b64 exec, exec, s[26:27]
	v_and_b32_e32 v32, 63, v37
	v_mov_b32_e32 v19, 2
	v_cmp_ne_u32_e32 vcc, 63, v32
	v_cmp_eq_u16_sdwa s[26:27], v23, v19 src0_sel:BYTE_0 src1_sel:DWORD
	v_lshlrev_b64 v[24:25], v37, -1
	v_addc_co_u32_e32 v27, vcc, 0, v37, vcc
	v_and_b32_e32 v21, s27, v25
	v_lshlrev_b32_e32 v34, 2, v27
	v_or_b32_e32 v21, 0x80000000, v21
	ds_bpermute_b32 v27, v34, v22
	v_and_b32_e32 v26, s26, v24
	v_ffbl_b32_e32 v21, v21
	v_add_u32_e32 v21, 32, v21
	v_ffbl_b32_e32 v26, v26
	v_min_u32_e32 v21, v26, v21
	v_cmp_lt_u32_e32 vcc, v32, v21
	v_add_u32_e32 v41, 2, v32
	v_add_u32_e32 v43, 4, v32
	s_waitcnt lgkmcnt(0)
	v_cndmask_b32_e32 v26, 0, v27, vcc
	v_cmp_gt_u32_e32 vcc, 62, v32
	v_add_u32_e32 v22, v26, v22
	v_add_u32_e32 v45, 8, v32
	v_cndmask_b32_e64 v26, 0, 1, vcc
	v_lshlrev_b32_e32 v26, 1, v26
	v_add_lshl_u32 v40, v26, v37, 2
	ds_bpermute_b32 v26, v40, v22
	v_cmp_le_u32_e32 vcc, v41, v21
	v_add_u32_e32 v48, 16, v32
	v_add_u32_e32 v50, 32, v32
	s_waitcnt lgkmcnt(0)
	v_cndmask_b32_e32 v26, 0, v26, vcc
	v_cmp_gt_u32_e32 vcc, 60, v32
	v_add_u32_e32 v22, v22, v26
	s_nop 0
	v_cndmask_b32_e64 v26, 0, 1, vcc
	v_lshlrev_b32_e32 v26, 2, v26
	v_add_lshl_u32 v42, v26, v37, 2
	ds_bpermute_b32 v26, v42, v22
	v_cmp_le_u32_e32 vcc, v43, v21
	s_waitcnt lgkmcnt(0)
	s_nop 0
	v_cndmask_b32_e32 v26, 0, v26, vcc
	v_cmp_gt_u32_e32 vcc, 56, v32
	v_add_u32_e32 v22, v22, v26
	s_nop 0
	v_cndmask_b32_e64 v26, 0, 1, vcc
	v_lshlrev_b32_e32 v26, 3, v26
	v_add_lshl_u32 v44, v26, v37, 2
	ds_bpermute_b32 v26, v44, v22
	v_cmp_le_u32_e32 vcc, v45, v21
	s_waitcnt lgkmcnt(0)
	s_nop 0
	;; [unrolled: 11-line block ×4, first 2 shown]
	v_cndmask_b32_e32 v21, 0, v26, vcc
	v_add_u32_e32 v22, v22, v21
	v_mov_b32_e32 v21, 0
	s_branch .LBB1576_342
.LBB1576_341:                           ;   in Loop: Header=BB1576_342 Depth=1
	s_or_b64 exec, exec, s[26:27]
	v_cmp_eq_u16_sdwa s[26:27], v23, v19 src0_sel:BYTE_0 src1_sel:DWORD
	ds_bpermute_b32 v51, v34, v22
	v_subrev_u32_e32 v20, 64, v20
	v_and_b32_e32 v26, s27, v25
	v_or_b32_e32 v26, 0x80000000, v26
	v_and_b32_e32 v27, s26, v24
	v_ffbl_b32_e32 v26, v26
	v_add_u32_e32 v26, 32, v26
	v_ffbl_b32_e32 v27, v27
	v_min_u32_e32 v26, v27, v26
	v_cmp_lt_u32_e32 vcc, v32, v26
	s_waitcnt lgkmcnt(0)
	s_nop 0
	v_cndmask_b32_e32 v27, 0, v51, vcc
	v_add_u32_e32 v22, v27, v22
	ds_bpermute_b32 v27, v40, v22
	v_cmp_le_u32_e32 vcc, v41, v26
	s_waitcnt lgkmcnt(0)
	s_nop 0
	v_cndmask_b32_e32 v27, 0, v27, vcc
	v_add_u32_e32 v22, v22, v27
	ds_bpermute_b32 v27, v42, v22
	v_cmp_le_u32_e32 vcc, v43, v26
	s_waitcnt lgkmcnt(0)
	s_nop 0
	v_cndmask_b32_e32 v27, 0, v27, vcc
	v_add_u32_e32 v22, v22, v27
	ds_bpermute_b32 v27, v44, v22
	v_cmp_le_u32_e32 vcc, v45, v26
	s_waitcnt lgkmcnt(0)
	s_nop 0
	v_cndmask_b32_e32 v27, 0, v27, vcc
	v_add_u32_e32 v22, v22, v27
	ds_bpermute_b32 v27, v47, v22
	v_cmp_le_u32_e32 vcc, v48, v26
	s_waitcnt lgkmcnt(0)
	s_nop 0
	v_cndmask_b32_e32 v27, 0, v27, vcc
	v_add_u32_e32 v22, v22, v27
	ds_bpermute_b32 v27, v49, v22
	v_cmp_le_u32_e32 vcc, v50, v26
	s_waitcnt lgkmcnt(0)
	s_nop 0
	v_cndmask_b32_e32 v26, 0, v27, vcc
	v_add3_u32 v22, v26, v46, v22
.LBB1576_342:                           ; =>This Loop Header: Depth=1
                                        ;     Child Loop BB1576_345 Depth 2
	v_cmp_ne_u16_sdwa s[26:27], v23, v19 src0_sel:BYTE_0 src1_sel:DWORD
	v_mov_b32_e32 v46, v22
	s_nop 0
	v_cndmask_b32_e64 v23, 0, 1, s[26:27]
	;;#ASMSTART
	;;#ASMEND
	s_nop 0
	v_cmp_ne_u32_e32 vcc, 0, v23
	s_cmp_lg_u64 vcc, exec
	s_cbranch_scc1 .LBB1576_347
; %bb.343:                              ;   in Loop: Header=BB1576_342 Depth=1
	v_lshl_add_u64 v[26:27], v[20:21], 3, s[30:31]
	global_load_dwordx2 v[22:23], v[26:27], off sc1
	s_waitcnt vmcnt(0)
	v_cmp_eq_u16_sdwa s[28:29], v23, v21 src0_sel:BYTE_0 src1_sel:DWORD
	s_and_saveexec_b64 s[26:27], s[28:29]
	s_cbranch_execz .LBB1576_341
; %bb.344:                              ;   in Loop: Header=BB1576_342 Depth=1
	s_mov_b64 s[28:29], 0
.LBB1576_345:                           ;   Parent Loop BB1576_342 Depth=1
                                        ; =>  This Inner Loop Header: Depth=2
	global_load_dwordx2 v[22:23], v[26:27], off sc1
	s_waitcnt vmcnt(0)
	v_cmp_ne_u16_sdwa s[38:39], v23, v21 src0_sel:BYTE_0 src1_sel:DWORD
	s_or_b64 s[28:29], s[38:39], s[28:29]
	s_andn2_b64 exec, exec, s[28:29]
	s_cbranch_execnz .LBB1576_345
; %bb.346:                              ;   in Loop: Header=BB1576_342 Depth=1
	s_or_b64 exec, exec, s[28:29]
	s_branch .LBB1576_341
.LBB1576_347:                           ;   in Loop: Header=BB1576_342 Depth=1
                                        ; implicit-def: $vgpr22
                                        ; implicit-def: $vgpr23
	s_cbranch_execz .LBB1576_342
; %bb.348:
	s_and_saveexec_b64 s[26:27], s[16:17]
	s_cbranch_execz .LBB1576_350
; %bb.349:
	s_add_i32 s28, s33, 64
	s_mov_b32 s29, 0
	s_lshl_b64 s[28:29], s[28:29], 3
	s_add_u32 s28, s30, s28
	v_add_u32_e32 v20, v46, v18
	v_mov_b32_e32 v21, 2
	s_addc_u32 s29, s31, s29
	v_mov_b32_e32 v19, 0
	global_store_dwordx2 v19, v[20:21], s[28:29] sc1
	s_movk_i32 s28, 0x7000
	v_add_u32_e64 v19, s28, 0
	ds_write2_b32 v19, v18, v46 offset1:2
.LBB1576_350:
	s_or_b64 exec, exec, s[26:27]
	s_and_b64 exec, exec, s[18:19]
	s_cbranch_execz .LBB1576_352
; %bb.351:
	v_mov_b32_e32 v18, 0
	ds_write_b32 v18, v46 offset:28
.LBB1576_352:
	s_or_b64 exec, exec, s[0:1]
	v_mov_b32_e32 v18, 0
	s_waitcnt lgkmcnt(0)
	s_barrier
	ds_read_b32 v18, v18 offset:28
	v_cndmask_b32_e64 v19, v30, v28, s[16:17]
	v_cndmask_b32_e64 v19, v19, 0, s[18:19]
	s_movk_i32 s0, 0x7000
	s_waitcnt lgkmcnt(0)
	v_add_u32_e32 v34, v18, v19
	v_add_u32_e32 v32, v34, v1
	v_add_u32_e64 v18, s0, 0
	v_add_u32_e32 v30, v32, v29
	s_barrier
	ds_read2_b32 v[18:19], v18 offset1:2
	v_add_u32_e32 v28, v30, v31
	v_add_u32_e32 v26, v28, v33
	;; [unrolled: 1-line block ×4, first 2 shown]
	v_lshrrev_b64 v[20:21], 24, v[16:17]
	s_branch .LBB1576_363
.LBB1576_353:
                                        ; implicit-def: $vgpr22
                                        ; implicit-def: $vgpr24
                                        ; implicit-def: $vgpr26
                                        ; implicit-def: $vgpr28
                                        ; implicit-def: $vgpr30
                                        ; implicit-def: $vgpr32
                                        ; implicit-def: $vgpr34
                                        ; implicit-def: $vgpr19
	v_lshrrev_b64 v[20:21], 24, v[16:17]
	s_cbranch_execz .LBB1576_363
; %bb.354:
	s_waitcnt lgkmcnt(0)
	v_mov_b32_dpp v18, v39 row_shr:1 row_mask:0xf bank_mask:0xf
	v_cndmask_b32_e64 v18, v18, 0, s[14:15]
	v_add_u32_e32 v18, v18, v39
	s_nop 1
	v_mov_b32_dpp v19, v18 row_shr:2 row_mask:0xf bank_mask:0xf
	v_cndmask_b32_e64 v19, 0, v19, s[12:13]
	v_add_u32_e32 v18, v18, v19
	s_nop 1
	v_mov_b32_dpp v19, v18 row_shr:4 row_mask:0xf bank_mask:0xf
	v_cndmask_b32_e64 v19, 0, v19, s[10:11]
	v_add_u32_e32 v18, v18, v19
	s_nop 1
	v_mov_b32_dpp v19, v18 row_shr:8 row_mask:0xf bank_mask:0xf
	v_cndmask_b32_e64 v19, 0, v19, s[8:9]
	v_add_u32_e32 v18, v18, v19
	s_nop 1
	v_mov_b32_dpp v19, v18 row_bcast:15 row_mask:0xf bank_mask:0xf
	v_cndmask_b32_e64 v19, v19, 0, s[6:7]
	v_add_u32_e32 v18, v18, v19
	s_nop 1
	v_mov_b32_dpp v19, v18 row_bcast:31 row_mask:0xf bank_mask:0xf
	v_cndmask_b32_e64 v19, 0, v19, s[2:3]
	v_add_u32_e32 v18, v18, v19
	s_and_saveexec_b64 s[0:1], s[4:5]
	s_cbranch_execz .LBB1576_356
; %bb.355:
	v_lshlrev_b32_e32 v19, 2, v38
	ds_write_b32 v19, v18
.LBB1576_356:
	s_or_b64 exec, exec, s[0:1]
	v_cmp_gt_u32_e32 vcc, 8, v0
	s_waitcnt lgkmcnt(0)
	s_barrier
	s_and_saveexec_b64 s[0:1], vcc
	s_cbranch_execz .LBB1576_358
; %bb.357:
	v_lshlrev_b32_e32 v19, 2, v0
	ds_read_b32 v21, v19
	v_and_b32_e32 v22, 7, v37
	v_cmp_ne_u32_e32 vcc, 0, v22
	s_waitcnt lgkmcnt(0)
	v_mov_b32_dpp v23, v21 row_shr:1 row_mask:0xf bank_mask:0xf
	v_cndmask_b32_e32 v23, 0, v23, vcc
	v_add_u32_e32 v21, v23, v21
	v_cmp_lt_u32_e32 vcc, 1, v22
	s_nop 0
	v_mov_b32_dpp v23, v21 row_shr:2 row_mask:0xf bank_mask:0xf
	v_cndmask_b32_e32 v23, 0, v23, vcc
	v_add_u32_e32 v21, v21, v23
	v_cmp_lt_u32_e32 vcc, 3, v22
	s_nop 0
	v_mov_b32_dpp v23, v21 row_shr:4 row_mask:0xf bank_mask:0xf
	v_cndmask_b32_e32 v22, 0, v23, vcc
	v_add_u32_e32 v21, v21, v22
	ds_write_b32 v19, v21
.LBB1576_358:
	s_or_b64 exec, exec, s[0:1]
	v_cmp_lt_u32_e32 vcc, 63, v0
	v_mov_b32_e32 v19, 0
	v_mov_b32_e32 v21, 0
	s_waitcnt lgkmcnt(0)
	s_barrier
	s_and_saveexec_b64 s[0:1], vcc
	s_cbranch_execz .LBB1576_360
; %bb.359:
	v_lshl_add_u32 v21, v38, 2, -4
	ds_read_b32 v21, v21
.LBB1576_360:
	s_or_b64 exec, exec, s[0:1]
	v_add_u32_e32 v22, -1, v37
	v_and_b32_e32 v23, 64, v37
	v_cmp_lt_i32_e32 vcc, v22, v23
	s_waitcnt lgkmcnt(0)
	v_add_u32_e32 v18, v21, v18
	v_cndmask_b32_e32 v22, v22, v37, vcc
	v_lshlrev_b32_e32 v22, 2, v22
	ds_bpermute_b32 v22, v22, v18
	ds_read_b32 v18, v19 offset:28
	s_and_saveexec_b64 s[0:1], s[18:19]
	s_cbranch_execz .LBB1576_362
; %bb.361:
	v_mov_b32_e32 v23, 0
	v_mov_b32_e32 v19, 2
	s_waitcnt lgkmcnt(0)
	global_store_dwordx2 v23, v[18:19], s[30:31] offset:512 sc1
.LBB1576_362:
	s_or_b64 exec, exec, s[0:1]
	v_cmp_eq_u32_e32 vcc, 0, v37
	v_mov_b32_e32 v19, 0
	s_waitcnt lgkmcnt(0)
	v_cndmask_b32_e32 v21, v22, v21, vcc
	v_cndmask_b32_e64 v34, v21, 0, s[18:19]
	v_add_u32_e32 v32, v34, v1
	v_add_u32_e32 v30, v32, v29
	;; [unrolled: 1-line block ×6, first 2 shown]
	s_barrier
.LBB1576_363:
	s_movk_i32 s0, 0x201
	s_waitcnt lgkmcnt(0)
	v_cmp_gt_u32_e32 vcc, s0, v18
	v_lshrrev_b32_e32 v21, 8, v16
	v_lshrrev_b32_e32 v1, 8, v17
	s_mov_b64 s[0:1], -1
	s_cbranch_vccnz .LBB1576_367
; %bb.364:
	s_and_b64 vcc, exec, s[0:1]
	s_cbranch_vccnz .LBB1576_389
.LBB1576_365:
	s_and_b64 s[0:1], s[18:19], s[24:25]
	s_and_saveexec_b64 s[2:3], s[0:1]
	s_cbranch_execnz .LBB1576_407
.LBB1576_366:
	s_endpgm
.LBB1576_367:
	v_add_u32_e32 v23, v19, v18
	v_cmp_lt_u32_e32 vcc, v34, v23
	s_or_b64 s[2:3], s[36:37], vcc
	s_and_saveexec_b64 s[0:1], s[2:3]
	s_cbranch_execz .LBB1576_370
; %bb.368:
	v_and_b32_e32 v25, 1, v16
	v_cmp_eq_u32_e32 vcc, 1, v25
	s_and_b64 exec, exec, vcc
	s_cbranch_execz .LBB1576_370
; %bb.369:
	s_lshl_b64 s[2:3], s[22:23], 3
	s_add_u32 s2, s34, s2
	s_addc_u32 s3, s35, s3
	v_mov_b32_e32 v35, 0
	v_lshl_add_u64 v[36:37], v[34:35], 3, s[2:3]
	global_store_dwordx2 v[36:37], v[10:11], off
.LBB1576_370:
	s_or_b64 exec, exec, s[0:1]
	v_cmp_lt_u32_e32 vcc, v32, v23
	s_or_b64 s[2:3], s[36:37], vcc
	s_and_saveexec_b64 s[0:1], s[2:3]
	s_cbranch_execz .LBB1576_373
; %bb.371:
	v_and_b32_e32 v25, 1, v21
	v_cmp_eq_u32_e32 vcc, 1, v25
	s_and_b64 exec, exec, vcc
	s_cbranch_execz .LBB1576_373
; %bb.372:
	s_lshl_b64 s[2:3], s[22:23], 3
	s_add_u32 s2, s34, s2
	s_addc_u32 s3, s35, s3
	v_mov_b32_e32 v33, 0
	v_lshl_add_u64 v[36:37], v[32:33], 3, s[2:3]
	global_store_dwordx2 v[36:37], v[12:13], off
.LBB1576_373:
	s_or_b64 exec, exec, s[0:1]
	v_cmp_lt_u32_e32 vcc, v30, v23
	s_or_b64 s[2:3], s[36:37], vcc
	s_and_saveexec_b64 s[0:1], s[2:3]
	s_cbranch_execz .LBB1576_376
; %bb.374:
	v_mov_b32_e32 v25, 1
	v_and_b32_sdwa v25, v25, v16 dst_sel:DWORD dst_unused:UNUSED_PAD src0_sel:DWORD src1_sel:WORD_1
	v_cmp_eq_u32_e32 vcc, 1, v25
	s_and_b64 exec, exec, vcc
	s_cbranch_execz .LBB1576_376
; %bb.375:
	s_lshl_b64 s[2:3], s[22:23], 3
	s_add_u32 s2, s34, s2
	s_addc_u32 s3, s35, s3
	v_mov_b32_e32 v31, 0
	v_lshl_add_u64 v[36:37], v[30:31], 3, s[2:3]
	global_store_dwordx2 v[36:37], v[6:7], off
.LBB1576_376:
	s_or_b64 exec, exec, s[0:1]
	v_cmp_lt_u32_e32 vcc, v28, v23
	s_or_b64 s[2:3], s[36:37], vcc
	s_and_saveexec_b64 s[0:1], s[2:3]
	s_cbranch_execz .LBB1576_379
; %bb.377:
	v_and_b32_e32 v25, 1, v20
	v_cmp_eq_u32_e32 vcc, 1, v25
	s_and_b64 exec, exec, vcc
	s_cbranch_execz .LBB1576_379
; %bb.378:
	s_lshl_b64 s[2:3], s[22:23], 3
	s_add_u32 s2, s34, s2
	s_addc_u32 s3, s35, s3
	v_mov_b32_e32 v29, 0
	v_lshl_add_u64 v[36:37], v[28:29], 3, s[2:3]
	global_store_dwordx2 v[36:37], v[8:9], off
.LBB1576_379:
	s_or_b64 exec, exec, s[0:1]
	v_cmp_lt_u32_e32 vcc, v26, v23
	s_or_b64 s[2:3], s[36:37], vcc
	s_and_saveexec_b64 s[0:1], s[2:3]
	s_cbranch_execz .LBB1576_382
; %bb.380:
	v_and_b32_e32 v25, 1, v17
	v_cmp_eq_u32_e32 vcc, 1, v25
	s_and_b64 exec, exec, vcc
	s_cbranch_execz .LBB1576_382
; %bb.381:
	s_lshl_b64 s[2:3], s[22:23], 3
	s_add_u32 s2, s34, s2
	s_addc_u32 s3, s35, s3
	v_mov_b32_e32 v27, 0
	v_lshl_add_u64 v[36:37], v[26:27], 3, s[2:3]
	global_store_dwordx2 v[36:37], v[2:3], off
.LBB1576_382:
	;; [unrolled: 18-line block ×3, first 2 shown]
	s_or_b64 exec, exec, s[0:1]
	v_cmp_lt_u32_e32 vcc, v22, v23
	s_or_b64 s[2:3], s[36:37], vcc
	s_and_saveexec_b64 s[0:1], s[2:3]
	s_cbranch_execz .LBB1576_388
; %bb.386:
	v_mov_b32_e32 v23, 1
	v_and_b32_sdwa v23, v23, v17 dst_sel:DWORD dst_unused:UNUSED_PAD src0_sel:DWORD src1_sel:WORD_1
	v_cmp_eq_u32_e32 vcc, 1, v23
	s_and_b64 exec, exec, vcc
	s_cbranch_execz .LBB1576_388
; %bb.387:
	s_lshl_b64 s[2:3], s[22:23], 3
	s_add_u32 s2, s34, s2
	s_addc_u32 s3, s35, s3
	v_mov_b32_e32 v23, 0
	v_lshl_add_u64 v[36:37], v[22:23], 3, s[2:3]
	global_store_dwordx2 v[36:37], v[14:15], off
.LBB1576_388:
	s_or_b64 exec, exec, s[0:1]
	s_branch .LBB1576_365
.LBB1576_389:
	v_and_b32_e32 v23, 1, v16
	v_cmp_eq_u32_e32 vcc, 1, v23
	s_and_saveexec_b64 s[0:1], vcc
	s_cbranch_execz .LBB1576_391
; %bb.390:
	v_sub_u32_e32 v23, v34, v19
	v_lshlrev_b32_e32 v23, 3, v23
	ds_write_b64 v23, v[10:11]
.LBB1576_391:
	s_or_b64 exec, exec, s[0:1]
	v_and_b32_e32 v10, 1, v21
	v_cmp_eq_u32_e32 vcc, 1, v10
	s_and_saveexec_b64 s[0:1], vcc
	s_cbranch_execz .LBB1576_393
; %bb.392:
	v_sub_u32_e32 v10, v32, v19
	v_lshlrev_b32_e32 v10, 3, v10
	ds_write_b64 v10, v[12:13]
.LBB1576_393:
	s_or_b64 exec, exec, s[0:1]
	v_mov_b32_e32 v10, 1
	v_and_b32_sdwa v10, v10, v16 dst_sel:DWORD dst_unused:UNUSED_PAD src0_sel:DWORD src1_sel:WORD_1
	v_cmp_eq_u32_e32 vcc, 1, v10
	s_and_saveexec_b64 s[0:1], vcc
	s_cbranch_execz .LBB1576_395
; %bb.394:
	v_sub_u32_e32 v10, v30, v19
	v_lshlrev_b32_e32 v10, 3, v10
	ds_write_b64 v10, v[6:7]
.LBB1576_395:
	s_or_b64 exec, exec, s[0:1]
	v_and_b32_e32 v6, 1, v20
	v_cmp_eq_u32_e32 vcc, 1, v6
	s_and_saveexec_b64 s[0:1], vcc
	s_cbranch_execz .LBB1576_397
; %bb.396:
	v_sub_u32_e32 v6, v28, v19
	v_lshlrev_b32_e32 v6, 3, v6
	ds_write_b64 v6, v[8:9]
.LBB1576_397:
	s_or_b64 exec, exec, s[0:1]
	v_and_b32_e32 v6, 1, v17
	;; [unrolled: 10-line block ×3, first 2 shown]
	v_cmp_eq_u32_e32 vcc, 1, v1
	s_and_saveexec_b64 s[0:1], vcc
	s_cbranch_execz .LBB1576_401
; %bb.400:
	v_sub_u32_e32 v1, v24, v19
	v_lshlrev_b32_e32 v1, 3, v1
	ds_write_b64 v1, v[4:5]
.LBB1576_401:
	s_or_b64 exec, exec, s[0:1]
	v_mov_b32_e32 v1, 1
	v_and_b32_sdwa v1, v1, v17 dst_sel:DWORD dst_unused:UNUSED_PAD src0_sel:DWORD src1_sel:WORD_1
	v_cmp_eq_u32_e32 vcc, 1, v1
	s_and_saveexec_b64 s[0:1], vcc
	s_cbranch_execz .LBB1576_403
; %bb.402:
	v_sub_u32_e32 v1, v22, v19
	v_lshlrev_b32_e32 v1, 3, v1
	ds_write_b64 v1, v[14:15]
.LBB1576_403:
	s_or_b64 exec, exec, s[0:1]
	v_cmp_lt_u32_e32 vcc, v0, v18
	s_waitcnt lgkmcnt(0)
	s_barrier
	s_and_saveexec_b64 s[0:1], vcc
	s_cbranch_execz .LBB1576_406
; %bb.404:
	v_mov_b32_e32 v5, 0
	v_mov_b32_e32 v4, v19
	s_lshl_b64 s[2:3], s[22:23], 3
	v_lshlrev_b64 v[6:7], 3, v[4:5]
	v_lshl_add_u64 v[6:7], s[2:3], 0, v[6:7]
	v_lshlrev_b32_e32 v2, 3, v0
	v_mov_b32_e32 v3, v5
	v_lshl_add_u64 v[4:5], s[34:35], 0, v[6:7]
	v_lshl_add_u64 v[4:5], v[4:5], 0, v[2:3]
	s_mov_b64 s[2:3], 0
	s_mov_b64 s[4:5], 0x1000
.LBB1576_405:                           ; =>This Inner Loop Header: Depth=1
	ds_read_b64 v[6:7], v2
	v_add_u32_e32 v0, 0x200, v0
	v_cmp_ge_u32_e32 vcc, v0, v18
	v_add_u32_e32 v2, 0x1000, v2
	s_or_b64 s[2:3], vcc, s[2:3]
	s_waitcnt lgkmcnt(0)
	global_store_dwordx2 v[4:5], v[6:7], off
	v_lshl_add_u64 v[4:5], v[4:5], 0, s[4:5]
	s_andn2_b64 exec, exec, s[2:3]
	s_cbranch_execnz .LBB1576_405
.LBB1576_406:
	s_or_b64 exec, exec, s[0:1]
	s_and_b64 s[0:1], s[18:19], s[24:25]
	s_and_saveexec_b64 s[2:3], s[0:1]
	s_cbranch_execz .LBB1576_366
.LBB1576_407:
	v_mov_b32_e32 v1, 0
	v_mov_b32_e32 v0, v18
	v_lshl_add_u64 v[2:3], s[22:23], 0, v[0:1]
	v_mov_b32_e32 v0, v19
	v_lshl_add_u64 v[2:3], v[2:3], 0, v[0:1]
	global_store_dwordx2 v1, v[2:3], s[20:21]
	s_endpgm
	.section	.rodata,"a",@progbits
	.p2align	6, 0x0
	.amdhsa_kernel _ZN7rocprim17ROCPRIM_400000_NS6detail17trampoline_kernelINS0_14default_configENS1_25partition_config_selectorILNS1_17partition_subalgoE8ElNS0_10empty_typeEbEEZZNS1_14partition_implILS5_8ELb0ES3_jPlPS6_PKS6_NS0_5tupleIJS9_S6_EEENSD_IJSA_SA_EEENS0_18inequality_wrapperIZN2at6native12_GLOBAL__N_124unique_dim_cuda_templateIjEESt5tupleIJNSH_6TensorESM_SM_EERKSM_lbbbEUlllE0_EEPmJS6_EEE10hipError_tPvRmT3_T4_T5_T6_T7_T9_mT8_P12ihipStream_tbDpT10_ENKUlT_T0_E_clISt17integral_constantIbLb0EES1B_IbLb1EEEEDaS17_S18_EUlS17_E_NS1_11comp_targetILNS1_3genE5ELNS1_11target_archE942ELNS1_3gpuE9ELNS1_3repE0EEENS1_30default_config_static_selectorELNS0_4arch9wavefront6targetE1EEEvT1_
		.amdhsa_group_segment_fixed_size 28684
		.amdhsa_private_segment_fixed_size 0
		.amdhsa_kernarg_size 136
		.amdhsa_user_sgpr_count 2
		.amdhsa_user_sgpr_dispatch_ptr 0
		.amdhsa_user_sgpr_queue_ptr 0
		.amdhsa_user_sgpr_kernarg_segment_ptr 1
		.amdhsa_user_sgpr_dispatch_id 0
		.amdhsa_user_sgpr_kernarg_preload_length 0
		.amdhsa_user_sgpr_kernarg_preload_offset 0
		.amdhsa_user_sgpr_private_segment_size 0
		.amdhsa_uses_dynamic_stack 0
		.amdhsa_enable_private_segment 0
		.amdhsa_system_sgpr_workgroup_id_x 1
		.amdhsa_system_sgpr_workgroup_id_y 0
		.amdhsa_system_sgpr_workgroup_id_z 0
		.amdhsa_system_sgpr_workgroup_info 0
		.amdhsa_system_vgpr_workitem_id 0
		.amdhsa_next_free_vgpr 52
		.amdhsa_next_free_sgpr 56
		.amdhsa_accum_offset 52
		.amdhsa_reserve_vcc 1
		.amdhsa_float_round_mode_32 0
		.amdhsa_float_round_mode_16_64 0
		.amdhsa_float_denorm_mode_32 3
		.amdhsa_float_denorm_mode_16_64 3
		.amdhsa_dx10_clamp 1
		.amdhsa_ieee_mode 1
		.amdhsa_fp16_overflow 0
		.amdhsa_tg_split 0
		.amdhsa_exception_fp_ieee_invalid_op 0
		.amdhsa_exception_fp_denorm_src 0
		.amdhsa_exception_fp_ieee_div_zero 0
		.amdhsa_exception_fp_ieee_overflow 0
		.amdhsa_exception_fp_ieee_underflow 0
		.amdhsa_exception_fp_ieee_inexact 0
		.amdhsa_exception_int_div_zero 0
	.end_amdhsa_kernel
	.section	.text._ZN7rocprim17ROCPRIM_400000_NS6detail17trampoline_kernelINS0_14default_configENS1_25partition_config_selectorILNS1_17partition_subalgoE8ElNS0_10empty_typeEbEEZZNS1_14partition_implILS5_8ELb0ES3_jPlPS6_PKS6_NS0_5tupleIJS9_S6_EEENSD_IJSA_SA_EEENS0_18inequality_wrapperIZN2at6native12_GLOBAL__N_124unique_dim_cuda_templateIjEESt5tupleIJNSH_6TensorESM_SM_EERKSM_lbbbEUlllE0_EEPmJS6_EEE10hipError_tPvRmT3_T4_T5_T6_T7_T9_mT8_P12ihipStream_tbDpT10_ENKUlT_T0_E_clISt17integral_constantIbLb0EES1B_IbLb1EEEEDaS17_S18_EUlS17_E_NS1_11comp_targetILNS1_3genE5ELNS1_11target_archE942ELNS1_3gpuE9ELNS1_3repE0EEENS1_30default_config_static_selectorELNS0_4arch9wavefront6targetE1EEEvT1_,"axG",@progbits,_ZN7rocprim17ROCPRIM_400000_NS6detail17trampoline_kernelINS0_14default_configENS1_25partition_config_selectorILNS1_17partition_subalgoE8ElNS0_10empty_typeEbEEZZNS1_14partition_implILS5_8ELb0ES3_jPlPS6_PKS6_NS0_5tupleIJS9_S6_EEENSD_IJSA_SA_EEENS0_18inequality_wrapperIZN2at6native12_GLOBAL__N_124unique_dim_cuda_templateIjEESt5tupleIJNSH_6TensorESM_SM_EERKSM_lbbbEUlllE0_EEPmJS6_EEE10hipError_tPvRmT3_T4_T5_T6_T7_T9_mT8_P12ihipStream_tbDpT10_ENKUlT_T0_E_clISt17integral_constantIbLb0EES1B_IbLb1EEEEDaS17_S18_EUlS17_E_NS1_11comp_targetILNS1_3genE5ELNS1_11target_archE942ELNS1_3gpuE9ELNS1_3repE0EEENS1_30default_config_static_selectorELNS0_4arch9wavefront6targetE1EEEvT1_,comdat
.Lfunc_end1576:
	.size	_ZN7rocprim17ROCPRIM_400000_NS6detail17trampoline_kernelINS0_14default_configENS1_25partition_config_selectorILNS1_17partition_subalgoE8ElNS0_10empty_typeEbEEZZNS1_14partition_implILS5_8ELb0ES3_jPlPS6_PKS6_NS0_5tupleIJS9_S6_EEENSD_IJSA_SA_EEENS0_18inequality_wrapperIZN2at6native12_GLOBAL__N_124unique_dim_cuda_templateIjEESt5tupleIJNSH_6TensorESM_SM_EERKSM_lbbbEUlllE0_EEPmJS6_EEE10hipError_tPvRmT3_T4_T5_T6_T7_T9_mT8_P12ihipStream_tbDpT10_ENKUlT_T0_E_clISt17integral_constantIbLb0EES1B_IbLb1EEEEDaS17_S18_EUlS17_E_NS1_11comp_targetILNS1_3genE5ELNS1_11target_archE942ELNS1_3gpuE9ELNS1_3repE0EEENS1_30default_config_static_selectorELNS0_4arch9wavefront6targetE1EEEvT1_, .Lfunc_end1576-_ZN7rocprim17ROCPRIM_400000_NS6detail17trampoline_kernelINS0_14default_configENS1_25partition_config_selectorILNS1_17partition_subalgoE8ElNS0_10empty_typeEbEEZZNS1_14partition_implILS5_8ELb0ES3_jPlPS6_PKS6_NS0_5tupleIJS9_S6_EEENSD_IJSA_SA_EEENS0_18inequality_wrapperIZN2at6native12_GLOBAL__N_124unique_dim_cuda_templateIjEESt5tupleIJNSH_6TensorESM_SM_EERKSM_lbbbEUlllE0_EEPmJS6_EEE10hipError_tPvRmT3_T4_T5_T6_T7_T9_mT8_P12ihipStream_tbDpT10_ENKUlT_T0_E_clISt17integral_constantIbLb0EES1B_IbLb1EEEEDaS17_S18_EUlS17_E_NS1_11comp_targetILNS1_3genE5ELNS1_11target_archE942ELNS1_3gpuE9ELNS1_3repE0EEENS1_30default_config_static_selectorELNS0_4arch9wavefront6targetE1EEEvT1_
                                        ; -- End function
	.section	.AMDGPU.csdata,"",@progbits
; Kernel info:
; codeLenInByte = 13044
; NumSgprs: 62
; NumVgprs: 52
; NumAgprs: 0
; TotalNumVgprs: 52
; ScratchSize: 0
; MemoryBound: 0
; FloatMode: 240
; IeeeMode: 1
; LDSByteSize: 28684 bytes/workgroup (compile time only)
; SGPRBlocks: 7
; VGPRBlocks: 6
; NumSGPRsForWavesPerEU: 62
; NumVGPRsForWavesPerEU: 52
; AccumOffset: 52
; Occupancy: 4
; WaveLimiterHint : 1
; COMPUTE_PGM_RSRC2:SCRATCH_EN: 0
; COMPUTE_PGM_RSRC2:USER_SGPR: 2
; COMPUTE_PGM_RSRC2:TRAP_HANDLER: 0
; COMPUTE_PGM_RSRC2:TGID_X_EN: 1
; COMPUTE_PGM_RSRC2:TGID_Y_EN: 0
; COMPUTE_PGM_RSRC2:TGID_Z_EN: 0
; COMPUTE_PGM_RSRC2:TIDIG_COMP_CNT: 0
; COMPUTE_PGM_RSRC3_GFX90A:ACCUM_OFFSET: 12
; COMPUTE_PGM_RSRC3_GFX90A:TG_SPLIT: 0
	.section	.text._ZN7rocprim17ROCPRIM_400000_NS6detail17trampoline_kernelINS0_14default_configENS1_25partition_config_selectorILNS1_17partition_subalgoE8ElNS0_10empty_typeEbEEZZNS1_14partition_implILS5_8ELb0ES3_jPlPS6_PKS6_NS0_5tupleIJS9_S6_EEENSD_IJSA_SA_EEENS0_18inequality_wrapperIZN2at6native12_GLOBAL__N_124unique_dim_cuda_templateIjEESt5tupleIJNSH_6TensorESM_SM_EERKSM_lbbbEUlllE0_EEPmJS6_EEE10hipError_tPvRmT3_T4_T5_T6_T7_T9_mT8_P12ihipStream_tbDpT10_ENKUlT_T0_E_clISt17integral_constantIbLb0EES1B_IbLb1EEEEDaS17_S18_EUlS17_E_NS1_11comp_targetILNS1_3genE4ELNS1_11target_archE910ELNS1_3gpuE8ELNS1_3repE0EEENS1_30default_config_static_selectorELNS0_4arch9wavefront6targetE1EEEvT1_,"axG",@progbits,_ZN7rocprim17ROCPRIM_400000_NS6detail17trampoline_kernelINS0_14default_configENS1_25partition_config_selectorILNS1_17partition_subalgoE8ElNS0_10empty_typeEbEEZZNS1_14partition_implILS5_8ELb0ES3_jPlPS6_PKS6_NS0_5tupleIJS9_S6_EEENSD_IJSA_SA_EEENS0_18inequality_wrapperIZN2at6native12_GLOBAL__N_124unique_dim_cuda_templateIjEESt5tupleIJNSH_6TensorESM_SM_EERKSM_lbbbEUlllE0_EEPmJS6_EEE10hipError_tPvRmT3_T4_T5_T6_T7_T9_mT8_P12ihipStream_tbDpT10_ENKUlT_T0_E_clISt17integral_constantIbLb0EES1B_IbLb1EEEEDaS17_S18_EUlS17_E_NS1_11comp_targetILNS1_3genE4ELNS1_11target_archE910ELNS1_3gpuE8ELNS1_3repE0EEENS1_30default_config_static_selectorELNS0_4arch9wavefront6targetE1EEEvT1_,comdat
	.globl	_ZN7rocprim17ROCPRIM_400000_NS6detail17trampoline_kernelINS0_14default_configENS1_25partition_config_selectorILNS1_17partition_subalgoE8ElNS0_10empty_typeEbEEZZNS1_14partition_implILS5_8ELb0ES3_jPlPS6_PKS6_NS0_5tupleIJS9_S6_EEENSD_IJSA_SA_EEENS0_18inequality_wrapperIZN2at6native12_GLOBAL__N_124unique_dim_cuda_templateIjEESt5tupleIJNSH_6TensorESM_SM_EERKSM_lbbbEUlllE0_EEPmJS6_EEE10hipError_tPvRmT3_T4_T5_T6_T7_T9_mT8_P12ihipStream_tbDpT10_ENKUlT_T0_E_clISt17integral_constantIbLb0EES1B_IbLb1EEEEDaS17_S18_EUlS17_E_NS1_11comp_targetILNS1_3genE4ELNS1_11target_archE910ELNS1_3gpuE8ELNS1_3repE0EEENS1_30default_config_static_selectorELNS0_4arch9wavefront6targetE1EEEvT1_ ; -- Begin function _ZN7rocprim17ROCPRIM_400000_NS6detail17trampoline_kernelINS0_14default_configENS1_25partition_config_selectorILNS1_17partition_subalgoE8ElNS0_10empty_typeEbEEZZNS1_14partition_implILS5_8ELb0ES3_jPlPS6_PKS6_NS0_5tupleIJS9_S6_EEENSD_IJSA_SA_EEENS0_18inequality_wrapperIZN2at6native12_GLOBAL__N_124unique_dim_cuda_templateIjEESt5tupleIJNSH_6TensorESM_SM_EERKSM_lbbbEUlllE0_EEPmJS6_EEE10hipError_tPvRmT3_T4_T5_T6_T7_T9_mT8_P12ihipStream_tbDpT10_ENKUlT_T0_E_clISt17integral_constantIbLb0EES1B_IbLb1EEEEDaS17_S18_EUlS17_E_NS1_11comp_targetILNS1_3genE4ELNS1_11target_archE910ELNS1_3gpuE8ELNS1_3repE0EEENS1_30default_config_static_selectorELNS0_4arch9wavefront6targetE1EEEvT1_
	.p2align	8
	.type	_ZN7rocprim17ROCPRIM_400000_NS6detail17trampoline_kernelINS0_14default_configENS1_25partition_config_selectorILNS1_17partition_subalgoE8ElNS0_10empty_typeEbEEZZNS1_14partition_implILS5_8ELb0ES3_jPlPS6_PKS6_NS0_5tupleIJS9_S6_EEENSD_IJSA_SA_EEENS0_18inequality_wrapperIZN2at6native12_GLOBAL__N_124unique_dim_cuda_templateIjEESt5tupleIJNSH_6TensorESM_SM_EERKSM_lbbbEUlllE0_EEPmJS6_EEE10hipError_tPvRmT3_T4_T5_T6_T7_T9_mT8_P12ihipStream_tbDpT10_ENKUlT_T0_E_clISt17integral_constantIbLb0EES1B_IbLb1EEEEDaS17_S18_EUlS17_E_NS1_11comp_targetILNS1_3genE4ELNS1_11target_archE910ELNS1_3gpuE8ELNS1_3repE0EEENS1_30default_config_static_selectorELNS0_4arch9wavefront6targetE1EEEvT1_,@function
_ZN7rocprim17ROCPRIM_400000_NS6detail17trampoline_kernelINS0_14default_configENS1_25partition_config_selectorILNS1_17partition_subalgoE8ElNS0_10empty_typeEbEEZZNS1_14partition_implILS5_8ELb0ES3_jPlPS6_PKS6_NS0_5tupleIJS9_S6_EEENSD_IJSA_SA_EEENS0_18inequality_wrapperIZN2at6native12_GLOBAL__N_124unique_dim_cuda_templateIjEESt5tupleIJNSH_6TensorESM_SM_EERKSM_lbbbEUlllE0_EEPmJS6_EEE10hipError_tPvRmT3_T4_T5_T6_T7_T9_mT8_P12ihipStream_tbDpT10_ENKUlT_T0_E_clISt17integral_constantIbLb0EES1B_IbLb1EEEEDaS17_S18_EUlS17_E_NS1_11comp_targetILNS1_3genE4ELNS1_11target_archE910ELNS1_3gpuE8ELNS1_3repE0EEENS1_30default_config_static_selectorELNS0_4arch9wavefront6targetE1EEEvT1_: ; @_ZN7rocprim17ROCPRIM_400000_NS6detail17trampoline_kernelINS0_14default_configENS1_25partition_config_selectorILNS1_17partition_subalgoE8ElNS0_10empty_typeEbEEZZNS1_14partition_implILS5_8ELb0ES3_jPlPS6_PKS6_NS0_5tupleIJS9_S6_EEENSD_IJSA_SA_EEENS0_18inequality_wrapperIZN2at6native12_GLOBAL__N_124unique_dim_cuda_templateIjEESt5tupleIJNSH_6TensorESM_SM_EERKSM_lbbbEUlllE0_EEPmJS6_EEE10hipError_tPvRmT3_T4_T5_T6_T7_T9_mT8_P12ihipStream_tbDpT10_ENKUlT_T0_E_clISt17integral_constantIbLb0EES1B_IbLb1EEEEDaS17_S18_EUlS17_E_NS1_11comp_targetILNS1_3genE4ELNS1_11target_archE910ELNS1_3gpuE8ELNS1_3repE0EEENS1_30default_config_static_selectorELNS0_4arch9wavefront6targetE1EEEvT1_
; %bb.0:
	.section	.rodata,"a",@progbits
	.p2align	6, 0x0
	.amdhsa_kernel _ZN7rocprim17ROCPRIM_400000_NS6detail17trampoline_kernelINS0_14default_configENS1_25partition_config_selectorILNS1_17partition_subalgoE8ElNS0_10empty_typeEbEEZZNS1_14partition_implILS5_8ELb0ES3_jPlPS6_PKS6_NS0_5tupleIJS9_S6_EEENSD_IJSA_SA_EEENS0_18inequality_wrapperIZN2at6native12_GLOBAL__N_124unique_dim_cuda_templateIjEESt5tupleIJNSH_6TensorESM_SM_EERKSM_lbbbEUlllE0_EEPmJS6_EEE10hipError_tPvRmT3_T4_T5_T6_T7_T9_mT8_P12ihipStream_tbDpT10_ENKUlT_T0_E_clISt17integral_constantIbLb0EES1B_IbLb1EEEEDaS17_S18_EUlS17_E_NS1_11comp_targetILNS1_3genE4ELNS1_11target_archE910ELNS1_3gpuE8ELNS1_3repE0EEENS1_30default_config_static_selectorELNS0_4arch9wavefront6targetE1EEEvT1_
		.amdhsa_group_segment_fixed_size 0
		.amdhsa_private_segment_fixed_size 0
		.amdhsa_kernarg_size 136
		.amdhsa_user_sgpr_count 2
		.amdhsa_user_sgpr_dispatch_ptr 0
		.amdhsa_user_sgpr_queue_ptr 0
		.amdhsa_user_sgpr_kernarg_segment_ptr 1
		.amdhsa_user_sgpr_dispatch_id 0
		.amdhsa_user_sgpr_kernarg_preload_length 0
		.amdhsa_user_sgpr_kernarg_preload_offset 0
		.amdhsa_user_sgpr_private_segment_size 0
		.amdhsa_uses_dynamic_stack 0
		.amdhsa_enable_private_segment 0
		.amdhsa_system_sgpr_workgroup_id_x 1
		.amdhsa_system_sgpr_workgroup_id_y 0
		.amdhsa_system_sgpr_workgroup_id_z 0
		.amdhsa_system_sgpr_workgroup_info 0
		.amdhsa_system_vgpr_workitem_id 0
		.amdhsa_next_free_vgpr 1
		.amdhsa_next_free_sgpr 0
		.amdhsa_accum_offset 4
		.amdhsa_reserve_vcc 0
		.amdhsa_float_round_mode_32 0
		.amdhsa_float_round_mode_16_64 0
		.amdhsa_float_denorm_mode_32 3
		.amdhsa_float_denorm_mode_16_64 3
		.amdhsa_dx10_clamp 1
		.amdhsa_ieee_mode 1
		.amdhsa_fp16_overflow 0
		.amdhsa_tg_split 0
		.amdhsa_exception_fp_ieee_invalid_op 0
		.amdhsa_exception_fp_denorm_src 0
		.amdhsa_exception_fp_ieee_div_zero 0
		.amdhsa_exception_fp_ieee_overflow 0
		.amdhsa_exception_fp_ieee_underflow 0
		.amdhsa_exception_fp_ieee_inexact 0
		.amdhsa_exception_int_div_zero 0
	.end_amdhsa_kernel
	.section	.text._ZN7rocprim17ROCPRIM_400000_NS6detail17trampoline_kernelINS0_14default_configENS1_25partition_config_selectorILNS1_17partition_subalgoE8ElNS0_10empty_typeEbEEZZNS1_14partition_implILS5_8ELb0ES3_jPlPS6_PKS6_NS0_5tupleIJS9_S6_EEENSD_IJSA_SA_EEENS0_18inequality_wrapperIZN2at6native12_GLOBAL__N_124unique_dim_cuda_templateIjEESt5tupleIJNSH_6TensorESM_SM_EERKSM_lbbbEUlllE0_EEPmJS6_EEE10hipError_tPvRmT3_T4_T5_T6_T7_T9_mT8_P12ihipStream_tbDpT10_ENKUlT_T0_E_clISt17integral_constantIbLb0EES1B_IbLb1EEEEDaS17_S18_EUlS17_E_NS1_11comp_targetILNS1_3genE4ELNS1_11target_archE910ELNS1_3gpuE8ELNS1_3repE0EEENS1_30default_config_static_selectorELNS0_4arch9wavefront6targetE1EEEvT1_,"axG",@progbits,_ZN7rocprim17ROCPRIM_400000_NS6detail17trampoline_kernelINS0_14default_configENS1_25partition_config_selectorILNS1_17partition_subalgoE8ElNS0_10empty_typeEbEEZZNS1_14partition_implILS5_8ELb0ES3_jPlPS6_PKS6_NS0_5tupleIJS9_S6_EEENSD_IJSA_SA_EEENS0_18inequality_wrapperIZN2at6native12_GLOBAL__N_124unique_dim_cuda_templateIjEESt5tupleIJNSH_6TensorESM_SM_EERKSM_lbbbEUlllE0_EEPmJS6_EEE10hipError_tPvRmT3_T4_T5_T6_T7_T9_mT8_P12ihipStream_tbDpT10_ENKUlT_T0_E_clISt17integral_constantIbLb0EES1B_IbLb1EEEEDaS17_S18_EUlS17_E_NS1_11comp_targetILNS1_3genE4ELNS1_11target_archE910ELNS1_3gpuE8ELNS1_3repE0EEENS1_30default_config_static_selectorELNS0_4arch9wavefront6targetE1EEEvT1_,comdat
.Lfunc_end1577:
	.size	_ZN7rocprim17ROCPRIM_400000_NS6detail17trampoline_kernelINS0_14default_configENS1_25partition_config_selectorILNS1_17partition_subalgoE8ElNS0_10empty_typeEbEEZZNS1_14partition_implILS5_8ELb0ES3_jPlPS6_PKS6_NS0_5tupleIJS9_S6_EEENSD_IJSA_SA_EEENS0_18inequality_wrapperIZN2at6native12_GLOBAL__N_124unique_dim_cuda_templateIjEESt5tupleIJNSH_6TensorESM_SM_EERKSM_lbbbEUlllE0_EEPmJS6_EEE10hipError_tPvRmT3_T4_T5_T6_T7_T9_mT8_P12ihipStream_tbDpT10_ENKUlT_T0_E_clISt17integral_constantIbLb0EES1B_IbLb1EEEEDaS17_S18_EUlS17_E_NS1_11comp_targetILNS1_3genE4ELNS1_11target_archE910ELNS1_3gpuE8ELNS1_3repE0EEENS1_30default_config_static_selectorELNS0_4arch9wavefront6targetE1EEEvT1_, .Lfunc_end1577-_ZN7rocprim17ROCPRIM_400000_NS6detail17trampoline_kernelINS0_14default_configENS1_25partition_config_selectorILNS1_17partition_subalgoE8ElNS0_10empty_typeEbEEZZNS1_14partition_implILS5_8ELb0ES3_jPlPS6_PKS6_NS0_5tupleIJS9_S6_EEENSD_IJSA_SA_EEENS0_18inequality_wrapperIZN2at6native12_GLOBAL__N_124unique_dim_cuda_templateIjEESt5tupleIJNSH_6TensorESM_SM_EERKSM_lbbbEUlllE0_EEPmJS6_EEE10hipError_tPvRmT3_T4_T5_T6_T7_T9_mT8_P12ihipStream_tbDpT10_ENKUlT_T0_E_clISt17integral_constantIbLb0EES1B_IbLb1EEEEDaS17_S18_EUlS17_E_NS1_11comp_targetILNS1_3genE4ELNS1_11target_archE910ELNS1_3gpuE8ELNS1_3repE0EEENS1_30default_config_static_selectorELNS0_4arch9wavefront6targetE1EEEvT1_
                                        ; -- End function
	.section	.AMDGPU.csdata,"",@progbits
; Kernel info:
; codeLenInByte = 0
; NumSgprs: 6
; NumVgprs: 0
; NumAgprs: 0
; TotalNumVgprs: 0
; ScratchSize: 0
; MemoryBound: 0
; FloatMode: 240
; IeeeMode: 1
; LDSByteSize: 0 bytes/workgroup (compile time only)
; SGPRBlocks: 0
; VGPRBlocks: 0
; NumSGPRsForWavesPerEU: 6
; NumVGPRsForWavesPerEU: 1
; AccumOffset: 4
; Occupancy: 8
; WaveLimiterHint : 0
; COMPUTE_PGM_RSRC2:SCRATCH_EN: 0
; COMPUTE_PGM_RSRC2:USER_SGPR: 2
; COMPUTE_PGM_RSRC2:TRAP_HANDLER: 0
; COMPUTE_PGM_RSRC2:TGID_X_EN: 1
; COMPUTE_PGM_RSRC2:TGID_Y_EN: 0
; COMPUTE_PGM_RSRC2:TGID_Z_EN: 0
; COMPUTE_PGM_RSRC2:TIDIG_COMP_CNT: 0
; COMPUTE_PGM_RSRC3_GFX90A:ACCUM_OFFSET: 0
; COMPUTE_PGM_RSRC3_GFX90A:TG_SPLIT: 0
	.section	.text._ZN7rocprim17ROCPRIM_400000_NS6detail17trampoline_kernelINS0_14default_configENS1_25partition_config_selectorILNS1_17partition_subalgoE8ElNS0_10empty_typeEbEEZZNS1_14partition_implILS5_8ELb0ES3_jPlPS6_PKS6_NS0_5tupleIJS9_S6_EEENSD_IJSA_SA_EEENS0_18inequality_wrapperIZN2at6native12_GLOBAL__N_124unique_dim_cuda_templateIjEESt5tupleIJNSH_6TensorESM_SM_EERKSM_lbbbEUlllE0_EEPmJS6_EEE10hipError_tPvRmT3_T4_T5_T6_T7_T9_mT8_P12ihipStream_tbDpT10_ENKUlT_T0_E_clISt17integral_constantIbLb0EES1B_IbLb1EEEEDaS17_S18_EUlS17_E_NS1_11comp_targetILNS1_3genE3ELNS1_11target_archE908ELNS1_3gpuE7ELNS1_3repE0EEENS1_30default_config_static_selectorELNS0_4arch9wavefront6targetE1EEEvT1_,"axG",@progbits,_ZN7rocprim17ROCPRIM_400000_NS6detail17trampoline_kernelINS0_14default_configENS1_25partition_config_selectorILNS1_17partition_subalgoE8ElNS0_10empty_typeEbEEZZNS1_14partition_implILS5_8ELb0ES3_jPlPS6_PKS6_NS0_5tupleIJS9_S6_EEENSD_IJSA_SA_EEENS0_18inequality_wrapperIZN2at6native12_GLOBAL__N_124unique_dim_cuda_templateIjEESt5tupleIJNSH_6TensorESM_SM_EERKSM_lbbbEUlllE0_EEPmJS6_EEE10hipError_tPvRmT3_T4_T5_T6_T7_T9_mT8_P12ihipStream_tbDpT10_ENKUlT_T0_E_clISt17integral_constantIbLb0EES1B_IbLb1EEEEDaS17_S18_EUlS17_E_NS1_11comp_targetILNS1_3genE3ELNS1_11target_archE908ELNS1_3gpuE7ELNS1_3repE0EEENS1_30default_config_static_selectorELNS0_4arch9wavefront6targetE1EEEvT1_,comdat
	.globl	_ZN7rocprim17ROCPRIM_400000_NS6detail17trampoline_kernelINS0_14default_configENS1_25partition_config_selectorILNS1_17partition_subalgoE8ElNS0_10empty_typeEbEEZZNS1_14partition_implILS5_8ELb0ES3_jPlPS6_PKS6_NS0_5tupleIJS9_S6_EEENSD_IJSA_SA_EEENS0_18inequality_wrapperIZN2at6native12_GLOBAL__N_124unique_dim_cuda_templateIjEESt5tupleIJNSH_6TensorESM_SM_EERKSM_lbbbEUlllE0_EEPmJS6_EEE10hipError_tPvRmT3_T4_T5_T6_T7_T9_mT8_P12ihipStream_tbDpT10_ENKUlT_T0_E_clISt17integral_constantIbLb0EES1B_IbLb1EEEEDaS17_S18_EUlS17_E_NS1_11comp_targetILNS1_3genE3ELNS1_11target_archE908ELNS1_3gpuE7ELNS1_3repE0EEENS1_30default_config_static_selectorELNS0_4arch9wavefront6targetE1EEEvT1_ ; -- Begin function _ZN7rocprim17ROCPRIM_400000_NS6detail17trampoline_kernelINS0_14default_configENS1_25partition_config_selectorILNS1_17partition_subalgoE8ElNS0_10empty_typeEbEEZZNS1_14partition_implILS5_8ELb0ES3_jPlPS6_PKS6_NS0_5tupleIJS9_S6_EEENSD_IJSA_SA_EEENS0_18inequality_wrapperIZN2at6native12_GLOBAL__N_124unique_dim_cuda_templateIjEESt5tupleIJNSH_6TensorESM_SM_EERKSM_lbbbEUlllE0_EEPmJS6_EEE10hipError_tPvRmT3_T4_T5_T6_T7_T9_mT8_P12ihipStream_tbDpT10_ENKUlT_T0_E_clISt17integral_constantIbLb0EES1B_IbLb1EEEEDaS17_S18_EUlS17_E_NS1_11comp_targetILNS1_3genE3ELNS1_11target_archE908ELNS1_3gpuE7ELNS1_3repE0EEENS1_30default_config_static_selectorELNS0_4arch9wavefront6targetE1EEEvT1_
	.p2align	8
	.type	_ZN7rocprim17ROCPRIM_400000_NS6detail17trampoline_kernelINS0_14default_configENS1_25partition_config_selectorILNS1_17partition_subalgoE8ElNS0_10empty_typeEbEEZZNS1_14partition_implILS5_8ELb0ES3_jPlPS6_PKS6_NS0_5tupleIJS9_S6_EEENSD_IJSA_SA_EEENS0_18inequality_wrapperIZN2at6native12_GLOBAL__N_124unique_dim_cuda_templateIjEESt5tupleIJNSH_6TensorESM_SM_EERKSM_lbbbEUlllE0_EEPmJS6_EEE10hipError_tPvRmT3_T4_T5_T6_T7_T9_mT8_P12ihipStream_tbDpT10_ENKUlT_T0_E_clISt17integral_constantIbLb0EES1B_IbLb1EEEEDaS17_S18_EUlS17_E_NS1_11comp_targetILNS1_3genE3ELNS1_11target_archE908ELNS1_3gpuE7ELNS1_3repE0EEENS1_30default_config_static_selectorELNS0_4arch9wavefront6targetE1EEEvT1_,@function
_ZN7rocprim17ROCPRIM_400000_NS6detail17trampoline_kernelINS0_14default_configENS1_25partition_config_selectorILNS1_17partition_subalgoE8ElNS0_10empty_typeEbEEZZNS1_14partition_implILS5_8ELb0ES3_jPlPS6_PKS6_NS0_5tupleIJS9_S6_EEENSD_IJSA_SA_EEENS0_18inequality_wrapperIZN2at6native12_GLOBAL__N_124unique_dim_cuda_templateIjEESt5tupleIJNSH_6TensorESM_SM_EERKSM_lbbbEUlllE0_EEPmJS6_EEE10hipError_tPvRmT3_T4_T5_T6_T7_T9_mT8_P12ihipStream_tbDpT10_ENKUlT_T0_E_clISt17integral_constantIbLb0EES1B_IbLb1EEEEDaS17_S18_EUlS17_E_NS1_11comp_targetILNS1_3genE3ELNS1_11target_archE908ELNS1_3gpuE7ELNS1_3repE0EEENS1_30default_config_static_selectorELNS0_4arch9wavefront6targetE1EEEvT1_: ; @_ZN7rocprim17ROCPRIM_400000_NS6detail17trampoline_kernelINS0_14default_configENS1_25partition_config_selectorILNS1_17partition_subalgoE8ElNS0_10empty_typeEbEEZZNS1_14partition_implILS5_8ELb0ES3_jPlPS6_PKS6_NS0_5tupleIJS9_S6_EEENSD_IJSA_SA_EEENS0_18inequality_wrapperIZN2at6native12_GLOBAL__N_124unique_dim_cuda_templateIjEESt5tupleIJNSH_6TensorESM_SM_EERKSM_lbbbEUlllE0_EEPmJS6_EEE10hipError_tPvRmT3_T4_T5_T6_T7_T9_mT8_P12ihipStream_tbDpT10_ENKUlT_T0_E_clISt17integral_constantIbLb0EES1B_IbLb1EEEEDaS17_S18_EUlS17_E_NS1_11comp_targetILNS1_3genE3ELNS1_11target_archE908ELNS1_3gpuE7ELNS1_3repE0EEENS1_30default_config_static_selectorELNS0_4arch9wavefront6targetE1EEEvT1_
; %bb.0:
	.section	.rodata,"a",@progbits
	.p2align	6, 0x0
	.amdhsa_kernel _ZN7rocprim17ROCPRIM_400000_NS6detail17trampoline_kernelINS0_14default_configENS1_25partition_config_selectorILNS1_17partition_subalgoE8ElNS0_10empty_typeEbEEZZNS1_14partition_implILS5_8ELb0ES3_jPlPS6_PKS6_NS0_5tupleIJS9_S6_EEENSD_IJSA_SA_EEENS0_18inequality_wrapperIZN2at6native12_GLOBAL__N_124unique_dim_cuda_templateIjEESt5tupleIJNSH_6TensorESM_SM_EERKSM_lbbbEUlllE0_EEPmJS6_EEE10hipError_tPvRmT3_T4_T5_T6_T7_T9_mT8_P12ihipStream_tbDpT10_ENKUlT_T0_E_clISt17integral_constantIbLb0EES1B_IbLb1EEEEDaS17_S18_EUlS17_E_NS1_11comp_targetILNS1_3genE3ELNS1_11target_archE908ELNS1_3gpuE7ELNS1_3repE0EEENS1_30default_config_static_selectorELNS0_4arch9wavefront6targetE1EEEvT1_
		.amdhsa_group_segment_fixed_size 0
		.amdhsa_private_segment_fixed_size 0
		.amdhsa_kernarg_size 136
		.amdhsa_user_sgpr_count 2
		.amdhsa_user_sgpr_dispatch_ptr 0
		.amdhsa_user_sgpr_queue_ptr 0
		.amdhsa_user_sgpr_kernarg_segment_ptr 1
		.amdhsa_user_sgpr_dispatch_id 0
		.amdhsa_user_sgpr_kernarg_preload_length 0
		.amdhsa_user_sgpr_kernarg_preload_offset 0
		.amdhsa_user_sgpr_private_segment_size 0
		.amdhsa_uses_dynamic_stack 0
		.amdhsa_enable_private_segment 0
		.amdhsa_system_sgpr_workgroup_id_x 1
		.amdhsa_system_sgpr_workgroup_id_y 0
		.amdhsa_system_sgpr_workgroup_id_z 0
		.amdhsa_system_sgpr_workgroup_info 0
		.amdhsa_system_vgpr_workitem_id 0
		.amdhsa_next_free_vgpr 1
		.amdhsa_next_free_sgpr 0
		.amdhsa_accum_offset 4
		.amdhsa_reserve_vcc 0
		.amdhsa_float_round_mode_32 0
		.amdhsa_float_round_mode_16_64 0
		.amdhsa_float_denorm_mode_32 3
		.amdhsa_float_denorm_mode_16_64 3
		.amdhsa_dx10_clamp 1
		.amdhsa_ieee_mode 1
		.amdhsa_fp16_overflow 0
		.amdhsa_tg_split 0
		.amdhsa_exception_fp_ieee_invalid_op 0
		.amdhsa_exception_fp_denorm_src 0
		.amdhsa_exception_fp_ieee_div_zero 0
		.amdhsa_exception_fp_ieee_overflow 0
		.amdhsa_exception_fp_ieee_underflow 0
		.amdhsa_exception_fp_ieee_inexact 0
		.amdhsa_exception_int_div_zero 0
	.end_amdhsa_kernel
	.section	.text._ZN7rocprim17ROCPRIM_400000_NS6detail17trampoline_kernelINS0_14default_configENS1_25partition_config_selectorILNS1_17partition_subalgoE8ElNS0_10empty_typeEbEEZZNS1_14partition_implILS5_8ELb0ES3_jPlPS6_PKS6_NS0_5tupleIJS9_S6_EEENSD_IJSA_SA_EEENS0_18inequality_wrapperIZN2at6native12_GLOBAL__N_124unique_dim_cuda_templateIjEESt5tupleIJNSH_6TensorESM_SM_EERKSM_lbbbEUlllE0_EEPmJS6_EEE10hipError_tPvRmT3_T4_T5_T6_T7_T9_mT8_P12ihipStream_tbDpT10_ENKUlT_T0_E_clISt17integral_constantIbLb0EES1B_IbLb1EEEEDaS17_S18_EUlS17_E_NS1_11comp_targetILNS1_3genE3ELNS1_11target_archE908ELNS1_3gpuE7ELNS1_3repE0EEENS1_30default_config_static_selectorELNS0_4arch9wavefront6targetE1EEEvT1_,"axG",@progbits,_ZN7rocprim17ROCPRIM_400000_NS6detail17trampoline_kernelINS0_14default_configENS1_25partition_config_selectorILNS1_17partition_subalgoE8ElNS0_10empty_typeEbEEZZNS1_14partition_implILS5_8ELb0ES3_jPlPS6_PKS6_NS0_5tupleIJS9_S6_EEENSD_IJSA_SA_EEENS0_18inequality_wrapperIZN2at6native12_GLOBAL__N_124unique_dim_cuda_templateIjEESt5tupleIJNSH_6TensorESM_SM_EERKSM_lbbbEUlllE0_EEPmJS6_EEE10hipError_tPvRmT3_T4_T5_T6_T7_T9_mT8_P12ihipStream_tbDpT10_ENKUlT_T0_E_clISt17integral_constantIbLb0EES1B_IbLb1EEEEDaS17_S18_EUlS17_E_NS1_11comp_targetILNS1_3genE3ELNS1_11target_archE908ELNS1_3gpuE7ELNS1_3repE0EEENS1_30default_config_static_selectorELNS0_4arch9wavefront6targetE1EEEvT1_,comdat
.Lfunc_end1578:
	.size	_ZN7rocprim17ROCPRIM_400000_NS6detail17trampoline_kernelINS0_14default_configENS1_25partition_config_selectorILNS1_17partition_subalgoE8ElNS0_10empty_typeEbEEZZNS1_14partition_implILS5_8ELb0ES3_jPlPS6_PKS6_NS0_5tupleIJS9_S6_EEENSD_IJSA_SA_EEENS0_18inequality_wrapperIZN2at6native12_GLOBAL__N_124unique_dim_cuda_templateIjEESt5tupleIJNSH_6TensorESM_SM_EERKSM_lbbbEUlllE0_EEPmJS6_EEE10hipError_tPvRmT3_T4_T5_T6_T7_T9_mT8_P12ihipStream_tbDpT10_ENKUlT_T0_E_clISt17integral_constantIbLb0EES1B_IbLb1EEEEDaS17_S18_EUlS17_E_NS1_11comp_targetILNS1_3genE3ELNS1_11target_archE908ELNS1_3gpuE7ELNS1_3repE0EEENS1_30default_config_static_selectorELNS0_4arch9wavefront6targetE1EEEvT1_, .Lfunc_end1578-_ZN7rocprim17ROCPRIM_400000_NS6detail17trampoline_kernelINS0_14default_configENS1_25partition_config_selectorILNS1_17partition_subalgoE8ElNS0_10empty_typeEbEEZZNS1_14partition_implILS5_8ELb0ES3_jPlPS6_PKS6_NS0_5tupleIJS9_S6_EEENSD_IJSA_SA_EEENS0_18inequality_wrapperIZN2at6native12_GLOBAL__N_124unique_dim_cuda_templateIjEESt5tupleIJNSH_6TensorESM_SM_EERKSM_lbbbEUlllE0_EEPmJS6_EEE10hipError_tPvRmT3_T4_T5_T6_T7_T9_mT8_P12ihipStream_tbDpT10_ENKUlT_T0_E_clISt17integral_constantIbLb0EES1B_IbLb1EEEEDaS17_S18_EUlS17_E_NS1_11comp_targetILNS1_3genE3ELNS1_11target_archE908ELNS1_3gpuE7ELNS1_3repE0EEENS1_30default_config_static_selectorELNS0_4arch9wavefront6targetE1EEEvT1_
                                        ; -- End function
	.section	.AMDGPU.csdata,"",@progbits
; Kernel info:
; codeLenInByte = 0
; NumSgprs: 6
; NumVgprs: 0
; NumAgprs: 0
; TotalNumVgprs: 0
; ScratchSize: 0
; MemoryBound: 0
; FloatMode: 240
; IeeeMode: 1
; LDSByteSize: 0 bytes/workgroup (compile time only)
; SGPRBlocks: 0
; VGPRBlocks: 0
; NumSGPRsForWavesPerEU: 6
; NumVGPRsForWavesPerEU: 1
; AccumOffset: 4
; Occupancy: 8
; WaveLimiterHint : 0
; COMPUTE_PGM_RSRC2:SCRATCH_EN: 0
; COMPUTE_PGM_RSRC2:USER_SGPR: 2
; COMPUTE_PGM_RSRC2:TRAP_HANDLER: 0
; COMPUTE_PGM_RSRC2:TGID_X_EN: 1
; COMPUTE_PGM_RSRC2:TGID_Y_EN: 0
; COMPUTE_PGM_RSRC2:TGID_Z_EN: 0
; COMPUTE_PGM_RSRC2:TIDIG_COMP_CNT: 0
; COMPUTE_PGM_RSRC3_GFX90A:ACCUM_OFFSET: 0
; COMPUTE_PGM_RSRC3_GFX90A:TG_SPLIT: 0
	.section	.text._ZN7rocprim17ROCPRIM_400000_NS6detail17trampoline_kernelINS0_14default_configENS1_25partition_config_selectorILNS1_17partition_subalgoE8ElNS0_10empty_typeEbEEZZNS1_14partition_implILS5_8ELb0ES3_jPlPS6_PKS6_NS0_5tupleIJS9_S6_EEENSD_IJSA_SA_EEENS0_18inequality_wrapperIZN2at6native12_GLOBAL__N_124unique_dim_cuda_templateIjEESt5tupleIJNSH_6TensorESM_SM_EERKSM_lbbbEUlllE0_EEPmJS6_EEE10hipError_tPvRmT3_T4_T5_T6_T7_T9_mT8_P12ihipStream_tbDpT10_ENKUlT_T0_E_clISt17integral_constantIbLb0EES1B_IbLb1EEEEDaS17_S18_EUlS17_E_NS1_11comp_targetILNS1_3genE2ELNS1_11target_archE906ELNS1_3gpuE6ELNS1_3repE0EEENS1_30default_config_static_selectorELNS0_4arch9wavefront6targetE1EEEvT1_,"axG",@progbits,_ZN7rocprim17ROCPRIM_400000_NS6detail17trampoline_kernelINS0_14default_configENS1_25partition_config_selectorILNS1_17partition_subalgoE8ElNS0_10empty_typeEbEEZZNS1_14partition_implILS5_8ELb0ES3_jPlPS6_PKS6_NS0_5tupleIJS9_S6_EEENSD_IJSA_SA_EEENS0_18inequality_wrapperIZN2at6native12_GLOBAL__N_124unique_dim_cuda_templateIjEESt5tupleIJNSH_6TensorESM_SM_EERKSM_lbbbEUlllE0_EEPmJS6_EEE10hipError_tPvRmT3_T4_T5_T6_T7_T9_mT8_P12ihipStream_tbDpT10_ENKUlT_T0_E_clISt17integral_constantIbLb0EES1B_IbLb1EEEEDaS17_S18_EUlS17_E_NS1_11comp_targetILNS1_3genE2ELNS1_11target_archE906ELNS1_3gpuE6ELNS1_3repE0EEENS1_30default_config_static_selectorELNS0_4arch9wavefront6targetE1EEEvT1_,comdat
	.globl	_ZN7rocprim17ROCPRIM_400000_NS6detail17trampoline_kernelINS0_14default_configENS1_25partition_config_selectorILNS1_17partition_subalgoE8ElNS0_10empty_typeEbEEZZNS1_14partition_implILS5_8ELb0ES3_jPlPS6_PKS6_NS0_5tupleIJS9_S6_EEENSD_IJSA_SA_EEENS0_18inequality_wrapperIZN2at6native12_GLOBAL__N_124unique_dim_cuda_templateIjEESt5tupleIJNSH_6TensorESM_SM_EERKSM_lbbbEUlllE0_EEPmJS6_EEE10hipError_tPvRmT3_T4_T5_T6_T7_T9_mT8_P12ihipStream_tbDpT10_ENKUlT_T0_E_clISt17integral_constantIbLb0EES1B_IbLb1EEEEDaS17_S18_EUlS17_E_NS1_11comp_targetILNS1_3genE2ELNS1_11target_archE906ELNS1_3gpuE6ELNS1_3repE0EEENS1_30default_config_static_selectorELNS0_4arch9wavefront6targetE1EEEvT1_ ; -- Begin function _ZN7rocprim17ROCPRIM_400000_NS6detail17trampoline_kernelINS0_14default_configENS1_25partition_config_selectorILNS1_17partition_subalgoE8ElNS0_10empty_typeEbEEZZNS1_14partition_implILS5_8ELb0ES3_jPlPS6_PKS6_NS0_5tupleIJS9_S6_EEENSD_IJSA_SA_EEENS0_18inequality_wrapperIZN2at6native12_GLOBAL__N_124unique_dim_cuda_templateIjEESt5tupleIJNSH_6TensorESM_SM_EERKSM_lbbbEUlllE0_EEPmJS6_EEE10hipError_tPvRmT3_T4_T5_T6_T7_T9_mT8_P12ihipStream_tbDpT10_ENKUlT_T0_E_clISt17integral_constantIbLb0EES1B_IbLb1EEEEDaS17_S18_EUlS17_E_NS1_11comp_targetILNS1_3genE2ELNS1_11target_archE906ELNS1_3gpuE6ELNS1_3repE0EEENS1_30default_config_static_selectorELNS0_4arch9wavefront6targetE1EEEvT1_
	.p2align	8
	.type	_ZN7rocprim17ROCPRIM_400000_NS6detail17trampoline_kernelINS0_14default_configENS1_25partition_config_selectorILNS1_17partition_subalgoE8ElNS0_10empty_typeEbEEZZNS1_14partition_implILS5_8ELb0ES3_jPlPS6_PKS6_NS0_5tupleIJS9_S6_EEENSD_IJSA_SA_EEENS0_18inequality_wrapperIZN2at6native12_GLOBAL__N_124unique_dim_cuda_templateIjEESt5tupleIJNSH_6TensorESM_SM_EERKSM_lbbbEUlllE0_EEPmJS6_EEE10hipError_tPvRmT3_T4_T5_T6_T7_T9_mT8_P12ihipStream_tbDpT10_ENKUlT_T0_E_clISt17integral_constantIbLb0EES1B_IbLb1EEEEDaS17_S18_EUlS17_E_NS1_11comp_targetILNS1_3genE2ELNS1_11target_archE906ELNS1_3gpuE6ELNS1_3repE0EEENS1_30default_config_static_selectorELNS0_4arch9wavefront6targetE1EEEvT1_,@function
_ZN7rocprim17ROCPRIM_400000_NS6detail17trampoline_kernelINS0_14default_configENS1_25partition_config_selectorILNS1_17partition_subalgoE8ElNS0_10empty_typeEbEEZZNS1_14partition_implILS5_8ELb0ES3_jPlPS6_PKS6_NS0_5tupleIJS9_S6_EEENSD_IJSA_SA_EEENS0_18inequality_wrapperIZN2at6native12_GLOBAL__N_124unique_dim_cuda_templateIjEESt5tupleIJNSH_6TensorESM_SM_EERKSM_lbbbEUlllE0_EEPmJS6_EEE10hipError_tPvRmT3_T4_T5_T6_T7_T9_mT8_P12ihipStream_tbDpT10_ENKUlT_T0_E_clISt17integral_constantIbLb0EES1B_IbLb1EEEEDaS17_S18_EUlS17_E_NS1_11comp_targetILNS1_3genE2ELNS1_11target_archE906ELNS1_3gpuE6ELNS1_3repE0EEENS1_30default_config_static_selectorELNS0_4arch9wavefront6targetE1EEEvT1_: ; @_ZN7rocprim17ROCPRIM_400000_NS6detail17trampoline_kernelINS0_14default_configENS1_25partition_config_selectorILNS1_17partition_subalgoE8ElNS0_10empty_typeEbEEZZNS1_14partition_implILS5_8ELb0ES3_jPlPS6_PKS6_NS0_5tupleIJS9_S6_EEENSD_IJSA_SA_EEENS0_18inequality_wrapperIZN2at6native12_GLOBAL__N_124unique_dim_cuda_templateIjEESt5tupleIJNSH_6TensorESM_SM_EERKSM_lbbbEUlllE0_EEPmJS6_EEE10hipError_tPvRmT3_T4_T5_T6_T7_T9_mT8_P12ihipStream_tbDpT10_ENKUlT_T0_E_clISt17integral_constantIbLb0EES1B_IbLb1EEEEDaS17_S18_EUlS17_E_NS1_11comp_targetILNS1_3genE2ELNS1_11target_archE906ELNS1_3gpuE6ELNS1_3repE0EEENS1_30default_config_static_selectorELNS0_4arch9wavefront6targetE1EEEvT1_
; %bb.0:
	.section	.rodata,"a",@progbits
	.p2align	6, 0x0
	.amdhsa_kernel _ZN7rocprim17ROCPRIM_400000_NS6detail17trampoline_kernelINS0_14default_configENS1_25partition_config_selectorILNS1_17partition_subalgoE8ElNS0_10empty_typeEbEEZZNS1_14partition_implILS5_8ELb0ES3_jPlPS6_PKS6_NS0_5tupleIJS9_S6_EEENSD_IJSA_SA_EEENS0_18inequality_wrapperIZN2at6native12_GLOBAL__N_124unique_dim_cuda_templateIjEESt5tupleIJNSH_6TensorESM_SM_EERKSM_lbbbEUlllE0_EEPmJS6_EEE10hipError_tPvRmT3_T4_T5_T6_T7_T9_mT8_P12ihipStream_tbDpT10_ENKUlT_T0_E_clISt17integral_constantIbLb0EES1B_IbLb1EEEEDaS17_S18_EUlS17_E_NS1_11comp_targetILNS1_3genE2ELNS1_11target_archE906ELNS1_3gpuE6ELNS1_3repE0EEENS1_30default_config_static_selectorELNS0_4arch9wavefront6targetE1EEEvT1_
		.amdhsa_group_segment_fixed_size 0
		.amdhsa_private_segment_fixed_size 0
		.amdhsa_kernarg_size 136
		.amdhsa_user_sgpr_count 2
		.amdhsa_user_sgpr_dispatch_ptr 0
		.amdhsa_user_sgpr_queue_ptr 0
		.amdhsa_user_sgpr_kernarg_segment_ptr 1
		.amdhsa_user_sgpr_dispatch_id 0
		.amdhsa_user_sgpr_kernarg_preload_length 0
		.amdhsa_user_sgpr_kernarg_preload_offset 0
		.amdhsa_user_sgpr_private_segment_size 0
		.amdhsa_uses_dynamic_stack 0
		.amdhsa_enable_private_segment 0
		.amdhsa_system_sgpr_workgroup_id_x 1
		.amdhsa_system_sgpr_workgroup_id_y 0
		.amdhsa_system_sgpr_workgroup_id_z 0
		.amdhsa_system_sgpr_workgroup_info 0
		.amdhsa_system_vgpr_workitem_id 0
		.amdhsa_next_free_vgpr 1
		.amdhsa_next_free_sgpr 0
		.amdhsa_accum_offset 4
		.amdhsa_reserve_vcc 0
		.amdhsa_float_round_mode_32 0
		.amdhsa_float_round_mode_16_64 0
		.amdhsa_float_denorm_mode_32 3
		.amdhsa_float_denorm_mode_16_64 3
		.amdhsa_dx10_clamp 1
		.amdhsa_ieee_mode 1
		.amdhsa_fp16_overflow 0
		.amdhsa_tg_split 0
		.amdhsa_exception_fp_ieee_invalid_op 0
		.amdhsa_exception_fp_denorm_src 0
		.amdhsa_exception_fp_ieee_div_zero 0
		.amdhsa_exception_fp_ieee_overflow 0
		.amdhsa_exception_fp_ieee_underflow 0
		.amdhsa_exception_fp_ieee_inexact 0
		.amdhsa_exception_int_div_zero 0
	.end_amdhsa_kernel
	.section	.text._ZN7rocprim17ROCPRIM_400000_NS6detail17trampoline_kernelINS0_14default_configENS1_25partition_config_selectorILNS1_17partition_subalgoE8ElNS0_10empty_typeEbEEZZNS1_14partition_implILS5_8ELb0ES3_jPlPS6_PKS6_NS0_5tupleIJS9_S6_EEENSD_IJSA_SA_EEENS0_18inequality_wrapperIZN2at6native12_GLOBAL__N_124unique_dim_cuda_templateIjEESt5tupleIJNSH_6TensorESM_SM_EERKSM_lbbbEUlllE0_EEPmJS6_EEE10hipError_tPvRmT3_T4_T5_T6_T7_T9_mT8_P12ihipStream_tbDpT10_ENKUlT_T0_E_clISt17integral_constantIbLb0EES1B_IbLb1EEEEDaS17_S18_EUlS17_E_NS1_11comp_targetILNS1_3genE2ELNS1_11target_archE906ELNS1_3gpuE6ELNS1_3repE0EEENS1_30default_config_static_selectorELNS0_4arch9wavefront6targetE1EEEvT1_,"axG",@progbits,_ZN7rocprim17ROCPRIM_400000_NS6detail17trampoline_kernelINS0_14default_configENS1_25partition_config_selectorILNS1_17partition_subalgoE8ElNS0_10empty_typeEbEEZZNS1_14partition_implILS5_8ELb0ES3_jPlPS6_PKS6_NS0_5tupleIJS9_S6_EEENSD_IJSA_SA_EEENS0_18inequality_wrapperIZN2at6native12_GLOBAL__N_124unique_dim_cuda_templateIjEESt5tupleIJNSH_6TensorESM_SM_EERKSM_lbbbEUlllE0_EEPmJS6_EEE10hipError_tPvRmT3_T4_T5_T6_T7_T9_mT8_P12ihipStream_tbDpT10_ENKUlT_T0_E_clISt17integral_constantIbLb0EES1B_IbLb1EEEEDaS17_S18_EUlS17_E_NS1_11comp_targetILNS1_3genE2ELNS1_11target_archE906ELNS1_3gpuE6ELNS1_3repE0EEENS1_30default_config_static_selectorELNS0_4arch9wavefront6targetE1EEEvT1_,comdat
.Lfunc_end1579:
	.size	_ZN7rocprim17ROCPRIM_400000_NS6detail17trampoline_kernelINS0_14default_configENS1_25partition_config_selectorILNS1_17partition_subalgoE8ElNS0_10empty_typeEbEEZZNS1_14partition_implILS5_8ELb0ES3_jPlPS6_PKS6_NS0_5tupleIJS9_S6_EEENSD_IJSA_SA_EEENS0_18inequality_wrapperIZN2at6native12_GLOBAL__N_124unique_dim_cuda_templateIjEESt5tupleIJNSH_6TensorESM_SM_EERKSM_lbbbEUlllE0_EEPmJS6_EEE10hipError_tPvRmT3_T4_T5_T6_T7_T9_mT8_P12ihipStream_tbDpT10_ENKUlT_T0_E_clISt17integral_constantIbLb0EES1B_IbLb1EEEEDaS17_S18_EUlS17_E_NS1_11comp_targetILNS1_3genE2ELNS1_11target_archE906ELNS1_3gpuE6ELNS1_3repE0EEENS1_30default_config_static_selectorELNS0_4arch9wavefront6targetE1EEEvT1_, .Lfunc_end1579-_ZN7rocprim17ROCPRIM_400000_NS6detail17trampoline_kernelINS0_14default_configENS1_25partition_config_selectorILNS1_17partition_subalgoE8ElNS0_10empty_typeEbEEZZNS1_14partition_implILS5_8ELb0ES3_jPlPS6_PKS6_NS0_5tupleIJS9_S6_EEENSD_IJSA_SA_EEENS0_18inequality_wrapperIZN2at6native12_GLOBAL__N_124unique_dim_cuda_templateIjEESt5tupleIJNSH_6TensorESM_SM_EERKSM_lbbbEUlllE0_EEPmJS6_EEE10hipError_tPvRmT3_T4_T5_T6_T7_T9_mT8_P12ihipStream_tbDpT10_ENKUlT_T0_E_clISt17integral_constantIbLb0EES1B_IbLb1EEEEDaS17_S18_EUlS17_E_NS1_11comp_targetILNS1_3genE2ELNS1_11target_archE906ELNS1_3gpuE6ELNS1_3repE0EEENS1_30default_config_static_selectorELNS0_4arch9wavefront6targetE1EEEvT1_
                                        ; -- End function
	.section	.AMDGPU.csdata,"",@progbits
; Kernel info:
; codeLenInByte = 0
; NumSgprs: 6
; NumVgprs: 0
; NumAgprs: 0
; TotalNumVgprs: 0
; ScratchSize: 0
; MemoryBound: 0
; FloatMode: 240
; IeeeMode: 1
; LDSByteSize: 0 bytes/workgroup (compile time only)
; SGPRBlocks: 0
; VGPRBlocks: 0
; NumSGPRsForWavesPerEU: 6
; NumVGPRsForWavesPerEU: 1
; AccumOffset: 4
; Occupancy: 8
; WaveLimiterHint : 0
; COMPUTE_PGM_RSRC2:SCRATCH_EN: 0
; COMPUTE_PGM_RSRC2:USER_SGPR: 2
; COMPUTE_PGM_RSRC2:TRAP_HANDLER: 0
; COMPUTE_PGM_RSRC2:TGID_X_EN: 1
; COMPUTE_PGM_RSRC2:TGID_Y_EN: 0
; COMPUTE_PGM_RSRC2:TGID_Z_EN: 0
; COMPUTE_PGM_RSRC2:TIDIG_COMP_CNT: 0
; COMPUTE_PGM_RSRC3_GFX90A:ACCUM_OFFSET: 0
; COMPUTE_PGM_RSRC3_GFX90A:TG_SPLIT: 0
	.section	.text._ZN7rocprim17ROCPRIM_400000_NS6detail17trampoline_kernelINS0_14default_configENS1_25partition_config_selectorILNS1_17partition_subalgoE8ElNS0_10empty_typeEbEEZZNS1_14partition_implILS5_8ELb0ES3_jPlPS6_PKS6_NS0_5tupleIJS9_S6_EEENSD_IJSA_SA_EEENS0_18inequality_wrapperIZN2at6native12_GLOBAL__N_124unique_dim_cuda_templateIjEESt5tupleIJNSH_6TensorESM_SM_EERKSM_lbbbEUlllE0_EEPmJS6_EEE10hipError_tPvRmT3_T4_T5_T6_T7_T9_mT8_P12ihipStream_tbDpT10_ENKUlT_T0_E_clISt17integral_constantIbLb0EES1B_IbLb1EEEEDaS17_S18_EUlS17_E_NS1_11comp_targetILNS1_3genE10ELNS1_11target_archE1200ELNS1_3gpuE4ELNS1_3repE0EEENS1_30default_config_static_selectorELNS0_4arch9wavefront6targetE1EEEvT1_,"axG",@progbits,_ZN7rocprim17ROCPRIM_400000_NS6detail17trampoline_kernelINS0_14default_configENS1_25partition_config_selectorILNS1_17partition_subalgoE8ElNS0_10empty_typeEbEEZZNS1_14partition_implILS5_8ELb0ES3_jPlPS6_PKS6_NS0_5tupleIJS9_S6_EEENSD_IJSA_SA_EEENS0_18inequality_wrapperIZN2at6native12_GLOBAL__N_124unique_dim_cuda_templateIjEESt5tupleIJNSH_6TensorESM_SM_EERKSM_lbbbEUlllE0_EEPmJS6_EEE10hipError_tPvRmT3_T4_T5_T6_T7_T9_mT8_P12ihipStream_tbDpT10_ENKUlT_T0_E_clISt17integral_constantIbLb0EES1B_IbLb1EEEEDaS17_S18_EUlS17_E_NS1_11comp_targetILNS1_3genE10ELNS1_11target_archE1200ELNS1_3gpuE4ELNS1_3repE0EEENS1_30default_config_static_selectorELNS0_4arch9wavefront6targetE1EEEvT1_,comdat
	.globl	_ZN7rocprim17ROCPRIM_400000_NS6detail17trampoline_kernelINS0_14default_configENS1_25partition_config_selectorILNS1_17partition_subalgoE8ElNS0_10empty_typeEbEEZZNS1_14partition_implILS5_8ELb0ES3_jPlPS6_PKS6_NS0_5tupleIJS9_S6_EEENSD_IJSA_SA_EEENS0_18inequality_wrapperIZN2at6native12_GLOBAL__N_124unique_dim_cuda_templateIjEESt5tupleIJNSH_6TensorESM_SM_EERKSM_lbbbEUlllE0_EEPmJS6_EEE10hipError_tPvRmT3_T4_T5_T6_T7_T9_mT8_P12ihipStream_tbDpT10_ENKUlT_T0_E_clISt17integral_constantIbLb0EES1B_IbLb1EEEEDaS17_S18_EUlS17_E_NS1_11comp_targetILNS1_3genE10ELNS1_11target_archE1200ELNS1_3gpuE4ELNS1_3repE0EEENS1_30default_config_static_selectorELNS0_4arch9wavefront6targetE1EEEvT1_ ; -- Begin function _ZN7rocprim17ROCPRIM_400000_NS6detail17trampoline_kernelINS0_14default_configENS1_25partition_config_selectorILNS1_17partition_subalgoE8ElNS0_10empty_typeEbEEZZNS1_14partition_implILS5_8ELb0ES3_jPlPS6_PKS6_NS0_5tupleIJS9_S6_EEENSD_IJSA_SA_EEENS0_18inequality_wrapperIZN2at6native12_GLOBAL__N_124unique_dim_cuda_templateIjEESt5tupleIJNSH_6TensorESM_SM_EERKSM_lbbbEUlllE0_EEPmJS6_EEE10hipError_tPvRmT3_T4_T5_T6_T7_T9_mT8_P12ihipStream_tbDpT10_ENKUlT_T0_E_clISt17integral_constantIbLb0EES1B_IbLb1EEEEDaS17_S18_EUlS17_E_NS1_11comp_targetILNS1_3genE10ELNS1_11target_archE1200ELNS1_3gpuE4ELNS1_3repE0EEENS1_30default_config_static_selectorELNS0_4arch9wavefront6targetE1EEEvT1_
	.p2align	8
	.type	_ZN7rocprim17ROCPRIM_400000_NS6detail17trampoline_kernelINS0_14default_configENS1_25partition_config_selectorILNS1_17partition_subalgoE8ElNS0_10empty_typeEbEEZZNS1_14partition_implILS5_8ELb0ES3_jPlPS6_PKS6_NS0_5tupleIJS9_S6_EEENSD_IJSA_SA_EEENS0_18inequality_wrapperIZN2at6native12_GLOBAL__N_124unique_dim_cuda_templateIjEESt5tupleIJNSH_6TensorESM_SM_EERKSM_lbbbEUlllE0_EEPmJS6_EEE10hipError_tPvRmT3_T4_T5_T6_T7_T9_mT8_P12ihipStream_tbDpT10_ENKUlT_T0_E_clISt17integral_constantIbLb0EES1B_IbLb1EEEEDaS17_S18_EUlS17_E_NS1_11comp_targetILNS1_3genE10ELNS1_11target_archE1200ELNS1_3gpuE4ELNS1_3repE0EEENS1_30default_config_static_selectorELNS0_4arch9wavefront6targetE1EEEvT1_,@function
_ZN7rocprim17ROCPRIM_400000_NS6detail17trampoline_kernelINS0_14default_configENS1_25partition_config_selectorILNS1_17partition_subalgoE8ElNS0_10empty_typeEbEEZZNS1_14partition_implILS5_8ELb0ES3_jPlPS6_PKS6_NS0_5tupleIJS9_S6_EEENSD_IJSA_SA_EEENS0_18inequality_wrapperIZN2at6native12_GLOBAL__N_124unique_dim_cuda_templateIjEESt5tupleIJNSH_6TensorESM_SM_EERKSM_lbbbEUlllE0_EEPmJS6_EEE10hipError_tPvRmT3_T4_T5_T6_T7_T9_mT8_P12ihipStream_tbDpT10_ENKUlT_T0_E_clISt17integral_constantIbLb0EES1B_IbLb1EEEEDaS17_S18_EUlS17_E_NS1_11comp_targetILNS1_3genE10ELNS1_11target_archE1200ELNS1_3gpuE4ELNS1_3repE0EEENS1_30default_config_static_selectorELNS0_4arch9wavefront6targetE1EEEvT1_: ; @_ZN7rocprim17ROCPRIM_400000_NS6detail17trampoline_kernelINS0_14default_configENS1_25partition_config_selectorILNS1_17partition_subalgoE8ElNS0_10empty_typeEbEEZZNS1_14partition_implILS5_8ELb0ES3_jPlPS6_PKS6_NS0_5tupleIJS9_S6_EEENSD_IJSA_SA_EEENS0_18inequality_wrapperIZN2at6native12_GLOBAL__N_124unique_dim_cuda_templateIjEESt5tupleIJNSH_6TensorESM_SM_EERKSM_lbbbEUlllE0_EEPmJS6_EEE10hipError_tPvRmT3_T4_T5_T6_T7_T9_mT8_P12ihipStream_tbDpT10_ENKUlT_T0_E_clISt17integral_constantIbLb0EES1B_IbLb1EEEEDaS17_S18_EUlS17_E_NS1_11comp_targetILNS1_3genE10ELNS1_11target_archE1200ELNS1_3gpuE4ELNS1_3repE0EEENS1_30default_config_static_selectorELNS0_4arch9wavefront6targetE1EEEvT1_
; %bb.0:
	.section	.rodata,"a",@progbits
	.p2align	6, 0x0
	.amdhsa_kernel _ZN7rocprim17ROCPRIM_400000_NS6detail17trampoline_kernelINS0_14default_configENS1_25partition_config_selectorILNS1_17partition_subalgoE8ElNS0_10empty_typeEbEEZZNS1_14partition_implILS5_8ELb0ES3_jPlPS6_PKS6_NS0_5tupleIJS9_S6_EEENSD_IJSA_SA_EEENS0_18inequality_wrapperIZN2at6native12_GLOBAL__N_124unique_dim_cuda_templateIjEESt5tupleIJNSH_6TensorESM_SM_EERKSM_lbbbEUlllE0_EEPmJS6_EEE10hipError_tPvRmT3_T4_T5_T6_T7_T9_mT8_P12ihipStream_tbDpT10_ENKUlT_T0_E_clISt17integral_constantIbLb0EES1B_IbLb1EEEEDaS17_S18_EUlS17_E_NS1_11comp_targetILNS1_3genE10ELNS1_11target_archE1200ELNS1_3gpuE4ELNS1_3repE0EEENS1_30default_config_static_selectorELNS0_4arch9wavefront6targetE1EEEvT1_
		.amdhsa_group_segment_fixed_size 0
		.amdhsa_private_segment_fixed_size 0
		.amdhsa_kernarg_size 136
		.amdhsa_user_sgpr_count 2
		.amdhsa_user_sgpr_dispatch_ptr 0
		.amdhsa_user_sgpr_queue_ptr 0
		.amdhsa_user_sgpr_kernarg_segment_ptr 1
		.amdhsa_user_sgpr_dispatch_id 0
		.amdhsa_user_sgpr_kernarg_preload_length 0
		.amdhsa_user_sgpr_kernarg_preload_offset 0
		.amdhsa_user_sgpr_private_segment_size 0
		.amdhsa_uses_dynamic_stack 0
		.amdhsa_enable_private_segment 0
		.amdhsa_system_sgpr_workgroup_id_x 1
		.amdhsa_system_sgpr_workgroup_id_y 0
		.amdhsa_system_sgpr_workgroup_id_z 0
		.amdhsa_system_sgpr_workgroup_info 0
		.amdhsa_system_vgpr_workitem_id 0
		.amdhsa_next_free_vgpr 1
		.amdhsa_next_free_sgpr 0
		.amdhsa_accum_offset 4
		.amdhsa_reserve_vcc 0
		.amdhsa_float_round_mode_32 0
		.amdhsa_float_round_mode_16_64 0
		.amdhsa_float_denorm_mode_32 3
		.amdhsa_float_denorm_mode_16_64 3
		.amdhsa_dx10_clamp 1
		.amdhsa_ieee_mode 1
		.amdhsa_fp16_overflow 0
		.amdhsa_tg_split 0
		.amdhsa_exception_fp_ieee_invalid_op 0
		.amdhsa_exception_fp_denorm_src 0
		.amdhsa_exception_fp_ieee_div_zero 0
		.amdhsa_exception_fp_ieee_overflow 0
		.amdhsa_exception_fp_ieee_underflow 0
		.amdhsa_exception_fp_ieee_inexact 0
		.amdhsa_exception_int_div_zero 0
	.end_amdhsa_kernel
	.section	.text._ZN7rocprim17ROCPRIM_400000_NS6detail17trampoline_kernelINS0_14default_configENS1_25partition_config_selectorILNS1_17partition_subalgoE8ElNS0_10empty_typeEbEEZZNS1_14partition_implILS5_8ELb0ES3_jPlPS6_PKS6_NS0_5tupleIJS9_S6_EEENSD_IJSA_SA_EEENS0_18inequality_wrapperIZN2at6native12_GLOBAL__N_124unique_dim_cuda_templateIjEESt5tupleIJNSH_6TensorESM_SM_EERKSM_lbbbEUlllE0_EEPmJS6_EEE10hipError_tPvRmT3_T4_T5_T6_T7_T9_mT8_P12ihipStream_tbDpT10_ENKUlT_T0_E_clISt17integral_constantIbLb0EES1B_IbLb1EEEEDaS17_S18_EUlS17_E_NS1_11comp_targetILNS1_3genE10ELNS1_11target_archE1200ELNS1_3gpuE4ELNS1_3repE0EEENS1_30default_config_static_selectorELNS0_4arch9wavefront6targetE1EEEvT1_,"axG",@progbits,_ZN7rocprim17ROCPRIM_400000_NS6detail17trampoline_kernelINS0_14default_configENS1_25partition_config_selectorILNS1_17partition_subalgoE8ElNS0_10empty_typeEbEEZZNS1_14partition_implILS5_8ELb0ES3_jPlPS6_PKS6_NS0_5tupleIJS9_S6_EEENSD_IJSA_SA_EEENS0_18inequality_wrapperIZN2at6native12_GLOBAL__N_124unique_dim_cuda_templateIjEESt5tupleIJNSH_6TensorESM_SM_EERKSM_lbbbEUlllE0_EEPmJS6_EEE10hipError_tPvRmT3_T4_T5_T6_T7_T9_mT8_P12ihipStream_tbDpT10_ENKUlT_T0_E_clISt17integral_constantIbLb0EES1B_IbLb1EEEEDaS17_S18_EUlS17_E_NS1_11comp_targetILNS1_3genE10ELNS1_11target_archE1200ELNS1_3gpuE4ELNS1_3repE0EEENS1_30default_config_static_selectorELNS0_4arch9wavefront6targetE1EEEvT1_,comdat
.Lfunc_end1580:
	.size	_ZN7rocprim17ROCPRIM_400000_NS6detail17trampoline_kernelINS0_14default_configENS1_25partition_config_selectorILNS1_17partition_subalgoE8ElNS0_10empty_typeEbEEZZNS1_14partition_implILS5_8ELb0ES3_jPlPS6_PKS6_NS0_5tupleIJS9_S6_EEENSD_IJSA_SA_EEENS0_18inequality_wrapperIZN2at6native12_GLOBAL__N_124unique_dim_cuda_templateIjEESt5tupleIJNSH_6TensorESM_SM_EERKSM_lbbbEUlllE0_EEPmJS6_EEE10hipError_tPvRmT3_T4_T5_T6_T7_T9_mT8_P12ihipStream_tbDpT10_ENKUlT_T0_E_clISt17integral_constantIbLb0EES1B_IbLb1EEEEDaS17_S18_EUlS17_E_NS1_11comp_targetILNS1_3genE10ELNS1_11target_archE1200ELNS1_3gpuE4ELNS1_3repE0EEENS1_30default_config_static_selectorELNS0_4arch9wavefront6targetE1EEEvT1_, .Lfunc_end1580-_ZN7rocprim17ROCPRIM_400000_NS6detail17trampoline_kernelINS0_14default_configENS1_25partition_config_selectorILNS1_17partition_subalgoE8ElNS0_10empty_typeEbEEZZNS1_14partition_implILS5_8ELb0ES3_jPlPS6_PKS6_NS0_5tupleIJS9_S6_EEENSD_IJSA_SA_EEENS0_18inequality_wrapperIZN2at6native12_GLOBAL__N_124unique_dim_cuda_templateIjEESt5tupleIJNSH_6TensorESM_SM_EERKSM_lbbbEUlllE0_EEPmJS6_EEE10hipError_tPvRmT3_T4_T5_T6_T7_T9_mT8_P12ihipStream_tbDpT10_ENKUlT_T0_E_clISt17integral_constantIbLb0EES1B_IbLb1EEEEDaS17_S18_EUlS17_E_NS1_11comp_targetILNS1_3genE10ELNS1_11target_archE1200ELNS1_3gpuE4ELNS1_3repE0EEENS1_30default_config_static_selectorELNS0_4arch9wavefront6targetE1EEEvT1_
                                        ; -- End function
	.section	.AMDGPU.csdata,"",@progbits
; Kernel info:
; codeLenInByte = 0
; NumSgprs: 6
; NumVgprs: 0
; NumAgprs: 0
; TotalNumVgprs: 0
; ScratchSize: 0
; MemoryBound: 0
; FloatMode: 240
; IeeeMode: 1
; LDSByteSize: 0 bytes/workgroup (compile time only)
; SGPRBlocks: 0
; VGPRBlocks: 0
; NumSGPRsForWavesPerEU: 6
; NumVGPRsForWavesPerEU: 1
; AccumOffset: 4
; Occupancy: 8
; WaveLimiterHint : 0
; COMPUTE_PGM_RSRC2:SCRATCH_EN: 0
; COMPUTE_PGM_RSRC2:USER_SGPR: 2
; COMPUTE_PGM_RSRC2:TRAP_HANDLER: 0
; COMPUTE_PGM_RSRC2:TGID_X_EN: 1
; COMPUTE_PGM_RSRC2:TGID_Y_EN: 0
; COMPUTE_PGM_RSRC2:TGID_Z_EN: 0
; COMPUTE_PGM_RSRC2:TIDIG_COMP_CNT: 0
; COMPUTE_PGM_RSRC3_GFX90A:ACCUM_OFFSET: 0
; COMPUTE_PGM_RSRC3_GFX90A:TG_SPLIT: 0
	.section	.text._ZN7rocprim17ROCPRIM_400000_NS6detail17trampoline_kernelINS0_14default_configENS1_25partition_config_selectorILNS1_17partition_subalgoE8ElNS0_10empty_typeEbEEZZNS1_14partition_implILS5_8ELb0ES3_jPlPS6_PKS6_NS0_5tupleIJS9_S6_EEENSD_IJSA_SA_EEENS0_18inequality_wrapperIZN2at6native12_GLOBAL__N_124unique_dim_cuda_templateIjEESt5tupleIJNSH_6TensorESM_SM_EERKSM_lbbbEUlllE0_EEPmJS6_EEE10hipError_tPvRmT3_T4_T5_T6_T7_T9_mT8_P12ihipStream_tbDpT10_ENKUlT_T0_E_clISt17integral_constantIbLb0EES1B_IbLb1EEEEDaS17_S18_EUlS17_E_NS1_11comp_targetILNS1_3genE9ELNS1_11target_archE1100ELNS1_3gpuE3ELNS1_3repE0EEENS1_30default_config_static_selectorELNS0_4arch9wavefront6targetE1EEEvT1_,"axG",@progbits,_ZN7rocprim17ROCPRIM_400000_NS6detail17trampoline_kernelINS0_14default_configENS1_25partition_config_selectorILNS1_17partition_subalgoE8ElNS0_10empty_typeEbEEZZNS1_14partition_implILS5_8ELb0ES3_jPlPS6_PKS6_NS0_5tupleIJS9_S6_EEENSD_IJSA_SA_EEENS0_18inequality_wrapperIZN2at6native12_GLOBAL__N_124unique_dim_cuda_templateIjEESt5tupleIJNSH_6TensorESM_SM_EERKSM_lbbbEUlllE0_EEPmJS6_EEE10hipError_tPvRmT3_T4_T5_T6_T7_T9_mT8_P12ihipStream_tbDpT10_ENKUlT_T0_E_clISt17integral_constantIbLb0EES1B_IbLb1EEEEDaS17_S18_EUlS17_E_NS1_11comp_targetILNS1_3genE9ELNS1_11target_archE1100ELNS1_3gpuE3ELNS1_3repE0EEENS1_30default_config_static_selectorELNS0_4arch9wavefront6targetE1EEEvT1_,comdat
	.globl	_ZN7rocprim17ROCPRIM_400000_NS6detail17trampoline_kernelINS0_14default_configENS1_25partition_config_selectorILNS1_17partition_subalgoE8ElNS0_10empty_typeEbEEZZNS1_14partition_implILS5_8ELb0ES3_jPlPS6_PKS6_NS0_5tupleIJS9_S6_EEENSD_IJSA_SA_EEENS0_18inequality_wrapperIZN2at6native12_GLOBAL__N_124unique_dim_cuda_templateIjEESt5tupleIJNSH_6TensorESM_SM_EERKSM_lbbbEUlllE0_EEPmJS6_EEE10hipError_tPvRmT3_T4_T5_T6_T7_T9_mT8_P12ihipStream_tbDpT10_ENKUlT_T0_E_clISt17integral_constantIbLb0EES1B_IbLb1EEEEDaS17_S18_EUlS17_E_NS1_11comp_targetILNS1_3genE9ELNS1_11target_archE1100ELNS1_3gpuE3ELNS1_3repE0EEENS1_30default_config_static_selectorELNS0_4arch9wavefront6targetE1EEEvT1_ ; -- Begin function _ZN7rocprim17ROCPRIM_400000_NS6detail17trampoline_kernelINS0_14default_configENS1_25partition_config_selectorILNS1_17partition_subalgoE8ElNS0_10empty_typeEbEEZZNS1_14partition_implILS5_8ELb0ES3_jPlPS6_PKS6_NS0_5tupleIJS9_S6_EEENSD_IJSA_SA_EEENS0_18inequality_wrapperIZN2at6native12_GLOBAL__N_124unique_dim_cuda_templateIjEESt5tupleIJNSH_6TensorESM_SM_EERKSM_lbbbEUlllE0_EEPmJS6_EEE10hipError_tPvRmT3_T4_T5_T6_T7_T9_mT8_P12ihipStream_tbDpT10_ENKUlT_T0_E_clISt17integral_constantIbLb0EES1B_IbLb1EEEEDaS17_S18_EUlS17_E_NS1_11comp_targetILNS1_3genE9ELNS1_11target_archE1100ELNS1_3gpuE3ELNS1_3repE0EEENS1_30default_config_static_selectorELNS0_4arch9wavefront6targetE1EEEvT1_
	.p2align	8
	.type	_ZN7rocprim17ROCPRIM_400000_NS6detail17trampoline_kernelINS0_14default_configENS1_25partition_config_selectorILNS1_17partition_subalgoE8ElNS0_10empty_typeEbEEZZNS1_14partition_implILS5_8ELb0ES3_jPlPS6_PKS6_NS0_5tupleIJS9_S6_EEENSD_IJSA_SA_EEENS0_18inequality_wrapperIZN2at6native12_GLOBAL__N_124unique_dim_cuda_templateIjEESt5tupleIJNSH_6TensorESM_SM_EERKSM_lbbbEUlllE0_EEPmJS6_EEE10hipError_tPvRmT3_T4_T5_T6_T7_T9_mT8_P12ihipStream_tbDpT10_ENKUlT_T0_E_clISt17integral_constantIbLb0EES1B_IbLb1EEEEDaS17_S18_EUlS17_E_NS1_11comp_targetILNS1_3genE9ELNS1_11target_archE1100ELNS1_3gpuE3ELNS1_3repE0EEENS1_30default_config_static_selectorELNS0_4arch9wavefront6targetE1EEEvT1_,@function
_ZN7rocprim17ROCPRIM_400000_NS6detail17trampoline_kernelINS0_14default_configENS1_25partition_config_selectorILNS1_17partition_subalgoE8ElNS0_10empty_typeEbEEZZNS1_14partition_implILS5_8ELb0ES3_jPlPS6_PKS6_NS0_5tupleIJS9_S6_EEENSD_IJSA_SA_EEENS0_18inequality_wrapperIZN2at6native12_GLOBAL__N_124unique_dim_cuda_templateIjEESt5tupleIJNSH_6TensorESM_SM_EERKSM_lbbbEUlllE0_EEPmJS6_EEE10hipError_tPvRmT3_T4_T5_T6_T7_T9_mT8_P12ihipStream_tbDpT10_ENKUlT_T0_E_clISt17integral_constantIbLb0EES1B_IbLb1EEEEDaS17_S18_EUlS17_E_NS1_11comp_targetILNS1_3genE9ELNS1_11target_archE1100ELNS1_3gpuE3ELNS1_3repE0EEENS1_30default_config_static_selectorELNS0_4arch9wavefront6targetE1EEEvT1_: ; @_ZN7rocprim17ROCPRIM_400000_NS6detail17trampoline_kernelINS0_14default_configENS1_25partition_config_selectorILNS1_17partition_subalgoE8ElNS0_10empty_typeEbEEZZNS1_14partition_implILS5_8ELb0ES3_jPlPS6_PKS6_NS0_5tupleIJS9_S6_EEENSD_IJSA_SA_EEENS0_18inequality_wrapperIZN2at6native12_GLOBAL__N_124unique_dim_cuda_templateIjEESt5tupleIJNSH_6TensorESM_SM_EERKSM_lbbbEUlllE0_EEPmJS6_EEE10hipError_tPvRmT3_T4_T5_T6_T7_T9_mT8_P12ihipStream_tbDpT10_ENKUlT_T0_E_clISt17integral_constantIbLb0EES1B_IbLb1EEEEDaS17_S18_EUlS17_E_NS1_11comp_targetILNS1_3genE9ELNS1_11target_archE1100ELNS1_3gpuE3ELNS1_3repE0EEENS1_30default_config_static_selectorELNS0_4arch9wavefront6targetE1EEEvT1_
; %bb.0:
	.section	.rodata,"a",@progbits
	.p2align	6, 0x0
	.amdhsa_kernel _ZN7rocprim17ROCPRIM_400000_NS6detail17trampoline_kernelINS0_14default_configENS1_25partition_config_selectorILNS1_17partition_subalgoE8ElNS0_10empty_typeEbEEZZNS1_14partition_implILS5_8ELb0ES3_jPlPS6_PKS6_NS0_5tupleIJS9_S6_EEENSD_IJSA_SA_EEENS0_18inequality_wrapperIZN2at6native12_GLOBAL__N_124unique_dim_cuda_templateIjEESt5tupleIJNSH_6TensorESM_SM_EERKSM_lbbbEUlllE0_EEPmJS6_EEE10hipError_tPvRmT3_T4_T5_T6_T7_T9_mT8_P12ihipStream_tbDpT10_ENKUlT_T0_E_clISt17integral_constantIbLb0EES1B_IbLb1EEEEDaS17_S18_EUlS17_E_NS1_11comp_targetILNS1_3genE9ELNS1_11target_archE1100ELNS1_3gpuE3ELNS1_3repE0EEENS1_30default_config_static_selectorELNS0_4arch9wavefront6targetE1EEEvT1_
		.amdhsa_group_segment_fixed_size 0
		.amdhsa_private_segment_fixed_size 0
		.amdhsa_kernarg_size 136
		.amdhsa_user_sgpr_count 2
		.amdhsa_user_sgpr_dispatch_ptr 0
		.amdhsa_user_sgpr_queue_ptr 0
		.amdhsa_user_sgpr_kernarg_segment_ptr 1
		.amdhsa_user_sgpr_dispatch_id 0
		.amdhsa_user_sgpr_kernarg_preload_length 0
		.amdhsa_user_sgpr_kernarg_preload_offset 0
		.amdhsa_user_sgpr_private_segment_size 0
		.amdhsa_uses_dynamic_stack 0
		.amdhsa_enable_private_segment 0
		.amdhsa_system_sgpr_workgroup_id_x 1
		.amdhsa_system_sgpr_workgroup_id_y 0
		.amdhsa_system_sgpr_workgroup_id_z 0
		.amdhsa_system_sgpr_workgroup_info 0
		.amdhsa_system_vgpr_workitem_id 0
		.amdhsa_next_free_vgpr 1
		.amdhsa_next_free_sgpr 0
		.amdhsa_accum_offset 4
		.amdhsa_reserve_vcc 0
		.amdhsa_float_round_mode_32 0
		.amdhsa_float_round_mode_16_64 0
		.amdhsa_float_denorm_mode_32 3
		.amdhsa_float_denorm_mode_16_64 3
		.amdhsa_dx10_clamp 1
		.amdhsa_ieee_mode 1
		.amdhsa_fp16_overflow 0
		.amdhsa_tg_split 0
		.amdhsa_exception_fp_ieee_invalid_op 0
		.amdhsa_exception_fp_denorm_src 0
		.amdhsa_exception_fp_ieee_div_zero 0
		.amdhsa_exception_fp_ieee_overflow 0
		.amdhsa_exception_fp_ieee_underflow 0
		.amdhsa_exception_fp_ieee_inexact 0
		.amdhsa_exception_int_div_zero 0
	.end_amdhsa_kernel
	.section	.text._ZN7rocprim17ROCPRIM_400000_NS6detail17trampoline_kernelINS0_14default_configENS1_25partition_config_selectorILNS1_17partition_subalgoE8ElNS0_10empty_typeEbEEZZNS1_14partition_implILS5_8ELb0ES3_jPlPS6_PKS6_NS0_5tupleIJS9_S6_EEENSD_IJSA_SA_EEENS0_18inequality_wrapperIZN2at6native12_GLOBAL__N_124unique_dim_cuda_templateIjEESt5tupleIJNSH_6TensorESM_SM_EERKSM_lbbbEUlllE0_EEPmJS6_EEE10hipError_tPvRmT3_T4_T5_T6_T7_T9_mT8_P12ihipStream_tbDpT10_ENKUlT_T0_E_clISt17integral_constantIbLb0EES1B_IbLb1EEEEDaS17_S18_EUlS17_E_NS1_11comp_targetILNS1_3genE9ELNS1_11target_archE1100ELNS1_3gpuE3ELNS1_3repE0EEENS1_30default_config_static_selectorELNS0_4arch9wavefront6targetE1EEEvT1_,"axG",@progbits,_ZN7rocprim17ROCPRIM_400000_NS6detail17trampoline_kernelINS0_14default_configENS1_25partition_config_selectorILNS1_17partition_subalgoE8ElNS0_10empty_typeEbEEZZNS1_14partition_implILS5_8ELb0ES3_jPlPS6_PKS6_NS0_5tupleIJS9_S6_EEENSD_IJSA_SA_EEENS0_18inequality_wrapperIZN2at6native12_GLOBAL__N_124unique_dim_cuda_templateIjEESt5tupleIJNSH_6TensorESM_SM_EERKSM_lbbbEUlllE0_EEPmJS6_EEE10hipError_tPvRmT3_T4_T5_T6_T7_T9_mT8_P12ihipStream_tbDpT10_ENKUlT_T0_E_clISt17integral_constantIbLb0EES1B_IbLb1EEEEDaS17_S18_EUlS17_E_NS1_11comp_targetILNS1_3genE9ELNS1_11target_archE1100ELNS1_3gpuE3ELNS1_3repE0EEENS1_30default_config_static_selectorELNS0_4arch9wavefront6targetE1EEEvT1_,comdat
.Lfunc_end1581:
	.size	_ZN7rocprim17ROCPRIM_400000_NS6detail17trampoline_kernelINS0_14default_configENS1_25partition_config_selectorILNS1_17partition_subalgoE8ElNS0_10empty_typeEbEEZZNS1_14partition_implILS5_8ELb0ES3_jPlPS6_PKS6_NS0_5tupleIJS9_S6_EEENSD_IJSA_SA_EEENS0_18inequality_wrapperIZN2at6native12_GLOBAL__N_124unique_dim_cuda_templateIjEESt5tupleIJNSH_6TensorESM_SM_EERKSM_lbbbEUlllE0_EEPmJS6_EEE10hipError_tPvRmT3_T4_T5_T6_T7_T9_mT8_P12ihipStream_tbDpT10_ENKUlT_T0_E_clISt17integral_constantIbLb0EES1B_IbLb1EEEEDaS17_S18_EUlS17_E_NS1_11comp_targetILNS1_3genE9ELNS1_11target_archE1100ELNS1_3gpuE3ELNS1_3repE0EEENS1_30default_config_static_selectorELNS0_4arch9wavefront6targetE1EEEvT1_, .Lfunc_end1581-_ZN7rocprim17ROCPRIM_400000_NS6detail17trampoline_kernelINS0_14default_configENS1_25partition_config_selectorILNS1_17partition_subalgoE8ElNS0_10empty_typeEbEEZZNS1_14partition_implILS5_8ELb0ES3_jPlPS6_PKS6_NS0_5tupleIJS9_S6_EEENSD_IJSA_SA_EEENS0_18inequality_wrapperIZN2at6native12_GLOBAL__N_124unique_dim_cuda_templateIjEESt5tupleIJNSH_6TensorESM_SM_EERKSM_lbbbEUlllE0_EEPmJS6_EEE10hipError_tPvRmT3_T4_T5_T6_T7_T9_mT8_P12ihipStream_tbDpT10_ENKUlT_T0_E_clISt17integral_constantIbLb0EES1B_IbLb1EEEEDaS17_S18_EUlS17_E_NS1_11comp_targetILNS1_3genE9ELNS1_11target_archE1100ELNS1_3gpuE3ELNS1_3repE0EEENS1_30default_config_static_selectorELNS0_4arch9wavefront6targetE1EEEvT1_
                                        ; -- End function
	.section	.AMDGPU.csdata,"",@progbits
; Kernel info:
; codeLenInByte = 0
; NumSgprs: 6
; NumVgprs: 0
; NumAgprs: 0
; TotalNumVgprs: 0
; ScratchSize: 0
; MemoryBound: 0
; FloatMode: 240
; IeeeMode: 1
; LDSByteSize: 0 bytes/workgroup (compile time only)
; SGPRBlocks: 0
; VGPRBlocks: 0
; NumSGPRsForWavesPerEU: 6
; NumVGPRsForWavesPerEU: 1
; AccumOffset: 4
; Occupancy: 8
; WaveLimiterHint : 0
; COMPUTE_PGM_RSRC2:SCRATCH_EN: 0
; COMPUTE_PGM_RSRC2:USER_SGPR: 2
; COMPUTE_PGM_RSRC2:TRAP_HANDLER: 0
; COMPUTE_PGM_RSRC2:TGID_X_EN: 1
; COMPUTE_PGM_RSRC2:TGID_Y_EN: 0
; COMPUTE_PGM_RSRC2:TGID_Z_EN: 0
; COMPUTE_PGM_RSRC2:TIDIG_COMP_CNT: 0
; COMPUTE_PGM_RSRC3_GFX90A:ACCUM_OFFSET: 0
; COMPUTE_PGM_RSRC3_GFX90A:TG_SPLIT: 0
	.section	.text._ZN7rocprim17ROCPRIM_400000_NS6detail17trampoline_kernelINS0_14default_configENS1_25partition_config_selectorILNS1_17partition_subalgoE8ElNS0_10empty_typeEbEEZZNS1_14partition_implILS5_8ELb0ES3_jPlPS6_PKS6_NS0_5tupleIJS9_S6_EEENSD_IJSA_SA_EEENS0_18inequality_wrapperIZN2at6native12_GLOBAL__N_124unique_dim_cuda_templateIjEESt5tupleIJNSH_6TensorESM_SM_EERKSM_lbbbEUlllE0_EEPmJS6_EEE10hipError_tPvRmT3_T4_T5_T6_T7_T9_mT8_P12ihipStream_tbDpT10_ENKUlT_T0_E_clISt17integral_constantIbLb0EES1B_IbLb1EEEEDaS17_S18_EUlS17_E_NS1_11comp_targetILNS1_3genE8ELNS1_11target_archE1030ELNS1_3gpuE2ELNS1_3repE0EEENS1_30default_config_static_selectorELNS0_4arch9wavefront6targetE1EEEvT1_,"axG",@progbits,_ZN7rocprim17ROCPRIM_400000_NS6detail17trampoline_kernelINS0_14default_configENS1_25partition_config_selectorILNS1_17partition_subalgoE8ElNS0_10empty_typeEbEEZZNS1_14partition_implILS5_8ELb0ES3_jPlPS6_PKS6_NS0_5tupleIJS9_S6_EEENSD_IJSA_SA_EEENS0_18inequality_wrapperIZN2at6native12_GLOBAL__N_124unique_dim_cuda_templateIjEESt5tupleIJNSH_6TensorESM_SM_EERKSM_lbbbEUlllE0_EEPmJS6_EEE10hipError_tPvRmT3_T4_T5_T6_T7_T9_mT8_P12ihipStream_tbDpT10_ENKUlT_T0_E_clISt17integral_constantIbLb0EES1B_IbLb1EEEEDaS17_S18_EUlS17_E_NS1_11comp_targetILNS1_3genE8ELNS1_11target_archE1030ELNS1_3gpuE2ELNS1_3repE0EEENS1_30default_config_static_selectorELNS0_4arch9wavefront6targetE1EEEvT1_,comdat
	.globl	_ZN7rocprim17ROCPRIM_400000_NS6detail17trampoline_kernelINS0_14default_configENS1_25partition_config_selectorILNS1_17partition_subalgoE8ElNS0_10empty_typeEbEEZZNS1_14partition_implILS5_8ELb0ES3_jPlPS6_PKS6_NS0_5tupleIJS9_S6_EEENSD_IJSA_SA_EEENS0_18inequality_wrapperIZN2at6native12_GLOBAL__N_124unique_dim_cuda_templateIjEESt5tupleIJNSH_6TensorESM_SM_EERKSM_lbbbEUlllE0_EEPmJS6_EEE10hipError_tPvRmT3_T4_T5_T6_T7_T9_mT8_P12ihipStream_tbDpT10_ENKUlT_T0_E_clISt17integral_constantIbLb0EES1B_IbLb1EEEEDaS17_S18_EUlS17_E_NS1_11comp_targetILNS1_3genE8ELNS1_11target_archE1030ELNS1_3gpuE2ELNS1_3repE0EEENS1_30default_config_static_selectorELNS0_4arch9wavefront6targetE1EEEvT1_ ; -- Begin function _ZN7rocprim17ROCPRIM_400000_NS6detail17trampoline_kernelINS0_14default_configENS1_25partition_config_selectorILNS1_17partition_subalgoE8ElNS0_10empty_typeEbEEZZNS1_14partition_implILS5_8ELb0ES3_jPlPS6_PKS6_NS0_5tupleIJS9_S6_EEENSD_IJSA_SA_EEENS0_18inequality_wrapperIZN2at6native12_GLOBAL__N_124unique_dim_cuda_templateIjEESt5tupleIJNSH_6TensorESM_SM_EERKSM_lbbbEUlllE0_EEPmJS6_EEE10hipError_tPvRmT3_T4_T5_T6_T7_T9_mT8_P12ihipStream_tbDpT10_ENKUlT_T0_E_clISt17integral_constantIbLb0EES1B_IbLb1EEEEDaS17_S18_EUlS17_E_NS1_11comp_targetILNS1_3genE8ELNS1_11target_archE1030ELNS1_3gpuE2ELNS1_3repE0EEENS1_30default_config_static_selectorELNS0_4arch9wavefront6targetE1EEEvT1_
	.p2align	8
	.type	_ZN7rocprim17ROCPRIM_400000_NS6detail17trampoline_kernelINS0_14default_configENS1_25partition_config_selectorILNS1_17partition_subalgoE8ElNS0_10empty_typeEbEEZZNS1_14partition_implILS5_8ELb0ES3_jPlPS6_PKS6_NS0_5tupleIJS9_S6_EEENSD_IJSA_SA_EEENS0_18inequality_wrapperIZN2at6native12_GLOBAL__N_124unique_dim_cuda_templateIjEESt5tupleIJNSH_6TensorESM_SM_EERKSM_lbbbEUlllE0_EEPmJS6_EEE10hipError_tPvRmT3_T4_T5_T6_T7_T9_mT8_P12ihipStream_tbDpT10_ENKUlT_T0_E_clISt17integral_constantIbLb0EES1B_IbLb1EEEEDaS17_S18_EUlS17_E_NS1_11comp_targetILNS1_3genE8ELNS1_11target_archE1030ELNS1_3gpuE2ELNS1_3repE0EEENS1_30default_config_static_selectorELNS0_4arch9wavefront6targetE1EEEvT1_,@function
_ZN7rocprim17ROCPRIM_400000_NS6detail17trampoline_kernelINS0_14default_configENS1_25partition_config_selectorILNS1_17partition_subalgoE8ElNS0_10empty_typeEbEEZZNS1_14partition_implILS5_8ELb0ES3_jPlPS6_PKS6_NS0_5tupleIJS9_S6_EEENSD_IJSA_SA_EEENS0_18inequality_wrapperIZN2at6native12_GLOBAL__N_124unique_dim_cuda_templateIjEESt5tupleIJNSH_6TensorESM_SM_EERKSM_lbbbEUlllE0_EEPmJS6_EEE10hipError_tPvRmT3_T4_T5_T6_T7_T9_mT8_P12ihipStream_tbDpT10_ENKUlT_T0_E_clISt17integral_constantIbLb0EES1B_IbLb1EEEEDaS17_S18_EUlS17_E_NS1_11comp_targetILNS1_3genE8ELNS1_11target_archE1030ELNS1_3gpuE2ELNS1_3repE0EEENS1_30default_config_static_selectorELNS0_4arch9wavefront6targetE1EEEvT1_: ; @_ZN7rocprim17ROCPRIM_400000_NS6detail17trampoline_kernelINS0_14default_configENS1_25partition_config_selectorILNS1_17partition_subalgoE8ElNS0_10empty_typeEbEEZZNS1_14partition_implILS5_8ELb0ES3_jPlPS6_PKS6_NS0_5tupleIJS9_S6_EEENSD_IJSA_SA_EEENS0_18inequality_wrapperIZN2at6native12_GLOBAL__N_124unique_dim_cuda_templateIjEESt5tupleIJNSH_6TensorESM_SM_EERKSM_lbbbEUlllE0_EEPmJS6_EEE10hipError_tPvRmT3_T4_T5_T6_T7_T9_mT8_P12ihipStream_tbDpT10_ENKUlT_T0_E_clISt17integral_constantIbLb0EES1B_IbLb1EEEEDaS17_S18_EUlS17_E_NS1_11comp_targetILNS1_3genE8ELNS1_11target_archE1030ELNS1_3gpuE2ELNS1_3repE0EEENS1_30default_config_static_selectorELNS0_4arch9wavefront6targetE1EEEvT1_
; %bb.0:
	.section	.rodata,"a",@progbits
	.p2align	6, 0x0
	.amdhsa_kernel _ZN7rocprim17ROCPRIM_400000_NS6detail17trampoline_kernelINS0_14default_configENS1_25partition_config_selectorILNS1_17partition_subalgoE8ElNS0_10empty_typeEbEEZZNS1_14partition_implILS5_8ELb0ES3_jPlPS6_PKS6_NS0_5tupleIJS9_S6_EEENSD_IJSA_SA_EEENS0_18inequality_wrapperIZN2at6native12_GLOBAL__N_124unique_dim_cuda_templateIjEESt5tupleIJNSH_6TensorESM_SM_EERKSM_lbbbEUlllE0_EEPmJS6_EEE10hipError_tPvRmT3_T4_T5_T6_T7_T9_mT8_P12ihipStream_tbDpT10_ENKUlT_T0_E_clISt17integral_constantIbLb0EES1B_IbLb1EEEEDaS17_S18_EUlS17_E_NS1_11comp_targetILNS1_3genE8ELNS1_11target_archE1030ELNS1_3gpuE2ELNS1_3repE0EEENS1_30default_config_static_selectorELNS0_4arch9wavefront6targetE1EEEvT1_
		.amdhsa_group_segment_fixed_size 0
		.amdhsa_private_segment_fixed_size 0
		.amdhsa_kernarg_size 136
		.amdhsa_user_sgpr_count 2
		.amdhsa_user_sgpr_dispatch_ptr 0
		.amdhsa_user_sgpr_queue_ptr 0
		.amdhsa_user_sgpr_kernarg_segment_ptr 1
		.amdhsa_user_sgpr_dispatch_id 0
		.amdhsa_user_sgpr_kernarg_preload_length 0
		.amdhsa_user_sgpr_kernarg_preload_offset 0
		.amdhsa_user_sgpr_private_segment_size 0
		.amdhsa_uses_dynamic_stack 0
		.amdhsa_enable_private_segment 0
		.amdhsa_system_sgpr_workgroup_id_x 1
		.amdhsa_system_sgpr_workgroup_id_y 0
		.amdhsa_system_sgpr_workgroup_id_z 0
		.amdhsa_system_sgpr_workgroup_info 0
		.amdhsa_system_vgpr_workitem_id 0
		.amdhsa_next_free_vgpr 1
		.amdhsa_next_free_sgpr 0
		.amdhsa_accum_offset 4
		.amdhsa_reserve_vcc 0
		.amdhsa_float_round_mode_32 0
		.amdhsa_float_round_mode_16_64 0
		.amdhsa_float_denorm_mode_32 3
		.amdhsa_float_denorm_mode_16_64 3
		.amdhsa_dx10_clamp 1
		.amdhsa_ieee_mode 1
		.amdhsa_fp16_overflow 0
		.amdhsa_tg_split 0
		.amdhsa_exception_fp_ieee_invalid_op 0
		.amdhsa_exception_fp_denorm_src 0
		.amdhsa_exception_fp_ieee_div_zero 0
		.amdhsa_exception_fp_ieee_overflow 0
		.amdhsa_exception_fp_ieee_underflow 0
		.amdhsa_exception_fp_ieee_inexact 0
		.amdhsa_exception_int_div_zero 0
	.end_amdhsa_kernel
	.section	.text._ZN7rocprim17ROCPRIM_400000_NS6detail17trampoline_kernelINS0_14default_configENS1_25partition_config_selectorILNS1_17partition_subalgoE8ElNS0_10empty_typeEbEEZZNS1_14partition_implILS5_8ELb0ES3_jPlPS6_PKS6_NS0_5tupleIJS9_S6_EEENSD_IJSA_SA_EEENS0_18inequality_wrapperIZN2at6native12_GLOBAL__N_124unique_dim_cuda_templateIjEESt5tupleIJNSH_6TensorESM_SM_EERKSM_lbbbEUlllE0_EEPmJS6_EEE10hipError_tPvRmT3_T4_T5_T6_T7_T9_mT8_P12ihipStream_tbDpT10_ENKUlT_T0_E_clISt17integral_constantIbLb0EES1B_IbLb1EEEEDaS17_S18_EUlS17_E_NS1_11comp_targetILNS1_3genE8ELNS1_11target_archE1030ELNS1_3gpuE2ELNS1_3repE0EEENS1_30default_config_static_selectorELNS0_4arch9wavefront6targetE1EEEvT1_,"axG",@progbits,_ZN7rocprim17ROCPRIM_400000_NS6detail17trampoline_kernelINS0_14default_configENS1_25partition_config_selectorILNS1_17partition_subalgoE8ElNS0_10empty_typeEbEEZZNS1_14partition_implILS5_8ELb0ES3_jPlPS6_PKS6_NS0_5tupleIJS9_S6_EEENSD_IJSA_SA_EEENS0_18inequality_wrapperIZN2at6native12_GLOBAL__N_124unique_dim_cuda_templateIjEESt5tupleIJNSH_6TensorESM_SM_EERKSM_lbbbEUlllE0_EEPmJS6_EEE10hipError_tPvRmT3_T4_T5_T6_T7_T9_mT8_P12ihipStream_tbDpT10_ENKUlT_T0_E_clISt17integral_constantIbLb0EES1B_IbLb1EEEEDaS17_S18_EUlS17_E_NS1_11comp_targetILNS1_3genE8ELNS1_11target_archE1030ELNS1_3gpuE2ELNS1_3repE0EEENS1_30default_config_static_selectorELNS0_4arch9wavefront6targetE1EEEvT1_,comdat
.Lfunc_end1582:
	.size	_ZN7rocprim17ROCPRIM_400000_NS6detail17trampoline_kernelINS0_14default_configENS1_25partition_config_selectorILNS1_17partition_subalgoE8ElNS0_10empty_typeEbEEZZNS1_14partition_implILS5_8ELb0ES3_jPlPS6_PKS6_NS0_5tupleIJS9_S6_EEENSD_IJSA_SA_EEENS0_18inequality_wrapperIZN2at6native12_GLOBAL__N_124unique_dim_cuda_templateIjEESt5tupleIJNSH_6TensorESM_SM_EERKSM_lbbbEUlllE0_EEPmJS6_EEE10hipError_tPvRmT3_T4_T5_T6_T7_T9_mT8_P12ihipStream_tbDpT10_ENKUlT_T0_E_clISt17integral_constantIbLb0EES1B_IbLb1EEEEDaS17_S18_EUlS17_E_NS1_11comp_targetILNS1_3genE8ELNS1_11target_archE1030ELNS1_3gpuE2ELNS1_3repE0EEENS1_30default_config_static_selectorELNS0_4arch9wavefront6targetE1EEEvT1_, .Lfunc_end1582-_ZN7rocprim17ROCPRIM_400000_NS6detail17trampoline_kernelINS0_14default_configENS1_25partition_config_selectorILNS1_17partition_subalgoE8ElNS0_10empty_typeEbEEZZNS1_14partition_implILS5_8ELb0ES3_jPlPS6_PKS6_NS0_5tupleIJS9_S6_EEENSD_IJSA_SA_EEENS0_18inequality_wrapperIZN2at6native12_GLOBAL__N_124unique_dim_cuda_templateIjEESt5tupleIJNSH_6TensorESM_SM_EERKSM_lbbbEUlllE0_EEPmJS6_EEE10hipError_tPvRmT3_T4_T5_T6_T7_T9_mT8_P12ihipStream_tbDpT10_ENKUlT_T0_E_clISt17integral_constantIbLb0EES1B_IbLb1EEEEDaS17_S18_EUlS17_E_NS1_11comp_targetILNS1_3genE8ELNS1_11target_archE1030ELNS1_3gpuE2ELNS1_3repE0EEENS1_30default_config_static_selectorELNS0_4arch9wavefront6targetE1EEEvT1_
                                        ; -- End function
	.section	.AMDGPU.csdata,"",@progbits
; Kernel info:
; codeLenInByte = 0
; NumSgprs: 6
; NumVgprs: 0
; NumAgprs: 0
; TotalNumVgprs: 0
; ScratchSize: 0
; MemoryBound: 0
; FloatMode: 240
; IeeeMode: 1
; LDSByteSize: 0 bytes/workgroup (compile time only)
; SGPRBlocks: 0
; VGPRBlocks: 0
; NumSGPRsForWavesPerEU: 6
; NumVGPRsForWavesPerEU: 1
; AccumOffset: 4
; Occupancy: 8
; WaveLimiterHint : 0
; COMPUTE_PGM_RSRC2:SCRATCH_EN: 0
; COMPUTE_PGM_RSRC2:USER_SGPR: 2
; COMPUTE_PGM_RSRC2:TRAP_HANDLER: 0
; COMPUTE_PGM_RSRC2:TGID_X_EN: 1
; COMPUTE_PGM_RSRC2:TGID_Y_EN: 0
; COMPUTE_PGM_RSRC2:TGID_Z_EN: 0
; COMPUTE_PGM_RSRC2:TIDIG_COMP_CNT: 0
; COMPUTE_PGM_RSRC3_GFX90A:ACCUM_OFFSET: 0
; COMPUTE_PGM_RSRC3_GFX90A:TG_SPLIT: 0
	.section	.text._ZN7rocprim17ROCPRIM_400000_NS6detail17trampoline_kernelINS0_14default_configENS1_25partition_config_selectorILNS1_17partition_subalgoE9EllbEEZZNS1_14partition_implILS5_9ELb0ES3_jPlS8_PNS0_10empty_typeENS0_5tupleIJS8_S9_EEENSB_IJS8_SA_EEENS0_18inequality_wrapperIZN2at6native12_GLOBAL__N_124unique_dim_cuda_templateIjEESt5tupleIJNSF_6TensorESK_SK_EERKSK_lbbbEUlllE0_EEPmJS9_EEE10hipError_tPvRmT3_T4_T5_T6_T7_T9_mT8_P12ihipStream_tbDpT10_ENKUlT_T0_E_clISt17integral_constantIbLb0EES1A_EEDaS15_S16_EUlS15_E_NS1_11comp_targetILNS1_3genE0ELNS1_11target_archE4294967295ELNS1_3gpuE0ELNS1_3repE0EEENS1_30default_config_static_selectorELNS0_4arch9wavefront6targetE1EEEvT1_,"axG",@progbits,_ZN7rocprim17ROCPRIM_400000_NS6detail17trampoline_kernelINS0_14default_configENS1_25partition_config_selectorILNS1_17partition_subalgoE9EllbEEZZNS1_14partition_implILS5_9ELb0ES3_jPlS8_PNS0_10empty_typeENS0_5tupleIJS8_S9_EEENSB_IJS8_SA_EEENS0_18inequality_wrapperIZN2at6native12_GLOBAL__N_124unique_dim_cuda_templateIjEESt5tupleIJNSF_6TensorESK_SK_EERKSK_lbbbEUlllE0_EEPmJS9_EEE10hipError_tPvRmT3_T4_T5_T6_T7_T9_mT8_P12ihipStream_tbDpT10_ENKUlT_T0_E_clISt17integral_constantIbLb0EES1A_EEDaS15_S16_EUlS15_E_NS1_11comp_targetILNS1_3genE0ELNS1_11target_archE4294967295ELNS1_3gpuE0ELNS1_3repE0EEENS1_30default_config_static_selectorELNS0_4arch9wavefront6targetE1EEEvT1_,comdat
	.globl	_ZN7rocprim17ROCPRIM_400000_NS6detail17trampoline_kernelINS0_14default_configENS1_25partition_config_selectorILNS1_17partition_subalgoE9EllbEEZZNS1_14partition_implILS5_9ELb0ES3_jPlS8_PNS0_10empty_typeENS0_5tupleIJS8_S9_EEENSB_IJS8_SA_EEENS0_18inequality_wrapperIZN2at6native12_GLOBAL__N_124unique_dim_cuda_templateIjEESt5tupleIJNSF_6TensorESK_SK_EERKSK_lbbbEUlllE0_EEPmJS9_EEE10hipError_tPvRmT3_T4_T5_T6_T7_T9_mT8_P12ihipStream_tbDpT10_ENKUlT_T0_E_clISt17integral_constantIbLb0EES1A_EEDaS15_S16_EUlS15_E_NS1_11comp_targetILNS1_3genE0ELNS1_11target_archE4294967295ELNS1_3gpuE0ELNS1_3repE0EEENS1_30default_config_static_selectorELNS0_4arch9wavefront6targetE1EEEvT1_ ; -- Begin function _ZN7rocprim17ROCPRIM_400000_NS6detail17trampoline_kernelINS0_14default_configENS1_25partition_config_selectorILNS1_17partition_subalgoE9EllbEEZZNS1_14partition_implILS5_9ELb0ES3_jPlS8_PNS0_10empty_typeENS0_5tupleIJS8_S9_EEENSB_IJS8_SA_EEENS0_18inequality_wrapperIZN2at6native12_GLOBAL__N_124unique_dim_cuda_templateIjEESt5tupleIJNSF_6TensorESK_SK_EERKSK_lbbbEUlllE0_EEPmJS9_EEE10hipError_tPvRmT3_T4_T5_T6_T7_T9_mT8_P12ihipStream_tbDpT10_ENKUlT_T0_E_clISt17integral_constantIbLb0EES1A_EEDaS15_S16_EUlS15_E_NS1_11comp_targetILNS1_3genE0ELNS1_11target_archE4294967295ELNS1_3gpuE0ELNS1_3repE0EEENS1_30default_config_static_selectorELNS0_4arch9wavefront6targetE1EEEvT1_
	.p2align	8
	.type	_ZN7rocprim17ROCPRIM_400000_NS6detail17trampoline_kernelINS0_14default_configENS1_25partition_config_selectorILNS1_17partition_subalgoE9EllbEEZZNS1_14partition_implILS5_9ELb0ES3_jPlS8_PNS0_10empty_typeENS0_5tupleIJS8_S9_EEENSB_IJS8_SA_EEENS0_18inequality_wrapperIZN2at6native12_GLOBAL__N_124unique_dim_cuda_templateIjEESt5tupleIJNSF_6TensorESK_SK_EERKSK_lbbbEUlllE0_EEPmJS9_EEE10hipError_tPvRmT3_T4_T5_T6_T7_T9_mT8_P12ihipStream_tbDpT10_ENKUlT_T0_E_clISt17integral_constantIbLb0EES1A_EEDaS15_S16_EUlS15_E_NS1_11comp_targetILNS1_3genE0ELNS1_11target_archE4294967295ELNS1_3gpuE0ELNS1_3repE0EEENS1_30default_config_static_selectorELNS0_4arch9wavefront6targetE1EEEvT1_,@function
_ZN7rocprim17ROCPRIM_400000_NS6detail17trampoline_kernelINS0_14default_configENS1_25partition_config_selectorILNS1_17partition_subalgoE9EllbEEZZNS1_14partition_implILS5_9ELb0ES3_jPlS8_PNS0_10empty_typeENS0_5tupleIJS8_S9_EEENSB_IJS8_SA_EEENS0_18inequality_wrapperIZN2at6native12_GLOBAL__N_124unique_dim_cuda_templateIjEESt5tupleIJNSF_6TensorESK_SK_EERKSK_lbbbEUlllE0_EEPmJS9_EEE10hipError_tPvRmT3_T4_T5_T6_T7_T9_mT8_P12ihipStream_tbDpT10_ENKUlT_T0_E_clISt17integral_constantIbLb0EES1A_EEDaS15_S16_EUlS15_E_NS1_11comp_targetILNS1_3genE0ELNS1_11target_archE4294967295ELNS1_3gpuE0ELNS1_3repE0EEENS1_30default_config_static_selectorELNS0_4arch9wavefront6targetE1EEEvT1_: ; @_ZN7rocprim17ROCPRIM_400000_NS6detail17trampoline_kernelINS0_14default_configENS1_25partition_config_selectorILNS1_17partition_subalgoE9EllbEEZZNS1_14partition_implILS5_9ELb0ES3_jPlS8_PNS0_10empty_typeENS0_5tupleIJS8_S9_EEENSB_IJS8_SA_EEENS0_18inequality_wrapperIZN2at6native12_GLOBAL__N_124unique_dim_cuda_templateIjEESt5tupleIJNSF_6TensorESK_SK_EERKSK_lbbbEUlllE0_EEPmJS9_EEE10hipError_tPvRmT3_T4_T5_T6_T7_T9_mT8_P12ihipStream_tbDpT10_ENKUlT_T0_E_clISt17integral_constantIbLb0EES1A_EEDaS15_S16_EUlS15_E_NS1_11comp_targetILNS1_3genE0ELNS1_11target_archE4294967295ELNS1_3gpuE0ELNS1_3repE0EEENS1_30default_config_static_selectorELNS0_4arch9wavefront6targetE1EEEvT1_
; %bb.0:
	.section	.rodata,"a",@progbits
	.p2align	6, 0x0
	.amdhsa_kernel _ZN7rocprim17ROCPRIM_400000_NS6detail17trampoline_kernelINS0_14default_configENS1_25partition_config_selectorILNS1_17partition_subalgoE9EllbEEZZNS1_14partition_implILS5_9ELb0ES3_jPlS8_PNS0_10empty_typeENS0_5tupleIJS8_S9_EEENSB_IJS8_SA_EEENS0_18inequality_wrapperIZN2at6native12_GLOBAL__N_124unique_dim_cuda_templateIjEESt5tupleIJNSF_6TensorESK_SK_EERKSK_lbbbEUlllE0_EEPmJS9_EEE10hipError_tPvRmT3_T4_T5_T6_T7_T9_mT8_P12ihipStream_tbDpT10_ENKUlT_T0_E_clISt17integral_constantIbLb0EES1A_EEDaS15_S16_EUlS15_E_NS1_11comp_targetILNS1_3genE0ELNS1_11target_archE4294967295ELNS1_3gpuE0ELNS1_3repE0EEENS1_30default_config_static_selectorELNS0_4arch9wavefront6targetE1EEEvT1_
		.amdhsa_group_segment_fixed_size 0
		.amdhsa_private_segment_fixed_size 0
		.amdhsa_kernarg_size 120
		.amdhsa_user_sgpr_count 2
		.amdhsa_user_sgpr_dispatch_ptr 0
		.amdhsa_user_sgpr_queue_ptr 0
		.amdhsa_user_sgpr_kernarg_segment_ptr 1
		.amdhsa_user_sgpr_dispatch_id 0
		.amdhsa_user_sgpr_kernarg_preload_length 0
		.amdhsa_user_sgpr_kernarg_preload_offset 0
		.amdhsa_user_sgpr_private_segment_size 0
		.amdhsa_uses_dynamic_stack 0
		.amdhsa_enable_private_segment 0
		.amdhsa_system_sgpr_workgroup_id_x 1
		.amdhsa_system_sgpr_workgroup_id_y 0
		.amdhsa_system_sgpr_workgroup_id_z 0
		.amdhsa_system_sgpr_workgroup_info 0
		.amdhsa_system_vgpr_workitem_id 0
		.amdhsa_next_free_vgpr 1
		.amdhsa_next_free_sgpr 0
		.amdhsa_accum_offset 4
		.amdhsa_reserve_vcc 0
		.amdhsa_float_round_mode_32 0
		.amdhsa_float_round_mode_16_64 0
		.amdhsa_float_denorm_mode_32 3
		.amdhsa_float_denorm_mode_16_64 3
		.amdhsa_dx10_clamp 1
		.amdhsa_ieee_mode 1
		.amdhsa_fp16_overflow 0
		.amdhsa_tg_split 0
		.amdhsa_exception_fp_ieee_invalid_op 0
		.amdhsa_exception_fp_denorm_src 0
		.amdhsa_exception_fp_ieee_div_zero 0
		.amdhsa_exception_fp_ieee_overflow 0
		.amdhsa_exception_fp_ieee_underflow 0
		.amdhsa_exception_fp_ieee_inexact 0
		.amdhsa_exception_int_div_zero 0
	.end_amdhsa_kernel
	.section	.text._ZN7rocprim17ROCPRIM_400000_NS6detail17trampoline_kernelINS0_14default_configENS1_25partition_config_selectorILNS1_17partition_subalgoE9EllbEEZZNS1_14partition_implILS5_9ELb0ES3_jPlS8_PNS0_10empty_typeENS0_5tupleIJS8_S9_EEENSB_IJS8_SA_EEENS0_18inequality_wrapperIZN2at6native12_GLOBAL__N_124unique_dim_cuda_templateIjEESt5tupleIJNSF_6TensorESK_SK_EERKSK_lbbbEUlllE0_EEPmJS9_EEE10hipError_tPvRmT3_T4_T5_T6_T7_T9_mT8_P12ihipStream_tbDpT10_ENKUlT_T0_E_clISt17integral_constantIbLb0EES1A_EEDaS15_S16_EUlS15_E_NS1_11comp_targetILNS1_3genE0ELNS1_11target_archE4294967295ELNS1_3gpuE0ELNS1_3repE0EEENS1_30default_config_static_selectorELNS0_4arch9wavefront6targetE1EEEvT1_,"axG",@progbits,_ZN7rocprim17ROCPRIM_400000_NS6detail17trampoline_kernelINS0_14default_configENS1_25partition_config_selectorILNS1_17partition_subalgoE9EllbEEZZNS1_14partition_implILS5_9ELb0ES3_jPlS8_PNS0_10empty_typeENS0_5tupleIJS8_S9_EEENSB_IJS8_SA_EEENS0_18inequality_wrapperIZN2at6native12_GLOBAL__N_124unique_dim_cuda_templateIjEESt5tupleIJNSF_6TensorESK_SK_EERKSK_lbbbEUlllE0_EEPmJS9_EEE10hipError_tPvRmT3_T4_T5_T6_T7_T9_mT8_P12ihipStream_tbDpT10_ENKUlT_T0_E_clISt17integral_constantIbLb0EES1A_EEDaS15_S16_EUlS15_E_NS1_11comp_targetILNS1_3genE0ELNS1_11target_archE4294967295ELNS1_3gpuE0ELNS1_3repE0EEENS1_30default_config_static_selectorELNS0_4arch9wavefront6targetE1EEEvT1_,comdat
.Lfunc_end1583:
	.size	_ZN7rocprim17ROCPRIM_400000_NS6detail17trampoline_kernelINS0_14default_configENS1_25partition_config_selectorILNS1_17partition_subalgoE9EllbEEZZNS1_14partition_implILS5_9ELb0ES3_jPlS8_PNS0_10empty_typeENS0_5tupleIJS8_S9_EEENSB_IJS8_SA_EEENS0_18inequality_wrapperIZN2at6native12_GLOBAL__N_124unique_dim_cuda_templateIjEESt5tupleIJNSF_6TensorESK_SK_EERKSK_lbbbEUlllE0_EEPmJS9_EEE10hipError_tPvRmT3_T4_T5_T6_T7_T9_mT8_P12ihipStream_tbDpT10_ENKUlT_T0_E_clISt17integral_constantIbLb0EES1A_EEDaS15_S16_EUlS15_E_NS1_11comp_targetILNS1_3genE0ELNS1_11target_archE4294967295ELNS1_3gpuE0ELNS1_3repE0EEENS1_30default_config_static_selectorELNS0_4arch9wavefront6targetE1EEEvT1_, .Lfunc_end1583-_ZN7rocprim17ROCPRIM_400000_NS6detail17trampoline_kernelINS0_14default_configENS1_25partition_config_selectorILNS1_17partition_subalgoE9EllbEEZZNS1_14partition_implILS5_9ELb0ES3_jPlS8_PNS0_10empty_typeENS0_5tupleIJS8_S9_EEENSB_IJS8_SA_EEENS0_18inequality_wrapperIZN2at6native12_GLOBAL__N_124unique_dim_cuda_templateIjEESt5tupleIJNSF_6TensorESK_SK_EERKSK_lbbbEUlllE0_EEPmJS9_EEE10hipError_tPvRmT3_T4_T5_T6_T7_T9_mT8_P12ihipStream_tbDpT10_ENKUlT_T0_E_clISt17integral_constantIbLb0EES1A_EEDaS15_S16_EUlS15_E_NS1_11comp_targetILNS1_3genE0ELNS1_11target_archE4294967295ELNS1_3gpuE0ELNS1_3repE0EEENS1_30default_config_static_selectorELNS0_4arch9wavefront6targetE1EEEvT1_
                                        ; -- End function
	.section	.AMDGPU.csdata,"",@progbits
; Kernel info:
; codeLenInByte = 0
; NumSgprs: 6
; NumVgprs: 0
; NumAgprs: 0
; TotalNumVgprs: 0
; ScratchSize: 0
; MemoryBound: 0
; FloatMode: 240
; IeeeMode: 1
; LDSByteSize: 0 bytes/workgroup (compile time only)
; SGPRBlocks: 0
; VGPRBlocks: 0
; NumSGPRsForWavesPerEU: 6
; NumVGPRsForWavesPerEU: 1
; AccumOffset: 4
; Occupancy: 8
; WaveLimiterHint : 0
; COMPUTE_PGM_RSRC2:SCRATCH_EN: 0
; COMPUTE_PGM_RSRC2:USER_SGPR: 2
; COMPUTE_PGM_RSRC2:TRAP_HANDLER: 0
; COMPUTE_PGM_RSRC2:TGID_X_EN: 1
; COMPUTE_PGM_RSRC2:TGID_Y_EN: 0
; COMPUTE_PGM_RSRC2:TGID_Z_EN: 0
; COMPUTE_PGM_RSRC2:TIDIG_COMP_CNT: 0
; COMPUTE_PGM_RSRC3_GFX90A:ACCUM_OFFSET: 0
; COMPUTE_PGM_RSRC3_GFX90A:TG_SPLIT: 0
	.section	.text._ZN7rocprim17ROCPRIM_400000_NS6detail17trampoline_kernelINS0_14default_configENS1_25partition_config_selectorILNS1_17partition_subalgoE9EllbEEZZNS1_14partition_implILS5_9ELb0ES3_jPlS8_PNS0_10empty_typeENS0_5tupleIJS8_S9_EEENSB_IJS8_SA_EEENS0_18inequality_wrapperIZN2at6native12_GLOBAL__N_124unique_dim_cuda_templateIjEESt5tupleIJNSF_6TensorESK_SK_EERKSK_lbbbEUlllE0_EEPmJS9_EEE10hipError_tPvRmT3_T4_T5_T6_T7_T9_mT8_P12ihipStream_tbDpT10_ENKUlT_T0_E_clISt17integral_constantIbLb0EES1A_EEDaS15_S16_EUlS15_E_NS1_11comp_targetILNS1_3genE5ELNS1_11target_archE942ELNS1_3gpuE9ELNS1_3repE0EEENS1_30default_config_static_selectorELNS0_4arch9wavefront6targetE1EEEvT1_,"axG",@progbits,_ZN7rocprim17ROCPRIM_400000_NS6detail17trampoline_kernelINS0_14default_configENS1_25partition_config_selectorILNS1_17partition_subalgoE9EllbEEZZNS1_14partition_implILS5_9ELb0ES3_jPlS8_PNS0_10empty_typeENS0_5tupleIJS8_S9_EEENSB_IJS8_SA_EEENS0_18inequality_wrapperIZN2at6native12_GLOBAL__N_124unique_dim_cuda_templateIjEESt5tupleIJNSF_6TensorESK_SK_EERKSK_lbbbEUlllE0_EEPmJS9_EEE10hipError_tPvRmT3_T4_T5_T6_T7_T9_mT8_P12ihipStream_tbDpT10_ENKUlT_T0_E_clISt17integral_constantIbLb0EES1A_EEDaS15_S16_EUlS15_E_NS1_11comp_targetILNS1_3genE5ELNS1_11target_archE942ELNS1_3gpuE9ELNS1_3repE0EEENS1_30default_config_static_selectorELNS0_4arch9wavefront6targetE1EEEvT1_,comdat
	.globl	_ZN7rocprim17ROCPRIM_400000_NS6detail17trampoline_kernelINS0_14default_configENS1_25partition_config_selectorILNS1_17partition_subalgoE9EllbEEZZNS1_14partition_implILS5_9ELb0ES3_jPlS8_PNS0_10empty_typeENS0_5tupleIJS8_S9_EEENSB_IJS8_SA_EEENS0_18inequality_wrapperIZN2at6native12_GLOBAL__N_124unique_dim_cuda_templateIjEESt5tupleIJNSF_6TensorESK_SK_EERKSK_lbbbEUlllE0_EEPmJS9_EEE10hipError_tPvRmT3_T4_T5_T6_T7_T9_mT8_P12ihipStream_tbDpT10_ENKUlT_T0_E_clISt17integral_constantIbLb0EES1A_EEDaS15_S16_EUlS15_E_NS1_11comp_targetILNS1_3genE5ELNS1_11target_archE942ELNS1_3gpuE9ELNS1_3repE0EEENS1_30default_config_static_selectorELNS0_4arch9wavefront6targetE1EEEvT1_ ; -- Begin function _ZN7rocprim17ROCPRIM_400000_NS6detail17trampoline_kernelINS0_14default_configENS1_25partition_config_selectorILNS1_17partition_subalgoE9EllbEEZZNS1_14partition_implILS5_9ELb0ES3_jPlS8_PNS0_10empty_typeENS0_5tupleIJS8_S9_EEENSB_IJS8_SA_EEENS0_18inequality_wrapperIZN2at6native12_GLOBAL__N_124unique_dim_cuda_templateIjEESt5tupleIJNSF_6TensorESK_SK_EERKSK_lbbbEUlllE0_EEPmJS9_EEE10hipError_tPvRmT3_T4_T5_T6_T7_T9_mT8_P12ihipStream_tbDpT10_ENKUlT_T0_E_clISt17integral_constantIbLb0EES1A_EEDaS15_S16_EUlS15_E_NS1_11comp_targetILNS1_3genE5ELNS1_11target_archE942ELNS1_3gpuE9ELNS1_3repE0EEENS1_30default_config_static_selectorELNS0_4arch9wavefront6targetE1EEEvT1_
	.p2align	8
	.type	_ZN7rocprim17ROCPRIM_400000_NS6detail17trampoline_kernelINS0_14default_configENS1_25partition_config_selectorILNS1_17partition_subalgoE9EllbEEZZNS1_14partition_implILS5_9ELb0ES3_jPlS8_PNS0_10empty_typeENS0_5tupleIJS8_S9_EEENSB_IJS8_SA_EEENS0_18inequality_wrapperIZN2at6native12_GLOBAL__N_124unique_dim_cuda_templateIjEESt5tupleIJNSF_6TensorESK_SK_EERKSK_lbbbEUlllE0_EEPmJS9_EEE10hipError_tPvRmT3_T4_T5_T6_T7_T9_mT8_P12ihipStream_tbDpT10_ENKUlT_T0_E_clISt17integral_constantIbLb0EES1A_EEDaS15_S16_EUlS15_E_NS1_11comp_targetILNS1_3genE5ELNS1_11target_archE942ELNS1_3gpuE9ELNS1_3repE0EEENS1_30default_config_static_selectorELNS0_4arch9wavefront6targetE1EEEvT1_,@function
_ZN7rocprim17ROCPRIM_400000_NS6detail17trampoline_kernelINS0_14default_configENS1_25partition_config_selectorILNS1_17partition_subalgoE9EllbEEZZNS1_14partition_implILS5_9ELb0ES3_jPlS8_PNS0_10empty_typeENS0_5tupleIJS8_S9_EEENSB_IJS8_SA_EEENS0_18inequality_wrapperIZN2at6native12_GLOBAL__N_124unique_dim_cuda_templateIjEESt5tupleIJNSF_6TensorESK_SK_EERKSK_lbbbEUlllE0_EEPmJS9_EEE10hipError_tPvRmT3_T4_T5_T6_T7_T9_mT8_P12ihipStream_tbDpT10_ENKUlT_T0_E_clISt17integral_constantIbLb0EES1A_EEDaS15_S16_EUlS15_E_NS1_11comp_targetILNS1_3genE5ELNS1_11target_archE942ELNS1_3gpuE9ELNS1_3repE0EEENS1_30default_config_static_selectorELNS0_4arch9wavefront6targetE1EEEvT1_: ; @_ZN7rocprim17ROCPRIM_400000_NS6detail17trampoline_kernelINS0_14default_configENS1_25partition_config_selectorILNS1_17partition_subalgoE9EllbEEZZNS1_14partition_implILS5_9ELb0ES3_jPlS8_PNS0_10empty_typeENS0_5tupleIJS8_S9_EEENSB_IJS8_SA_EEENS0_18inequality_wrapperIZN2at6native12_GLOBAL__N_124unique_dim_cuda_templateIjEESt5tupleIJNSF_6TensorESK_SK_EERKSK_lbbbEUlllE0_EEPmJS9_EEE10hipError_tPvRmT3_T4_T5_T6_T7_T9_mT8_P12ihipStream_tbDpT10_ENKUlT_T0_E_clISt17integral_constantIbLb0EES1A_EEDaS15_S16_EUlS15_E_NS1_11comp_targetILNS1_3genE5ELNS1_11target_archE942ELNS1_3gpuE9ELNS1_3repE0EEENS1_30default_config_static_selectorELNS0_4arch9wavefront6targetE1EEEvT1_
; %bb.0:
	s_load_dwordx8 s[20:27], s[0:1], 0x40
	s_load_dwordx4 s[4:7], s[0:1], 0x8
	s_load_dwordx2 s[10:11], s[0:1], 0x18
	s_load_dword s3, s[0:1], 0x70
	s_mul_i32 s12, s2, 0xe00
	s_waitcnt lgkmcnt(0)
	v_mov_b32_e32 v2, s24
	s_lshl_b64 s[14:15], s[6:7], 3
	s_add_u32 s18, s4, s14
	s_mul_i32 s4, s3, 0xe00
	s_addc_u32 s19, s5, s15
	s_add_i32 s8, s3, -1
	s_add_i32 s3, s4, s6
	s_sub_i32 s3, s24, s3
	s_addk_i32 s3, 0xe00
	s_add_u32 s4, s6, s4
	s_addc_u32 s5, s7, 0
	v_mov_b32_e32 v3, s25
	s_cmp_eq_u32 s2, s8
	s_load_dwordx2 s[22:23], s[22:23], 0x0
	v_cmp_ge_u64_e32 vcc, s[4:5], v[2:3]
	s_cselect_b64 s[24:25], -1, 0
	s_mov_b32 s13, 0
	s_and_b64 s[8:9], s[24:25], vcc
	s_xor_b64 s[34:35], s[8:9], -1
	s_lshl_b64 s[16:17], s[12:13], 3
	s_add_u32 s12, s18, s16
	s_mov_b64 s[4:5], -1
	s_addc_u32 s13, s19, s17
	s_and_b64 vcc, exec, s[34:35]
	s_cbranch_vccz .LBB1584_2
; %bb.1:
	v_lshlrev_b32_e32 v2, 3, v0
	v_mov_b32_e32 v3, 0
	v_lshl_add_u64 v[4:5], s[12:13], 0, v[2:3]
	v_add_co_u32_e32 v8, vcc, 0x1000, v4
	global_load_dwordx2 v[6:7], v2, s[12:13]
	s_nop 0
	v_addc_co_u32_e32 v9, vcc, 0, v5, vcc
	v_add_co_u32_e32 v10, vcc, 0x2000, v4
	s_mov_b64 s[4:5], 0
	s_nop 0
	v_addc_co_u32_e32 v11, vcc, 0, v5, vcc
	v_add_co_u32_e32 v12, vcc, 0x3000, v4
	s_nop 1
	v_addc_co_u32_e32 v13, vcc, 0, v5, vcc
	v_add_co_u32_e32 v14, vcc, 0x4000, v4
	s_nop 1
	v_addc_co_u32_e32 v15, vcc, 0, v5, vcc
	global_load_dwordx2 v[16:17], v[8:9], off
	global_load_dwordx2 v[18:19], v[10:11], off
	;; [unrolled: 1-line block ×4, first 2 shown]
	v_add_co_u32_e32 v8, vcc, 0x5000, v4
	s_nop 1
	v_addc_co_u32_e32 v9, vcc, 0, v5, vcc
	v_add_co_u32_e32 v4, vcc, 0x6000, v4
	global_load_dwordx2 v[8:9], v[8:9], off
	s_nop 0
	v_addc_co_u32_e32 v5, vcc, 0, v5, vcc
	global_load_dwordx2 v[4:5], v[4:5], off
	s_waitcnt vmcnt(5)
	ds_write2st64_b64 v2, v[6:7], v[16:17] offset1:8
	s_waitcnt vmcnt(3)
	ds_write2st64_b64 v2, v[18:19], v[20:21] offset0:16 offset1:24
	s_waitcnt vmcnt(1)
	ds_write2st64_b64 v2, v[22:23], v[8:9] offset0:32 offset1:40
	s_waitcnt vmcnt(0)
	ds_write_b64 v2, v[4:5] offset:24576
	s_waitcnt lgkmcnt(0)
	s_barrier
.LBB1584_2:
	s_load_dwordx4 s[28:31], s[0:1], 0x60
	s_andn2_b64 vcc, exec, s[4:5]
	v_cmp_gt_u32_e64 s[4:5], s3, v0
	s_cbranch_vccnz .LBB1584_18
; %bb.3:
                                        ; implicit-def: $vgpr2_vgpr3_vgpr4_vgpr5_vgpr6_vgpr7_vgpr8_vgpr9_vgpr10_vgpr11_vgpr12_vgpr13_vgpr14_vgpr15_vgpr16_vgpr17
	s_and_saveexec_b64 s[18:19], s[4:5]
	s_cbranch_execz .LBB1584_5
; %bb.4:
	v_lshlrev_b32_e32 v1, 3, v0
	global_load_dwordx2 v[2:3], v1, s[12:13]
.LBB1584_5:
	s_or_b64 exec, exec, s[18:19]
	v_or_b32_e32 v1, 0x200, v0
	v_cmp_gt_u32_e32 vcc, s3, v1
	s_and_saveexec_b64 s[4:5], vcc
	s_cbranch_execz .LBB1584_7
; %bb.6:
	v_lshlrev_b32_e32 v1, 3, v1
	global_load_dwordx2 v[4:5], v1, s[12:13]
.LBB1584_7:
	s_or_b64 exec, exec, s[4:5]
	v_or_b32_e32 v1, 0x400, v0
	v_cmp_gt_u32_e32 vcc, s3, v1
	s_and_saveexec_b64 s[4:5], vcc
	s_cbranch_execz .LBB1584_9
; %bb.8:
	v_lshlrev_b32_e32 v1, 3, v1
	global_load_dwordx2 v[6:7], v1, s[12:13]
.LBB1584_9:
	s_or_b64 exec, exec, s[4:5]
	v_or_b32_e32 v1, 0x600, v0
	v_cmp_gt_u32_e32 vcc, s3, v1
	s_and_saveexec_b64 s[4:5], vcc
	s_cbranch_execz .LBB1584_11
; %bb.10:
	v_lshlrev_b32_e32 v1, 3, v1
	global_load_dwordx2 v[8:9], v1, s[12:13]
.LBB1584_11:
	s_or_b64 exec, exec, s[4:5]
	v_or_b32_e32 v1, 0x800, v0
	v_cmp_gt_u32_e32 vcc, s3, v1
	s_and_saveexec_b64 s[4:5], vcc
	s_cbranch_execz .LBB1584_13
; %bb.12:
	v_lshlrev_b32_e32 v1, 3, v1
	global_load_dwordx2 v[10:11], v1, s[12:13]
.LBB1584_13:
	s_or_b64 exec, exec, s[4:5]
	v_or_b32_e32 v1, 0xa00, v0
	v_cmp_gt_u32_e32 vcc, s3, v1
	s_and_saveexec_b64 s[4:5], vcc
	s_cbranch_execz .LBB1584_15
; %bb.14:
	v_lshlrev_b32_e32 v1, 3, v1
	global_load_dwordx2 v[12:13], v1, s[12:13]
.LBB1584_15:
	s_or_b64 exec, exec, s[4:5]
	v_or_b32_e32 v1, 0xc00, v0
	v_cmp_gt_u32_e32 vcc, s3, v1
	s_and_saveexec_b64 s[4:5], vcc
	s_cbranch_execz .LBB1584_17
; %bb.16:
	v_lshlrev_b32_e32 v1, 3, v1
	global_load_dwordx2 v[14:15], v1, s[12:13]
.LBB1584_17:
	s_or_b64 exec, exec, s[4:5]
	v_lshlrev_b32_e32 v1, 3, v0
	s_waitcnt vmcnt(0)
	ds_write2st64_b64 v1, v[2:3], v[4:5] offset1:8
	ds_write2st64_b64 v1, v[6:7], v[8:9] offset0:16 offset1:24
	ds_write2st64_b64 v1, v[10:11], v[12:13] offset0:32 offset1:40
	ds_write_b64 v1, v[14:15] offset:24576
	s_waitcnt lgkmcnt(0)
	s_barrier
.LBB1584_18:
	v_mul_u32_u24_e32 v1, 7, v0
	v_lshlrev_b32_e32 v44, 3, v1
	s_waitcnt lgkmcnt(0)
	ds_read2_b64 v[22:25], v44 offset1:1
	ds_read2_b64 v[18:21], v44 offset0:2 offset1:3
	ds_read2_b64 v[14:17], v44 offset0:4 offset1:5
	ds_read_b64 v[28:29], v44 offset:48
	s_add_u32 s4, s10, s14
	s_addc_u32 s5, s11, s15
	s_add_u32 s4, s4, s16
	s_addc_u32 s5, s5, s17
	s_mov_b64 s[10:11], -1
	s_and_b64 vcc, exec, s[34:35]
	s_waitcnt lgkmcnt(0)
	s_barrier
	s_cbranch_vccz .LBB1584_20
; %bb.19:
	v_lshlrev_b32_e32 v2, 3, v0
	v_mov_b32_e32 v3, 0
	v_lshl_add_u64 v[4:5], s[4:5], 0, v[2:3]
	v_add_co_u32_e32 v8, vcc, 0x1000, v4
	global_load_dwordx2 v[6:7], v2, s[4:5]
	s_nop 0
	v_addc_co_u32_e32 v9, vcc, 0, v5, vcc
	v_add_co_u32_e32 v10, vcc, 0x2000, v4
	s_mov_b64 s[10:11], 0
	s_nop 0
	v_addc_co_u32_e32 v11, vcc, 0, v5, vcc
	v_add_co_u32_e32 v12, vcc, 0x3000, v4
	s_nop 1
	v_addc_co_u32_e32 v13, vcc, 0, v5, vcc
	v_add_co_u32_e32 v26, vcc, 0x4000, v4
	s_nop 1
	v_addc_co_u32_e32 v27, vcc, 0, v5, vcc
	global_load_dwordx2 v[30:31], v[8:9], off
	global_load_dwordx2 v[32:33], v[10:11], off
	;; [unrolled: 1-line block ×4, first 2 shown]
	v_add_co_u32_e32 v8, vcc, 0x5000, v4
	s_nop 1
	v_addc_co_u32_e32 v9, vcc, 0, v5, vcc
	v_add_co_u32_e32 v4, vcc, 0x6000, v4
	global_load_dwordx2 v[8:9], v[8:9], off
	s_nop 0
	v_addc_co_u32_e32 v5, vcc, 0, v5, vcc
	global_load_dwordx2 v[4:5], v[4:5], off
	s_waitcnt vmcnt(5)
	ds_write2st64_b64 v2, v[6:7], v[30:31] offset1:8
	s_waitcnt vmcnt(3)
	ds_write2st64_b64 v2, v[32:33], v[34:35] offset0:16 offset1:24
	s_waitcnt vmcnt(1)
	ds_write2st64_b64 v2, v[36:37], v[8:9] offset0:32 offset1:40
	s_waitcnt vmcnt(0)
	ds_write_b64 v2, v[4:5] offset:24576
	s_waitcnt lgkmcnt(0)
	s_barrier
.LBB1584_20:
	s_andn2_b64 vcc, exec, s[10:11]
	s_cbranch_vccnz .LBB1584_36
; %bb.21:
	v_cmp_gt_u32_e32 vcc, s3, v0
                                        ; implicit-def: $vgpr2_vgpr3
	s_and_saveexec_b64 s[10:11], vcc
	s_cbranch_execz .LBB1584_23
; %bb.22:
	v_lshlrev_b32_e32 v2, 3, v0
	global_load_dwordx2 v[2:3], v2, s[4:5]
.LBB1584_23:
	s_or_b64 exec, exec, s[10:11]
	v_or_b32_e32 v6, 0x200, v0
	v_cmp_gt_u32_e32 vcc, s3, v6
                                        ; implicit-def: $vgpr4_vgpr5
	s_and_saveexec_b64 s[10:11], vcc
	s_cbranch_execz .LBB1584_25
; %bb.24:
	v_lshlrev_b32_e32 v4, 3, v6
	global_load_dwordx2 v[4:5], v4, s[4:5]
.LBB1584_25:
	s_or_b64 exec, exec, s[10:11]
	v_or_b32_e32 v8, 0x400, v0
	v_cmp_gt_u32_e32 vcc, s3, v8
                                        ; implicit-def: $vgpr6_vgpr7
	s_and_saveexec_b64 s[10:11], vcc
	s_cbranch_execz .LBB1584_27
; %bb.26:
	v_lshlrev_b32_e32 v6, 3, v8
	global_load_dwordx2 v[6:7], v6, s[4:5]
.LBB1584_27:
	s_or_b64 exec, exec, s[10:11]
	v_or_b32_e32 v10, 0x600, v0
	v_cmp_gt_u32_e32 vcc, s3, v10
                                        ; implicit-def: $vgpr8_vgpr9
	s_and_saveexec_b64 s[10:11], vcc
	s_cbranch_execz .LBB1584_29
; %bb.28:
	v_lshlrev_b32_e32 v8, 3, v10
	global_load_dwordx2 v[8:9], v8, s[4:5]
.LBB1584_29:
	s_or_b64 exec, exec, s[10:11]
	v_or_b32_e32 v12, 0x800, v0
	v_cmp_gt_u32_e32 vcc, s3, v12
                                        ; implicit-def: $vgpr10_vgpr11
	s_and_saveexec_b64 s[10:11], vcc
	s_cbranch_execz .LBB1584_31
; %bb.30:
	v_lshlrev_b32_e32 v10, 3, v12
	global_load_dwordx2 v[10:11], v10, s[4:5]
.LBB1584_31:
	s_or_b64 exec, exec, s[10:11]
	v_or_b32_e32 v26, 0xa00, v0
	v_cmp_gt_u32_e32 vcc, s3, v26
                                        ; implicit-def: $vgpr12_vgpr13
	s_and_saveexec_b64 s[10:11], vcc
	s_cbranch_execz .LBB1584_33
; %bb.32:
	v_lshlrev_b32_e32 v12, 3, v26
	global_load_dwordx2 v[12:13], v12, s[4:5]
.LBB1584_33:
	s_or_b64 exec, exec, s[10:11]
	v_or_b32_e32 v30, 0xc00, v0
	v_cmp_gt_u32_e32 vcc, s3, v30
                                        ; implicit-def: $vgpr26_vgpr27
	s_and_saveexec_b64 s[10:11], vcc
	s_cbranch_execz .LBB1584_35
; %bb.34:
	v_lshlrev_b32_e32 v26, 3, v30
	global_load_dwordx2 v[26:27], v26, s[4:5]
.LBB1584_35:
	s_or_b64 exec, exec, s[10:11]
	s_movk_i32 s4, 0xffd0
	v_mad_i32_i24 v30, v0, s4, v44
	s_waitcnt vmcnt(0)
	ds_write2st64_b64 v30, v[2:3], v[4:5] offset1:8
	ds_write2st64_b64 v30, v[6:7], v[8:9] offset0:16 offset1:24
	ds_write2st64_b64 v30, v[10:11], v[12:13] offset0:32 offset1:40
	ds_write_b64 v30, v[26:27] offset:24576
	s_waitcnt lgkmcnt(0)
	s_barrier
.LBB1584_36:
	ds_read2_b64 v[10:13], v44 offset1:1
	ds_read2_b64 v[6:9], v44 offset0:2 offset1:3
	ds_read2_b64 v[2:5], v44 offset0:4 offset1:5
	ds_read_b64 v[26:27], v44 offset:48
	s_cmp_lg_u32 s2, 0
	s_cselect_b64 s[16:17], -1, 0
	s_cmp_lg_u64 s[6:7], 0
	s_cselect_b64 s[4:5], -1, 0
	s_or_b64 s[4:5], s[16:17], s[4:5]
	v_add_u32_e32 v41, 1, v1
	v_add_u32_e32 v38, 2, v1
	;; [unrolled: 1-line block ×6, first 2 shown]
	s_mov_b64 s[10:11], 0
	s_and_b64 vcc, exec, s[4:5]
	v_cmp_gt_i64_e64 s[4:5], s[26:27], 0
	s_waitcnt lgkmcnt(0)
	s_barrier
	s_cbranch_vccz .LBB1584_45
; %bb.37:
	s_add_u32 s6, s12, -8
	s_addc_u32 s7, s13, -1
	s_load_dwordx2 s[6:7], s[6:7], 0x0
	v_cndmask_b32_e64 v30, 0, 1, s[4:5]
	v_lshlrev_b32_e32 v45, 3, v0
	s_and_b64 vcc, exec, s[34:35]
	v_cmp_ne_u32_e64 s[4:5], 1, v30
	ds_write_b64 v45, v[28:29]
	s_cbranch_vccz .LBB1584_47
; %bb.38:
	v_mul_lo_u32 v32, v17, s26
	v_mul_lo_u32 v33, v16, s27
	v_mad_u64_u32 v[30:31], s[12:13], v16, s26, 0
	v_add3_u32 v31, v31, v33, v32
	s_and_b64 vcc, exec, s[4:5]
	v_lshl_add_u64 v[30:31], v[30:31], 2, s[28:29]
	s_cbranch_vccnz .LBB1584_50
; %bb.39:
	v_mul_lo_u32 v34, v29, s26
	v_mul_lo_u32 v35, v28, s27
	v_mad_u64_u32 v[32:33], s[10:11], v28, s26, 0
	v_add3_u32 v33, v33, v35, v34
	v_lshl_add_u64 v[32:33], v[32:33], 2, s[28:29]
	global_load_dword v34, v[30:31], off
	global_load_dword v35, v[32:33], off
	s_mov_b64 s[10:11], -1
	s_waitcnt vmcnt(0)
	v_cmp_eq_u32_e32 vcc, v34, v35
	s_and_saveexec_b64 s[12:13], vcc
	s_cbranch_execz .LBB1584_49
; %bb.40:
	s_add_u32 s10, s26, -1
	v_lshl_add_u64 v[32:33], v[32:33], 0, 4
	v_lshl_add_u64 v[34:35], v[30:31], 0, 4
	s_addc_u32 s11, s27, -1
	s_mov_b64 s[14:15], 0
	s_mov_b64 s[36:37], 0
                                        ; implicit-def: $sgpr18_sgpr19
	s_branch .LBB1584_43
.LBB1584_41:                            ;   in Loop: Header=BB1584_43 Depth=1
	global_load_dword v36, v[34:35], off
	global_load_dword v37, v[32:33], off
	s_add_u32 s36, s36, 1
	s_addc_u32 s37, s37, 0
	s_andn2_b64 s[18:19], s[18:19], exec
	v_lshl_add_u64 v[32:33], v[32:33], 0, 4
	v_lshl_add_u64 v[34:35], v[34:35], 0, 4
	s_waitcnt vmcnt(0)
	v_cmp_ne_u32_e32 vcc, v36, v37
	s_and_b64 s[38:39], vcc, exec
	s_or_b64 s[18:19], s[18:19], s[38:39]
.LBB1584_42:                            ;   in Loop: Header=BB1584_43 Depth=1
	s_and_b64 s[38:39], exec, s[18:19]
	s_or_b64 s[14:15], s[38:39], s[14:15]
	v_mov_b64_e32 v[36:37], s[36:37]
	s_andn2_b64 exec, exec, s[14:15]
	s_cbranch_execz .LBB1584_48
.LBB1584_43:                            ; =>This Inner Loop Header: Depth=1
	s_or_b64 s[18:19], s[18:19], exec
	s_cmp_eq_u64 s[10:11], s[36:37]
	s_cbranch_scc0 .LBB1584_41
; %bb.44:                               ;   in Loop: Header=BB1584_43 Depth=1
                                        ; implicit-def: $vgpr32_vgpr33
                                        ; implicit-def: $vgpr34_vgpr35
	s_mov_b64 s[36:37], s[26:27]
	s_branch .LBB1584_42
.LBB1584_45:
                                        ; implicit-def: $sgpr18_sgpr19
                                        ; implicit-def: $vgpr48
                                        ; implicit-def: $vgpr47
                                        ; implicit-def: $vgpr46
                                        ; implicit-def: $vgpr34
	s_branch .LBB1584_188
.LBB1584_46:
                                        ; implicit-def: $vgpr30_vgpr31
	s_branch .LBB1584_336
.LBB1584_47:
                                        ; implicit-def: $sgpr18_sgpr19
                                        ; implicit-def: $vgpr48
                                        ; implicit-def: $vgpr47
                                        ; implicit-def: $vgpr46
                                        ; implicit-def: $vgpr34
	s_cbranch_execnz .LBB1584_107
	s_branch .LBB1584_187
.LBB1584_48:
	s_or_b64 exec, exec, s[14:15]
	v_cmp_gt_i64_e32 vcc, s[26:27], v[36:37]
	s_orn2_b64 s[10:11], vcc, exec
.LBB1584_49:
	s_or_b64 exec, exec, s[12:13]
.LBB1584_50:
	v_mul_lo_u32 v34, v15, s26
	v_mul_lo_u32 v35, v14, s27
	v_mad_u64_u32 v[32:33], s[12:13], v14, s26, 0
	v_add3_u32 v33, v33, v35, v34
	s_mov_b64 s[12:13], 0
	s_and_b64 vcc, exec, s[4:5]
	v_lshl_add_u64 v[32:33], v[32:33], 2, s[28:29]
	s_mov_b64 s[14:15], 0
	s_cbranch_vccnz .LBB1584_59
; %bb.51:
	global_load_dword v34, v[32:33], off
	global_load_dword v35, v[30:31], off
	s_mov_b64 s[14:15], -1
	s_waitcnt vmcnt(0)
	v_cmp_eq_u32_e32 vcc, v34, v35
	s_and_saveexec_b64 s[18:19], vcc
	s_cbranch_execz .LBB1584_58
; %bb.52:
	s_add_u32 s14, s26, -1
	v_lshl_add_u64 v[30:31], v[30:31], 0, 4
	v_lshl_add_u64 v[34:35], v[32:33], 0, 4
	s_addc_u32 s15, s27, -1
	s_mov_b64 s[36:37], 0
	s_mov_b64 s[40:41], 0
                                        ; implicit-def: $sgpr38_sgpr39
	s_branch .LBB1584_55
.LBB1584_53:                            ;   in Loop: Header=BB1584_55 Depth=1
	global_load_dword v36, v[34:35], off
	global_load_dword v37, v[30:31], off
	s_add_u32 s40, s40, 1
	s_addc_u32 s41, s41, 0
	s_andn2_b64 s[38:39], s[38:39], exec
	v_lshl_add_u64 v[30:31], v[30:31], 0, 4
	v_lshl_add_u64 v[34:35], v[34:35], 0, 4
	s_waitcnt vmcnt(0)
	v_cmp_ne_u32_e32 vcc, v36, v37
	s_and_b64 s[42:43], vcc, exec
	s_or_b64 s[38:39], s[38:39], s[42:43]
.LBB1584_54:                            ;   in Loop: Header=BB1584_55 Depth=1
	s_and_b64 s[42:43], exec, s[38:39]
	s_or_b64 s[36:37], s[42:43], s[36:37]
	v_mov_b64_e32 v[36:37], s[40:41]
	s_andn2_b64 exec, exec, s[36:37]
	s_cbranch_execz .LBB1584_57
.LBB1584_55:                            ; =>This Inner Loop Header: Depth=1
	s_or_b64 s[38:39], s[38:39], exec
	s_cmp_eq_u64 s[14:15], s[40:41]
	s_cbranch_scc0 .LBB1584_53
; %bb.56:                               ;   in Loop: Header=BB1584_55 Depth=1
                                        ; implicit-def: $vgpr30_vgpr31
                                        ; implicit-def: $vgpr34_vgpr35
	s_mov_b64 s[40:41], s[26:27]
	s_branch .LBB1584_54
.LBB1584_57:
	s_or_b64 exec, exec, s[36:37]
	v_cmp_gt_i64_e32 vcc, s[26:27], v[36:37]
	s_orn2_b64 s[14:15], vcc, exec
.LBB1584_58:
	s_or_b64 exec, exec, s[18:19]
.LBB1584_59:
	v_mul_lo_u32 v34, v21, s26
	v_mul_lo_u32 v35, v20, s27
	v_mad_u64_u32 v[30:31], s[18:19], v20, s26, 0
	v_add3_u32 v31, v31, v35, v34
	s_and_b64 vcc, exec, s[4:5]
	v_lshl_add_u64 v[30:31], v[30:31], 2, s[28:29]
	s_cbranch_vccnz .LBB1584_68
; %bb.60:
	global_load_dword v34, v[30:31], off
	global_load_dword v35, v[32:33], off
	s_mov_b64 s[12:13], -1
	s_waitcnt vmcnt(0)
	v_cmp_eq_u32_e32 vcc, v34, v35
	s_and_saveexec_b64 s[18:19], vcc
	s_cbranch_execz .LBB1584_67
; %bb.61:
	s_add_u32 s12, s26, -1
	v_lshl_add_u64 v[32:33], v[32:33], 0, 4
	v_lshl_add_u64 v[34:35], v[30:31], 0, 4
	s_addc_u32 s13, s27, -1
	s_mov_b64 s[36:37], 0
	s_mov_b64 s[40:41], 0
                                        ; implicit-def: $sgpr38_sgpr39
	s_branch .LBB1584_64
.LBB1584_62:                            ;   in Loop: Header=BB1584_64 Depth=1
	global_load_dword v36, v[34:35], off
	global_load_dword v37, v[32:33], off
	s_add_u32 s40, s40, 1
	s_addc_u32 s41, s41, 0
	s_andn2_b64 s[38:39], s[38:39], exec
	v_lshl_add_u64 v[32:33], v[32:33], 0, 4
	v_lshl_add_u64 v[34:35], v[34:35], 0, 4
	s_waitcnt vmcnt(0)
	v_cmp_ne_u32_e32 vcc, v36, v37
	s_and_b64 s[42:43], vcc, exec
	s_or_b64 s[38:39], s[38:39], s[42:43]
.LBB1584_63:                            ;   in Loop: Header=BB1584_64 Depth=1
	s_and_b64 s[42:43], exec, s[38:39]
	s_or_b64 s[36:37], s[42:43], s[36:37]
	v_mov_b64_e32 v[36:37], s[40:41]
	s_andn2_b64 exec, exec, s[36:37]
	s_cbranch_execz .LBB1584_66
.LBB1584_64:                            ; =>This Inner Loop Header: Depth=1
	s_or_b64 s[38:39], s[38:39], exec
	s_cmp_eq_u64 s[12:13], s[40:41]
	s_cbranch_scc0 .LBB1584_62
; %bb.65:                               ;   in Loop: Header=BB1584_64 Depth=1
                                        ; implicit-def: $vgpr32_vgpr33
                                        ; implicit-def: $vgpr34_vgpr35
	s_mov_b64 s[40:41], s[26:27]
	s_branch .LBB1584_63
.LBB1584_66:
	s_or_b64 exec, exec, s[36:37]
	v_cmp_gt_i64_e32 vcc, s[26:27], v[36:37]
	s_orn2_b64 s[12:13], vcc, exec
.LBB1584_67:
	s_or_b64 exec, exec, s[18:19]
.LBB1584_68:
	v_mul_lo_u32 v34, v19, s26
	v_mul_lo_u32 v35, v18, s27
	v_mad_u64_u32 v[32:33], s[18:19], v18, s26, 0
	v_add3_u32 v33, v33, v35, v34
	s_mov_b64 s[18:19], 0
	s_and_b64 vcc, exec, s[4:5]
	v_lshl_add_u64 v[34:35], v[32:33], 2, s[28:29]
	s_mov_b64 s[36:37], 0
	s_cbranch_vccnz .LBB1584_77
; %bb.69:
	global_load_dword v32, v[34:35], off
	global_load_dword v33, v[30:31], off
	s_mov_b64 s[36:37], -1
	s_waitcnt vmcnt(0)
	v_cmp_eq_u32_e32 vcc, v32, v33
	s_and_saveexec_b64 s[38:39], vcc
	s_cbranch_execz .LBB1584_76
; %bb.70:
	s_add_u32 s36, s26, -1
	v_lshl_add_u64 v[30:31], v[30:31], 0, 4
	v_lshl_add_u64 v[32:33], v[34:35], 0, 4
	s_addc_u32 s37, s27, -1
	s_mov_b64 s[40:41], 0
	s_mov_b64 s[44:45], 0
                                        ; implicit-def: $sgpr42_sgpr43
	s_branch .LBB1584_73
.LBB1584_71:                            ;   in Loop: Header=BB1584_73 Depth=1
	global_load_dword v36, v[32:33], off
	global_load_dword v37, v[30:31], off
	s_add_u32 s44, s44, 1
	s_addc_u32 s45, s45, 0
	s_andn2_b64 s[42:43], s[42:43], exec
	v_lshl_add_u64 v[30:31], v[30:31], 0, 4
	v_lshl_add_u64 v[32:33], v[32:33], 0, 4
	s_waitcnt vmcnt(0)
	v_cmp_ne_u32_e32 vcc, v36, v37
	s_and_b64 s[46:47], vcc, exec
	s_or_b64 s[42:43], s[42:43], s[46:47]
.LBB1584_72:                            ;   in Loop: Header=BB1584_73 Depth=1
	s_and_b64 s[46:47], exec, s[42:43]
	s_or_b64 s[40:41], s[46:47], s[40:41]
	v_mov_b64_e32 v[36:37], s[44:45]
	s_andn2_b64 exec, exec, s[40:41]
	s_cbranch_execz .LBB1584_75
.LBB1584_73:                            ; =>This Inner Loop Header: Depth=1
	s_or_b64 s[42:43], s[42:43], exec
	s_cmp_eq_u64 s[36:37], s[44:45]
	s_cbranch_scc0 .LBB1584_71
; %bb.74:                               ;   in Loop: Header=BB1584_73 Depth=1
                                        ; implicit-def: $vgpr30_vgpr31
                                        ; implicit-def: $vgpr32_vgpr33
	s_mov_b64 s[44:45], s[26:27]
	s_branch .LBB1584_72
.LBB1584_75:
	s_or_b64 exec, exec, s[40:41]
	v_cmp_gt_i64_e32 vcc, s[26:27], v[36:37]
	s_orn2_b64 s[36:37], vcc, exec
.LBB1584_76:
	s_or_b64 exec, exec, s[38:39]
.LBB1584_77:
	v_mul_lo_u32 v32, v25, s26
	v_mul_lo_u32 v33, v24, s27
	v_mad_u64_u32 v[30:31], s[38:39], v24, s26, 0
	v_add3_u32 v31, v31, v33, v32
	s_and_b64 vcc, exec, s[4:5]
	v_lshl_add_u64 v[32:33], v[30:31], 2, s[28:29]
	s_cbranch_vccnz .LBB1584_86
; %bb.78:
	global_load_dword v30, v[32:33], off
	global_load_dword v31, v[34:35], off
	s_mov_b64 s[18:19], -1
	s_waitcnt vmcnt(0)
	v_cmp_eq_u32_e32 vcc, v30, v31
	s_and_saveexec_b64 s[38:39], vcc
	s_cbranch_execz .LBB1584_85
; %bb.79:
	s_add_u32 s18, s26, -1
	v_lshl_add_u64 v[30:31], v[34:35], 0, 4
	v_lshl_add_u64 v[34:35], v[32:33], 0, 4
	s_addc_u32 s19, s27, -1
	s_mov_b64 s[40:41], 0
	s_mov_b64 s[44:45], 0
                                        ; implicit-def: $sgpr42_sgpr43
	s_branch .LBB1584_82
.LBB1584_80:                            ;   in Loop: Header=BB1584_82 Depth=1
	global_load_dword v36, v[34:35], off
	global_load_dword v37, v[30:31], off
	s_add_u32 s44, s44, 1
	s_addc_u32 s45, s45, 0
	s_andn2_b64 s[42:43], s[42:43], exec
	v_lshl_add_u64 v[30:31], v[30:31], 0, 4
	v_lshl_add_u64 v[34:35], v[34:35], 0, 4
	s_waitcnt vmcnt(0)
	v_cmp_ne_u32_e32 vcc, v36, v37
	s_and_b64 s[46:47], vcc, exec
	s_or_b64 s[42:43], s[42:43], s[46:47]
.LBB1584_81:                            ;   in Loop: Header=BB1584_82 Depth=1
	s_and_b64 s[46:47], exec, s[42:43]
	s_or_b64 s[40:41], s[46:47], s[40:41]
	v_mov_b64_e32 v[36:37], s[44:45]
	s_andn2_b64 exec, exec, s[40:41]
	s_cbranch_execz .LBB1584_84
.LBB1584_82:                            ; =>This Inner Loop Header: Depth=1
	s_or_b64 s[42:43], s[42:43], exec
	s_cmp_eq_u64 s[18:19], s[44:45]
	s_cbranch_scc0 .LBB1584_80
; %bb.83:                               ;   in Loop: Header=BB1584_82 Depth=1
                                        ; implicit-def: $vgpr30_vgpr31
                                        ; implicit-def: $vgpr34_vgpr35
	s_mov_b64 s[44:45], s[26:27]
	s_branch .LBB1584_81
.LBB1584_84:
	s_or_b64 exec, exec, s[40:41]
	v_cmp_gt_i64_e32 vcc, s[26:27], v[36:37]
	s_orn2_b64 s[18:19], vcc, exec
.LBB1584_85:
	s_or_b64 exec, exec, s[38:39]
.LBB1584_86:
	v_mul_lo_u32 v34, v23, s26
	v_mul_lo_u32 v35, v22, s27
	v_mad_u64_u32 v[30:31], s[38:39], v22, s26, 0
	v_add3_u32 v31, v31, v35, v34
	s_mov_b64 s[40:41], 0
	s_and_b64 vcc, exec, s[4:5]
	v_lshl_add_u64 v[30:31], v[30:31], 2, s[28:29]
	s_cbranch_vccnz .LBB1584_95
; %bb.87:
	global_load_dword v34, v[30:31], off
	global_load_dword v35, v[32:33], off
	s_mov_b64 s[40:41], -1
	s_waitcnt vmcnt(0)
	v_cmp_eq_u32_e32 vcc, v34, v35
	s_and_saveexec_b64 s[38:39], vcc
	s_cbranch_execz .LBB1584_94
; %bb.88:
	s_add_u32 s40, s26, -1
	v_lshl_add_u64 v[32:33], v[32:33], 0, 4
	v_lshl_add_u64 v[34:35], v[30:31], 0, 4
	s_addc_u32 s41, s27, -1
	s_mov_b64 s[42:43], 0
	s_mov_b64 s[46:47], 0
                                        ; implicit-def: $sgpr44_sgpr45
	s_branch .LBB1584_91
.LBB1584_89:                            ;   in Loop: Header=BB1584_91 Depth=1
	global_load_dword v36, v[34:35], off
	global_load_dword v37, v[32:33], off
	s_add_u32 s46, s46, 1
	s_addc_u32 s47, s47, 0
	s_andn2_b64 s[44:45], s[44:45], exec
	v_lshl_add_u64 v[32:33], v[32:33], 0, 4
	v_lshl_add_u64 v[34:35], v[34:35], 0, 4
	s_waitcnt vmcnt(0)
	v_cmp_ne_u32_e32 vcc, v36, v37
	s_and_b64 s[48:49], vcc, exec
	s_or_b64 s[44:45], s[44:45], s[48:49]
.LBB1584_90:                            ;   in Loop: Header=BB1584_91 Depth=1
	s_and_b64 s[48:49], exec, s[44:45]
	s_or_b64 s[42:43], s[48:49], s[42:43]
	v_mov_b64_e32 v[36:37], s[46:47]
	s_andn2_b64 exec, exec, s[42:43]
	s_cbranch_execz .LBB1584_93
.LBB1584_91:                            ; =>This Inner Loop Header: Depth=1
	s_or_b64 s[44:45], s[44:45], exec
	s_cmp_eq_u64 s[40:41], s[46:47]
	s_cbranch_scc0 .LBB1584_89
; %bb.92:                               ;   in Loop: Header=BB1584_91 Depth=1
                                        ; implicit-def: $vgpr32_vgpr33
                                        ; implicit-def: $vgpr34_vgpr35
	s_mov_b64 s[46:47], s[26:27]
	s_branch .LBB1584_90
.LBB1584_93:
	s_or_b64 exec, exec, s[42:43]
	v_cmp_gt_i64_e32 vcc, s[26:27], v[36:37]
	s_orn2_b64 s[40:41], vcc, exec
.LBB1584_94:
	s_or_b64 exec, exec, s[38:39]
.LBB1584_95:
	v_cmp_ne_u32_e32 vcc, 0, v0
	s_waitcnt lgkmcnt(0)
	v_mov_b64_e32 v[32:33], s[6:7]
	s_barrier
	s_and_saveexec_b64 s[38:39], vcc
	s_cbranch_execz .LBB1584_97
; %bb.96:
	v_add_u32_e32 v32, -8, v45
	ds_read_b64 v[32:33], v32
.LBB1584_97:
	s_or_b64 exec, exec, s[38:39]
	v_cndmask_b32_e64 v35, 0, 1, s[36:37]
	v_cndmask_b32_e64 v34, 0, 1, s[18:19]
	;; [unrolled: 1-line block ×3, first 2 shown]
	v_lshlrev_b16_e32 v35, 8, v35
	v_lshlrev_b16_e32 v36, 8, v36
	v_or_b32_sdwa v37, v34, v35 dst_sel:WORD_1 dst_unused:UNUSED_PAD src0_sel:DWORD src1_sel:DWORD
	s_mov_b64 s[36:37], 0
	s_and_b64 vcc, exec, s[4:5]
	s_mov_b64 s[18:19], 0
	s_cbranch_vccnz .LBB1584_106
; %bb.98:
	s_waitcnt lgkmcnt(0)
	v_mul_lo_u32 v34, v33, s26
	v_mul_lo_u32 v35, v32, s27
	v_mad_u64_u32 v[32:33], s[18:19], v32, s26, 0
	v_add3_u32 v33, v33, v35, v34
	v_lshl_add_u64 v[32:33], v[32:33], 2, s[28:29]
	global_load_dword v34, v[32:33], off
	global_load_dword v35, v[30:31], off
	s_mov_b64 s[18:19], -1
	s_waitcnt vmcnt(0)
	v_cmp_eq_u32_e32 vcc, v34, v35
	s_and_saveexec_b64 s[38:39], vcc
	s_cbranch_execz .LBB1584_105
; %bb.99:
	s_add_u32 s18, s26, -1
	v_lshl_add_u64 v[30:31], v[30:31], 0, 4
	v_lshl_add_u64 v[32:33], v[32:33], 0, 4
	s_addc_u32 s19, s27, -1
	s_mov_b64 s[40:41], 0
	s_mov_b64 s[44:45], 0
                                        ; implicit-def: $sgpr42_sgpr43
	s_branch .LBB1584_102
.LBB1584_100:                           ;   in Loop: Header=BB1584_102 Depth=1
	global_load_dword v34, v[32:33], off
	global_load_dword v35, v[30:31], off
	s_add_u32 s44, s44, 1
	s_addc_u32 s45, s45, 0
	s_andn2_b64 s[42:43], s[42:43], exec
	v_lshl_add_u64 v[30:31], v[30:31], 0, 4
	v_lshl_add_u64 v[32:33], v[32:33], 0, 4
	s_waitcnt vmcnt(0)
	v_cmp_ne_u32_e32 vcc, v34, v35
	s_and_b64 s[46:47], vcc, exec
	s_or_b64 s[42:43], s[42:43], s[46:47]
.LBB1584_101:                           ;   in Loop: Header=BB1584_102 Depth=1
	s_and_b64 s[46:47], exec, s[42:43]
	s_or_b64 s[40:41], s[46:47], s[40:41]
	v_mov_b64_e32 v[34:35], s[44:45]
	s_andn2_b64 exec, exec, s[40:41]
	s_cbranch_execz .LBB1584_104
.LBB1584_102:                           ; =>This Inner Loop Header: Depth=1
	s_or_b64 s[42:43], s[42:43], exec
	s_cmp_eq_u64 s[18:19], s[44:45]
	s_cbranch_scc0 .LBB1584_100
; %bb.103:                              ;   in Loop: Header=BB1584_102 Depth=1
                                        ; implicit-def: $vgpr30_vgpr31
                                        ; implicit-def: $vgpr32_vgpr33
	s_mov_b64 s[44:45], s[26:27]
	s_branch .LBB1584_101
.LBB1584_104:
	s_or_b64 exec, exec, s[40:41]
	v_cmp_gt_i64_e32 vcc, s[26:27], v[34:35]
	s_orn2_b64 s[18:19], vcc, exec
.LBB1584_105:
	s_or_b64 exec, exec, s[38:39]
.LBB1584_106:
	v_cndmask_b32_e64 v46, 0, 1, s[12:13]
	v_cndmask_b32_e64 v47, 0, 1, s[14:15]
	;; [unrolled: 1-line block ×3, first 2 shown]
	v_or_b32_e32 v34, v36, v37
	s_and_b64 vcc, exec, s[36:37]
	s_cbranch_vccz .LBB1584_187
.LBB1584_107:
	v_cmp_gt_u32_e32 vcc, s3, v40
	s_mov_b64 s[12:13], 0
	s_mov_b64 s[10:11], 0
	s_and_saveexec_b64 s[14:15], vcc
	s_cbranch_execz .LBB1584_118
; %bb.108:
	s_and_b64 vcc, exec, s[4:5]
	s_mov_b64 s[18:19], 0
	s_cbranch_vccnz .LBB1584_117
; %bb.109:
	s_waitcnt lgkmcnt(0)
	v_mul_lo_u32 v32, v17, s26
	v_mul_lo_u32 v33, v16, s27
	v_mad_u64_u32 v[30:31], s[10:11], v16, s26, 0
	v_add3_u32 v31, v31, v33, v32
	v_mul_lo_u32 v32, v29, s26
	v_mul_lo_u32 v33, v28, s27
	v_mad_u64_u32 v[34:35], s[10:11], v28, s26, 0
	v_add3_u32 v35, v35, v33, v32
	v_lshl_add_u64 v[32:33], v[30:31], 2, s[28:29]
	v_lshl_add_u64 v[30:31], v[34:35], 2, s[28:29]
	global_load_dword v34, v[32:33], off
	global_load_dword v35, v[30:31], off
	s_mov_b64 s[18:19], -1
	s_waitcnt vmcnt(0)
	v_cmp_eq_u32_e32 vcc, v34, v35
	s_and_saveexec_b64 s[10:11], vcc
	s_cbranch_execz .LBB1584_116
; %bb.110:
	s_add_u32 s18, s26, -1
	v_lshl_add_u64 v[30:31], v[30:31], 0, 4
	v_lshl_add_u64 v[32:33], v[32:33], 0, 4
	s_addc_u32 s19, s27, -1
	s_mov_b64 s[36:37], 0
	s_mov_b64 s[40:41], 0
                                        ; implicit-def: $sgpr38_sgpr39
	s_branch .LBB1584_113
.LBB1584_111:                           ;   in Loop: Header=BB1584_113 Depth=1
	global_load_dword v34, v[32:33], off
	global_load_dword v35, v[30:31], off
	s_add_u32 s40, s40, 1
	s_addc_u32 s41, s41, 0
	s_andn2_b64 s[38:39], s[38:39], exec
	v_lshl_add_u64 v[30:31], v[30:31], 0, 4
	v_lshl_add_u64 v[32:33], v[32:33], 0, 4
	s_waitcnt vmcnt(0)
	v_cmp_ne_u32_e32 vcc, v34, v35
	s_and_b64 s[42:43], vcc, exec
	s_or_b64 s[38:39], s[38:39], s[42:43]
.LBB1584_112:                           ;   in Loop: Header=BB1584_113 Depth=1
	s_and_b64 s[42:43], exec, s[38:39]
	s_or_b64 s[36:37], s[42:43], s[36:37]
	v_mov_b64_e32 v[34:35], s[40:41]
	s_andn2_b64 exec, exec, s[36:37]
	s_cbranch_execz .LBB1584_115
.LBB1584_113:                           ; =>This Inner Loop Header: Depth=1
	s_or_b64 s[38:39], s[38:39], exec
	s_cmp_eq_u64 s[18:19], s[40:41]
	s_cbranch_scc0 .LBB1584_111
; %bb.114:                              ;   in Loop: Header=BB1584_113 Depth=1
                                        ; implicit-def: $vgpr30_vgpr31
                                        ; implicit-def: $vgpr32_vgpr33
	s_mov_b64 s[40:41], s[26:27]
	s_branch .LBB1584_112
.LBB1584_115:
	s_or_b64 exec, exec, s[36:37]
	v_cmp_gt_i64_e32 vcc, s[26:27], v[34:35]
	s_orn2_b64 s[18:19], vcc, exec
.LBB1584_116:
	s_or_b64 exec, exec, s[10:11]
.LBB1584_117:
	s_and_b64 s[10:11], s[18:19], exec
.LBB1584_118:
	s_or_b64 exec, exec, s[14:15]
	v_cmp_gt_u32_e32 vcc, s3, v43
	s_and_saveexec_b64 s[14:15], vcc
	s_cbranch_execz .LBB1584_129
; %bb.119:
	s_and_b64 vcc, exec, s[4:5]
	s_mov_b64 s[18:19], 0
	s_cbranch_vccnz .LBB1584_128
; %bb.120:
	s_waitcnt lgkmcnt(0)
	v_mul_lo_u32 v32, v15, s26
	v_mul_lo_u32 v33, v14, s27
	v_mad_u64_u32 v[30:31], s[12:13], v14, s26, 0
	v_add3_u32 v31, v31, v33, v32
	v_mul_lo_u32 v32, v17, s26
	v_mul_lo_u32 v33, v16, s27
	v_mad_u64_u32 v[34:35], s[12:13], v16, s26, 0
	v_add3_u32 v35, v35, v33, v32
	v_lshl_add_u64 v[32:33], v[30:31], 2, s[28:29]
	v_lshl_add_u64 v[30:31], v[34:35], 2, s[28:29]
	global_load_dword v34, v[32:33], off
	global_load_dword v35, v[30:31], off
	s_mov_b64 s[18:19], -1
	s_waitcnt vmcnt(0)
	v_cmp_eq_u32_e32 vcc, v34, v35
	s_and_saveexec_b64 s[12:13], vcc
	s_cbranch_execz .LBB1584_127
; %bb.121:
	s_add_u32 s18, s26, -1
	v_lshl_add_u64 v[30:31], v[30:31], 0, 4
	v_lshl_add_u64 v[32:33], v[32:33], 0, 4
	s_addc_u32 s19, s27, -1
	s_mov_b64 s[36:37], 0
	s_mov_b64 s[40:41], 0
                                        ; implicit-def: $sgpr38_sgpr39
	s_branch .LBB1584_124
.LBB1584_122:                           ;   in Loop: Header=BB1584_124 Depth=1
	global_load_dword v34, v[32:33], off
	global_load_dword v35, v[30:31], off
	s_add_u32 s40, s40, 1
	s_addc_u32 s41, s41, 0
	s_andn2_b64 s[38:39], s[38:39], exec
	v_lshl_add_u64 v[30:31], v[30:31], 0, 4
	v_lshl_add_u64 v[32:33], v[32:33], 0, 4
	s_waitcnt vmcnt(0)
	v_cmp_ne_u32_e32 vcc, v34, v35
	s_and_b64 s[42:43], vcc, exec
	s_or_b64 s[38:39], s[38:39], s[42:43]
.LBB1584_123:                           ;   in Loop: Header=BB1584_124 Depth=1
	s_and_b64 s[42:43], exec, s[38:39]
	s_or_b64 s[36:37], s[42:43], s[36:37]
	v_mov_b64_e32 v[34:35], s[40:41]
	s_andn2_b64 exec, exec, s[36:37]
	s_cbranch_execz .LBB1584_126
.LBB1584_124:                           ; =>This Inner Loop Header: Depth=1
	s_or_b64 s[38:39], s[38:39], exec
	s_cmp_eq_u64 s[18:19], s[40:41]
	s_cbranch_scc0 .LBB1584_122
; %bb.125:                              ;   in Loop: Header=BB1584_124 Depth=1
                                        ; implicit-def: $vgpr30_vgpr31
                                        ; implicit-def: $vgpr32_vgpr33
	s_mov_b64 s[40:41], s[26:27]
	s_branch .LBB1584_123
.LBB1584_126:
	s_or_b64 exec, exec, s[36:37]
	v_cmp_gt_i64_e32 vcc, s[26:27], v[34:35]
	s_orn2_b64 s[18:19], vcc, exec
.LBB1584_127:
	s_or_b64 exec, exec, s[12:13]
.LBB1584_128:
	s_and_b64 s[12:13], s[18:19], exec
.LBB1584_129:
	s_or_b64 exec, exec, s[14:15]
	v_cmp_gt_u32_e32 vcc, s3, v39
	s_mov_b64 s[18:19], 0
	s_mov_b64 s[14:15], 0
	s_and_saveexec_b64 s[36:37], vcc
	s_cbranch_execz .LBB1584_140
; %bb.130:
	s_and_b64 vcc, exec, s[4:5]
	s_mov_b64 s[38:39], 0
	s_cbranch_vccnz .LBB1584_139
; %bb.131:
	s_waitcnt lgkmcnt(0)
	v_mul_lo_u32 v32, v21, s26
	v_mul_lo_u32 v33, v20, s27
	v_mad_u64_u32 v[30:31], s[14:15], v20, s26, 0
	v_add3_u32 v31, v31, v33, v32
	v_mul_lo_u32 v32, v15, s26
	v_mul_lo_u32 v33, v14, s27
	v_mad_u64_u32 v[34:35], s[14:15], v14, s26, 0
	v_add3_u32 v35, v35, v33, v32
	v_lshl_add_u64 v[32:33], v[30:31], 2, s[28:29]
	v_lshl_add_u64 v[30:31], v[34:35], 2, s[28:29]
	global_load_dword v34, v[32:33], off
	global_load_dword v35, v[30:31], off
	s_mov_b64 s[38:39], -1
	s_waitcnt vmcnt(0)
	v_cmp_eq_u32_e32 vcc, v34, v35
	s_and_saveexec_b64 s[14:15], vcc
	s_cbranch_execz .LBB1584_138
; %bb.132:
	s_add_u32 s38, s26, -1
	v_lshl_add_u64 v[30:31], v[30:31], 0, 4
	v_lshl_add_u64 v[32:33], v[32:33], 0, 4
	s_addc_u32 s39, s27, -1
	s_mov_b64 s[40:41], 0
	s_mov_b64 s[44:45], 0
                                        ; implicit-def: $sgpr42_sgpr43
	s_branch .LBB1584_135
.LBB1584_133:                           ;   in Loop: Header=BB1584_135 Depth=1
	global_load_dword v34, v[32:33], off
	global_load_dword v35, v[30:31], off
	s_add_u32 s44, s44, 1
	s_addc_u32 s45, s45, 0
	s_andn2_b64 s[42:43], s[42:43], exec
	v_lshl_add_u64 v[30:31], v[30:31], 0, 4
	v_lshl_add_u64 v[32:33], v[32:33], 0, 4
	s_waitcnt vmcnt(0)
	v_cmp_ne_u32_e32 vcc, v34, v35
	s_and_b64 s[46:47], vcc, exec
	s_or_b64 s[42:43], s[42:43], s[46:47]
.LBB1584_134:                           ;   in Loop: Header=BB1584_135 Depth=1
	s_and_b64 s[46:47], exec, s[42:43]
	s_or_b64 s[40:41], s[46:47], s[40:41]
	v_mov_b64_e32 v[34:35], s[44:45]
	s_andn2_b64 exec, exec, s[40:41]
	s_cbranch_execz .LBB1584_137
.LBB1584_135:                           ; =>This Inner Loop Header: Depth=1
	s_or_b64 s[42:43], s[42:43], exec
	s_cmp_eq_u64 s[38:39], s[44:45]
	s_cbranch_scc0 .LBB1584_133
; %bb.136:                              ;   in Loop: Header=BB1584_135 Depth=1
                                        ; implicit-def: $vgpr30_vgpr31
                                        ; implicit-def: $vgpr32_vgpr33
	s_mov_b64 s[44:45], s[26:27]
	s_branch .LBB1584_134
.LBB1584_137:
	s_or_b64 exec, exec, s[40:41]
	v_cmp_gt_i64_e32 vcc, s[26:27], v[34:35]
	s_orn2_b64 s[38:39], vcc, exec
.LBB1584_138:
	s_or_b64 exec, exec, s[14:15]
.LBB1584_139:
	s_and_b64 s[14:15], s[38:39], exec
.LBB1584_140:
	s_or_b64 exec, exec, s[36:37]
	v_cmp_gt_u32_e32 vcc, s3, v42
	s_and_saveexec_b64 s[36:37], vcc
	s_cbranch_execz .LBB1584_151
; %bb.141:
	s_and_b64 vcc, exec, s[4:5]
	s_mov_b64 s[38:39], 0
	s_cbranch_vccnz .LBB1584_150
; %bb.142:
	s_waitcnt lgkmcnt(0)
	v_mul_lo_u32 v32, v19, s26
	v_mul_lo_u32 v33, v18, s27
	v_mad_u64_u32 v[30:31], s[18:19], v18, s26, 0
	v_add3_u32 v31, v31, v33, v32
	v_mul_lo_u32 v32, v21, s26
	v_mul_lo_u32 v33, v20, s27
	v_mad_u64_u32 v[34:35], s[18:19], v20, s26, 0
	v_add3_u32 v35, v35, v33, v32
	v_lshl_add_u64 v[32:33], v[30:31], 2, s[28:29]
	v_lshl_add_u64 v[30:31], v[34:35], 2, s[28:29]
	global_load_dword v34, v[32:33], off
	global_load_dword v35, v[30:31], off
	s_mov_b64 s[38:39], -1
	s_waitcnt vmcnt(0)
	v_cmp_eq_u32_e32 vcc, v34, v35
	s_and_saveexec_b64 s[18:19], vcc
	s_cbranch_execz .LBB1584_149
; %bb.143:
	s_add_u32 s38, s26, -1
	v_lshl_add_u64 v[30:31], v[30:31], 0, 4
	v_lshl_add_u64 v[32:33], v[32:33], 0, 4
	s_addc_u32 s39, s27, -1
	s_mov_b64 s[40:41], 0
	s_mov_b64 s[44:45], 0
                                        ; implicit-def: $sgpr42_sgpr43
	s_branch .LBB1584_146
.LBB1584_144:                           ;   in Loop: Header=BB1584_146 Depth=1
	global_load_dword v34, v[32:33], off
	global_load_dword v35, v[30:31], off
	s_add_u32 s44, s44, 1
	s_addc_u32 s45, s45, 0
	s_andn2_b64 s[42:43], s[42:43], exec
	v_lshl_add_u64 v[30:31], v[30:31], 0, 4
	v_lshl_add_u64 v[32:33], v[32:33], 0, 4
	s_waitcnt vmcnt(0)
	v_cmp_ne_u32_e32 vcc, v34, v35
	s_and_b64 s[46:47], vcc, exec
	s_or_b64 s[42:43], s[42:43], s[46:47]
.LBB1584_145:                           ;   in Loop: Header=BB1584_146 Depth=1
	s_and_b64 s[46:47], exec, s[42:43]
	s_or_b64 s[40:41], s[46:47], s[40:41]
	v_mov_b64_e32 v[34:35], s[44:45]
	s_andn2_b64 exec, exec, s[40:41]
	s_cbranch_execz .LBB1584_148
.LBB1584_146:                           ; =>This Inner Loop Header: Depth=1
	s_or_b64 s[42:43], s[42:43], exec
	s_cmp_eq_u64 s[38:39], s[44:45]
	s_cbranch_scc0 .LBB1584_144
; %bb.147:                              ;   in Loop: Header=BB1584_146 Depth=1
                                        ; implicit-def: $vgpr30_vgpr31
                                        ; implicit-def: $vgpr32_vgpr33
	s_mov_b64 s[44:45], s[26:27]
	s_branch .LBB1584_145
.LBB1584_148:
	s_or_b64 exec, exec, s[40:41]
	v_cmp_gt_i64_e32 vcc, s[26:27], v[34:35]
	s_orn2_b64 s[38:39], vcc, exec
.LBB1584_149:
	s_or_b64 exec, exec, s[18:19]
.LBB1584_150:
	s_and_b64 s[18:19], s[38:39], exec
.LBB1584_151:
	s_or_b64 exec, exec, s[36:37]
	v_cmp_gt_u32_e32 vcc, s3, v38
	s_mov_b64 s[36:37], 0
	s_mov_b64 s[38:39], 0
	s_and_saveexec_b64 s[40:41], vcc
	s_cbranch_execz .LBB1584_162
; %bb.152:
	s_and_b64 vcc, exec, s[4:5]
	s_mov_b64 s[42:43], 0
	s_cbranch_vccnz .LBB1584_161
; %bb.153:
	s_waitcnt lgkmcnt(0)
	v_mul_lo_u32 v32, v25, s26
	v_mul_lo_u32 v33, v24, s27
	v_mad_u64_u32 v[30:31], s[38:39], v24, s26, 0
	v_add3_u32 v31, v31, v33, v32
	v_mul_lo_u32 v32, v19, s26
	v_mul_lo_u32 v33, v18, s27
	v_mad_u64_u32 v[34:35], s[38:39], v18, s26, 0
	v_add3_u32 v35, v35, v33, v32
	v_lshl_add_u64 v[32:33], v[30:31], 2, s[28:29]
	v_lshl_add_u64 v[30:31], v[34:35], 2, s[28:29]
	global_load_dword v34, v[32:33], off
	global_load_dword v35, v[30:31], off
	s_mov_b64 s[42:43], -1
	s_waitcnt vmcnt(0)
	v_cmp_eq_u32_e32 vcc, v34, v35
	s_and_saveexec_b64 s[38:39], vcc
	s_cbranch_execz .LBB1584_160
; %bb.154:
	s_add_u32 s42, s26, -1
	v_lshl_add_u64 v[30:31], v[30:31], 0, 4
	v_lshl_add_u64 v[32:33], v[32:33], 0, 4
	s_addc_u32 s43, s27, -1
	s_mov_b64 s[44:45], 0
	s_mov_b64 s[48:49], 0
                                        ; implicit-def: $sgpr46_sgpr47
	s_branch .LBB1584_157
.LBB1584_155:                           ;   in Loop: Header=BB1584_157 Depth=1
	global_load_dword v34, v[32:33], off
	global_load_dword v35, v[30:31], off
	s_add_u32 s48, s48, 1
	s_addc_u32 s49, s49, 0
	s_andn2_b64 s[46:47], s[46:47], exec
	v_lshl_add_u64 v[30:31], v[30:31], 0, 4
	v_lshl_add_u64 v[32:33], v[32:33], 0, 4
	s_waitcnt vmcnt(0)
	v_cmp_ne_u32_e32 vcc, v34, v35
	s_and_b64 s[50:51], vcc, exec
	s_or_b64 s[46:47], s[46:47], s[50:51]
.LBB1584_156:                           ;   in Loop: Header=BB1584_157 Depth=1
	s_and_b64 s[50:51], exec, s[46:47]
	s_or_b64 s[44:45], s[50:51], s[44:45]
	v_mov_b64_e32 v[34:35], s[48:49]
	s_andn2_b64 exec, exec, s[44:45]
	s_cbranch_execz .LBB1584_159
.LBB1584_157:                           ; =>This Inner Loop Header: Depth=1
	s_or_b64 s[46:47], s[46:47], exec
	s_cmp_eq_u64 s[42:43], s[48:49]
	s_cbranch_scc0 .LBB1584_155
; %bb.158:                              ;   in Loop: Header=BB1584_157 Depth=1
                                        ; implicit-def: $vgpr30_vgpr31
                                        ; implicit-def: $vgpr32_vgpr33
	s_mov_b64 s[48:49], s[26:27]
	s_branch .LBB1584_156
.LBB1584_159:
	s_or_b64 exec, exec, s[44:45]
	v_cmp_gt_i64_e32 vcc, s[26:27], v[34:35]
	s_orn2_b64 s[42:43], vcc, exec
.LBB1584_160:
	s_or_b64 exec, exec, s[38:39]
.LBB1584_161:
	s_and_b64 s[38:39], s[42:43], exec
.LBB1584_162:
	s_or_b64 exec, exec, s[40:41]
	v_cmp_gt_u32_e32 vcc, s3, v41
	s_and_saveexec_b64 s[40:41], vcc
	s_cbranch_execz .LBB1584_173
; %bb.163:
	s_and_b64 vcc, exec, s[4:5]
	s_mov_b64 s[42:43], 0
	s_cbranch_vccnz .LBB1584_172
; %bb.164:
	s_waitcnt lgkmcnt(0)
	v_mul_lo_u32 v32, v23, s26
	v_mul_lo_u32 v33, v22, s27
	v_mad_u64_u32 v[30:31], s[36:37], v22, s26, 0
	v_add3_u32 v31, v31, v33, v32
	v_mul_lo_u32 v32, v25, s26
	v_mul_lo_u32 v33, v24, s27
	v_mad_u64_u32 v[34:35], s[36:37], v24, s26, 0
	v_add3_u32 v35, v35, v33, v32
	v_lshl_add_u64 v[32:33], v[30:31], 2, s[28:29]
	v_lshl_add_u64 v[30:31], v[34:35], 2, s[28:29]
	global_load_dword v34, v[32:33], off
	global_load_dword v35, v[30:31], off
	s_mov_b64 s[42:43], -1
	s_waitcnt vmcnt(0)
	v_cmp_eq_u32_e32 vcc, v34, v35
	s_and_saveexec_b64 s[36:37], vcc
	s_cbranch_execz .LBB1584_171
; %bb.165:
	s_add_u32 s42, s26, -1
	v_lshl_add_u64 v[30:31], v[30:31], 0, 4
	v_lshl_add_u64 v[32:33], v[32:33], 0, 4
	s_addc_u32 s43, s27, -1
	s_mov_b64 s[44:45], 0
	s_mov_b64 s[48:49], 0
                                        ; implicit-def: $sgpr46_sgpr47
	s_branch .LBB1584_168
.LBB1584_166:                           ;   in Loop: Header=BB1584_168 Depth=1
	global_load_dword v34, v[32:33], off
	global_load_dword v35, v[30:31], off
	s_add_u32 s48, s48, 1
	s_addc_u32 s49, s49, 0
	s_andn2_b64 s[46:47], s[46:47], exec
	v_lshl_add_u64 v[30:31], v[30:31], 0, 4
	v_lshl_add_u64 v[32:33], v[32:33], 0, 4
	s_waitcnt vmcnt(0)
	v_cmp_ne_u32_e32 vcc, v34, v35
	s_and_b64 s[50:51], vcc, exec
	s_or_b64 s[46:47], s[46:47], s[50:51]
.LBB1584_167:                           ;   in Loop: Header=BB1584_168 Depth=1
	s_and_b64 s[50:51], exec, s[46:47]
	s_or_b64 s[44:45], s[50:51], s[44:45]
	v_mov_b64_e32 v[34:35], s[48:49]
	s_andn2_b64 exec, exec, s[44:45]
	s_cbranch_execz .LBB1584_170
.LBB1584_168:                           ; =>This Inner Loop Header: Depth=1
	s_or_b64 s[46:47], s[46:47], exec
	s_cmp_eq_u64 s[42:43], s[48:49]
	s_cbranch_scc0 .LBB1584_166
; %bb.169:                              ;   in Loop: Header=BB1584_168 Depth=1
                                        ; implicit-def: $vgpr30_vgpr31
                                        ; implicit-def: $vgpr32_vgpr33
	s_mov_b64 s[48:49], s[26:27]
	s_branch .LBB1584_167
.LBB1584_170:
	s_or_b64 exec, exec, s[44:45]
	v_cmp_gt_i64_e32 vcc, s[26:27], v[34:35]
	s_orn2_b64 s[42:43], vcc, exec
.LBB1584_171:
	s_or_b64 exec, exec, s[36:37]
.LBB1584_172:
	s_and_b64 s[36:37], s[42:43], exec
.LBB1584_173:
	s_or_b64 exec, exec, s[40:41]
	v_cmp_ne_u32_e32 vcc, 0, v0
	s_waitcnt lgkmcnt(0)
	v_mov_b64_e32 v[30:31], s[6:7]
	s_barrier
	s_and_saveexec_b64 s[6:7], vcc
	s_cbranch_execz .LBB1584_175
; %bb.174:
	v_add_u32_e32 v30, -8, v45
	ds_read_b64 v[30:31], v30
.LBB1584_175:
	s_or_b64 exec, exec, s[6:7]
	v_cndmask_b32_e64 v33, 0, 1, s[18:19]
	v_cndmask_b32_e64 v32, 0, 1, s[38:39]
	;; [unrolled: 1-line block ×3, first 2 shown]
	v_lshlrev_b16_e32 v33, 8, v33
	v_cmp_gt_u32_e32 vcc, s3, v1
	v_lshlrev_b16_e32 v36, 8, v34
	v_or_b32_sdwa v37, v32, v33 dst_sel:WORD_1 dst_unused:UNUSED_PAD src0_sel:DWORD src1_sel:DWORD
	s_mov_b64 s[18:19], 0
	s_and_saveexec_b64 s[6:7], vcc
	s_cbranch_execz .LBB1584_186
; %bb.176:
	s_and_b64 vcc, exec, s[4:5]
	s_cbranch_vccnz .LBB1584_185
; %bb.177:
	s_waitcnt lgkmcnt(0)
	v_mul_lo_u32 v32, v31, s26
	v_mul_lo_u32 v33, v30, s27
	v_mad_u64_u32 v[30:31], s[4:5], v30, s26, 0
	v_add3_u32 v31, v31, v33, v32
	v_mul_lo_u32 v32, v23, s26
	v_mul_lo_u32 v33, v22, s27
	v_mad_u64_u32 v[34:35], s[4:5], v22, s26, 0
	v_add3_u32 v35, v35, v33, v32
	v_lshl_add_u64 v[32:33], v[30:31], 2, s[28:29]
	v_lshl_add_u64 v[30:31], v[34:35], 2, s[28:29]
	global_load_dword v34, v[32:33], off
	global_load_dword v35, v[30:31], off
	s_mov_b64 s[18:19], -1
	s_waitcnt vmcnt(0)
	v_cmp_eq_u32_e32 vcc, v34, v35
	s_and_saveexec_b64 s[4:5], vcc
	s_cbranch_execz .LBB1584_184
; %bb.178:
	s_add_u32 s18, s26, -1
	v_lshl_add_u64 v[30:31], v[30:31], 0, 4
	v_lshl_add_u64 v[32:33], v[32:33], 0, 4
	s_addc_u32 s19, s27, -1
	s_mov_b64 s[36:37], 0
	s_mov_b64 s[40:41], 0
                                        ; implicit-def: $sgpr38_sgpr39
	s_branch .LBB1584_181
.LBB1584_179:                           ;   in Loop: Header=BB1584_181 Depth=1
	global_load_dword v34, v[32:33], off
	global_load_dword v35, v[30:31], off
	s_add_u32 s40, s40, 1
	s_addc_u32 s41, s41, 0
	s_andn2_b64 s[38:39], s[38:39], exec
	v_lshl_add_u64 v[30:31], v[30:31], 0, 4
	v_lshl_add_u64 v[32:33], v[32:33], 0, 4
	s_waitcnt vmcnt(0)
	v_cmp_ne_u32_e32 vcc, v34, v35
	s_and_b64 s[42:43], vcc, exec
	s_or_b64 s[38:39], s[38:39], s[42:43]
.LBB1584_180:                           ;   in Loop: Header=BB1584_181 Depth=1
	s_and_b64 s[42:43], exec, s[38:39]
	s_or_b64 s[36:37], s[42:43], s[36:37]
	v_mov_b64_e32 v[34:35], s[40:41]
	s_andn2_b64 exec, exec, s[36:37]
	s_cbranch_execz .LBB1584_183
.LBB1584_181:                           ; =>This Inner Loop Header: Depth=1
	s_or_b64 s[38:39], s[38:39], exec
	s_cmp_eq_u64 s[18:19], s[40:41]
	s_cbranch_scc0 .LBB1584_179
; %bb.182:                              ;   in Loop: Header=BB1584_181 Depth=1
                                        ; implicit-def: $vgpr30_vgpr31
                                        ; implicit-def: $vgpr32_vgpr33
	s_mov_b64 s[40:41], s[26:27]
	s_branch .LBB1584_180
.LBB1584_183:
	s_or_b64 exec, exec, s[36:37]
	v_cmp_gt_i64_e32 vcc, s[26:27], v[34:35]
	s_orn2_b64 s[18:19], vcc, exec
.LBB1584_184:
	s_or_b64 exec, exec, s[4:5]
.LBB1584_185:
	s_and_b64 s[18:19], s[18:19], exec
.LBB1584_186:
	s_or_b64 exec, exec, s[6:7]
	v_cndmask_b32_e64 v46, 0, 1, s[14:15]
	v_cndmask_b32_e64 v47, 0, 1, s[12:13]
	;; [unrolled: 1-line block ×3, first 2 shown]
	v_or_b32_e32 v34, v36, v37
.LBB1584_187:
	s_mov_b64 s[10:11], -1
	s_cbranch_execnz .LBB1584_46
.LBB1584_188:
	s_movk_i32 s4, 0xffd0
	v_mad_i32_i24 v44, v0, s4, v44
	s_mov_b64 s[12:13], 0
	s_waitcnt lgkmcnt(0)
	v_cmp_gt_i64_e64 s[6:7], s[26:27], 0
	s_and_b64 vcc, exec, s[34:35]
	ds_write_b64 v44, v[28:29]
	s_cbranch_vccz .LBB1584_196
; %bb.189:
	v_mul_lo_u32 v32, v17, s26
	v_mul_lo_u32 v33, v16, s27
	v_mad_u64_u32 v[30:31], s[4:5], v16, s26, 0
	v_add3_u32 v31, v31, v33, v32
	v_cndmask_b32_e64 v32, 0, 1, s[6:7]
	v_cmp_ne_u32_e64 s[4:5], 1, v32
	s_andn2_b64 vcc, exec, s[6:7]
	v_lshl_add_u64 v[30:31], v[30:31], 2, s[28:29]
	s_cbranch_vccnz .LBB1584_199
; %bb.190:
	v_mul_lo_u32 v34, v29, s26
	v_mul_lo_u32 v35, v28, s27
	v_mad_u64_u32 v[32:33], s[12:13], v28, s26, 0
	v_add3_u32 v33, v33, v35, v34
	v_lshl_add_u64 v[32:33], v[32:33], 2, s[28:29]
	global_load_dword v34, v[30:31], off
	global_load_dword v35, v[32:33], off
	s_mov_b64 s[12:13], -1
	s_waitcnt vmcnt(0)
	v_cmp_eq_u32_e32 vcc, v34, v35
	s_and_saveexec_b64 s[14:15], vcc
	s_cbranch_execz .LBB1584_198
; %bb.191:
	s_add_u32 s12, s26, -1
	v_lshl_add_u64 v[32:33], v[32:33], 0, 4
	v_lshl_add_u64 v[34:35], v[30:31], 0, 4
	s_addc_u32 s13, s27, -1
	s_mov_b64 s[18:19], 0
	s_mov_b64 s[38:39], 0
                                        ; implicit-def: $sgpr36_sgpr37
	s_branch .LBB1584_194
.LBB1584_192:                           ;   in Loop: Header=BB1584_194 Depth=1
	global_load_dword v36, v[34:35], off
	global_load_dword v37, v[32:33], off
	s_add_u32 s38, s38, 1
	s_addc_u32 s39, s39, 0
	s_andn2_b64 s[36:37], s[36:37], exec
	v_lshl_add_u64 v[32:33], v[32:33], 0, 4
	v_lshl_add_u64 v[34:35], v[34:35], 0, 4
	s_waitcnt vmcnt(0)
	v_cmp_ne_u32_e32 vcc, v36, v37
	s_and_b64 s[40:41], vcc, exec
	s_or_b64 s[36:37], s[36:37], s[40:41]
.LBB1584_193:                           ;   in Loop: Header=BB1584_194 Depth=1
	s_and_b64 s[40:41], exec, s[36:37]
	s_or_b64 s[18:19], s[40:41], s[18:19]
	v_mov_b64_e32 v[36:37], s[38:39]
	s_andn2_b64 exec, exec, s[18:19]
	s_cbranch_execz .LBB1584_197
.LBB1584_194:                           ; =>This Inner Loop Header: Depth=1
	s_or_b64 s[36:37], s[36:37], exec
	s_cmp_eq_u64 s[12:13], s[38:39]
	s_cbranch_scc0 .LBB1584_192
; %bb.195:                              ;   in Loop: Header=BB1584_194 Depth=1
                                        ; implicit-def: $vgpr32_vgpr33
                                        ; implicit-def: $vgpr34_vgpr35
	s_mov_b64 s[38:39], s[26:27]
	s_branch .LBB1584_193
.LBB1584_196:
                                        ; implicit-def: $sgpr18_sgpr19
                                        ; implicit-def: $vgpr48
                                        ; implicit-def: $vgpr47
                                        ; implicit-def: $vgpr46
                                        ; implicit-def: $vgpr34
                                        ; implicit-def: $vgpr30_vgpr31
	s_cbranch_execnz .LBB1584_256
	s_branch .LBB1584_336
.LBB1584_197:
	s_or_b64 exec, exec, s[18:19]
	v_cmp_gt_i64_e32 vcc, s[26:27], v[36:37]
	s_orn2_b64 s[12:13], vcc, exec
.LBB1584_198:
	s_or_b64 exec, exec, s[14:15]
.LBB1584_199:
	v_mul_lo_u32 v34, v15, s26
	v_mul_lo_u32 v35, v14, s27
	v_mad_u64_u32 v[32:33], s[14:15], v14, s26, 0
	v_add3_u32 v33, v33, v35, v34
	s_mov_b64 s[14:15], 0
	s_and_b64 vcc, exec, s[4:5]
	v_lshl_add_u64 v[32:33], v[32:33], 2, s[28:29]
	s_mov_b64 s[18:19], 0
	s_cbranch_vccnz .LBB1584_208
; %bb.200:
	global_load_dword v34, v[32:33], off
	global_load_dword v35, v[30:31], off
	s_mov_b64 s[18:19], -1
	s_waitcnt vmcnt(0)
	v_cmp_eq_u32_e32 vcc, v34, v35
	s_and_saveexec_b64 s[36:37], vcc
	s_cbranch_execz .LBB1584_207
; %bb.201:
	s_add_u32 s18, s26, -1
	v_lshl_add_u64 v[30:31], v[30:31], 0, 4
	v_lshl_add_u64 v[34:35], v[32:33], 0, 4
	s_addc_u32 s19, s27, -1
	s_mov_b64 s[38:39], 0
	s_mov_b64 s[42:43], 0
                                        ; implicit-def: $sgpr40_sgpr41
	s_branch .LBB1584_204
.LBB1584_202:                           ;   in Loop: Header=BB1584_204 Depth=1
	global_load_dword v36, v[34:35], off
	global_load_dword v37, v[30:31], off
	s_add_u32 s42, s42, 1
	s_addc_u32 s43, s43, 0
	s_andn2_b64 s[40:41], s[40:41], exec
	v_lshl_add_u64 v[30:31], v[30:31], 0, 4
	v_lshl_add_u64 v[34:35], v[34:35], 0, 4
	s_waitcnt vmcnt(0)
	v_cmp_ne_u32_e32 vcc, v36, v37
	s_and_b64 s[44:45], vcc, exec
	s_or_b64 s[40:41], s[40:41], s[44:45]
.LBB1584_203:                           ;   in Loop: Header=BB1584_204 Depth=1
	s_and_b64 s[44:45], exec, s[40:41]
	s_or_b64 s[38:39], s[44:45], s[38:39]
	v_mov_b64_e32 v[36:37], s[42:43]
	s_andn2_b64 exec, exec, s[38:39]
	s_cbranch_execz .LBB1584_206
.LBB1584_204:                           ; =>This Inner Loop Header: Depth=1
	s_or_b64 s[40:41], s[40:41], exec
	s_cmp_eq_u64 s[18:19], s[42:43]
	s_cbranch_scc0 .LBB1584_202
; %bb.205:                              ;   in Loop: Header=BB1584_204 Depth=1
                                        ; implicit-def: $vgpr30_vgpr31
                                        ; implicit-def: $vgpr34_vgpr35
	s_mov_b64 s[42:43], s[26:27]
	s_branch .LBB1584_203
.LBB1584_206:
	s_or_b64 exec, exec, s[38:39]
	v_cmp_gt_i64_e32 vcc, s[26:27], v[36:37]
	s_orn2_b64 s[18:19], vcc, exec
.LBB1584_207:
	s_or_b64 exec, exec, s[36:37]
.LBB1584_208:
	v_mul_lo_u32 v34, v21, s26
	v_mul_lo_u32 v35, v20, s27
	v_mad_u64_u32 v[30:31], s[36:37], v20, s26, 0
	v_add3_u32 v31, v31, v35, v34
	s_and_b64 vcc, exec, s[4:5]
	v_lshl_add_u64 v[30:31], v[30:31], 2, s[28:29]
	s_cbranch_vccnz .LBB1584_217
; %bb.209:
	global_load_dword v34, v[30:31], off
	global_load_dword v35, v[32:33], off
	s_mov_b64 s[14:15], -1
	s_waitcnt vmcnt(0)
	v_cmp_eq_u32_e32 vcc, v34, v35
	s_and_saveexec_b64 s[36:37], vcc
	s_cbranch_execz .LBB1584_216
; %bb.210:
	s_add_u32 s14, s26, -1
	v_lshl_add_u64 v[32:33], v[32:33], 0, 4
	v_lshl_add_u64 v[34:35], v[30:31], 0, 4
	s_addc_u32 s15, s27, -1
	s_mov_b64 s[38:39], 0
	s_mov_b64 s[42:43], 0
                                        ; implicit-def: $sgpr40_sgpr41
	s_branch .LBB1584_213
.LBB1584_211:                           ;   in Loop: Header=BB1584_213 Depth=1
	global_load_dword v36, v[34:35], off
	global_load_dword v37, v[32:33], off
	s_add_u32 s42, s42, 1
	s_addc_u32 s43, s43, 0
	s_andn2_b64 s[40:41], s[40:41], exec
	v_lshl_add_u64 v[32:33], v[32:33], 0, 4
	v_lshl_add_u64 v[34:35], v[34:35], 0, 4
	s_waitcnt vmcnt(0)
	v_cmp_ne_u32_e32 vcc, v36, v37
	s_and_b64 s[44:45], vcc, exec
	s_or_b64 s[40:41], s[40:41], s[44:45]
.LBB1584_212:                           ;   in Loop: Header=BB1584_213 Depth=1
	s_and_b64 s[44:45], exec, s[40:41]
	s_or_b64 s[38:39], s[44:45], s[38:39]
	v_mov_b64_e32 v[36:37], s[42:43]
	s_andn2_b64 exec, exec, s[38:39]
	s_cbranch_execz .LBB1584_215
.LBB1584_213:                           ; =>This Inner Loop Header: Depth=1
	s_or_b64 s[40:41], s[40:41], exec
	s_cmp_eq_u64 s[14:15], s[42:43]
	s_cbranch_scc0 .LBB1584_211
; %bb.214:                              ;   in Loop: Header=BB1584_213 Depth=1
                                        ; implicit-def: $vgpr32_vgpr33
                                        ; implicit-def: $vgpr34_vgpr35
	s_mov_b64 s[42:43], s[26:27]
	s_branch .LBB1584_212
.LBB1584_215:
	s_or_b64 exec, exec, s[38:39]
	v_cmp_gt_i64_e32 vcc, s[26:27], v[36:37]
	s_orn2_b64 s[14:15], vcc, exec
.LBB1584_216:
	s_or_b64 exec, exec, s[36:37]
.LBB1584_217:
	v_mul_lo_u32 v34, v19, s26
	v_mul_lo_u32 v35, v18, s27
	v_mad_u64_u32 v[32:33], s[36:37], v18, s26, 0
	v_add3_u32 v33, v33, v35, v34
	s_mov_b64 s[36:37], 0
	s_and_b64 vcc, exec, s[4:5]
	v_lshl_add_u64 v[32:33], v[32:33], 2, s[28:29]
	s_mov_b64 s[38:39], 0
	s_cbranch_vccnz .LBB1584_226
; %bb.218:
	global_load_dword v34, v[32:33], off
	global_load_dword v35, v[30:31], off
	s_mov_b64 s[38:39], -1
	s_waitcnt vmcnt(0)
	v_cmp_eq_u32_e32 vcc, v34, v35
	s_and_saveexec_b64 s[40:41], vcc
	s_cbranch_execz .LBB1584_225
; %bb.219:
	s_add_u32 s38, s26, -1
	v_lshl_add_u64 v[30:31], v[30:31], 0, 4
	v_lshl_add_u64 v[34:35], v[32:33], 0, 4
	s_addc_u32 s39, s27, -1
	s_mov_b64 s[42:43], 0
	s_mov_b64 s[46:47], 0
                                        ; implicit-def: $sgpr44_sgpr45
	s_branch .LBB1584_222
.LBB1584_220:                           ;   in Loop: Header=BB1584_222 Depth=1
	global_load_dword v36, v[34:35], off
	global_load_dword v37, v[30:31], off
	s_add_u32 s46, s46, 1
	s_addc_u32 s47, s47, 0
	s_andn2_b64 s[44:45], s[44:45], exec
	v_lshl_add_u64 v[30:31], v[30:31], 0, 4
	v_lshl_add_u64 v[34:35], v[34:35], 0, 4
	s_waitcnt vmcnt(0)
	v_cmp_ne_u32_e32 vcc, v36, v37
	s_and_b64 s[48:49], vcc, exec
	s_or_b64 s[44:45], s[44:45], s[48:49]
.LBB1584_221:                           ;   in Loop: Header=BB1584_222 Depth=1
	s_and_b64 s[48:49], exec, s[44:45]
	s_or_b64 s[42:43], s[48:49], s[42:43]
	v_mov_b64_e32 v[36:37], s[46:47]
	s_andn2_b64 exec, exec, s[42:43]
	s_cbranch_execz .LBB1584_224
.LBB1584_222:                           ; =>This Inner Loop Header: Depth=1
	s_or_b64 s[44:45], s[44:45], exec
	s_cmp_eq_u64 s[38:39], s[46:47]
	s_cbranch_scc0 .LBB1584_220
; %bb.223:                              ;   in Loop: Header=BB1584_222 Depth=1
                                        ; implicit-def: $vgpr30_vgpr31
                                        ; implicit-def: $vgpr34_vgpr35
	s_mov_b64 s[46:47], s[26:27]
	s_branch .LBB1584_221
.LBB1584_224:
	s_or_b64 exec, exec, s[42:43]
	v_cmp_gt_i64_e32 vcc, s[26:27], v[36:37]
	s_orn2_b64 s[38:39], vcc, exec
.LBB1584_225:
	s_or_b64 exec, exec, s[40:41]
.LBB1584_226:
	v_mul_lo_u32 v34, v25, s26
	v_mul_lo_u32 v35, v24, s27
	v_mad_u64_u32 v[30:31], s[40:41], v24, s26, 0
	v_add3_u32 v31, v31, v35, v34
	s_and_b64 vcc, exec, s[4:5]
	v_lshl_add_u64 v[30:31], v[30:31], 2, s[28:29]
	s_cbranch_vccnz .LBB1584_235
; %bb.227:
	global_load_dword v34, v[30:31], off
	global_load_dword v35, v[32:33], off
	s_mov_b64 s[36:37], -1
	s_waitcnt vmcnt(0)
	v_cmp_eq_u32_e32 vcc, v34, v35
	s_and_saveexec_b64 s[40:41], vcc
	s_cbranch_execz .LBB1584_234
; %bb.228:
	s_add_u32 s36, s26, -1
	v_lshl_add_u64 v[32:33], v[32:33], 0, 4
	v_lshl_add_u64 v[34:35], v[30:31], 0, 4
	s_addc_u32 s37, s27, -1
	s_mov_b64 s[42:43], 0
	s_mov_b64 s[46:47], 0
                                        ; implicit-def: $sgpr44_sgpr45
	s_branch .LBB1584_231
.LBB1584_229:                           ;   in Loop: Header=BB1584_231 Depth=1
	global_load_dword v36, v[34:35], off
	global_load_dword v37, v[32:33], off
	s_add_u32 s46, s46, 1
	s_addc_u32 s47, s47, 0
	s_andn2_b64 s[44:45], s[44:45], exec
	v_lshl_add_u64 v[32:33], v[32:33], 0, 4
	v_lshl_add_u64 v[34:35], v[34:35], 0, 4
	s_waitcnt vmcnt(0)
	v_cmp_ne_u32_e32 vcc, v36, v37
	s_and_b64 s[48:49], vcc, exec
	s_or_b64 s[44:45], s[44:45], s[48:49]
.LBB1584_230:                           ;   in Loop: Header=BB1584_231 Depth=1
	s_and_b64 s[48:49], exec, s[44:45]
	s_or_b64 s[42:43], s[48:49], s[42:43]
	v_mov_b64_e32 v[36:37], s[46:47]
	s_andn2_b64 exec, exec, s[42:43]
	s_cbranch_execz .LBB1584_233
.LBB1584_231:                           ; =>This Inner Loop Header: Depth=1
	s_or_b64 s[44:45], s[44:45], exec
	s_cmp_eq_u64 s[36:37], s[46:47]
	s_cbranch_scc0 .LBB1584_229
; %bb.232:                              ;   in Loop: Header=BB1584_231 Depth=1
                                        ; implicit-def: $vgpr32_vgpr33
                                        ; implicit-def: $vgpr34_vgpr35
	s_mov_b64 s[46:47], s[26:27]
	s_branch .LBB1584_230
.LBB1584_233:
	s_or_b64 exec, exec, s[42:43]
	v_cmp_gt_i64_e32 vcc, s[26:27], v[36:37]
	s_orn2_b64 s[36:37], vcc, exec
.LBB1584_234:
	s_or_b64 exec, exec, s[40:41]
.LBB1584_235:
	v_mul_lo_u32 v34, v23, s26
	v_mul_lo_u32 v35, v22, s27
	v_mad_u64_u32 v[32:33], s[40:41], v22, s26, 0
	v_add3_u32 v33, v33, v35, v34
	s_and_b64 vcc, exec, s[4:5]
	s_mov_b64 s[42:43], 0
	s_cbranch_vccnz .LBB1584_244
; %bb.236:
	v_lshl_add_u64 v[34:35], v[32:33], 2, s[28:29]
	global_load_dword v36, v[34:35], off
	global_load_dword v37, v[30:31], off
	s_mov_b64 s[42:43], -1
	s_waitcnt vmcnt(0)
	v_cmp_eq_u32_e32 vcc, v36, v37
	s_and_saveexec_b64 s[40:41], vcc
	s_cbranch_execz .LBB1584_243
; %bb.237:
	s_add_u32 s42, s26, -1
	v_lshl_add_u64 v[30:31], v[30:31], 0, 4
	v_lshl_add_u64 v[34:35], v[34:35], 0, 4
	s_addc_u32 s43, s27, -1
	s_mov_b64 s[44:45], 0
	s_mov_b64 s[48:49], 0
                                        ; implicit-def: $sgpr46_sgpr47
	s_branch .LBB1584_240
.LBB1584_238:                           ;   in Loop: Header=BB1584_240 Depth=1
	global_load_dword v36, v[34:35], off
	global_load_dword v37, v[30:31], off
	s_add_u32 s48, s48, 1
	s_addc_u32 s49, s49, 0
	s_andn2_b64 s[46:47], s[46:47], exec
	v_lshl_add_u64 v[30:31], v[30:31], 0, 4
	v_lshl_add_u64 v[34:35], v[34:35], 0, 4
	s_waitcnt vmcnt(0)
	v_cmp_ne_u32_e32 vcc, v36, v37
	s_and_b64 s[50:51], vcc, exec
	s_or_b64 s[46:47], s[46:47], s[50:51]
.LBB1584_239:                           ;   in Loop: Header=BB1584_240 Depth=1
	s_and_b64 s[50:51], exec, s[46:47]
	s_or_b64 s[44:45], s[50:51], s[44:45]
	v_mov_b64_e32 v[36:37], s[48:49]
	s_andn2_b64 exec, exec, s[44:45]
	s_cbranch_execz .LBB1584_242
.LBB1584_240:                           ; =>This Inner Loop Header: Depth=1
	s_or_b64 s[46:47], s[46:47], exec
	s_cmp_eq_u64 s[42:43], s[48:49]
	s_cbranch_scc0 .LBB1584_238
; %bb.241:                              ;   in Loop: Header=BB1584_240 Depth=1
                                        ; implicit-def: $vgpr30_vgpr31
                                        ; implicit-def: $vgpr34_vgpr35
	s_mov_b64 s[48:49], s[26:27]
	s_branch .LBB1584_239
.LBB1584_242:
	s_or_b64 exec, exec, s[44:45]
	v_cmp_gt_i64_e32 vcc, s[26:27], v[36:37]
	s_orn2_b64 s[42:43], vcc, exec
.LBB1584_243:
	s_or_b64 exec, exec, s[40:41]
.LBB1584_244:
	v_cndmask_b32_e64 v31, 0, 1, s[38:39]
	v_cndmask_b32_e64 v30, 0, 1, s[36:37]
	v_cndmask_b32_e64 v47, 0, 1, s[18:19]
	v_lshlrev_b16_e32 v31, 8, v31
	v_cndmask_b32_e64 v46, 0, 1, s[14:15]
	v_cndmask_b32_e64 v34, 0, 1, s[42:43]
	v_or_b32_sdwa v30, v30, v31 dst_sel:WORD_1 dst_unused:UNUSED_PAD src0_sel:DWORD src1_sel:DWORD
	v_lshlrev_b16_e32 v31, 8, v47
	v_lshlrev_b16_e32 v34, 8, v34
	v_or_b32_e32 v31, v46, v31
	v_or_b32_e32 v34, 1, v34
	v_and_b32_e32 v31, 0xffff, v31
	v_cndmask_b32_e64 v48, 0, 1, s[12:13]
	v_or_b32_sdwa v30, v34, v30 dst_sel:DWORD dst_unused:UNUSED_PAD src0_sel:WORD_0 src1_sel:DWORD
	v_lshl_or_b32 v31, v48, 16, v31
	v_cmp_ne_u32_e32 vcc, 0, v0
	s_waitcnt lgkmcnt(0)
	s_barrier
	s_waitcnt lgkmcnt(0)
                                        ; implicit-def: $sgpr18_sgpr19
                                        ; implicit-def: $vgpr34
	s_and_saveexec_b64 s[12:13], vcc
	s_xor_b64 s[12:13], exec, s[12:13]
	s_cbranch_execz .LBB1584_255
; %bb.245:
	s_mov_b32 s33, 0x3020104
	s_and_b64 vcc, exec, s[4:5]
	s_mov_b64 s[14:15], 0
	s_cbranch_vccnz .LBB1584_254
; %bb.246:
	v_add_u32_e32 v31, -8, v44
	ds_read_b64 v[34:35], v31
	v_lshl_add_u64 v[32:33], v[32:33], 2, s[28:29]
	s_mov_b64 s[14:15], -1
	s_waitcnt lgkmcnt(0)
	v_mul_lo_u32 v31, v35, s26
	v_mul_lo_u32 v36, v34, s27
	v_mad_u64_u32 v[34:35], s[4:5], v34, s26, 0
	v_add3_u32 v35, v35, v36, v31
	v_lshl_add_u64 v[34:35], v[34:35], 2, s[28:29]
	global_load_dword v31, v[34:35], off
	global_load_dword v36, v[32:33], off
	s_waitcnt vmcnt(0)
	v_cmp_eq_u32_e32 vcc, v31, v36
	s_and_saveexec_b64 s[4:5], vcc
	s_cbranch_execz .LBB1584_253
; %bb.247:
	s_add_u32 s14, s26, -1
	v_lshl_add_u64 v[32:33], v[32:33], 0, 4
	v_lshl_add_u64 v[34:35], v[34:35], 0, 4
	s_addc_u32 s15, s27, -1
	s_mov_b64 s[18:19], 0
	s_mov_b64 s[38:39], 0
                                        ; implicit-def: $sgpr36_sgpr37
	s_branch .LBB1584_250
.LBB1584_248:                           ;   in Loop: Header=BB1584_250 Depth=1
	global_load_dword v31, v[34:35], off
	global_load_dword v36, v[32:33], off
	s_add_u32 s38, s38, 1
	s_addc_u32 s39, s39, 0
	s_andn2_b64 s[36:37], s[36:37], exec
	v_lshl_add_u64 v[32:33], v[32:33], 0, 4
	v_lshl_add_u64 v[34:35], v[34:35], 0, 4
	s_waitcnt vmcnt(0)
	v_cmp_ne_u32_e32 vcc, v31, v36
	s_and_b64 s[40:41], vcc, exec
	s_or_b64 s[36:37], s[36:37], s[40:41]
.LBB1584_249:                           ;   in Loop: Header=BB1584_250 Depth=1
	s_and_b64 s[40:41], exec, s[36:37]
	s_or_b64 s[18:19], s[40:41], s[18:19]
	v_mov_b64_e32 v[36:37], s[38:39]
	s_andn2_b64 exec, exec, s[18:19]
	s_cbranch_execz .LBB1584_252
.LBB1584_250:                           ; =>This Inner Loop Header: Depth=1
	s_or_b64 s[36:37], s[36:37], exec
	s_cmp_eq_u64 s[14:15], s[38:39]
	s_cbranch_scc0 .LBB1584_248
; %bb.251:                              ;   in Loop: Header=BB1584_250 Depth=1
                                        ; implicit-def: $vgpr32_vgpr33
                                        ; implicit-def: $vgpr34_vgpr35
	s_mov_b64 s[38:39], s[26:27]
	s_branch .LBB1584_249
.LBB1584_252:
	s_or_b64 exec, exec, s[18:19]
	v_cmp_gt_i64_e32 vcc, s[26:27], v[36:37]
	s_orn2_b64 s[14:15], vcc, exec
.LBB1584_253:
	s_or_b64 exec, exec, s[4:5]
.LBB1584_254:
	v_perm_b32 v34, v30, v30, s33
	s_and_b64 s[18:19], s[14:15], exec
	s_or_b64 s[10:11], s[10:11], exec
                                        ; implicit-def: $vgpr30_vgpr31
.LBB1584_255:
	s_or_b64 exec, exec, s[12:13]
	s_branch .LBB1584_336
.LBB1584_256:
	v_cmp_gt_u32_e32 vcc, s3, v40
	s_mov_b64 s[12:13], 0
	s_mov_b64 s[4:5], 0
	s_and_saveexec_b64 s[14:15], vcc
	s_cbranch_execz .LBB1584_267
; %bb.257:
	s_andn2_b64 vcc, exec, s[6:7]
	s_mov_b64 s[18:19], 0
	s_cbranch_vccnz .LBB1584_266
; %bb.258:
	v_mul_lo_u32 v32, v17, s26
	v_mul_lo_u32 v33, v16, s27
	v_mad_u64_u32 v[30:31], s[4:5], v16, s26, 0
	v_add3_u32 v31, v31, v33, v32
	v_mul_lo_u32 v32, v29, s26
	v_mul_lo_u32 v33, v28, s27
	v_mad_u64_u32 v[34:35], s[4:5], v28, s26, 0
	v_add3_u32 v35, v35, v33, v32
	v_lshl_add_u64 v[32:33], v[30:31], 2, s[28:29]
	v_lshl_add_u64 v[30:31], v[34:35], 2, s[28:29]
	global_load_dword v34, v[32:33], off
	global_load_dword v35, v[30:31], off
	s_mov_b64 s[18:19], -1
	s_waitcnt vmcnt(0)
	v_cmp_eq_u32_e32 vcc, v34, v35
	s_and_saveexec_b64 s[4:5], vcc
	s_cbranch_execz .LBB1584_265
; %bb.259:
	s_add_u32 s18, s26, -1
	v_lshl_add_u64 v[30:31], v[30:31], 0, 4
	v_lshl_add_u64 v[32:33], v[32:33], 0, 4
	s_addc_u32 s19, s27, -1
	s_mov_b64 s[36:37], 0
	s_mov_b64 s[40:41], 0
                                        ; implicit-def: $sgpr38_sgpr39
	s_branch .LBB1584_262
.LBB1584_260:                           ;   in Loop: Header=BB1584_262 Depth=1
	global_load_dword v34, v[32:33], off
	global_load_dword v35, v[30:31], off
	s_add_u32 s40, s40, 1
	s_addc_u32 s41, s41, 0
	s_andn2_b64 s[38:39], s[38:39], exec
	v_lshl_add_u64 v[30:31], v[30:31], 0, 4
	v_lshl_add_u64 v[32:33], v[32:33], 0, 4
	s_waitcnt vmcnt(0)
	v_cmp_ne_u32_e32 vcc, v34, v35
	s_and_b64 s[42:43], vcc, exec
	s_or_b64 s[38:39], s[38:39], s[42:43]
.LBB1584_261:                           ;   in Loop: Header=BB1584_262 Depth=1
	s_and_b64 s[42:43], exec, s[38:39]
	s_or_b64 s[36:37], s[42:43], s[36:37]
	v_mov_b64_e32 v[34:35], s[40:41]
	s_andn2_b64 exec, exec, s[36:37]
	s_cbranch_execz .LBB1584_264
.LBB1584_262:                           ; =>This Inner Loop Header: Depth=1
	s_or_b64 s[38:39], s[38:39], exec
	s_cmp_eq_u64 s[18:19], s[40:41]
	s_cbranch_scc0 .LBB1584_260
; %bb.263:                              ;   in Loop: Header=BB1584_262 Depth=1
                                        ; implicit-def: $vgpr30_vgpr31
                                        ; implicit-def: $vgpr32_vgpr33
	s_mov_b64 s[40:41], s[26:27]
	s_branch .LBB1584_261
.LBB1584_264:
	s_or_b64 exec, exec, s[36:37]
	v_cmp_gt_i64_e32 vcc, s[26:27], v[34:35]
	s_orn2_b64 s[18:19], vcc, exec
.LBB1584_265:
	s_or_b64 exec, exec, s[4:5]
.LBB1584_266:
	s_and_b64 s[4:5], s[18:19], exec
.LBB1584_267:
	s_or_b64 exec, exec, s[14:15]
	v_cmp_gt_u32_e32 vcc, s3, v43
	s_and_saveexec_b64 s[14:15], vcc
	s_cbranch_execz .LBB1584_278
; %bb.268:
	s_andn2_b64 vcc, exec, s[6:7]
	s_mov_b64 s[18:19], 0
	s_cbranch_vccnz .LBB1584_277
; %bb.269:
	v_mul_lo_u32 v32, v15, s26
	v_mul_lo_u32 v33, v14, s27
	v_mad_u64_u32 v[30:31], s[12:13], v14, s26, 0
	v_add3_u32 v31, v31, v33, v32
	v_mul_lo_u32 v32, v17, s26
	v_mul_lo_u32 v33, v16, s27
	v_mad_u64_u32 v[34:35], s[12:13], v16, s26, 0
	v_add3_u32 v35, v35, v33, v32
	v_lshl_add_u64 v[32:33], v[30:31], 2, s[28:29]
	v_lshl_add_u64 v[30:31], v[34:35], 2, s[28:29]
	global_load_dword v34, v[32:33], off
	global_load_dword v35, v[30:31], off
	s_mov_b64 s[18:19], -1
	s_waitcnt vmcnt(0)
	v_cmp_eq_u32_e32 vcc, v34, v35
	s_and_saveexec_b64 s[12:13], vcc
	s_cbranch_execz .LBB1584_276
; %bb.270:
	s_add_u32 s18, s26, -1
	v_lshl_add_u64 v[30:31], v[30:31], 0, 4
	v_lshl_add_u64 v[32:33], v[32:33], 0, 4
	s_addc_u32 s19, s27, -1
	s_mov_b64 s[36:37], 0
	s_mov_b64 s[40:41], 0
                                        ; implicit-def: $sgpr38_sgpr39
	s_branch .LBB1584_273
.LBB1584_271:                           ;   in Loop: Header=BB1584_273 Depth=1
	global_load_dword v34, v[32:33], off
	global_load_dword v35, v[30:31], off
	s_add_u32 s40, s40, 1
	s_addc_u32 s41, s41, 0
	s_andn2_b64 s[38:39], s[38:39], exec
	v_lshl_add_u64 v[30:31], v[30:31], 0, 4
	v_lshl_add_u64 v[32:33], v[32:33], 0, 4
	s_waitcnt vmcnt(0)
	v_cmp_ne_u32_e32 vcc, v34, v35
	s_and_b64 s[42:43], vcc, exec
	s_or_b64 s[38:39], s[38:39], s[42:43]
.LBB1584_272:                           ;   in Loop: Header=BB1584_273 Depth=1
	s_and_b64 s[42:43], exec, s[38:39]
	s_or_b64 s[36:37], s[42:43], s[36:37]
	v_mov_b64_e32 v[34:35], s[40:41]
	s_andn2_b64 exec, exec, s[36:37]
	s_cbranch_execz .LBB1584_275
.LBB1584_273:                           ; =>This Inner Loop Header: Depth=1
	s_or_b64 s[38:39], s[38:39], exec
	s_cmp_eq_u64 s[18:19], s[40:41]
	s_cbranch_scc0 .LBB1584_271
; %bb.274:                              ;   in Loop: Header=BB1584_273 Depth=1
                                        ; implicit-def: $vgpr30_vgpr31
                                        ; implicit-def: $vgpr32_vgpr33
	s_mov_b64 s[40:41], s[26:27]
	s_branch .LBB1584_272
.LBB1584_275:
	s_or_b64 exec, exec, s[36:37]
	v_cmp_gt_i64_e32 vcc, s[26:27], v[34:35]
	s_orn2_b64 s[18:19], vcc, exec
.LBB1584_276:
	s_or_b64 exec, exec, s[12:13]
.LBB1584_277:
	s_and_b64 s[12:13], s[18:19], exec
.LBB1584_278:
	s_or_b64 exec, exec, s[14:15]
	v_cmp_gt_u32_e32 vcc, s3, v39
	s_mov_b64 s[18:19], 0
	s_mov_b64 s[14:15], 0
	s_and_saveexec_b64 s[36:37], vcc
	s_cbranch_execz .LBB1584_289
; %bb.279:
	s_andn2_b64 vcc, exec, s[6:7]
	s_mov_b64 s[38:39], 0
	s_cbranch_vccnz .LBB1584_288
; %bb.280:
	v_mul_lo_u32 v32, v21, s26
	v_mul_lo_u32 v33, v20, s27
	v_mad_u64_u32 v[30:31], s[14:15], v20, s26, 0
	v_add3_u32 v31, v31, v33, v32
	v_mul_lo_u32 v32, v15, s26
	v_mul_lo_u32 v33, v14, s27
	v_mad_u64_u32 v[34:35], s[14:15], v14, s26, 0
	v_add3_u32 v35, v35, v33, v32
	v_lshl_add_u64 v[32:33], v[30:31], 2, s[28:29]
	v_lshl_add_u64 v[30:31], v[34:35], 2, s[28:29]
	global_load_dword v34, v[32:33], off
	global_load_dword v35, v[30:31], off
	s_mov_b64 s[38:39], -1
	s_waitcnt vmcnt(0)
	v_cmp_eq_u32_e32 vcc, v34, v35
	s_and_saveexec_b64 s[14:15], vcc
	s_cbranch_execz .LBB1584_287
; %bb.281:
	s_add_u32 s38, s26, -1
	v_lshl_add_u64 v[30:31], v[30:31], 0, 4
	v_lshl_add_u64 v[32:33], v[32:33], 0, 4
	s_addc_u32 s39, s27, -1
	s_mov_b64 s[40:41], 0
	s_mov_b64 s[44:45], 0
                                        ; implicit-def: $sgpr42_sgpr43
	s_branch .LBB1584_284
.LBB1584_282:                           ;   in Loop: Header=BB1584_284 Depth=1
	global_load_dword v34, v[32:33], off
	global_load_dword v35, v[30:31], off
	s_add_u32 s44, s44, 1
	s_addc_u32 s45, s45, 0
	s_andn2_b64 s[42:43], s[42:43], exec
	v_lshl_add_u64 v[30:31], v[30:31], 0, 4
	v_lshl_add_u64 v[32:33], v[32:33], 0, 4
	s_waitcnt vmcnt(0)
	v_cmp_ne_u32_e32 vcc, v34, v35
	s_and_b64 s[46:47], vcc, exec
	s_or_b64 s[42:43], s[42:43], s[46:47]
.LBB1584_283:                           ;   in Loop: Header=BB1584_284 Depth=1
	s_and_b64 s[46:47], exec, s[42:43]
	s_or_b64 s[40:41], s[46:47], s[40:41]
	v_mov_b64_e32 v[34:35], s[44:45]
	s_andn2_b64 exec, exec, s[40:41]
	s_cbranch_execz .LBB1584_286
.LBB1584_284:                           ; =>This Inner Loop Header: Depth=1
	s_or_b64 s[42:43], s[42:43], exec
	s_cmp_eq_u64 s[38:39], s[44:45]
	s_cbranch_scc0 .LBB1584_282
; %bb.285:                              ;   in Loop: Header=BB1584_284 Depth=1
                                        ; implicit-def: $vgpr30_vgpr31
                                        ; implicit-def: $vgpr32_vgpr33
	s_mov_b64 s[44:45], s[26:27]
	s_branch .LBB1584_283
.LBB1584_286:
	s_or_b64 exec, exec, s[40:41]
	v_cmp_gt_i64_e32 vcc, s[26:27], v[34:35]
	s_orn2_b64 s[38:39], vcc, exec
.LBB1584_287:
	s_or_b64 exec, exec, s[14:15]
.LBB1584_288:
	s_and_b64 s[14:15], s[38:39], exec
.LBB1584_289:
	s_or_b64 exec, exec, s[36:37]
	v_cmp_gt_u32_e32 vcc, s3, v42
	s_and_saveexec_b64 s[36:37], vcc
	s_cbranch_execz .LBB1584_300
; %bb.290:
	s_andn2_b64 vcc, exec, s[6:7]
	s_mov_b64 s[38:39], 0
	s_cbranch_vccnz .LBB1584_299
; %bb.291:
	v_mul_lo_u32 v32, v19, s26
	v_mul_lo_u32 v33, v18, s27
	v_mad_u64_u32 v[30:31], s[18:19], v18, s26, 0
	v_add3_u32 v31, v31, v33, v32
	v_mul_lo_u32 v32, v21, s26
	v_mul_lo_u32 v33, v20, s27
	v_mad_u64_u32 v[34:35], s[18:19], v20, s26, 0
	v_add3_u32 v35, v35, v33, v32
	v_lshl_add_u64 v[32:33], v[30:31], 2, s[28:29]
	v_lshl_add_u64 v[30:31], v[34:35], 2, s[28:29]
	global_load_dword v34, v[32:33], off
	global_load_dword v35, v[30:31], off
	s_mov_b64 s[38:39], -1
	s_waitcnt vmcnt(0)
	v_cmp_eq_u32_e32 vcc, v34, v35
	s_and_saveexec_b64 s[18:19], vcc
	s_cbranch_execz .LBB1584_298
; %bb.292:
	s_add_u32 s38, s26, -1
	v_lshl_add_u64 v[30:31], v[30:31], 0, 4
	v_lshl_add_u64 v[32:33], v[32:33], 0, 4
	s_addc_u32 s39, s27, -1
	s_mov_b64 s[40:41], 0
	s_mov_b64 s[44:45], 0
                                        ; implicit-def: $sgpr42_sgpr43
	s_branch .LBB1584_295
.LBB1584_293:                           ;   in Loop: Header=BB1584_295 Depth=1
	global_load_dword v34, v[32:33], off
	global_load_dword v35, v[30:31], off
	s_add_u32 s44, s44, 1
	s_addc_u32 s45, s45, 0
	s_andn2_b64 s[42:43], s[42:43], exec
	v_lshl_add_u64 v[30:31], v[30:31], 0, 4
	v_lshl_add_u64 v[32:33], v[32:33], 0, 4
	s_waitcnt vmcnt(0)
	v_cmp_ne_u32_e32 vcc, v34, v35
	s_and_b64 s[46:47], vcc, exec
	s_or_b64 s[42:43], s[42:43], s[46:47]
.LBB1584_294:                           ;   in Loop: Header=BB1584_295 Depth=1
	s_and_b64 s[46:47], exec, s[42:43]
	s_or_b64 s[40:41], s[46:47], s[40:41]
	v_mov_b64_e32 v[34:35], s[44:45]
	s_andn2_b64 exec, exec, s[40:41]
	s_cbranch_execz .LBB1584_297
.LBB1584_295:                           ; =>This Inner Loop Header: Depth=1
	s_or_b64 s[42:43], s[42:43], exec
	s_cmp_eq_u64 s[38:39], s[44:45]
	s_cbranch_scc0 .LBB1584_293
; %bb.296:                              ;   in Loop: Header=BB1584_295 Depth=1
                                        ; implicit-def: $vgpr30_vgpr31
                                        ; implicit-def: $vgpr32_vgpr33
	s_mov_b64 s[44:45], s[26:27]
	s_branch .LBB1584_294
.LBB1584_297:
	s_or_b64 exec, exec, s[40:41]
	v_cmp_gt_i64_e32 vcc, s[26:27], v[34:35]
	s_orn2_b64 s[38:39], vcc, exec
.LBB1584_298:
	s_or_b64 exec, exec, s[18:19]
.LBB1584_299:
	s_and_b64 s[18:19], s[38:39], exec
.LBB1584_300:
	s_or_b64 exec, exec, s[36:37]
	v_cmp_gt_u32_e32 vcc, s3, v38
	s_mov_b64 s[36:37], 0
	s_mov_b64 s[38:39], 0
	s_and_saveexec_b64 s[40:41], vcc
	s_cbranch_execz .LBB1584_311
; %bb.301:
	s_andn2_b64 vcc, exec, s[6:7]
	s_mov_b64 s[42:43], 0
	s_cbranch_vccnz .LBB1584_310
; %bb.302:
	v_mul_lo_u32 v32, v25, s26
	v_mul_lo_u32 v33, v24, s27
	v_mad_u64_u32 v[30:31], s[38:39], v24, s26, 0
	v_add3_u32 v31, v31, v33, v32
	v_mul_lo_u32 v32, v19, s26
	v_mul_lo_u32 v33, v18, s27
	v_mad_u64_u32 v[34:35], s[38:39], v18, s26, 0
	v_add3_u32 v35, v35, v33, v32
	v_lshl_add_u64 v[32:33], v[30:31], 2, s[28:29]
	v_lshl_add_u64 v[30:31], v[34:35], 2, s[28:29]
	global_load_dword v34, v[32:33], off
	global_load_dword v35, v[30:31], off
	s_mov_b64 s[42:43], -1
	s_waitcnt vmcnt(0)
	v_cmp_eq_u32_e32 vcc, v34, v35
	s_and_saveexec_b64 s[38:39], vcc
	s_cbranch_execz .LBB1584_309
; %bb.303:
	s_add_u32 s42, s26, -1
	v_lshl_add_u64 v[30:31], v[30:31], 0, 4
	v_lshl_add_u64 v[32:33], v[32:33], 0, 4
	s_addc_u32 s43, s27, -1
	s_mov_b64 s[44:45], 0
	s_mov_b64 s[48:49], 0
                                        ; implicit-def: $sgpr46_sgpr47
	s_branch .LBB1584_306
.LBB1584_304:                           ;   in Loop: Header=BB1584_306 Depth=1
	global_load_dword v34, v[32:33], off
	global_load_dword v35, v[30:31], off
	s_add_u32 s48, s48, 1
	s_addc_u32 s49, s49, 0
	s_andn2_b64 s[46:47], s[46:47], exec
	v_lshl_add_u64 v[30:31], v[30:31], 0, 4
	v_lshl_add_u64 v[32:33], v[32:33], 0, 4
	s_waitcnt vmcnt(0)
	v_cmp_ne_u32_e32 vcc, v34, v35
	s_and_b64 s[50:51], vcc, exec
	s_or_b64 s[46:47], s[46:47], s[50:51]
.LBB1584_305:                           ;   in Loop: Header=BB1584_306 Depth=1
	s_and_b64 s[50:51], exec, s[46:47]
	s_or_b64 s[44:45], s[50:51], s[44:45]
	v_mov_b64_e32 v[34:35], s[48:49]
	s_andn2_b64 exec, exec, s[44:45]
	s_cbranch_execz .LBB1584_308
.LBB1584_306:                           ; =>This Inner Loop Header: Depth=1
	s_or_b64 s[46:47], s[46:47], exec
	s_cmp_eq_u64 s[42:43], s[48:49]
	s_cbranch_scc0 .LBB1584_304
; %bb.307:                              ;   in Loop: Header=BB1584_306 Depth=1
                                        ; implicit-def: $vgpr30_vgpr31
                                        ; implicit-def: $vgpr32_vgpr33
	s_mov_b64 s[48:49], s[26:27]
	s_branch .LBB1584_305
.LBB1584_308:
	s_or_b64 exec, exec, s[44:45]
	v_cmp_gt_i64_e32 vcc, s[26:27], v[34:35]
	s_orn2_b64 s[42:43], vcc, exec
.LBB1584_309:
	s_or_b64 exec, exec, s[38:39]
.LBB1584_310:
	s_and_b64 s[38:39], s[42:43], exec
.LBB1584_311:
	s_or_b64 exec, exec, s[40:41]
	v_cmp_gt_u32_e32 vcc, s3, v41
	s_and_saveexec_b64 s[40:41], vcc
	s_cbranch_execz .LBB1584_322
; %bb.312:
	s_andn2_b64 vcc, exec, s[6:7]
	s_mov_b64 s[42:43], 0
	s_cbranch_vccnz .LBB1584_321
; %bb.313:
	v_mul_lo_u32 v32, v23, s26
	v_mul_lo_u32 v33, v22, s27
	v_mad_u64_u32 v[30:31], s[36:37], v22, s26, 0
	v_add3_u32 v31, v31, v33, v32
	v_mul_lo_u32 v32, v25, s26
	v_mul_lo_u32 v33, v24, s27
	v_mad_u64_u32 v[34:35], s[36:37], v24, s26, 0
	v_add3_u32 v35, v35, v33, v32
	v_lshl_add_u64 v[32:33], v[30:31], 2, s[28:29]
	v_lshl_add_u64 v[30:31], v[34:35], 2, s[28:29]
	global_load_dword v34, v[32:33], off
	global_load_dword v35, v[30:31], off
	s_mov_b64 s[42:43], -1
	s_waitcnt vmcnt(0)
	v_cmp_eq_u32_e32 vcc, v34, v35
	s_and_saveexec_b64 s[36:37], vcc
	s_cbranch_execz .LBB1584_320
; %bb.314:
	s_add_u32 s42, s26, -1
	v_lshl_add_u64 v[30:31], v[30:31], 0, 4
	v_lshl_add_u64 v[32:33], v[32:33], 0, 4
	s_addc_u32 s43, s27, -1
	s_mov_b64 s[44:45], 0
	s_mov_b64 s[48:49], 0
                                        ; implicit-def: $sgpr46_sgpr47
	s_branch .LBB1584_317
.LBB1584_315:                           ;   in Loop: Header=BB1584_317 Depth=1
	global_load_dword v34, v[32:33], off
	global_load_dword v35, v[30:31], off
	s_add_u32 s48, s48, 1
	s_addc_u32 s49, s49, 0
	s_andn2_b64 s[46:47], s[46:47], exec
	v_lshl_add_u64 v[30:31], v[30:31], 0, 4
	v_lshl_add_u64 v[32:33], v[32:33], 0, 4
	s_waitcnt vmcnt(0)
	v_cmp_ne_u32_e32 vcc, v34, v35
	s_and_b64 s[50:51], vcc, exec
	s_or_b64 s[46:47], s[46:47], s[50:51]
.LBB1584_316:                           ;   in Loop: Header=BB1584_317 Depth=1
	s_and_b64 s[50:51], exec, s[46:47]
	s_or_b64 s[44:45], s[50:51], s[44:45]
	v_mov_b64_e32 v[34:35], s[48:49]
	s_andn2_b64 exec, exec, s[44:45]
	s_cbranch_execz .LBB1584_319
.LBB1584_317:                           ; =>This Inner Loop Header: Depth=1
	s_or_b64 s[46:47], s[46:47], exec
	s_cmp_eq_u64 s[42:43], s[48:49]
	s_cbranch_scc0 .LBB1584_315
; %bb.318:                              ;   in Loop: Header=BB1584_317 Depth=1
                                        ; implicit-def: $vgpr30_vgpr31
                                        ; implicit-def: $vgpr32_vgpr33
	s_mov_b64 s[48:49], s[26:27]
	s_branch .LBB1584_316
.LBB1584_319:
	s_or_b64 exec, exec, s[44:45]
	v_cmp_gt_i64_e32 vcc, s[26:27], v[34:35]
	s_orn2_b64 s[42:43], vcc, exec
.LBB1584_320:
	s_or_b64 exec, exec, s[36:37]
.LBB1584_321:
	s_and_b64 s[36:37], s[42:43], exec
.LBB1584_322:
	s_or_b64 exec, exec, s[40:41]
	v_cndmask_b32_e64 v31, 0, 1, s[18:19]
	v_cndmask_b32_e64 v30, 0, 1, s[38:39]
	;; [unrolled: 1-line block ×3, first 2 shown]
	v_lshlrev_b16_e32 v31, 8, v31
	v_cndmask_b32_e64 v46, 0, 1, s[14:15]
	v_cndmask_b32_e64 v32, 0, 1, s[36:37]
	v_or_b32_sdwa v30, v30, v31 dst_sel:WORD_1 dst_unused:UNUSED_PAD src0_sel:DWORD src1_sel:DWORD
	v_lshlrev_b16_e32 v31, 8, v47
	v_lshlrev_b16_e32 v32, 8, v32
	v_or_b32_e32 v31, v46, v31
	v_or_b32_e32 v32, 1, v32
	v_and_b32_e32 v31, 0xffff, v31
	v_cndmask_b32_e64 v48, 0, 1, s[4:5]
	v_or_b32_sdwa v30, v32, v30 dst_sel:DWORD dst_unused:UNUSED_PAD src0_sel:WORD_0 src1_sel:DWORD
	v_lshl_or_b32 v31, v48, 16, v31
	v_cmp_ne_u32_e32 vcc, 0, v0
	s_waitcnt lgkmcnt(0)
	s_barrier
	s_waitcnt lgkmcnt(0)
                                        ; implicit-def: $sgpr18_sgpr19
                                        ; implicit-def: $vgpr34
	s_and_saveexec_b64 s[4:5], vcc
	s_cbranch_execz .LBB1584_335
; %bb.323:
	v_cmp_gt_u32_e32 vcc, s3, v1
	s_mov_b32 s33, 0x3020104
	s_mov_b64 s[14:15], 0
	s_and_saveexec_b64 s[12:13], vcc
	s_cbranch_execz .LBB1584_334
; %bb.324:
	s_andn2_b64 vcc, exec, s[6:7]
	s_cbranch_vccnz .LBB1584_333
; %bb.325:
	v_add_u32_e32 v31, -8, v44
	ds_read_b64 v[32:33], v31
	v_mul_lo_u32 v31, v23, s26
	v_mad_u64_u32 v[36:37], s[6:7], v22, s26, 0
	s_mov_b64 s[14:15], -1
	s_waitcnt lgkmcnt(0)
	v_mul_lo_u32 v34, v33, s26
	v_mul_lo_u32 v35, v32, s27
	v_mad_u64_u32 v[32:33], s[6:7], v32, s26, 0
	v_add3_u32 v33, v33, v35, v34
	v_mul_lo_u32 v34, v22, s27
	v_add3_u32 v37, v37, v34, v31
	v_lshl_add_u64 v[34:35], v[32:33], 2, s[28:29]
	v_lshl_add_u64 v[32:33], v[36:37], 2, s[28:29]
	global_load_dword v31, v[34:35], off
	global_load_dword v36, v[32:33], off
	s_waitcnt vmcnt(0)
	v_cmp_eq_u32_e32 vcc, v31, v36
	s_and_saveexec_b64 s[6:7], vcc
	s_cbranch_execz .LBB1584_332
; %bb.326:
	s_add_u32 s14, s26, -1
	v_lshl_add_u64 v[32:33], v[32:33], 0, 4
	v_lshl_add_u64 v[34:35], v[34:35], 0, 4
	s_addc_u32 s15, s27, -1
	s_mov_b64 s[18:19], 0
	s_mov_b64 s[36:37], 0
                                        ; implicit-def: $sgpr28_sgpr29
	s_branch .LBB1584_329
.LBB1584_327:                           ;   in Loop: Header=BB1584_329 Depth=1
	global_load_dword v31, v[34:35], off
	global_load_dword v36, v[32:33], off
	s_add_u32 s36, s36, 1
	s_addc_u32 s37, s37, 0
	s_andn2_b64 s[28:29], s[28:29], exec
	v_lshl_add_u64 v[32:33], v[32:33], 0, 4
	v_lshl_add_u64 v[34:35], v[34:35], 0, 4
	s_waitcnt vmcnt(0)
	v_cmp_ne_u32_e32 vcc, v31, v36
	s_and_b64 s[38:39], vcc, exec
	s_or_b64 s[28:29], s[28:29], s[38:39]
.LBB1584_328:                           ;   in Loop: Header=BB1584_329 Depth=1
	s_and_b64 s[38:39], exec, s[28:29]
	s_or_b64 s[18:19], s[38:39], s[18:19]
	v_mov_b64_e32 v[36:37], s[36:37]
	s_andn2_b64 exec, exec, s[18:19]
	s_cbranch_execz .LBB1584_331
.LBB1584_329:                           ; =>This Inner Loop Header: Depth=1
	s_or_b64 s[28:29], s[28:29], exec
	s_cmp_eq_u64 s[14:15], s[36:37]
	s_cbranch_scc0 .LBB1584_327
; %bb.330:                              ;   in Loop: Header=BB1584_329 Depth=1
                                        ; implicit-def: $vgpr32_vgpr33
                                        ; implicit-def: $vgpr34_vgpr35
	s_mov_b64 s[36:37], s[26:27]
	s_branch .LBB1584_328
.LBB1584_331:
	s_or_b64 exec, exec, s[18:19]
	v_cmp_gt_i64_e32 vcc, s[26:27], v[36:37]
	s_orn2_b64 s[14:15], vcc, exec
.LBB1584_332:
	s_or_b64 exec, exec, s[6:7]
.LBB1584_333:
	s_and_b64 s[14:15], s[14:15], exec
.LBB1584_334:
	s_or_b64 exec, exec, s[12:13]
	v_perm_b32 v34, v30, v30, s33
	s_and_b64 s[18:19], s[14:15], exec
	s_or_b64 s[10:11], s[10:11], exec
                                        ; implicit-def: $vgpr30_vgpr31
.LBB1584_335:
	s_or_b64 exec, exec, s[4:5]
.LBB1584_336:
	s_and_saveexec_b64 s[4:5], s[10:11]
	s_cbranch_execz .LBB1584_338
; %bb.337:
	s_waitcnt lgkmcnt(0)
	v_lshlrev_b16_e32 v31, 8, v47
	v_and_b32_e32 v32, 0xff, v48
	v_or_b32_sdwa v31, v46, v31 dst_sel:DWORD dst_unused:UNUSED_PAD src0_sel:BYTE_0 src1_sel:DWORD
	v_lshlrev_b32_e32 v32, 16, v32
	s_movk_i32 s6, 0xff
	v_or_b32_sdwa v31, v31, v32 dst_sel:DWORD dst_unused:UNUSED_PAD src0_sel:WORD_0 src1_sel:DWORD
	v_lshrrev_b32_e32 v32, 24, v34
	v_lshlrev_b16_e32 v32, 8, v32
	v_and_b32_sdwa v33, v34, s6 dst_sel:DWORD dst_unused:UNUSED_PAD src0_sel:WORD_1 src1_sel:DWORD
	v_or_b32_sdwa v32, v33, v32 dst_sel:WORD_1 dst_unused:UNUSED_PAD src0_sel:DWORD src1_sel:DWORD
	v_mov_b32_e32 v33, 8
	v_cndmask_b32_e64 v30, 0, 1, s[18:19]
	v_lshrrev_b32_sdwa v33, v33, v34 dst_sel:BYTE_1 dst_unused:UNUSED_PAD src0_sel:DWORD src1_sel:DWORD
	s_nop 0
	v_or_b32_e32 v30, v30, v33
	v_or_b32_sdwa v30, v30, v32 dst_sel:DWORD dst_unused:UNUSED_PAD src0_sel:WORD_0 src1_sel:DWORD
.LBB1584_338:
	s_or_b64 exec, exec, s[4:5]
	s_andn2_b64 vcc, exec, s[8:9]
	s_cbranch_vccnz .LBB1584_340
; %bb.339:
	s_waitcnt lgkmcnt(0)
	v_and_b32_e32 v32, 0xffff0000, v30
	v_cmp_gt_u32_e32 vcc, s3, v1
	s_mov_b32 s4, 0x40c0100
	s_nop 0
	v_cndmask_b32_e32 v1, v32, v30, vcc
	v_and_b32_e32 v1, 0xffff00ff, v1
	v_cmp_gt_u32_e32 vcc, s3, v41
	s_nop 1
	v_cndmask_b32_e32 v1, v1, v30, vcc
	v_lshrrev_b32_e32 v32, 24, v1
	v_perm_b32 v1, v32, v1, s4
	v_cmp_gt_u32_e32 vcc, s3, v38
	v_and_b32_e32 v32, 0xffffff00, v31
	s_nop 0
	v_cndmask_b32_e32 v1, v1, v30, vcc
	v_and_b32_e32 v1, 0xffffff, v1
	v_cmp_gt_u32_e32 vcc, s3, v42
	s_nop 1
	v_cndmask_b32_e32 v1, v1, v30, vcc
	v_cmp_gt_u32_e32 vcc, s3, v39
	s_nop 1
	v_cndmask_b32_e32 v32, v32, v31, vcc
	v_and_b32_e32 v32, 0xffff00ff, v32
	v_cndmask_b32_e32 v1, v1, v30, vcc
	v_cmp_gt_u32_e32 vcc, s3, v43
	s_nop 1
	v_cndmask_b32_e32 v32, v32, v31, vcc
	v_lshrrev_b32_e32 v33, 24, v32
	v_cndmask_b32_e32 v1, v1, v30, vcc
	v_perm_b32 v32, v33, v32, s4
	v_cmp_gt_u32_e32 vcc, s3, v40
	s_mov_b32 s3, 0x3020104
	s_nop 0
	v_cndmask_b32_e32 v1, v1, v30, vcc
	v_cndmask_b32_e32 v30, v32, v31, vcc
	v_mov_b32_e32 v31, 8
	v_lshrrev_b32_sdwa v31, v31, v30 dst_sel:BYTE_1 dst_unused:UNUSED_PAD src0_sel:DWORD src1_sel:DWORD
	s_nop 0
	v_or_b32_sdwa v31, v30, v31 dst_sel:DWORD dst_unused:UNUSED_PAD src0_sel:BYTE_0 src1_sel:DWORD
	v_and_b32_e32 v31, 0xffff, v31
	v_bfe_u32 v30, v30, 16, 8
	v_lshl_or_b32 v31, v30, 16, v31
	v_perm_b32 v30, v1, v1, s3
.LBB1584_340:
	s_waitcnt lgkmcnt(0)
	v_and_b32_e32 v1, 0xff, v30
	v_bfe_u32 v43, v30, 8, 8
	v_bfe_u32 v45, v30, 16, 8
	v_alignbit_b32 v32, v31, v30, 24
	v_and_b32_e32 v47, 0xff, v32
	v_and_b32_e32 v48, 0xff, v31
	v_add3_u32 v33, v43, v1, v45
	v_bfe_u32 v49, v31, 8, 8
	v_bfe_u32 v32, v31, 16, 8
	v_add3_u32 v33, v33, v47, v48
	v_add3_u32 v52, v33, v49, v32
	v_mbcnt_lo_u32_b32 v32, -1, 0
	v_mbcnt_hi_u32_b32 v50, -1, v32
	v_and_b32_e32 v32, 15, v50
	v_cmp_eq_u32_e64 s[14:15], 0, v32
	v_cmp_lt_u32_e64 s[12:13], 1, v32
	v_cmp_lt_u32_e64 s[10:11], 3, v32
	;; [unrolled: 1-line block ×3, first 2 shown]
	v_and_b32_e32 v32, 16, v50
	v_cmp_eq_u32_e64 s[6:7], 0, v32
	v_or_b32_e32 v32, 63, v0
	v_cmp_lt_u32_e64 s[18:19], 31, v50
	v_lshrrev_b32_e32 v51, 6, v0
	v_cmp_eq_u32_e64 s[4:5], v32, v0
	s_and_b64 vcc, exec, s[16:17]
	s_barrier
	s_cbranch_vccz .LBB1584_367
; %bb.341:
	v_mov_b32_dpp v32, v52 row_shr:1 row_mask:0xf bank_mask:0xf
	v_cndmask_b32_e64 v32, v32, 0, s[14:15]
	v_add_u32_e32 v32, v32, v52
	s_nop 1
	v_mov_b32_dpp v33, v32 row_shr:2 row_mask:0xf bank_mask:0xf
	v_cndmask_b32_e64 v33, 0, v33, s[12:13]
	v_add_u32_e32 v32, v32, v33
	s_nop 1
	;; [unrolled: 4-line block ×4, first 2 shown]
	v_mov_b32_dpp v33, v32 row_bcast:15 row_mask:0xf bank_mask:0xf
	v_cndmask_b32_e64 v33, v33, 0, s[6:7]
	v_add_u32_e32 v32, v32, v33
	s_nop 1
	v_mov_b32_dpp v33, v32 row_bcast:31 row_mask:0xf bank_mask:0xf
	v_cndmask_b32_e64 v33, 0, v33, s[18:19]
	v_add_u32_e32 v32, v32, v33
	s_and_saveexec_b64 s[16:17], s[4:5]
	s_cbranch_execz .LBB1584_343
; %bb.342:
	v_lshlrev_b32_e32 v33, 2, v51
	ds_write_b32 v33, v32
.LBB1584_343:
	s_or_b64 exec, exec, s[16:17]
	v_cmp_gt_u32_e32 vcc, 8, v0
	s_waitcnt lgkmcnt(0)
	s_barrier
	s_and_saveexec_b64 s[16:17], vcc
	s_cbranch_execz .LBB1584_345
; %bb.344:
	v_lshlrev_b32_e32 v33, 2, v0
	ds_read_b32 v34, v33
	v_and_b32_e32 v35, 7, v50
	v_cmp_ne_u32_e32 vcc, 0, v35
	s_waitcnt lgkmcnt(0)
	v_mov_b32_dpp v36, v34 row_shr:1 row_mask:0xf bank_mask:0xf
	v_cndmask_b32_e32 v36, 0, v36, vcc
	v_add_u32_e32 v34, v36, v34
	v_cmp_lt_u32_e32 vcc, 1, v35
	s_nop 0
	v_mov_b32_dpp v36, v34 row_shr:2 row_mask:0xf bank_mask:0xf
	v_cndmask_b32_e32 v36, 0, v36, vcc
	v_add_u32_e32 v34, v34, v36
	v_cmp_lt_u32_e32 vcc, 3, v35
	s_nop 0
	v_mov_b32_dpp v36, v34 row_shr:4 row_mask:0xf bank_mask:0xf
	v_cndmask_b32_e32 v35, 0, v36, vcc
	v_add_u32_e32 v34, v34, v35
	ds_write_b32 v33, v34
.LBB1584_345:
	s_or_b64 exec, exec, s[16:17]
	v_cmp_gt_u32_e32 vcc, 64, v0
	v_cmp_lt_u32_e64 s[16:17], 63, v0
	s_waitcnt lgkmcnt(0)
	s_barrier
	s_waitcnt lgkmcnt(0)
                                        ; implicit-def: $vgpr42
	s_and_saveexec_b64 s[26:27], s[16:17]
	s_cbranch_execz .LBB1584_347
; %bb.346:
	v_lshl_add_u32 v33, v51, 2, -4
	ds_read_b32 v42, v33
	s_waitcnt lgkmcnt(0)
	v_add_u32_e32 v32, v42, v32
.LBB1584_347:
	s_or_b64 exec, exec, s[26:27]
	v_add_u32_e32 v33, -1, v50
	v_and_b32_e32 v34, 64, v50
	v_cmp_lt_i32_e64 s[16:17], v33, v34
	s_nop 1
	v_cndmask_b32_e64 v33, v33, v50, s[16:17]
	v_lshlrev_b32_e32 v33, 2, v33
	ds_bpermute_b32 v44, v33, v32
	v_cmp_eq_u32_e64 s[16:17], 0, v50
	s_and_saveexec_b64 s[26:27], vcc
	s_cbranch_execz .LBB1584_366
; %bb.348:
	v_mov_b32_e32 v39, 0
	ds_read_b32 v32, v39 offset:28
	s_and_saveexec_b64 s[28:29], s[16:17]
	s_cbranch_execz .LBB1584_350
; %bb.349:
	s_add_i32 s36, s2, 64
	s_mov_b32 s37, 0
	s_lshl_b64 s[36:37], s[36:37], 3
	s_add_u32 s36, s30, s36
	v_mov_b32_e32 v33, 1
	s_addc_u32 s37, s31, s37
	s_waitcnt lgkmcnt(0)
	global_store_dwordx2 v39, v[32:33], s[36:37] sc1
.LBB1584_350:
	s_or_b64 exec, exec, s[28:29]
	v_xad_u32 v34, v50, -1, s2
	v_add_u32_e32 v38, 64, v34
	v_lshl_add_u64 v[40:41], v[38:39], 3, s[30:31]
	global_load_dwordx2 v[36:37], v[40:41], off sc1
	s_waitcnt vmcnt(0)
	v_cmp_eq_u16_sdwa s[36:37], v37, v39 src0_sel:BYTE_0 src1_sel:DWORD
	s_and_saveexec_b64 s[28:29], s[36:37]
	s_cbranch_execz .LBB1584_354
; %bb.351:
	s_mov_b64 s[36:37], 0
	v_mov_b32_e32 v33, 0
.LBB1584_352:                           ; =>This Inner Loop Header: Depth=1
	global_load_dwordx2 v[36:37], v[40:41], off sc1
	s_waitcnt vmcnt(0)
	v_cmp_ne_u16_sdwa s[38:39], v37, v33 src0_sel:BYTE_0 src1_sel:DWORD
	s_or_b64 s[36:37], s[38:39], s[36:37]
	s_andn2_b64 exec, exec, s[36:37]
	s_cbranch_execnz .LBB1584_352
; %bb.353:
	s_or_b64 exec, exec, s[36:37]
.LBB1584_354:
	s_or_b64 exec, exec, s[28:29]
	v_and_b32_e32 v46, 63, v50
	v_mov_b32_e32 v33, 2
	v_cmp_ne_u32_e32 vcc, 63, v46
	v_cmp_eq_u16_sdwa s[28:29], v37, v33 src0_sel:BYTE_0 src1_sel:DWORD
	v_lshlrev_b64 v[38:39], v50, -1
	v_addc_co_u32_e32 v41, vcc, 0, v50, vcc
	v_and_b32_e32 v35, s29, v39
	v_lshlrev_b32_e32 v53, 2, v41
	v_or_b32_e32 v35, 0x80000000, v35
	ds_bpermute_b32 v41, v53, v36
	v_and_b32_e32 v40, s28, v38
	v_ffbl_b32_e32 v35, v35
	v_add_u32_e32 v35, 32, v35
	v_ffbl_b32_e32 v40, v40
	v_min_u32_e32 v35, v40, v35
	v_cmp_lt_u32_e32 vcc, v46, v35
	v_add_u32_e32 v55, 2, v46
	v_add_u32_e32 v57, 4, v46
	s_waitcnt lgkmcnt(0)
	v_cndmask_b32_e32 v40, 0, v41, vcc
	v_cmp_gt_u32_e32 vcc, 62, v46
	v_add_u32_e32 v36, v40, v36
	v_add_u32_e32 v59, 8, v46
	v_cndmask_b32_e64 v40, 0, 1, vcc
	v_lshlrev_b32_e32 v40, 1, v40
	v_add_lshl_u32 v54, v40, v50, 2
	ds_bpermute_b32 v40, v54, v36
	v_cmp_le_u32_e32 vcc, v55, v35
	v_add_u32_e32 v62, 16, v46
	v_add_u32_e32 v64, 32, v46
	s_waitcnt lgkmcnt(0)
	v_cndmask_b32_e32 v40, 0, v40, vcc
	v_cmp_gt_u32_e32 vcc, 60, v46
	v_add_u32_e32 v36, v36, v40
	s_nop 0
	v_cndmask_b32_e64 v40, 0, 1, vcc
	v_lshlrev_b32_e32 v40, 2, v40
	v_add_lshl_u32 v56, v40, v50, 2
	ds_bpermute_b32 v40, v56, v36
	v_cmp_le_u32_e32 vcc, v57, v35
	s_waitcnt lgkmcnt(0)
	s_nop 0
	v_cndmask_b32_e32 v40, 0, v40, vcc
	v_cmp_gt_u32_e32 vcc, 56, v46
	v_add_u32_e32 v36, v36, v40
	s_nop 0
	v_cndmask_b32_e64 v40, 0, 1, vcc
	v_lshlrev_b32_e32 v40, 3, v40
	v_add_lshl_u32 v58, v40, v50, 2
	ds_bpermute_b32 v40, v58, v36
	v_cmp_le_u32_e32 vcc, v59, v35
	s_waitcnt lgkmcnt(0)
	s_nop 0
	;; [unrolled: 11-line block ×4, first 2 shown]
	v_cndmask_b32_e32 v35, 0, v40, vcc
	v_add_u32_e32 v36, v36, v35
	v_mov_b32_e32 v35, 0
	s_branch .LBB1584_356
.LBB1584_355:                           ;   in Loop: Header=BB1584_356 Depth=1
	s_or_b64 exec, exec, s[28:29]
	v_cmp_eq_u16_sdwa s[28:29], v37, v33 src0_sel:BYTE_0 src1_sel:DWORD
	ds_bpermute_b32 v65, v53, v36
	v_subrev_u32_e32 v34, 64, v34
	v_and_b32_e32 v40, s29, v39
	v_or_b32_e32 v40, 0x80000000, v40
	v_and_b32_e32 v41, s28, v38
	v_ffbl_b32_e32 v40, v40
	v_add_u32_e32 v40, 32, v40
	v_ffbl_b32_e32 v41, v41
	v_min_u32_e32 v40, v41, v40
	v_cmp_lt_u32_e32 vcc, v46, v40
	s_waitcnt lgkmcnt(0)
	s_nop 0
	v_cndmask_b32_e32 v41, 0, v65, vcc
	v_add_u32_e32 v36, v41, v36
	ds_bpermute_b32 v41, v54, v36
	v_cmp_le_u32_e32 vcc, v55, v40
	s_waitcnt lgkmcnt(0)
	s_nop 0
	v_cndmask_b32_e32 v41, 0, v41, vcc
	v_add_u32_e32 v36, v36, v41
	ds_bpermute_b32 v41, v56, v36
	v_cmp_le_u32_e32 vcc, v57, v40
	;; [unrolled: 6-line block ×5, first 2 shown]
	s_waitcnt lgkmcnt(0)
	s_nop 0
	v_cndmask_b32_e32 v40, 0, v41, vcc
	v_add3_u32 v36, v40, v60, v36
.LBB1584_356:                           ; =>This Loop Header: Depth=1
                                        ;     Child Loop BB1584_359 Depth 2
	v_cmp_ne_u16_sdwa s[28:29], v37, v33 src0_sel:BYTE_0 src1_sel:DWORD
	v_mov_b32_e32 v60, v36
	s_nop 0
	v_cndmask_b32_e64 v37, 0, 1, s[28:29]
	;;#ASMSTART
	;;#ASMEND
	s_nop 0
	v_cmp_ne_u32_e32 vcc, 0, v37
	s_cmp_lg_u64 vcc, exec
	s_cbranch_scc1 .LBB1584_361
; %bb.357:                              ;   in Loop: Header=BB1584_356 Depth=1
	v_lshl_add_u64 v[40:41], v[34:35], 3, s[30:31]
	global_load_dwordx2 v[36:37], v[40:41], off sc1
	s_waitcnt vmcnt(0)
	v_cmp_eq_u16_sdwa s[36:37], v37, v35 src0_sel:BYTE_0 src1_sel:DWORD
	s_and_saveexec_b64 s[28:29], s[36:37]
	s_cbranch_execz .LBB1584_355
; %bb.358:                              ;   in Loop: Header=BB1584_356 Depth=1
	s_mov_b64 s[36:37], 0
.LBB1584_359:                           ;   Parent Loop BB1584_356 Depth=1
                                        ; =>  This Inner Loop Header: Depth=2
	global_load_dwordx2 v[36:37], v[40:41], off sc1
	s_waitcnt vmcnt(0)
	v_cmp_ne_u16_sdwa s[38:39], v37, v35 src0_sel:BYTE_0 src1_sel:DWORD
	s_or_b64 s[36:37], s[38:39], s[36:37]
	s_andn2_b64 exec, exec, s[36:37]
	s_cbranch_execnz .LBB1584_359
; %bb.360:                              ;   in Loop: Header=BB1584_356 Depth=1
	s_or_b64 exec, exec, s[36:37]
	s_branch .LBB1584_355
.LBB1584_361:                           ;   in Loop: Header=BB1584_356 Depth=1
                                        ; implicit-def: $vgpr36
                                        ; implicit-def: $vgpr37
	s_cbranch_execz .LBB1584_356
; %bb.362:
	s_and_saveexec_b64 s[28:29], s[16:17]
	s_cbranch_execz .LBB1584_364
; %bb.363:
	s_add_i32 s2, s2, 64
	s_mov_b32 s3, 0
	s_lshl_b64 s[2:3], s[2:3], 3
	s_add_u32 s2, s30, s2
	v_add_u32_e32 v34, v60, v32
	v_mov_b32_e32 v35, 2
	s_addc_u32 s3, s31, s3
	v_mov_b32_e32 v33, 0
	global_store_dwordx2 v33, v[34:35], s[2:3] sc1
	s_movk_i32 s2, 0x7000
	v_add_u32_e64 v33, s2, 0
	ds_write2_b32 v33, v32, v60 offset1:2
.LBB1584_364:
	s_or_b64 exec, exec, s[28:29]
	v_cmp_eq_u32_e32 vcc, 0, v0
	s_and_b64 exec, exec, vcc
	s_cbranch_execz .LBB1584_366
; %bb.365:
	v_mov_b32_e32 v32, 0
	ds_write_b32 v32, v60 offset:28
.LBB1584_366:
	s_or_b64 exec, exec, s[26:27]
	v_mov_b32_e32 v32, 0
	s_waitcnt lgkmcnt(0)
	s_barrier
	ds_read_b32 v32, v32 offset:28
	v_cndmask_b32_e64 v33, v44, v42, s[16:17]
	v_cmp_ne_u32_e32 vcc, 0, v0
	s_movk_i32 s2, 0x7000
	s_waitcnt lgkmcnt(0)
	v_cndmask_b32_e32 v33, 0, v33, vcc
	v_add_u32_e32 v46, v32, v33
	v_add_u32_e64 v32, s2, 0
	v_add_u32_e32 v44, v46, v1
	s_barrier
	ds_read2_b32 v[32:33], v32 offset1:2
	v_add_u32_e32 v42, v44, v43
	v_add_u32_e32 v40, v42, v45
	;; [unrolled: 1-line block ×5, first 2 shown]
	s_waitcnt lgkmcnt(0)
	v_readfirstlane_b32 s26, v32
	v_readfirstlane_b32 s16, v33
	v_lshrrev_b64 v[32:33], 24, v[30:31]
	s_branch .LBB1584_377
.LBB1584_367:
                                        ; implicit-def: $vgpr34
                                        ; implicit-def: $vgpr36
                                        ; implicit-def: $vgpr38
                                        ; implicit-def: $vgpr40
                                        ; implicit-def: $vgpr42
                                        ; implicit-def: $vgpr44
                                        ; implicit-def: $vgpr46
                                        ; implicit-def: $sgpr16
                                        ; implicit-def: $sgpr26
	v_lshrrev_b64 v[32:33], 24, v[30:31]
	s_cbranch_execz .LBB1584_377
; %bb.368:
	s_nop 0
	v_mov_b32_dpp v33, v52 row_shr:1 row_mask:0xf bank_mask:0xf
	v_cndmask_b32_e64 v33, v33, 0, s[14:15]
	v_add_u32_e32 v33, v33, v52
	s_nop 1
	v_mov_b32_dpp v34, v33 row_shr:2 row_mask:0xf bank_mask:0xf
	v_cndmask_b32_e64 v34, 0, v34, s[12:13]
	v_add_u32_e32 v33, v33, v34
	;; [unrolled: 4-line block ×4, first 2 shown]
	s_nop 1
	v_mov_b32_dpp v34, v33 row_bcast:15 row_mask:0xf bank_mask:0xf
	v_cndmask_b32_e64 v34, v34, 0, s[6:7]
	v_add_u32_e32 v33, v33, v34
	s_nop 1
	v_mov_b32_dpp v34, v33 row_bcast:31 row_mask:0xf bank_mask:0xf
	v_cndmask_b32_e64 v34, 0, v34, s[18:19]
	v_add_u32_e32 v33, v33, v34
	s_and_saveexec_b64 s[2:3], s[4:5]
	s_cbranch_execz .LBB1584_370
; %bb.369:
	v_lshlrev_b32_e32 v34, 2, v51
	ds_write_b32 v34, v33
.LBB1584_370:
	s_or_b64 exec, exec, s[2:3]
	v_cmp_gt_u32_e32 vcc, 8, v0
	s_waitcnt lgkmcnt(0)
	s_barrier
	s_and_saveexec_b64 s[2:3], vcc
	s_cbranch_execz .LBB1584_372
; %bb.371:
	v_lshlrev_b32_e32 v34, 2, v0
	ds_read_b32 v35, v34
	v_and_b32_e32 v36, 7, v50
	v_cmp_ne_u32_e32 vcc, 0, v36
	s_waitcnt lgkmcnt(0)
	v_mov_b32_dpp v37, v35 row_shr:1 row_mask:0xf bank_mask:0xf
	v_cndmask_b32_e32 v37, 0, v37, vcc
	v_add_u32_e32 v35, v37, v35
	v_cmp_lt_u32_e32 vcc, 1, v36
	s_nop 0
	v_mov_b32_dpp v37, v35 row_shr:2 row_mask:0xf bank_mask:0xf
	v_cndmask_b32_e32 v37, 0, v37, vcc
	v_add_u32_e32 v35, v35, v37
	v_cmp_lt_u32_e32 vcc, 3, v36
	s_nop 0
	v_mov_b32_dpp v37, v35 row_shr:4 row_mask:0xf bank_mask:0xf
	v_cndmask_b32_e32 v36, 0, v37, vcc
	v_add_u32_e32 v35, v35, v36
	ds_write_b32 v34, v35
.LBB1584_372:
	s_or_b64 exec, exec, s[2:3]
	v_cmp_lt_u32_e32 vcc, 63, v0
	v_mov_b32_e32 v35, 0
	v_mov_b32_e32 v34, 0
	s_waitcnt lgkmcnt(0)
	s_barrier
	s_and_saveexec_b64 s[2:3], vcc
	s_cbranch_execz .LBB1584_374
; %bb.373:
	v_lshl_add_u32 v34, v51, 2, -4
	ds_read_b32 v34, v34
.LBB1584_374:
	s_or_b64 exec, exec, s[2:3]
	v_add_u32_e32 v36, -1, v50
	v_and_b32_e32 v37, 64, v50
	v_cmp_lt_i32_e32 vcc, v36, v37
	s_waitcnt lgkmcnt(0)
	v_add_u32_e32 v33, v34, v33
	ds_read_b32 v35, v35 offset:28
	v_cndmask_b32_e32 v36, v36, v50, vcc
	v_lshlrev_b32_e32 v36, 2, v36
	ds_bpermute_b32 v33, v36, v33
	s_mov_b32 s16, 0
	v_cmp_eq_u32_e32 vcc, 0, v0
	s_waitcnt lgkmcnt(1)
	v_readfirstlane_b32 s26, v35
	s_and_saveexec_b64 s[2:3], vcc
	s_cbranch_execz .LBB1584_376
; %bb.375:
	v_mov_b32_e32 v35, 0
	v_mov_b32_e32 v36, s26
	;; [unrolled: 1-line block ×3, first 2 shown]
	global_store_dwordx2 v35, v[36:37], s[30:31] offset:512 sc1
.LBB1584_376:
	s_or_b64 exec, exec, s[2:3]
	v_cmp_eq_u32_e64 s[2:3], 0, v50
	s_waitcnt lgkmcnt(0)
	s_barrier
	v_cndmask_b32_e64 v33, v33, v34, s[2:3]
	v_cndmask_b32_e64 v46, v33, 0, vcc
	v_add_u32_e32 v44, v46, v1
	v_add_u32_e32 v42, v44, v43
	v_add_u32_e32 v40, v42, v45
	v_add_u32_e32 v38, v40, v47
	v_add_u32_e32 v36, v38, v48
	v_add_u32_e32 v34, v36, v49
.LBB1584_377:
	s_load_dwordx4 s[4:7], s[0:1], 0x28
	s_cmpk_lt_u32 s26, 0x201
	s_cselect_b64 s[2:3], -1, 0
	v_lshrrev_b32_e32 v33, 8, v30
	v_lshrrev_b32_e32 v1, 8, v31
	s_mov_b64 s[0:1], -1
	s_and_b64 vcc, exec, s[2:3]
	s_cbranch_vccz .LBB1584_400
; %bb.378:
	s_add_i32 s8, s16, s26
	v_cmp_gt_u32_e32 vcc, s8, v46
	s_or_b64 s[10:11], s[34:35], vcc
	s_and_saveexec_b64 s[0:1], s[10:11]
	s_cbranch_execz .LBB1584_381
; %bb.379:
	v_and_b32_e32 v35, 1, v30
	v_cmp_eq_u32_e32 vcc, 1, v35
	s_and_b64 exec, exec, vcc
	s_cbranch_execz .LBB1584_381
; %bb.380:
	s_lshl_b64 s[10:11], s[22:23], 3
	s_waitcnt lgkmcnt(0)
	s_add_u32 s10, s4, s10
	s_addc_u32 s11, s5, s11
	v_mov_b32_e32 v47, 0
	v_lshl_add_u64 v[48:49], v[46:47], 3, s[10:11]
	global_store_dwordx2 v[48:49], v[22:23], off
.LBB1584_381:
	s_or_b64 exec, exec, s[0:1]
	v_cmp_gt_u32_e32 vcc, s8, v44
	s_or_b64 s[10:11], s[34:35], vcc
	s_and_saveexec_b64 s[0:1], s[10:11]
	s_cbranch_execz .LBB1584_384
; %bb.382:
	v_and_b32_e32 v35, 1, v33
	v_cmp_eq_u32_e32 vcc, 1, v35
	s_and_b64 exec, exec, vcc
	s_cbranch_execz .LBB1584_384
; %bb.383:
	s_lshl_b64 s[10:11], s[22:23], 3
	s_waitcnt lgkmcnt(0)
	s_add_u32 s10, s4, s10
	s_addc_u32 s11, s5, s11
	v_mov_b32_e32 v45, 0
	v_lshl_add_u64 v[48:49], v[44:45], 3, s[10:11]
	global_store_dwordx2 v[48:49], v[24:25], off
.LBB1584_384:
	s_or_b64 exec, exec, s[0:1]
	v_cmp_gt_u32_e32 vcc, s8, v42
	s_or_b64 s[10:11], s[34:35], vcc
	s_and_saveexec_b64 s[0:1], s[10:11]
	s_cbranch_execz .LBB1584_387
; %bb.385:
	v_mov_b32_e32 v35, 1
	v_and_b32_sdwa v35, v35, v30 dst_sel:DWORD dst_unused:UNUSED_PAD src0_sel:DWORD src1_sel:WORD_1
	v_cmp_eq_u32_e32 vcc, 1, v35
	s_and_b64 exec, exec, vcc
	s_cbranch_execz .LBB1584_387
; %bb.386:
	s_lshl_b64 s[10:11], s[22:23], 3
	s_waitcnt lgkmcnt(0)
	s_add_u32 s10, s4, s10
	s_addc_u32 s11, s5, s11
	v_mov_b32_e32 v43, 0
	v_lshl_add_u64 v[48:49], v[42:43], 3, s[10:11]
	global_store_dwordx2 v[48:49], v[18:19], off
.LBB1584_387:
	s_or_b64 exec, exec, s[0:1]
	v_cmp_gt_u32_e32 vcc, s8, v40
	s_or_b64 s[10:11], s[34:35], vcc
	s_and_saveexec_b64 s[0:1], s[10:11]
	s_cbranch_execz .LBB1584_390
; %bb.388:
	v_and_b32_e32 v35, 1, v32
	v_cmp_eq_u32_e32 vcc, 1, v35
	s_and_b64 exec, exec, vcc
	s_cbranch_execz .LBB1584_390
; %bb.389:
	s_lshl_b64 s[10:11], s[22:23], 3
	s_waitcnt lgkmcnt(0)
	s_add_u32 s10, s4, s10
	s_addc_u32 s11, s5, s11
	v_mov_b32_e32 v41, 0
	v_lshl_add_u64 v[48:49], v[40:41], 3, s[10:11]
	global_store_dwordx2 v[48:49], v[20:21], off
.LBB1584_390:
	s_or_b64 exec, exec, s[0:1]
	v_cmp_gt_u32_e32 vcc, s8, v38
	s_or_b64 s[10:11], s[34:35], vcc
	s_and_saveexec_b64 s[0:1], s[10:11]
	s_cbranch_execz .LBB1584_393
; %bb.391:
	v_and_b32_e32 v35, 1, v31
	v_cmp_eq_u32_e32 vcc, 1, v35
	s_and_b64 exec, exec, vcc
	s_cbranch_execz .LBB1584_393
; %bb.392:
	s_lshl_b64 s[10:11], s[22:23], 3
	s_waitcnt lgkmcnt(0)
	s_add_u32 s10, s4, s10
	s_addc_u32 s11, s5, s11
	v_mov_b32_e32 v39, 0
	v_lshl_add_u64 v[48:49], v[38:39], 3, s[10:11]
	global_store_dwordx2 v[48:49], v[14:15], off
.LBB1584_393:
	;; [unrolled: 19-line block ×3, first 2 shown]
	s_or_b64 exec, exec, s[0:1]
	v_cmp_gt_u32_e32 vcc, s8, v34
	s_or_b64 s[8:9], s[34:35], vcc
	s_and_saveexec_b64 s[0:1], s[8:9]
	s_cbranch_execz .LBB1584_399
; %bb.397:
	v_mov_b32_e32 v35, 1
	v_and_b32_sdwa v35, v35, v31 dst_sel:DWORD dst_unused:UNUSED_PAD src0_sel:DWORD src1_sel:WORD_1
	v_cmp_eq_u32_e32 vcc, 1, v35
	s_and_b64 exec, exec, vcc
	s_cbranch_execz .LBB1584_399
; %bb.398:
	s_lshl_b64 s[8:9], s[22:23], 3
	s_waitcnt lgkmcnt(0)
	s_add_u32 s8, s4, s8
	s_addc_u32 s9, s5, s9
	v_mov_b32_e32 v35, 0
	v_lshl_add_u64 v[48:49], v[34:35], 3, s[8:9]
	global_store_dwordx2 v[48:49], v[28:29], off
.LBB1584_399:
	s_or_b64 exec, exec, s[0:1]
	s_mov_b64 s[0:1], 0
.LBB1584_400:
	v_and_b32_e32 v48, 1, v30
	s_and_b64 vcc, exec, s[0:1]
	v_cmp_eq_u32_e64 s[0:1], 1, v48
	s_cbranch_vccz .LBB1584_419
; %bb.401:
	s_and_saveexec_b64 s[8:9], s[0:1]
	s_cbranch_execz .LBB1584_403
; %bb.402:
	v_subrev_u32_e32 v35, s16, v46
	v_lshlrev_b32_e32 v35, 3, v35
	ds_write_b64 v35, v[22:23]
.LBB1584_403:
	s_or_b64 exec, exec, s[8:9]
	v_and_b32_e32 v22, 1, v33
	v_cmp_eq_u32_e32 vcc, 1, v22
	s_and_saveexec_b64 s[0:1], vcc
	s_cbranch_execz .LBB1584_405
; %bb.404:
	v_subrev_u32_e32 v22, s16, v44
	v_lshlrev_b32_e32 v22, 3, v22
	ds_write_b64 v22, v[24:25]
.LBB1584_405:
	s_or_b64 exec, exec, s[0:1]
	v_mov_b32_e32 v22, 1
	v_and_b32_sdwa v22, v22, v30 dst_sel:DWORD dst_unused:UNUSED_PAD src0_sel:DWORD src1_sel:WORD_1
	v_cmp_eq_u32_e32 vcc, 1, v22
	s_and_saveexec_b64 s[0:1], vcc
	s_cbranch_execz .LBB1584_407
; %bb.406:
	v_subrev_u32_e32 v22, s16, v42
	v_lshlrev_b32_e32 v22, 3, v22
	ds_write_b64 v22, v[18:19]
.LBB1584_407:
	s_or_b64 exec, exec, s[0:1]
	v_and_b32_e32 v18, 1, v32
	v_cmp_eq_u32_e32 vcc, 1, v18
	s_and_saveexec_b64 s[0:1], vcc
	s_cbranch_execz .LBB1584_409
; %bb.408:
	v_subrev_u32_e32 v18, s16, v40
	v_lshlrev_b32_e32 v18, 3, v18
	ds_write_b64 v18, v[20:21]
.LBB1584_409:
	s_or_b64 exec, exec, s[0:1]
	v_and_b32_e32 v18, 1, v31
	;; [unrolled: 10-line block ×3, first 2 shown]
	v_cmp_eq_u32_e32 vcc, 1, v14
	s_and_saveexec_b64 s[0:1], vcc
	s_cbranch_execz .LBB1584_413
; %bb.412:
	v_subrev_u32_e32 v14, s16, v36
	v_lshlrev_b32_e32 v14, 3, v14
	ds_write_b64 v14, v[16:17]
.LBB1584_413:
	s_or_b64 exec, exec, s[0:1]
	v_mov_b32_e32 v14, 1
	v_and_b32_sdwa v14, v14, v31 dst_sel:DWORD dst_unused:UNUSED_PAD src0_sel:DWORD src1_sel:WORD_1
	v_cmp_eq_u32_e32 vcc, 1, v14
	s_and_saveexec_b64 s[0:1], vcc
	s_cbranch_execz .LBB1584_415
; %bb.414:
	v_subrev_u32_e32 v14, s16, v34
	v_lshlrev_b32_e32 v14, 3, v14
	ds_write_b64 v14, v[28:29]
.LBB1584_415:
	s_or_b64 exec, exec, s[0:1]
	v_cmp_gt_u32_e32 vcc, s26, v0
	s_waitcnt lgkmcnt(0)
	s_barrier
	s_and_saveexec_b64 s[0:1], vcc
	s_cbranch_execz .LBB1584_418
; %bb.416:
	s_mov_b32 s17, 0
	s_lshl_b64 s[8:9], s[22:23], 3
	s_lshl_b64 s[10:11], s[16:17], 3
	s_add_u32 s8, s8, s10
	s_addc_u32 s9, s9, s11
	s_add_u32 s4, s4, s8
	v_lshlrev_b32_e32 v14, 3, v0
	v_mov_b32_e32 v15, 0
	s_addc_u32 s5, s5, s9
	v_lshl_add_u64 v[16:17], s[4:5], 0, v[14:15]
	s_mov_b64 s[4:5], 0
	s_mov_b64 s[8:9], 0x1000
	v_mov_b32_e32 v15, v0
.LBB1584_417:                           ; =>This Inner Loop Header: Depth=1
	ds_read_b64 v[18:19], v14
	v_add_u32_e32 v15, 0x200, v15
	v_cmp_le_u32_e32 vcc, s26, v15
	v_add_u32_e32 v14, 0x1000, v14
	s_or_b64 s[4:5], vcc, s[4:5]
	s_waitcnt lgkmcnt(0)
	global_store_dwordx2 v[16:17], v[18:19], off
	v_lshl_add_u64 v[16:17], v[16:17], 0, s[8:9]
	s_andn2_b64 exec, exec, s[4:5]
	s_cbranch_execnz .LBB1584_417
.LBB1584_418:
	s_or_b64 exec, exec, s[0:1]
.LBB1584_419:
	s_mov_b64 s[0:1], -1
	s_and_b64 vcc, exec, s[2:3]
	s_waitcnt lgkmcnt(0)
	s_barrier
	s_cbranch_vccnz .LBB1584_423
; %bb.420:
	s_and_b64 vcc, exec, s[0:1]
	s_cbranch_vccnz .LBB1584_445
.LBB1584_421:
	v_cmp_eq_u32_e32 vcc, 0, v0
	s_and_b64 s[0:1], vcc, s[24:25]
	s_and_saveexec_b64 s[2:3], s[0:1]
	s_cbranch_execnz .LBB1584_463
.LBB1584_422:
	s_endpgm
.LBB1584_423:
	s_add_i32 s2, s16, s26
	v_cmp_gt_u32_e32 vcc, s2, v46
	s_or_b64 s[4:5], s[34:35], vcc
	s_and_saveexec_b64 s[0:1], s[4:5]
	s_cbranch_execz .LBB1584_426
; %bb.424:
	v_cmp_eq_u32_e32 vcc, 1, v48
	s_and_b64 exec, exec, vcc
	s_cbranch_execz .LBB1584_426
; %bb.425:
	s_lshl_b64 s[4:5], s[22:23], 3
	s_add_u32 s4, s6, s4
	s_addc_u32 s5, s7, s5
	v_mov_b32_e32 v47, 0
	v_lshl_add_u64 v[14:15], v[46:47], 3, s[4:5]
	global_store_dwordx2 v[14:15], v[10:11], off
.LBB1584_426:
	s_or_b64 exec, exec, s[0:1]
	v_cmp_gt_u32_e32 vcc, s2, v44
	s_or_b64 s[4:5], s[34:35], vcc
	s_and_saveexec_b64 s[0:1], s[4:5]
	s_cbranch_execz .LBB1584_429
; %bb.427:
	v_and_b32_e32 v14, 1, v33
	v_cmp_eq_u32_e32 vcc, 1, v14
	s_and_b64 exec, exec, vcc
	s_cbranch_execz .LBB1584_429
; %bb.428:
	s_lshl_b64 s[4:5], s[22:23], 3
	s_add_u32 s4, s6, s4
	s_addc_u32 s5, s7, s5
	v_mov_b32_e32 v45, 0
	v_lshl_add_u64 v[14:15], v[44:45], 3, s[4:5]
	global_store_dwordx2 v[14:15], v[12:13], off
.LBB1584_429:
	s_or_b64 exec, exec, s[0:1]
	v_cmp_gt_u32_e32 vcc, s2, v42
	s_or_b64 s[4:5], s[34:35], vcc
	s_and_saveexec_b64 s[0:1], s[4:5]
	s_cbranch_execz .LBB1584_432
; %bb.430:
	v_mov_b32_e32 v14, 1
	v_and_b32_sdwa v14, v14, v30 dst_sel:DWORD dst_unused:UNUSED_PAD src0_sel:DWORD src1_sel:WORD_1
	v_cmp_eq_u32_e32 vcc, 1, v14
	s_and_b64 exec, exec, vcc
	s_cbranch_execz .LBB1584_432
; %bb.431:
	s_lshl_b64 s[4:5], s[22:23], 3
	s_add_u32 s4, s6, s4
	s_addc_u32 s5, s7, s5
	v_mov_b32_e32 v43, 0
	v_lshl_add_u64 v[14:15], v[42:43], 3, s[4:5]
	global_store_dwordx2 v[14:15], v[6:7], off
.LBB1584_432:
	s_or_b64 exec, exec, s[0:1]
	v_cmp_gt_u32_e32 vcc, s2, v40
	s_or_b64 s[4:5], s[34:35], vcc
	s_and_saveexec_b64 s[0:1], s[4:5]
	s_cbranch_execz .LBB1584_435
; %bb.433:
	v_and_b32_e32 v14, 1, v32
	v_cmp_eq_u32_e32 vcc, 1, v14
	s_and_b64 exec, exec, vcc
	s_cbranch_execz .LBB1584_435
; %bb.434:
	s_lshl_b64 s[4:5], s[22:23], 3
	s_add_u32 s4, s6, s4
	s_addc_u32 s5, s7, s5
	v_mov_b32_e32 v41, 0
	v_lshl_add_u64 v[14:15], v[40:41], 3, s[4:5]
	global_store_dwordx2 v[14:15], v[8:9], off
.LBB1584_435:
	s_or_b64 exec, exec, s[0:1]
	v_cmp_gt_u32_e32 vcc, s2, v38
	s_or_b64 s[4:5], s[34:35], vcc
	s_and_saveexec_b64 s[0:1], s[4:5]
	s_cbranch_execz .LBB1584_438
; %bb.436:
	v_and_b32_e32 v14, 1, v31
	v_cmp_eq_u32_e32 vcc, 1, v14
	s_and_b64 exec, exec, vcc
	s_cbranch_execz .LBB1584_438
; %bb.437:
	s_lshl_b64 s[4:5], s[22:23], 3
	s_add_u32 s4, s6, s4
	s_addc_u32 s5, s7, s5
	v_mov_b32_e32 v39, 0
	v_lshl_add_u64 v[14:15], v[38:39], 3, s[4:5]
	global_store_dwordx2 v[14:15], v[2:3], off
.LBB1584_438:
	;; [unrolled: 18-line block ×3, first 2 shown]
	s_or_b64 exec, exec, s[0:1]
	v_cmp_gt_u32_e32 vcc, s2, v34
	s_or_b64 s[2:3], s[34:35], vcc
	s_and_saveexec_b64 s[0:1], s[2:3]
	s_cbranch_execz .LBB1584_444
; %bb.442:
	v_mov_b32_e32 v14, 1
	v_and_b32_sdwa v14, v14, v31 dst_sel:DWORD dst_unused:UNUSED_PAD src0_sel:DWORD src1_sel:WORD_1
	v_cmp_eq_u32_e32 vcc, 1, v14
	s_and_b64 exec, exec, vcc
	s_cbranch_execz .LBB1584_444
; %bb.443:
	s_lshl_b64 s[2:3], s[22:23], 3
	s_add_u32 s2, s6, s2
	s_addc_u32 s3, s7, s3
	v_mov_b32_e32 v35, 0
	v_lshl_add_u64 v[14:15], v[34:35], 3, s[2:3]
	global_store_dwordx2 v[14:15], v[26:27], off
.LBB1584_444:
	s_or_b64 exec, exec, s[0:1]
	s_branch .LBB1584_421
.LBB1584_445:
	v_cmp_eq_u32_e32 vcc, 1, v48
	s_and_saveexec_b64 s[0:1], vcc
	s_cbranch_execz .LBB1584_447
; %bb.446:
	v_subrev_u32_e32 v14, s16, v46
	v_lshlrev_b32_e32 v14, 3, v14
	ds_write_b64 v14, v[10:11]
.LBB1584_447:
	s_or_b64 exec, exec, s[0:1]
	v_and_b32_e32 v10, 1, v33
	v_cmp_eq_u32_e32 vcc, 1, v10
	s_and_saveexec_b64 s[0:1], vcc
	s_cbranch_execz .LBB1584_449
; %bb.448:
	v_subrev_u32_e32 v10, s16, v44
	v_lshlrev_b32_e32 v10, 3, v10
	ds_write_b64 v10, v[12:13]
.LBB1584_449:
	s_or_b64 exec, exec, s[0:1]
	v_mov_b32_e32 v10, 1
	v_and_b32_sdwa v10, v10, v30 dst_sel:DWORD dst_unused:UNUSED_PAD src0_sel:DWORD src1_sel:WORD_1
	v_cmp_eq_u32_e32 vcc, 1, v10
	s_and_saveexec_b64 s[0:1], vcc
	s_cbranch_execz .LBB1584_451
; %bb.450:
	v_subrev_u32_e32 v10, s16, v42
	v_lshlrev_b32_e32 v10, 3, v10
	ds_write_b64 v10, v[6:7]
.LBB1584_451:
	s_or_b64 exec, exec, s[0:1]
	v_and_b32_e32 v6, 1, v32
	v_cmp_eq_u32_e32 vcc, 1, v6
	s_and_saveexec_b64 s[0:1], vcc
	s_cbranch_execz .LBB1584_453
; %bb.452:
	v_subrev_u32_e32 v6, s16, v40
	v_lshlrev_b32_e32 v6, 3, v6
	ds_write_b64 v6, v[8:9]
.LBB1584_453:
	s_or_b64 exec, exec, s[0:1]
	v_and_b32_e32 v6, 1, v31
	;; [unrolled: 10-line block ×3, first 2 shown]
	v_cmp_eq_u32_e32 vcc, 1, v1
	s_and_saveexec_b64 s[0:1], vcc
	s_cbranch_execz .LBB1584_457
; %bb.456:
	v_subrev_u32_e32 v1, s16, v36
	v_lshlrev_b32_e32 v1, 3, v1
	ds_write_b64 v1, v[4:5]
.LBB1584_457:
	s_or_b64 exec, exec, s[0:1]
	v_mov_b32_e32 v1, 1
	v_and_b32_sdwa v1, v1, v31 dst_sel:DWORD dst_unused:UNUSED_PAD src0_sel:DWORD src1_sel:WORD_1
	v_cmp_eq_u32_e32 vcc, 1, v1
	s_and_saveexec_b64 s[0:1], vcc
	s_cbranch_execz .LBB1584_459
; %bb.458:
	v_subrev_u32_e32 v1, s16, v34
	v_lshlrev_b32_e32 v1, 3, v1
	ds_write_b64 v1, v[26:27]
.LBB1584_459:
	s_or_b64 exec, exec, s[0:1]
	v_cmp_gt_u32_e32 vcc, s26, v0
	s_waitcnt lgkmcnt(0)
	s_barrier
	s_and_saveexec_b64 s[0:1], vcc
	s_cbranch_execz .LBB1584_462
; %bb.460:
	s_mov_b32 s17, 0
	s_lshl_b64 s[2:3], s[22:23], 3
	s_lshl_b64 s[4:5], s[16:17], 3
	s_add_u32 s2, s2, s4
	s_addc_u32 s3, s3, s5
	s_add_u32 s2, s6, s2
	v_lshlrev_b32_e32 v2, 3, v0
	v_mov_b32_e32 v3, 0
	s_addc_u32 s3, s7, s3
	v_lshl_add_u64 v[4:5], s[2:3], 0, v[2:3]
	s_mov_b64 s[2:3], 0
	s_mov_b64 s[4:5], 0x1000
	v_mov_b32_e32 v1, v0
.LBB1584_461:                           ; =>This Inner Loop Header: Depth=1
	ds_read_b64 v[6:7], v2
	v_add_u32_e32 v1, 0x200, v1
	v_cmp_le_u32_e32 vcc, s26, v1
	v_add_u32_e32 v2, 0x1000, v2
	s_or_b64 s[2:3], vcc, s[2:3]
	s_waitcnt lgkmcnt(0)
	global_store_dwordx2 v[4:5], v[6:7], off
	v_lshl_add_u64 v[4:5], v[4:5], 0, s[4:5]
	s_andn2_b64 exec, exec, s[2:3]
	s_cbranch_execnz .LBB1584_461
.LBB1584_462:
	s_or_b64 exec, exec, s[0:1]
	v_cmp_eq_u32_e32 vcc, 0, v0
	s_and_b64 s[0:1], vcc, s[24:25]
	s_and_saveexec_b64 s[2:3], s[0:1]
	s_cbranch_execz .LBB1584_422
.LBB1584_463:
	s_add_u32 s0, s22, s26
	s_addc_u32 s1, s23, 0
	s_add_u32 s0, s0, s16
	s_addc_u32 s1, s1, 0
	v_mov_b32_e32 v2, 0
	v_mov_b64_e32 v[0:1], s[0:1]
	global_store_dwordx2 v2, v[0:1], s[20:21]
	s_endpgm
	.section	.rodata,"a",@progbits
	.p2align	6, 0x0
	.amdhsa_kernel _ZN7rocprim17ROCPRIM_400000_NS6detail17trampoline_kernelINS0_14default_configENS1_25partition_config_selectorILNS1_17partition_subalgoE9EllbEEZZNS1_14partition_implILS5_9ELb0ES3_jPlS8_PNS0_10empty_typeENS0_5tupleIJS8_S9_EEENSB_IJS8_SA_EEENS0_18inequality_wrapperIZN2at6native12_GLOBAL__N_124unique_dim_cuda_templateIjEESt5tupleIJNSF_6TensorESK_SK_EERKSK_lbbbEUlllE0_EEPmJS9_EEE10hipError_tPvRmT3_T4_T5_T6_T7_T9_mT8_P12ihipStream_tbDpT10_ENKUlT_T0_E_clISt17integral_constantIbLb0EES1A_EEDaS15_S16_EUlS15_E_NS1_11comp_targetILNS1_3genE5ELNS1_11target_archE942ELNS1_3gpuE9ELNS1_3repE0EEENS1_30default_config_static_selectorELNS0_4arch9wavefront6targetE1EEEvT1_
		.amdhsa_group_segment_fixed_size 28684
		.amdhsa_private_segment_fixed_size 0
		.amdhsa_kernarg_size 120
		.amdhsa_user_sgpr_count 2
		.amdhsa_user_sgpr_dispatch_ptr 0
		.amdhsa_user_sgpr_queue_ptr 0
		.amdhsa_user_sgpr_kernarg_segment_ptr 1
		.amdhsa_user_sgpr_dispatch_id 0
		.amdhsa_user_sgpr_kernarg_preload_length 0
		.amdhsa_user_sgpr_kernarg_preload_offset 0
		.amdhsa_user_sgpr_private_segment_size 0
		.amdhsa_uses_dynamic_stack 0
		.amdhsa_enable_private_segment 0
		.amdhsa_system_sgpr_workgroup_id_x 1
		.amdhsa_system_sgpr_workgroup_id_y 0
		.amdhsa_system_sgpr_workgroup_id_z 0
		.amdhsa_system_sgpr_workgroup_info 0
		.amdhsa_system_vgpr_workitem_id 0
		.amdhsa_next_free_vgpr 66
		.amdhsa_next_free_sgpr 52
		.amdhsa_accum_offset 68
		.amdhsa_reserve_vcc 1
		.amdhsa_float_round_mode_32 0
		.amdhsa_float_round_mode_16_64 0
		.amdhsa_float_denorm_mode_32 3
		.amdhsa_float_denorm_mode_16_64 3
		.amdhsa_dx10_clamp 1
		.amdhsa_ieee_mode 1
		.amdhsa_fp16_overflow 0
		.amdhsa_tg_split 0
		.amdhsa_exception_fp_ieee_invalid_op 0
		.amdhsa_exception_fp_denorm_src 0
		.amdhsa_exception_fp_ieee_div_zero 0
		.amdhsa_exception_fp_ieee_overflow 0
		.amdhsa_exception_fp_ieee_underflow 0
		.amdhsa_exception_fp_ieee_inexact 0
		.amdhsa_exception_int_div_zero 0
	.end_amdhsa_kernel
	.section	.text._ZN7rocprim17ROCPRIM_400000_NS6detail17trampoline_kernelINS0_14default_configENS1_25partition_config_selectorILNS1_17partition_subalgoE9EllbEEZZNS1_14partition_implILS5_9ELb0ES3_jPlS8_PNS0_10empty_typeENS0_5tupleIJS8_S9_EEENSB_IJS8_SA_EEENS0_18inequality_wrapperIZN2at6native12_GLOBAL__N_124unique_dim_cuda_templateIjEESt5tupleIJNSF_6TensorESK_SK_EERKSK_lbbbEUlllE0_EEPmJS9_EEE10hipError_tPvRmT3_T4_T5_T6_T7_T9_mT8_P12ihipStream_tbDpT10_ENKUlT_T0_E_clISt17integral_constantIbLb0EES1A_EEDaS15_S16_EUlS15_E_NS1_11comp_targetILNS1_3genE5ELNS1_11target_archE942ELNS1_3gpuE9ELNS1_3repE0EEENS1_30default_config_static_selectorELNS0_4arch9wavefront6targetE1EEEvT1_,"axG",@progbits,_ZN7rocprim17ROCPRIM_400000_NS6detail17trampoline_kernelINS0_14default_configENS1_25partition_config_selectorILNS1_17partition_subalgoE9EllbEEZZNS1_14partition_implILS5_9ELb0ES3_jPlS8_PNS0_10empty_typeENS0_5tupleIJS8_S9_EEENSB_IJS8_SA_EEENS0_18inequality_wrapperIZN2at6native12_GLOBAL__N_124unique_dim_cuda_templateIjEESt5tupleIJNSF_6TensorESK_SK_EERKSK_lbbbEUlllE0_EEPmJS9_EEE10hipError_tPvRmT3_T4_T5_T6_T7_T9_mT8_P12ihipStream_tbDpT10_ENKUlT_T0_E_clISt17integral_constantIbLb0EES1A_EEDaS15_S16_EUlS15_E_NS1_11comp_targetILNS1_3genE5ELNS1_11target_archE942ELNS1_3gpuE9ELNS1_3repE0EEENS1_30default_config_static_selectorELNS0_4arch9wavefront6targetE1EEEvT1_,comdat
.Lfunc_end1584:
	.size	_ZN7rocprim17ROCPRIM_400000_NS6detail17trampoline_kernelINS0_14default_configENS1_25partition_config_selectorILNS1_17partition_subalgoE9EllbEEZZNS1_14partition_implILS5_9ELb0ES3_jPlS8_PNS0_10empty_typeENS0_5tupleIJS8_S9_EEENSB_IJS8_SA_EEENS0_18inequality_wrapperIZN2at6native12_GLOBAL__N_124unique_dim_cuda_templateIjEESt5tupleIJNSF_6TensorESK_SK_EERKSK_lbbbEUlllE0_EEPmJS9_EEE10hipError_tPvRmT3_T4_T5_T6_T7_T9_mT8_P12ihipStream_tbDpT10_ENKUlT_T0_E_clISt17integral_constantIbLb0EES1A_EEDaS15_S16_EUlS15_E_NS1_11comp_targetILNS1_3genE5ELNS1_11target_archE942ELNS1_3gpuE9ELNS1_3repE0EEENS1_30default_config_static_selectorELNS0_4arch9wavefront6targetE1EEEvT1_, .Lfunc_end1584-_ZN7rocprim17ROCPRIM_400000_NS6detail17trampoline_kernelINS0_14default_configENS1_25partition_config_selectorILNS1_17partition_subalgoE9EllbEEZZNS1_14partition_implILS5_9ELb0ES3_jPlS8_PNS0_10empty_typeENS0_5tupleIJS8_S9_EEENSB_IJS8_SA_EEENS0_18inequality_wrapperIZN2at6native12_GLOBAL__N_124unique_dim_cuda_templateIjEESt5tupleIJNSF_6TensorESK_SK_EERKSK_lbbbEUlllE0_EEPmJS9_EEE10hipError_tPvRmT3_T4_T5_T6_T7_T9_mT8_P12ihipStream_tbDpT10_ENKUlT_T0_E_clISt17integral_constantIbLb0EES1A_EEDaS15_S16_EUlS15_E_NS1_11comp_targetILNS1_3genE5ELNS1_11target_archE942ELNS1_3gpuE9ELNS1_3repE0EEENS1_30default_config_static_selectorELNS0_4arch9wavefront6targetE1EEEvT1_
                                        ; -- End function
	.section	.AMDGPU.csdata,"",@progbits
; Kernel info:
; codeLenInByte = 14392
; NumSgprs: 58
; NumVgprs: 66
; NumAgprs: 0
; TotalNumVgprs: 66
; ScratchSize: 0
; MemoryBound: 0
; FloatMode: 240
; IeeeMode: 1
; LDSByteSize: 28684 bytes/workgroup (compile time only)
; SGPRBlocks: 7
; VGPRBlocks: 8
; NumSGPRsForWavesPerEU: 58
; NumVGPRsForWavesPerEU: 66
; AccumOffset: 68
; Occupancy: 4
; WaveLimiterHint : 1
; COMPUTE_PGM_RSRC2:SCRATCH_EN: 0
; COMPUTE_PGM_RSRC2:USER_SGPR: 2
; COMPUTE_PGM_RSRC2:TRAP_HANDLER: 0
; COMPUTE_PGM_RSRC2:TGID_X_EN: 1
; COMPUTE_PGM_RSRC2:TGID_Y_EN: 0
; COMPUTE_PGM_RSRC2:TGID_Z_EN: 0
; COMPUTE_PGM_RSRC2:TIDIG_COMP_CNT: 0
; COMPUTE_PGM_RSRC3_GFX90A:ACCUM_OFFSET: 16
; COMPUTE_PGM_RSRC3_GFX90A:TG_SPLIT: 0
	.section	.text._ZN7rocprim17ROCPRIM_400000_NS6detail17trampoline_kernelINS0_14default_configENS1_25partition_config_selectorILNS1_17partition_subalgoE9EllbEEZZNS1_14partition_implILS5_9ELb0ES3_jPlS8_PNS0_10empty_typeENS0_5tupleIJS8_S9_EEENSB_IJS8_SA_EEENS0_18inequality_wrapperIZN2at6native12_GLOBAL__N_124unique_dim_cuda_templateIjEESt5tupleIJNSF_6TensorESK_SK_EERKSK_lbbbEUlllE0_EEPmJS9_EEE10hipError_tPvRmT3_T4_T5_T6_T7_T9_mT8_P12ihipStream_tbDpT10_ENKUlT_T0_E_clISt17integral_constantIbLb0EES1A_EEDaS15_S16_EUlS15_E_NS1_11comp_targetILNS1_3genE4ELNS1_11target_archE910ELNS1_3gpuE8ELNS1_3repE0EEENS1_30default_config_static_selectorELNS0_4arch9wavefront6targetE1EEEvT1_,"axG",@progbits,_ZN7rocprim17ROCPRIM_400000_NS6detail17trampoline_kernelINS0_14default_configENS1_25partition_config_selectorILNS1_17partition_subalgoE9EllbEEZZNS1_14partition_implILS5_9ELb0ES3_jPlS8_PNS0_10empty_typeENS0_5tupleIJS8_S9_EEENSB_IJS8_SA_EEENS0_18inequality_wrapperIZN2at6native12_GLOBAL__N_124unique_dim_cuda_templateIjEESt5tupleIJNSF_6TensorESK_SK_EERKSK_lbbbEUlllE0_EEPmJS9_EEE10hipError_tPvRmT3_T4_T5_T6_T7_T9_mT8_P12ihipStream_tbDpT10_ENKUlT_T0_E_clISt17integral_constantIbLb0EES1A_EEDaS15_S16_EUlS15_E_NS1_11comp_targetILNS1_3genE4ELNS1_11target_archE910ELNS1_3gpuE8ELNS1_3repE0EEENS1_30default_config_static_selectorELNS0_4arch9wavefront6targetE1EEEvT1_,comdat
	.globl	_ZN7rocprim17ROCPRIM_400000_NS6detail17trampoline_kernelINS0_14default_configENS1_25partition_config_selectorILNS1_17partition_subalgoE9EllbEEZZNS1_14partition_implILS5_9ELb0ES3_jPlS8_PNS0_10empty_typeENS0_5tupleIJS8_S9_EEENSB_IJS8_SA_EEENS0_18inequality_wrapperIZN2at6native12_GLOBAL__N_124unique_dim_cuda_templateIjEESt5tupleIJNSF_6TensorESK_SK_EERKSK_lbbbEUlllE0_EEPmJS9_EEE10hipError_tPvRmT3_T4_T5_T6_T7_T9_mT8_P12ihipStream_tbDpT10_ENKUlT_T0_E_clISt17integral_constantIbLb0EES1A_EEDaS15_S16_EUlS15_E_NS1_11comp_targetILNS1_3genE4ELNS1_11target_archE910ELNS1_3gpuE8ELNS1_3repE0EEENS1_30default_config_static_selectorELNS0_4arch9wavefront6targetE1EEEvT1_ ; -- Begin function _ZN7rocprim17ROCPRIM_400000_NS6detail17trampoline_kernelINS0_14default_configENS1_25partition_config_selectorILNS1_17partition_subalgoE9EllbEEZZNS1_14partition_implILS5_9ELb0ES3_jPlS8_PNS0_10empty_typeENS0_5tupleIJS8_S9_EEENSB_IJS8_SA_EEENS0_18inequality_wrapperIZN2at6native12_GLOBAL__N_124unique_dim_cuda_templateIjEESt5tupleIJNSF_6TensorESK_SK_EERKSK_lbbbEUlllE0_EEPmJS9_EEE10hipError_tPvRmT3_T4_T5_T6_T7_T9_mT8_P12ihipStream_tbDpT10_ENKUlT_T0_E_clISt17integral_constantIbLb0EES1A_EEDaS15_S16_EUlS15_E_NS1_11comp_targetILNS1_3genE4ELNS1_11target_archE910ELNS1_3gpuE8ELNS1_3repE0EEENS1_30default_config_static_selectorELNS0_4arch9wavefront6targetE1EEEvT1_
	.p2align	8
	.type	_ZN7rocprim17ROCPRIM_400000_NS6detail17trampoline_kernelINS0_14default_configENS1_25partition_config_selectorILNS1_17partition_subalgoE9EllbEEZZNS1_14partition_implILS5_9ELb0ES3_jPlS8_PNS0_10empty_typeENS0_5tupleIJS8_S9_EEENSB_IJS8_SA_EEENS0_18inequality_wrapperIZN2at6native12_GLOBAL__N_124unique_dim_cuda_templateIjEESt5tupleIJNSF_6TensorESK_SK_EERKSK_lbbbEUlllE0_EEPmJS9_EEE10hipError_tPvRmT3_T4_T5_T6_T7_T9_mT8_P12ihipStream_tbDpT10_ENKUlT_T0_E_clISt17integral_constantIbLb0EES1A_EEDaS15_S16_EUlS15_E_NS1_11comp_targetILNS1_3genE4ELNS1_11target_archE910ELNS1_3gpuE8ELNS1_3repE0EEENS1_30default_config_static_selectorELNS0_4arch9wavefront6targetE1EEEvT1_,@function
_ZN7rocprim17ROCPRIM_400000_NS6detail17trampoline_kernelINS0_14default_configENS1_25partition_config_selectorILNS1_17partition_subalgoE9EllbEEZZNS1_14partition_implILS5_9ELb0ES3_jPlS8_PNS0_10empty_typeENS0_5tupleIJS8_S9_EEENSB_IJS8_SA_EEENS0_18inequality_wrapperIZN2at6native12_GLOBAL__N_124unique_dim_cuda_templateIjEESt5tupleIJNSF_6TensorESK_SK_EERKSK_lbbbEUlllE0_EEPmJS9_EEE10hipError_tPvRmT3_T4_T5_T6_T7_T9_mT8_P12ihipStream_tbDpT10_ENKUlT_T0_E_clISt17integral_constantIbLb0EES1A_EEDaS15_S16_EUlS15_E_NS1_11comp_targetILNS1_3genE4ELNS1_11target_archE910ELNS1_3gpuE8ELNS1_3repE0EEENS1_30default_config_static_selectorELNS0_4arch9wavefront6targetE1EEEvT1_: ; @_ZN7rocprim17ROCPRIM_400000_NS6detail17trampoline_kernelINS0_14default_configENS1_25partition_config_selectorILNS1_17partition_subalgoE9EllbEEZZNS1_14partition_implILS5_9ELb0ES3_jPlS8_PNS0_10empty_typeENS0_5tupleIJS8_S9_EEENSB_IJS8_SA_EEENS0_18inequality_wrapperIZN2at6native12_GLOBAL__N_124unique_dim_cuda_templateIjEESt5tupleIJNSF_6TensorESK_SK_EERKSK_lbbbEUlllE0_EEPmJS9_EEE10hipError_tPvRmT3_T4_T5_T6_T7_T9_mT8_P12ihipStream_tbDpT10_ENKUlT_T0_E_clISt17integral_constantIbLb0EES1A_EEDaS15_S16_EUlS15_E_NS1_11comp_targetILNS1_3genE4ELNS1_11target_archE910ELNS1_3gpuE8ELNS1_3repE0EEENS1_30default_config_static_selectorELNS0_4arch9wavefront6targetE1EEEvT1_
; %bb.0:
	.section	.rodata,"a",@progbits
	.p2align	6, 0x0
	.amdhsa_kernel _ZN7rocprim17ROCPRIM_400000_NS6detail17trampoline_kernelINS0_14default_configENS1_25partition_config_selectorILNS1_17partition_subalgoE9EllbEEZZNS1_14partition_implILS5_9ELb0ES3_jPlS8_PNS0_10empty_typeENS0_5tupleIJS8_S9_EEENSB_IJS8_SA_EEENS0_18inequality_wrapperIZN2at6native12_GLOBAL__N_124unique_dim_cuda_templateIjEESt5tupleIJNSF_6TensorESK_SK_EERKSK_lbbbEUlllE0_EEPmJS9_EEE10hipError_tPvRmT3_T4_T5_T6_T7_T9_mT8_P12ihipStream_tbDpT10_ENKUlT_T0_E_clISt17integral_constantIbLb0EES1A_EEDaS15_S16_EUlS15_E_NS1_11comp_targetILNS1_3genE4ELNS1_11target_archE910ELNS1_3gpuE8ELNS1_3repE0EEENS1_30default_config_static_selectorELNS0_4arch9wavefront6targetE1EEEvT1_
		.amdhsa_group_segment_fixed_size 0
		.amdhsa_private_segment_fixed_size 0
		.amdhsa_kernarg_size 120
		.amdhsa_user_sgpr_count 2
		.amdhsa_user_sgpr_dispatch_ptr 0
		.amdhsa_user_sgpr_queue_ptr 0
		.amdhsa_user_sgpr_kernarg_segment_ptr 1
		.amdhsa_user_sgpr_dispatch_id 0
		.amdhsa_user_sgpr_kernarg_preload_length 0
		.amdhsa_user_sgpr_kernarg_preload_offset 0
		.amdhsa_user_sgpr_private_segment_size 0
		.amdhsa_uses_dynamic_stack 0
		.amdhsa_enable_private_segment 0
		.amdhsa_system_sgpr_workgroup_id_x 1
		.amdhsa_system_sgpr_workgroup_id_y 0
		.amdhsa_system_sgpr_workgroup_id_z 0
		.amdhsa_system_sgpr_workgroup_info 0
		.amdhsa_system_vgpr_workitem_id 0
		.amdhsa_next_free_vgpr 1
		.amdhsa_next_free_sgpr 0
		.amdhsa_accum_offset 4
		.amdhsa_reserve_vcc 0
		.amdhsa_float_round_mode_32 0
		.amdhsa_float_round_mode_16_64 0
		.amdhsa_float_denorm_mode_32 3
		.amdhsa_float_denorm_mode_16_64 3
		.amdhsa_dx10_clamp 1
		.amdhsa_ieee_mode 1
		.amdhsa_fp16_overflow 0
		.amdhsa_tg_split 0
		.amdhsa_exception_fp_ieee_invalid_op 0
		.amdhsa_exception_fp_denorm_src 0
		.amdhsa_exception_fp_ieee_div_zero 0
		.amdhsa_exception_fp_ieee_overflow 0
		.amdhsa_exception_fp_ieee_underflow 0
		.amdhsa_exception_fp_ieee_inexact 0
		.amdhsa_exception_int_div_zero 0
	.end_amdhsa_kernel
	.section	.text._ZN7rocprim17ROCPRIM_400000_NS6detail17trampoline_kernelINS0_14default_configENS1_25partition_config_selectorILNS1_17partition_subalgoE9EllbEEZZNS1_14partition_implILS5_9ELb0ES3_jPlS8_PNS0_10empty_typeENS0_5tupleIJS8_S9_EEENSB_IJS8_SA_EEENS0_18inequality_wrapperIZN2at6native12_GLOBAL__N_124unique_dim_cuda_templateIjEESt5tupleIJNSF_6TensorESK_SK_EERKSK_lbbbEUlllE0_EEPmJS9_EEE10hipError_tPvRmT3_T4_T5_T6_T7_T9_mT8_P12ihipStream_tbDpT10_ENKUlT_T0_E_clISt17integral_constantIbLb0EES1A_EEDaS15_S16_EUlS15_E_NS1_11comp_targetILNS1_3genE4ELNS1_11target_archE910ELNS1_3gpuE8ELNS1_3repE0EEENS1_30default_config_static_selectorELNS0_4arch9wavefront6targetE1EEEvT1_,"axG",@progbits,_ZN7rocprim17ROCPRIM_400000_NS6detail17trampoline_kernelINS0_14default_configENS1_25partition_config_selectorILNS1_17partition_subalgoE9EllbEEZZNS1_14partition_implILS5_9ELb0ES3_jPlS8_PNS0_10empty_typeENS0_5tupleIJS8_S9_EEENSB_IJS8_SA_EEENS0_18inequality_wrapperIZN2at6native12_GLOBAL__N_124unique_dim_cuda_templateIjEESt5tupleIJNSF_6TensorESK_SK_EERKSK_lbbbEUlllE0_EEPmJS9_EEE10hipError_tPvRmT3_T4_T5_T6_T7_T9_mT8_P12ihipStream_tbDpT10_ENKUlT_T0_E_clISt17integral_constantIbLb0EES1A_EEDaS15_S16_EUlS15_E_NS1_11comp_targetILNS1_3genE4ELNS1_11target_archE910ELNS1_3gpuE8ELNS1_3repE0EEENS1_30default_config_static_selectorELNS0_4arch9wavefront6targetE1EEEvT1_,comdat
.Lfunc_end1585:
	.size	_ZN7rocprim17ROCPRIM_400000_NS6detail17trampoline_kernelINS0_14default_configENS1_25partition_config_selectorILNS1_17partition_subalgoE9EllbEEZZNS1_14partition_implILS5_9ELb0ES3_jPlS8_PNS0_10empty_typeENS0_5tupleIJS8_S9_EEENSB_IJS8_SA_EEENS0_18inequality_wrapperIZN2at6native12_GLOBAL__N_124unique_dim_cuda_templateIjEESt5tupleIJNSF_6TensorESK_SK_EERKSK_lbbbEUlllE0_EEPmJS9_EEE10hipError_tPvRmT3_T4_T5_T6_T7_T9_mT8_P12ihipStream_tbDpT10_ENKUlT_T0_E_clISt17integral_constantIbLb0EES1A_EEDaS15_S16_EUlS15_E_NS1_11comp_targetILNS1_3genE4ELNS1_11target_archE910ELNS1_3gpuE8ELNS1_3repE0EEENS1_30default_config_static_selectorELNS0_4arch9wavefront6targetE1EEEvT1_, .Lfunc_end1585-_ZN7rocprim17ROCPRIM_400000_NS6detail17trampoline_kernelINS0_14default_configENS1_25partition_config_selectorILNS1_17partition_subalgoE9EllbEEZZNS1_14partition_implILS5_9ELb0ES3_jPlS8_PNS0_10empty_typeENS0_5tupleIJS8_S9_EEENSB_IJS8_SA_EEENS0_18inequality_wrapperIZN2at6native12_GLOBAL__N_124unique_dim_cuda_templateIjEESt5tupleIJNSF_6TensorESK_SK_EERKSK_lbbbEUlllE0_EEPmJS9_EEE10hipError_tPvRmT3_T4_T5_T6_T7_T9_mT8_P12ihipStream_tbDpT10_ENKUlT_T0_E_clISt17integral_constantIbLb0EES1A_EEDaS15_S16_EUlS15_E_NS1_11comp_targetILNS1_3genE4ELNS1_11target_archE910ELNS1_3gpuE8ELNS1_3repE0EEENS1_30default_config_static_selectorELNS0_4arch9wavefront6targetE1EEEvT1_
                                        ; -- End function
	.section	.AMDGPU.csdata,"",@progbits
; Kernel info:
; codeLenInByte = 0
; NumSgprs: 6
; NumVgprs: 0
; NumAgprs: 0
; TotalNumVgprs: 0
; ScratchSize: 0
; MemoryBound: 0
; FloatMode: 240
; IeeeMode: 1
; LDSByteSize: 0 bytes/workgroup (compile time only)
; SGPRBlocks: 0
; VGPRBlocks: 0
; NumSGPRsForWavesPerEU: 6
; NumVGPRsForWavesPerEU: 1
; AccumOffset: 4
; Occupancy: 8
; WaveLimiterHint : 0
; COMPUTE_PGM_RSRC2:SCRATCH_EN: 0
; COMPUTE_PGM_RSRC2:USER_SGPR: 2
; COMPUTE_PGM_RSRC2:TRAP_HANDLER: 0
; COMPUTE_PGM_RSRC2:TGID_X_EN: 1
; COMPUTE_PGM_RSRC2:TGID_Y_EN: 0
; COMPUTE_PGM_RSRC2:TGID_Z_EN: 0
; COMPUTE_PGM_RSRC2:TIDIG_COMP_CNT: 0
; COMPUTE_PGM_RSRC3_GFX90A:ACCUM_OFFSET: 0
; COMPUTE_PGM_RSRC3_GFX90A:TG_SPLIT: 0
	.section	.text._ZN7rocprim17ROCPRIM_400000_NS6detail17trampoline_kernelINS0_14default_configENS1_25partition_config_selectorILNS1_17partition_subalgoE9EllbEEZZNS1_14partition_implILS5_9ELb0ES3_jPlS8_PNS0_10empty_typeENS0_5tupleIJS8_S9_EEENSB_IJS8_SA_EEENS0_18inequality_wrapperIZN2at6native12_GLOBAL__N_124unique_dim_cuda_templateIjEESt5tupleIJNSF_6TensorESK_SK_EERKSK_lbbbEUlllE0_EEPmJS9_EEE10hipError_tPvRmT3_T4_T5_T6_T7_T9_mT8_P12ihipStream_tbDpT10_ENKUlT_T0_E_clISt17integral_constantIbLb0EES1A_EEDaS15_S16_EUlS15_E_NS1_11comp_targetILNS1_3genE3ELNS1_11target_archE908ELNS1_3gpuE7ELNS1_3repE0EEENS1_30default_config_static_selectorELNS0_4arch9wavefront6targetE1EEEvT1_,"axG",@progbits,_ZN7rocprim17ROCPRIM_400000_NS6detail17trampoline_kernelINS0_14default_configENS1_25partition_config_selectorILNS1_17partition_subalgoE9EllbEEZZNS1_14partition_implILS5_9ELb0ES3_jPlS8_PNS0_10empty_typeENS0_5tupleIJS8_S9_EEENSB_IJS8_SA_EEENS0_18inequality_wrapperIZN2at6native12_GLOBAL__N_124unique_dim_cuda_templateIjEESt5tupleIJNSF_6TensorESK_SK_EERKSK_lbbbEUlllE0_EEPmJS9_EEE10hipError_tPvRmT3_T4_T5_T6_T7_T9_mT8_P12ihipStream_tbDpT10_ENKUlT_T0_E_clISt17integral_constantIbLb0EES1A_EEDaS15_S16_EUlS15_E_NS1_11comp_targetILNS1_3genE3ELNS1_11target_archE908ELNS1_3gpuE7ELNS1_3repE0EEENS1_30default_config_static_selectorELNS0_4arch9wavefront6targetE1EEEvT1_,comdat
	.globl	_ZN7rocprim17ROCPRIM_400000_NS6detail17trampoline_kernelINS0_14default_configENS1_25partition_config_selectorILNS1_17partition_subalgoE9EllbEEZZNS1_14partition_implILS5_9ELb0ES3_jPlS8_PNS0_10empty_typeENS0_5tupleIJS8_S9_EEENSB_IJS8_SA_EEENS0_18inequality_wrapperIZN2at6native12_GLOBAL__N_124unique_dim_cuda_templateIjEESt5tupleIJNSF_6TensorESK_SK_EERKSK_lbbbEUlllE0_EEPmJS9_EEE10hipError_tPvRmT3_T4_T5_T6_T7_T9_mT8_P12ihipStream_tbDpT10_ENKUlT_T0_E_clISt17integral_constantIbLb0EES1A_EEDaS15_S16_EUlS15_E_NS1_11comp_targetILNS1_3genE3ELNS1_11target_archE908ELNS1_3gpuE7ELNS1_3repE0EEENS1_30default_config_static_selectorELNS0_4arch9wavefront6targetE1EEEvT1_ ; -- Begin function _ZN7rocprim17ROCPRIM_400000_NS6detail17trampoline_kernelINS0_14default_configENS1_25partition_config_selectorILNS1_17partition_subalgoE9EllbEEZZNS1_14partition_implILS5_9ELb0ES3_jPlS8_PNS0_10empty_typeENS0_5tupleIJS8_S9_EEENSB_IJS8_SA_EEENS0_18inequality_wrapperIZN2at6native12_GLOBAL__N_124unique_dim_cuda_templateIjEESt5tupleIJNSF_6TensorESK_SK_EERKSK_lbbbEUlllE0_EEPmJS9_EEE10hipError_tPvRmT3_T4_T5_T6_T7_T9_mT8_P12ihipStream_tbDpT10_ENKUlT_T0_E_clISt17integral_constantIbLb0EES1A_EEDaS15_S16_EUlS15_E_NS1_11comp_targetILNS1_3genE3ELNS1_11target_archE908ELNS1_3gpuE7ELNS1_3repE0EEENS1_30default_config_static_selectorELNS0_4arch9wavefront6targetE1EEEvT1_
	.p2align	8
	.type	_ZN7rocprim17ROCPRIM_400000_NS6detail17trampoline_kernelINS0_14default_configENS1_25partition_config_selectorILNS1_17partition_subalgoE9EllbEEZZNS1_14partition_implILS5_9ELb0ES3_jPlS8_PNS0_10empty_typeENS0_5tupleIJS8_S9_EEENSB_IJS8_SA_EEENS0_18inequality_wrapperIZN2at6native12_GLOBAL__N_124unique_dim_cuda_templateIjEESt5tupleIJNSF_6TensorESK_SK_EERKSK_lbbbEUlllE0_EEPmJS9_EEE10hipError_tPvRmT3_T4_T5_T6_T7_T9_mT8_P12ihipStream_tbDpT10_ENKUlT_T0_E_clISt17integral_constantIbLb0EES1A_EEDaS15_S16_EUlS15_E_NS1_11comp_targetILNS1_3genE3ELNS1_11target_archE908ELNS1_3gpuE7ELNS1_3repE0EEENS1_30default_config_static_selectorELNS0_4arch9wavefront6targetE1EEEvT1_,@function
_ZN7rocprim17ROCPRIM_400000_NS6detail17trampoline_kernelINS0_14default_configENS1_25partition_config_selectorILNS1_17partition_subalgoE9EllbEEZZNS1_14partition_implILS5_9ELb0ES3_jPlS8_PNS0_10empty_typeENS0_5tupleIJS8_S9_EEENSB_IJS8_SA_EEENS0_18inequality_wrapperIZN2at6native12_GLOBAL__N_124unique_dim_cuda_templateIjEESt5tupleIJNSF_6TensorESK_SK_EERKSK_lbbbEUlllE0_EEPmJS9_EEE10hipError_tPvRmT3_T4_T5_T6_T7_T9_mT8_P12ihipStream_tbDpT10_ENKUlT_T0_E_clISt17integral_constantIbLb0EES1A_EEDaS15_S16_EUlS15_E_NS1_11comp_targetILNS1_3genE3ELNS1_11target_archE908ELNS1_3gpuE7ELNS1_3repE0EEENS1_30default_config_static_selectorELNS0_4arch9wavefront6targetE1EEEvT1_: ; @_ZN7rocprim17ROCPRIM_400000_NS6detail17trampoline_kernelINS0_14default_configENS1_25partition_config_selectorILNS1_17partition_subalgoE9EllbEEZZNS1_14partition_implILS5_9ELb0ES3_jPlS8_PNS0_10empty_typeENS0_5tupleIJS8_S9_EEENSB_IJS8_SA_EEENS0_18inequality_wrapperIZN2at6native12_GLOBAL__N_124unique_dim_cuda_templateIjEESt5tupleIJNSF_6TensorESK_SK_EERKSK_lbbbEUlllE0_EEPmJS9_EEE10hipError_tPvRmT3_T4_T5_T6_T7_T9_mT8_P12ihipStream_tbDpT10_ENKUlT_T0_E_clISt17integral_constantIbLb0EES1A_EEDaS15_S16_EUlS15_E_NS1_11comp_targetILNS1_3genE3ELNS1_11target_archE908ELNS1_3gpuE7ELNS1_3repE0EEENS1_30default_config_static_selectorELNS0_4arch9wavefront6targetE1EEEvT1_
; %bb.0:
	.section	.rodata,"a",@progbits
	.p2align	6, 0x0
	.amdhsa_kernel _ZN7rocprim17ROCPRIM_400000_NS6detail17trampoline_kernelINS0_14default_configENS1_25partition_config_selectorILNS1_17partition_subalgoE9EllbEEZZNS1_14partition_implILS5_9ELb0ES3_jPlS8_PNS0_10empty_typeENS0_5tupleIJS8_S9_EEENSB_IJS8_SA_EEENS0_18inequality_wrapperIZN2at6native12_GLOBAL__N_124unique_dim_cuda_templateIjEESt5tupleIJNSF_6TensorESK_SK_EERKSK_lbbbEUlllE0_EEPmJS9_EEE10hipError_tPvRmT3_T4_T5_T6_T7_T9_mT8_P12ihipStream_tbDpT10_ENKUlT_T0_E_clISt17integral_constantIbLb0EES1A_EEDaS15_S16_EUlS15_E_NS1_11comp_targetILNS1_3genE3ELNS1_11target_archE908ELNS1_3gpuE7ELNS1_3repE0EEENS1_30default_config_static_selectorELNS0_4arch9wavefront6targetE1EEEvT1_
		.amdhsa_group_segment_fixed_size 0
		.amdhsa_private_segment_fixed_size 0
		.amdhsa_kernarg_size 120
		.amdhsa_user_sgpr_count 2
		.amdhsa_user_sgpr_dispatch_ptr 0
		.amdhsa_user_sgpr_queue_ptr 0
		.amdhsa_user_sgpr_kernarg_segment_ptr 1
		.amdhsa_user_sgpr_dispatch_id 0
		.amdhsa_user_sgpr_kernarg_preload_length 0
		.amdhsa_user_sgpr_kernarg_preload_offset 0
		.amdhsa_user_sgpr_private_segment_size 0
		.amdhsa_uses_dynamic_stack 0
		.amdhsa_enable_private_segment 0
		.amdhsa_system_sgpr_workgroup_id_x 1
		.amdhsa_system_sgpr_workgroup_id_y 0
		.amdhsa_system_sgpr_workgroup_id_z 0
		.amdhsa_system_sgpr_workgroup_info 0
		.amdhsa_system_vgpr_workitem_id 0
		.amdhsa_next_free_vgpr 1
		.amdhsa_next_free_sgpr 0
		.amdhsa_accum_offset 4
		.amdhsa_reserve_vcc 0
		.amdhsa_float_round_mode_32 0
		.amdhsa_float_round_mode_16_64 0
		.amdhsa_float_denorm_mode_32 3
		.amdhsa_float_denorm_mode_16_64 3
		.amdhsa_dx10_clamp 1
		.amdhsa_ieee_mode 1
		.amdhsa_fp16_overflow 0
		.amdhsa_tg_split 0
		.amdhsa_exception_fp_ieee_invalid_op 0
		.amdhsa_exception_fp_denorm_src 0
		.amdhsa_exception_fp_ieee_div_zero 0
		.amdhsa_exception_fp_ieee_overflow 0
		.amdhsa_exception_fp_ieee_underflow 0
		.amdhsa_exception_fp_ieee_inexact 0
		.amdhsa_exception_int_div_zero 0
	.end_amdhsa_kernel
	.section	.text._ZN7rocprim17ROCPRIM_400000_NS6detail17trampoline_kernelINS0_14default_configENS1_25partition_config_selectorILNS1_17partition_subalgoE9EllbEEZZNS1_14partition_implILS5_9ELb0ES3_jPlS8_PNS0_10empty_typeENS0_5tupleIJS8_S9_EEENSB_IJS8_SA_EEENS0_18inequality_wrapperIZN2at6native12_GLOBAL__N_124unique_dim_cuda_templateIjEESt5tupleIJNSF_6TensorESK_SK_EERKSK_lbbbEUlllE0_EEPmJS9_EEE10hipError_tPvRmT3_T4_T5_T6_T7_T9_mT8_P12ihipStream_tbDpT10_ENKUlT_T0_E_clISt17integral_constantIbLb0EES1A_EEDaS15_S16_EUlS15_E_NS1_11comp_targetILNS1_3genE3ELNS1_11target_archE908ELNS1_3gpuE7ELNS1_3repE0EEENS1_30default_config_static_selectorELNS0_4arch9wavefront6targetE1EEEvT1_,"axG",@progbits,_ZN7rocprim17ROCPRIM_400000_NS6detail17trampoline_kernelINS0_14default_configENS1_25partition_config_selectorILNS1_17partition_subalgoE9EllbEEZZNS1_14partition_implILS5_9ELb0ES3_jPlS8_PNS0_10empty_typeENS0_5tupleIJS8_S9_EEENSB_IJS8_SA_EEENS0_18inequality_wrapperIZN2at6native12_GLOBAL__N_124unique_dim_cuda_templateIjEESt5tupleIJNSF_6TensorESK_SK_EERKSK_lbbbEUlllE0_EEPmJS9_EEE10hipError_tPvRmT3_T4_T5_T6_T7_T9_mT8_P12ihipStream_tbDpT10_ENKUlT_T0_E_clISt17integral_constantIbLb0EES1A_EEDaS15_S16_EUlS15_E_NS1_11comp_targetILNS1_3genE3ELNS1_11target_archE908ELNS1_3gpuE7ELNS1_3repE0EEENS1_30default_config_static_selectorELNS0_4arch9wavefront6targetE1EEEvT1_,comdat
.Lfunc_end1586:
	.size	_ZN7rocprim17ROCPRIM_400000_NS6detail17trampoline_kernelINS0_14default_configENS1_25partition_config_selectorILNS1_17partition_subalgoE9EllbEEZZNS1_14partition_implILS5_9ELb0ES3_jPlS8_PNS0_10empty_typeENS0_5tupleIJS8_S9_EEENSB_IJS8_SA_EEENS0_18inequality_wrapperIZN2at6native12_GLOBAL__N_124unique_dim_cuda_templateIjEESt5tupleIJNSF_6TensorESK_SK_EERKSK_lbbbEUlllE0_EEPmJS9_EEE10hipError_tPvRmT3_T4_T5_T6_T7_T9_mT8_P12ihipStream_tbDpT10_ENKUlT_T0_E_clISt17integral_constantIbLb0EES1A_EEDaS15_S16_EUlS15_E_NS1_11comp_targetILNS1_3genE3ELNS1_11target_archE908ELNS1_3gpuE7ELNS1_3repE0EEENS1_30default_config_static_selectorELNS0_4arch9wavefront6targetE1EEEvT1_, .Lfunc_end1586-_ZN7rocprim17ROCPRIM_400000_NS6detail17trampoline_kernelINS0_14default_configENS1_25partition_config_selectorILNS1_17partition_subalgoE9EllbEEZZNS1_14partition_implILS5_9ELb0ES3_jPlS8_PNS0_10empty_typeENS0_5tupleIJS8_S9_EEENSB_IJS8_SA_EEENS0_18inequality_wrapperIZN2at6native12_GLOBAL__N_124unique_dim_cuda_templateIjEESt5tupleIJNSF_6TensorESK_SK_EERKSK_lbbbEUlllE0_EEPmJS9_EEE10hipError_tPvRmT3_T4_T5_T6_T7_T9_mT8_P12ihipStream_tbDpT10_ENKUlT_T0_E_clISt17integral_constantIbLb0EES1A_EEDaS15_S16_EUlS15_E_NS1_11comp_targetILNS1_3genE3ELNS1_11target_archE908ELNS1_3gpuE7ELNS1_3repE0EEENS1_30default_config_static_selectorELNS0_4arch9wavefront6targetE1EEEvT1_
                                        ; -- End function
	.section	.AMDGPU.csdata,"",@progbits
; Kernel info:
; codeLenInByte = 0
; NumSgprs: 6
; NumVgprs: 0
; NumAgprs: 0
; TotalNumVgprs: 0
; ScratchSize: 0
; MemoryBound: 0
; FloatMode: 240
; IeeeMode: 1
; LDSByteSize: 0 bytes/workgroup (compile time only)
; SGPRBlocks: 0
; VGPRBlocks: 0
; NumSGPRsForWavesPerEU: 6
; NumVGPRsForWavesPerEU: 1
; AccumOffset: 4
; Occupancy: 8
; WaveLimiterHint : 0
; COMPUTE_PGM_RSRC2:SCRATCH_EN: 0
; COMPUTE_PGM_RSRC2:USER_SGPR: 2
; COMPUTE_PGM_RSRC2:TRAP_HANDLER: 0
; COMPUTE_PGM_RSRC2:TGID_X_EN: 1
; COMPUTE_PGM_RSRC2:TGID_Y_EN: 0
; COMPUTE_PGM_RSRC2:TGID_Z_EN: 0
; COMPUTE_PGM_RSRC2:TIDIG_COMP_CNT: 0
; COMPUTE_PGM_RSRC3_GFX90A:ACCUM_OFFSET: 0
; COMPUTE_PGM_RSRC3_GFX90A:TG_SPLIT: 0
	.section	.text._ZN7rocprim17ROCPRIM_400000_NS6detail17trampoline_kernelINS0_14default_configENS1_25partition_config_selectorILNS1_17partition_subalgoE9EllbEEZZNS1_14partition_implILS5_9ELb0ES3_jPlS8_PNS0_10empty_typeENS0_5tupleIJS8_S9_EEENSB_IJS8_SA_EEENS0_18inequality_wrapperIZN2at6native12_GLOBAL__N_124unique_dim_cuda_templateIjEESt5tupleIJNSF_6TensorESK_SK_EERKSK_lbbbEUlllE0_EEPmJS9_EEE10hipError_tPvRmT3_T4_T5_T6_T7_T9_mT8_P12ihipStream_tbDpT10_ENKUlT_T0_E_clISt17integral_constantIbLb0EES1A_EEDaS15_S16_EUlS15_E_NS1_11comp_targetILNS1_3genE2ELNS1_11target_archE906ELNS1_3gpuE6ELNS1_3repE0EEENS1_30default_config_static_selectorELNS0_4arch9wavefront6targetE1EEEvT1_,"axG",@progbits,_ZN7rocprim17ROCPRIM_400000_NS6detail17trampoline_kernelINS0_14default_configENS1_25partition_config_selectorILNS1_17partition_subalgoE9EllbEEZZNS1_14partition_implILS5_9ELb0ES3_jPlS8_PNS0_10empty_typeENS0_5tupleIJS8_S9_EEENSB_IJS8_SA_EEENS0_18inequality_wrapperIZN2at6native12_GLOBAL__N_124unique_dim_cuda_templateIjEESt5tupleIJNSF_6TensorESK_SK_EERKSK_lbbbEUlllE0_EEPmJS9_EEE10hipError_tPvRmT3_T4_T5_T6_T7_T9_mT8_P12ihipStream_tbDpT10_ENKUlT_T0_E_clISt17integral_constantIbLb0EES1A_EEDaS15_S16_EUlS15_E_NS1_11comp_targetILNS1_3genE2ELNS1_11target_archE906ELNS1_3gpuE6ELNS1_3repE0EEENS1_30default_config_static_selectorELNS0_4arch9wavefront6targetE1EEEvT1_,comdat
	.globl	_ZN7rocprim17ROCPRIM_400000_NS6detail17trampoline_kernelINS0_14default_configENS1_25partition_config_selectorILNS1_17partition_subalgoE9EllbEEZZNS1_14partition_implILS5_9ELb0ES3_jPlS8_PNS0_10empty_typeENS0_5tupleIJS8_S9_EEENSB_IJS8_SA_EEENS0_18inequality_wrapperIZN2at6native12_GLOBAL__N_124unique_dim_cuda_templateIjEESt5tupleIJNSF_6TensorESK_SK_EERKSK_lbbbEUlllE0_EEPmJS9_EEE10hipError_tPvRmT3_T4_T5_T6_T7_T9_mT8_P12ihipStream_tbDpT10_ENKUlT_T0_E_clISt17integral_constantIbLb0EES1A_EEDaS15_S16_EUlS15_E_NS1_11comp_targetILNS1_3genE2ELNS1_11target_archE906ELNS1_3gpuE6ELNS1_3repE0EEENS1_30default_config_static_selectorELNS0_4arch9wavefront6targetE1EEEvT1_ ; -- Begin function _ZN7rocprim17ROCPRIM_400000_NS6detail17trampoline_kernelINS0_14default_configENS1_25partition_config_selectorILNS1_17partition_subalgoE9EllbEEZZNS1_14partition_implILS5_9ELb0ES3_jPlS8_PNS0_10empty_typeENS0_5tupleIJS8_S9_EEENSB_IJS8_SA_EEENS0_18inequality_wrapperIZN2at6native12_GLOBAL__N_124unique_dim_cuda_templateIjEESt5tupleIJNSF_6TensorESK_SK_EERKSK_lbbbEUlllE0_EEPmJS9_EEE10hipError_tPvRmT3_T4_T5_T6_T7_T9_mT8_P12ihipStream_tbDpT10_ENKUlT_T0_E_clISt17integral_constantIbLb0EES1A_EEDaS15_S16_EUlS15_E_NS1_11comp_targetILNS1_3genE2ELNS1_11target_archE906ELNS1_3gpuE6ELNS1_3repE0EEENS1_30default_config_static_selectorELNS0_4arch9wavefront6targetE1EEEvT1_
	.p2align	8
	.type	_ZN7rocprim17ROCPRIM_400000_NS6detail17trampoline_kernelINS0_14default_configENS1_25partition_config_selectorILNS1_17partition_subalgoE9EllbEEZZNS1_14partition_implILS5_9ELb0ES3_jPlS8_PNS0_10empty_typeENS0_5tupleIJS8_S9_EEENSB_IJS8_SA_EEENS0_18inequality_wrapperIZN2at6native12_GLOBAL__N_124unique_dim_cuda_templateIjEESt5tupleIJNSF_6TensorESK_SK_EERKSK_lbbbEUlllE0_EEPmJS9_EEE10hipError_tPvRmT3_T4_T5_T6_T7_T9_mT8_P12ihipStream_tbDpT10_ENKUlT_T0_E_clISt17integral_constantIbLb0EES1A_EEDaS15_S16_EUlS15_E_NS1_11comp_targetILNS1_3genE2ELNS1_11target_archE906ELNS1_3gpuE6ELNS1_3repE0EEENS1_30default_config_static_selectorELNS0_4arch9wavefront6targetE1EEEvT1_,@function
_ZN7rocprim17ROCPRIM_400000_NS6detail17trampoline_kernelINS0_14default_configENS1_25partition_config_selectorILNS1_17partition_subalgoE9EllbEEZZNS1_14partition_implILS5_9ELb0ES3_jPlS8_PNS0_10empty_typeENS0_5tupleIJS8_S9_EEENSB_IJS8_SA_EEENS0_18inequality_wrapperIZN2at6native12_GLOBAL__N_124unique_dim_cuda_templateIjEESt5tupleIJNSF_6TensorESK_SK_EERKSK_lbbbEUlllE0_EEPmJS9_EEE10hipError_tPvRmT3_T4_T5_T6_T7_T9_mT8_P12ihipStream_tbDpT10_ENKUlT_T0_E_clISt17integral_constantIbLb0EES1A_EEDaS15_S16_EUlS15_E_NS1_11comp_targetILNS1_3genE2ELNS1_11target_archE906ELNS1_3gpuE6ELNS1_3repE0EEENS1_30default_config_static_selectorELNS0_4arch9wavefront6targetE1EEEvT1_: ; @_ZN7rocprim17ROCPRIM_400000_NS6detail17trampoline_kernelINS0_14default_configENS1_25partition_config_selectorILNS1_17partition_subalgoE9EllbEEZZNS1_14partition_implILS5_9ELb0ES3_jPlS8_PNS0_10empty_typeENS0_5tupleIJS8_S9_EEENSB_IJS8_SA_EEENS0_18inequality_wrapperIZN2at6native12_GLOBAL__N_124unique_dim_cuda_templateIjEESt5tupleIJNSF_6TensorESK_SK_EERKSK_lbbbEUlllE0_EEPmJS9_EEE10hipError_tPvRmT3_T4_T5_T6_T7_T9_mT8_P12ihipStream_tbDpT10_ENKUlT_T0_E_clISt17integral_constantIbLb0EES1A_EEDaS15_S16_EUlS15_E_NS1_11comp_targetILNS1_3genE2ELNS1_11target_archE906ELNS1_3gpuE6ELNS1_3repE0EEENS1_30default_config_static_selectorELNS0_4arch9wavefront6targetE1EEEvT1_
; %bb.0:
	.section	.rodata,"a",@progbits
	.p2align	6, 0x0
	.amdhsa_kernel _ZN7rocprim17ROCPRIM_400000_NS6detail17trampoline_kernelINS0_14default_configENS1_25partition_config_selectorILNS1_17partition_subalgoE9EllbEEZZNS1_14partition_implILS5_9ELb0ES3_jPlS8_PNS0_10empty_typeENS0_5tupleIJS8_S9_EEENSB_IJS8_SA_EEENS0_18inequality_wrapperIZN2at6native12_GLOBAL__N_124unique_dim_cuda_templateIjEESt5tupleIJNSF_6TensorESK_SK_EERKSK_lbbbEUlllE0_EEPmJS9_EEE10hipError_tPvRmT3_T4_T5_T6_T7_T9_mT8_P12ihipStream_tbDpT10_ENKUlT_T0_E_clISt17integral_constantIbLb0EES1A_EEDaS15_S16_EUlS15_E_NS1_11comp_targetILNS1_3genE2ELNS1_11target_archE906ELNS1_3gpuE6ELNS1_3repE0EEENS1_30default_config_static_selectorELNS0_4arch9wavefront6targetE1EEEvT1_
		.amdhsa_group_segment_fixed_size 0
		.amdhsa_private_segment_fixed_size 0
		.amdhsa_kernarg_size 120
		.amdhsa_user_sgpr_count 2
		.amdhsa_user_sgpr_dispatch_ptr 0
		.amdhsa_user_sgpr_queue_ptr 0
		.amdhsa_user_sgpr_kernarg_segment_ptr 1
		.amdhsa_user_sgpr_dispatch_id 0
		.amdhsa_user_sgpr_kernarg_preload_length 0
		.amdhsa_user_sgpr_kernarg_preload_offset 0
		.amdhsa_user_sgpr_private_segment_size 0
		.amdhsa_uses_dynamic_stack 0
		.amdhsa_enable_private_segment 0
		.amdhsa_system_sgpr_workgroup_id_x 1
		.amdhsa_system_sgpr_workgroup_id_y 0
		.amdhsa_system_sgpr_workgroup_id_z 0
		.amdhsa_system_sgpr_workgroup_info 0
		.amdhsa_system_vgpr_workitem_id 0
		.amdhsa_next_free_vgpr 1
		.amdhsa_next_free_sgpr 0
		.amdhsa_accum_offset 4
		.amdhsa_reserve_vcc 0
		.amdhsa_float_round_mode_32 0
		.amdhsa_float_round_mode_16_64 0
		.amdhsa_float_denorm_mode_32 3
		.amdhsa_float_denorm_mode_16_64 3
		.amdhsa_dx10_clamp 1
		.amdhsa_ieee_mode 1
		.amdhsa_fp16_overflow 0
		.amdhsa_tg_split 0
		.amdhsa_exception_fp_ieee_invalid_op 0
		.amdhsa_exception_fp_denorm_src 0
		.amdhsa_exception_fp_ieee_div_zero 0
		.amdhsa_exception_fp_ieee_overflow 0
		.amdhsa_exception_fp_ieee_underflow 0
		.amdhsa_exception_fp_ieee_inexact 0
		.amdhsa_exception_int_div_zero 0
	.end_amdhsa_kernel
	.section	.text._ZN7rocprim17ROCPRIM_400000_NS6detail17trampoline_kernelINS0_14default_configENS1_25partition_config_selectorILNS1_17partition_subalgoE9EllbEEZZNS1_14partition_implILS5_9ELb0ES3_jPlS8_PNS0_10empty_typeENS0_5tupleIJS8_S9_EEENSB_IJS8_SA_EEENS0_18inequality_wrapperIZN2at6native12_GLOBAL__N_124unique_dim_cuda_templateIjEESt5tupleIJNSF_6TensorESK_SK_EERKSK_lbbbEUlllE0_EEPmJS9_EEE10hipError_tPvRmT3_T4_T5_T6_T7_T9_mT8_P12ihipStream_tbDpT10_ENKUlT_T0_E_clISt17integral_constantIbLb0EES1A_EEDaS15_S16_EUlS15_E_NS1_11comp_targetILNS1_3genE2ELNS1_11target_archE906ELNS1_3gpuE6ELNS1_3repE0EEENS1_30default_config_static_selectorELNS0_4arch9wavefront6targetE1EEEvT1_,"axG",@progbits,_ZN7rocprim17ROCPRIM_400000_NS6detail17trampoline_kernelINS0_14default_configENS1_25partition_config_selectorILNS1_17partition_subalgoE9EllbEEZZNS1_14partition_implILS5_9ELb0ES3_jPlS8_PNS0_10empty_typeENS0_5tupleIJS8_S9_EEENSB_IJS8_SA_EEENS0_18inequality_wrapperIZN2at6native12_GLOBAL__N_124unique_dim_cuda_templateIjEESt5tupleIJNSF_6TensorESK_SK_EERKSK_lbbbEUlllE0_EEPmJS9_EEE10hipError_tPvRmT3_T4_T5_T6_T7_T9_mT8_P12ihipStream_tbDpT10_ENKUlT_T0_E_clISt17integral_constantIbLb0EES1A_EEDaS15_S16_EUlS15_E_NS1_11comp_targetILNS1_3genE2ELNS1_11target_archE906ELNS1_3gpuE6ELNS1_3repE0EEENS1_30default_config_static_selectorELNS0_4arch9wavefront6targetE1EEEvT1_,comdat
.Lfunc_end1587:
	.size	_ZN7rocprim17ROCPRIM_400000_NS6detail17trampoline_kernelINS0_14default_configENS1_25partition_config_selectorILNS1_17partition_subalgoE9EllbEEZZNS1_14partition_implILS5_9ELb0ES3_jPlS8_PNS0_10empty_typeENS0_5tupleIJS8_S9_EEENSB_IJS8_SA_EEENS0_18inequality_wrapperIZN2at6native12_GLOBAL__N_124unique_dim_cuda_templateIjEESt5tupleIJNSF_6TensorESK_SK_EERKSK_lbbbEUlllE0_EEPmJS9_EEE10hipError_tPvRmT3_T4_T5_T6_T7_T9_mT8_P12ihipStream_tbDpT10_ENKUlT_T0_E_clISt17integral_constantIbLb0EES1A_EEDaS15_S16_EUlS15_E_NS1_11comp_targetILNS1_3genE2ELNS1_11target_archE906ELNS1_3gpuE6ELNS1_3repE0EEENS1_30default_config_static_selectorELNS0_4arch9wavefront6targetE1EEEvT1_, .Lfunc_end1587-_ZN7rocprim17ROCPRIM_400000_NS6detail17trampoline_kernelINS0_14default_configENS1_25partition_config_selectorILNS1_17partition_subalgoE9EllbEEZZNS1_14partition_implILS5_9ELb0ES3_jPlS8_PNS0_10empty_typeENS0_5tupleIJS8_S9_EEENSB_IJS8_SA_EEENS0_18inequality_wrapperIZN2at6native12_GLOBAL__N_124unique_dim_cuda_templateIjEESt5tupleIJNSF_6TensorESK_SK_EERKSK_lbbbEUlllE0_EEPmJS9_EEE10hipError_tPvRmT3_T4_T5_T6_T7_T9_mT8_P12ihipStream_tbDpT10_ENKUlT_T0_E_clISt17integral_constantIbLb0EES1A_EEDaS15_S16_EUlS15_E_NS1_11comp_targetILNS1_3genE2ELNS1_11target_archE906ELNS1_3gpuE6ELNS1_3repE0EEENS1_30default_config_static_selectorELNS0_4arch9wavefront6targetE1EEEvT1_
                                        ; -- End function
	.section	.AMDGPU.csdata,"",@progbits
; Kernel info:
; codeLenInByte = 0
; NumSgprs: 6
; NumVgprs: 0
; NumAgprs: 0
; TotalNumVgprs: 0
; ScratchSize: 0
; MemoryBound: 0
; FloatMode: 240
; IeeeMode: 1
; LDSByteSize: 0 bytes/workgroup (compile time only)
; SGPRBlocks: 0
; VGPRBlocks: 0
; NumSGPRsForWavesPerEU: 6
; NumVGPRsForWavesPerEU: 1
; AccumOffset: 4
; Occupancy: 8
; WaveLimiterHint : 0
; COMPUTE_PGM_RSRC2:SCRATCH_EN: 0
; COMPUTE_PGM_RSRC2:USER_SGPR: 2
; COMPUTE_PGM_RSRC2:TRAP_HANDLER: 0
; COMPUTE_PGM_RSRC2:TGID_X_EN: 1
; COMPUTE_PGM_RSRC2:TGID_Y_EN: 0
; COMPUTE_PGM_RSRC2:TGID_Z_EN: 0
; COMPUTE_PGM_RSRC2:TIDIG_COMP_CNT: 0
; COMPUTE_PGM_RSRC3_GFX90A:ACCUM_OFFSET: 0
; COMPUTE_PGM_RSRC3_GFX90A:TG_SPLIT: 0
	.section	.text._ZN7rocprim17ROCPRIM_400000_NS6detail17trampoline_kernelINS0_14default_configENS1_25partition_config_selectorILNS1_17partition_subalgoE9EllbEEZZNS1_14partition_implILS5_9ELb0ES3_jPlS8_PNS0_10empty_typeENS0_5tupleIJS8_S9_EEENSB_IJS8_SA_EEENS0_18inequality_wrapperIZN2at6native12_GLOBAL__N_124unique_dim_cuda_templateIjEESt5tupleIJNSF_6TensorESK_SK_EERKSK_lbbbEUlllE0_EEPmJS9_EEE10hipError_tPvRmT3_T4_T5_T6_T7_T9_mT8_P12ihipStream_tbDpT10_ENKUlT_T0_E_clISt17integral_constantIbLb0EES1A_EEDaS15_S16_EUlS15_E_NS1_11comp_targetILNS1_3genE10ELNS1_11target_archE1200ELNS1_3gpuE4ELNS1_3repE0EEENS1_30default_config_static_selectorELNS0_4arch9wavefront6targetE1EEEvT1_,"axG",@progbits,_ZN7rocprim17ROCPRIM_400000_NS6detail17trampoline_kernelINS0_14default_configENS1_25partition_config_selectorILNS1_17partition_subalgoE9EllbEEZZNS1_14partition_implILS5_9ELb0ES3_jPlS8_PNS0_10empty_typeENS0_5tupleIJS8_S9_EEENSB_IJS8_SA_EEENS0_18inequality_wrapperIZN2at6native12_GLOBAL__N_124unique_dim_cuda_templateIjEESt5tupleIJNSF_6TensorESK_SK_EERKSK_lbbbEUlllE0_EEPmJS9_EEE10hipError_tPvRmT3_T4_T5_T6_T7_T9_mT8_P12ihipStream_tbDpT10_ENKUlT_T0_E_clISt17integral_constantIbLb0EES1A_EEDaS15_S16_EUlS15_E_NS1_11comp_targetILNS1_3genE10ELNS1_11target_archE1200ELNS1_3gpuE4ELNS1_3repE0EEENS1_30default_config_static_selectorELNS0_4arch9wavefront6targetE1EEEvT1_,comdat
	.globl	_ZN7rocprim17ROCPRIM_400000_NS6detail17trampoline_kernelINS0_14default_configENS1_25partition_config_selectorILNS1_17partition_subalgoE9EllbEEZZNS1_14partition_implILS5_9ELb0ES3_jPlS8_PNS0_10empty_typeENS0_5tupleIJS8_S9_EEENSB_IJS8_SA_EEENS0_18inequality_wrapperIZN2at6native12_GLOBAL__N_124unique_dim_cuda_templateIjEESt5tupleIJNSF_6TensorESK_SK_EERKSK_lbbbEUlllE0_EEPmJS9_EEE10hipError_tPvRmT3_T4_T5_T6_T7_T9_mT8_P12ihipStream_tbDpT10_ENKUlT_T0_E_clISt17integral_constantIbLb0EES1A_EEDaS15_S16_EUlS15_E_NS1_11comp_targetILNS1_3genE10ELNS1_11target_archE1200ELNS1_3gpuE4ELNS1_3repE0EEENS1_30default_config_static_selectorELNS0_4arch9wavefront6targetE1EEEvT1_ ; -- Begin function _ZN7rocprim17ROCPRIM_400000_NS6detail17trampoline_kernelINS0_14default_configENS1_25partition_config_selectorILNS1_17partition_subalgoE9EllbEEZZNS1_14partition_implILS5_9ELb0ES3_jPlS8_PNS0_10empty_typeENS0_5tupleIJS8_S9_EEENSB_IJS8_SA_EEENS0_18inequality_wrapperIZN2at6native12_GLOBAL__N_124unique_dim_cuda_templateIjEESt5tupleIJNSF_6TensorESK_SK_EERKSK_lbbbEUlllE0_EEPmJS9_EEE10hipError_tPvRmT3_T4_T5_T6_T7_T9_mT8_P12ihipStream_tbDpT10_ENKUlT_T0_E_clISt17integral_constantIbLb0EES1A_EEDaS15_S16_EUlS15_E_NS1_11comp_targetILNS1_3genE10ELNS1_11target_archE1200ELNS1_3gpuE4ELNS1_3repE0EEENS1_30default_config_static_selectorELNS0_4arch9wavefront6targetE1EEEvT1_
	.p2align	8
	.type	_ZN7rocprim17ROCPRIM_400000_NS6detail17trampoline_kernelINS0_14default_configENS1_25partition_config_selectorILNS1_17partition_subalgoE9EllbEEZZNS1_14partition_implILS5_9ELb0ES3_jPlS8_PNS0_10empty_typeENS0_5tupleIJS8_S9_EEENSB_IJS8_SA_EEENS0_18inequality_wrapperIZN2at6native12_GLOBAL__N_124unique_dim_cuda_templateIjEESt5tupleIJNSF_6TensorESK_SK_EERKSK_lbbbEUlllE0_EEPmJS9_EEE10hipError_tPvRmT3_T4_T5_T6_T7_T9_mT8_P12ihipStream_tbDpT10_ENKUlT_T0_E_clISt17integral_constantIbLb0EES1A_EEDaS15_S16_EUlS15_E_NS1_11comp_targetILNS1_3genE10ELNS1_11target_archE1200ELNS1_3gpuE4ELNS1_3repE0EEENS1_30default_config_static_selectorELNS0_4arch9wavefront6targetE1EEEvT1_,@function
_ZN7rocprim17ROCPRIM_400000_NS6detail17trampoline_kernelINS0_14default_configENS1_25partition_config_selectorILNS1_17partition_subalgoE9EllbEEZZNS1_14partition_implILS5_9ELb0ES3_jPlS8_PNS0_10empty_typeENS0_5tupleIJS8_S9_EEENSB_IJS8_SA_EEENS0_18inequality_wrapperIZN2at6native12_GLOBAL__N_124unique_dim_cuda_templateIjEESt5tupleIJNSF_6TensorESK_SK_EERKSK_lbbbEUlllE0_EEPmJS9_EEE10hipError_tPvRmT3_T4_T5_T6_T7_T9_mT8_P12ihipStream_tbDpT10_ENKUlT_T0_E_clISt17integral_constantIbLb0EES1A_EEDaS15_S16_EUlS15_E_NS1_11comp_targetILNS1_3genE10ELNS1_11target_archE1200ELNS1_3gpuE4ELNS1_3repE0EEENS1_30default_config_static_selectorELNS0_4arch9wavefront6targetE1EEEvT1_: ; @_ZN7rocprim17ROCPRIM_400000_NS6detail17trampoline_kernelINS0_14default_configENS1_25partition_config_selectorILNS1_17partition_subalgoE9EllbEEZZNS1_14partition_implILS5_9ELb0ES3_jPlS8_PNS0_10empty_typeENS0_5tupleIJS8_S9_EEENSB_IJS8_SA_EEENS0_18inequality_wrapperIZN2at6native12_GLOBAL__N_124unique_dim_cuda_templateIjEESt5tupleIJNSF_6TensorESK_SK_EERKSK_lbbbEUlllE0_EEPmJS9_EEE10hipError_tPvRmT3_T4_T5_T6_T7_T9_mT8_P12ihipStream_tbDpT10_ENKUlT_T0_E_clISt17integral_constantIbLb0EES1A_EEDaS15_S16_EUlS15_E_NS1_11comp_targetILNS1_3genE10ELNS1_11target_archE1200ELNS1_3gpuE4ELNS1_3repE0EEENS1_30default_config_static_selectorELNS0_4arch9wavefront6targetE1EEEvT1_
; %bb.0:
	.section	.rodata,"a",@progbits
	.p2align	6, 0x0
	.amdhsa_kernel _ZN7rocprim17ROCPRIM_400000_NS6detail17trampoline_kernelINS0_14default_configENS1_25partition_config_selectorILNS1_17partition_subalgoE9EllbEEZZNS1_14partition_implILS5_9ELb0ES3_jPlS8_PNS0_10empty_typeENS0_5tupleIJS8_S9_EEENSB_IJS8_SA_EEENS0_18inequality_wrapperIZN2at6native12_GLOBAL__N_124unique_dim_cuda_templateIjEESt5tupleIJNSF_6TensorESK_SK_EERKSK_lbbbEUlllE0_EEPmJS9_EEE10hipError_tPvRmT3_T4_T5_T6_T7_T9_mT8_P12ihipStream_tbDpT10_ENKUlT_T0_E_clISt17integral_constantIbLb0EES1A_EEDaS15_S16_EUlS15_E_NS1_11comp_targetILNS1_3genE10ELNS1_11target_archE1200ELNS1_3gpuE4ELNS1_3repE0EEENS1_30default_config_static_selectorELNS0_4arch9wavefront6targetE1EEEvT1_
		.amdhsa_group_segment_fixed_size 0
		.amdhsa_private_segment_fixed_size 0
		.amdhsa_kernarg_size 120
		.amdhsa_user_sgpr_count 2
		.amdhsa_user_sgpr_dispatch_ptr 0
		.amdhsa_user_sgpr_queue_ptr 0
		.amdhsa_user_sgpr_kernarg_segment_ptr 1
		.amdhsa_user_sgpr_dispatch_id 0
		.amdhsa_user_sgpr_kernarg_preload_length 0
		.amdhsa_user_sgpr_kernarg_preload_offset 0
		.amdhsa_user_sgpr_private_segment_size 0
		.amdhsa_uses_dynamic_stack 0
		.amdhsa_enable_private_segment 0
		.amdhsa_system_sgpr_workgroup_id_x 1
		.amdhsa_system_sgpr_workgroup_id_y 0
		.amdhsa_system_sgpr_workgroup_id_z 0
		.amdhsa_system_sgpr_workgroup_info 0
		.amdhsa_system_vgpr_workitem_id 0
		.amdhsa_next_free_vgpr 1
		.amdhsa_next_free_sgpr 0
		.amdhsa_accum_offset 4
		.amdhsa_reserve_vcc 0
		.amdhsa_float_round_mode_32 0
		.amdhsa_float_round_mode_16_64 0
		.amdhsa_float_denorm_mode_32 3
		.amdhsa_float_denorm_mode_16_64 3
		.amdhsa_dx10_clamp 1
		.amdhsa_ieee_mode 1
		.amdhsa_fp16_overflow 0
		.amdhsa_tg_split 0
		.amdhsa_exception_fp_ieee_invalid_op 0
		.amdhsa_exception_fp_denorm_src 0
		.amdhsa_exception_fp_ieee_div_zero 0
		.amdhsa_exception_fp_ieee_overflow 0
		.amdhsa_exception_fp_ieee_underflow 0
		.amdhsa_exception_fp_ieee_inexact 0
		.amdhsa_exception_int_div_zero 0
	.end_amdhsa_kernel
	.section	.text._ZN7rocprim17ROCPRIM_400000_NS6detail17trampoline_kernelINS0_14default_configENS1_25partition_config_selectorILNS1_17partition_subalgoE9EllbEEZZNS1_14partition_implILS5_9ELb0ES3_jPlS8_PNS0_10empty_typeENS0_5tupleIJS8_S9_EEENSB_IJS8_SA_EEENS0_18inequality_wrapperIZN2at6native12_GLOBAL__N_124unique_dim_cuda_templateIjEESt5tupleIJNSF_6TensorESK_SK_EERKSK_lbbbEUlllE0_EEPmJS9_EEE10hipError_tPvRmT3_T4_T5_T6_T7_T9_mT8_P12ihipStream_tbDpT10_ENKUlT_T0_E_clISt17integral_constantIbLb0EES1A_EEDaS15_S16_EUlS15_E_NS1_11comp_targetILNS1_3genE10ELNS1_11target_archE1200ELNS1_3gpuE4ELNS1_3repE0EEENS1_30default_config_static_selectorELNS0_4arch9wavefront6targetE1EEEvT1_,"axG",@progbits,_ZN7rocprim17ROCPRIM_400000_NS6detail17trampoline_kernelINS0_14default_configENS1_25partition_config_selectorILNS1_17partition_subalgoE9EllbEEZZNS1_14partition_implILS5_9ELb0ES3_jPlS8_PNS0_10empty_typeENS0_5tupleIJS8_S9_EEENSB_IJS8_SA_EEENS0_18inequality_wrapperIZN2at6native12_GLOBAL__N_124unique_dim_cuda_templateIjEESt5tupleIJNSF_6TensorESK_SK_EERKSK_lbbbEUlllE0_EEPmJS9_EEE10hipError_tPvRmT3_T4_T5_T6_T7_T9_mT8_P12ihipStream_tbDpT10_ENKUlT_T0_E_clISt17integral_constantIbLb0EES1A_EEDaS15_S16_EUlS15_E_NS1_11comp_targetILNS1_3genE10ELNS1_11target_archE1200ELNS1_3gpuE4ELNS1_3repE0EEENS1_30default_config_static_selectorELNS0_4arch9wavefront6targetE1EEEvT1_,comdat
.Lfunc_end1588:
	.size	_ZN7rocprim17ROCPRIM_400000_NS6detail17trampoline_kernelINS0_14default_configENS1_25partition_config_selectorILNS1_17partition_subalgoE9EllbEEZZNS1_14partition_implILS5_9ELb0ES3_jPlS8_PNS0_10empty_typeENS0_5tupleIJS8_S9_EEENSB_IJS8_SA_EEENS0_18inequality_wrapperIZN2at6native12_GLOBAL__N_124unique_dim_cuda_templateIjEESt5tupleIJNSF_6TensorESK_SK_EERKSK_lbbbEUlllE0_EEPmJS9_EEE10hipError_tPvRmT3_T4_T5_T6_T7_T9_mT8_P12ihipStream_tbDpT10_ENKUlT_T0_E_clISt17integral_constantIbLb0EES1A_EEDaS15_S16_EUlS15_E_NS1_11comp_targetILNS1_3genE10ELNS1_11target_archE1200ELNS1_3gpuE4ELNS1_3repE0EEENS1_30default_config_static_selectorELNS0_4arch9wavefront6targetE1EEEvT1_, .Lfunc_end1588-_ZN7rocprim17ROCPRIM_400000_NS6detail17trampoline_kernelINS0_14default_configENS1_25partition_config_selectorILNS1_17partition_subalgoE9EllbEEZZNS1_14partition_implILS5_9ELb0ES3_jPlS8_PNS0_10empty_typeENS0_5tupleIJS8_S9_EEENSB_IJS8_SA_EEENS0_18inequality_wrapperIZN2at6native12_GLOBAL__N_124unique_dim_cuda_templateIjEESt5tupleIJNSF_6TensorESK_SK_EERKSK_lbbbEUlllE0_EEPmJS9_EEE10hipError_tPvRmT3_T4_T5_T6_T7_T9_mT8_P12ihipStream_tbDpT10_ENKUlT_T0_E_clISt17integral_constantIbLb0EES1A_EEDaS15_S16_EUlS15_E_NS1_11comp_targetILNS1_3genE10ELNS1_11target_archE1200ELNS1_3gpuE4ELNS1_3repE0EEENS1_30default_config_static_selectorELNS0_4arch9wavefront6targetE1EEEvT1_
                                        ; -- End function
	.section	.AMDGPU.csdata,"",@progbits
; Kernel info:
; codeLenInByte = 0
; NumSgprs: 6
; NumVgprs: 0
; NumAgprs: 0
; TotalNumVgprs: 0
; ScratchSize: 0
; MemoryBound: 0
; FloatMode: 240
; IeeeMode: 1
; LDSByteSize: 0 bytes/workgroup (compile time only)
; SGPRBlocks: 0
; VGPRBlocks: 0
; NumSGPRsForWavesPerEU: 6
; NumVGPRsForWavesPerEU: 1
; AccumOffset: 4
; Occupancy: 8
; WaveLimiterHint : 0
; COMPUTE_PGM_RSRC2:SCRATCH_EN: 0
; COMPUTE_PGM_RSRC2:USER_SGPR: 2
; COMPUTE_PGM_RSRC2:TRAP_HANDLER: 0
; COMPUTE_PGM_RSRC2:TGID_X_EN: 1
; COMPUTE_PGM_RSRC2:TGID_Y_EN: 0
; COMPUTE_PGM_RSRC2:TGID_Z_EN: 0
; COMPUTE_PGM_RSRC2:TIDIG_COMP_CNT: 0
; COMPUTE_PGM_RSRC3_GFX90A:ACCUM_OFFSET: 0
; COMPUTE_PGM_RSRC3_GFX90A:TG_SPLIT: 0
	.section	.text._ZN7rocprim17ROCPRIM_400000_NS6detail17trampoline_kernelINS0_14default_configENS1_25partition_config_selectorILNS1_17partition_subalgoE9EllbEEZZNS1_14partition_implILS5_9ELb0ES3_jPlS8_PNS0_10empty_typeENS0_5tupleIJS8_S9_EEENSB_IJS8_SA_EEENS0_18inequality_wrapperIZN2at6native12_GLOBAL__N_124unique_dim_cuda_templateIjEESt5tupleIJNSF_6TensorESK_SK_EERKSK_lbbbEUlllE0_EEPmJS9_EEE10hipError_tPvRmT3_T4_T5_T6_T7_T9_mT8_P12ihipStream_tbDpT10_ENKUlT_T0_E_clISt17integral_constantIbLb0EES1A_EEDaS15_S16_EUlS15_E_NS1_11comp_targetILNS1_3genE9ELNS1_11target_archE1100ELNS1_3gpuE3ELNS1_3repE0EEENS1_30default_config_static_selectorELNS0_4arch9wavefront6targetE1EEEvT1_,"axG",@progbits,_ZN7rocprim17ROCPRIM_400000_NS6detail17trampoline_kernelINS0_14default_configENS1_25partition_config_selectorILNS1_17partition_subalgoE9EllbEEZZNS1_14partition_implILS5_9ELb0ES3_jPlS8_PNS0_10empty_typeENS0_5tupleIJS8_S9_EEENSB_IJS8_SA_EEENS0_18inequality_wrapperIZN2at6native12_GLOBAL__N_124unique_dim_cuda_templateIjEESt5tupleIJNSF_6TensorESK_SK_EERKSK_lbbbEUlllE0_EEPmJS9_EEE10hipError_tPvRmT3_T4_T5_T6_T7_T9_mT8_P12ihipStream_tbDpT10_ENKUlT_T0_E_clISt17integral_constantIbLb0EES1A_EEDaS15_S16_EUlS15_E_NS1_11comp_targetILNS1_3genE9ELNS1_11target_archE1100ELNS1_3gpuE3ELNS1_3repE0EEENS1_30default_config_static_selectorELNS0_4arch9wavefront6targetE1EEEvT1_,comdat
	.globl	_ZN7rocprim17ROCPRIM_400000_NS6detail17trampoline_kernelINS0_14default_configENS1_25partition_config_selectorILNS1_17partition_subalgoE9EllbEEZZNS1_14partition_implILS5_9ELb0ES3_jPlS8_PNS0_10empty_typeENS0_5tupleIJS8_S9_EEENSB_IJS8_SA_EEENS0_18inequality_wrapperIZN2at6native12_GLOBAL__N_124unique_dim_cuda_templateIjEESt5tupleIJNSF_6TensorESK_SK_EERKSK_lbbbEUlllE0_EEPmJS9_EEE10hipError_tPvRmT3_T4_T5_T6_T7_T9_mT8_P12ihipStream_tbDpT10_ENKUlT_T0_E_clISt17integral_constantIbLb0EES1A_EEDaS15_S16_EUlS15_E_NS1_11comp_targetILNS1_3genE9ELNS1_11target_archE1100ELNS1_3gpuE3ELNS1_3repE0EEENS1_30default_config_static_selectorELNS0_4arch9wavefront6targetE1EEEvT1_ ; -- Begin function _ZN7rocprim17ROCPRIM_400000_NS6detail17trampoline_kernelINS0_14default_configENS1_25partition_config_selectorILNS1_17partition_subalgoE9EllbEEZZNS1_14partition_implILS5_9ELb0ES3_jPlS8_PNS0_10empty_typeENS0_5tupleIJS8_S9_EEENSB_IJS8_SA_EEENS0_18inequality_wrapperIZN2at6native12_GLOBAL__N_124unique_dim_cuda_templateIjEESt5tupleIJNSF_6TensorESK_SK_EERKSK_lbbbEUlllE0_EEPmJS9_EEE10hipError_tPvRmT3_T4_T5_T6_T7_T9_mT8_P12ihipStream_tbDpT10_ENKUlT_T0_E_clISt17integral_constantIbLb0EES1A_EEDaS15_S16_EUlS15_E_NS1_11comp_targetILNS1_3genE9ELNS1_11target_archE1100ELNS1_3gpuE3ELNS1_3repE0EEENS1_30default_config_static_selectorELNS0_4arch9wavefront6targetE1EEEvT1_
	.p2align	8
	.type	_ZN7rocprim17ROCPRIM_400000_NS6detail17trampoline_kernelINS0_14default_configENS1_25partition_config_selectorILNS1_17partition_subalgoE9EllbEEZZNS1_14partition_implILS5_9ELb0ES3_jPlS8_PNS0_10empty_typeENS0_5tupleIJS8_S9_EEENSB_IJS8_SA_EEENS0_18inequality_wrapperIZN2at6native12_GLOBAL__N_124unique_dim_cuda_templateIjEESt5tupleIJNSF_6TensorESK_SK_EERKSK_lbbbEUlllE0_EEPmJS9_EEE10hipError_tPvRmT3_T4_T5_T6_T7_T9_mT8_P12ihipStream_tbDpT10_ENKUlT_T0_E_clISt17integral_constantIbLb0EES1A_EEDaS15_S16_EUlS15_E_NS1_11comp_targetILNS1_3genE9ELNS1_11target_archE1100ELNS1_3gpuE3ELNS1_3repE0EEENS1_30default_config_static_selectorELNS0_4arch9wavefront6targetE1EEEvT1_,@function
_ZN7rocprim17ROCPRIM_400000_NS6detail17trampoline_kernelINS0_14default_configENS1_25partition_config_selectorILNS1_17partition_subalgoE9EllbEEZZNS1_14partition_implILS5_9ELb0ES3_jPlS8_PNS0_10empty_typeENS0_5tupleIJS8_S9_EEENSB_IJS8_SA_EEENS0_18inequality_wrapperIZN2at6native12_GLOBAL__N_124unique_dim_cuda_templateIjEESt5tupleIJNSF_6TensorESK_SK_EERKSK_lbbbEUlllE0_EEPmJS9_EEE10hipError_tPvRmT3_T4_T5_T6_T7_T9_mT8_P12ihipStream_tbDpT10_ENKUlT_T0_E_clISt17integral_constantIbLb0EES1A_EEDaS15_S16_EUlS15_E_NS1_11comp_targetILNS1_3genE9ELNS1_11target_archE1100ELNS1_3gpuE3ELNS1_3repE0EEENS1_30default_config_static_selectorELNS0_4arch9wavefront6targetE1EEEvT1_: ; @_ZN7rocprim17ROCPRIM_400000_NS6detail17trampoline_kernelINS0_14default_configENS1_25partition_config_selectorILNS1_17partition_subalgoE9EllbEEZZNS1_14partition_implILS5_9ELb0ES3_jPlS8_PNS0_10empty_typeENS0_5tupleIJS8_S9_EEENSB_IJS8_SA_EEENS0_18inequality_wrapperIZN2at6native12_GLOBAL__N_124unique_dim_cuda_templateIjEESt5tupleIJNSF_6TensorESK_SK_EERKSK_lbbbEUlllE0_EEPmJS9_EEE10hipError_tPvRmT3_T4_T5_T6_T7_T9_mT8_P12ihipStream_tbDpT10_ENKUlT_T0_E_clISt17integral_constantIbLb0EES1A_EEDaS15_S16_EUlS15_E_NS1_11comp_targetILNS1_3genE9ELNS1_11target_archE1100ELNS1_3gpuE3ELNS1_3repE0EEENS1_30default_config_static_selectorELNS0_4arch9wavefront6targetE1EEEvT1_
; %bb.0:
	.section	.rodata,"a",@progbits
	.p2align	6, 0x0
	.amdhsa_kernel _ZN7rocprim17ROCPRIM_400000_NS6detail17trampoline_kernelINS0_14default_configENS1_25partition_config_selectorILNS1_17partition_subalgoE9EllbEEZZNS1_14partition_implILS5_9ELb0ES3_jPlS8_PNS0_10empty_typeENS0_5tupleIJS8_S9_EEENSB_IJS8_SA_EEENS0_18inequality_wrapperIZN2at6native12_GLOBAL__N_124unique_dim_cuda_templateIjEESt5tupleIJNSF_6TensorESK_SK_EERKSK_lbbbEUlllE0_EEPmJS9_EEE10hipError_tPvRmT3_T4_T5_T6_T7_T9_mT8_P12ihipStream_tbDpT10_ENKUlT_T0_E_clISt17integral_constantIbLb0EES1A_EEDaS15_S16_EUlS15_E_NS1_11comp_targetILNS1_3genE9ELNS1_11target_archE1100ELNS1_3gpuE3ELNS1_3repE0EEENS1_30default_config_static_selectorELNS0_4arch9wavefront6targetE1EEEvT1_
		.amdhsa_group_segment_fixed_size 0
		.amdhsa_private_segment_fixed_size 0
		.amdhsa_kernarg_size 120
		.amdhsa_user_sgpr_count 2
		.amdhsa_user_sgpr_dispatch_ptr 0
		.amdhsa_user_sgpr_queue_ptr 0
		.amdhsa_user_sgpr_kernarg_segment_ptr 1
		.amdhsa_user_sgpr_dispatch_id 0
		.amdhsa_user_sgpr_kernarg_preload_length 0
		.amdhsa_user_sgpr_kernarg_preload_offset 0
		.amdhsa_user_sgpr_private_segment_size 0
		.amdhsa_uses_dynamic_stack 0
		.amdhsa_enable_private_segment 0
		.amdhsa_system_sgpr_workgroup_id_x 1
		.amdhsa_system_sgpr_workgroup_id_y 0
		.amdhsa_system_sgpr_workgroup_id_z 0
		.amdhsa_system_sgpr_workgroup_info 0
		.amdhsa_system_vgpr_workitem_id 0
		.amdhsa_next_free_vgpr 1
		.amdhsa_next_free_sgpr 0
		.amdhsa_accum_offset 4
		.amdhsa_reserve_vcc 0
		.amdhsa_float_round_mode_32 0
		.amdhsa_float_round_mode_16_64 0
		.amdhsa_float_denorm_mode_32 3
		.amdhsa_float_denorm_mode_16_64 3
		.amdhsa_dx10_clamp 1
		.amdhsa_ieee_mode 1
		.amdhsa_fp16_overflow 0
		.amdhsa_tg_split 0
		.amdhsa_exception_fp_ieee_invalid_op 0
		.amdhsa_exception_fp_denorm_src 0
		.amdhsa_exception_fp_ieee_div_zero 0
		.amdhsa_exception_fp_ieee_overflow 0
		.amdhsa_exception_fp_ieee_underflow 0
		.amdhsa_exception_fp_ieee_inexact 0
		.amdhsa_exception_int_div_zero 0
	.end_amdhsa_kernel
	.section	.text._ZN7rocprim17ROCPRIM_400000_NS6detail17trampoline_kernelINS0_14default_configENS1_25partition_config_selectorILNS1_17partition_subalgoE9EllbEEZZNS1_14partition_implILS5_9ELb0ES3_jPlS8_PNS0_10empty_typeENS0_5tupleIJS8_S9_EEENSB_IJS8_SA_EEENS0_18inequality_wrapperIZN2at6native12_GLOBAL__N_124unique_dim_cuda_templateIjEESt5tupleIJNSF_6TensorESK_SK_EERKSK_lbbbEUlllE0_EEPmJS9_EEE10hipError_tPvRmT3_T4_T5_T6_T7_T9_mT8_P12ihipStream_tbDpT10_ENKUlT_T0_E_clISt17integral_constantIbLb0EES1A_EEDaS15_S16_EUlS15_E_NS1_11comp_targetILNS1_3genE9ELNS1_11target_archE1100ELNS1_3gpuE3ELNS1_3repE0EEENS1_30default_config_static_selectorELNS0_4arch9wavefront6targetE1EEEvT1_,"axG",@progbits,_ZN7rocprim17ROCPRIM_400000_NS6detail17trampoline_kernelINS0_14default_configENS1_25partition_config_selectorILNS1_17partition_subalgoE9EllbEEZZNS1_14partition_implILS5_9ELb0ES3_jPlS8_PNS0_10empty_typeENS0_5tupleIJS8_S9_EEENSB_IJS8_SA_EEENS0_18inequality_wrapperIZN2at6native12_GLOBAL__N_124unique_dim_cuda_templateIjEESt5tupleIJNSF_6TensorESK_SK_EERKSK_lbbbEUlllE0_EEPmJS9_EEE10hipError_tPvRmT3_T4_T5_T6_T7_T9_mT8_P12ihipStream_tbDpT10_ENKUlT_T0_E_clISt17integral_constantIbLb0EES1A_EEDaS15_S16_EUlS15_E_NS1_11comp_targetILNS1_3genE9ELNS1_11target_archE1100ELNS1_3gpuE3ELNS1_3repE0EEENS1_30default_config_static_selectorELNS0_4arch9wavefront6targetE1EEEvT1_,comdat
.Lfunc_end1589:
	.size	_ZN7rocprim17ROCPRIM_400000_NS6detail17trampoline_kernelINS0_14default_configENS1_25partition_config_selectorILNS1_17partition_subalgoE9EllbEEZZNS1_14partition_implILS5_9ELb0ES3_jPlS8_PNS0_10empty_typeENS0_5tupleIJS8_S9_EEENSB_IJS8_SA_EEENS0_18inequality_wrapperIZN2at6native12_GLOBAL__N_124unique_dim_cuda_templateIjEESt5tupleIJNSF_6TensorESK_SK_EERKSK_lbbbEUlllE0_EEPmJS9_EEE10hipError_tPvRmT3_T4_T5_T6_T7_T9_mT8_P12ihipStream_tbDpT10_ENKUlT_T0_E_clISt17integral_constantIbLb0EES1A_EEDaS15_S16_EUlS15_E_NS1_11comp_targetILNS1_3genE9ELNS1_11target_archE1100ELNS1_3gpuE3ELNS1_3repE0EEENS1_30default_config_static_selectorELNS0_4arch9wavefront6targetE1EEEvT1_, .Lfunc_end1589-_ZN7rocprim17ROCPRIM_400000_NS6detail17trampoline_kernelINS0_14default_configENS1_25partition_config_selectorILNS1_17partition_subalgoE9EllbEEZZNS1_14partition_implILS5_9ELb0ES3_jPlS8_PNS0_10empty_typeENS0_5tupleIJS8_S9_EEENSB_IJS8_SA_EEENS0_18inequality_wrapperIZN2at6native12_GLOBAL__N_124unique_dim_cuda_templateIjEESt5tupleIJNSF_6TensorESK_SK_EERKSK_lbbbEUlllE0_EEPmJS9_EEE10hipError_tPvRmT3_T4_T5_T6_T7_T9_mT8_P12ihipStream_tbDpT10_ENKUlT_T0_E_clISt17integral_constantIbLb0EES1A_EEDaS15_S16_EUlS15_E_NS1_11comp_targetILNS1_3genE9ELNS1_11target_archE1100ELNS1_3gpuE3ELNS1_3repE0EEENS1_30default_config_static_selectorELNS0_4arch9wavefront6targetE1EEEvT1_
                                        ; -- End function
	.section	.AMDGPU.csdata,"",@progbits
; Kernel info:
; codeLenInByte = 0
; NumSgprs: 6
; NumVgprs: 0
; NumAgprs: 0
; TotalNumVgprs: 0
; ScratchSize: 0
; MemoryBound: 0
; FloatMode: 240
; IeeeMode: 1
; LDSByteSize: 0 bytes/workgroup (compile time only)
; SGPRBlocks: 0
; VGPRBlocks: 0
; NumSGPRsForWavesPerEU: 6
; NumVGPRsForWavesPerEU: 1
; AccumOffset: 4
; Occupancy: 8
; WaveLimiterHint : 0
; COMPUTE_PGM_RSRC2:SCRATCH_EN: 0
; COMPUTE_PGM_RSRC2:USER_SGPR: 2
; COMPUTE_PGM_RSRC2:TRAP_HANDLER: 0
; COMPUTE_PGM_RSRC2:TGID_X_EN: 1
; COMPUTE_PGM_RSRC2:TGID_Y_EN: 0
; COMPUTE_PGM_RSRC2:TGID_Z_EN: 0
; COMPUTE_PGM_RSRC2:TIDIG_COMP_CNT: 0
; COMPUTE_PGM_RSRC3_GFX90A:ACCUM_OFFSET: 0
; COMPUTE_PGM_RSRC3_GFX90A:TG_SPLIT: 0
	.section	.text._ZN7rocprim17ROCPRIM_400000_NS6detail17trampoline_kernelINS0_14default_configENS1_25partition_config_selectorILNS1_17partition_subalgoE9EllbEEZZNS1_14partition_implILS5_9ELb0ES3_jPlS8_PNS0_10empty_typeENS0_5tupleIJS8_S9_EEENSB_IJS8_SA_EEENS0_18inequality_wrapperIZN2at6native12_GLOBAL__N_124unique_dim_cuda_templateIjEESt5tupleIJNSF_6TensorESK_SK_EERKSK_lbbbEUlllE0_EEPmJS9_EEE10hipError_tPvRmT3_T4_T5_T6_T7_T9_mT8_P12ihipStream_tbDpT10_ENKUlT_T0_E_clISt17integral_constantIbLb0EES1A_EEDaS15_S16_EUlS15_E_NS1_11comp_targetILNS1_3genE8ELNS1_11target_archE1030ELNS1_3gpuE2ELNS1_3repE0EEENS1_30default_config_static_selectorELNS0_4arch9wavefront6targetE1EEEvT1_,"axG",@progbits,_ZN7rocprim17ROCPRIM_400000_NS6detail17trampoline_kernelINS0_14default_configENS1_25partition_config_selectorILNS1_17partition_subalgoE9EllbEEZZNS1_14partition_implILS5_9ELb0ES3_jPlS8_PNS0_10empty_typeENS0_5tupleIJS8_S9_EEENSB_IJS8_SA_EEENS0_18inequality_wrapperIZN2at6native12_GLOBAL__N_124unique_dim_cuda_templateIjEESt5tupleIJNSF_6TensorESK_SK_EERKSK_lbbbEUlllE0_EEPmJS9_EEE10hipError_tPvRmT3_T4_T5_T6_T7_T9_mT8_P12ihipStream_tbDpT10_ENKUlT_T0_E_clISt17integral_constantIbLb0EES1A_EEDaS15_S16_EUlS15_E_NS1_11comp_targetILNS1_3genE8ELNS1_11target_archE1030ELNS1_3gpuE2ELNS1_3repE0EEENS1_30default_config_static_selectorELNS0_4arch9wavefront6targetE1EEEvT1_,comdat
	.globl	_ZN7rocprim17ROCPRIM_400000_NS6detail17trampoline_kernelINS0_14default_configENS1_25partition_config_selectorILNS1_17partition_subalgoE9EllbEEZZNS1_14partition_implILS5_9ELb0ES3_jPlS8_PNS0_10empty_typeENS0_5tupleIJS8_S9_EEENSB_IJS8_SA_EEENS0_18inequality_wrapperIZN2at6native12_GLOBAL__N_124unique_dim_cuda_templateIjEESt5tupleIJNSF_6TensorESK_SK_EERKSK_lbbbEUlllE0_EEPmJS9_EEE10hipError_tPvRmT3_T4_T5_T6_T7_T9_mT8_P12ihipStream_tbDpT10_ENKUlT_T0_E_clISt17integral_constantIbLb0EES1A_EEDaS15_S16_EUlS15_E_NS1_11comp_targetILNS1_3genE8ELNS1_11target_archE1030ELNS1_3gpuE2ELNS1_3repE0EEENS1_30default_config_static_selectorELNS0_4arch9wavefront6targetE1EEEvT1_ ; -- Begin function _ZN7rocprim17ROCPRIM_400000_NS6detail17trampoline_kernelINS0_14default_configENS1_25partition_config_selectorILNS1_17partition_subalgoE9EllbEEZZNS1_14partition_implILS5_9ELb0ES3_jPlS8_PNS0_10empty_typeENS0_5tupleIJS8_S9_EEENSB_IJS8_SA_EEENS0_18inequality_wrapperIZN2at6native12_GLOBAL__N_124unique_dim_cuda_templateIjEESt5tupleIJNSF_6TensorESK_SK_EERKSK_lbbbEUlllE0_EEPmJS9_EEE10hipError_tPvRmT3_T4_T5_T6_T7_T9_mT8_P12ihipStream_tbDpT10_ENKUlT_T0_E_clISt17integral_constantIbLb0EES1A_EEDaS15_S16_EUlS15_E_NS1_11comp_targetILNS1_3genE8ELNS1_11target_archE1030ELNS1_3gpuE2ELNS1_3repE0EEENS1_30default_config_static_selectorELNS0_4arch9wavefront6targetE1EEEvT1_
	.p2align	8
	.type	_ZN7rocprim17ROCPRIM_400000_NS6detail17trampoline_kernelINS0_14default_configENS1_25partition_config_selectorILNS1_17partition_subalgoE9EllbEEZZNS1_14partition_implILS5_9ELb0ES3_jPlS8_PNS0_10empty_typeENS0_5tupleIJS8_S9_EEENSB_IJS8_SA_EEENS0_18inequality_wrapperIZN2at6native12_GLOBAL__N_124unique_dim_cuda_templateIjEESt5tupleIJNSF_6TensorESK_SK_EERKSK_lbbbEUlllE0_EEPmJS9_EEE10hipError_tPvRmT3_T4_T5_T6_T7_T9_mT8_P12ihipStream_tbDpT10_ENKUlT_T0_E_clISt17integral_constantIbLb0EES1A_EEDaS15_S16_EUlS15_E_NS1_11comp_targetILNS1_3genE8ELNS1_11target_archE1030ELNS1_3gpuE2ELNS1_3repE0EEENS1_30default_config_static_selectorELNS0_4arch9wavefront6targetE1EEEvT1_,@function
_ZN7rocprim17ROCPRIM_400000_NS6detail17trampoline_kernelINS0_14default_configENS1_25partition_config_selectorILNS1_17partition_subalgoE9EllbEEZZNS1_14partition_implILS5_9ELb0ES3_jPlS8_PNS0_10empty_typeENS0_5tupleIJS8_S9_EEENSB_IJS8_SA_EEENS0_18inequality_wrapperIZN2at6native12_GLOBAL__N_124unique_dim_cuda_templateIjEESt5tupleIJNSF_6TensorESK_SK_EERKSK_lbbbEUlllE0_EEPmJS9_EEE10hipError_tPvRmT3_T4_T5_T6_T7_T9_mT8_P12ihipStream_tbDpT10_ENKUlT_T0_E_clISt17integral_constantIbLb0EES1A_EEDaS15_S16_EUlS15_E_NS1_11comp_targetILNS1_3genE8ELNS1_11target_archE1030ELNS1_3gpuE2ELNS1_3repE0EEENS1_30default_config_static_selectorELNS0_4arch9wavefront6targetE1EEEvT1_: ; @_ZN7rocprim17ROCPRIM_400000_NS6detail17trampoline_kernelINS0_14default_configENS1_25partition_config_selectorILNS1_17partition_subalgoE9EllbEEZZNS1_14partition_implILS5_9ELb0ES3_jPlS8_PNS0_10empty_typeENS0_5tupleIJS8_S9_EEENSB_IJS8_SA_EEENS0_18inequality_wrapperIZN2at6native12_GLOBAL__N_124unique_dim_cuda_templateIjEESt5tupleIJNSF_6TensorESK_SK_EERKSK_lbbbEUlllE0_EEPmJS9_EEE10hipError_tPvRmT3_T4_T5_T6_T7_T9_mT8_P12ihipStream_tbDpT10_ENKUlT_T0_E_clISt17integral_constantIbLb0EES1A_EEDaS15_S16_EUlS15_E_NS1_11comp_targetILNS1_3genE8ELNS1_11target_archE1030ELNS1_3gpuE2ELNS1_3repE0EEENS1_30default_config_static_selectorELNS0_4arch9wavefront6targetE1EEEvT1_
; %bb.0:
	.section	.rodata,"a",@progbits
	.p2align	6, 0x0
	.amdhsa_kernel _ZN7rocprim17ROCPRIM_400000_NS6detail17trampoline_kernelINS0_14default_configENS1_25partition_config_selectorILNS1_17partition_subalgoE9EllbEEZZNS1_14partition_implILS5_9ELb0ES3_jPlS8_PNS0_10empty_typeENS0_5tupleIJS8_S9_EEENSB_IJS8_SA_EEENS0_18inequality_wrapperIZN2at6native12_GLOBAL__N_124unique_dim_cuda_templateIjEESt5tupleIJNSF_6TensorESK_SK_EERKSK_lbbbEUlllE0_EEPmJS9_EEE10hipError_tPvRmT3_T4_T5_T6_T7_T9_mT8_P12ihipStream_tbDpT10_ENKUlT_T0_E_clISt17integral_constantIbLb0EES1A_EEDaS15_S16_EUlS15_E_NS1_11comp_targetILNS1_3genE8ELNS1_11target_archE1030ELNS1_3gpuE2ELNS1_3repE0EEENS1_30default_config_static_selectorELNS0_4arch9wavefront6targetE1EEEvT1_
		.amdhsa_group_segment_fixed_size 0
		.amdhsa_private_segment_fixed_size 0
		.amdhsa_kernarg_size 120
		.amdhsa_user_sgpr_count 2
		.amdhsa_user_sgpr_dispatch_ptr 0
		.amdhsa_user_sgpr_queue_ptr 0
		.amdhsa_user_sgpr_kernarg_segment_ptr 1
		.amdhsa_user_sgpr_dispatch_id 0
		.amdhsa_user_sgpr_kernarg_preload_length 0
		.amdhsa_user_sgpr_kernarg_preload_offset 0
		.amdhsa_user_sgpr_private_segment_size 0
		.amdhsa_uses_dynamic_stack 0
		.amdhsa_enable_private_segment 0
		.amdhsa_system_sgpr_workgroup_id_x 1
		.amdhsa_system_sgpr_workgroup_id_y 0
		.amdhsa_system_sgpr_workgroup_id_z 0
		.amdhsa_system_sgpr_workgroup_info 0
		.amdhsa_system_vgpr_workitem_id 0
		.amdhsa_next_free_vgpr 1
		.amdhsa_next_free_sgpr 0
		.amdhsa_accum_offset 4
		.amdhsa_reserve_vcc 0
		.amdhsa_float_round_mode_32 0
		.amdhsa_float_round_mode_16_64 0
		.amdhsa_float_denorm_mode_32 3
		.amdhsa_float_denorm_mode_16_64 3
		.amdhsa_dx10_clamp 1
		.amdhsa_ieee_mode 1
		.amdhsa_fp16_overflow 0
		.amdhsa_tg_split 0
		.amdhsa_exception_fp_ieee_invalid_op 0
		.amdhsa_exception_fp_denorm_src 0
		.amdhsa_exception_fp_ieee_div_zero 0
		.amdhsa_exception_fp_ieee_overflow 0
		.amdhsa_exception_fp_ieee_underflow 0
		.amdhsa_exception_fp_ieee_inexact 0
		.amdhsa_exception_int_div_zero 0
	.end_amdhsa_kernel
	.section	.text._ZN7rocprim17ROCPRIM_400000_NS6detail17trampoline_kernelINS0_14default_configENS1_25partition_config_selectorILNS1_17partition_subalgoE9EllbEEZZNS1_14partition_implILS5_9ELb0ES3_jPlS8_PNS0_10empty_typeENS0_5tupleIJS8_S9_EEENSB_IJS8_SA_EEENS0_18inequality_wrapperIZN2at6native12_GLOBAL__N_124unique_dim_cuda_templateIjEESt5tupleIJNSF_6TensorESK_SK_EERKSK_lbbbEUlllE0_EEPmJS9_EEE10hipError_tPvRmT3_T4_T5_T6_T7_T9_mT8_P12ihipStream_tbDpT10_ENKUlT_T0_E_clISt17integral_constantIbLb0EES1A_EEDaS15_S16_EUlS15_E_NS1_11comp_targetILNS1_3genE8ELNS1_11target_archE1030ELNS1_3gpuE2ELNS1_3repE0EEENS1_30default_config_static_selectorELNS0_4arch9wavefront6targetE1EEEvT1_,"axG",@progbits,_ZN7rocprim17ROCPRIM_400000_NS6detail17trampoline_kernelINS0_14default_configENS1_25partition_config_selectorILNS1_17partition_subalgoE9EllbEEZZNS1_14partition_implILS5_9ELb0ES3_jPlS8_PNS0_10empty_typeENS0_5tupleIJS8_S9_EEENSB_IJS8_SA_EEENS0_18inequality_wrapperIZN2at6native12_GLOBAL__N_124unique_dim_cuda_templateIjEESt5tupleIJNSF_6TensorESK_SK_EERKSK_lbbbEUlllE0_EEPmJS9_EEE10hipError_tPvRmT3_T4_T5_T6_T7_T9_mT8_P12ihipStream_tbDpT10_ENKUlT_T0_E_clISt17integral_constantIbLb0EES1A_EEDaS15_S16_EUlS15_E_NS1_11comp_targetILNS1_3genE8ELNS1_11target_archE1030ELNS1_3gpuE2ELNS1_3repE0EEENS1_30default_config_static_selectorELNS0_4arch9wavefront6targetE1EEEvT1_,comdat
.Lfunc_end1590:
	.size	_ZN7rocprim17ROCPRIM_400000_NS6detail17trampoline_kernelINS0_14default_configENS1_25partition_config_selectorILNS1_17partition_subalgoE9EllbEEZZNS1_14partition_implILS5_9ELb0ES3_jPlS8_PNS0_10empty_typeENS0_5tupleIJS8_S9_EEENSB_IJS8_SA_EEENS0_18inequality_wrapperIZN2at6native12_GLOBAL__N_124unique_dim_cuda_templateIjEESt5tupleIJNSF_6TensorESK_SK_EERKSK_lbbbEUlllE0_EEPmJS9_EEE10hipError_tPvRmT3_T4_T5_T6_T7_T9_mT8_P12ihipStream_tbDpT10_ENKUlT_T0_E_clISt17integral_constantIbLb0EES1A_EEDaS15_S16_EUlS15_E_NS1_11comp_targetILNS1_3genE8ELNS1_11target_archE1030ELNS1_3gpuE2ELNS1_3repE0EEENS1_30default_config_static_selectorELNS0_4arch9wavefront6targetE1EEEvT1_, .Lfunc_end1590-_ZN7rocprim17ROCPRIM_400000_NS6detail17trampoline_kernelINS0_14default_configENS1_25partition_config_selectorILNS1_17partition_subalgoE9EllbEEZZNS1_14partition_implILS5_9ELb0ES3_jPlS8_PNS0_10empty_typeENS0_5tupleIJS8_S9_EEENSB_IJS8_SA_EEENS0_18inequality_wrapperIZN2at6native12_GLOBAL__N_124unique_dim_cuda_templateIjEESt5tupleIJNSF_6TensorESK_SK_EERKSK_lbbbEUlllE0_EEPmJS9_EEE10hipError_tPvRmT3_T4_T5_T6_T7_T9_mT8_P12ihipStream_tbDpT10_ENKUlT_T0_E_clISt17integral_constantIbLb0EES1A_EEDaS15_S16_EUlS15_E_NS1_11comp_targetILNS1_3genE8ELNS1_11target_archE1030ELNS1_3gpuE2ELNS1_3repE0EEENS1_30default_config_static_selectorELNS0_4arch9wavefront6targetE1EEEvT1_
                                        ; -- End function
	.section	.AMDGPU.csdata,"",@progbits
; Kernel info:
; codeLenInByte = 0
; NumSgprs: 6
; NumVgprs: 0
; NumAgprs: 0
; TotalNumVgprs: 0
; ScratchSize: 0
; MemoryBound: 0
; FloatMode: 240
; IeeeMode: 1
; LDSByteSize: 0 bytes/workgroup (compile time only)
; SGPRBlocks: 0
; VGPRBlocks: 0
; NumSGPRsForWavesPerEU: 6
; NumVGPRsForWavesPerEU: 1
; AccumOffset: 4
; Occupancy: 8
; WaveLimiterHint : 0
; COMPUTE_PGM_RSRC2:SCRATCH_EN: 0
; COMPUTE_PGM_RSRC2:USER_SGPR: 2
; COMPUTE_PGM_RSRC2:TRAP_HANDLER: 0
; COMPUTE_PGM_RSRC2:TGID_X_EN: 1
; COMPUTE_PGM_RSRC2:TGID_Y_EN: 0
; COMPUTE_PGM_RSRC2:TGID_Z_EN: 0
; COMPUTE_PGM_RSRC2:TIDIG_COMP_CNT: 0
; COMPUTE_PGM_RSRC3_GFX90A:ACCUM_OFFSET: 0
; COMPUTE_PGM_RSRC3_GFX90A:TG_SPLIT: 0
	.section	.text._ZN7rocprim17ROCPRIM_400000_NS6detail17trampoline_kernelINS0_14default_configENS1_25partition_config_selectorILNS1_17partition_subalgoE9EllbEEZZNS1_14partition_implILS5_9ELb0ES3_jPlS8_PNS0_10empty_typeENS0_5tupleIJS8_S9_EEENSB_IJS8_SA_EEENS0_18inequality_wrapperIZN2at6native12_GLOBAL__N_124unique_dim_cuda_templateIjEESt5tupleIJNSF_6TensorESK_SK_EERKSK_lbbbEUlllE0_EEPmJS9_EEE10hipError_tPvRmT3_T4_T5_T6_T7_T9_mT8_P12ihipStream_tbDpT10_ENKUlT_T0_E_clISt17integral_constantIbLb1EES1A_EEDaS15_S16_EUlS15_E_NS1_11comp_targetILNS1_3genE0ELNS1_11target_archE4294967295ELNS1_3gpuE0ELNS1_3repE0EEENS1_30default_config_static_selectorELNS0_4arch9wavefront6targetE1EEEvT1_,"axG",@progbits,_ZN7rocprim17ROCPRIM_400000_NS6detail17trampoline_kernelINS0_14default_configENS1_25partition_config_selectorILNS1_17partition_subalgoE9EllbEEZZNS1_14partition_implILS5_9ELb0ES3_jPlS8_PNS0_10empty_typeENS0_5tupleIJS8_S9_EEENSB_IJS8_SA_EEENS0_18inequality_wrapperIZN2at6native12_GLOBAL__N_124unique_dim_cuda_templateIjEESt5tupleIJNSF_6TensorESK_SK_EERKSK_lbbbEUlllE0_EEPmJS9_EEE10hipError_tPvRmT3_T4_T5_T6_T7_T9_mT8_P12ihipStream_tbDpT10_ENKUlT_T0_E_clISt17integral_constantIbLb1EES1A_EEDaS15_S16_EUlS15_E_NS1_11comp_targetILNS1_3genE0ELNS1_11target_archE4294967295ELNS1_3gpuE0ELNS1_3repE0EEENS1_30default_config_static_selectorELNS0_4arch9wavefront6targetE1EEEvT1_,comdat
	.globl	_ZN7rocprim17ROCPRIM_400000_NS6detail17trampoline_kernelINS0_14default_configENS1_25partition_config_selectorILNS1_17partition_subalgoE9EllbEEZZNS1_14partition_implILS5_9ELb0ES3_jPlS8_PNS0_10empty_typeENS0_5tupleIJS8_S9_EEENSB_IJS8_SA_EEENS0_18inequality_wrapperIZN2at6native12_GLOBAL__N_124unique_dim_cuda_templateIjEESt5tupleIJNSF_6TensorESK_SK_EERKSK_lbbbEUlllE0_EEPmJS9_EEE10hipError_tPvRmT3_T4_T5_T6_T7_T9_mT8_P12ihipStream_tbDpT10_ENKUlT_T0_E_clISt17integral_constantIbLb1EES1A_EEDaS15_S16_EUlS15_E_NS1_11comp_targetILNS1_3genE0ELNS1_11target_archE4294967295ELNS1_3gpuE0ELNS1_3repE0EEENS1_30default_config_static_selectorELNS0_4arch9wavefront6targetE1EEEvT1_ ; -- Begin function _ZN7rocprim17ROCPRIM_400000_NS6detail17trampoline_kernelINS0_14default_configENS1_25partition_config_selectorILNS1_17partition_subalgoE9EllbEEZZNS1_14partition_implILS5_9ELb0ES3_jPlS8_PNS0_10empty_typeENS0_5tupleIJS8_S9_EEENSB_IJS8_SA_EEENS0_18inequality_wrapperIZN2at6native12_GLOBAL__N_124unique_dim_cuda_templateIjEESt5tupleIJNSF_6TensorESK_SK_EERKSK_lbbbEUlllE0_EEPmJS9_EEE10hipError_tPvRmT3_T4_T5_T6_T7_T9_mT8_P12ihipStream_tbDpT10_ENKUlT_T0_E_clISt17integral_constantIbLb1EES1A_EEDaS15_S16_EUlS15_E_NS1_11comp_targetILNS1_3genE0ELNS1_11target_archE4294967295ELNS1_3gpuE0ELNS1_3repE0EEENS1_30default_config_static_selectorELNS0_4arch9wavefront6targetE1EEEvT1_
	.p2align	8
	.type	_ZN7rocprim17ROCPRIM_400000_NS6detail17trampoline_kernelINS0_14default_configENS1_25partition_config_selectorILNS1_17partition_subalgoE9EllbEEZZNS1_14partition_implILS5_9ELb0ES3_jPlS8_PNS0_10empty_typeENS0_5tupleIJS8_S9_EEENSB_IJS8_SA_EEENS0_18inequality_wrapperIZN2at6native12_GLOBAL__N_124unique_dim_cuda_templateIjEESt5tupleIJNSF_6TensorESK_SK_EERKSK_lbbbEUlllE0_EEPmJS9_EEE10hipError_tPvRmT3_T4_T5_T6_T7_T9_mT8_P12ihipStream_tbDpT10_ENKUlT_T0_E_clISt17integral_constantIbLb1EES1A_EEDaS15_S16_EUlS15_E_NS1_11comp_targetILNS1_3genE0ELNS1_11target_archE4294967295ELNS1_3gpuE0ELNS1_3repE0EEENS1_30default_config_static_selectorELNS0_4arch9wavefront6targetE1EEEvT1_,@function
_ZN7rocprim17ROCPRIM_400000_NS6detail17trampoline_kernelINS0_14default_configENS1_25partition_config_selectorILNS1_17partition_subalgoE9EllbEEZZNS1_14partition_implILS5_9ELb0ES3_jPlS8_PNS0_10empty_typeENS0_5tupleIJS8_S9_EEENSB_IJS8_SA_EEENS0_18inequality_wrapperIZN2at6native12_GLOBAL__N_124unique_dim_cuda_templateIjEESt5tupleIJNSF_6TensorESK_SK_EERKSK_lbbbEUlllE0_EEPmJS9_EEE10hipError_tPvRmT3_T4_T5_T6_T7_T9_mT8_P12ihipStream_tbDpT10_ENKUlT_T0_E_clISt17integral_constantIbLb1EES1A_EEDaS15_S16_EUlS15_E_NS1_11comp_targetILNS1_3genE0ELNS1_11target_archE4294967295ELNS1_3gpuE0ELNS1_3repE0EEENS1_30default_config_static_selectorELNS0_4arch9wavefront6targetE1EEEvT1_: ; @_ZN7rocprim17ROCPRIM_400000_NS6detail17trampoline_kernelINS0_14default_configENS1_25partition_config_selectorILNS1_17partition_subalgoE9EllbEEZZNS1_14partition_implILS5_9ELb0ES3_jPlS8_PNS0_10empty_typeENS0_5tupleIJS8_S9_EEENSB_IJS8_SA_EEENS0_18inequality_wrapperIZN2at6native12_GLOBAL__N_124unique_dim_cuda_templateIjEESt5tupleIJNSF_6TensorESK_SK_EERKSK_lbbbEUlllE0_EEPmJS9_EEE10hipError_tPvRmT3_T4_T5_T6_T7_T9_mT8_P12ihipStream_tbDpT10_ENKUlT_T0_E_clISt17integral_constantIbLb1EES1A_EEDaS15_S16_EUlS15_E_NS1_11comp_targetILNS1_3genE0ELNS1_11target_archE4294967295ELNS1_3gpuE0ELNS1_3repE0EEENS1_30default_config_static_selectorELNS0_4arch9wavefront6targetE1EEEvT1_
; %bb.0:
	.section	.rodata,"a",@progbits
	.p2align	6, 0x0
	.amdhsa_kernel _ZN7rocprim17ROCPRIM_400000_NS6detail17trampoline_kernelINS0_14default_configENS1_25partition_config_selectorILNS1_17partition_subalgoE9EllbEEZZNS1_14partition_implILS5_9ELb0ES3_jPlS8_PNS0_10empty_typeENS0_5tupleIJS8_S9_EEENSB_IJS8_SA_EEENS0_18inequality_wrapperIZN2at6native12_GLOBAL__N_124unique_dim_cuda_templateIjEESt5tupleIJNSF_6TensorESK_SK_EERKSK_lbbbEUlllE0_EEPmJS9_EEE10hipError_tPvRmT3_T4_T5_T6_T7_T9_mT8_P12ihipStream_tbDpT10_ENKUlT_T0_E_clISt17integral_constantIbLb1EES1A_EEDaS15_S16_EUlS15_E_NS1_11comp_targetILNS1_3genE0ELNS1_11target_archE4294967295ELNS1_3gpuE0ELNS1_3repE0EEENS1_30default_config_static_selectorELNS0_4arch9wavefront6targetE1EEEvT1_
		.amdhsa_group_segment_fixed_size 0
		.amdhsa_private_segment_fixed_size 0
		.amdhsa_kernarg_size 136
		.amdhsa_user_sgpr_count 2
		.amdhsa_user_sgpr_dispatch_ptr 0
		.amdhsa_user_sgpr_queue_ptr 0
		.amdhsa_user_sgpr_kernarg_segment_ptr 1
		.amdhsa_user_sgpr_dispatch_id 0
		.amdhsa_user_sgpr_kernarg_preload_length 0
		.amdhsa_user_sgpr_kernarg_preload_offset 0
		.amdhsa_user_sgpr_private_segment_size 0
		.amdhsa_uses_dynamic_stack 0
		.amdhsa_enable_private_segment 0
		.amdhsa_system_sgpr_workgroup_id_x 1
		.amdhsa_system_sgpr_workgroup_id_y 0
		.amdhsa_system_sgpr_workgroup_id_z 0
		.amdhsa_system_sgpr_workgroup_info 0
		.amdhsa_system_vgpr_workitem_id 0
		.amdhsa_next_free_vgpr 1
		.amdhsa_next_free_sgpr 0
		.amdhsa_accum_offset 4
		.amdhsa_reserve_vcc 0
		.amdhsa_float_round_mode_32 0
		.amdhsa_float_round_mode_16_64 0
		.amdhsa_float_denorm_mode_32 3
		.amdhsa_float_denorm_mode_16_64 3
		.amdhsa_dx10_clamp 1
		.amdhsa_ieee_mode 1
		.amdhsa_fp16_overflow 0
		.amdhsa_tg_split 0
		.amdhsa_exception_fp_ieee_invalid_op 0
		.amdhsa_exception_fp_denorm_src 0
		.amdhsa_exception_fp_ieee_div_zero 0
		.amdhsa_exception_fp_ieee_overflow 0
		.amdhsa_exception_fp_ieee_underflow 0
		.amdhsa_exception_fp_ieee_inexact 0
		.amdhsa_exception_int_div_zero 0
	.end_amdhsa_kernel
	.section	.text._ZN7rocprim17ROCPRIM_400000_NS6detail17trampoline_kernelINS0_14default_configENS1_25partition_config_selectorILNS1_17partition_subalgoE9EllbEEZZNS1_14partition_implILS5_9ELb0ES3_jPlS8_PNS0_10empty_typeENS0_5tupleIJS8_S9_EEENSB_IJS8_SA_EEENS0_18inequality_wrapperIZN2at6native12_GLOBAL__N_124unique_dim_cuda_templateIjEESt5tupleIJNSF_6TensorESK_SK_EERKSK_lbbbEUlllE0_EEPmJS9_EEE10hipError_tPvRmT3_T4_T5_T6_T7_T9_mT8_P12ihipStream_tbDpT10_ENKUlT_T0_E_clISt17integral_constantIbLb1EES1A_EEDaS15_S16_EUlS15_E_NS1_11comp_targetILNS1_3genE0ELNS1_11target_archE4294967295ELNS1_3gpuE0ELNS1_3repE0EEENS1_30default_config_static_selectorELNS0_4arch9wavefront6targetE1EEEvT1_,"axG",@progbits,_ZN7rocprim17ROCPRIM_400000_NS6detail17trampoline_kernelINS0_14default_configENS1_25partition_config_selectorILNS1_17partition_subalgoE9EllbEEZZNS1_14partition_implILS5_9ELb0ES3_jPlS8_PNS0_10empty_typeENS0_5tupleIJS8_S9_EEENSB_IJS8_SA_EEENS0_18inequality_wrapperIZN2at6native12_GLOBAL__N_124unique_dim_cuda_templateIjEESt5tupleIJNSF_6TensorESK_SK_EERKSK_lbbbEUlllE0_EEPmJS9_EEE10hipError_tPvRmT3_T4_T5_T6_T7_T9_mT8_P12ihipStream_tbDpT10_ENKUlT_T0_E_clISt17integral_constantIbLb1EES1A_EEDaS15_S16_EUlS15_E_NS1_11comp_targetILNS1_3genE0ELNS1_11target_archE4294967295ELNS1_3gpuE0ELNS1_3repE0EEENS1_30default_config_static_selectorELNS0_4arch9wavefront6targetE1EEEvT1_,comdat
.Lfunc_end1591:
	.size	_ZN7rocprim17ROCPRIM_400000_NS6detail17trampoline_kernelINS0_14default_configENS1_25partition_config_selectorILNS1_17partition_subalgoE9EllbEEZZNS1_14partition_implILS5_9ELb0ES3_jPlS8_PNS0_10empty_typeENS0_5tupleIJS8_S9_EEENSB_IJS8_SA_EEENS0_18inequality_wrapperIZN2at6native12_GLOBAL__N_124unique_dim_cuda_templateIjEESt5tupleIJNSF_6TensorESK_SK_EERKSK_lbbbEUlllE0_EEPmJS9_EEE10hipError_tPvRmT3_T4_T5_T6_T7_T9_mT8_P12ihipStream_tbDpT10_ENKUlT_T0_E_clISt17integral_constantIbLb1EES1A_EEDaS15_S16_EUlS15_E_NS1_11comp_targetILNS1_3genE0ELNS1_11target_archE4294967295ELNS1_3gpuE0ELNS1_3repE0EEENS1_30default_config_static_selectorELNS0_4arch9wavefront6targetE1EEEvT1_, .Lfunc_end1591-_ZN7rocprim17ROCPRIM_400000_NS6detail17trampoline_kernelINS0_14default_configENS1_25partition_config_selectorILNS1_17partition_subalgoE9EllbEEZZNS1_14partition_implILS5_9ELb0ES3_jPlS8_PNS0_10empty_typeENS0_5tupleIJS8_S9_EEENSB_IJS8_SA_EEENS0_18inequality_wrapperIZN2at6native12_GLOBAL__N_124unique_dim_cuda_templateIjEESt5tupleIJNSF_6TensorESK_SK_EERKSK_lbbbEUlllE0_EEPmJS9_EEE10hipError_tPvRmT3_T4_T5_T6_T7_T9_mT8_P12ihipStream_tbDpT10_ENKUlT_T0_E_clISt17integral_constantIbLb1EES1A_EEDaS15_S16_EUlS15_E_NS1_11comp_targetILNS1_3genE0ELNS1_11target_archE4294967295ELNS1_3gpuE0ELNS1_3repE0EEENS1_30default_config_static_selectorELNS0_4arch9wavefront6targetE1EEEvT1_
                                        ; -- End function
	.section	.AMDGPU.csdata,"",@progbits
; Kernel info:
; codeLenInByte = 0
; NumSgprs: 6
; NumVgprs: 0
; NumAgprs: 0
; TotalNumVgprs: 0
; ScratchSize: 0
; MemoryBound: 0
; FloatMode: 240
; IeeeMode: 1
; LDSByteSize: 0 bytes/workgroup (compile time only)
; SGPRBlocks: 0
; VGPRBlocks: 0
; NumSGPRsForWavesPerEU: 6
; NumVGPRsForWavesPerEU: 1
; AccumOffset: 4
; Occupancy: 8
; WaveLimiterHint : 0
; COMPUTE_PGM_RSRC2:SCRATCH_EN: 0
; COMPUTE_PGM_RSRC2:USER_SGPR: 2
; COMPUTE_PGM_RSRC2:TRAP_HANDLER: 0
; COMPUTE_PGM_RSRC2:TGID_X_EN: 1
; COMPUTE_PGM_RSRC2:TGID_Y_EN: 0
; COMPUTE_PGM_RSRC2:TGID_Z_EN: 0
; COMPUTE_PGM_RSRC2:TIDIG_COMP_CNT: 0
; COMPUTE_PGM_RSRC3_GFX90A:ACCUM_OFFSET: 0
; COMPUTE_PGM_RSRC3_GFX90A:TG_SPLIT: 0
	.section	.text._ZN7rocprim17ROCPRIM_400000_NS6detail17trampoline_kernelINS0_14default_configENS1_25partition_config_selectorILNS1_17partition_subalgoE9EllbEEZZNS1_14partition_implILS5_9ELb0ES3_jPlS8_PNS0_10empty_typeENS0_5tupleIJS8_S9_EEENSB_IJS8_SA_EEENS0_18inequality_wrapperIZN2at6native12_GLOBAL__N_124unique_dim_cuda_templateIjEESt5tupleIJNSF_6TensorESK_SK_EERKSK_lbbbEUlllE0_EEPmJS9_EEE10hipError_tPvRmT3_T4_T5_T6_T7_T9_mT8_P12ihipStream_tbDpT10_ENKUlT_T0_E_clISt17integral_constantIbLb1EES1A_EEDaS15_S16_EUlS15_E_NS1_11comp_targetILNS1_3genE5ELNS1_11target_archE942ELNS1_3gpuE9ELNS1_3repE0EEENS1_30default_config_static_selectorELNS0_4arch9wavefront6targetE1EEEvT1_,"axG",@progbits,_ZN7rocprim17ROCPRIM_400000_NS6detail17trampoline_kernelINS0_14default_configENS1_25partition_config_selectorILNS1_17partition_subalgoE9EllbEEZZNS1_14partition_implILS5_9ELb0ES3_jPlS8_PNS0_10empty_typeENS0_5tupleIJS8_S9_EEENSB_IJS8_SA_EEENS0_18inequality_wrapperIZN2at6native12_GLOBAL__N_124unique_dim_cuda_templateIjEESt5tupleIJNSF_6TensorESK_SK_EERKSK_lbbbEUlllE0_EEPmJS9_EEE10hipError_tPvRmT3_T4_T5_T6_T7_T9_mT8_P12ihipStream_tbDpT10_ENKUlT_T0_E_clISt17integral_constantIbLb1EES1A_EEDaS15_S16_EUlS15_E_NS1_11comp_targetILNS1_3genE5ELNS1_11target_archE942ELNS1_3gpuE9ELNS1_3repE0EEENS1_30default_config_static_selectorELNS0_4arch9wavefront6targetE1EEEvT1_,comdat
	.globl	_ZN7rocprim17ROCPRIM_400000_NS6detail17trampoline_kernelINS0_14default_configENS1_25partition_config_selectorILNS1_17partition_subalgoE9EllbEEZZNS1_14partition_implILS5_9ELb0ES3_jPlS8_PNS0_10empty_typeENS0_5tupleIJS8_S9_EEENSB_IJS8_SA_EEENS0_18inequality_wrapperIZN2at6native12_GLOBAL__N_124unique_dim_cuda_templateIjEESt5tupleIJNSF_6TensorESK_SK_EERKSK_lbbbEUlllE0_EEPmJS9_EEE10hipError_tPvRmT3_T4_T5_T6_T7_T9_mT8_P12ihipStream_tbDpT10_ENKUlT_T0_E_clISt17integral_constantIbLb1EES1A_EEDaS15_S16_EUlS15_E_NS1_11comp_targetILNS1_3genE5ELNS1_11target_archE942ELNS1_3gpuE9ELNS1_3repE0EEENS1_30default_config_static_selectorELNS0_4arch9wavefront6targetE1EEEvT1_ ; -- Begin function _ZN7rocprim17ROCPRIM_400000_NS6detail17trampoline_kernelINS0_14default_configENS1_25partition_config_selectorILNS1_17partition_subalgoE9EllbEEZZNS1_14partition_implILS5_9ELb0ES3_jPlS8_PNS0_10empty_typeENS0_5tupleIJS8_S9_EEENSB_IJS8_SA_EEENS0_18inequality_wrapperIZN2at6native12_GLOBAL__N_124unique_dim_cuda_templateIjEESt5tupleIJNSF_6TensorESK_SK_EERKSK_lbbbEUlllE0_EEPmJS9_EEE10hipError_tPvRmT3_T4_T5_T6_T7_T9_mT8_P12ihipStream_tbDpT10_ENKUlT_T0_E_clISt17integral_constantIbLb1EES1A_EEDaS15_S16_EUlS15_E_NS1_11comp_targetILNS1_3genE5ELNS1_11target_archE942ELNS1_3gpuE9ELNS1_3repE0EEENS1_30default_config_static_selectorELNS0_4arch9wavefront6targetE1EEEvT1_
	.p2align	8
	.type	_ZN7rocprim17ROCPRIM_400000_NS6detail17trampoline_kernelINS0_14default_configENS1_25partition_config_selectorILNS1_17partition_subalgoE9EllbEEZZNS1_14partition_implILS5_9ELb0ES3_jPlS8_PNS0_10empty_typeENS0_5tupleIJS8_S9_EEENSB_IJS8_SA_EEENS0_18inequality_wrapperIZN2at6native12_GLOBAL__N_124unique_dim_cuda_templateIjEESt5tupleIJNSF_6TensorESK_SK_EERKSK_lbbbEUlllE0_EEPmJS9_EEE10hipError_tPvRmT3_T4_T5_T6_T7_T9_mT8_P12ihipStream_tbDpT10_ENKUlT_T0_E_clISt17integral_constantIbLb1EES1A_EEDaS15_S16_EUlS15_E_NS1_11comp_targetILNS1_3genE5ELNS1_11target_archE942ELNS1_3gpuE9ELNS1_3repE0EEENS1_30default_config_static_selectorELNS0_4arch9wavefront6targetE1EEEvT1_,@function
_ZN7rocprim17ROCPRIM_400000_NS6detail17trampoline_kernelINS0_14default_configENS1_25partition_config_selectorILNS1_17partition_subalgoE9EllbEEZZNS1_14partition_implILS5_9ELb0ES3_jPlS8_PNS0_10empty_typeENS0_5tupleIJS8_S9_EEENSB_IJS8_SA_EEENS0_18inequality_wrapperIZN2at6native12_GLOBAL__N_124unique_dim_cuda_templateIjEESt5tupleIJNSF_6TensorESK_SK_EERKSK_lbbbEUlllE0_EEPmJS9_EEE10hipError_tPvRmT3_T4_T5_T6_T7_T9_mT8_P12ihipStream_tbDpT10_ENKUlT_T0_E_clISt17integral_constantIbLb1EES1A_EEDaS15_S16_EUlS15_E_NS1_11comp_targetILNS1_3genE5ELNS1_11target_archE942ELNS1_3gpuE9ELNS1_3repE0EEENS1_30default_config_static_selectorELNS0_4arch9wavefront6targetE1EEEvT1_: ; @_ZN7rocprim17ROCPRIM_400000_NS6detail17trampoline_kernelINS0_14default_configENS1_25partition_config_selectorILNS1_17partition_subalgoE9EllbEEZZNS1_14partition_implILS5_9ELb0ES3_jPlS8_PNS0_10empty_typeENS0_5tupleIJS8_S9_EEENSB_IJS8_SA_EEENS0_18inequality_wrapperIZN2at6native12_GLOBAL__N_124unique_dim_cuda_templateIjEESt5tupleIJNSF_6TensorESK_SK_EERKSK_lbbbEUlllE0_EEPmJS9_EEE10hipError_tPvRmT3_T4_T5_T6_T7_T9_mT8_P12ihipStream_tbDpT10_ENKUlT_T0_E_clISt17integral_constantIbLb1EES1A_EEDaS15_S16_EUlS15_E_NS1_11comp_targetILNS1_3genE5ELNS1_11target_archE942ELNS1_3gpuE9ELNS1_3repE0EEENS1_30default_config_static_selectorELNS0_4arch9wavefront6targetE1EEEvT1_
; %bb.0:
	s_load_dwordx4 s[4:7], s[0:1], 0x8
	s_load_dwordx2 s[10:11], s[0:1], 0x18
	s_load_dwordx8 s[20:27], s[0:1], 0x40
	s_load_dwordx4 s[36:39], s[0:1], 0x60
	v_cmp_ne_u32_e64 s[2:3], 0, v0
	v_cmp_eq_u32_e64 s[18:19], 0, v0
	s_and_saveexec_b64 s[8:9], s[18:19]
	s_cbranch_execz .LBB1592_4
; %bb.1:
	s_mov_b64 s[14:15], exec
	v_mbcnt_lo_u32_b32 v1, s14, 0
	v_mbcnt_hi_u32_b32 v1, s15, v1
	v_cmp_eq_u32_e32 vcc, 0, v1
                                        ; implicit-def: $vgpr2
	s_and_saveexec_b64 s[12:13], vcc
	s_cbranch_execz .LBB1592_3
; %bb.2:
	s_load_dwordx2 s[16:17], s[0:1], 0x78
	s_bcnt1_i32_b64 s14, s[14:15]
	v_mov_b32_e32 v2, 0
	v_mov_b32_e32 v3, s14
	s_waitcnt lgkmcnt(0)
	global_atomic_add v2, v2, v3, s[16:17] sc0
.LBB1592_3:
	s_or_b64 exec, exec, s[12:13]
	s_waitcnt vmcnt(0)
	v_readfirstlane_b32 s12, v2
	v_mov_b32_e32 v2, 0
	s_nop 0
	v_add_u32_e32 v1, s12, v1
	ds_write_b32 v2, v1
.LBB1592_4:
	s_or_b64 exec, exec, s[8:9]
	v_mov_b32_e32 v3, 0
	s_load_dwordx4 s[28:31], s[0:1], 0x28
	s_load_dword s8, s[0:1], 0x70
	s_waitcnt lgkmcnt(0)
	s_barrier
	ds_read_b32 v1, v3
	s_waitcnt lgkmcnt(0)
	s_barrier
	global_load_dwordx2 v[4:5], v3, s[22:23]
	s_lshl_b64 s[12:13], s[6:7], 3
	s_mul_i32 s14, s8, 0xe00
	s_add_u32 s16, s4, s12
	s_addc_u32 s17, s5, s13
	s_add_i32 s4, s14, s6
	s_sub_i32 s54, s24, s4
	s_add_i32 s15, s8, -1
	s_addk_i32 s54, 0xe00
	s_add_u32 s4, s6, s14
	v_readfirstlane_b32 s33, v1
	s_addc_u32 s5, s7, 0
	v_mov_b32_e32 v6, s24
	v_mov_b32_e32 v7, s25
	s_cmp_eq_u32 s33, s15
	s_mov_b32 s9, 0
	s_mul_i32 s8, s33, 0xe00
	v_cmp_ge_u64_e32 vcc, s[4:5], v[6:7]
	s_cselect_b64 s[24:25], -1, 0
	s_lshl_b64 s[14:15], s[8:9], 3
	s_and_b64 s[8:9], vcc, s[24:25]
	s_xor_b64 s[34:35], s[8:9], -1
	s_add_u32 s4, s16, s14
	s_mov_b64 s[0:1], -1
	s_addc_u32 s5, s17, s15
	s_and_b64 vcc, exec, s[34:35]
	s_waitcnt vmcnt(0)
	v_readfirstlane_b32 s22, v4
	v_readfirstlane_b32 s23, v5
	s_cbranch_vccz .LBB1592_6
; %bb.5:
	v_lshlrev_b32_e32 v2, 3, v0
	v_lshl_add_u64 v[4:5], s[4:5], 0, v[2:3]
	v_add_co_u32_e32 v8, vcc, 0x1000, v4
	global_load_dwordx2 v[6:7], v2, s[4:5]
	s_nop 0
	v_addc_co_u32_e32 v9, vcc, 0, v5, vcc
	v_add_co_u32_e32 v10, vcc, 0x2000, v4
	s_mov_b64 s[0:1], 0
	s_nop 0
	v_addc_co_u32_e32 v11, vcc, 0, v5, vcc
	v_add_co_u32_e32 v12, vcc, 0x3000, v4
	s_nop 1
	v_addc_co_u32_e32 v13, vcc, 0, v5, vcc
	v_add_co_u32_e32 v14, vcc, 0x4000, v4
	s_nop 1
	v_addc_co_u32_e32 v15, vcc, 0, v5, vcc
	global_load_dwordx2 v[16:17], v[8:9], off
	global_load_dwordx2 v[18:19], v[10:11], off
	global_load_dwordx2 v[20:21], v[12:13], off
	global_load_dwordx2 v[22:23], v[14:15], off
	v_add_co_u32_e32 v8, vcc, 0x5000, v4
	s_nop 1
	v_addc_co_u32_e32 v9, vcc, 0, v5, vcc
	v_add_co_u32_e32 v4, vcc, 0x6000, v4
	global_load_dwordx2 v[8:9], v[8:9], off
	s_nop 0
	v_addc_co_u32_e32 v5, vcc, 0, v5, vcc
	global_load_dwordx2 v[4:5], v[4:5], off
	s_waitcnt vmcnt(5)
	ds_write2st64_b64 v2, v[6:7], v[16:17] offset1:8
	s_waitcnt vmcnt(3)
	ds_write2st64_b64 v2, v[18:19], v[20:21] offset0:16 offset1:24
	s_waitcnt vmcnt(1)
	ds_write2st64_b64 v2, v[22:23], v[8:9] offset0:32 offset1:40
	s_waitcnt vmcnt(0)
	ds_write_b64 v2, v[4:5] offset:24576
	s_waitcnt lgkmcnt(0)
	s_barrier
.LBB1592_6:
	s_andn2_b64 vcc, exec, s[0:1]
	v_cmp_gt_u32_e64 s[0:1], s54, v0
	s_cbranch_vccnz .LBB1592_22
; %bb.7:
                                        ; implicit-def: $vgpr2_vgpr3_vgpr4_vgpr5_vgpr6_vgpr7_vgpr8_vgpr9_vgpr10_vgpr11_vgpr12_vgpr13_vgpr14_vgpr15_vgpr16_vgpr17
	s_and_saveexec_b64 s[16:17], s[0:1]
	s_cbranch_execz .LBB1592_9
; %bb.8:
	v_lshlrev_b32_e32 v1, 3, v0
	global_load_dwordx2 v[2:3], v1, s[4:5]
.LBB1592_9:
	s_or_b64 exec, exec, s[16:17]
	v_or_b32_e32 v1, 0x200, v0
	v_cmp_gt_u32_e32 vcc, s54, v1
	s_and_saveexec_b64 s[0:1], vcc
	s_cbranch_execz .LBB1592_11
; %bb.10:
	v_lshlrev_b32_e32 v1, 3, v1
	global_load_dwordx2 v[4:5], v1, s[4:5]
.LBB1592_11:
	s_or_b64 exec, exec, s[0:1]
	v_or_b32_e32 v1, 0x400, v0
	v_cmp_gt_u32_e32 vcc, s54, v1
	s_and_saveexec_b64 s[0:1], vcc
	;; [unrolled: 9-line block ×6, first 2 shown]
	s_cbranch_execz .LBB1592_21
; %bb.20:
	v_lshlrev_b32_e32 v1, 3, v1
	global_load_dwordx2 v[14:15], v1, s[4:5]
.LBB1592_21:
	s_or_b64 exec, exec, s[0:1]
	v_lshlrev_b32_e32 v1, 3, v0
	s_waitcnt vmcnt(0)
	ds_write2st64_b64 v1, v[2:3], v[4:5] offset1:8
	ds_write2st64_b64 v1, v[6:7], v[8:9] offset0:16 offset1:24
	ds_write2st64_b64 v1, v[10:11], v[12:13] offset0:32 offset1:40
	ds_write_b64 v1, v[14:15] offset:24576
	s_waitcnt lgkmcnt(0)
	s_barrier
.LBB1592_22:
	v_mul_u32_u24_e32 v1, 7, v0
	v_lshlrev_b32_e32 v46, 3, v1
	ds_read2_b64 v[22:25], v46 offset1:1
	ds_read2_b64 v[18:21], v46 offset0:2 offset1:3
	ds_read2_b64 v[14:17], v46 offset0:4 offset1:5
	ds_read_b64 v[28:29], v46 offset:48
	s_add_u32 s0, s10, s12
	s_addc_u32 s1, s11, s13
	s_add_u32 s0, s0, s14
	s_addc_u32 s1, s1, s15
	s_mov_b64 s[10:11], -1
	s_and_b64 vcc, exec, s[34:35]
	s_waitcnt lgkmcnt(0)
	s_barrier
	s_cbranch_vccz .LBB1592_24
; %bb.23:
	v_lshlrev_b32_e32 v2, 3, v0
	v_mov_b32_e32 v3, 0
	v_lshl_add_u64 v[4:5], s[0:1], 0, v[2:3]
	v_add_co_u32_e32 v8, vcc, 0x1000, v4
	global_load_dwordx2 v[6:7], v2, s[0:1]
	s_nop 0
	v_addc_co_u32_e32 v9, vcc, 0, v5, vcc
	v_add_co_u32_e32 v10, vcc, 0x2000, v4
	s_mov_b64 s[10:11], 0
	s_nop 0
	v_addc_co_u32_e32 v11, vcc, 0, v5, vcc
	v_add_co_u32_e32 v12, vcc, 0x3000, v4
	s_nop 1
	v_addc_co_u32_e32 v13, vcc, 0, v5, vcc
	v_add_co_u32_e32 v26, vcc, 0x4000, v4
	s_nop 1
	v_addc_co_u32_e32 v27, vcc, 0, v5, vcc
	global_load_dwordx2 v[30:31], v[8:9], off
	global_load_dwordx2 v[32:33], v[10:11], off
	;; [unrolled: 1-line block ×4, first 2 shown]
	v_add_co_u32_e32 v8, vcc, 0x5000, v4
	s_nop 1
	v_addc_co_u32_e32 v9, vcc, 0, v5, vcc
	v_add_co_u32_e32 v4, vcc, 0x6000, v4
	global_load_dwordx2 v[8:9], v[8:9], off
	s_nop 0
	v_addc_co_u32_e32 v5, vcc, 0, v5, vcc
	global_load_dwordx2 v[4:5], v[4:5], off
	s_waitcnt vmcnt(5)
	ds_write2st64_b64 v2, v[6:7], v[30:31] offset1:8
	s_waitcnt vmcnt(3)
	ds_write2st64_b64 v2, v[32:33], v[34:35] offset0:16 offset1:24
	s_waitcnt vmcnt(1)
	ds_write2st64_b64 v2, v[36:37], v[8:9] offset0:32 offset1:40
	s_waitcnt vmcnt(0)
	ds_write_b64 v2, v[4:5] offset:24576
	s_waitcnt lgkmcnt(0)
	s_barrier
.LBB1592_24:
	s_andn2_b64 vcc, exec, s[10:11]
	s_cbranch_vccnz .LBB1592_40
; %bb.25:
	v_cmp_gt_u32_e32 vcc, s54, v0
                                        ; implicit-def: $vgpr2_vgpr3
	s_and_saveexec_b64 s[10:11], vcc
	s_cbranch_execz .LBB1592_27
; %bb.26:
	v_lshlrev_b32_e32 v2, 3, v0
	global_load_dwordx2 v[2:3], v2, s[0:1]
.LBB1592_27:
	s_or_b64 exec, exec, s[10:11]
	v_or_b32_e32 v6, 0x200, v0
	v_cmp_gt_u32_e32 vcc, s54, v6
                                        ; implicit-def: $vgpr4_vgpr5
	s_and_saveexec_b64 s[10:11], vcc
	s_cbranch_execz .LBB1592_29
; %bb.28:
	v_lshlrev_b32_e32 v4, 3, v6
	global_load_dwordx2 v[4:5], v4, s[0:1]
.LBB1592_29:
	s_or_b64 exec, exec, s[10:11]
	v_or_b32_e32 v8, 0x400, v0
	v_cmp_gt_u32_e32 vcc, s54, v8
                                        ; implicit-def: $vgpr6_vgpr7
	s_and_saveexec_b64 s[10:11], vcc
	s_cbranch_execz .LBB1592_31
; %bb.30:
	v_lshlrev_b32_e32 v6, 3, v8
	global_load_dwordx2 v[6:7], v6, s[0:1]
.LBB1592_31:
	s_or_b64 exec, exec, s[10:11]
	v_or_b32_e32 v10, 0x600, v0
	v_cmp_gt_u32_e32 vcc, s54, v10
                                        ; implicit-def: $vgpr8_vgpr9
	s_and_saveexec_b64 s[10:11], vcc
	s_cbranch_execz .LBB1592_33
; %bb.32:
	v_lshlrev_b32_e32 v8, 3, v10
	global_load_dwordx2 v[8:9], v8, s[0:1]
.LBB1592_33:
	s_or_b64 exec, exec, s[10:11]
	v_or_b32_e32 v12, 0x800, v0
	v_cmp_gt_u32_e32 vcc, s54, v12
                                        ; implicit-def: $vgpr10_vgpr11
	s_and_saveexec_b64 s[10:11], vcc
	s_cbranch_execz .LBB1592_35
; %bb.34:
	v_lshlrev_b32_e32 v10, 3, v12
	global_load_dwordx2 v[10:11], v10, s[0:1]
.LBB1592_35:
	s_or_b64 exec, exec, s[10:11]
	v_or_b32_e32 v26, 0xa00, v0
	v_cmp_gt_u32_e32 vcc, s54, v26
                                        ; implicit-def: $vgpr12_vgpr13
	s_and_saveexec_b64 s[10:11], vcc
	s_cbranch_execz .LBB1592_37
; %bb.36:
	v_lshlrev_b32_e32 v12, 3, v26
	global_load_dwordx2 v[12:13], v12, s[0:1]
.LBB1592_37:
	s_or_b64 exec, exec, s[10:11]
	v_or_b32_e32 v30, 0xc00, v0
	v_cmp_gt_u32_e32 vcc, s54, v30
                                        ; implicit-def: $vgpr26_vgpr27
	s_and_saveexec_b64 s[10:11], vcc
	s_cbranch_execz .LBB1592_39
; %bb.38:
	v_lshlrev_b32_e32 v26, 3, v30
	global_load_dwordx2 v[26:27], v26, s[0:1]
.LBB1592_39:
	s_or_b64 exec, exec, s[10:11]
	s_movk_i32 s0, 0xffd0
	v_mad_i32_i24 v30, v0, s0, v46
	s_waitcnt vmcnt(0)
	ds_write2st64_b64 v30, v[2:3], v[4:5] offset1:8
	ds_write2st64_b64 v30, v[6:7], v[8:9] offset0:16 offset1:24
	ds_write2st64_b64 v30, v[10:11], v[12:13] offset0:32 offset1:40
	ds_write_b64 v30, v[26:27] offset:24576
	s_waitcnt lgkmcnt(0)
	s_barrier
.LBB1592_40:
	ds_read2_b64 v[10:13], v46 offset1:1
	ds_read2_b64 v[6:9], v46 offset0:2 offset1:3
	ds_read2_b64 v[2:5], v46 offset0:4 offset1:5
	ds_read_b64 v[26:27], v46 offset:48
	s_cmp_lg_u32 s33, 0
	s_cselect_b64 s[0:1], -1, 0
	s_cmp_lg_u64 s[6:7], 0
	s_cselect_b64 s[6:7], -1, 0
	s_or_b64 s[6:7], s[6:7], s[0:1]
	v_add_u32_e32 v43, 1, v1
	v_add_u32_e32 v40, 2, v1
	;; [unrolled: 1-line block ×6, first 2 shown]
	s_mov_b64 s[10:11], 0
	s_and_b64 vcc, exec, s[6:7]
	v_cmp_gt_i64_e64 s[12:13], s[26:27], 0
	s_waitcnt lgkmcnt(0)
	s_barrier
	s_cbranch_vccz .LBB1592_49
; %bb.41:
	v_mov_b32_e32 v30, 0
	global_load_dwordx2 v[30:31], v30, s[4:5] offset:-8
	v_cndmask_b32_e64 v32, 0, 1, s[12:13]
	v_lshlrev_b32_e32 v47, 3, v0
	s_mov_b64 s[6:7], 0
	s_and_b64 vcc, exec, s[34:35]
	v_cmp_ne_u32_e64 s[4:5], 1, v32
	ds_write_b64 v47, v[28:29]
	s_cbranch_vccz .LBB1592_51
; %bb.42:
	v_mul_lo_u32 v34, v17, s26
	v_mul_lo_u32 v35, v16, s27
	v_mad_u64_u32 v[32:33], s[10:11], v16, s26, 0
	v_add3_u32 v33, v33, v35, v34
	s_and_b64 vcc, exec, s[4:5]
	v_lshl_add_u64 v[32:33], v[32:33], 2, s[36:37]
	s_cbranch_vccnz .LBB1592_54
; %bb.43:
	v_mul_lo_u32 v36, v29, s26
	v_mul_lo_u32 v37, v28, s27
	v_mad_u64_u32 v[34:35], s[6:7], v28, s26, 0
	v_add3_u32 v35, v35, v37, v36
	v_lshl_add_u64 v[34:35], v[34:35], 2, s[36:37]
	global_load_dword v36, v[32:33], off
	global_load_dword v37, v[34:35], off
	s_mov_b64 s[6:7], -1
	s_waitcnt vmcnt(0)
	v_cmp_eq_u32_e32 vcc, v36, v37
	s_and_saveexec_b64 s[10:11], vcc
	s_cbranch_execz .LBB1592_53
; %bb.44:
	s_add_u32 s6, s26, -1
	v_lshl_add_u64 v[34:35], v[34:35], 0, 4
	v_lshl_add_u64 v[36:37], v[32:33], 0, 4
	s_addc_u32 s7, s27, -1
	s_mov_b64 s[12:13], 0
	s_mov_b64 s[16:17], 0
                                        ; implicit-def: $sgpr14_sgpr15
	s_branch .LBB1592_47
.LBB1592_45:                            ;   in Loop: Header=BB1592_47 Depth=1
	global_load_dword v38, v[36:37], off
	global_load_dword v39, v[34:35], off
	s_add_u32 s16, s16, 1
	s_addc_u32 s17, s17, 0
	s_andn2_b64 s[14:15], s[14:15], exec
	v_lshl_add_u64 v[34:35], v[34:35], 0, 4
	v_lshl_add_u64 v[36:37], v[36:37], 0, 4
	s_waitcnt vmcnt(0)
	v_cmp_ne_u32_e32 vcc, v38, v39
	s_and_b64 s[40:41], vcc, exec
	s_or_b64 s[14:15], s[14:15], s[40:41]
.LBB1592_46:                            ;   in Loop: Header=BB1592_47 Depth=1
	s_and_b64 s[40:41], exec, s[14:15]
	s_or_b64 s[12:13], s[40:41], s[12:13]
	v_mov_b64_e32 v[38:39], s[16:17]
	s_andn2_b64 exec, exec, s[12:13]
	s_cbranch_execz .LBB1592_52
.LBB1592_47:                            ; =>This Inner Loop Header: Depth=1
	s_or_b64 s[14:15], s[14:15], exec
	s_cmp_eq_u64 s[6:7], s[16:17]
	s_cbranch_scc0 .LBB1592_45
; %bb.48:                               ;   in Loop: Header=BB1592_47 Depth=1
                                        ; implicit-def: $vgpr34_vgpr35
                                        ; implicit-def: $vgpr36_vgpr37
	s_mov_b64 s[16:17], s[26:27]
	s_branch .LBB1592_46
.LBB1592_49:
                                        ; implicit-def: $sgpr14_sgpr15
                                        ; implicit-def: $vgpr49
                                        ; implicit-def: $vgpr48
                                        ; implicit-def: $vgpr39
                                        ; implicit-def: $vgpr34
	s_branch .LBB1592_192
.LBB1592_50:
                                        ; implicit-def: $vgpr30_vgpr31
	s_branch .LBB1592_340
.LBB1592_51:
                                        ; implicit-def: $sgpr14_sgpr15
                                        ; implicit-def: $vgpr49
                                        ; implicit-def: $vgpr48
                                        ; implicit-def: $vgpr39
                                        ; implicit-def: $vgpr34
	s_cbranch_execnz .LBB1592_111
	s_branch .LBB1592_191
.LBB1592_52:
	s_or_b64 exec, exec, s[12:13]
	v_cmp_gt_i64_e32 vcc, s[26:27], v[38:39]
	s_orn2_b64 s[6:7], vcc, exec
.LBB1592_53:
	s_or_b64 exec, exec, s[10:11]
.LBB1592_54:
	v_mul_lo_u32 v36, v15, s26
	v_mul_lo_u32 v37, v14, s27
	v_mad_u64_u32 v[34:35], s[10:11], v14, s26, 0
	v_add3_u32 v35, v35, v37, v36
	s_mov_b64 s[10:11], 0
	s_and_b64 vcc, exec, s[4:5]
	v_lshl_add_u64 v[34:35], v[34:35], 2, s[36:37]
	s_mov_b64 s[12:13], 0
	s_cbranch_vccnz .LBB1592_63
; %bb.55:
	global_load_dword v36, v[34:35], off
	global_load_dword v37, v[32:33], off
	s_mov_b64 s[12:13], -1
	s_waitcnt vmcnt(0)
	v_cmp_eq_u32_e32 vcc, v36, v37
	s_and_saveexec_b64 s[14:15], vcc
	s_cbranch_execz .LBB1592_62
; %bb.56:
	s_add_u32 s12, s26, -1
	v_lshl_add_u64 v[32:33], v[32:33], 0, 4
	v_lshl_add_u64 v[36:37], v[34:35], 0, 4
	s_addc_u32 s13, s27, -1
	s_mov_b64 s[16:17], 0
	s_mov_b64 s[42:43], 0
                                        ; implicit-def: $sgpr40_sgpr41
	s_branch .LBB1592_59
.LBB1592_57:                            ;   in Loop: Header=BB1592_59 Depth=1
	global_load_dword v38, v[36:37], off
	global_load_dword v39, v[32:33], off
	s_add_u32 s42, s42, 1
	s_addc_u32 s43, s43, 0
	s_andn2_b64 s[40:41], s[40:41], exec
	v_lshl_add_u64 v[32:33], v[32:33], 0, 4
	v_lshl_add_u64 v[36:37], v[36:37], 0, 4
	s_waitcnt vmcnt(0)
	v_cmp_ne_u32_e32 vcc, v38, v39
	s_and_b64 s[44:45], vcc, exec
	s_or_b64 s[40:41], s[40:41], s[44:45]
.LBB1592_58:                            ;   in Loop: Header=BB1592_59 Depth=1
	s_and_b64 s[44:45], exec, s[40:41]
	s_or_b64 s[16:17], s[44:45], s[16:17]
	v_mov_b64_e32 v[38:39], s[42:43]
	s_andn2_b64 exec, exec, s[16:17]
	s_cbranch_execz .LBB1592_61
.LBB1592_59:                            ; =>This Inner Loop Header: Depth=1
	s_or_b64 s[40:41], s[40:41], exec
	s_cmp_eq_u64 s[12:13], s[42:43]
	s_cbranch_scc0 .LBB1592_57
; %bb.60:                               ;   in Loop: Header=BB1592_59 Depth=1
                                        ; implicit-def: $vgpr32_vgpr33
                                        ; implicit-def: $vgpr36_vgpr37
	s_mov_b64 s[42:43], s[26:27]
	s_branch .LBB1592_58
.LBB1592_61:
	s_or_b64 exec, exec, s[16:17]
	v_cmp_gt_i64_e32 vcc, s[26:27], v[38:39]
	s_orn2_b64 s[12:13], vcc, exec
.LBB1592_62:
	s_or_b64 exec, exec, s[14:15]
.LBB1592_63:
	v_mul_lo_u32 v36, v21, s26
	v_mul_lo_u32 v37, v20, s27
	v_mad_u64_u32 v[32:33], s[14:15], v20, s26, 0
	v_add3_u32 v33, v33, v37, v36
	s_and_b64 vcc, exec, s[4:5]
	v_lshl_add_u64 v[32:33], v[32:33], 2, s[36:37]
	s_cbranch_vccnz .LBB1592_72
; %bb.64:
	global_load_dword v36, v[32:33], off
	global_load_dword v37, v[34:35], off
	s_mov_b64 s[10:11], -1
	s_waitcnt vmcnt(0)
	v_cmp_eq_u32_e32 vcc, v36, v37
	s_and_saveexec_b64 s[14:15], vcc
	s_cbranch_execz .LBB1592_71
; %bb.65:
	s_add_u32 s10, s26, -1
	v_lshl_add_u64 v[34:35], v[34:35], 0, 4
	v_lshl_add_u64 v[36:37], v[32:33], 0, 4
	s_addc_u32 s11, s27, -1
	s_mov_b64 s[16:17], 0
	s_mov_b64 s[42:43], 0
                                        ; implicit-def: $sgpr40_sgpr41
	s_branch .LBB1592_68
.LBB1592_66:                            ;   in Loop: Header=BB1592_68 Depth=1
	global_load_dword v38, v[36:37], off
	global_load_dword v39, v[34:35], off
	s_add_u32 s42, s42, 1
	s_addc_u32 s43, s43, 0
	s_andn2_b64 s[40:41], s[40:41], exec
	v_lshl_add_u64 v[34:35], v[34:35], 0, 4
	v_lshl_add_u64 v[36:37], v[36:37], 0, 4
	s_waitcnt vmcnt(0)
	v_cmp_ne_u32_e32 vcc, v38, v39
	s_and_b64 s[44:45], vcc, exec
	s_or_b64 s[40:41], s[40:41], s[44:45]
.LBB1592_67:                            ;   in Loop: Header=BB1592_68 Depth=1
	s_and_b64 s[44:45], exec, s[40:41]
	s_or_b64 s[16:17], s[44:45], s[16:17]
	v_mov_b64_e32 v[38:39], s[42:43]
	s_andn2_b64 exec, exec, s[16:17]
	s_cbranch_execz .LBB1592_70
.LBB1592_68:                            ; =>This Inner Loop Header: Depth=1
	s_or_b64 s[40:41], s[40:41], exec
	s_cmp_eq_u64 s[10:11], s[42:43]
	s_cbranch_scc0 .LBB1592_66
; %bb.69:                               ;   in Loop: Header=BB1592_68 Depth=1
                                        ; implicit-def: $vgpr34_vgpr35
                                        ; implicit-def: $vgpr36_vgpr37
	s_mov_b64 s[42:43], s[26:27]
	s_branch .LBB1592_67
.LBB1592_70:
	s_or_b64 exec, exec, s[16:17]
	v_cmp_gt_i64_e32 vcc, s[26:27], v[38:39]
	s_orn2_b64 s[10:11], vcc, exec
.LBB1592_71:
	s_or_b64 exec, exec, s[14:15]
.LBB1592_72:
	v_mul_lo_u32 v36, v19, s26
	v_mul_lo_u32 v37, v18, s27
	v_mad_u64_u32 v[34:35], s[14:15], v18, s26, 0
	v_add3_u32 v35, v35, v37, v36
	s_mov_b64 s[14:15], 0
	s_and_b64 vcc, exec, s[4:5]
	v_lshl_add_u64 v[36:37], v[34:35], 2, s[36:37]
	s_mov_b64 s[16:17], 0
	s_cbranch_vccnz .LBB1592_81
; %bb.73:
	global_load_dword v34, v[36:37], off
	global_load_dword v35, v[32:33], off
	s_mov_b64 s[16:17], -1
	s_waitcnt vmcnt(0)
	v_cmp_eq_u32_e32 vcc, v34, v35
	s_and_saveexec_b64 s[40:41], vcc
	s_cbranch_execz .LBB1592_80
; %bb.74:
	s_add_u32 s16, s26, -1
	v_lshl_add_u64 v[32:33], v[32:33], 0, 4
	v_lshl_add_u64 v[34:35], v[36:37], 0, 4
	s_addc_u32 s17, s27, -1
	s_mov_b64 s[42:43], 0
	s_mov_b64 s[46:47], 0
                                        ; implicit-def: $sgpr44_sgpr45
	s_branch .LBB1592_77
.LBB1592_75:                            ;   in Loop: Header=BB1592_77 Depth=1
	global_load_dword v38, v[34:35], off
	global_load_dword v39, v[32:33], off
	s_add_u32 s46, s46, 1
	s_addc_u32 s47, s47, 0
	s_andn2_b64 s[44:45], s[44:45], exec
	v_lshl_add_u64 v[32:33], v[32:33], 0, 4
	v_lshl_add_u64 v[34:35], v[34:35], 0, 4
	s_waitcnt vmcnt(0)
	v_cmp_ne_u32_e32 vcc, v38, v39
	s_and_b64 s[48:49], vcc, exec
	s_or_b64 s[44:45], s[44:45], s[48:49]
.LBB1592_76:                            ;   in Loop: Header=BB1592_77 Depth=1
	s_and_b64 s[48:49], exec, s[44:45]
	s_or_b64 s[42:43], s[48:49], s[42:43]
	v_mov_b64_e32 v[38:39], s[46:47]
	s_andn2_b64 exec, exec, s[42:43]
	s_cbranch_execz .LBB1592_79
.LBB1592_77:                            ; =>This Inner Loop Header: Depth=1
	s_or_b64 s[44:45], s[44:45], exec
	s_cmp_eq_u64 s[16:17], s[46:47]
	s_cbranch_scc0 .LBB1592_75
; %bb.78:                               ;   in Loop: Header=BB1592_77 Depth=1
                                        ; implicit-def: $vgpr32_vgpr33
                                        ; implicit-def: $vgpr34_vgpr35
	s_mov_b64 s[46:47], s[26:27]
	s_branch .LBB1592_76
.LBB1592_79:
	s_or_b64 exec, exec, s[42:43]
	v_cmp_gt_i64_e32 vcc, s[26:27], v[38:39]
	s_orn2_b64 s[16:17], vcc, exec
.LBB1592_80:
	s_or_b64 exec, exec, s[40:41]
.LBB1592_81:
	v_mul_lo_u32 v34, v25, s26
	v_mul_lo_u32 v35, v24, s27
	v_mad_u64_u32 v[32:33], s[40:41], v24, s26, 0
	v_add3_u32 v33, v33, v35, v34
	s_and_b64 vcc, exec, s[4:5]
	v_lshl_add_u64 v[34:35], v[32:33], 2, s[36:37]
	s_cbranch_vccnz .LBB1592_90
; %bb.82:
	global_load_dword v32, v[34:35], off
	global_load_dword v33, v[36:37], off
	s_mov_b64 s[14:15], -1
	s_waitcnt vmcnt(0)
	v_cmp_eq_u32_e32 vcc, v32, v33
	s_and_saveexec_b64 s[40:41], vcc
	s_cbranch_execz .LBB1592_89
; %bb.83:
	s_add_u32 s14, s26, -1
	v_lshl_add_u64 v[32:33], v[36:37], 0, 4
	v_lshl_add_u64 v[36:37], v[34:35], 0, 4
	s_addc_u32 s15, s27, -1
	s_mov_b64 s[42:43], 0
	s_mov_b64 s[46:47], 0
                                        ; implicit-def: $sgpr44_sgpr45
	s_branch .LBB1592_86
.LBB1592_84:                            ;   in Loop: Header=BB1592_86 Depth=1
	global_load_dword v38, v[36:37], off
	global_load_dword v39, v[32:33], off
	s_add_u32 s46, s46, 1
	s_addc_u32 s47, s47, 0
	s_andn2_b64 s[44:45], s[44:45], exec
	v_lshl_add_u64 v[32:33], v[32:33], 0, 4
	v_lshl_add_u64 v[36:37], v[36:37], 0, 4
	s_waitcnt vmcnt(0)
	v_cmp_ne_u32_e32 vcc, v38, v39
	s_and_b64 s[48:49], vcc, exec
	s_or_b64 s[44:45], s[44:45], s[48:49]
.LBB1592_85:                            ;   in Loop: Header=BB1592_86 Depth=1
	s_and_b64 s[48:49], exec, s[44:45]
	s_or_b64 s[42:43], s[48:49], s[42:43]
	v_mov_b64_e32 v[38:39], s[46:47]
	s_andn2_b64 exec, exec, s[42:43]
	s_cbranch_execz .LBB1592_88
.LBB1592_86:                            ; =>This Inner Loop Header: Depth=1
	s_or_b64 s[44:45], s[44:45], exec
	s_cmp_eq_u64 s[14:15], s[46:47]
	s_cbranch_scc0 .LBB1592_84
; %bb.87:                               ;   in Loop: Header=BB1592_86 Depth=1
                                        ; implicit-def: $vgpr32_vgpr33
                                        ; implicit-def: $vgpr36_vgpr37
	s_mov_b64 s[46:47], s[26:27]
	s_branch .LBB1592_85
.LBB1592_88:
	s_or_b64 exec, exec, s[42:43]
	v_cmp_gt_i64_e32 vcc, s[26:27], v[38:39]
	s_orn2_b64 s[14:15], vcc, exec
.LBB1592_89:
	s_or_b64 exec, exec, s[40:41]
.LBB1592_90:
	v_mul_lo_u32 v36, v23, s26
	v_mul_lo_u32 v37, v22, s27
	v_mad_u64_u32 v[32:33], s[40:41], v22, s26, 0
	v_add3_u32 v33, v33, v37, v36
	s_mov_b64 s[42:43], 0
	s_and_b64 vcc, exec, s[4:5]
	v_lshl_add_u64 v[32:33], v[32:33], 2, s[36:37]
	s_cbranch_vccnz .LBB1592_99
; %bb.91:
	global_load_dword v36, v[32:33], off
	global_load_dword v37, v[34:35], off
	s_mov_b64 s[42:43], -1
	s_waitcnt vmcnt(0)
	v_cmp_eq_u32_e32 vcc, v36, v37
	s_and_saveexec_b64 s[40:41], vcc
	s_cbranch_execz .LBB1592_98
; %bb.92:
	s_add_u32 s42, s26, -1
	v_lshl_add_u64 v[34:35], v[34:35], 0, 4
	v_lshl_add_u64 v[36:37], v[32:33], 0, 4
	s_addc_u32 s43, s27, -1
	s_mov_b64 s[44:45], 0
	s_mov_b64 s[48:49], 0
                                        ; implicit-def: $sgpr46_sgpr47
	s_branch .LBB1592_95
.LBB1592_93:                            ;   in Loop: Header=BB1592_95 Depth=1
	global_load_dword v38, v[36:37], off
	global_load_dword v39, v[34:35], off
	s_add_u32 s48, s48, 1
	s_addc_u32 s49, s49, 0
	s_andn2_b64 s[46:47], s[46:47], exec
	v_lshl_add_u64 v[34:35], v[34:35], 0, 4
	v_lshl_add_u64 v[36:37], v[36:37], 0, 4
	s_waitcnt vmcnt(0)
	v_cmp_ne_u32_e32 vcc, v38, v39
	s_and_b64 s[50:51], vcc, exec
	s_or_b64 s[46:47], s[46:47], s[50:51]
.LBB1592_94:                            ;   in Loop: Header=BB1592_95 Depth=1
	s_and_b64 s[50:51], exec, s[46:47]
	s_or_b64 s[44:45], s[50:51], s[44:45]
	v_mov_b64_e32 v[38:39], s[48:49]
	s_andn2_b64 exec, exec, s[44:45]
	s_cbranch_execz .LBB1592_97
.LBB1592_95:                            ; =>This Inner Loop Header: Depth=1
	s_or_b64 s[46:47], s[46:47], exec
	s_cmp_eq_u64 s[42:43], s[48:49]
	s_cbranch_scc0 .LBB1592_93
; %bb.96:                               ;   in Loop: Header=BB1592_95 Depth=1
                                        ; implicit-def: $vgpr34_vgpr35
                                        ; implicit-def: $vgpr36_vgpr37
	s_mov_b64 s[48:49], s[26:27]
	s_branch .LBB1592_94
.LBB1592_97:
	s_or_b64 exec, exec, s[44:45]
	v_cmp_gt_i64_e32 vcc, s[26:27], v[38:39]
	s_orn2_b64 s[42:43], vcc, exec
.LBB1592_98:
	s_or_b64 exec, exec, s[40:41]
.LBB1592_99:
	s_waitcnt vmcnt(0)
	v_mov_b64_e32 v[34:35], v[30:31]
	s_waitcnt lgkmcnt(0)
	s_barrier
	s_and_saveexec_b64 s[40:41], s[2:3]
	s_cbranch_execz .LBB1592_101
; %bb.100:
	v_add_u32_e32 v34, -8, v47
	ds_read_b64 v[34:35], v34
.LBB1592_101:
	s_or_b64 exec, exec, s[40:41]
	v_cndmask_b32_e64 v37, 0, 1, s[16:17]
	v_cndmask_b32_e64 v36, 0, 1, s[14:15]
	;; [unrolled: 1-line block ×3, first 2 shown]
	v_lshlrev_b16_e32 v37, 8, v37
	v_lshlrev_b16_e32 v38, 8, v38
	v_or_b32_sdwa v50, v36, v37 dst_sel:WORD_1 dst_unused:UNUSED_PAD src0_sel:DWORD src1_sel:DWORD
	s_mov_b64 s[16:17], 0
	s_and_b64 vcc, exec, s[4:5]
	s_mov_b64 s[14:15], 0
	s_cbranch_vccnz .LBB1592_110
; %bb.102:
	s_waitcnt lgkmcnt(0)
	v_mul_lo_u32 v36, v35, s26
	v_mul_lo_u32 v37, v34, s27
	v_mad_u64_u32 v[34:35], s[14:15], v34, s26, 0
	v_add3_u32 v35, v35, v37, v36
	v_lshl_add_u64 v[34:35], v[34:35], 2, s[36:37]
	global_load_dword v36, v[34:35], off
	global_load_dword v37, v[32:33], off
	s_mov_b64 s[14:15], -1
	s_waitcnt vmcnt(0)
	v_cmp_eq_u32_e32 vcc, v36, v37
	s_and_saveexec_b64 s[40:41], vcc
	s_cbranch_execz .LBB1592_109
; %bb.103:
	s_add_u32 s14, s26, -1
	v_lshl_add_u64 v[32:33], v[32:33], 0, 4
	v_lshl_add_u64 v[34:35], v[34:35], 0, 4
	s_addc_u32 s15, s27, -1
	s_mov_b64 s[42:43], 0
	s_mov_b64 s[46:47], 0
                                        ; implicit-def: $sgpr44_sgpr45
	s_branch .LBB1592_106
.LBB1592_104:                           ;   in Loop: Header=BB1592_106 Depth=1
	global_load_dword v36, v[34:35], off
	global_load_dword v37, v[32:33], off
	s_add_u32 s46, s46, 1
	s_addc_u32 s47, s47, 0
	s_andn2_b64 s[44:45], s[44:45], exec
	v_lshl_add_u64 v[32:33], v[32:33], 0, 4
	v_lshl_add_u64 v[34:35], v[34:35], 0, 4
	s_waitcnt vmcnt(0)
	v_cmp_ne_u32_e32 vcc, v36, v37
	s_and_b64 s[48:49], vcc, exec
	s_or_b64 s[44:45], s[44:45], s[48:49]
.LBB1592_105:                           ;   in Loop: Header=BB1592_106 Depth=1
	s_and_b64 s[48:49], exec, s[44:45]
	s_or_b64 s[42:43], s[48:49], s[42:43]
	v_mov_b64_e32 v[36:37], s[46:47]
	s_andn2_b64 exec, exec, s[42:43]
	s_cbranch_execz .LBB1592_108
.LBB1592_106:                           ; =>This Inner Loop Header: Depth=1
	s_or_b64 s[44:45], s[44:45], exec
	s_cmp_eq_u64 s[14:15], s[46:47]
	s_cbranch_scc0 .LBB1592_104
; %bb.107:                              ;   in Loop: Header=BB1592_106 Depth=1
                                        ; implicit-def: $vgpr32_vgpr33
                                        ; implicit-def: $vgpr34_vgpr35
	s_mov_b64 s[46:47], s[26:27]
	s_branch .LBB1592_105
.LBB1592_108:
	s_or_b64 exec, exec, s[42:43]
	v_cmp_gt_i64_e32 vcc, s[26:27], v[36:37]
	s_orn2_b64 s[14:15], vcc, exec
.LBB1592_109:
	s_or_b64 exec, exec, s[40:41]
.LBB1592_110:
	v_cndmask_b32_e64 v39, 0, 1, s[10:11]
	v_cndmask_b32_e64 v48, 0, 1, s[12:13]
	;; [unrolled: 1-line block ×3, first 2 shown]
	s_waitcnt lgkmcnt(0)
	v_or_b32_e32 v34, v38, v50
	s_and_b64 vcc, exec, s[16:17]
	s_cbranch_vccz .LBB1592_191
.LBB1592_111:
	v_cmp_gt_u32_e32 vcc, s54, v42
	s_mov_b64 s[10:11], 0
	s_mov_b64 s[6:7], 0
	s_and_saveexec_b64 s[12:13], vcc
	s_cbranch_execz .LBB1592_122
; %bb.112:
	s_and_b64 vcc, exec, s[4:5]
	s_mov_b64 s[14:15], 0
	s_cbranch_vccnz .LBB1592_121
; %bb.113:
	v_mul_lo_u32 v34, v17, s26
	v_mul_lo_u32 v35, v16, s27
	v_mad_u64_u32 v[32:33], s[6:7], v16, s26, 0
	v_add3_u32 v33, v33, v35, v34
	v_mul_lo_u32 v34, v29, s26
	v_mul_lo_u32 v35, v28, s27
	v_mad_u64_u32 v[36:37], s[6:7], v28, s26, 0
	v_add3_u32 v37, v37, v35, v34
	v_lshl_add_u64 v[34:35], v[32:33], 2, s[36:37]
	v_lshl_add_u64 v[32:33], v[36:37], 2, s[36:37]
	global_load_dword v36, v[34:35], off
	global_load_dword v37, v[32:33], off
	s_mov_b64 s[14:15], -1
	s_waitcnt vmcnt(0)
	v_cmp_eq_u32_e32 vcc, v36, v37
	s_and_saveexec_b64 s[6:7], vcc
	s_cbranch_execz .LBB1592_120
; %bb.114:
	s_add_u32 s14, s26, -1
	v_lshl_add_u64 v[32:33], v[32:33], 0, 4
	v_lshl_add_u64 v[34:35], v[34:35], 0, 4
	s_addc_u32 s15, s27, -1
	s_mov_b64 s[16:17], 0
	s_mov_b64 s[42:43], 0
                                        ; implicit-def: $sgpr40_sgpr41
	s_branch .LBB1592_117
.LBB1592_115:                           ;   in Loop: Header=BB1592_117 Depth=1
	global_load_dword v36, v[34:35], off
	global_load_dword v37, v[32:33], off
	s_add_u32 s42, s42, 1
	s_addc_u32 s43, s43, 0
	s_andn2_b64 s[40:41], s[40:41], exec
	v_lshl_add_u64 v[32:33], v[32:33], 0, 4
	v_lshl_add_u64 v[34:35], v[34:35], 0, 4
	s_waitcnt vmcnt(0)
	v_cmp_ne_u32_e32 vcc, v36, v37
	s_and_b64 s[44:45], vcc, exec
	s_or_b64 s[40:41], s[40:41], s[44:45]
.LBB1592_116:                           ;   in Loop: Header=BB1592_117 Depth=1
	s_and_b64 s[44:45], exec, s[40:41]
	s_or_b64 s[16:17], s[44:45], s[16:17]
	v_mov_b64_e32 v[36:37], s[42:43]
	s_andn2_b64 exec, exec, s[16:17]
	s_cbranch_execz .LBB1592_119
.LBB1592_117:                           ; =>This Inner Loop Header: Depth=1
	s_or_b64 s[40:41], s[40:41], exec
	s_cmp_eq_u64 s[14:15], s[42:43]
	s_cbranch_scc0 .LBB1592_115
; %bb.118:                              ;   in Loop: Header=BB1592_117 Depth=1
                                        ; implicit-def: $vgpr32_vgpr33
                                        ; implicit-def: $vgpr34_vgpr35
	s_mov_b64 s[42:43], s[26:27]
	s_branch .LBB1592_116
.LBB1592_119:
	s_or_b64 exec, exec, s[16:17]
	v_cmp_gt_i64_e32 vcc, s[26:27], v[36:37]
	s_orn2_b64 s[14:15], vcc, exec
.LBB1592_120:
	s_or_b64 exec, exec, s[6:7]
.LBB1592_121:
	s_and_b64 s[6:7], s[14:15], exec
.LBB1592_122:
	s_or_b64 exec, exec, s[12:13]
	v_cmp_gt_u32_e32 vcc, s54, v45
	s_and_saveexec_b64 s[12:13], vcc
	s_cbranch_execz .LBB1592_133
; %bb.123:
	s_and_b64 vcc, exec, s[4:5]
	s_mov_b64 s[14:15], 0
	s_cbranch_vccnz .LBB1592_132
; %bb.124:
	v_mul_lo_u32 v34, v15, s26
	v_mul_lo_u32 v35, v14, s27
	v_mad_u64_u32 v[32:33], s[10:11], v14, s26, 0
	v_add3_u32 v33, v33, v35, v34
	v_mul_lo_u32 v34, v17, s26
	v_mul_lo_u32 v35, v16, s27
	v_mad_u64_u32 v[36:37], s[10:11], v16, s26, 0
	v_add3_u32 v37, v37, v35, v34
	v_lshl_add_u64 v[34:35], v[32:33], 2, s[36:37]
	v_lshl_add_u64 v[32:33], v[36:37], 2, s[36:37]
	global_load_dword v36, v[34:35], off
	global_load_dword v37, v[32:33], off
	s_mov_b64 s[14:15], -1
	s_waitcnt vmcnt(0)
	v_cmp_eq_u32_e32 vcc, v36, v37
	s_and_saveexec_b64 s[10:11], vcc
	s_cbranch_execz .LBB1592_131
; %bb.125:
	s_add_u32 s14, s26, -1
	v_lshl_add_u64 v[32:33], v[32:33], 0, 4
	v_lshl_add_u64 v[34:35], v[34:35], 0, 4
	s_addc_u32 s15, s27, -1
	s_mov_b64 s[16:17], 0
	s_mov_b64 s[42:43], 0
                                        ; implicit-def: $sgpr40_sgpr41
	s_branch .LBB1592_128
.LBB1592_126:                           ;   in Loop: Header=BB1592_128 Depth=1
	global_load_dword v36, v[34:35], off
	global_load_dword v37, v[32:33], off
	s_add_u32 s42, s42, 1
	s_addc_u32 s43, s43, 0
	s_andn2_b64 s[40:41], s[40:41], exec
	v_lshl_add_u64 v[32:33], v[32:33], 0, 4
	v_lshl_add_u64 v[34:35], v[34:35], 0, 4
	s_waitcnt vmcnt(0)
	v_cmp_ne_u32_e32 vcc, v36, v37
	s_and_b64 s[44:45], vcc, exec
	s_or_b64 s[40:41], s[40:41], s[44:45]
.LBB1592_127:                           ;   in Loop: Header=BB1592_128 Depth=1
	s_and_b64 s[44:45], exec, s[40:41]
	s_or_b64 s[16:17], s[44:45], s[16:17]
	v_mov_b64_e32 v[36:37], s[42:43]
	s_andn2_b64 exec, exec, s[16:17]
	s_cbranch_execz .LBB1592_130
.LBB1592_128:                           ; =>This Inner Loop Header: Depth=1
	s_or_b64 s[40:41], s[40:41], exec
	s_cmp_eq_u64 s[14:15], s[42:43]
	s_cbranch_scc0 .LBB1592_126
; %bb.129:                              ;   in Loop: Header=BB1592_128 Depth=1
                                        ; implicit-def: $vgpr32_vgpr33
                                        ; implicit-def: $vgpr34_vgpr35
	s_mov_b64 s[42:43], s[26:27]
	s_branch .LBB1592_127
.LBB1592_130:
	s_or_b64 exec, exec, s[16:17]
	v_cmp_gt_i64_e32 vcc, s[26:27], v[36:37]
	s_orn2_b64 s[14:15], vcc, exec
.LBB1592_131:
	s_or_b64 exec, exec, s[10:11]
.LBB1592_132:
	s_and_b64 s[10:11], s[14:15], exec
.LBB1592_133:
	s_or_b64 exec, exec, s[12:13]
	v_cmp_gt_u32_e32 vcc, s54, v41
	s_mov_b64 s[14:15], 0
	s_mov_b64 s[12:13], 0
	s_and_saveexec_b64 s[16:17], vcc
	s_cbranch_execz .LBB1592_144
; %bb.134:
	s_and_b64 vcc, exec, s[4:5]
	s_mov_b64 s[40:41], 0
	s_cbranch_vccnz .LBB1592_143
; %bb.135:
	v_mul_lo_u32 v34, v21, s26
	v_mul_lo_u32 v35, v20, s27
	v_mad_u64_u32 v[32:33], s[12:13], v20, s26, 0
	v_add3_u32 v33, v33, v35, v34
	v_mul_lo_u32 v34, v15, s26
	v_mul_lo_u32 v35, v14, s27
	v_mad_u64_u32 v[36:37], s[12:13], v14, s26, 0
	v_add3_u32 v37, v37, v35, v34
	v_lshl_add_u64 v[34:35], v[32:33], 2, s[36:37]
	v_lshl_add_u64 v[32:33], v[36:37], 2, s[36:37]
	global_load_dword v36, v[34:35], off
	global_load_dword v37, v[32:33], off
	s_mov_b64 s[40:41], -1
	s_waitcnt vmcnt(0)
	v_cmp_eq_u32_e32 vcc, v36, v37
	s_and_saveexec_b64 s[12:13], vcc
	s_cbranch_execz .LBB1592_142
; %bb.136:
	s_add_u32 s40, s26, -1
	v_lshl_add_u64 v[32:33], v[32:33], 0, 4
	v_lshl_add_u64 v[34:35], v[34:35], 0, 4
	s_addc_u32 s41, s27, -1
	s_mov_b64 s[42:43], 0
	s_mov_b64 s[46:47], 0
                                        ; implicit-def: $sgpr44_sgpr45
	s_branch .LBB1592_139
.LBB1592_137:                           ;   in Loop: Header=BB1592_139 Depth=1
	global_load_dword v36, v[34:35], off
	global_load_dword v37, v[32:33], off
	s_add_u32 s46, s46, 1
	s_addc_u32 s47, s47, 0
	s_andn2_b64 s[44:45], s[44:45], exec
	v_lshl_add_u64 v[32:33], v[32:33], 0, 4
	v_lshl_add_u64 v[34:35], v[34:35], 0, 4
	s_waitcnt vmcnt(0)
	v_cmp_ne_u32_e32 vcc, v36, v37
	s_and_b64 s[48:49], vcc, exec
	s_or_b64 s[44:45], s[44:45], s[48:49]
.LBB1592_138:                           ;   in Loop: Header=BB1592_139 Depth=1
	s_and_b64 s[48:49], exec, s[44:45]
	s_or_b64 s[42:43], s[48:49], s[42:43]
	v_mov_b64_e32 v[36:37], s[46:47]
	s_andn2_b64 exec, exec, s[42:43]
	s_cbranch_execz .LBB1592_141
.LBB1592_139:                           ; =>This Inner Loop Header: Depth=1
	s_or_b64 s[44:45], s[44:45], exec
	s_cmp_eq_u64 s[40:41], s[46:47]
	s_cbranch_scc0 .LBB1592_137
; %bb.140:                              ;   in Loop: Header=BB1592_139 Depth=1
                                        ; implicit-def: $vgpr32_vgpr33
                                        ; implicit-def: $vgpr34_vgpr35
	s_mov_b64 s[46:47], s[26:27]
	s_branch .LBB1592_138
.LBB1592_141:
	s_or_b64 exec, exec, s[42:43]
	v_cmp_gt_i64_e32 vcc, s[26:27], v[36:37]
	s_orn2_b64 s[40:41], vcc, exec
.LBB1592_142:
	s_or_b64 exec, exec, s[12:13]
.LBB1592_143:
	s_and_b64 s[12:13], s[40:41], exec
.LBB1592_144:
	s_or_b64 exec, exec, s[16:17]
	v_cmp_gt_u32_e32 vcc, s54, v44
	s_and_saveexec_b64 s[16:17], vcc
	s_cbranch_execz .LBB1592_155
; %bb.145:
	s_and_b64 vcc, exec, s[4:5]
	s_mov_b64 s[40:41], 0
	s_cbranch_vccnz .LBB1592_154
; %bb.146:
	v_mul_lo_u32 v34, v19, s26
	v_mul_lo_u32 v35, v18, s27
	v_mad_u64_u32 v[32:33], s[14:15], v18, s26, 0
	v_add3_u32 v33, v33, v35, v34
	v_mul_lo_u32 v34, v21, s26
	v_mul_lo_u32 v35, v20, s27
	v_mad_u64_u32 v[36:37], s[14:15], v20, s26, 0
	v_add3_u32 v37, v37, v35, v34
	v_lshl_add_u64 v[34:35], v[32:33], 2, s[36:37]
	v_lshl_add_u64 v[32:33], v[36:37], 2, s[36:37]
	global_load_dword v36, v[34:35], off
	global_load_dword v37, v[32:33], off
	s_mov_b64 s[40:41], -1
	s_waitcnt vmcnt(0)
	v_cmp_eq_u32_e32 vcc, v36, v37
	s_and_saveexec_b64 s[14:15], vcc
	s_cbranch_execz .LBB1592_153
; %bb.147:
	s_add_u32 s40, s26, -1
	v_lshl_add_u64 v[32:33], v[32:33], 0, 4
	v_lshl_add_u64 v[34:35], v[34:35], 0, 4
	s_addc_u32 s41, s27, -1
	s_mov_b64 s[42:43], 0
	s_mov_b64 s[46:47], 0
                                        ; implicit-def: $sgpr44_sgpr45
	s_branch .LBB1592_150
.LBB1592_148:                           ;   in Loop: Header=BB1592_150 Depth=1
	global_load_dword v36, v[34:35], off
	global_load_dword v37, v[32:33], off
	s_add_u32 s46, s46, 1
	s_addc_u32 s47, s47, 0
	s_andn2_b64 s[44:45], s[44:45], exec
	v_lshl_add_u64 v[32:33], v[32:33], 0, 4
	v_lshl_add_u64 v[34:35], v[34:35], 0, 4
	s_waitcnt vmcnt(0)
	v_cmp_ne_u32_e32 vcc, v36, v37
	s_and_b64 s[48:49], vcc, exec
	s_or_b64 s[44:45], s[44:45], s[48:49]
.LBB1592_149:                           ;   in Loop: Header=BB1592_150 Depth=1
	s_and_b64 s[48:49], exec, s[44:45]
	s_or_b64 s[42:43], s[48:49], s[42:43]
	v_mov_b64_e32 v[36:37], s[46:47]
	s_andn2_b64 exec, exec, s[42:43]
	s_cbranch_execz .LBB1592_152
.LBB1592_150:                           ; =>This Inner Loop Header: Depth=1
	s_or_b64 s[44:45], s[44:45], exec
	s_cmp_eq_u64 s[40:41], s[46:47]
	s_cbranch_scc0 .LBB1592_148
; %bb.151:                              ;   in Loop: Header=BB1592_150 Depth=1
                                        ; implicit-def: $vgpr32_vgpr33
                                        ; implicit-def: $vgpr34_vgpr35
	s_mov_b64 s[46:47], s[26:27]
	s_branch .LBB1592_149
.LBB1592_152:
	s_or_b64 exec, exec, s[42:43]
	v_cmp_gt_i64_e32 vcc, s[26:27], v[36:37]
	s_orn2_b64 s[40:41], vcc, exec
.LBB1592_153:
	s_or_b64 exec, exec, s[14:15]
.LBB1592_154:
	s_and_b64 s[14:15], s[40:41], exec
.LBB1592_155:
	s_or_b64 exec, exec, s[16:17]
	v_cmp_gt_u32_e32 vcc, s54, v40
	s_mov_b64 s[16:17], 0
	s_mov_b64 s[40:41], 0
	s_and_saveexec_b64 s[42:43], vcc
	s_cbranch_execz .LBB1592_166
; %bb.156:
	s_and_b64 vcc, exec, s[4:5]
	s_mov_b64 s[44:45], 0
	s_cbranch_vccnz .LBB1592_165
; %bb.157:
	v_mul_lo_u32 v34, v25, s26
	v_mul_lo_u32 v35, v24, s27
	v_mad_u64_u32 v[32:33], s[40:41], v24, s26, 0
	v_add3_u32 v33, v33, v35, v34
	v_mul_lo_u32 v34, v19, s26
	v_mul_lo_u32 v35, v18, s27
	v_mad_u64_u32 v[36:37], s[40:41], v18, s26, 0
	v_add3_u32 v37, v37, v35, v34
	v_lshl_add_u64 v[34:35], v[32:33], 2, s[36:37]
	v_lshl_add_u64 v[32:33], v[36:37], 2, s[36:37]
	global_load_dword v36, v[34:35], off
	global_load_dword v37, v[32:33], off
	s_mov_b64 s[44:45], -1
	s_waitcnt vmcnt(0)
	v_cmp_eq_u32_e32 vcc, v36, v37
	s_and_saveexec_b64 s[40:41], vcc
	s_cbranch_execz .LBB1592_164
; %bb.158:
	s_add_u32 s44, s26, -1
	v_lshl_add_u64 v[32:33], v[32:33], 0, 4
	v_lshl_add_u64 v[34:35], v[34:35], 0, 4
	s_addc_u32 s45, s27, -1
	s_mov_b64 s[46:47], 0
	s_mov_b64 s[50:51], 0
                                        ; implicit-def: $sgpr48_sgpr49
	s_branch .LBB1592_161
.LBB1592_159:                           ;   in Loop: Header=BB1592_161 Depth=1
	global_load_dword v36, v[34:35], off
	global_load_dword v37, v[32:33], off
	s_add_u32 s50, s50, 1
	s_addc_u32 s51, s51, 0
	s_andn2_b64 s[48:49], s[48:49], exec
	v_lshl_add_u64 v[32:33], v[32:33], 0, 4
	v_lshl_add_u64 v[34:35], v[34:35], 0, 4
	s_waitcnt vmcnt(0)
	v_cmp_ne_u32_e32 vcc, v36, v37
	s_and_b64 s[52:53], vcc, exec
	s_or_b64 s[48:49], s[48:49], s[52:53]
.LBB1592_160:                           ;   in Loop: Header=BB1592_161 Depth=1
	s_and_b64 s[52:53], exec, s[48:49]
	s_or_b64 s[46:47], s[52:53], s[46:47]
	v_mov_b64_e32 v[36:37], s[50:51]
	s_andn2_b64 exec, exec, s[46:47]
	s_cbranch_execz .LBB1592_163
.LBB1592_161:                           ; =>This Inner Loop Header: Depth=1
	s_or_b64 s[48:49], s[48:49], exec
	s_cmp_eq_u64 s[44:45], s[50:51]
	s_cbranch_scc0 .LBB1592_159
; %bb.162:                              ;   in Loop: Header=BB1592_161 Depth=1
                                        ; implicit-def: $vgpr32_vgpr33
                                        ; implicit-def: $vgpr34_vgpr35
	s_mov_b64 s[50:51], s[26:27]
	s_branch .LBB1592_160
.LBB1592_163:
	s_or_b64 exec, exec, s[46:47]
	v_cmp_gt_i64_e32 vcc, s[26:27], v[36:37]
	s_orn2_b64 s[44:45], vcc, exec
.LBB1592_164:
	s_or_b64 exec, exec, s[40:41]
.LBB1592_165:
	s_and_b64 s[40:41], s[44:45], exec
.LBB1592_166:
	s_or_b64 exec, exec, s[42:43]
	v_cmp_gt_u32_e32 vcc, s54, v43
	s_and_saveexec_b64 s[42:43], vcc
	s_cbranch_execz .LBB1592_177
; %bb.167:
	s_and_b64 vcc, exec, s[4:5]
	s_mov_b64 s[44:45], 0
	s_cbranch_vccnz .LBB1592_176
; %bb.168:
	v_mul_lo_u32 v34, v23, s26
	v_mul_lo_u32 v35, v22, s27
	v_mad_u64_u32 v[32:33], s[16:17], v22, s26, 0
	v_add3_u32 v33, v33, v35, v34
	v_mul_lo_u32 v34, v25, s26
	v_mul_lo_u32 v35, v24, s27
	v_mad_u64_u32 v[36:37], s[16:17], v24, s26, 0
	v_add3_u32 v37, v37, v35, v34
	v_lshl_add_u64 v[34:35], v[32:33], 2, s[36:37]
	v_lshl_add_u64 v[32:33], v[36:37], 2, s[36:37]
	global_load_dword v36, v[34:35], off
	global_load_dword v37, v[32:33], off
	s_mov_b64 s[44:45], -1
	s_waitcnt vmcnt(0)
	v_cmp_eq_u32_e32 vcc, v36, v37
	s_and_saveexec_b64 s[16:17], vcc
	s_cbranch_execz .LBB1592_175
; %bb.169:
	s_add_u32 s44, s26, -1
	v_lshl_add_u64 v[32:33], v[32:33], 0, 4
	v_lshl_add_u64 v[34:35], v[34:35], 0, 4
	s_addc_u32 s45, s27, -1
	s_mov_b64 s[46:47], 0
	s_mov_b64 s[50:51], 0
                                        ; implicit-def: $sgpr48_sgpr49
	s_branch .LBB1592_172
.LBB1592_170:                           ;   in Loop: Header=BB1592_172 Depth=1
	global_load_dword v36, v[34:35], off
	global_load_dword v37, v[32:33], off
	s_add_u32 s50, s50, 1
	s_addc_u32 s51, s51, 0
	s_andn2_b64 s[48:49], s[48:49], exec
	v_lshl_add_u64 v[32:33], v[32:33], 0, 4
	v_lshl_add_u64 v[34:35], v[34:35], 0, 4
	s_waitcnt vmcnt(0)
	v_cmp_ne_u32_e32 vcc, v36, v37
	s_and_b64 s[52:53], vcc, exec
	s_or_b64 s[48:49], s[48:49], s[52:53]
.LBB1592_171:                           ;   in Loop: Header=BB1592_172 Depth=1
	s_and_b64 s[52:53], exec, s[48:49]
	s_or_b64 s[46:47], s[52:53], s[46:47]
	v_mov_b64_e32 v[36:37], s[50:51]
	s_andn2_b64 exec, exec, s[46:47]
	s_cbranch_execz .LBB1592_174
.LBB1592_172:                           ; =>This Inner Loop Header: Depth=1
	s_or_b64 s[48:49], s[48:49], exec
	s_cmp_eq_u64 s[44:45], s[50:51]
	s_cbranch_scc0 .LBB1592_170
; %bb.173:                              ;   in Loop: Header=BB1592_172 Depth=1
                                        ; implicit-def: $vgpr32_vgpr33
                                        ; implicit-def: $vgpr34_vgpr35
	s_mov_b64 s[50:51], s[26:27]
	s_branch .LBB1592_171
.LBB1592_174:
	s_or_b64 exec, exec, s[46:47]
	v_cmp_gt_i64_e32 vcc, s[26:27], v[36:37]
	s_orn2_b64 s[44:45], vcc, exec
.LBB1592_175:
	s_or_b64 exec, exec, s[16:17]
.LBB1592_176:
	s_and_b64 s[16:17], s[44:45], exec
.LBB1592_177:
	s_or_b64 exec, exec, s[42:43]
	s_waitcnt lgkmcnt(0)
	s_barrier
	s_and_saveexec_b64 s[42:43], s[2:3]
	s_cbranch_execz .LBB1592_179
; %bb.178:
	s_waitcnt vmcnt(0)
	v_add_u32_e32 v30, -8, v47
	ds_read_b64 v[30:31], v30
.LBB1592_179:
	s_or_b64 exec, exec, s[42:43]
	v_cndmask_b32_e64 v33, 0, 1, s[14:15]
	v_cndmask_b32_e64 v32, 0, 1, s[40:41]
	;; [unrolled: 1-line block ×3, first 2 shown]
	v_lshlrev_b16_e32 v33, 8, v33
	v_cmp_gt_u32_e32 vcc, s54, v1
	v_lshlrev_b16_e32 v36, 8, v34
	v_or_b32_sdwa v37, v32, v33 dst_sel:WORD_1 dst_unused:UNUSED_PAD src0_sel:DWORD src1_sel:DWORD
	s_mov_b64 s[14:15], 0
	s_and_saveexec_b64 s[16:17], vcc
	s_cbranch_execz .LBB1592_190
; %bb.180:
	s_and_b64 vcc, exec, s[4:5]
	s_cbranch_vccnz .LBB1592_189
; %bb.181:
	s_waitcnt vmcnt(0) lgkmcnt(0)
	v_mul_lo_u32 v32, v31, s26
	v_mul_lo_u32 v33, v30, s27
	v_mad_u64_u32 v[30:31], s[4:5], v30, s26, 0
	v_add3_u32 v31, v31, v33, v32
	v_mul_lo_u32 v32, v23, s26
	v_mul_lo_u32 v33, v22, s27
	v_mad_u64_u32 v[34:35], s[4:5], v22, s26, 0
	v_add3_u32 v35, v35, v33, v32
	v_lshl_add_u64 v[32:33], v[30:31], 2, s[36:37]
	v_lshl_add_u64 v[30:31], v[34:35], 2, s[36:37]
	global_load_dword v34, v[32:33], off
	global_load_dword v35, v[30:31], off
	s_mov_b64 s[14:15], -1
	s_waitcnt vmcnt(0)
	v_cmp_eq_u32_e32 vcc, v34, v35
	s_and_saveexec_b64 s[4:5], vcc
	s_cbranch_execz .LBB1592_188
; %bb.182:
	s_add_u32 s14, s26, -1
	v_lshl_add_u64 v[30:31], v[30:31], 0, 4
	v_lshl_add_u64 v[32:33], v[32:33], 0, 4
	s_addc_u32 s15, s27, -1
	s_mov_b64 s[40:41], 0
	s_mov_b64 s[44:45], 0
                                        ; implicit-def: $sgpr42_sgpr43
	s_branch .LBB1592_185
.LBB1592_183:                           ;   in Loop: Header=BB1592_185 Depth=1
	global_load_dword v34, v[32:33], off
	global_load_dword v35, v[30:31], off
	s_add_u32 s44, s44, 1
	s_addc_u32 s45, s45, 0
	s_andn2_b64 s[42:43], s[42:43], exec
	v_lshl_add_u64 v[30:31], v[30:31], 0, 4
	v_lshl_add_u64 v[32:33], v[32:33], 0, 4
	s_waitcnt vmcnt(0)
	v_cmp_ne_u32_e32 vcc, v34, v35
	s_and_b64 s[46:47], vcc, exec
	s_or_b64 s[42:43], s[42:43], s[46:47]
.LBB1592_184:                           ;   in Loop: Header=BB1592_185 Depth=1
	s_and_b64 s[46:47], exec, s[42:43]
	s_or_b64 s[40:41], s[46:47], s[40:41]
	v_mov_b64_e32 v[34:35], s[44:45]
	s_andn2_b64 exec, exec, s[40:41]
	s_cbranch_execz .LBB1592_187
.LBB1592_185:                           ; =>This Inner Loop Header: Depth=1
	s_or_b64 s[42:43], s[42:43], exec
	s_cmp_eq_u64 s[14:15], s[44:45]
	s_cbranch_scc0 .LBB1592_183
; %bb.186:                              ;   in Loop: Header=BB1592_185 Depth=1
                                        ; implicit-def: $vgpr30_vgpr31
                                        ; implicit-def: $vgpr32_vgpr33
	s_mov_b64 s[44:45], s[26:27]
	s_branch .LBB1592_184
.LBB1592_187:
	s_or_b64 exec, exec, s[40:41]
	v_cmp_gt_i64_e32 vcc, s[26:27], v[34:35]
	s_orn2_b64 s[14:15], vcc, exec
.LBB1592_188:
	s_or_b64 exec, exec, s[4:5]
.LBB1592_189:
	s_and_b64 s[14:15], s[14:15], exec
.LBB1592_190:
	s_or_b64 exec, exec, s[16:17]
	v_cndmask_b32_e64 v39, 0, 1, s[12:13]
	v_cndmask_b32_e64 v48, 0, 1, s[10:11]
	;; [unrolled: 1-line block ×3, first 2 shown]
	v_or_b32_e32 v34, v36, v37
.LBB1592_191:
	s_mov_b64 s[10:11], -1
	s_cbranch_execnz .LBB1592_50
.LBB1592_192:
	s_movk_i32 s4, 0xffd0
	v_mad_i32_i24 v38, v0, s4, v46
	s_mov_b64 s[12:13], 0
	v_cmp_gt_i64_e64 s[6:7], s[26:27], 0
	s_and_b64 vcc, exec, s[34:35]
	ds_write_b64 v38, v[28:29]
	s_cbranch_vccz .LBB1592_200
; %bb.193:
	v_mul_lo_u32 v32, v17, s26
	v_mul_lo_u32 v33, v16, s27
	s_waitcnt vmcnt(0) lgkmcnt(1)
	v_mad_u64_u32 v[30:31], s[4:5], v16, s26, 0
	v_add3_u32 v31, v31, v33, v32
	v_cndmask_b32_e64 v32, 0, 1, s[6:7]
	v_cmp_ne_u32_e64 s[4:5], 1, v32
	s_andn2_b64 vcc, exec, s[6:7]
	v_lshl_add_u64 v[30:31], v[30:31], 2, s[36:37]
	s_cbranch_vccnz .LBB1592_203
; %bb.194:
	v_mul_lo_u32 v34, v29, s26
	v_mul_lo_u32 v35, v28, s27
	v_mad_u64_u32 v[32:33], s[12:13], v28, s26, 0
	v_add3_u32 v33, v33, v35, v34
	v_lshl_add_u64 v[32:33], v[32:33], 2, s[36:37]
	global_load_dword v34, v[30:31], off
	global_load_dword v35, v[32:33], off
	s_mov_b64 s[12:13], -1
	s_waitcnt vmcnt(0)
	v_cmp_eq_u32_e32 vcc, v34, v35
	s_and_saveexec_b64 s[14:15], vcc
	s_cbranch_execz .LBB1592_202
; %bb.195:
	s_add_u32 s12, s26, -1
	v_lshl_add_u64 v[32:33], v[32:33], 0, 4
	v_lshl_add_u64 v[34:35], v[30:31], 0, 4
	s_addc_u32 s13, s27, -1
	s_mov_b64 s[16:17], 0
	s_mov_b64 s[42:43], 0
                                        ; implicit-def: $sgpr40_sgpr41
	s_branch .LBB1592_198
.LBB1592_196:                           ;   in Loop: Header=BB1592_198 Depth=1
	global_load_dword v36, v[34:35], off
	global_load_dword v37, v[32:33], off
	s_add_u32 s42, s42, 1
	s_addc_u32 s43, s43, 0
	s_andn2_b64 s[40:41], s[40:41], exec
	v_lshl_add_u64 v[32:33], v[32:33], 0, 4
	v_lshl_add_u64 v[34:35], v[34:35], 0, 4
	s_waitcnt vmcnt(0)
	v_cmp_ne_u32_e32 vcc, v36, v37
	s_and_b64 s[44:45], vcc, exec
	s_or_b64 s[40:41], s[40:41], s[44:45]
.LBB1592_197:                           ;   in Loop: Header=BB1592_198 Depth=1
	s_and_b64 s[44:45], exec, s[40:41]
	s_or_b64 s[16:17], s[44:45], s[16:17]
	v_mov_b64_e32 v[36:37], s[42:43]
	s_andn2_b64 exec, exec, s[16:17]
	s_cbranch_execz .LBB1592_201
.LBB1592_198:                           ; =>This Inner Loop Header: Depth=1
	s_or_b64 s[40:41], s[40:41], exec
	s_cmp_eq_u64 s[12:13], s[42:43]
	s_cbranch_scc0 .LBB1592_196
; %bb.199:                              ;   in Loop: Header=BB1592_198 Depth=1
                                        ; implicit-def: $vgpr32_vgpr33
                                        ; implicit-def: $vgpr34_vgpr35
	s_mov_b64 s[42:43], s[26:27]
	s_branch .LBB1592_197
.LBB1592_200:
                                        ; implicit-def: $sgpr14_sgpr15
                                        ; implicit-def: $vgpr49
                                        ; implicit-def: $vgpr48
                                        ; implicit-def: $vgpr39
                                        ; implicit-def: $vgpr34
                                        ; implicit-def: $vgpr30_vgpr31
	s_cbranch_execnz .LBB1592_260
	s_branch .LBB1592_340
.LBB1592_201:
	s_or_b64 exec, exec, s[16:17]
	v_cmp_gt_i64_e32 vcc, s[26:27], v[36:37]
	s_orn2_b64 s[12:13], vcc, exec
.LBB1592_202:
	s_or_b64 exec, exec, s[14:15]
.LBB1592_203:
	v_mul_lo_u32 v34, v15, s26
	v_mul_lo_u32 v35, v14, s27
	v_mad_u64_u32 v[32:33], s[14:15], v14, s26, 0
	v_add3_u32 v33, v33, v35, v34
	s_mov_b64 s[14:15], 0
	s_and_b64 vcc, exec, s[4:5]
	v_lshl_add_u64 v[32:33], v[32:33], 2, s[36:37]
	s_mov_b64 s[16:17], 0
	s_cbranch_vccnz .LBB1592_212
; %bb.204:
	global_load_dword v34, v[32:33], off
	global_load_dword v35, v[30:31], off
	s_mov_b64 s[16:17], -1
	s_waitcnt vmcnt(0)
	v_cmp_eq_u32_e32 vcc, v34, v35
	s_and_saveexec_b64 s[40:41], vcc
	s_cbranch_execz .LBB1592_211
; %bb.205:
	s_add_u32 s16, s26, -1
	v_lshl_add_u64 v[30:31], v[30:31], 0, 4
	v_lshl_add_u64 v[34:35], v[32:33], 0, 4
	s_addc_u32 s17, s27, -1
	s_mov_b64 s[42:43], 0
	s_mov_b64 s[46:47], 0
                                        ; implicit-def: $sgpr44_sgpr45
	s_branch .LBB1592_208
.LBB1592_206:                           ;   in Loop: Header=BB1592_208 Depth=1
	global_load_dword v36, v[34:35], off
	global_load_dword v37, v[30:31], off
	s_add_u32 s46, s46, 1
	s_addc_u32 s47, s47, 0
	s_andn2_b64 s[44:45], s[44:45], exec
	v_lshl_add_u64 v[30:31], v[30:31], 0, 4
	v_lshl_add_u64 v[34:35], v[34:35], 0, 4
	s_waitcnt vmcnt(0)
	v_cmp_ne_u32_e32 vcc, v36, v37
	s_and_b64 s[48:49], vcc, exec
	s_or_b64 s[44:45], s[44:45], s[48:49]
.LBB1592_207:                           ;   in Loop: Header=BB1592_208 Depth=1
	s_and_b64 s[48:49], exec, s[44:45]
	s_or_b64 s[42:43], s[48:49], s[42:43]
	v_mov_b64_e32 v[36:37], s[46:47]
	s_andn2_b64 exec, exec, s[42:43]
	s_cbranch_execz .LBB1592_210
.LBB1592_208:                           ; =>This Inner Loop Header: Depth=1
	s_or_b64 s[44:45], s[44:45], exec
	s_cmp_eq_u64 s[16:17], s[46:47]
	s_cbranch_scc0 .LBB1592_206
; %bb.209:                              ;   in Loop: Header=BB1592_208 Depth=1
                                        ; implicit-def: $vgpr30_vgpr31
                                        ; implicit-def: $vgpr34_vgpr35
	s_mov_b64 s[46:47], s[26:27]
	s_branch .LBB1592_207
.LBB1592_210:
	s_or_b64 exec, exec, s[42:43]
	v_cmp_gt_i64_e32 vcc, s[26:27], v[36:37]
	s_orn2_b64 s[16:17], vcc, exec
.LBB1592_211:
	s_or_b64 exec, exec, s[40:41]
.LBB1592_212:
	v_mul_lo_u32 v34, v21, s26
	v_mul_lo_u32 v35, v20, s27
	v_mad_u64_u32 v[30:31], s[40:41], v20, s26, 0
	v_add3_u32 v31, v31, v35, v34
	s_and_b64 vcc, exec, s[4:5]
	v_lshl_add_u64 v[30:31], v[30:31], 2, s[36:37]
	s_cbranch_vccnz .LBB1592_221
; %bb.213:
	global_load_dword v34, v[30:31], off
	global_load_dword v35, v[32:33], off
	s_mov_b64 s[14:15], -1
	s_waitcnt vmcnt(0)
	v_cmp_eq_u32_e32 vcc, v34, v35
	s_and_saveexec_b64 s[40:41], vcc
	s_cbranch_execz .LBB1592_220
; %bb.214:
	s_add_u32 s14, s26, -1
	v_lshl_add_u64 v[32:33], v[32:33], 0, 4
	v_lshl_add_u64 v[34:35], v[30:31], 0, 4
	s_addc_u32 s15, s27, -1
	s_mov_b64 s[42:43], 0
	s_mov_b64 s[46:47], 0
                                        ; implicit-def: $sgpr44_sgpr45
	s_branch .LBB1592_217
.LBB1592_215:                           ;   in Loop: Header=BB1592_217 Depth=1
	global_load_dword v36, v[34:35], off
	global_load_dword v37, v[32:33], off
	s_add_u32 s46, s46, 1
	s_addc_u32 s47, s47, 0
	s_andn2_b64 s[44:45], s[44:45], exec
	v_lshl_add_u64 v[32:33], v[32:33], 0, 4
	v_lshl_add_u64 v[34:35], v[34:35], 0, 4
	s_waitcnt vmcnt(0)
	v_cmp_ne_u32_e32 vcc, v36, v37
	s_and_b64 s[48:49], vcc, exec
	s_or_b64 s[44:45], s[44:45], s[48:49]
.LBB1592_216:                           ;   in Loop: Header=BB1592_217 Depth=1
	s_and_b64 s[48:49], exec, s[44:45]
	s_or_b64 s[42:43], s[48:49], s[42:43]
	v_mov_b64_e32 v[36:37], s[46:47]
	s_andn2_b64 exec, exec, s[42:43]
	s_cbranch_execz .LBB1592_219
.LBB1592_217:                           ; =>This Inner Loop Header: Depth=1
	s_or_b64 s[44:45], s[44:45], exec
	s_cmp_eq_u64 s[14:15], s[46:47]
	s_cbranch_scc0 .LBB1592_215
; %bb.218:                              ;   in Loop: Header=BB1592_217 Depth=1
                                        ; implicit-def: $vgpr32_vgpr33
                                        ; implicit-def: $vgpr34_vgpr35
	s_mov_b64 s[46:47], s[26:27]
	s_branch .LBB1592_216
.LBB1592_219:
	s_or_b64 exec, exec, s[42:43]
	v_cmp_gt_i64_e32 vcc, s[26:27], v[36:37]
	s_orn2_b64 s[14:15], vcc, exec
.LBB1592_220:
	s_or_b64 exec, exec, s[40:41]
.LBB1592_221:
	v_mul_lo_u32 v34, v19, s26
	v_mul_lo_u32 v35, v18, s27
	v_mad_u64_u32 v[32:33], s[40:41], v18, s26, 0
	v_add3_u32 v33, v33, v35, v34
	s_mov_b64 s[40:41], 0
	s_and_b64 vcc, exec, s[4:5]
	v_lshl_add_u64 v[32:33], v[32:33], 2, s[36:37]
	s_mov_b64 s[42:43], 0
	s_cbranch_vccnz .LBB1592_230
; %bb.222:
	global_load_dword v34, v[32:33], off
	global_load_dword v35, v[30:31], off
	s_mov_b64 s[42:43], -1
	s_waitcnt vmcnt(0)
	v_cmp_eq_u32_e32 vcc, v34, v35
	s_and_saveexec_b64 s[44:45], vcc
	s_cbranch_execz .LBB1592_229
; %bb.223:
	s_add_u32 s42, s26, -1
	v_lshl_add_u64 v[30:31], v[30:31], 0, 4
	v_lshl_add_u64 v[34:35], v[32:33], 0, 4
	s_addc_u32 s43, s27, -1
	s_mov_b64 s[46:47], 0
	s_mov_b64 s[50:51], 0
                                        ; implicit-def: $sgpr48_sgpr49
	s_branch .LBB1592_226
.LBB1592_224:                           ;   in Loop: Header=BB1592_226 Depth=1
	global_load_dword v36, v[34:35], off
	global_load_dword v37, v[30:31], off
	s_add_u32 s50, s50, 1
	s_addc_u32 s51, s51, 0
	s_andn2_b64 s[48:49], s[48:49], exec
	v_lshl_add_u64 v[30:31], v[30:31], 0, 4
	v_lshl_add_u64 v[34:35], v[34:35], 0, 4
	s_waitcnt vmcnt(0)
	v_cmp_ne_u32_e32 vcc, v36, v37
	s_and_b64 s[52:53], vcc, exec
	s_or_b64 s[48:49], s[48:49], s[52:53]
.LBB1592_225:                           ;   in Loop: Header=BB1592_226 Depth=1
	s_and_b64 s[52:53], exec, s[48:49]
	s_or_b64 s[46:47], s[52:53], s[46:47]
	v_mov_b64_e32 v[36:37], s[50:51]
	s_andn2_b64 exec, exec, s[46:47]
	s_cbranch_execz .LBB1592_228
.LBB1592_226:                           ; =>This Inner Loop Header: Depth=1
	s_or_b64 s[48:49], s[48:49], exec
	s_cmp_eq_u64 s[42:43], s[50:51]
	s_cbranch_scc0 .LBB1592_224
; %bb.227:                              ;   in Loop: Header=BB1592_226 Depth=1
                                        ; implicit-def: $vgpr30_vgpr31
                                        ; implicit-def: $vgpr34_vgpr35
	s_mov_b64 s[50:51], s[26:27]
	s_branch .LBB1592_225
.LBB1592_228:
	s_or_b64 exec, exec, s[46:47]
	v_cmp_gt_i64_e32 vcc, s[26:27], v[36:37]
	s_orn2_b64 s[42:43], vcc, exec
.LBB1592_229:
	s_or_b64 exec, exec, s[44:45]
.LBB1592_230:
	v_mul_lo_u32 v34, v25, s26
	v_mul_lo_u32 v35, v24, s27
	v_mad_u64_u32 v[30:31], s[44:45], v24, s26, 0
	v_add3_u32 v31, v31, v35, v34
	s_and_b64 vcc, exec, s[4:5]
	v_lshl_add_u64 v[30:31], v[30:31], 2, s[36:37]
	s_cbranch_vccnz .LBB1592_239
; %bb.231:
	global_load_dword v34, v[30:31], off
	global_load_dword v35, v[32:33], off
	s_mov_b64 s[40:41], -1
	s_waitcnt vmcnt(0)
	v_cmp_eq_u32_e32 vcc, v34, v35
	s_and_saveexec_b64 s[44:45], vcc
	s_cbranch_execz .LBB1592_238
; %bb.232:
	s_add_u32 s40, s26, -1
	v_lshl_add_u64 v[32:33], v[32:33], 0, 4
	v_lshl_add_u64 v[34:35], v[30:31], 0, 4
	s_addc_u32 s41, s27, -1
	s_mov_b64 s[46:47], 0
	s_mov_b64 s[50:51], 0
                                        ; implicit-def: $sgpr48_sgpr49
	s_branch .LBB1592_235
.LBB1592_233:                           ;   in Loop: Header=BB1592_235 Depth=1
	global_load_dword v36, v[34:35], off
	global_load_dword v37, v[32:33], off
	s_add_u32 s50, s50, 1
	s_addc_u32 s51, s51, 0
	s_andn2_b64 s[48:49], s[48:49], exec
	v_lshl_add_u64 v[32:33], v[32:33], 0, 4
	v_lshl_add_u64 v[34:35], v[34:35], 0, 4
	s_waitcnt vmcnt(0)
	v_cmp_ne_u32_e32 vcc, v36, v37
	s_and_b64 s[52:53], vcc, exec
	s_or_b64 s[48:49], s[48:49], s[52:53]
.LBB1592_234:                           ;   in Loop: Header=BB1592_235 Depth=1
	s_and_b64 s[52:53], exec, s[48:49]
	s_or_b64 s[46:47], s[52:53], s[46:47]
	v_mov_b64_e32 v[36:37], s[50:51]
	s_andn2_b64 exec, exec, s[46:47]
	s_cbranch_execz .LBB1592_237
.LBB1592_235:                           ; =>This Inner Loop Header: Depth=1
	s_or_b64 s[48:49], s[48:49], exec
	s_cmp_eq_u64 s[40:41], s[50:51]
	s_cbranch_scc0 .LBB1592_233
; %bb.236:                              ;   in Loop: Header=BB1592_235 Depth=1
                                        ; implicit-def: $vgpr32_vgpr33
                                        ; implicit-def: $vgpr34_vgpr35
	s_mov_b64 s[50:51], s[26:27]
	s_branch .LBB1592_234
.LBB1592_237:
	s_or_b64 exec, exec, s[46:47]
	v_cmp_gt_i64_e32 vcc, s[26:27], v[36:37]
	s_orn2_b64 s[40:41], vcc, exec
.LBB1592_238:
	s_or_b64 exec, exec, s[44:45]
.LBB1592_239:
	v_mul_lo_u32 v34, v23, s26
	v_mul_lo_u32 v35, v22, s27
	v_mad_u64_u32 v[32:33], s[44:45], v22, s26, 0
	v_add3_u32 v33, v33, v35, v34
	s_and_b64 vcc, exec, s[4:5]
	s_mov_b64 s[46:47], 0
	s_cbranch_vccnz .LBB1592_248
; %bb.240:
	v_lshl_add_u64 v[34:35], v[32:33], 2, s[36:37]
	global_load_dword v36, v[34:35], off
	global_load_dword v37, v[30:31], off
	s_mov_b64 s[46:47], -1
	s_waitcnt vmcnt(0)
	v_cmp_eq_u32_e32 vcc, v36, v37
	s_and_saveexec_b64 s[44:45], vcc
	s_cbranch_execz .LBB1592_247
; %bb.241:
	s_add_u32 s46, s26, -1
	v_lshl_add_u64 v[30:31], v[30:31], 0, 4
	v_lshl_add_u64 v[34:35], v[34:35], 0, 4
	s_addc_u32 s47, s27, -1
	s_mov_b64 s[48:49], 0
	s_mov_b64 s[52:53], 0
                                        ; implicit-def: $sgpr50_sgpr51
	s_branch .LBB1592_244
.LBB1592_242:                           ;   in Loop: Header=BB1592_244 Depth=1
	global_load_dword v36, v[34:35], off
	global_load_dword v37, v[30:31], off
	s_add_u32 s52, s52, 1
	s_addc_u32 s53, s53, 0
	s_andn2_b64 s[50:51], s[50:51], exec
	v_lshl_add_u64 v[30:31], v[30:31], 0, 4
	v_lshl_add_u64 v[34:35], v[34:35], 0, 4
	s_waitcnt vmcnt(0)
	v_cmp_ne_u32_e32 vcc, v36, v37
	s_and_b64 s[56:57], vcc, exec
	s_or_b64 s[50:51], s[50:51], s[56:57]
.LBB1592_243:                           ;   in Loop: Header=BB1592_244 Depth=1
	s_and_b64 s[56:57], exec, s[50:51]
	s_or_b64 s[48:49], s[56:57], s[48:49]
	v_mov_b64_e32 v[36:37], s[52:53]
	s_andn2_b64 exec, exec, s[48:49]
	s_cbranch_execz .LBB1592_246
.LBB1592_244:                           ; =>This Inner Loop Header: Depth=1
	s_or_b64 s[50:51], s[50:51], exec
	s_cmp_eq_u64 s[46:47], s[52:53]
	s_cbranch_scc0 .LBB1592_242
; %bb.245:                              ;   in Loop: Header=BB1592_244 Depth=1
                                        ; implicit-def: $vgpr30_vgpr31
                                        ; implicit-def: $vgpr34_vgpr35
	s_mov_b64 s[52:53], s[26:27]
	s_branch .LBB1592_243
.LBB1592_246:
	s_or_b64 exec, exec, s[48:49]
	v_cmp_gt_i64_e32 vcc, s[26:27], v[36:37]
	s_orn2_b64 s[46:47], vcc, exec
.LBB1592_247:
	s_or_b64 exec, exec, s[44:45]
.LBB1592_248:
	v_cndmask_b32_e64 v31, 0, 1, s[42:43]
	v_cndmask_b32_e64 v30, 0, 1, s[40:41]
	;; [unrolled: 1-line block ×3, first 2 shown]
	v_lshlrev_b16_e32 v31, 8, v31
	v_cndmask_b32_e64 v39, 0, 1, s[14:15]
	v_cndmask_b32_e64 v34, 0, 1, s[46:47]
	v_or_b32_sdwa v30, v30, v31 dst_sel:WORD_1 dst_unused:UNUSED_PAD src0_sel:DWORD src1_sel:DWORD
	v_lshlrev_b16_e32 v31, 8, v48
	v_lshlrev_b16_e32 v34, 8, v34
	v_or_b32_e32 v31, v39, v31
	v_or_b32_e32 v34, 1, v34
	v_and_b32_e32 v31, 0xffff, v31
	v_cndmask_b32_e64 v49, 0, 1, s[12:13]
	v_or_b32_sdwa v30, v34, v30 dst_sel:DWORD dst_unused:UNUSED_PAD src0_sel:WORD_0 src1_sel:DWORD
	v_lshl_or_b32 v31, v49, 16, v31
	s_waitcnt lgkmcnt(0)
	s_barrier
	s_waitcnt lgkmcnt(0)
                                        ; implicit-def: $sgpr14_sgpr15
                                        ; implicit-def: $vgpr34
	s_and_saveexec_b64 s[12:13], s[2:3]
	s_xor_b64 s[12:13], exec, s[12:13]
	s_cbranch_execz .LBB1592_259
; %bb.249:
	s_mov_b32 s44, 0x3020104
	s_and_b64 vcc, exec, s[4:5]
	s_mov_b64 s[14:15], 0
	s_cbranch_vccnz .LBB1592_258
; %bb.250:
	v_add_u32_e32 v31, -8, v38
	ds_read_b64 v[34:35], v31
	v_lshl_add_u64 v[32:33], v[32:33], 2, s[36:37]
	s_mov_b64 s[14:15], -1
	s_waitcnt lgkmcnt(0)
	v_mul_lo_u32 v31, v35, s26
	v_mul_lo_u32 v36, v34, s27
	v_mad_u64_u32 v[34:35], s[4:5], v34, s26, 0
	v_add3_u32 v35, v35, v36, v31
	v_lshl_add_u64 v[34:35], v[34:35], 2, s[36:37]
	global_load_dword v31, v[34:35], off
	global_load_dword v36, v[32:33], off
	s_waitcnt vmcnt(0)
	v_cmp_eq_u32_e32 vcc, v31, v36
	s_and_saveexec_b64 s[4:5], vcc
	s_cbranch_execz .LBB1592_257
; %bb.251:
	s_add_u32 s14, s26, -1
	v_lshl_add_u64 v[32:33], v[32:33], 0, 4
	v_lshl_add_u64 v[34:35], v[34:35], 0, 4
	s_addc_u32 s15, s27, -1
	s_mov_b64 s[16:17], 0
	s_mov_b64 s[42:43], 0
                                        ; implicit-def: $sgpr40_sgpr41
	s_branch .LBB1592_254
.LBB1592_252:                           ;   in Loop: Header=BB1592_254 Depth=1
	global_load_dword v31, v[34:35], off
	global_load_dword v36, v[32:33], off
	s_add_u32 s42, s42, 1
	s_addc_u32 s43, s43, 0
	s_andn2_b64 s[40:41], s[40:41], exec
	v_lshl_add_u64 v[32:33], v[32:33], 0, 4
	v_lshl_add_u64 v[34:35], v[34:35], 0, 4
	s_waitcnt vmcnt(0)
	v_cmp_ne_u32_e32 vcc, v31, v36
	s_and_b64 s[46:47], vcc, exec
	s_or_b64 s[40:41], s[40:41], s[46:47]
.LBB1592_253:                           ;   in Loop: Header=BB1592_254 Depth=1
	s_and_b64 s[46:47], exec, s[40:41]
	s_or_b64 s[16:17], s[46:47], s[16:17]
	v_mov_b64_e32 v[36:37], s[42:43]
	s_andn2_b64 exec, exec, s[16:17]
	s_cbranch_execz .LBB1592_256
.LBB1592_254:                           ; =>This Inner Loop Header: Depth=1
	s_or_b64 s[40:41], s[40:41], exec
	s_cmp_eq_u64 s[14:15], s[42:43]
	s_cbranch_scc0 .LBB1592_252
; %bb.255:                              ;   in Loop: Header=BB1592_254 Depth=1
                                        ; implicit-def: $vgpr32_vgpr33
                                        ; implicit-def: $vgpr34_vgpr35
	s_mov_b64 s[42:43], s[26:27]
	s_branch .LBB1592_253
.LBB1592_256:
	s_or_b64 exec, exec, s[16:17]
	v_cmp_gt_i64_e32 vcc, s[26:27], v[36:37]
	s_orn2_b64 s[14:15], vcc, exec
.LBB1592_257:
	s_or_b64 exec, exec, s[4:5]
.LBB1592_258:
	v_perm_b32 v34, v30, v30, s44
	s_and_b64 s[14:15], s[14:15], exec
	s_or_b64 s[10:11], s[10:11], exec
                                        ; implicit-def: $vgpr30_vgpr31
.LBB1592_259:
	s_or_b64 exec, exec, s[12:13]
	s_branch .LBB1592_340
.LBB1592_260:
	v_cmp_gt_u32_e32 vcc, s54, v42
	s_mov_b64 s[12:13], 0
	s_mov_b64 s[4:5], 0
	s_and_saveexec_b64 s[14:15], vcc
	s_cbranch_execz .LBB1592_271
; %bb.261:
	s_andn2_b64 vcc, exec, s[6:7]
	s_mov_b64 s[16:17], 0
	s_cbranch_vccnz .LBB1592_270
; %bb.262:
	v_mul_lo_u32 v32, v17, s26
	v_mul_lo_u32 v33, v16, s27
	s_waitcnt vmcnt(0) lgkmcnt(1)
	v_mad_u64_u32 v[30:31], s[4:5], v16, s26, 0
	v_add3_u32 v31, v31, v33, v32
	v_mul_lo_u32 v32, v29, s26
	v_mul_lo_u32 v33, v28, s27
	v_mad_u64_u32 v[34:35], s[4:5], v28, s26, 0
	v_add3_u32 v35, v35, v33, v32
	v_lshl_add_u64 v[32:33], v[30:31], 2, s[36:37]
	v_lshl_add_u64 v[30:31], v[34:35], 2, s[36:37]
	global_load_dword v34, v[32:33], off
	global_load_dword v35, v[30:31], off
	s_mov_b64 s[16:17], -1
	s_waitcnt vmcnt(0)
	v_cmp_eq_u32_e32 vcc, v34, v35
	s_and_saveexec_b64 s[4:5], vcc
	s_cbranch_execz .LBB1592_269
; %bb.263:
	s_add_u32 s16, s26, -1
	v_lshl_add_u64 v[30:31], v[30:31], 0, 4
	v_lshl_add_u64 v[32:33], v[32:33], 0, 4
	s_addc_u32 s17, s27, -1
	s_mov_b64 s[40:41], 0
	s_mov_b64 s[44:45], 0
                                        ; implicit-def: $sgpr42_sgpr43
	s_branch .LBB1592_266
.LBB1592_264:                           ;   in Loop: Header=BB1592_266 Depth=1
	global_load_dword v34, v[32:33], off
	global_load_dword v35, v[30:31], off
	s_add_u32 s44, s44, 1
	s_addc_u32 s45, s45, 0
	s_andn2_b64 s[42:43], s[42:43], exec
	v_lshl_add_u64 v[30:31], v[30:31], 0, 4
	v_lshl_add_u64 v[32:33], v[32:33], 0, 4
	s_waitcnt vmcnt(0)
	v_cmp_ne_u32_e32 vcc, v34, v35
	s_and_b64 s[46:47], vcc, exec
	s_or_b64 s[42:43], s[42:43], s[46:47]
.LBB1592_265:                           ;   in Loop: Header=BB1592_266 Depth=1
	s_and_b64 s[46:47], exec, s[42:43]
	s_or_b64 s[40:41], s[46:47], s[40:41]
	v_mov_b64_e32 v[34:35], s[44:45]
	s_andn2_b64 exec, exec, s[40:41]
	s_cbranch_execz .LBB1592_268
.LBB1592_266:                           ; =>This Inner Loop Header: Depth=1
	s_or_b64 s[42:43], s[42:43], exec
	s_cmp_eq_u64 s[16:17], s[44:45]
	s_cbranch_scc0 .LBB1592_264
; %bb.267:                              ;   in Loop: Header=BB1592_266 Depth=1
                                        ; implicit-def: $vgpr30_vgpr31
                                        ; implicit-def: $vgpr32_vgpr33
	s_mov_b64 s[44:45], s[26:27]
	s_branch .LBB1592_265
.LBB1592_268:
	s_or_b64 exec, exec, s[40:41]
	v_cmp_gt_i64_e32 vcc, s[26:27], v[34:35]
	s_orn2_b64 s[16:17], vcc, exec
.LBB1592_269:
	s_or_b64 exec, exec, s[4:5]
.LBB1592_270:
	s_and_b64 s[4:5], s[16:17], exec
.LBB1592_271:
	s_or_b64 exec, exec, s[14:15]
	v_cmp_gt_u32_e32 vcc, s54, v45
	s_and_saveexec_b64 s[14:15], vcc
	s_cbranch_execz .LBB1592_282
; %bb.272:
	s_andn2_b64 vcc, exec, s[6:7]
	s_mov_b64 s[16:17], 0
	s_cbranch_vccnz .LBB1592_281
; %bb.273:
	v_mul_lo_u32 v32, v15, s26
	v_mul_lo_u32 v33, v14, s27
	s_waitcnt vmcnt(0) lgkmcnt(1)
	v_mad_u64_u32 v[30:31], s[12:13], v14, s26, 0
	v_add3_u32 v31, v31, v33, v32
	v_mul_lo_u32 v32, v17, s26
	v_mul_lo_u32 v33, v16, s27
	v_mad_u64_u32 v[34:35], s[12:13], v16, s26, 0
	v_add3_u32 v35, v35, v33, v32
	v_lshl_add_u64 v[32:33], v[30:31], 2, s[36:37]
	v_lshl_add_u64 v[30:31], v[34:35], 2, s[36:37]
	global_load_dword v34, v[32:33], off
	global_load_dword v35, v[30:31], off
	s_mov_b64 s[16:17], -1
	s_waitcnt vmcnt(0)
	v_cmp_eq_u32_e32 vcc, v34, v35
	s_and_saveexec_b64 s[12:13], vcc
	s_cbranch_execz .LBB1592_280
; %bb.274:
	s_add_u32 s16, s26, -1
	v_lshl_add_u64 v[30:31], v[30:31], 0, 4
	v_lshl_add_u64 v[32:33], v[32:33], 0, 4
	s_addc_u32 s17, s27, -1
	s_mov_b64 s[40:41], 0
	s_mov_b64 s[44:45], 0
                                        ; implicit-def: $sgpr42_sgpr43
	s_branch .LBB1592_277
.LBB1592_275:                           ;   in Loop: Header=BB1592_277 Depth=1
	global_load_dword v34, v[32:33], off
	global_load_dword v35, v[30:31], off
	s_add_u32 s44, s44, 1
	s_addc_u32 s45, s45, 0
	s_andn2_b64 s[42:43], s[42:43], exec
	v_lshl_add_u64 v[30:31], v[30:31], 0, 4
	v_lshl_add_u64 v[32:33], v[32:33], 0, 4
	s_waitcnt vmcnt(0)
	v_cmp_ne_u32_e32 vcc, v34, v35
	s_and_b64 s[46:47], vcc, exec
	s_or_b64 s[42:43], s[42:43], s[46:47]
.LBB1592_276:                           ;   in Loop: Header=BB1592_277 Depth=1
	s_and_b64 s[46:47], exec, s[42:43]
	s_or_b64 s[40:41], s[46:47], s[40:41]
	v_mov_b64_e32 v[34:35], s[44:45]
	s_andn2_b64 exec, exec, s[40:41]
	s_cbranch_execz .LBB1592_279
.LBB1592_277:                           ; =>This Inner Loop Header: Depth=1
	s_or_b64 s[42:43], s[42:43], exec
	s_cmp_eq_u64 s[16:17], s[44:45]
	s_cbranch_scc0 .LBB1592_275
; %bb.278:                              ;   in Loop: Header=BB1592_277 Depth=1
                                        ; implicit-def: $vgpr30_vgpr31
                                        ; implicit-def: $vgpr32_vgpr33
	s_mov_b64 s[44:45], s[26:27]
	s_branch .LBB1592_276
.LBB1592_279:
	s_or_b64 exec, exec, s[40:41]
	v_cmp_gt_i64_e32 vcc, s[26:27], v[34:35]
	s_orn2_b64 s[16:17], vcc, exec
.LBB1592_280:
	s_or_b64 exec, exec, s[12:13]
.LBB1592_281:
	s_and_b64 s[12:13], s[16:17], exec
.LBB1592_282:
	s_or_b64 exec, exec, s[14:15]
	v_cmp_gt_u32_e32 vcc, s54, v41
	s_mov_b64 s[16:17], 0
	s_mov_b64 s[14:15], 0
	s_and_saveexec_b64 s[40:41], vcc
	s_cbranch_execz .LBB1592_293
; %bb.283:
	s_andn2_b64 vcc, exec, s[6:7]
	s_mov_b64 s[42:43], 0
	s_cbranch_vccnz .LBB1592_292
; %bb.284:
	v_mul_lo_u32 v32, v21, s26
	v_mul_lo_u32 v33, v20, s27
	s_waitcnt vmcnt(0) lgkmcnt(1)
	v_mad_u64_u32 v[30:31], s[14:15], v20, s26, 0
	v_add3_u32 v31, v31, v33, v32
	v_mul_lo_u32 v32, v15, s26
	v_mul_lo_u32 v33, v14, s27
	v_mad_u64_u32 v[34:35], s[14:15], v14, s26, 0
	v_add3_u32 v35, v35, v33, v32
	v_lshl_add_u64 v[32:33], v[30:31], 2, s[36:37]
	v_lshl_add_u64 v[30:31], v[34:35], 2, s[36:37]
	global_load_dword v34, v[32:33], off
	global_load_dword v35, v[30:31], off
	s_mov_b64 s[42:43], -1
	s_waitcnt vmcnt(0)
	v_cmp_eq_u32_e32 vcc, v34, v35
	s_and_saveexec_b64 s[14:15], vcc
	s_cbranch_execz .LBB1592_291
; %bb.285:
	s_add_u32 s42, s26, -1
	v_lshl_add_u64 v[30:31], v[30:31], 0, 4
	v_lshl_add_u64 v[32:33], v[32:33], 0, 4
	s_addc_u32 s43, s27, -1
	s_mov_b64 s[44:45], 0
	s_mov_b64 s[48:49], 0
                                        ; implicit-def: $sgpr46_sgpr47
	s_branch .LBB1592_288
.LBB1592_286:                           ;   in Loop: Header=BB1592_288 Depth=1
	global_load_dword v34, v[32:33], off
	global_load_dword v35, v[30:31], off
	s_add_u32 s48, s48, 1
	s_addc_u32 s49, s49, 0
	s_andn2_b64 s[46:47], s[46:47], exec
	v_lshl_add_u64 v[30:31], v[30:31], 0, 4
	v_lshl_add_u64 v[32:33], v[32:33], 0, 4
	s_waitcnt vmcnt(0)
	v_cmp_ne_u32_e32 vcc, v34, v35
	s_and_b64 s[50:51], vcc, exec
	s_or_b64 s[46:47], s[46:47], s[50:51]
.LBB1592_287:                           ;   in Loop: Header=BB1592_288 Depth=1
	s_and_b64 s[50:51], exec, s[46:47]
	s_or_b64 s[44:45], s[50:51], s[44:45]
	v_mov_b64_e32 v[34:35], s[48:49]
	s_andn2_b64 exec, exec, s[44:45]
	s_cbranch_execz .LBB1592_290
.LBB1592_288:                           ; =>This Inner Loop Header: Depth=1
	s_or_b64 s[46:47], s[46:47], exec
	s_cmp_eq_u64 s[42:43], s[48:49]
	s_cbranch_scc0 .LBB1592_286
; %bb.289:                              ;   in Loop: Header=BB1592_288 Depth=1
                                        ; implicit-def: $vgpr30_vgpr31
                                        ; implicit-def: $vgpr32_vgpr33
	s_mov_b64 s[48:49], s[26:27]
	s_branch .LBB1592_287
.LBB1592_290:
	s_or_b64 exec, exec, s[44:45]
	v_cmp_gt_i64_e32 vcc, s[26:27], v[34:35]
	s_orn2_b64 s[42:43], vcc, exec
.LBB1592_291:
	s_or_b64 exec, exec, s[14:15]
.LBB1592_292:
	s_and_b64 s[14:15], s[42:43], exec
.LBB1592_293:
	s_or_b64 exec, exec, s[40:41]
	v_cmp_gt_u32_e32 vcc, s54, v44
	s_and_saveexec_b64 s[40:41], vcc
	s_cbranch_execz .LBB1592_304
; %bb.294:
	s_andn2_b64 vcc, exec, s[6:7]
	s_mov_b64 s[42:43], 0
	s_cbranch_vccnz .LBB1592_303
; %bb.295:
	v_mul_lo_u32 v32, v19, s26
	v_mul_lo_u32 v33, v18, s27
	s_waitcnt vmcnt(0) lgkmcnt(1)
	v_mad_u64_u32 v[30:31], s[16:17], v18, s26, 0
	v_add3_u32 v31, v31, v33, v32
	v_mul_lo_u32 v32, v21, s26
	v_mul_lo_u32 v33, v20, s27
	v_mad_u64_u32 v[34:35], s[16:17], v20, s26, 0
	v_add3_u32 v35, v35, v33, v32
	v_lshl_add_u64 v[32:33], v[30:31], 2, s[36:37]
	v_lshl_add_u64 v[30:31], v[34:35], 2, s[36:37]
	global_load_dword v34, v[32:33], off
	global_load_dword v35, v[30:31], off
	s_mov_b64 s[42:43], -1
	s_waitcnt vmcnt(0)
	v_cmp_eq_u32_e32 vcc, v34, v35
	s_and_saveexec_b64 s[16:17], vcc
	s_cbranch_execz .LBB1592_302
; %bb.296:
	s_add_u32 s42, s26, -1
	v_lshl_add_u64 v[30:31], v[30:31], 0, 4
	v_lshl_add_u64 v[32:33], v[32:33], 0, 4
	s_addc_u32 s43, s27, -1
	s_mov_b64 s[44:45], 0
	s_mov_b64 s[48:49], 0
                                        ; implicit-def: $sgpr46_sgpr47
	s_branch .LBB1592_299
.LBB1592_297:                           ;   in Loop: Header=BB1592_299 Depth=1
	global_load_dword v34, v[32:33], off
	global_load_dword v35, v[30:31], off
	s_add_u32 s48, s48, 1
	s_addc_u32 s49, s49, 0
	s_andn2_b64 s[46:47], s[46:47], exec
	v_lshl_add_u64 v[30:31], v[30:31], 0, 4
	v_lshl_add_u64 v[32:33], v[32:33], 0, 4
	s_waitcnt vmcnt(0)
	v_cmp_ne_u32_e32 vcc, v34, v35
	s_and_b64 s[50:51], vcc, exec
	s_or_b64 s[46:47], s[46:47], s[50:51]
.LBB1592_298:                           ;   in Loop: Header=BB1592_299 Depth=1
	s_and_b64 s[50:51], exec, s[46:47]
	s_or_b64 s[44:45], s[50:51], s[44:45]
	v_mov_b64_e32 v[34:35], s[48:49]
	s_andn2_b64 exec, exec, s[44:45]
	s_cbranch_execz .LBB1592_301
.LBB1592_299:                           ; =>This Inner Loop Header: Depth=1
	s_or_b64 s[46:47], s[46:47], exec
	s_cmp_eq_u64 s[42:43], s[48:49]
	s_cbranch_scc0 .LBB1592_297
; %bb.300:                              ;   in Loop: Header=BB1592_299 Depth=1
                                        ; implicit-def: $vgpr30_vgpr31
                                        ; implicit-def: $vgpr32_vgpr33
	s_mov_b64 s[48:49], s[26:27]
	s_branch .LBB1592_298
.LBB1592_301:
	s_or_b64 exec, exec, s[44:45]
	v_cmp_gt_i64_e32 vcc, s[26:27], v[34:35]
	s_orn2_b64 s[42:43], vcc, exec
.LBB1592_302:
	s_or_b64 exec, exec, s[16:17]
.LBB1592_303:
	s_and_b64 s[16:17], s[42:43], exec
.LBB1592_304:
	s_or_b64 exec, exec, s[40:41]
	v_cmp_gt_u32_e32 vcc, s54, v40
	s_mov_b64 s[40:41], 0
	s_mov_b64 s[42:43], 0
	s_and_saveexec_b64 s[44:45], vcc
	s_cbranch_execz .LBB1592_315
; %bb.305:
	s_andn2_b64 vcc, exec, s[6:7]
	s_mov_b64 s[46:47], 0
	s_cbranch_vccnz .LBB1592_314
; %bb.306:
	v_mul_lo_u32 v32, v25, s26
	v_mul_lo_u32 v33, v24, s27
	s_waitcnt vmcnt(0) lgkmcnt(1)
	v_mad_u64_u32 v[30:31], s[42:43], v24, s26, 0
	v_add3_u32 v31, v31, v33, v32
	v_mul_lo_u32 v32, v19, s26
	v_mul_lo_u32 v33, v18, s27
	v_mad_u64_u32 v[34:35], s[42:43], v18, s26, 0
	v_add3_u32 v35, v35, v33, v32
	v_lshl_add_u64 v[32:33], v[30:31], 2, s[36:37]
	v_lshl_add_u64 v[30:31], v[34:35], 2, s[36:37]
	global_load_dword v34, v[32:33], off
	global_load_dword v35, v[30:31], off
	s_mov_b64 s[46:47], -1
	s_waitcnt vmcnt(0)
	v_cmp_eq_u32_e32 vcc, v34, v35
	s_and_saveexec_b64 s[42:43], vcc
	s_cbranch_execz .LBB1592_313
; %bb.307:
	s_add_u32 s46, s26, -1
	v_lshl_add_u64 v[30:31], v[30:31], 0, 4
	v_lshl_add_u64 v[32:33], v[32:33], 0, 4
	s_addc_u32 s47, s27, -1
	s_mov_b64 s[48:49], 0
	s_mov_b64 s[52:53], 0
                                        ; implicit-def: $sgpr50_sgpr51
	s_branch .LBB1592_310
.LBB1592_308:                           ;   in Loop: Header=BB1592_310 Depth=1
	global_load_dword v34, v[32:33], off
	global_load_dword v35, v[30:31], off
	s_add_u32 s52, s52, 1
	s_addc_u32 s53, s53, 0
	s_andn2_b64 s[50:51], s[50:51], exec
	v_lshl_add_u64 v[30:31], v[30:31], 0, 4
	v_lshl_add_u64 v[32:33], v[32:33], 0, 4
	s_waitcnt vmcnt(0)
	v_cmp_ne_u32_e32 vcc, v34, v35
	s_and_b64 s[56:57], vcc, exec
	s_or_b64 s[50:51], s[50:51], s[56:57]
.LBB1592_309:                           ;   in Loop: Header=BB1592_310 Depth=1
	s_and_b64 s[56:57], exec, s[50:51]
	s_or_b64 s[48:49], s[56:57], s[48:49]
	v_mov_b64_e32 v[34:35], s[52:53]
	s_andn2_b64 exec, exec, s[48:49]
	s_cbranch_execz .LBB1592_312
.LBB1592_310:                           ; =>This Inner Loop Header: Depth=1
	s_or_b64 s[50:51], s[50:51], exec
	s_cmp_eq_u64 s[46:47], s[52:53]
	s_cbranch_scc0 .LBB1592_308
; %bb.311:                              ;   in Loop: Header=BB1592_310 Depth=1
                                        ; implicit-def: $vgpr30_vgpr31
                                        ; implicit-def: $vgpr32_vgpr33
	s_mov_b64 s[52:53], s[26:27]
	s_branch .LBB1592_309
.LBB1592_312:
	s_or_b64 exec, exec, s[48:49]
	v_cmp_gt_i64_e32 vcc, s[26:27], v[34:35]
	s_orn2_b64 s[46:47], vcc, exec
.LBB1592_313:
	s_or_b64 exec, exec, s[42:43]
.LBB1592_314:
	s_and_b64 s[42:43], s[46:47], exec
.LBB1592_315:
	s_or_b64 exec, exec, s[44:45]
	v_cmp_gt_u32_e32 vcc, s54, v43
	s_and_saveexec_b64 s[44:45], vcc
	s_cbranch_execz .LBB1592_326
; %bb.316:
	s_andn2_b64 vcc, exec, s[6:7]
	s_mov_b64 s[46:47], 0
	s_cbranch_vccnz .LBB1592_325
; %bb.317:
	v_mul_lo_u32 v32, v23, s26
	v_mul_lo_u32 v33, v22, s27
	s_waitcnt vmcnt(0) lgkmcnt(1)
	v_mad_u64_u32 v[30:31], s[40:41], v22, s26, 0
	v_add3_u32 v31, v31, v33, v32
	v_mul_lo_u32 v32, v25, s26
	v_mul_lo_u32 v33, v24, s27
	v_mad_u64_u32 v[34:35], s[40:41], v24, s26, 0
	v_add3_u32 v35, v35, v33, v32
	v_lshl_add_u64 v[32:33], v[30:31], 2, s[36:37]
	v_lshl_add_u64 v[30:31], v[34:35], 2, s[36:37]
	global_load_dword v34, v[32:33], off
	global_load_dword v35, v[30:31], off
	s_mov_b64 s[46:47], -1
	s_waitcnt vmcnt(0)
	v_cmp_eq_u32_e32 vcc, v34, v35
	s_and_saveexec_b64 s[40:41], vcc
	s_cbranch_execz .LBB1592_324
; %bb.318:
	s_add_u32 s46, s26, -1
	v_lshl_add_u64 v[30:31], v[30:31], 0, 4
	v_lshl_add_u64 v[32:33], v[32:33], 0, 4
	s_addc_u32 s47, s27, -1
	s_mov_b64 s[48:49], 0
	s_mov_b64 s[52:53], 0
                                        ; implicit-def: $sgpr50_sgpr51
	s_branch .LBB1592_321
.LBB1592_319:                           ;   in Loop: Header=BB1592_321 Depth=1
	global_load_dword v34, v[32:33], off
	global_load_dword v35, v[30:31], off
	s_add_u32 s52, s52, 1
	s_addc_u32 s53, s53, 0
	s_andn2_b64 s[50:51], s[50:51], exec
	v_lshl_add_u64 v[30:31], v[30:31], 0, 4
	v_lshl_add_u64 v[32:33], v[32:33], 0, 4
	s_waitcnt vmcnt(0)
	v_cmp_ne_u32_e32 vcc, v34, v35
	s_and_b64 s[56:57], vcc, exec
	s_or_b64 s[50:51], s[50:51], s[56:57]
.LBB1592_320:                           ;   in Loop: Header=BB1592_321 Depth=1
	s_and_b64 s[56:57], exec, s[50:51]
	s_or_b64 s[48:49], s[56:57], s[48:49]
	v_mov_b64_e32 v[34:35], s[52:53]
	s_andn2_b64 exec, exec, s[48:49]
	s_cbranch_execz .LBB1592_323
.LBB1592_321:                           ; =>This Inner Loop Header: Depth=1
	s_or_b64 s[50:51], s[50:51], exec
	s_cmp_eq_u64 s[46:47], s[52:53]
	s_cbranch_scc0 .LBB1592_319
; %bb.322:                              ;   in Loop: Header=BB1592_321 Depth=1
                                        ; implicit-def: $vgpr30_vgpr31
                                        ; implicit-def: $vgpr32_vgpr33
	s_mov_b64 s[52:53], s[26:27]
	s_branch .LBB1592_320
.LBB1592_323:
	s_or_b64 exec, exec, s[48:49]
	v_cmp_gt_i64_e32 vcc, s[26:27], v[34:35]
	s_orn2_b64 s[46:47], vcc, exec
.LBB1592_324:
	s_or_b64 exec, exec, s[40:41]
.LBB1592_325:
	s_and_b64 s[40:41], s[46:47], exec
.LBB1592_326:
	s_or_b64 exec, exec, s[44:45]
	s_waitcnt vmcnt(0) lgkmcnt(1)
	v_cndmask_b32_e64 v31, 0, 1, s[16:17]
	v_cndmask_b32_e64 v30, 0, 1, s[42:43]
	;; [unrolled: 1-line block ×3, first 2 shown]
	v_lshlrev_b16_e32 v31, 8, v31
	v_cndmask_b32_e64 v39, 0, 1, s[14:15]
	v_cndmask_b32_e64 v32, 0, 1, s[40:41]
	v_or_b32_sdwa v30, v30, v31 dst_sel:WORD_1 dst_unused:UNUSED_PAD src0_sel:DWORD src1_sel:DWORD
	v_lshlrev_b16_e32 v31, 8, v48
	v_lshlrev_b16_e32 v32, 8, v32
	v_or_b32_e32 v31, v39, v31
	v_or_b32_e32 v32, 1, v32
	v_and_b32_e32 v31, 0xffff, v31
	v_cndmask_b32_e64 v49, 0, 1, s[4:5]
	v_or_b32_sdwa v30, v32, v30 dst_sel:DWORD dst_unused:UNUSED_PAD src0_sel:WORD_0 src1_sel:DWORD
	v_lshl_or_b32 v31, v49, 16, v31
	s_waitcnt lgkmcnt(0)
	s_barrier
	s_waitcnt lgkmcnt(0)
                                        ; implicit-def: $sgpr14_sgpr15
                                        ; implicit-def: $vgpr34
	s_and_saveexec_b64 s[4:5], s[2:3]
	s_cbranch_execz .LBB1592_339
; %bb.327:
	v_cmp_gt_u32_e32 vcc, s54, v1
	s_mov_b32 s40, 0x3020104
	s_mov_b64 s[12:13], 0
	s_and_saveexec_b64 s[2:3], vcc
	s_cbranch_execz .LBB1592_338
; %bb.328:
	s_andn2_b64 vcc, exec, s[6:7]
	s_cbranch_vccnz .LBB1592_337
; %bb.329:
	v_add_u32_e32 v31, -8, v38
	ds_read_b64 v[32:33], v31
	v_mul_lo_u32 v31, v23, s26
	v_mad_u64_u32 v[36:37], s[6:7], v22, s26, 0
	s_mov_b64 s[12:13], -1
	s_waitcnt lgkmcnt(0)
	v_mul_lo_u32 v34, v33, s26
	v_mul_lo_u32 v35, v32, s27
	v_mad_u64_u32 v[32:33], s[6:7], v32, s26, 0
	v_add3_u32 v33, v33, v35, v34
	v_mul_lo_u32 v34, v22, s27
	v_add3_u32 v37, v37, v34, v31
	v_lshl_add_u64 v[34:35], v[32:33], 2, s[36:37]
	v_lshl_add_u64 v[32:33], v[36:37], 2, s[36:37]
	global_load_dword v31, v[34:35], off
	global_load_dword v36, v[32:33], off
	s_waitcnt vmcnt(0)
	v_cmp_eq_u32_e32 vcc, v31, v36
	s_and_saveexec_b64 s[6:7], vcc
	s_cbranch_execz .LBB1592_336
; %bb.330:
	s_add_u32 s12, s26, -1
	v_lshl_add_u64 v[32:33], v[32:33], 0, 4
	v_lshl_add_u64 v[34:35], v[34:35], 0, 4
	s_addc_u32 s13, s27, -1
	s_mov_b64 s[14:15], 0
	s_mov_b64 s[36:37], 0
                                        ; implicit-def: $sgpr16_sgpr17
	s_branch .LBB1592_333
.LBB1592_331:                           ;   in Loop: Header=BB1592_333 Depth=1
	global_load_dword v31, v[34:35], off
	global_load_dword v36, v[32:33], off
	s_add_u32 s36, s36, 1
	s_addc_u32 s37, s37, 0
	s_andn2_b64 s[16:17], s[16:17], exec
	v_lshl_add_u64 v[32:33], v[32:33], 0, 4
	v_lshl_add_u64 v[34:35], v[34:35], 0, 4
	s_waitcnt vmcnt(0)
	v_cmp_ne_u32_e32 vcc, v31, v36
	s_and_b64 s[42:43], vcc, exec
	s_or_b64 s[16:17], s[16:17], s[42:43]
.LBB1592_332:                           ;   in Loop: Header=BB1592_333 Depth=1
	s_and_b64 s[42:43], exec, s[16:17]
	s_or_b64 s[14:15], s[42:43], s[14:15]
	v_mov_b64_e32 v[36:37], s[36:37]
	s_andn2_b64 exec, exec, s[14:15]
	s_cbranch_execz .LBB1592_335
.LBB1592_333:                           ; =>This Inner Loop Header: Depth=1
	s_or_b64 s[16:17], s[16:17], exec
	s_cmp_eq_u64 s[12:13], s[36:37]
	s_cbranch_scc0 .LBB1592_331
; %bb.334:                              ;   in Loop: Header=BB1592_333 Depth=1
                                        ; implicit-def: $vgpr32_vgpr33
                                        ; implicit-def: $vgpr34_vgpr35
	s_mov_b64 s[36:37], s[26:27]
	s_branch .LBB1592_332
.LBB1592_335:
	s_or_b64 exec, exec, s[14:15]
	v_cmp_gt_i64_e32 vcc, s[26:27], v[36:37]
	s_orn2_b64 s[12:13], vcc, exec
.LBB1592_336:
	s_or_b64 exec, exec, s[6:7]
.LBB1592_337:
	s_and_b64 s[12:13], s[12:13], exec
.LBB1592_338:
	s_or_b64 exec, exec, s[2:3]
	v_perm_b32 v34, v30, v30, s40
	s_and_b64 s[14:15], s[12:13], exec
	s_or_b64 s[10:11], s[10:11], exec
                                        ; implicit-def: $vgpr30_vgpr31
.LBB1592_339:
	s_or_b64 exec, exec, s[4:5]
.LBB1592_340:
	s_and_saveexec_b64 s[2:3], s[10:11]
	s_cbranch_execz .LBB1592_342
; %bb.341:
	s_waitcnt vmcnt(0) lgkmcnt(0)
	v_lshlrev_b16_e32 v31, 8, v48
	v_and_b32_e32 v32, 0xff, v49
	v_or_b32_sdwa v31, v39, v31 dst_sel:DWORD dst_unused:UNUSED_PAD src0_sel:BYTE_0 src1_sel:DWORD
	v_lshlrev_b32_e32 v32, 16, v32
	s_movk_i32 s4, 0xff
	v_or_b32_sdwa v31, v31, v32 dst_sel:DWORD dst_unused:UNUSED_PAD src0_sel:WORD_0 src1_sel:DWORD
	v_lshrrev_b32_e32 v32, 24, v34
	v_lshlrev_b16_e32 v32, 8, v32
	v_and_b32_sdwa v33, v34, s4 dst_sel:DWORD dst_unused:UNUSED_PAD src0_sel:WORD_1 src1_sel:DWORD
	v_or_b32_sdwa v32, v33, v32 dst_sel:WORD_1 dst_unused:UNUSED_PAD src0_sel:DWORD src1_sel:DWORD
	v_mov_b32_e32 v33, 8
	v_cndmask_b32_e64 v30, 0, 1, s[14:15]
	v_lshrrev_b32_sdwa v33, v33, v34 dst_sel:BYTE_1 dst_unused:UNUSED_PAD src0_sel:DWORD src1_sel:DWORD
	s_nop 0
	v_or_b32_e32 v30, v30, v33
	v_or_b32_sdwa v30, v30, v32 dst_sel:DWORD dst_unused:UNUSED_PAD src0_sel:WORD_0 src1_sel:DWORD
.LBB1592_342:
	s_or_b64 exec, exec, s[2:3]
	s_andn2_b64 vcc, exec, s[8:9]
	s_cbranch_vccnz .LBB1592_344
; %bb.343:
	s_waitcnt vmcnt(0) lgkmcnt(0)
	v_and_b32_e32 v32, 0xffff0000, v30
	v_cmp_gt_u32_e32 vcc, s54, v1
	s_mov_b32 s2, 0x40c0100
	s_nop 0
	v_cndmask_b32_e32 v1, v32, v30, vcc
	v_and_b32_e32 v1, 0xffff00ff, v1
	v_cmp_gt_u32_e32 vcc, s54, v43
	s_nop 1
	v_cndmask_b32_e32 v1, v1, v30, vcc
	v_lshrrev_b32_e32 v32, 24, v1
	v_perm_b32 v1, v32, v1, s2
	v_cmp_gt_u32_e32 vcc, s54, v40
	v_and_b32_e32 v32, 0xffffff00, v31
	s_nop 0
	v_cndmask_b32_e32 v1, v1, v30, vcc
	v_and_b32_e32 v1, 0xffffff, v1
	v_cmp_gt_u32_e32 vcc, s54, v44
	s_nop 1
	v_cndmask_b32_e32 v1, v1, v30, vcc
	v_cmp_gt_u32_e32 vcc, s54, v41
	s_nop 1
	v_cndmask_b32_e32 v32, v32, v31, vcc
	v_and_b32_e32 v32, 0xffff00ff, v32
	v_cndmask_b32_e32 v1, v1, v30, vcc
	v_cmp_gt_u32_e32 vcc, s54, v45
	s_nop 1
	v_cndmask_b32_e32 v32, v32, v31, vcc
	v_lshrrev_b32_e32 v33, 24, v32
	v_cndmask_b32_e32 v1, v1, v30, vcc
	v_perm_b32 v32, v33, v32, s2
	v_cmp_gt_u32_e32 vcc, s54, v42
	s_mov_b32 s2, 0x3020104
	s_nop 0
	v_cndmask_b32_e32 v1, v1, v30, vcc
	v_cndmask_b32_e32 v30, v32, v31, vcc
	v_mov_b32_e32 v31, 8
	v_lshrrev_b32_sdwa v31, v31, v30 dst_sel:BYTE_1 dst_unused:UNUSED_PAD src0_sel:DWORD src1_sel:DWORD
	s_nop 0
	v_or_b32_sdwa v31, v30, v31 dst_sel:DWORD dst_unused:UNUSED_PAD src0_sel:BYTE_0 src1_sel:DWORD
	v_and_b32_e32 v31, 0xffff, v31
	v_bfe_u32 v30, v30, 16, 8
	v_lshl_or_b32 v31, v30, 16, v31
	v_perm_b32 v30, v1, v1, s2
.LBB1592_344:
	s_waitcnt vmcnt(0) lgkmcnt(0)
	v_and_b32_e32 v1, 0xff, v30
	v_bfe_u32 v43, v30, 8, 8
	v_bfe_u32 v45, v30, 16, 8
	v_alignbit_b32 v32, v31, v30, 24
	v_and_b32_e32 v47, 0xff, v32
	v_and_b32_e32 v48, 0xff, v31
	v_add3_u32 v33, v43, v1, v45
	v_bfe_u32 v49, v31, 8, 8
	v_bfe_u32 v32, v31, 16, 8
	v_add3_u32 v33, v33, v47, v48
	v_add3_u32 v52, v33, v49, v32
	v_mbcnt_lo_u32_b32 v32, -1, 0
	v_mbcnt_hi_u32_b32 v50, -1, v32
	v_and_b32_e32 v32, 15, v50
	v_cmp_eq_u32_e64 s[14:15], 0, v32
	v_cmp_lt_u32_e64 s[12:13], 1, v32
	v_cmp_lt_u32_e64 s[10:11], 3, v32
	v_cmp_lt_u32_e64 s[8:9], 7, v32
	v_and_b32_e32 v32, 16, v50
	v_cmp_eq_u32_e64 s[6:7], 0, v32
	v_or_b32_e32 v32, 63, v0
	v_cmp_lt_u32_e64 s[2:3], 31, v50
	v_lshrrev_b32_e32 v51, 6, v0
	v_cmp_eq_u32_e64 s[4:5], v32, v0
	s_and_b64 vcc, exec, s[0:1]
	s_barrier
	s_cbranch_vccz .LBB1592_375
; %bb.345:
	v_mov_b32_dpp v32, v52 row_shr:1 row_mask:0xf bank_mask:0xf
	v_cndmask_b32_e64 v32, v32, 0, s[14:15]
	v_add_u32_e32 v32, v32, v52
	s_nop 1
	v_mov_b32_dpp v33, v32 row_shr:2 row_mask:0xf bank_mask:0xf
	v_cndmask_b32_e64 v33, 0, v33, s[12:13]
	v_add_u32_e32 v32, v32, v33
	s_nop 1
	;; [unrolled: 4-line block ×4, first 2 shown]
	v_mov_b32_dpp v33, v32 row_bcast:15 row_mask:0xf bank_mask:0xf
	v_cndmask_b32_e64 v33, v33, 0, s[6:7]
	v_add_u32_e32 v32, v32, v33
	s_nop 1
	v_mov_b32_dpp v33, v32 row_bcast:31 row_mask:0xf bank_mask:0xf
	v_cndmask_b32_e64 v33, 0, v33, s[2:3]
	v_add_u32_e32 v32, v32, v33
	s_and_saveexec_b64 s[0:1], s[4:5]
	s_cbranch_execz .LBB1592_347
; %bb.346:
	v_lshlrev_b32_e32 v33, 2, v51
	ds_write_b32 v33, v32
.LBB1592_347:
	s_or_b64 exec, exec, s[0:1]
	v_cmp_gt_u32_e32 vcc, 8, v0
	s_waitcnt lgkmcnt(0)
	s_barrier
	s_and_saveexec_b64 s[0:1], vcc
	s_cbranch_execz .LBB1592_349
; %bb.348:
	v_lshlrev_b32_e32 v33, 2, v0
	ds_read_b32 v34, v33
	v_and_b32_e32 v35, 7, v50
	v_cmp_ne_u32_e32 vcc, 0, v35
	s_waitcnt lgkmcnt(0)
	v_mov_b32_dpp v36, v34 row_shr:1 row_mask:0xf bank_mask:0xf
	v_cndmask_b32_e32 v36, 0, v36, vcc
	v_add_u32_e32 v34, v36, v34
	v_cmp_lt_u32_e32 vcc, 1, v35
	s_nop 0
	v_mov_b32_dpp v36, v34 row_shr:2 row_mask:0xf bank_mask:0xf
	v_cndmask_b32_e32 v36, 0, v36, vcc
	v_add_u32_e32 v34, v34, v36
	v_cmp_lt_u32_e32 vcc, 3, v35
	s_nop 0
	v_mov_b32_dpp v36, v34 row_shr:4 row_mask:0xf bank_mask:0xf
	v_cndmask_b32_e32 v35, 0, v36, vcc
	v_add_u32_e32 v34, v34, v35
	ds_write_b32 v33, v34
.LBB1592_349:
	s_or_b64 exec, exec, s[0:1]
	v_cmp_gt_u32_e32 vcc, 64, v0
	v_cmp_lt_u32_e64 s[0:1], 63, v0
	s_waitcnt lgkmcnt(0)
	s_barrier
	s_waitcnt lgkmcnt(0)
                                        ; implicit-def: $vgpr42
	s_and_saveexec_b64 s[16:17], s[0:1]
	s_cbranch_execz .LBB1592_351
; %bb.350:
	v_lshl_add_u32 v33, v51, 2, -4
	ds_read_b32 v42, v33
	s_waitcnt lgkmcnt(0)
	v_add_u32_e32 v32, v42, v32
.LBB1592_351:
	s_or_b64 exec, exec, s[16:17]
	v_add_u32_e32 v33, -1, v50
	v_and_b32_e32 v34, 64, v50
	v_cmp_lt_i32_e64 s[0:1], v33, v34
	v_cmp_eq_u32_e64 s[16:17], 0, v50
	s_nop 0
	v_cndmask_b32_e64 v33, v33, v50, s[0:1]
	v_lshlrev_b32_e32 v33, 2, v33
	ds_bpermute_b32 v44, v33, v32
	s_and_saveexec_b64 s[0:1], vcc
	s_cbranch_execz .LBB1592_374
; %bb.352:
	v_mov_b32_e32 v41, 0
	ds_read_b32 v32, v41 offset:28
	s_and_saveexec_b64 s[26:27], s[16:17]
	s_cbranch_execz .LBB1592_354
; %bb.353:
	s_add_i32 s36, s33, 64
	s_mov_b32 s37, 0
	s_lshl_b64 s[36:37], s[36:37], 3
	s_add_u32 s36, s38, s36
	v_mov_b32_e32 v33, 1
	s_addc_u32 s37, s39, s37
	s_waitcnt lgkmcnt(0)
	global_store_dwordx2 v41, v[32:33], s[36:37] sc1
.LBB1592_354:
	s_or_b64 exec, exec, s[26:27]
	v_xad_u32 v34, v50, -1, s33
	v_add_u32_e32 v40, 64, v34
	v_lshl_add_u64 v[36:37], v[40:41], 3, s[38:39]
	global_load_dwordx2 v[38:39], v[36:37], off sc1
	s_waitcnt vmcnt(0)
	v_cmp_eq_u16_sdwa s[36:37], v39, v41 src0_sel:BYTE_0 src1_sel:DWORD
	s_and_saveexec_b64 s[26:27], s[36:37]
	s_cbranch_execz .LBB1592_360
; %bb.355:
	s_mov_b32 s40, 1
	s_mov_b64 s[36:37], 0
	v_mov_b32_e32 v33, 0
.LBB1592_356:                           ; =>This Loop Header: Depth=1
                                        ;     Child Loop BB1592_357 Depth 2
	s_max_u32 s41, s40, 1
.LBB1592_357:                           ;   Parent Loop BB1592_356 Depth=1
                                        ; =>  This Inner Loop Header: Depth=2
	s_add_i32 s41, s41, -1
	s_cmp_eq_u32 s41, 0
	s_sleep 1
	s_cbranch_scc0 .LBB1592_357
; %bb.358:                              ;   in Loop: Header=BB1592_356 Depth=1
	global_load_dwordx2 v[38:39], v[36:37], off sc1
	s_cmp_lt_u32 s40, 32
	s_cselect_b64 s[42:43], -1, 0
	s_cmp_lg_u64 s[42:43], 0
	s_addc_u32 s40, s40, 0
	s_waitcnt vmcnt(0)
	v_cmp_ne_u16_sdwa s[42:43], v39, v33 src0_sel:BYTE_0 src1_sel:DWORD
	s_or_b64 s[36:37], s[42:43], s[36:37]
	s_andn2_b64 exec, exec, s[36:37]
	s_cbranch_execnz .LBB1592_356
; %bb.359:
	s_or_b64 exec, exec, s[36:37]
.LBB1592_360:
	s_or_b64 exec, exec, s[26:27]
	v_and_b32_e32 v46, 63, v50
	v_mov_b32_e32 v33, 2
	v_cmp_ne_u32_e32 vcc, 63, v46
	v_cmp_eq_u16_sdwa s[26:27], v39, v33 src0_sel:BYTE_0 src1_sel:DWORD
	v_lshlrev_b64 v[36:37], v50, -1
	v_addc_co_u32_e32 v41, vcc, 0, v50, vcc
	v_and_b32_e32 v35, s27, v37
	v_lshlrev_b32_e32 v53, 2, v41
	v_or_b32_e32 v35, 0x80000000, v35
	ds_bpermute_b32 v41, v53, v38
	v_and_b32_e32 v40, s26, v36
	v_ffbl_b32_e32 v35, v35
	v_add_u32_e32 v35, 32, v35
	v_ffbl_b32_e32 v40, v40
	v_min_u32_e32 v35, v40, v35
	v_cmp_lt_u32_e32 vcc, v46, v35
	v_add_u32_e32 v55, 2, v46
	v_add_u32_e32 v57, 4, v46
	s_waitcnt lgkmcnt(0)
	v_cndmask_b32_e32 v40, 0, v41, vcc
	v_cmp_gt_u32_e32 vcc, 62, v46
	v_add_u32_e32 v38, v40, v38
	v_add_u32_e32 v59, 8, v46
	v_cndmask_b32_e64 v40, 0, 1, vcc
	v_lshlrev_b32_e32 v40, 1, v40
	v_add_lshl_u32 v54, v40, v50, 2
	ds_bpermute_b32 v40, v54, v38
	v_cmp_le_u32_e32 vcc, v55, v35
	v_add_u32_e32 v62, 16, v46
	v_add_u32_e32 v64, 32, v46
	s_waitcnt lgkmcnt(0)
	v_cndmask_b32_e32 v40, 0, v40, vcc
	v_cmp_gt_u32_e32 vcc, 60, v46
	v_add_u32_e32 v38, v38, v40
	s_nop 0
	v_cndmask_b32_e64 v40, 0, 1, vcc
	v_lshlrev_b32_e32 v40, 2, v40
	v_add_lshl_u32 v56, v40, v50, 2
	ds_bpermute_b32 v40, v56, v38
	v_cmp_le_u32_e32 vcc, v57, v35
	s_waitcnt lgkmcnt(0)
	s_nop 0
	v_cndmask_b32_e32 v40, 0, v40, vcc
	v_cmp_gt_u32_e32 vcc, 56, v46
	v_add_u32_e32 v38, v38, v40
	s_nop 0
	v_cndmask_b32_e64 v40, 0, 1, vcc
	v_lshlrev_b32_e32 v40, 3, v40
	v_add_lshl_u32 v58, v40, v50, 2
	ds_bpermute_b32 v40, v58, v38
	v_cmp_le_u32_e32 vcc, v59, v35
	s_waitcnt lgkmcnt(0)
	s_nop 0
	;; [unrolled: 11-line block ×4, first 2 shown]
	v_cndmask_b32_e32 v35, 0, v40, vcc
	v_add_u32_e32 v38, v38, v35
	v_mov_b32_e32 v35, 0
	s_branch .LBB1592_362
.LBB1592_361:                           ;   in Loop: Header=BB1592_362 Depth=1
	s_or_b64 exec, exec, s[26:27]
	v_cmp_eq_u16_sdwa s[26:27], v39, v33 src0_sel:BYTE_0 src1_sel:DWORD
	ds_bpermute_b32 v65, v53, v38
	v_subrev_u32_e32 v34, 64, v34
	v_and_b32_e32 v40, s27, v37
	v_or_b32_e32 v40, 0x80000000, v40
	v_and_b32_e32 v41, s26, v36
	v_ffbl_b32_e32 v40, v40
	v_add_u32_e32 v40, 32, v40
	v_ffbl_b32_e32 v41, v41
	v_min_u32_e32 v40, v41, v40
	v_cmp_lt_u32_e32 vcc, v46, v40
	s_waitcnt lgkmcnt(0)
	s_nop 0
	v_cndmask_b32_e32 v41, 0, v65, vcc
	v_add_u32_e32 v38, v41, v38
	ds_bpermute_b32 v41, v54, v38
	v_cmp_le_u32_e32 vcc, v55, v40
	s_waitcnt lgkmcnt(0)
	s_nop 0
	v_cndmask_b32_e32 v41, 0, v41, vcc
	v_add_u32_e32 v38, v38, v41
	ds_bpermute_b32 v41, v56, v38
	v_cmp_le_u32_e32 vcc, v57, v40
	;; [unrolled: 6-line block ×5, first 2 shown]
	s_waitcnt lgkmcnt(0)
	s_nop 0
	v_cndmask_b32_e32 v40, 0, v41, vcc
	v_add3_u32 v38, v40, v60, v38
.LBB1592_362:                           ; =>This Loop Header: Depth=1
                                        ;     Child Loop BB1592_365 Depth 2
                                        ;       Child Loop BB1592_366 Depth 3
	v_cmp_ne_u16_sdwa s[26:27], v39, v33 src0_sel:BYTE_0 src1_sel:DWORD
	v_mov_b32_e32 v60, v38
	s_nop 0
	v_cndmask_b32_e64 v39, 0, 1, s[26:27]
	;;#ASMSTART
	;;#ASMEND
	s_nop 0
	v_cmp_ne_u32_e32 vcc, 0, v39
	s_cmp_lg_u64 vcc, exec
	s_cbranch_scc1 .LBB1592_369
; %bb.363:                              ;   in Loop: Header=BB1592_362 Depth=1
	v_lshl_add_u64 v[40:41], v[34:35], 3, s[38:39]
	global_load_dwordx2 v[38:39], v[40:41], off sc1
	s_waitcnt vmcnt(0)
	v_cmp_eq_u16_sdwa s[36:37], v39, v35 src0_sel:BYTE_0 src1_sel:DWORD
	s_and_saveexec_b64 s[26:27], s[36:37]
	s_cbranch_execz .LBB1592_361
; %bb.364:                              ;   in Loop: Header=BB1592_362 Depth=1
	s_mov_b32 s40, 1
	s_mov_b64 s[36:37], 0
.LBB1592_365:                           ;   Parent Loop BB1592_362 Depth=1
                                        ; =>  This Loop Header: Depth=2
                                        ;       Child Loop BB1592_366 Depth 3
	s_max_u32 s41, s40, 1
.LBB1592_366:                           ;   Parent Loop BB1592_362 Depth=1
                                        ;     Parent Loop BB1592_365 Depth=2
                                        ; =>    This Inner Loop Header: Depth=3
	s_add_i32 s41, s41, -1
	s_cmp_eq_u32 s41, 0
	s_sleep 1
	s_cbranch_scc0 .LBB1592_366
; %bb.367:                              ;   in Loop: Header=BB1592_365 Depth=2
	global_load_dwordx2 v[38:39], v[40:41], off sc1
	s_cmp_lt_u32 s40, 32
	s_cselect_b64 s[42:43], -1, 0
	s_cmp_lg_u64 s[42:43], 0
	s_addc_u32 s40, s40, 0
	s_waitcnt vmcnt(0)
	v_cmp_ne_u16_sdwa s[42:43], v39, v35 src0_sel:BYTE_0 src1_sel:DWORD
	s_or_b64 s[36:37], s[42:43], s[36:37]
	s_andn2_b64 exec, exec, s[36:37]
	s_cbranch_execnz .LBB1592_365
; %bb.368:                              ;   in Loop: Header=BB1592_362 Depth=1
	s_or_b64 exec, exec, s[36:37]
	s_branch .LBB1592_361
.LBB1592_369:                           ;   in Loop: Header=BB1592_362 Depth=1
                                        ; implicit-def: $vgpr38
                                        ; implicit-def: $vgpr39
	s_cbranch_execz .LBB1592_362
; %bb.370:
	s_and_saveexec_b64 s[26:27], s[16:17]
	s_cbranch_execz .LBB1592_372
; %bb.371:
	s_add_i32 s36, s33, 64
	s_mov_b32 s37, 0
	s_lshl_b64 s[36:37], s[36:37], 3
	s_add_u32 s36, s38, s36
	v_add_u32_e32 v34, v60, v32
	v_mov_b32_e32 v35, 2
	s_addc_u32 s37, s39, s37
	v_mov_b32_e32 v33, 0
	s_movk_i32 s33, 0x7000
	global_store_dwordx2 v33, v[34:35], s[36:37] sc1
	v_add_u32_e64 v33, s33, 0
	ds_write2_b32 v33, v32, v60 offset1:2
.LBB1592_372:
	s_or_b64 exec, exec, s[26:27]
	s_and_b64 exec, exec, s[18:19]
	s_cbranch_execz .LBB1592_374
; %bb.373:
	v_mov_b32_e32 v32, 0
	ds_write_b32 v32, v60 offset:28
.LBB1592_374:
	s_or_b64 exec, exec, s[0:1]
	v_mov_b32_e32 v32, 0
	s_waitcnt lgkmcnt(0)
	s_barrier
	ds_read_b32 v32, v32 offset:28
	v_cndmask_b32_e64 v33, v44, v42, s[16:17]
	v_cndmask_b32_e64 v33, v33, 0, s[18:19]
	s_movk_i32 s0, 0x7000
	s_waitcnt lgkmcnt(0)
	v_add_u32_e32 v46, v32, v33
	v_add_u32_e64 v32, s0, 0
	v_add_u32_e32 v44, v46, v1
	s_barrier
	ds_read2_b32 v[32:33], v32 offset1:2
	v_add_u32_e32 v42, v44, v43
	v_add_u32_e32 v40, v42, v45
	;; [unrolled: 1-line block ×5, first 2 shown]
	s_waitcnt lgkmcnt(0)
	v_readfirstlane_b32 s26, v32
	v_readfirstlane_b32 s16, v33
	v_lshrrev_b64 v[32:33], 24, v[30:31]
	s_branch .LBB1592_385
.LBB1592_375:
                                        ; implicit-def: $vgpr34
                                        ; implicit-def: $vgpr36
                                        ; implicit-def: $vgpr38
                                        ; implicit-def: $vgpr40
                                        ; implicit-def: $vgpr42
                                        ; implicit-def: $vgpr44
                                        ; implicit-def: $vgpr46
                                        ; implicit-def: $sgpr16
                                        ; implicit-def: $sgpr26
	v_lshrrev_b64 v[32:33], 24, v[30:31]
	s_cbranch_execz .LBB1592_385
; %bb.376:
	s_nop 0
	v_mov_b32_dpp v33, v52 row_shr:1 row_mask:0xf bank_mask:0xf
	v_cndmask_b32_e64 v33, v33, 0, s[14:15]
	v_add_u32_e32 v33, v33, v52
	s_nop 1
	v_mov_b32_dpp v34, v33 row_shr:2 row_mask:0xf bank_mask:0xf
	v_cndmask_b32_e64 v34, 0, v34, s[12:13]
	v_add_u32_e32 v33, v33, v34
	;; [unrolled: 4-line block ×4, first 2 shown]
	s_nop 1
	v_mov_b32_dpp v34, v33 row_bcast:15 row_mask:0xf bank_mask:0xf
	v_cndmask_b32_e64 v34, v34, 0, s[6:7]
	v_add_u32_e32 v33, v33, v34
	s_nop 1
	v_mov_b32_dpp v34, v33 row_bcast:31 row_mask:0xf bank_mask:0xf
	v_cndmask_b32_e64 v34, 0, v34, s[2:3]
	v_add_u32_e32 v33, v33, v34
	s_and_saveexec_b64 s[0:1], s[4:5]
	s_cbranch_execz .LBB1592_378
; %bb.377:
	v_lshlrev_b32_e32 v34, 2, v51
	ds_write_b32 v34, v33
.LBB1592_378:
	s_or_b64 exec, exec, s[0:1]
	v_cmp_gt_u32_e32 vcc, 8, v0
	s_waitcnt lgkmcnt(0)
	s_barrier
	s_and_saveexec_b64 s[0:1], vcc
	s_cbranch_execz .LBB1592_380
; %bb.379:
	v_lshlrev_b32_e32 v34, 2, v0
	ds_read_b32 v35, v34
	v_and_b32_e32 v36, 7, v50
	v_cmp_ne_u32_e32 vcc, 0, v36
	s_waitcnt lgkmcnt(0)
	v_mov_b32_dpp v37, v35 row_shr:1 row_mask:0xf bank_mask:0xf
	v_cndmask_b32_e32 v37, 0, v37, vcc
	v_add_u32_e32 v35, v37, v35
	v_cmp_lt_u32_e32 vcc, 1, v36
	s_nop 0
	v_mov_b32_dpp v37, v35 row_shr:2 row_mask:0xf bank_mask:0xf
	v_cndmask_b32_e32 v37, 0, v37, vcc
	v_add_u32_e32 v35, v35, v37
	v_cmp_lt_u32_e32 vcc, 3, v36
	s_nop 0
	v_mov_b32_dpp v37, v35 row_shr:4 row_mask:0xf bank_mask:0xf
	v_cndmask_b32_e32 v36, 0, v37, vcc
	v_add_u32_e32 v35, v35, v36
	ds_write_b32 v34, v35
.LBB1592_380:
	s_or_b64 exec, exec, s[0:1]
	v_cmp_lt_u32_e32 vcc, 63, v0
	v_mov_b32_e32 v35, 0
	v_mov_b32_e32 v34, 0
	s_waitcnt lgkmcnt(0)
	s_barrier
	s_and_saveexec_b64 s[0:1], vcc
	s_cbranch_execz .LBB1592_382
; %bb.381:
	v_lshl_add_u32 v34, v51, 2, -4
	ds_read_b32 v34, v34
.LBB1592_382:
	s_or_b64 exec, exec, s[0:1]
	v_add_u32_e32 v36, -1, v50
	v_and_b32_e32 v37, 64, v50
	v_cmp_lt_i32_e32 vcc, v36, v37
	s_waitcnt lgkmcnt(0)
	v_add_u32_e32 v33, v34, v33
	ds_read_b32 v35, v35 offset:28
	v_cndmask_b32_e32 v36, v36, v50, vcc
	v_lshlrev_b32_e32 v36, 2, v36
	ds_bpermute_b32 v33, v36, v33
	s_waitcnt lgkmcnt(1)
	v_readfirstlane_b32 s26, v35
	s_and_saveexec_b64 s[0:1], s[18:19]
	s_cbranch_execz .LBB1592_384
; %bb.383:
	v_mov_b32_e32 v35, 0
	v_mov_b32_e32 v36, s26
	;; [unrolled: 1-line block ×3, first 2 shown]
	global_store_dwordx2 v35, v[36:37], s[38:39] offset:512 sc1
.LBB1592_384:
	s_or_b64 exec, exec, s[0:1]
	v_cmp_eq_u32_e32 vcc, 0, v50
	s_mov_b32 s16, 0
	s_waitcnt lgkmcnt(0)
	v_cndmask_b32_e32 v33, v33, v34, vcc
	v_cndmask_b32_e64 v46, v33, 0, s[18:19]
	v_add_u32_e32 v44, v46, v1
	v_add_u32_e32 v42, v44, v43
	;; [unrolled: 1-line block ×6, first 2 shown]
	s_barrier
.LBB1592_385:
	s_cmpk_lt_u32 s26, 0x201
	s_cselect_b64 s[2:3], -1, 0
	v_lshrrev_b32_e32 v33, 8, v30
	v_lshrrev_b32_e32 v1, 8, v31
	s_mov_b64 s[0:1], -1
	s_and_b64 vcc, exec, s[2:3]
	s_cbranch_vccz .LBB1592_408
; %bb.386:
	s_add_i32 s4, s16, s26
	v_cmp_gt_u32_e32 vcc, s4, v46
	s_or_b64 s[6:7], s[34:35], vcc
	s_and_saveexec_b64 s[0:1], s[6:7]
	s_cbranch_execz .LBB1592_389
; %bb.387:
	v_and_b32_e32 v35, 1, v30
	v_cmp_eq_u32_e32 vcc, 1, v35
	s_and_b64 exec, exec, vcc
	s_cbranch_execz .LBB1592_389
; %bb.388:
	s_lshl_b64 s[6:7], s[22:23], 3
	s_add_u32 s6, s28, s6
	s_addc_u32 s7, s29, s7
	v_mov_b32_e32 v47, 0
	v_lshl_add_u64 v[48:49], v[46:47], 3, s[6:7]
	global_store_dwordx2 v[48:49], v[22:23], off
.LBB1592_389:
	s_or_b64 exec, exec, s[0:1]
	v_cmp_gt_u32_e32 vcc, s4, v44
	s_or_b64 s[6:7], s[34:35], vcc
	s_and_saveexec_b64 s[0:1], s[6:7]
	s_cbranch_execz .LBB1592_392
; %bb.390:
	v_and_b32_e32 v35, 1, v33
	v_cmp_eq_u32_e32 vcc, 1, v35
	s_and_b64 exec, exec, vcc
	s_cbranch_execz .LBB1592_392
; %bb.391:
	s_lshl_b64 s[6:7], s[22:23], 3
	s_add_u32 s6, s28, s6
	s_addc_u32 s7, s29, s7
	v_mov_b32_e32 v45, 0
	v_lshl_add_u64 v[48:49], v[44:45], 3, s[6:7]
	global_store_dwordx2 v[48:49], v[24:25], off
.LBB1592_392:
	s_or_b64 exec, exec, s[0:1]
	v_cmp_gt_u32_e32 vcc, s4, v42
	s_or_b64 s[6:7], s[34:35], vcc
	s_and_saveexec_b64 s[0:1], s[6:7]
	s_cbranch_execz .LBB1592_395
; %bb.393:
	v_mov_b32_e32 v35, 1
	v_and_b32_sdwa v35, v35, v30 dst_sel:DWORD dst_unused:UNUSED_PAD src0_sel:DWORD src1_sel:WORD_1
	v_cmp_eq_u32_e32 vcc, 1, v35
	s_and_b64 exec, exec, vcc
	s_cbranch_execz .LBB1592_395
; %bb.394:
	s_lshl_b64 s[6:7], s[22:23], 3
	s_add_u32 s6, s28, s6
	s_addc_u32 s7, s29, s7
	v_mov_b32_e32 v43, 0
	v_lshl_add_u64 v[48:49], v[42:43], 3, s[6:7]
	global_store_dwordx2 v[48:49], v[18:19], off
.LBB1592_395:
	s_or_b64 exec, exec, s[0:1]
	v_cmp_gt_u32_e32 vcc, s4, v40
	s_or_b64 s[6:7], s[34:35], vcc
	s_and_saveexec_b64 s[0:1], s[6:7]
	s_cbranch_execz .LBB1592_398
; %bb.396:
	v_and_b32_e32 v35, 1, v32
	v_cmp_eq_u32_e32 vcc, 1, v35
	s_and_b64 exec, exec, vcc
	s_cbranch_execz .LBB1592_398
; %bb.397:
	s_lshl_b64 s[6:7], s[22:23], 3
	s_add_u32 s6, s28, s6
	s_addc_u32 s7, s29, s7
	v_mov_b32_e32 v41, 0
	v_lshl_add_u64 v[48:49], v[40:41], 3, s[6:7]
	global_store_dwordx2 v[48:49], v[20:21], off
.LBB1592_398:
	s_or_b64 exec, exec, s[0:1]
	v_cmp_gt_u32_e32 vcc, s4, v38
	s_or_b64 s[6:7], s[34:35], vcc
	s_and_saveexec_b64 s[0:1], s[6:7]
	s_cbranch_execz .LBB1592_401
; %bb.399:
	v_and_b32_e32 v35, 1, v31
	v_cmp_eq_u32_e32 vcc, 1, v35
	s_and_b64 exec, exec, vcc
	s_cbranch_execz .LBB1592_401
; %bb.400:
	s_lshl_b64 s[6:7], s[22:23], 3
	s_add_u32 s6, s28, s6
	s_addc_u32 s7, s29, s7
	v_mov_b32_e32 v39, 0
	v_lshl_add_u64 v[48:49], v[38:39], 3, s[6:7]
	global_store_dwordx2 v[48:49], v[14:15], off
.LBB1592_401:
	s_or_b64 exec, exec, s[0:1]
	v_cmp_gt_u32_e32 vcc, s4, v36
	s_or_b64 s[6:7], s[34:35], vcc
	s_and_saveexec_b64 s[0:1], s[6:7]
	s_cbranch_execz .LBB1592_404
; %bb.402:
	v_and_b32_e32 v35, 1, v1
	v_cmp_eq_u32_e32 vcc, 1, v35
	s_and_b64 exec, exec, vcc
	s_cbranch_execz .LBB1592_404
; %bb.403:
	s_lshl_b64 s[6:7], s[22:23], 3
	s_add_u32 s6, s28, s6
	s_addc_u32 s7, s29, s7
	v_mov_b32_e32 v37, 0
	v_lshl_add_u64 v[48:49], v[36:37], 3, s[6:7]
	global_store_dwordx2 v[48:49], v[16:17], off
.LBB1592_404:
	s_or_b64 exec, exec, s[0:1]
	v_cmp_gt_u32_e32 vcc, s4, v34
	s_or_b64 s[4:5], s[34:35], vcc
	s_and_saveexec_b64 s[0:1], s[4:5]
	s_cbranch_execz .LBB1592_407
; %bb.405:
	v_mov_b32_e32 v35, 1
	v_and_b32_sdwa v35, v35, v31 dst_sel:DWORD dst_unused:UNUSED_PAD src0_sel:DWORD src1_sel:WORD_1
	v_cmp_eq_u32_e32 vcc, 1, v35
	s_and_b64 exec, exec, vcc
	s_cbranch_execz .LBB1592_407
; %bb.406:
	s_lshl_b64 s[4:5], s[22:23], 3
	s_add_u32 s4, s28, s4
	s_addc_u32 s5, s29, s5
	v_mov_b32_e32 v35, 0
	v_lshl_add_u64 v[48:49], v[34:35], 3, s[4:5]
	global_store_dwordx2 v[48:49], v[28:29], off
.LBB1592_407:
	s_or_b64 exec, exec, s[0:1]
	s_mov_b64 s[0:1], 0
.LBB1592_408:
	v_and_b32_e32 v48, 1, v30
	s_and_b64 vcc, exec, s[0:1]
	v_cmp_eq_u32_e64 s[0:1], 1, v48
	s_cbranch_vccz .LBB1592_427
; %bb.409:
	s_and_saveexec_b64 s[4:5], s[0:1]
	s_cbranch_execz .LBB1592_411
; %bb.410:
	v_subrev_u32_e32 v35, s16, v46
	v_lshlrev_b32_e32 v35, 3, v35
	ds_write_b64 v35, v[22:23]
.LBB1592_411:
	s_or_b64 exec, exec, s[4:5]
	v_and_b32_e32 v22, 1, v33
	v_cmp_eq_u32_e32 vcc, 1, v22
	s_and_saveexec_b64 s[0:1], vcc
	s_cbranch_execz .LBB1592_413
; %bb.412:
	v_subrev_u32_e32 v22, s16, v44
	v_lshlrev_b32_e32 v22, 3, v22
	ds_write_b64 v22, v[24:25]
.LBB1592_413:
	s_or_b64 exec, exec, s[0:1]
	v_mov_b32_e32 v22, 1
	v_and_b32_sdwa v22, v22, v30 dst_sel:DWORD dst_unused:UNUSED_PAD src0_sel:DWORD src1_sel:WORD_1
	v_cmp_eq_u32_e32 vcc, 1, v22
	s_and_saveexec_b64 s[0:1], vcc
	s_cbranch_execz .LBB1592_415
; %bb.414:
	v_subrev_u32_e32 v22, s16, v42
	v_lshlrev_b32_e32 v22, 3, v22
	ds_write_b64 v22, v[18:19]
.LBB1592_415:
	s_or_b64 exec, exec, s[0:1]
	v_and_b32_e32 v18, 1, v32
	v_cmp_eq_u32_e32 vcc, 1, v18
	s_and_saveexec_b64 s[0:1], vcc
	s_cbranch_execz .LBB1592_417
; %bb.416:
	v_subrev_u32_e32 v18, s16, v40
	v_lshlrev_b32_e32 v18, 3, v18
	ds_write_b64 v18, v[20:21]
.LBB1592_417:
	s_or_b64 exec, exec, s[0:1]
	v_and_b32_e32 v18, 1, v31
	;; [unrolled: 10-line block ×3, first 2 shown]
	v_cmp_eq_u32_e32 vcc, 1, v14
	s_and_saveexec_b64 s[0:1], vcc
	s_cbranch_execz .LBB1592_421
; %bb.420:
	v_subrev_u32_e32 v14, s16, v36
	v_lshlrev_b32_e32 v14, 3, v14
	ds_write_b64 v14, v[16:17]
.LBB1592_421:
	s_or_b64 exec, exec, s[0:1]
	v_mov_b32_e32 v14, 1
	v_and_b32_sdwa v14, v14, v31 dst_sel:DWORD dst_unused:UNUSED_PAD src0_sel:DWORD src1_sel:WORD_1
	v_cmp_eq_u32_e32 vcc, 1, v14
	s_and_saveexec_b64 s[0:1], vcc
	s_cbranch_execz .LBB1592_423
; %bb.422:
	v_subrev_u32_e32 v14, s16, v34
	v_lshlrev_b32_e32 v14, 3, v14
	ds_write_b64 v14, v[28:29]
.LBB1592_423:
	s_or_b64 exec, exec, s[0:1]
	v_cmp_gt_u32_e32 vcc, s26, v0
	s_waitcnt lgkmcnt(0)
	s_barrier
	s_and_saveexec_b64 s[0:1], vcc
	s_cbranch_execz .LBB1592_426
; %bb.424:
	s_mov_b32 s17, 0
	s_lshl_b64 s[4:5], s[22:23], 3
	s_lshl_b64 s[6:7], s[16:17], 3
	s_add_u32 s4, s4, s6
	s_addc_u32 s5, s5, s7
	s_add_u32 s4, s28, s4
	v_lshlrev_b32_e32 v14, 3, v0
	v_mov_b32_e32 v15, 0
	s_addc_u32 s5, s29, s5
	v_lshl_add_u64 v[16:17], s[4:5], 0, v[14:15]
	s_mov_b64 s[4:5], 0
	s_mov_b64 s[6:7], 0x1000
	v_mov_b32_e32 v15, v0
.LBB1592_425:                           ; =>This Inner Loop Header: Depth=1
	ds_read_b64 v[18:19], v14
	v_add_u32_e32 v15, 0x200, v15
	v_cmp_le_u32_e32 vcc, s26, v15
	v_add_u32_e32 v14, 0x1000, v14
	s_or_b64 s[4:5], vcc, s[4:5]
	s_waitcnt lgkmcnt(0)
	global_store_dwordx2 v[16:17], v[18:19], off
	v_lshl_add_u64 v[16:17], v[16:17], 0, s[6:7]
	s_andn2_b64 exec, exec, s[4:5]
	s_cbranch_execnz .LBB1592_425
.LBB1592_426:
	s_or_b64 exec, exec, s[0:1]
.LBB1592_427:
	s_mov_b64 s[0:1], -1
	s_and_b64 vcc, exec, s[2:3]
	s_barrier
	s_cbranch_vccnz .LBB1592_431
; %bb.428:
	s_and_b64 vcc, exec, s[0:1]
	s_cbranch_vccnz .LBB1592_453
.LBB1592_429:
	s_and_b64 s[0:1], s[18:19], s[24:25]
	s_and_saveexec_b64 s[2:3], s[0:1]
	s_cbranch_execnz .LBB1592_471
.LBB1592_430:
	s_endpgm
.LBB1592_431:
	s_add_i32 s2, s16, s26
	v_cmp_gt_u32_e32 vcc, s2, v46
	s_or_b64 s[4:5], s[34:35], vcc
	s_and_saveexec_b64 s[0:1], s[4:5]
	s_cbranch_execz .LBB1592_434
; %bb.432:
	v_cmp_eq_u32_e32 vcc, 1, v48
	s_and_b64 exec, exec, vcc
	s_cbranch_execz .LBB1592_434
; %bb.433:
	s_lshl_b64 s[4:5], s[22:23], 3
	s_add_u32 s4, s30, s4
	s_addc_u32 s5, s31, s5
	v_mov_b32_e32 v47, 0
	v_lshl_add_u64 v[14:15], v[46:47], 3, s[4:5]
	global_store_dwordx2 v[14:15], v[10:11], off
.LBB1592_434:
	s_or_b64 exec, exec, s[0:1]
	v_cmp_gt_u32_e32 vcc, s2, v44
	s_or_b64 s[4:5], s[34:35], vcc
	s_and_saveexec_b64 s[0:1], s[4:5]
	s_cbranch_execz .LBB1592_437
; %bb.435:
	v_and_b32_e32 v14, 1, v33
	v_cmp_eq_u32_e32 vcc, 1, v14
	s_and_b64 exec, exec, vcc
	s_cbranch_execz .LBB1592_437
; %bb.436:
	s_lshl_b64 s[4:5], s[22:23], 3
	s_add_u32 s4, s30, s4
	s_addc_u32 s5, s31, s5
	v_mov_b32_e32 v45, 0
	v_lshl_add_u64 v[14:15], v[44:45], 3, s[4:5]
	global_store_dwordx2 v[14:15], v[12:13], off
.LBB1592_437:
	s_or_b64 exec, exec, s[0:1]
	v_cmp_gt_u32_e32 vcc, s2, v42
	s_or_b64 s[4:5], s[34:35], vcc
	s_and_saveexec_b64 s[0:1], s[4:5]
	s_cbranch_execz .LBB1592_440
; %bb.438:
	v_mov_b32_e32 v14, 1
	v_and_b32_sdwa v14, v14, v30 dst_sel:DWORD dst_unused:UNUSED_PAD src0_sel:DWORD src1_sel:WORD_1
	v_cmp_eq_u32_e32 vcc, 1, v14
	s_and_b64 exec, exec, vcc
	s_cbranch_execz .LBB1592_440
; %bb.439:
	s_lshl_b64 s[4:5], s[22:23], 3
	s_add_u32 s4, s30, s4
	s_addc_u32 s5, s31, s5
	v_mov_b32_e32 v43, 0
	v_lshl_add_u64 v[14:15], v[42:43], 3, s[4:5]
	global_store_dwordx2 v[14:15], v[6:7], off
.LBB1592_440:
	s_or_b64 exec, exec, s[0:1]
	v_cmp_gt_u32_e32 vcc, s2, v40
	s_or_b64 s[4:5], s[34:35], vcc
	s_and_saveexec_b64 s[0:1], s[4:5]
	s_cbranch_execz .LBB1592_443
; %bb.441:
	v_and_b32_e32 v14, 1, v32
	v_cmp_eq_u32_e32 vcc, 1, v14
	s_and_b64 exec, exec, vcc
	s_cbranch_execz .LBB1592_443
; %bb.442:
	s_lshl_b64 s[4:5], s[22:23], 3
	s_add_u32 s4, s30, s4
	s_addc_u32 s5, s31, s5
	v_mov_b32_e32 v41, 0
	v_lshl_add_u64 v[14:15], v[40:41], 3, s[4:5]
	global_store_dwordx2 v[14:15], v[8:9], off
.LBB1592_443:
	s_or_b64 exec, exec, s[0:1]
	v_cmp_gt_u32_e32 vcc, s2, v38
	s_or_b64 s[4:5], s[34:35], vcc
	s_and_saveexec_b64 s[0:1], s[4:5]
	s_cbranch_execz .LBB1592_446
; %bb.444:
	v_and_b32_e32 v14, 1, v31
	v_cmp_eq_u32_e32 vcc, 1, v14
	s_and_b64 exec, exec, vcc
	s_cbranch_execz .LBB1592_446
; %bb.445:
	s_lshl_b64 s[4:5], s[22:23], 3
	s_add_u32 s4, s30, s4
	s_addc_u32 s5, s31, s5
	v_mov_b32_e32 v39, 0
	v_lshl_add_u64 v[14:15], v[38:39], 3, s[4:5]
	global_store_dwordx2 v[14:15], v[2:3], off
.LBB1592_446:
	;; [unrolled: 18-line block ×3, first 2 shown]
	s_or_b64 exec, exec, s[0:1]
	v_cmp_gt_u32_e32 vcc, s2, v34
	s_or_b64 s[2:3], s[34:35], vcc
	s_and_saveexec_b64 s[0:1], s[2:3]
	s_cbranch_execz .LBB1592_452
; %bb.450:
	v_mov_b32_e32 v14, 1
	v_and_b32_sdwa v14, v14, v31 dst_sel:DWORD dst_unused:UNUSED_PAD src0_sel:DWORD src1_sel:WORD_1
	v_cmp_eq_u32_e32 vcc, 1, v14
	s_and_b64 exec, exec, vcc
	s_cbranch_execz .LBB1592_452
; %bb.451:
	s_lshl_b64 s[2:3], s[22:23], 3
	s_add_u32 s2, s30, s2
	s_addc_u32 s3, s31, s3
	v_mov_b32_e32 v35, 0
	v_lshl_add_u64 v[14:15], v[34:35], 3, s[2:3]
	global_store_dwordx2 v[14:15], v[26:27], off
.LBB1592_452:
	s_or_b64 exec, exec, s[0:1]
	s_branch .LBB1592_429
.LBB1592_453:
	v_cmp_eq_u32_e32 vcc, 1, v48
	s_and_saveexec_b64 s[0:1], vcc
	s_cbranch_execz .LBB1592_455
; %bb.454:
	v_subrev_u32_e32 v14, s16, v46
	v_lshlrev_b32_e32 v14, 3, v14
	ds_write_b64 v14, v[10:11]
.LBB1592_455:
	s_or_b64 exec, exec, s[0:1]
	v_and_b32_e32 v10, 1, v33
	v_cmp_eq_u32_e32 vcc, 1, v10
	s_and_saveexec_b64 s[0:1], vcc
	s_cbranch_execz .LBB1592_457
; %bb.456:
	v_subrev_u32_e32 v10, s16, v44
	v_lshlrev_b32_e32 v10, 3, v10
	ds_write_b64 v10, v[12:13]
.LBB1592_457:
	s_or_b64 exec, exec, s[0:1]
	v_mov_b32_e32 v10, 1
	v_and_b32_sdwa v10, v10, v30 dst_sel:DWORD dst_unused:UNUSED_PAD src0_sel:DWORD src1_sel:WORD_1
	v_cmp_eq_u32_e32 vcc, 1, v10
	s_and_saveexec_b64 s[0:1], vcc
	s_cbranch_execz .LBB1592_459
; %bb.458:
	v_subrev_u32_e32 v10, s16, v42
	v_lshlrev_b32_e32 v10, 3, v10
	ds_write_b64 v10, v[6:7]
.LBB1592_459:
	s_or_b64 exec, exec, s[0:1]
	v_and_b32_e32 v6, 1, v32
	v_cmp_eq_u32_e32 vcc, 1, v6
	s_and_saveexec_b64 s[0:1], vcc
	s_cbranch_execz .LBB1592_461
; %bb.460:
	v_subrev_u32_e32 v6, s16, v40
	v_lshlrev_b32_e32 v6, 3, v6
	ds_write_b64 v6, v[8:9]
.LBB1592_461:
	s_or_b64 exec, exec, s[0:1]
	v_and_b32_e32 v6, 1, v31
	;; [unrolled: 10-line block ×3, first 2 shown]
	v_cmp_eq_u32_e32 vcc, 1, v1
	s_and_saveexec_b64 s[0:1], vcc
	s_cbranch_execz .LBB1592_465
; %bb.464:
	v_subrev_u32_e32 v1, s16, v36
	v_lshlrev_b32_e32 v1, 3, v1
	ds_write_b64 v1, v[4:5]
.LBB1592_465:
	s_or_b64 exec, exec, s[0:1]
	v_mov_b32_e32 v1, 1
	v_and_b32_sdwa v1, v1, v31 dst_sel:DWORD dst_unused:UNUSED_PAD src0_sel:DWORD src1_sel:WORD_1
	v_cmp_eq_u32_e32 vcc, 1, v1
	s_and_saveexec_b64 s[0:1], vcc
	s_cbranch_execz .LBB1592_467
; %bb.466:
	v_subrev_u32_e32 v1, s16, v34
	v_lshlrev_b32_e32 v1, 3, v1
	ds_write_b64 v1, v[26:27]
.LBB1592_467:
	s_or_b64 exec, exec, s[0:1]
	v_cmp_gt_u32_e32 vcc, s26, v0
	s_waitcnt lgkmcnt(0)
	s_barrier
	s_and_saveexec_b64 s[0:1], vcc
	s_cbranch_execz .LBB1592_470
; %bb.468:
	s_mov_b32 s17, 0
	s_lshl_b64 s[2:3], s[22:23], 3
	s_lshl_b64 s[4:5], s[16:17], 3
	s_add_u32 s2, s2, s4
	s_addc_u32 s3, s3, s5
	s_add_u32 s2, s30, s2
	v_lshlrev_b32_e32 v2, 3, v0
	v_mov_b32_e32 v3, 0
	s_addc_u32 s3, s31, s3
	v_lshl_add_u64 v[4:5], s[2:3], 0, v[2:3]
	s_mov_b64 s[2:3], 0
	s_mov_b64 s[4:5], 0x1000
.LBB1592_469:                           ; =>This Inner Loop Header: Depth=1
	ds_read_b64 v[6:7], v2
	v_add_u32_e32 v0, 0x200, v0
	v_cmp_le_u32_e32 vcc, s26, v0
	v_add_u32_e32 v2, 0x1000, v2
	s_or_b64 s[2:3], vcc, s[2:3]
	s_waitcnt lgkmcnt(0)
	global_store_dwordx2 v[4:5], v[6:7], off
	v_lshl_add_u64 v[4:5], v[4:5], 0, s[4:5]
	s_andn2_b64 exec, exec, s[2:3]
	s_cbranch_execnz .LBB1592_469
.LBB1592_470:
	s_or_b64 exec, exec, s[0:1]
	s_and_b64 s[0:1], s[18:19], s[24:25]
	s_and_saveexec_b64 s[2:3], s[0:1]
	s_cbranch_execz .LBB1592_430
.LBB1592_471:
	s_add_u32 s0, s22, s26
	s_addc_u32 s1, s23, 0
	s_add_u32 s0, s0, s16
	s_addc_u32 s1, s1, 0
	v_mov_b32_e32 v2, 0
	v_mov_b64_e32 v[0:1], s[0:1]
	global_store_dwordx2 v2, v[0:1], s[20:21]
	s_endpgm
	.section	.rodata,"a",@progbits
	.p2align	6, 0x0
	.amdhsa_kernel _ZN7rocprim17ROCPRIM_400000_NS6detail17trampoline_kernelINS0_14default_configENS1_25partition_config_selectorILNS1_17partition_subalgoE9EllbEEZZNS1_14partition_implILS5_9ELb0ES3_jPlS8_PNS0_10empty_typeENS0_5tupleIJS8_S9_EEENSB_IJS8_SA_EEENS0_18inequality_wrapperIZN2at6native12_GLOBAL__N_124unique_dim_cuda_templateIjEESt5tupleIJNSF_6TensorESK_SK_EERKSK_lbbbEUlllE0_EEPmJS9_EEE10hipError_tPvRmT3_T4_T5_T6_T7_T9_mT8_P12ihipStream_tbDpT10_ENKUlT_T0_E_clISt17integral_constantIbLb1EES1A_EEDaS15_S16_EUlS15_E_NS1_11comp_targetILNS1_3genE5ELNS1_11target_archE942ELNS1_3gpuE9ELNS1_3repE0EEENS1_30default_config_static_selectorELNS0_4arch9wavefront6targetE1EEEvT1_
		.amdhsa_group_segment_fixed_size 28684
		.amdhsa_private_segment_fixed_size 0
		.amdhsa_kernarg_size 136
		.amdhsa_user_sgpr_count 2
		.amdhsa_user_sgpr_dispatch_ptr 0
		.amdhsa_user_sgpr_queue_ptr 0
		.amdhsa_user_sgpr_kernarg_segment_ptr 1
		.amdhsa_user_sgpr_dispatch_id 0
		.amdhsa_user_sgpr_kernarg_preload_length 0
		.amdhsa_user_sgpr_kernarg_preload_offset 0
		.amdhsa_user_sgpr_private_segment_size 0
		.amdhsa_uses_dynamic_stack 0
		.amdhsa_enable_private_segment 0
		.amdhsa_system_sgpr_workgroup_id_x 1
		.amdhsa_system_sgpr_workgroup_id_y 0
		.amdhsa_system_sgpr_workgroup_id_z 0
		.amdhsa_system_sgpr_workgroup_info 0
		.amdhsa_system_vgpr_workitem_id 0
		.amdhsa_next_free_vgpr 66
		.amdhsa_next_free_sgpr 58
		.amdhsa_accum_offset 68
		.amdhsa_reserve_vcc 1
		.amdhsa_float_round_mode_32 0
		.amdhsa_float_round_mode_16_64 0
		.amdhsa_float_denorm_mode_32 3
		.amdhsa_float_denorm_mode_16_64 3
		.amdhsa_dx10_clamp 1
		.amdhsa_ieee_mode 1
		.amdhsa_fp16_overflow 0
		.amdhsa_tg_split 0
		.amdhsa_exception_fp_ieee_invalid_op 0
		.amdhsa_exception_fp_denorm_src 0
		.amdhsa_exception_fp_ieee_div_zero 0
		.amdhsa_exception_fp_ieee_overflow 0
		.amdhsa_exception_fp_ieee_underflow 0
		.amdhsa_exception_fp_ieee_inexact 0
		.amdhsa_exception_int_div_zero 0
	.end_amdhsa_kernel
	.section	.text._ZN7rocprim17ROCPRIM_400000_NS6detail17trampoline_kernelINS0_14default_configENS1_25partition_config_selectorILNS1_17partition_subalgoE9EllbEEZZNS1_14partition_implILS5_9ELb0ES3_jPlS8_PNS0_10empty_typeENS0_5tupleIJS8_S9_EEENSB_IJS8_SA_EEENS0_18inequality_wrapperIZN2at6native12_GLOBAL__N_124unique_dim_cuda_templateIjEESt5tupleIJNSF_6TensorESK_SK_EERKSK_lbbbEUlllE0_EEPmJS9_EEE10hipError_tPvRmT3_T4_T5_T6_T7_T9_mT8_P12ihipStream_tbDpT10_ENKUlT_T0_E_clISt17integral_constantIbLb1EES1A_EEDaS15_S16_EUlS15_E_NS1_11comp_targetILNS1_3genE5ELNS1_11target_archE942ELNS1_3gpuE9ELNS1_3repE0EEENS1_30default_config_static_selectorELNS0_4arch9wavefront6targetE1EEEvT1_,"axG",@progbits,_ZN7rocprim17ROCPRIM_400000_NS6detail17trampoline_kernelINS0_14default_configENS1_25partition_config_selectorILNS1_17partition_subalgoE9EllbEEZZNS1_14partition_implILS5_9ELb0ES3_jPlS8_PNS0_10empty_typeENS0_5tupleIJS8_S9_EEENSB_IJS8_SA_EEENS0_18inequality_wrapperIZN2at6native12_GLOBAL__N_124unique_dim_cuda_templateIjEESt5tupleIJNSF_6TensorESK_SK_EERKSK_lbbbEUlllE0_EEPmJS9_EEE10hipError_tPvRmT3_T4_T5_T6_T7_T9_mT8_P12ihipStream_tbDpT10_ENKUlT_T0_E_clISt17integral_constantIbLb1EES1A_EEDaS15_S16_EUlS15_E_NS1_11comp_targetILNS1_3genE5ELNS1_11target_archE942ELNS1_3gpuE9ELNS1_3repE0EEENS1_30default_config_static_selectorELNS0_4arch9wavefront6targetE1EEEvT1_,comdat
.Lfunc_end1592:
	.size	_ZN7rocprim17ROCPRIM_400000_NS6detail17trampoline_kernelINS0_14default_configENS1_25partition_config_selectorILNS1_17partition_subalgoE9EllbEEZZNS1_14partition_implILS5_9ELb0ES3_jPlS8_PNS0_10empty_typeENS0_5tupleIJS8_S9_EEENSB_IJS8_SA_EEENS0_18inequality_wrapperIZN2at6native12_GLOBAL__N_124unique_dim_cuda_templateIjEESt5tupleIJNSF_6TensorESK_SK_EERKSK_lbbbEUlllE0_EEPmJS9_EEE10hipError_tPvRmT3_T4_T5_T6_T7_T9_mT8_P12ihipStream_tbDpT10_ENKUlT_T0_E_clISt17integral_constantIbLb1EES1A_EEDaS15_S16_EUlS15_E_NS1_11comp_targetILNS1_3genE5ELNS1_11target_archE942ELNS1_3gpuE9ELNS1_3repE0EEENS1_30default_config_static_selectorELNS0_4arch9wavefront6targetE1EEEvT1_, .Lfunc_end1592-_ZN7rocprim17ROCPRIM_400000_NS6detail17trampoline_kernelINS0_14default_configENS1_25partition_config_selectorILNS1_17partition_subalgoE9EllbEEZZNS1_14partition_implILS5_9ELb0ES3_jPlS8_PNS0_10empty_typeENS0_5tupleIJS8_S9_EEENSB_IJS8_SA_EEENS0_18inequality_wrapperIZN2at6native12_GLOBAL__N_124unique_dim_cuda_templateIjEESt5tupleIJNSF_6TensorESK_SK_EERKSK_lbbbEUlllE0_EEPmJS9_EEE10hipError_tPvRmT3_T4_T5_T6_T7_T9_mT8_P12ihipStream_tbDpT10_ENKUlT_T0_E_clISt17integral_constantIbLb1EES1A_EEDaS15_S16_EUlS15_E_NS1_11comp_targetILNS1_3genE5ELNS1_11target_archE942ELNS1_3gpuE9ELNS1_3repE0EEENS1_30default_config_static_selectorELNS0_4arch9wavefront6targetE1EEEvT1_
                                        ; -- End function
	.section	.AMDGPU.csdata,"",@progbits
; Kernel info:
; codeLenInByte = 14564
; NumSgprs: 64
; NumVgprs: 66
; NumAgprs: 0
; TotalNumVgprs: 66
; ScratchSize: 0
; MemoryBound: 0
; FloatMode: 240
; IeeeMode: 1
; LDSByteSize: 28684 bytes/workgroup (compile time only)
; SGPRBlocks: 7
; VGPRBlocks: 8
; NumSGPRsForWavesPerEU: 64
; NumVGPRsForWavesPerEU: 66
; AccumOffset: 68
; Occupancy: 4
; WaveLimiterHint : 1
; COMPUTE_PGM_RSRC2:SCRATCH_EN: 0
; COMPUTE_PGM_RSRC2:USER_SGPR: 2
; COMPUTE_PGM_RSRC2:TRAP_HANDLER: 0
; COMPUTE_PGM_RSRC2:TGID_X_EN: 1
; COMPUTE_PGM_RSRC2:TGID_Y_EN: 0
; COMPUTE_PGM_RSRC2:TGID_Z_EN: 0
; COMPUTE_PGM_RSRC2:TIDIG_COMP_CNT: 0
; COMPUTE_PGM_RSRC3_GFX90A:ACCUM_OFFSET: 16
; COMPUTE_PGM_RSRC3_GFX90A:TG_SPLIT: 0
	.section	.text._ZN7rocprim17ROCPRIM_400000_NS6detail17trampoline_kernelINS0_14default_configENS1_25partition_config_selectorILNS1_17partition_subalgoE9EllbEEZZNS1_14partition_implILS5_9ELb0ES3_jPlS8_PNS0_10empty_typeENS0_5tupleIJS8_S9_EEENSB_IJS8_SA_EEENS0_18inequality_wrapperIZN2at6native12_GLOBAL__N_124unique_dim_cuda_templateIjEESt5tupleIJNSF_6TensorESK_SK_EERKSK_lbbbEUlllE0_EEPmJS9_EEE10hipError_tPvRmT3_T4_T5_T6_T7_T9_mT8_P12ihipStream_tbDpT10_ENKUlT_T0_E_clISt17integral_constantIbLb1EES1A_EEDaS15_S16_EUlS15_E_NS1_11comp_targetILNS1_3genE4ELNS1_11target_archE910ELNS1_3gpuE8ELNS1_3repE0EEENS1_30default_config_static_selectorELNS0_4arch9wavefront6targetE1EEEvT1_,"axG",@progbits,_ZN7rocprim17ROCPRIM_400000_NS6detail17trampoline_kernelINS0_14default_configENS1_25partition_config_selectorILNS1_17partition_subalgoE9EllbEEZZNS1_14partition_implILS5_9ELb0ES3_jPlS8_PNS0_10empty_typeENS0_5tupleIJS8_S9_EEENSB_IJS8_SA_EEENS0_18inequality_wrapperIZN2at6native12_GLOBAL__N_124unique_dim_cuda_templateIjEESt5tupleIJNSF_6TensorESK_SK_EERKSK_lbbbEUlllE0_EEPmJS9_EEE10hipError_tPvRmT3_T4_T5_T6_T7_T9_mT8_P12ihipStream_tbDpT10_ENKUlT_T0_E_clISt17integral_constantIbLb1EES1A_EEDaS15_S16_EUlS15_E_NS1_11comp_targetILNS1_3genE4ELNS1_11target_archE910ELNS1_3gpuE8ELNS1_3repE0EEENS1_30default_config_static_selectorELNS0_4arch9wavefront6targetE1EEEvT1_,comdat
	.globl	_ZN7rocprim17ROCPRIM_400000_NS6detail17trampoline_kernelINS0_14default_configENS1_25partition_config_selectorILNS1_17partition_subalgoE9EllbEEZZNS1_14partition_implILS5_9ELb0ES3_jPlS8_PNS0_10empty_typeENS0_5tupleIJS8_S9_EEENSB_IJS8_SA_EEENS0_18inequality_wrapperIZN2at6native12_GLOBAL__N_124unique_dim_cuda_templateIjEESt5tupleIJNSF_6TensorESK_SK_EERKSK_lbbbEUlllE0_EEPmJS9_EEE10hipError_tPvRmT3_T4_T5_T6_T7_T9_mT8_P12ihipStream_tbDpT10_ENKUlT_T0_E_clISt17integral_constantIbLb1EES1A_EEDaS15_S16_EUlS15_E_NS1_11comp_targetILNS1_3genE4ELNS1_11target_archE910ELNS1_3gpuE8ELNS1_3repE0EEENS1_30default_config_static_selectorELNS0_4arch9wavefront6targetE1EEEvT1_ ; -- Begin function _ZN7rocprim17ROCPRIM_400000_NS6detail17trampoline_kernelINS0_14default_configENS1_25partition_config_selectorILNS1_17partition_subalgoE9EllbEEZZNS1_14partition_implILS5_9ELb0ES3_jPlS8_PNS0_10empty_typeENS0_5tupleIJS8_S9_EEENSB_IJS8_SA_EEENS0_18inequality_wrapperIZN2at6native12_GLOBAL__N_124unique_dim_cuda_templateIjEESt5tupleIJNSF_6TensorESK_SK_EERKSK_lbbbEUlllE0_EEPmJS9_EEE10hipError_tPvRmT3_T4_T5_T6_T7_T9_mT8_P12ihipStream_tbDpT10_ENKUlT_T0_E_clISt17integral_constantIbLb1EES1A_EEDaS15_S16_EUlS15_E_NS1_11comp_targetILNS1_3genE4ELNS1_11target_archE910ELNS1_3gpuE8ELNS1_3repE0EEENS1_30default_config_static_selectorELNS0_4arch9wavefront6targetE1EEEvT1_
	.p2align	8
	.type	_ZN7rocprim17ROCPRIM_400000_NS6detail17trampoline_kernelINS0_14default_configENS1_25partition_config_selectorILNS1_17partition_subalgoE9EllbEEZZNS1_14partition_implILS5_9ELb0ES3_jPlS8_PNS0_10empty_typeENS0_5tupleIJS8_S9_EEENSB_IJS8_SA_EEENS0_18inequality_wrapperIZN2at6native12_GLOBAL__N_124unique_dim_cuda_templateIjEESt5tupleIJNSF_6TensorESK_SK_EERKSK_lbbbEUlllE0_EEPmJS9_EEE10hipError_tPvRmT3_T4_T5_T6_T7_T9_mT8_P12ihipStream_tbDpT10_ENKUlT_T0_E_clISt17integral_constantIbLb1EES1A_EEDaS15_S16_EUlS15_E_NS1_11comp_targetILNS1_3genE4ELNS1_11target_archE910ELNS1_3gpuE8ELNS1_3repE0EEENS1_30default_config_static_selectorELNS0_4arch9wavefront6targetE1EEEvT1_,@function
_ZN7rocprim17ROCPRIM_400000_NS6detail17trampoline_kernelINS0_14default_configENS1_25partition_config_selectorILNS1_17partition_subalgoE9EllbEEZZNS1_14partition_implILS5_9ELb0ES3_jPlS8_PNS0_10empty_typeENS0_5tupleIJS8_S9_EEENSB_IJS8_SA_EEENS0_18inequality_wrapperIZN2at6native12_GLOBAL__N_124unique_dim_cuda_templateIjEESt5tupleIJNSF_6TensorESK_SK_EERKSK_lbbbEUlllE0_EEPmJS9_EEE10hipError_tPvRmT3_T4_T5_T6_T7_T9_mT8_P12ihipStream_tbDpT10_ENKUlT_T0_E_clISt17integral_constantIbLb1EES1A_EEDaS15_S16_EUlS15_E_NS1_11comp_targetILNS1_3genE4ELNS1_11target_archE910ELNS1_3gpuE8ELNS1_3repE0EEENS1_30default_config_static_selectorELNS0_4arch9wavefront6targetE1EEEvT1_: ; @_ZN7rocprim17ROCPRIM_400000_NS6detail17trampoline_kernelINS0_14default_configENS1_25partition_config_selectorILNS1_17partition_subalgoE9EllbEEZZNS1_14partition_implILS5_9ELb0ES3_jPlS8_PNS0_10empty_typeENS0_5tupleIJS8_S9_EEENSB_IJS8_SA_EEENS0_18inequality_wrapperIZN2at6native12_GLOBAL__N_124unique_dim_cuda_templateIjEESt5tupleIJNSF_6TensorESK_SK_EERKSK_lbbbEUlllE0_EEPmJS9_EEE10hipError_tPvRmT3_T4_T5_T6_T7_T9_mT8_P12ihipStream_tbDpT10_ENKUlT_T0_E_clISt17integral_constantIbLb1EES1A_EEDaS15_S16_EUlS15_E_NS1_11comp_targetILNS1_3genE4ELNS1_11target_archE910ELNS1_3gpuE8ELNS1_3repE0EEENS1_30default_config_static_selectorELNS0_4arch9wavefront6targetE1EEEvT1_
; %bb.0:
	.section	.rodata,"a",@progbits
	.p2align	6, 0x0
	.amdhsa_kernel _ZN7rocprim17ROCPRIM_400000_NS6detail17trampoline_kernelINS0_14default_configENS1_25partition_config_selectorILNS1_17partition_subalgoE9EllbEEZZNS1_14partition_implILS5_9ELb0ES3_jPlS8_PNS0_10empty_typeENS0_5tupleIJS8_S9_EEENSB_IJS8_SA_EEENS0_18inequality_wrapperIZN2at6native12_GLOBAL__N_124unique_dim_cuda_templateIjEESt5tupleIJNSF_6TensorESK_SK_EERKSK_lbbbEUlllE0_EEPmJS9_EEE10hipError_tPvRmT3_T4_T5_T6_T7_T9_mT8_P12ihipStream_tbDpT10_ENKUlT_T0_E_clISt17integral_constantIbLb1EES1A_EEDaS15_S16_EUlS15_E_NS1_11comp_targetILNS1_3genE4ELNS1_11target_archE910ELNS1_3gpuE8ELNS1_3repE0EEENS1_30default_config_static_selectorELNS0_4arch9wavefront6targetE1EEEvT1_
		.amdhsa_group_segment_fixed_size 0
		.amdhsa_private_segment_fixed_size 0
		.amdhsa_kernarg_size 136
		.amdhsa_user_sgpr_count 2
		.amdhsa_user_sgpr_dispatch_ptr 0
		.amdhsa_user_sgpr_queue_ptr 0
		.amdhsa_user_sgpr_kernarg_segment_ptr 1
		.amdhsa_user_sgpr_dispatch_id 0
		.amdhsa_user_sgpr_kernarg_preload_length 0
		.amdhsa_user_sgpr_kernarg_preload_offset 0
		.amdhsa_user_sgpr_private_segment_size 0
		.amdhsa_uses_dynamic_stack 0
		.amdhsa_enable_private_segment 0
		.amdhsa_system_sgpr_workgroup_id_x 1
		.amdhsa_system_sgpr_workgroup_id_y 0
		.amdhsa_system_sgpr_workgroup_id_z 0
		.amdhsa_system_sgpr_workgroup_info 0
		.amdhsa_system_vgpr_workitem_id 0
		.amdhsa_next_free_vgpr 1
		.amdhsa_next_free_sgpr 0
		.amdhsa_accum_offset 4
		.amdhsa_reserve_vcc 0
		.amdhsa_float_round_mode_32 0
		.amdhsa_float_round_mode_16_64 0
		.amdhsa_float_denorm_mode_32 3
		.amdhsa_float_denorm_mode_16_64 3
		.amdhsa_dx10_clamp 1
		.amdhsa_ieee_mode 1
		.amdhsa_fp16_overflow 0
		.amdhsa_tg_split 0
		.amdhsa_exception_fp_ieee_invalid_op 0
		.amdhsa_exception_fp_denorm_src 0
		.amdhsa_exception_fp_ieee_div_zero 0
		.amdhsa_exception_fp_ieee_overflow 0
		.amdhsa_exception_fp_ieee_underflow 0
		.amdhsa_exception_fp_ieee_inexact 0
		.amdhsa_exception_int_div_zero 0
	.end_amdhsa_kernel
	.section	.text._ZN7rocprim17ROCPRIM_400000_NS6detail17trampoline_kernelINS0_14default_configENS1_25partition_config_selectorILNS1_17partition_subalgoE9EllbEEZZNS1_14partition_implILS5_9ELb0ES3_jPlS8_PNS0_10empty_typeENS0_5tupleIJS8_S9_EEENSB_IJS8_SA_EEENS0_18inequality_wrapperIZN2at6native12_GLOBAL__N_124unique_dim_cuda_templateIjEESt5tupleIJNSF_6TensorESK_SK_EERKSK_lbbbEUlllE0_EEPmJS9_EEE10hipError_tPvRmT3_T4_T5_T6_T7_T9_mT8_P12ihipStream_tbDpT10_ENKUlT_T0_E_clISt17integral_constantIbLb1EES1A_EEDaS15_S16_EUlS15_E_NS1_11comp_targetILNS1_3genE4ELNS1_11target_archE910ELNS1_3gpuE8ELNS1_3repE0EEENS1_30default_config_static_selectorELNS0_4arch9wavefront6targetE1EEEvT1_,"axG",@progbits,_ZN7rocprim17ROCPRIM_400000_NS6detail17trampoline_kernelINS0_14default_configENS1_25partition_config_selectorILNS1_17partition_subalgoE9EllbEEZZNS1_14partition_implILS5_9ELb0ES3_jPlS8_PNS0_10empty_typeENS0_5tupleIJS8_S9_EEENSB_IJS8_SA_EEENS0_18inequality_wrapperIZN2at6native12_GLOBAL__N_124unique_dim_cuda_templateIjEESt5tupleIJNSF_6TensorESK_SK_EERKSK_lbbbEUlllE0_EEPmJS9_EEE10hipError_tPvRmT3_T4_T5_T6_T7_T9_mT8_P12ihipStream_tbDpT10_ENKUlT_T0_E_clISt17integral_constantIbLb1EES1A_EEDaS15_S16_EUlS15_E_NS1_11comp_targetILNS1_3genE4ELNS1_11target_archE910ELNS1_3gpuE8ELNS1_3repE0EEENS1_30default_config_static_selectorELNS0_4arch9wavefront6targetE1EEEvT1_,comdat
.Lfunc_end1593:
	.size	_ZN7rocprim17ROCPRIM_400000_NS6detail17trampoline_kernelINS0_14default_configENS1_25partition_config_selectorILNS1_17partition_subalgoE9EllbEEZZNS1_14partition_implILS5_9ELb0ES3_jPlS8_PNS0_10empty_typeENS0_5tupleIJS8_S9_EEENSB_IJS8_SA_EEENS0_18inequality_wrapperIZN2at6native12_GLOBAL__N_124unique_dim_cuda_templateIjEESt5tupleIJNSF_6TensorESK_SK_EERKSK_lbbbEUlllE0_EEPmJS9_EEE10hipError_tPvRmT3_T4_T5_T6_T7_T9_mT8_P12ihipStream_tbDpT10_ENKUlT_T0_E_clISt17integral_constantIbLb1EES1A_EEDaS15_S16_EUlS15_E_NS1_11comp_targetILNS1_3genE4ELNS1_11target_archE910ELNS1_3gpuE8ELNS1_3repE0EEENS1_30default_config_static_selectorELNS0_4arch9wavefront6targetE1EEEvT1_, .Lfunc_end1593-_ZN7rocprim17ROCPRIM_400000_NS6detail17trampoline_kernelINS0_14default_configENS1_25partition_config_selectorILNS1_17partition_subalgoE9EllbEEZZNS1_14partition_implILS5_9ELb0ES3_jPlS8_PNS0_10empty_typeENS0_5tupleIJS8_S9_EEENSB_IJS8_SA_EEENS0_18inequality_wrapperIZN2at6native12_GLOBAL__N_124unique_dim_cuda_templateIjEESt5tupleIJNSF_6TensorESK_SK_EERKSK_lbbbEUlllE0_EEPmJS9_EEE10hipError_tPvRmT3_T4_T5_T6_T7_T9_mT8_P12ihipStream_tbDpT10_ENKUlT_T0_E_clISt17integral_constantIbLb1EES1A_EEDaS15_S16_EUlS15_E_NS1_11comp_targetILNS1_3genE4ELNS1_11target_archE910ELNS1_3gpuE8ELNS1_3repE0EEENS1_30default_config_static_selectorELNS0_4arch9wavefront6targetE1EEEvT1_
                                        ; -- End function
	.section	.AMDGPU.csdata,"",@progbits
; Kernel info:
; codeLenInByte = 0
; NumSgprs: 6
; NumVgprs: 0
; NumAgprs: 0
; TotalNumVgprs: 0
; ScratchSize: 0
; MemoryBound: 0
; FloatMode: 240
; IeeeMode: 1
; LDSByteSize: 0 bytes/workgroup (compile time only)
; SGPRBlocks: 0
; VGPRBlocks: 0
; NumSGPRsForWavesPerEU: 6
; NumVGPRsForWavesPerEU: 1
; AccumOffset: 4
; Occupancy: 8
; WaveLimiterHint : 0
; COMPUTE_PGM_RSRC2:SCRATCH_EN: 0
; COMPUTE_PGM_RSRC2:USER_SGPR: 2
; COMPUTE_PGM_RSRC2:TRAP_HANDLER: 0
; COMPUTE_PGM_RSRC2:TGID_X_EN: 1
; COMPUTE_PGM_RSRC2:TGID_Y_EN: 0
; COMPUTE_PGM_RSRC2:TGID_Z_EN: 0
; COMPUTE_PGM_RSRC2:TIDIG_COMP_CNT: 0
; COMPUTE_PGM_RSRC3_GFX90A:ACCUM_OFFSET: 0
; COMPUTE_PGM_RSRC3_GFX90A:TG_SPLIT: 0
	.section	.text._ZN7rocprim17ROCPRIM_400000_NS6detail17trampoline_kernelINS0_14default_configENS1_25partition_config_selectorILNS1_17partition_subalgoE9EllbEEZZNS1_14partition_implILS5_9ELb0ES3_jPlS8_PNS0_10empty_typeENS0_5tupleIJS8_S9_EEENSB_IJS8_SA_EEENS0_18inequality_wrapperIZN2at6native12_GLOBAL__N_124unique_dim_cuda_templateIjEESt5tupleIJNSF_6TensorESK_SK_EERKSK_lbbbEUlllE0_EEPmJS9_EEE10hipError_tPvRmT3_T4_T5_T6_T7_T9_mT8_P12ihipStream_tbDpT10_ENKUlT_T0_E_clISt17integral_constantIbLb1EES1A_EEDaS15_S16_EUlS15_E_NS1_11comp_targetILNS1_3genE3ELNS1_11target_archE908ELNS1_3gpuE7ELNS1_3repE0EEENS1_30default_config_static_selectorELNS0_4arch9wavefront6targetE1EEEvT1_,"axG",@progbits,_ZN7rocprim17ROCPRIM_400000_NS6detail17trampoline_kernelINS0_14default_configENS1_25partition_config_selectorILNS1_17partition_subalgoE9EllbEEZZNS1_14partition_implILS5_9ELb0ES3_jPlS8_PNS0_10empty_typeENS0_5tupleIJS8_S9_EEENSB_IJS8_SA_EEENS0_18inequality_wrapperIZN2at6native12_GLOBAL__N_124unique_dim_cuda_templateIjEESt5tupleIJNSF_6TensorESK_SK_EERKSK_lbbbEUlllE0_EEPmJS9_EEE10hipError_tPvRmT3_T4_T5_T6_T7_T9_mT8_P12ihipStream_tbDpT10_ENKUlT_T0_E_clISt17integral_constantIbLb1EES1A_EEDaS15_S16_EUlS15_E_NS1_11comp_targetILNS1_3genE3ELNS1_11target_archE908ELNS1_3gpuE7ELNS1_3repE0EEENS1_30default_config_static_selectorELNS0_4arch9wavefront6targetE1EEEvT1_,comdat
	.globl	_ZN7rocprim17ROCPRIM_400000_NS6detail17trampoline_kernelINS0_14default_configENS1_25partition_config_selectorILNS1_17partition_subalgoE9EllbEEZZNS1_14partition_implILS5_9ELb0ES3_jPlS8_PNS0_10empty_typeENS0_5tupleIJS8_S9_EEENSB_IJS8_SA_EEENS0_18inequality_wrapperIZN2at6native12_GLOBAL__N_124unique_dim_cuda_templateIjEESt5tupleIJNSF_6TensorESK_SK_EERKSK_lbbbEUlllE0_EEPmJS9_EEE10hipError_tPvRmT3_T4_T5_T6_T7_T9_mT8_P12ihipStream_tbDpT10_ENKUlT_T0_E_clISt17integral_constantIbLb1EES1A_EEDaS15_S16_EUlS15_E_NS1_11comp_targetILNS1_3genE3ELNS1_11target_archE908ELNS1_3gpuE7ELNS1_3repE0EEENS1_30default_config_static_selectorELNS0_4arch9wavefront6targetE1EEEvT1_ ; -- Begin function _ZN7rocprim17ROCPRIM_400000_NS6detail17trampoline_kernelINS0_14default_configENS1_25partition_config_selectorILNS1_17partition_subalgoE9EllbEEZZNS1_14partition_implILS5_9ELb0ES3_jPlS8_PNS0_10empty_typeENS0_5tupleIJS8_S9_EEENSB_IJS8_SA_EEENS0_18inequality_wrapperIZN2at6native12_GLOBAL__N_124unique_dim_cuda_templateIjEESt5tupleIJNSF_6TensorESK_SK_EERKSK_lbbbEUlllE0_EEPmJS9_EEE10hipError_tPvRmT3_T4_T5_T6_T7_T9_mT8_P12ihipStream_tbDpT10_ENKUlT_T0_E_clISt17integral_constantIbLb1EES1A_EEDaS15_S16_EUlS15_E_NS1_11comp_targetILNS1_3genE3ELNS1_11target_archE908ELNS1_3gpuE7ELNS1_3repE0EEENS1_30default_config_static_selectorELNS0_4arch9wavefront6targetE1EEEvT1_
	.p2align	8
	.type	_ZN7rocprim17ROCPRIM_400000_NS6detail17trampoline_kernelINS0_14default_configENS1_25partition_config_selectorILNS1_17partition_subalgoE9EllbEEZZNS1_14partition_implILS5_9ELb0ES3_jPlS8_PNS0_10empty_typeENS0_5tupleIJS8_S9_EEENSB_IJS8_SA_EEENS0_18inequality_wrapperIZN2at6native12_GLOBAL__N_124unique_dim_cuda_templateIjEESt5tupleIJNSF_6TensorESK_SK_EERKSK_lbbbEUlllE0_EEPmJS9_EEE10hipError_tPvRmT3_T4_T5_T6_T7_T9_mT8_P12ihipStream_tbDpT10_ENKUlT_T0_E_clISt17integral_constantIbLb1EES1A_EEDaS15_S16_EUlS15_E_NS1_11comp_targetILNS1_3genE3ELNS1_11target_archE908ELNS1_3gpuE7ELNS1_3repE0EEENS1_30default_config_static_selectorELNS0_4arch9wavefront6targetE1EEEvT1_,@function
_ZN7rocprim17ROCPRIM_400000_NS6detail17trampoline_kernelINS0_14default_configENS1_25partition_config_selectorILNS1_17partition_subalgoE9EllbEEZZNS1_14partition_implILS5_9ELb0ES3_jPlS8_PNS0_10empty_typeENS0_5tupleIJS8_S9_EEENSB_IJS8_SA_EEENS0_18inequality_wrapperIZN2at6native12_GLOBAL__N_124unique_dim_cuda_templateIjEESt5tupleIJNSF_6TensorESK_SK_EERKSK_lbbbEUlllE0_EEPmJS9_EEE10hipError_tPvRmT3_T4_T5_T6_T7_T9_mT8_P12ihipStream_tbDpT10_ENKUlT_T0_E_clISt17integral_constantIbLb1EES1A_EEDaS15_S16_EUlS15_E_NS1_11comp_targetILNS1_3genE3ELNS1_11target_archE908ELNS1_3gpuE7ELNS1_3repE0EEENS1_30default_config_static_selectorELNS0_4arch9wavefront6targetE1EEEvT1_: ; @_ZN7rocprim17ROCPRIM_400000_NS6detail17trampoline_kernelINS0_14default_configENS1_25partition_config_selectorILNS1_17partition_subalgoE9EllbEEZZNS1_14partition_implILS5_9ELb0ES3_jPlS8_PNS0_10empty_typeENS0_5tupleIJS8_S9_EEENSB_IJS8_SA_EEENS0_18inequality_wrapperIZN2at6native12_GLOBAL__N_124unique_dim_cuda_templateIjEESt5tupleIJNSF_6TensorESK_SK_EERKSK_lbbbEUlllE0_EEPmJS9_EEE10hipError_tPvRmT3_T4_T5_T6_T7_T9_mT8_P12ihipStream_tbDpT10_ENKUlT_T0_E_clISt17integral_constantIbLb1EES1A_EEDaS15_S16_EUlS15_E_NS1_11comp_targetILNS1_3genE3ELNS1_11target_archE908ELNS1_3gpuE7ELNS1_3repE0EEENS1_30default_config_static_selectorELNS0_4arch9wavefront6targetE1EEEvT1_
; %bb.0:
	.section	.rodata,"a",@progbits
	.p2align	6, 0x0
	.amdhsa_kernel _ZN7rocprim17ROCPRIM_400000_NS6detail17trampoline_kernelINS0_14default_configENS1_25partition_config_selectorILNS1_17partition_subalgoE9EllbEEZZNS1_14partition_implILS5_9ELb0ES3_jPlS8_PNS0_10empty_typeENS0_5tupleIJS8_S9_EEENSB_IJS8_SA_EEENS0_18inequality_wrapperIZN2at6native12_GLOBAL__N_124unique_dim_cuda_templateIjEESt5tupleIJNSF_6TensorESK_SK_EERKSK_lbbbEUlllE0_EEPmJS9_EEE10hipError_tPvRmT3_T4_T5_T6_T7_T9_mT8_P12ihipStream_tbDpT10_ENKUlT_T0_E_clISt17integral_constantIbLb1EES1A_EEDaS15_S16_EUlS15_E_NS1_11comp_targetILNS1_3genE3ELNS1_11target_archE908ELNS1_3gpuE7ELNS1_3repE0EEENS1_30default_config_static_selectorELNS0_4arch9wavefront6targetE1EEEvT1_
		.amdhsa_group_segment_fixed_size 0
		.amdhsa_private_segment_fixed_size 0
		.amdhsa_kernarg_size 136
		.amdhsa_user_sgpr_count 2
		.amdhsa_user_sgpr_dispatch_ptr 0
		.amdhsa_user_sgpr_queue_ptr 0
		.amdhsa_user_sgpr_kernarg_segment_ptr 1
		.amdhsa_user_sgpr_dispatch_id 0
		.amdhsa_user_sgpr_kernarg_preload_length 0
		.amdhsa_user_sgpr_kernarg_preload_offset 0
		.amdhsa_user_sgpr_private_segment_size 0
		.amdhsa_uses_dynamic_stack 0
		.amdhsa_enable_private_segment 0
		.amdhsa_system_sgpr_workgroup_id_x 1
		.amdhsa_system_sgpr_workgroup_id_y 0
		.amdhsa_system_sgpr_workgroup_id_z 0
		.amdhsa_system_sgpr_workgroup_info 0
		.amdhsa_system_vgpr_workitem_id 0
		.amdhsa_next_free_vgpr 1
		.amdhsa_next_free_sgpr 0
		.amdhsa_accum_offset 4
		.amdhsa_reserve_vcc 0
		.amdhsa_float_round_mode_32 0
		.amdhsa_float_round_mode_16_64 0
		.amdhsa_float_denorm_mode_32 3
		.amdhsa_float_denorm_mode_16_64 3
		.amdhsa_dx10_clamp 1
		.amdhsa_ieee_mode 1
		.amdhsa_fp16_overflow 0
		.amdhsa_tg_split 0
		.amdhsa_exception_fp_ieee_invalid_op 0
		.amdhsa_exception_fp_denorm_src 0
		.amdhsa_exception_fp_ieee_div_zero 0
		.amdhsa_exception_fp_ieee_overflow 0
		.amdhsa_exception_fp_ieee_underflow 0
		.amdhsa_exception_fp_ieee_inexact 0
		.amdhsa_exception_int_div_zero 0
	.end_amdhsa_kernel
	.section	.text._ZN7rocprim17ROCPRIM_400000_NS6detail17trampoline_kernelINS0_14default_configENS1_25partition_config_selectorILNS1_17partition_subalgoE9EllbEEZZNS1_14partition_implILS5_9ELb0ES3_jPlS8_PNS0_10empty_typeENS0_5tupleIJS8_S9_EEENSB_IJS8_SA_EEENS0_18inequality_wrapperIZN2at6native12_GLOBAL__N_124unique_dim_cuda_templateIjEESt5tupleIJNSF_6TensorESK_SK_EERKSK_lbbbEUlllE0_EEPmJS9_EEE10hipError_tPvRmT3_T4_T5_T6_T7_T9_mT8_P12ihipStream_tbDpT10_ENKUlT_T0_E_clISt17integral_constantIbLb1EES1A_EEDaS15_S16_EUlS15_E_NS1_11comp_targetILNS1_3genE3ELNS1_11target_archE908ELNS1_3gpuE7ELNS1_3repE0EEENS1_30default_config_static_selectorELNS0_4arch9wavefront6targetE1EEEvT1_,"axG",@progbits,_ZN7rocprim17ROCPRIM_400000_NS6detail17trampoline_kernelINS0_14default_configENS1_25partition_config_selectorILNS1_17partition_subalgoE9EllbEEZZNS1_14partition_implILS5_9ELb0ES3_jPlS8_PNS0_10empty_typeENS0_5tupleIJS8_S9_EEENSB_IJS8_SA_EEENS0_18inequality_wrapperIZN2at6native12_GLOBAL__N_124unique_dim_cuda_templateIjEESt5tupleIJNSF_6TensorESK_SK_EERKSK_lbbbEUlllE0_EEPmJS9_EEE10hipError_tPvRmT3_T4_T5_T6_T7_T9_mT8_P12ihipStream_tbDpT10_ENKUlT_T0_E_clISt17integral_constantIbLb1EES1A_EEDaS15_S16_EUlS15_E_NS1_11comp_targetILNS1_3genE3ELNS1_11target_archE908ELNS1_3gpuE7ELNS1_3repE0EEENS1_30default_config_static_selectorELNS0_4arch9wavefront6targetE1EEEvT1_,comdat
.Lfunc_end1594:
	.size	_ZN7rocprim17ROCPRIM_400000_NS6detail17trampoline_kernelINS0_14default_configENS1_25partition_config_selectorILNS1_17partition_subalgoE9EllbEEZZNS1_14partition_implILS5_9ELb0ES3_jPlS8_PNS0_10empty_typeENS0_5tupleIJS8_S9_EEENSB_IJS8_SA_EEENS0_18inequality_wrapperIZN2at6native12_GLOBAL__N_124unique_dim_cuda_templateIjEESt5tupleIJNSF_6TensorESK_SK_EERKSK_lbbbEUlllE0_EEPmJS9_EEE10hipError_tPvRmT3_T4_T5_T6_T7_T9_mT8_P12ihipStream_tbDpT10_ENKUlT_T0_E_clISt17integral_constantIbLb1EES1A_EEDaS15_S16_EUlS15_E_NS1_11comp_targetILNS1_3genE3ELNS1_11target_archE908ELNS1_3gpuE7ELNS1_3repE0EEENS1_30default_config_static_selectorELNS0_4arch9wavefront6targetE1EEEvT1_, .Lfunc_end1594-_ZN7rocprim17ROCPRIM_400000_NS6detail17trampoline_kernelINS0_14default_configENS1_25partition_config_selectorILNS1_17partition_subalgoE9EllbEEZZNS1_14partition_implILS5_9ELb0ES3_jPlS8_PNS0_10empty_typeENS0_5tupleIJS8_S9_EEENSB_IJS8_SA_EEENS0_18inequality_wrapperIZN2at6native12_GLOBAL__N_124unique_dim_cuda_templateIjEESt5tupleIJNSF_6TensorESK_SK_EERKSK_lbbbEUlllE0_EEPmJS9_EEE10hipError_tPvRmT3_T4_T5_T6_T7_T9_mT8_P12ihipStream_tbDpT10_ENKUlT_T0_E_clISt17integral_constantIbLb1EES1A_EEDaS15_S16_EUlS15_E_NS1_11comp_targetILNS1_3genE3ELNS1_11target_archE908ELNS1_3gpuE7ELNS1_3repE0EEENS1_30default_config_static_selectorELNS0_4arch9wavefront6targetE1EEEvT1_
                                        ; -- End function
	.section	.AMDGPU.csdata,"",@progbits
; Kernel info:
; codeLenInByte = 0
; NumSgprs: 6
; NumVgprs: 0
; NumAgprs: 0
; TotalNumVgprs: 0
; ScratchSize: 0
; MemoryBound: 0
; FloatMode: 240
; IeeeMode: 1
; LDSByteSize: 0 bytes/workgroup (compile time only)
; SGPRBlocks: 0
; VGPRBlocks: 0
; NumSGPRsForWavesPerEU: 6
; NumVGPRsForWavesPerEU: 1
; AccumOffset: 4
; Occupancy: 8
; WaveLimiterHint : 0
; COMPUTE_PGM_RSRC2:SCRATCH_EN: 0
; COMPUTE_PGM_RSRC2:USER_SGPR: 2
; COMPUTE_PGM_RSRC2:TRAP_HANDLER: 0
; COMPUTE_PGM_RSRC2:TGID_X_EN: 1
; COMPUTE_PGM_RSRC2:TGID_Y_EN: 0
; COMPUTE_PGM_RSRC2:TGID_Z_EN: 0
; COMPUTE_PGM_RSRC2:TIDIG_COMP_CNT: 0
; COMPUTE_PGM_RSRC3_GFX90A:ACCUM_OFFSET: 0
; COMPUTE_PGM_RSRC3_GFX90A:TG_SPLIT: 0
	.section	.text._ZN7rocprim17ROCPRIM_400000_NS6detail17trampoline_kernelINS0_14default_configENS1_25partition_config_selectorILNS1_17partition_subalgoE9EllbEEZZNS1_14partition_implILS5_9ELb0ES3_jPlS8_PNS0_10empty_typeENS0_5tupleIJS8_S9_EEENSB_IJS8_SA_EEENS0_18inequality_wrapperIZN2at6native12_GLOBAL__N_124unique_dim_cuda_templateIjEESt5tupleIJNSF_6TensorESK_SK_EERKSK_lbbbEUlllE0_EEPmJS9_EEE10hipError_tPvRmT3_T4_T5_T6_T7_T9_mT8_P12ihipStream_tbDpT10_ENKUlT_T0_E_clISt17integral_constantIbLb1EES1A_EEDaS15_S16_EUlS15_E_NS1_11comp_targetILNS1_3genE2ELNS1_11target_archE906ELNS1_3gpuE6ELNS1_3repE0EEENS1_30default_config_static_selectorELNS0_4arch9wavefront6targetE1EEEvT1_,"axG",@progbits,_ZN7rocprim17ROCPRIM_400000_NS6detail17trampoline_kernelINS0_14default_configENS1_25partition_config_selectorILNS1_17partition_subalgoE9EllbEEZZNS1_14partition_implILS5_9ELb0ES3_jPlS8_PNS0_10empty_typeENS0_5tupleIJS8_S9_EEENSB_IJS8_SA_EEENS0_18inequality_wrapperIZN2at6native12_GLOBAL__N_124unique_dim_cuda_templateIjEESt5tupleIJNSF_6TensorESK_SK_EERKSK_lbbbEUlllE0_EEPmJS9_EEE10hipError_tPvRmT3_T4_T5_T6_T7_T9_mT8_P12ihipStream_tbDpT10_ENKUlT_T0_E_clISt17integral_constantIbLb1EES1A_EEDaS15_S16_EUlS15_E_NS1_11comp_targetILNS1_3genE2ELNS1_11target_archE906ELNS1_3gpuE6ELNS1_3repE0EEENS1_30default_config_static_selectorELNS0_4arch9wavefront6targetE1EEEvT1_,comdat
	.globl	_ZN7rocprim17ROCPRIM_400000_NS6detail17trampoline_kernelINS0_14default_configENS1_25partition_config_selectorILNS1_17partition_subalgoE9EllbEEZZNS1_14partition_implILS5_9ELb0ES3_jPlS8_PNS0_10empty_typeENS0_5tupleIJS8_S9_EEENSB_IJS8_SA_EEENS0_18inequality_wrapperIZN2at6native12_GLOBAL__N_124unique_dim_cuda_templateIjEESt5tupleIJNSF_6TensorESK_SK_EERKSK_lbbbEUlllE0_EEPmJS9_EEE10hipError_tPvRmT3_T4_T5_T6_T7_T9_mT8_P12ihipStream_tbDpT10_ENKUlT_T0_E_clISt17integral_constantIbLb1EES1A_EEDaS15_S16_EUlS15_E_NS1_11comp_targetILNS1_3genE2ELNS1_11target_archE906ELNS1_3gpuE6ELNS1_3repE0EEENS1_30default_config_static_selectorELNS0_4arch9wavefront6targetE1EEEvT1_ ; -- Begin function _ZN7rocprim17ROCPRIM_400000_NS6detail17trampoline_kernelINS0_14default_configENS1_25partition_config_selectorILNS1_17partition_subalgoE9EllbEEZZNS1_14partition_implILS5_9ELb0ES3_jPlS8_PNS0_10empty_typeENS0_5tupleIJS8_S9_EEENSB_IJS8_SA_EEENS0_18inequality_wrapperIZN2at6native12_GLOBAL__N_124unique_dim_cuda_templateIjEESt5tupleIJNSF_6TensorESK_SK_EERKSK_lbbbEUlllE0_EEPmJS9_EEE10hipError_tPvRmT3_T4_T5_T6_T7_T9_mT8_P12ihipStream_tbDpT10_ENKUlT_T0_E_clISt17integral_constantIbLb1EES1A_EEDaS15_S16_EUlS15_E_NS1_11comp_targetILNS1_3genE2ELNS1_11target_archE906ELNS1_3gpuE6ELNS1_3repE0EEENS1_30default_config_static_selectorELNS0_4arch9wavefront6targetE1EEEvT1_
	.p2align	8
	.type	_ZN7rocprim17ROCPRIM_400000_NS6detail17trampoline_kernelINS0_14default_configENS1_25partition_config_selectorILNS1_17partition_subalgoE9EllbEEZZNS1_14partition_implILS5_9ELb0ES3_jPlS8_PNS0_10empty_typeENS0_5tupleIJS8_S9_EEENSB_IJS8_SA_EEENS0_18inequality_wrapperIZN2at6native12_GLOBAL__N_124unique_dim_cuda_templateIjEESt5tupleIJNSF_6TensorESK_SK_EERKSK_lbbbEUlllE0_EEPmJS9_EEE10hipError_tPvRmT3_T4_T5_T6_T7_T9_mT8_P12ihipStream_tbDpT10_ENKUlT_T0_E_clISt17integral_constantIbLb1EES1A_EEDaS15_S16_EUlS15_E_NS1_11comp_targetILNS1_3genE2ELNS1_11target_archE906ELNS1_3gpuE6ELNS1_3repE0EEENS1_30default_config_static_selectorELNS0_4arch9wavefront6targetE1EEEvT1_,@function
_ZN7rocprim17ROCPRIM_400000_NS6detail17trampoline_kernelINS0_14default_configENS1_25partition_config_selectorILNS1_17partition_subalgoE9EllbEEZZNS1_14partition_implILS5_9ELb0ES3_jPlS8_PNS0_10empty_typeENS0_5tupleIJS8_S9_EEENSB_IJS8_SA_EEENS0_18inequality_wrapperIZN2at6native12_GLOBAL__N_124unique_dim_cuda_templateIjEESt5tupleIJNSF_6TensorESK_SK_EERKSK_lbbbEUlllE0_EEPmJS9_EEE10hipError_tPvRmT3_T4_T5_T6_T7_T9_mT8_P12ihipStream_tbDpT10_ENKUlT_T0_E_clISt17integral_constantIbLb1EES1A_EEDaS15_S16_EUlS15_E_NS1_11comp_targetILNS1_3genE2ELNS1_11target_archE906ELNS1_3gpuE6ELNS1_3repE0EEENS1_30default_config_static_selectorELNS0_4arch9wavefront6targetE1EEEvT1_: ; @_ZN7rocprim17ROCPRIM_400000_NS6detail17trampoline_kernelINS0_14default_configENS1_25partition_config_selectorILNS1_17partition_subalgoE9EllbEEZZNS1_14partition_implILS5_9ELb0ES3_jPlS8_PNS0_10empty_typeENS0_5tupleIJS8_S9_EEENSB_IJS8_SA_EEENS0_18inequality_wrapperIZN2at6native12_GLOBAL__N_124unique_dim_cuda_templateIjEESt5tupleIJNSF_6TensorESK_SK_EERKSK_lbbbEUlllE0_EEPmJS9_EEE10hipError_tPvRmT3_T4_T5_T6_T7_T9_mT8_P12ihipStream_tbDpT10_ENKUlT_T0_E_clISt17integral_constantIbLb1EES1A_EEDaS15_S16_EUlS15_E_NS1_11comp_targetILNS1_3genE2ELNS1_11target_archE906ELNS1_3gpuE6ELNS1_3repE0EEENS1_30default_config_static_selectorELNS0_4arch9wavefront6targetE1EEEvT1_
; %bb.0:
	.section	.rodata,"a",@progbits
	.p2align	6, 0x0
	.amdhsa_kernel _ZN7rocprim17ROCPRIM_400000_NS6detail17trampoline_kernelINS0_14default_configENS1_25partition_config_selectorILNS1_17partition_subalgoE9EllbEEZZNS1_14partition_implILS5_9ELb0ES3_jPlS8_PNS0_10empty_typeENS0_5tupleIJS8_S9_EEENSB_IJS8_SA_EEENS0_18inequality_wrapperIZN2at6native12_GLOBAL__N_124unique_dim_cuda_templateIjEESt5tupleIJNSF_6TensorESK_SK_EERKSK_lbbbEUlllE0_EEPmJS9_EEE10hipError_tPvRmT3_T4_T5_T6_T7_T9_mT8_P12ihipStream_tbDpT10_ENKUlT_T0_E_clISt17integral_constantIbLb1EES1A_EEDaS15_S16_EUlS15_E_NS1_11comp_targetILNS1_3genE2ELNS1_11target_archE906ELNS1_3gpuE6ELNS1_3repE0EEENS1_30default_config_static_selectorELNS0_4arch9wavefront6targetE1EEEvT1_
		.amdhsa_group_segment_fixed_size 0
		.amdhsa_private_segment_fixed_size 0
		.amdhsa_kernarg_size 136
		.amdhsa_user_sgpr_count 2
		.amdhsa_user_sgpr_dispatch_ptr 0
		.amdhsa_user_sgpr_queue_ptr 0
		.amdhsa_user_sgpr_kernarg_segment_ptr 1
		.amdhsa_user_sgpr_dispatch_id 0
		.amdhsa_user_sgpr_kernarg_preload_length 0
		.amdhsa_user_sgpr_kernarg_preload_offset 0
		.amdhsa_user_sgpr_private_segment_size 0
		.amdhsa_uses_dynamic_stack 0
		.amdhsa_enable_private_segment 0
		.amdhsa_system_sgpr_workgroup_id_x 1
		.amdhsa_system_sgpr_workgroup_id_y 0
		.amdhsa_system_sgpr_workgroup_id_z 0
		.amdhsa_system_sgpr_workgroup_info 0
		.amdhsa_system_vgpr_workitem_id 0
		.amdhsa_next_free_vgpr 1
		.amdhsa_next_free_sgpr 0
		.amdhsa_accum_offset 4
		.amdhsa_reserve_vcc 0
		.amdhsa_float_round_mode_32 0
		.amdhsa_float_round_mode_16_64 0
		.amdhsa_float_denorm_mode_32 3
		.amdhsa_float_denorm_mode_16_64 3
		.amdhsa_dx10_clamp 1
		.amdhsa_ieee_mode 1
		.amdhsa_fp16_overflow 0
		.amdhsa_tg_split 0
		.amdhsa_exception_fp_ieee_invalid_op 0
		.amdhsa_exception_fp_denorm_src 0
		.amdhsa_exception_fp_ieee_div_zero 0
		.amdhsa_exception_fp_ieee_overflow 0
		.amdhsa_exception_fp_ieee_underflow 0
		.amdhsa_exception_fp_ieee_inexact 0
		.amdhsa_exception_int_div_zero 0
	.end_amdhsa_kernel
	.section	.text._ZN7rocprim17ROCPRIM_400000_NS6detail17trampoline_kernelINS0_14default_configENS1_25partition_config_selectorILNS1_17partition_subalgoE9EllbEEZZNS1_14partition_implILS5_9ELb0ES3_jPlS8_PNS0_10empty_typeENS0_5tupleIJS8_S9_EEENSB_IJS8_SA_EEENS0_18inequality_wrapperIZN2at6native12_GLOBAL__N_124unique_dim_cuda_templateIjEESt5tupleIJNSF_6TensorESK_SK_EERKSK_lbbbEUlllE0_EEPmJS9_EEE10hipError_tPvRmT3_T4_T5_T6_T7_T9_mT8_P12ihipStream_tbDpT10_ENKUlT_T0_E_clISt17integral_constantIbLb1EES1A_EEDaS15_S16_EUlS15_E_NS1_11comp_targetILNS1_3genE2ELNS1_11target_archE906ELNS1_3gpuE6ELNS1_3repE0EEENS1_30default_config_static_selectorELNS0_4arch9wavefront6targetE1EEEvT1_,"axG",@progbits,_ZN7rocprim17ROCPRIM_400000_NS6detail17trampoline_kernelINS0_14default_configENS1_25partition_config_selectorILNS1_17partition_subalgoE9EllbEEZZNS1_14partition_implILS5_9ELb0ES3_jPlS8_PNS0_10empty_typeENS0_5tupleIJS8_S9_EEENSB_IJS8_SA_EEENS0_18inequality_wrapperIZN2at6native12_GLOBAL__N_124unique_dim_cuda_templateIjEESt5tupleIJNSF_6TensorESK_SK_EERKSK_lbbbEUlllE0_EEPmJS9_EEE10hipError_tPvRmT3_T4_T5_T6_T7_T9_mT8_P12ihipStream_tbDpT10_ENKUlT_T0_E_clISt17integral_constantIbLb1EES1A_EEDaS15_S16_EUlS15_E_NS1_11comp_targetILNS1_3genE2ELNS1_11target_archE906ELNS1_3gpuE6ELNS1_3repE0EEENS1_30default_config_static_selectorELNS0_4arch9wavefront6targetE1EEEvT1_,comdat
.Lfunc_end1595:
	.size	_ZN7rocprim17ROCPRIM_400000_NS6detail17trampoline_kernelINS0_14default_configENS1_25partition_config_selectorILNS1_17partition_subalgoE9EllbEEZZNS1_14partition_implILS5_9ELb0ES3_jPlS8_PNS0_10empty_typeENS0_5tupleIJS8_S9_EEENSB_IJS8_SA_EEENS0_18inequality_wrapperIZN2at6native12_GLOBAL__N_124unique_dim_cuda_templateIjEESt5tupleIJNSF_6TensorESK_SK_EERKSK_lbbbEUlllE0_EEPmJS9_EEE10hipError_tPvRmT3_T4_T5_T6_T7_T9_mT8_P12ihipStream_tbDpT10_ENKUlT_T0_E_clISt17integral_constantIbLb1EES1A_EEDaS15_S16_EUlS15_E_NS1_11comp_targetILNS1_3genE2ELNS1_11target_archE906ELNS1_3gpuE6ELNS1_3repE0EEENS1_30default_config_static_selectorELNS0_4arch9wavefront6targetE1EEEvT1_, .Lfunc_end1595-_ZN7rocprim17ROCPRIM_400000_NS6detail17trampoline_kernelINS0_14default_configENS1_25partition_config_selectorILNS1_17partition_subalgoE9EllbEEZZNS1_14partition_implILS5_9ELb0ES3_jPlS8_PNS0_10empty_typeENS0_5tupleIJS8_S9_EEENSB_IJS8_SA_EEENS0_18inequality_wrapperIZN2at6native12_GLOBAL__N_124unique_dim_cuda_templateIjEESt5tupleIJNSF_6TensorESK_SK_EERKSK_lbbbEUlllE0_EEPmJS9_EEE10hipError_tPvRmT3_T4_T5_T6_T7_T9_mT8_P12ihipStream_tbDpT10_ENKUlT_T0_E_clISt17integral_constantIbLb1EES1A_EEDaS15_S16_EUlS15_E_NS1_11comp_targetILNS1_3genE2ELNS1_11target_archE906ELNS1_3gpuE6ELNS1_3repE0EEENS1_30default_config_static_selectorELNS0_4arch9wavefront6targetE1EEEvT1_
                                        ; -- End function
	.section	.AMDGPU.csdata,"",@progbits
; Kernel info:
; codeLenInByte = 0
; NumSgprs: 6
; NumVgprs: 0
; NumAgprs: 0
; TotalNumVgprs: 0
; ScratchSize: 0
; MemoryBound: 0
; FloatMode: 240
; IeeeMode: 1
; LDSByteSize: 0 bytes/workgroup (compile time only)
; SGPRBlocks: 0
; VGPRBlocks: 0
; NumSGPRsForWavesPerEU: 6
; NumVGPRsForWavesPerEU: 1
; AccumOffset: 4
; Occupancy: 8
; WaveLimiterHint : 0
; COMPUTE_PGM_RSRC2:SCRATCH_EN: 0
; COMPUTE_PGM_RSRC2:USER_SGPR: 2
; COMPUTE_PGM_RSRC2:TRAP_HANDLER: 0
; COMPUTE_PGM_RSRC2:TGID_X_EN: 1
; COMPUTE_PGM_RSRC2:TGID_Y_EN: 0
; COMPUTE_PGM_RSRC2:TGID_Z_EN: 0
; COMPUTE_PGM_RSRC2:TIDIG_COMP_CNT: 0
; COMPUTE_PGM_RSRC3_GFX90A:ACCUM_OFFSET: 0
; COMPUTE_PGM_RSRC3_GFX90A:TG_SPLIT: 0
	.section	.text._ZN7rocprim17ROCPRIM_400000_NS6detail17trampoline_kernelINS0_14default_configENS1_25partition_config_selectorILNS1_17partition_subalgoE9EllbEEZZNS1_14partition_implILS5_9ELb0ES3_jPlS8_PNS0_10empty_typeENS0_5tupleIJS8_S9_EEENSB_IJS8_SA_EEENS0_18inequality_wrapperIZN2at6native12_GLOBAL__N_124unique_dim_cuda_templateIjEESt5tupleIJNSF_6TensorESK_SK_EERKSK_lbbbEUlllE0_EEPmJS9_EEE10hipError_tPvRmT3_T4_T5_T6_T7_T9_mT8_P12ihipStream_tbDpT10_ENKUlT_T0_E_clISt17integral_constantIbLb1EES1A_EEDaS15_S16_EUlS15_E_NS1_11comp_targetILNS1_3genE10ELNS1_11target_archE1200ELNS1_3gpuE4ELNS1_3repE0EEENS1_30default_config_static_selectorELNS0_4arch9wavefront6targetE1EEEvT1_,"axG",@progbits,_ZN7rocprim17ROCPRIM_400000_NS6detail17trampoline_kernelINS0_14default_configENS1_25partition_config_selectorILNS1_17partition_subalgoE9EllbEEZZNS1_14partition_implILS5_9ELb0ES3_jPlS8_PNS0_10empty_typeENS0_5tupleIJS8_S9_EEENSB_IJS8_SA_EEENS0_18inequality_wrapperIZN2at6native12_GLOBAL__N_124unique_dim_cuda_templateIjEESt5tupleIJNSF_6TensorESK_SK_EERKSK_lbbbEUlllE0_EEPmJS9_EEE10hipError_tPvRmT3_T4_T5_T6_T7_T9_mT8_P12ihipStream_tbDpT10_ENKUlT_T0_E_clISt17integral_constantIbLb1EES1A_EEDaS15_S16_EUlS15_E_NS1_11comp_targetILNS1_3genE10ELNS1_11target_archE1200ELNS1_3gpuE4ELNS1_3repE0EEENS1_30default_config_static_selectorELNS0_4arch9wavefront6targetE1EEEvT1_,comdat
	.globl	_ZN7rocprim17ROCPRIM_400000_NS6detail17trampoline_kernelINS0_14default_configENS1_25partition_config_selectorILNS1_17partition_subalgoE9EllbEEZZNS1_14partition_implILS5_9ELb0ES3_jPlS8_PNS0_10empty_typeENS0_5tupleIJS8_S9_EEENSB_IJS8_SA_EEENS0_18inequality_wrapperIZN2at6native12_GLOBAL__N_124unique_dim_cuda_templateIjEESt5tupleIJNSF_6TensorESK_SK_EERKSK_lbbbEUlllE0_EEPmJS9_EEE10hipError_tPvRmT3_T4_T5_T6_T7_T9_mT8_P12ihipStream_tbDpT10_ENKUlT_T0_E_clISt17integral_constantIbLb1EES1A_EEDaS15_S16_EUlS15_E_NS1_11comp_targetILNS1_3genE10ELNS1_11target_archE1200ELNS1_3gpuE4ELNS1_3repE0EEENS1_30default_config_static_selectorELNS0_4arch9wavefront6targetE1EEEvT1_ ; -- Begin function _ZN7rocprim17ROCPRIM_400000_NS6detail17trampoline_kernelINS0_14default_configENS1_25partition_config_selectorILNS1_17partition_subalgoE9EllbEEZZNS1_14partition_implILS5_9ELb0ES3_jPlS8_PNS0_10empty_typeENS0_5tupleIJS8_S9_EEENSB_IJS8_SA_EEENS0_18inequality_wrapperIZN2at6native12_GLOBAL__N_124unique_dim_cuda_templateIjEESt5tupleIJNSF_6TensorESK_SK_EERKSK_lbbbEUlllE0_EEPmJS9_EEE10hipError_tPvRmT3_T4_T5_T6_T7_T9_mT8_P12ihipStream_tbDpT10_ENKUlT_T0_E_clISt17integral_constantIbLb1EES1A_EEDaS15_S16_EUlS15_E_NS1_11comp_targetILNS1_3genE10ELNS1_11target_archE1200ELNS1_3gpuE4ELNS1_3repE0EEENS1_30default_config_static_selectorELNS0_4arch9wavefront6targetE1EEEvT1_
	.p2align	8
	.type	_ZN7rocprim17ROCPRIM_400000_NS6detail17trampoline_kernelINS0_14default_configENS1_25partition_config_selectorILNS1_17partition_subalgoE9EllbEEZZNS1_14partition_implILS5_9ELb0ES3_jPlS8_PNS0_10empty_typeENS0_5tupleIJS8_S9_EEENSB_IJS8_SA_EEENS0_18inequality_wrapperIZN2at6native12_GLOBAL__N_124unique_dim_cuda_templateIjEESt5tupleIJNSF_6TensorESK_SK_EERKSK_lbbbEUlllE0_EEPmJS9_EEE10hipError_tPvRmT3_T4_T5_T6_T7_T9_mT8_P12ihipStream_tbDpT10_ENKUlT_T0_E_clISt17integral_constantIbLb1EES1A_EEDaS15_S16_EUlS15_E_NS1_11comp_targetILNS1_3genE10ELNS1_11target_archE1200ELNS1_3gpuE4ELNS1_3repE0EEENS1_30default_config_static_selectorELNS0_4arch9wavefront6targetE1EEEvT1_,@function
_ZN7rocprim17ROCPRIM_400000_NS6detail17trampoline_kernelINS0_14default_configENS1_25partition_config_selectorILNS1_17partition_subalgoE9EllbEEZZNS1_14partition_implILS5_9ELb0ES3_jPlS8_PNS0_10empty_typeENS0_5tupleIJS8_S9_EEENSB_IJS8_SA_EEENS0_18inequality_wrapperIZN2at6native12_GLOBAL__N_124unique_dim_cuda_templateIjEESt5tupleIJNSF_6TensorESK_SK_EERKSK_lbbbEUlllE0_EEPmJS9_EEE10hipError_tPvRmT3_T4_T5_T6_T7_T9_mT8_P12ihipStream_tbDpT10_ENKUlT_T0_E_clISt17integral_constantIbLb1EES1A_EEDaS15_S16_EUlS15_E_NS1_11comp_targetILNS1_3genE10ELNS1_11target_archE1200ELNS1_3gpuE4ELNS1_3repE0EEENS1_30default_config_static_selectorELNS0_4arch9wavefront6targetE1EEEvT1_: ; @_ZN7rocprim17ROCPRIM_400000_NS6detail17trampoline_kernelINS0_14default_configENS1_25partition_config_selectorILNS1_17partition_subalgoE9EllbEEZZNS1_14partition_implILS5_9ELb0ES3_jPlS8_PNS0_10empty_typeENS0_5tupleIJS8_S9_EEENSB_IJS8_SA_EEENS0_18inequality_wrapperIZN2at6native12_GLOBAL__N_124unique_dim_cuda_templateIjEESt5tupleIJNSF_6TensorESK_SK_EERKSK_lbbbEUlllE0_EEPmJS9_EEE10hipError_tPvRmT3_T4_T5_T6_T7_T9_mT8_P12ihipStream_tbDpT10_ENKUlT_T0_E_clISt17integral_constantIbLb1EES1A_EEDaS15_S16_EUlS15_E_NS1_11comp_targetILNS1_3genE10ELNS1_11target_archE1200ELNS1_3gpuE4ELNS1_3repE0EEENS1_30default_config_static_selectorELNS0_4arch9wavefront6targetE1EEEvT1_
; %bb.0:
	.section	.rodata,"a",@progbits
	.p2align	6, 0x0
	.amdhsa_kernel _ZN7rocprim17ROCPRIM_400000_NS6detail17trampoline_kernelINS0_14default_configENS1_25partition_config_selectorILNS1_17partition_subalgoE9EllbEEZZNS1_14partition_implILS5_9ELb0ES3_jPlS8_PNS0_10empty_typeENS0_5tupleIJS8_S9_EEENSB_IJS8_SA_EEENS0_18inequality_wrapperIZN2at6native12_GLOBAL__N_124unique_dim_cuda_templateIjEESt5tupleIJNSF_6TensorESK_SK_EERKSK_lbbbEUlllE0_EEPmJS9_EEE10hipError_tPvRmT3_T4_T5_T6_T7_T9_mT8_P12ihipStream_tbDpT10_ENKUlT_T0_E_clISt17integral_constantIbLb1EES1A_EEDaS15_S16_EUlS15_E_NS1_11comp_targetILNS1_3genE10ELNS1_11target_archE1200ELNS1_3gpuE4ELNS1_3repE0EEENS1_30default_config_static_selectorELNS0_4arch9wavefront6targetE1EEEvT1_
		.amdhsa_group_segment_fixed_size 0
		.amdhsa_private_segment_fixed_size 0
		.amdhsa_kernarg_size 136
		.amdhsa_user_sgpr_count 2
		.amdhsa_user_sgpr_dispatch_ptr 0
		.amdhsa_user_sgpr_queue_ptr 0
		.amdhsa_user_sgpr_kernarg_segment_ptr 1
		.amdhsa_user_sgpr_dispatch_id 0
		.amdhsa_user_sgpr_kernarg_preload_length 0
		.amdhsa_user_sgpr_kernarg_preload_offset 0
		.amdhsa_user_sgpr_private_segment_size 0
		.amdhsa_uses_dynamic_stack 0
		.amdhsa_enable_private_segment 0
		.amdhsa_system_sgpr_workgroup_id_x 1
		.amdhsa_system_sgpr_workgroup_id_y 0
		.amdhsa_system_sgpr_workgroup_id_z 0
		.amdhsa_system_sgpr_workgroup_info 0
		.amdhsa_system_vgpr_workitem_id 0
		.amdhsa_next_free_vgpr 1
		.amdhsa_next_free_sgpr 0
		.amdhsa_accum_offset 4
		.amdhsa_reserve_vcc 0
		.amdhsa_float_round_mode_32 0
		.amdhsa_float_round_mode_16_64 0
		.amdhsa_float_denorm_mode_32 3
		.amdhsa_float_denorm_mode_16_64 3
		.amdhsa_dx10_clamp 1
		.amdhsa_ieee_mode 1
		.amdhsa_fp16_overflow 0
		.amdhsa_tg_split 0
		.amdhsa_exception_fp_ieee_invalid_op 0
		.amdhsa_exception_fp_denorm_src 0
		.amdhsa_exception_fp_ieee_div_zero 0
		.amdhsa_exception_fp_ieee_overflow 0
		.amdhsa_exception_fp_ieee_underflow 0
		.amdhsa_exception_fp_ieee_inexact 0
		.amdhsa_exception_int_div_zero 0
	.end_amdhsa_kernel
	.section	.text._ZN7rocprim17ROCPRIM_400000_NS6detail17trampoline_kernelINS0_14default_configENS1_25partition_config_selectorILNS1_17partition_subalgoE9EllbEEZZNS1_14partition_implILS5_9ELb0ES3_jPlS8_PNS0_10empty_typeENS0_5tupleIJS8_S9_EEENSB_IJS8_SA_EEENS0_18inequality_wrapperIZN2at6native12_GLOBAL__N_124unique_dim_cuda_templateIjEESt5tupleIJNSF_6TensorESK_SK_EERKSK_lbbbEUlllE0_EEPmJS9_EEE10hipError_tPvRmT3_T4_T5_T6_T7_T9_mT8_P12ihipStream_tbDpT10_ENKUlT_T0_E_clISt17integral_constantIbLb1EES1A_EEDaS15_S16_EUlS15_E_NS1_11comp_targetILNS1_3genE10ELNS1_11target_archE1200ELNS1_3gpuE4ELNS1_3repE0EEENS1_30default_config_static_selectorELNS0_4arch9wavefront6targetE1EEEvT1_,"axG",@progbits,_ZN7rocprim17ROCPRIM_400000_NS6detail17trampoline_kernelINS0_14default_configENS1_25partition_config_selectorILNS1_17partition_subalgoE9EllbEEZZNS1_14partition_implILS5_9ELb0ES3_jPlS8_PNS0_10empty_typeENS0_5tupleIJS8_S9_EEENSB_IJS8_SA_EEENS0_18inequality_wrapperIZN2at6native12_GLOBAL__N_124unique_dim_cuda_templateIjEESt5tupleIJNSF_6TensorESK_SK_EERKSK_lbbbEUlllE0_EEPmJS9_EEE10hipError_tPvRmT3_T4_T5_T6_T7_T9_mT8_P12ihipStream_tbDpT10_ENKUlT_T0_E_clISt17integral_constantIbLb1EES1A_EEDaS15_S16_EUlS15_E_NS1_11comp_targetILNS1_3genE10ELNS1_11target_archE1200ELNS1_3gpuE4ELNS1_3repE0EEENS1_30default_config_static_selectorELNS0_4arch9wavefront6targetE1EEEvT1_,comdat
.Lfunc_end1596:
	.size	_ZN7rocprim17ROCPRIM_400000_NS6detail17trampoline_kernelINS0_14default_configENS1_25partition_config_selectorILNS1_17partition_subalgoE9EllbEEZZNS1_14partition_implILS5_9ELb0ES3_jPlS8_PNS0_10empty_typeENS0_5tupleIJS8_S9_EEENSB_IJS8_SA_EEENS0_18inequality_wrapperIZN2at6native12_GLOBAL__N_124unique_dim_cuda_templateIjEESt5tupleIJNSF_6TensorESK_SK_EERKSK_lbbbEUlllE0_EEPmJS9_EEE10hipError_tPvRmT3_T4_T5_T6_T7_T9_mT8_P12ihipStream_tbDpT10_ENKUlT_T0_E_clISt17integral_constantIbLb1EES1A_EEDaS15_S16_EUlS15_E_NS1_11comp_targetILNS1_3genE10ELNS1_11target_archE1200ELNS1_3gpuE4ELNS1_3repE0EEENS1_30default_config_static_selectorELNS0_4arch9wavefront6targetE1EEEvT1_, .Lfunc_end1596-_ZN7rocprim17ROCPRIM_400000_NS6detail17trampoline_kernelINS0_14default_configENS1_25partition_config_selectorILNS1_17partition_subalgoE9EllbEEZZNS1_14partition_implILS5_9ELb0ES3_jPlS8_PNS0_10empty_typeENS0_5tupleIJS8_S9_EEENSB_IJS8_SA_EEENS0_18inequality_wrapperIZN2at6native12_GLOBAL__N_124unique_dim_cuda_templateIjEESt5tupleIJNSF_6TensorESK_SK_EERKSK_lbbbEUlllE0_EEPmJS9_EEE10hipError_tPvRmT3_T4_T5_T6_T7_T9_mT8_P12ihipStream_tbDpT10_ENKUlT_T0_E_clISt17integral_constantIbLb1EES1A_EEDaS15_S16_EUlS15_E_NS1_11comp_targetILNS1_3genE10ELNS1_11target_archE1200ELNS1_3gpuE4ELNS1_3repE0EEENS1_30default_config_static_selectorELNS0_4arch9wavefront6targetE1EEEvT1_
                                        ; -- End function
	.section	.AMDGPU.csdata,"",@progbits
; Kernel info:
; codeLenInByte = 0
; NumSgprs: 6
; NumVgprs: 0
; NumAgprs: 0
; TotalNumVgprs: 0
; ScratchSize: 0
; MemoryBound: 0
; FloatMode: 240
; IeeeMode: 1
; LDSByteSize: 0 bytes/workgroup (compile time only)
; SGPRBlocks: 0
; VGPRBlocks: 0
; NumSGPRsForWavesPerEU: 6
; NumVGPRsForWavesPerEU: 1
; AccumOffset: 4
; Occupancy: 8
; WaveLimiterHint : 0
; COMPUTE_PGM_RSRC2:SCRATCH_EN: 0
; COMPUTE_PGM_RSRC2:USER_SGPR: 2
; COMPUTE_PGM_RSRC2:TRAP_HANDLER: 0
; COMPUTE_PGM_RSRC2:TGID_X_EN: 1
; COMPUTE_PGM_RSRC2:TGID_Y_EN: 0
; COMPUTE_PGM_RSRC2:TGID_Z_EN: 0
; COMPUTE_PGM_RSRC2:TIDIG_COMP_CNT: 0
; COMPUTE_PGM_RSRC3_GFX90A:ACCUM_OFFSET: 0
; COMPUTE_PGM_RSRC3_GFX90A:TG_SPLIT: 0
	.section	.text._ZN7rocprim17ROCPRIM_400000_NS6detail17trampoline_kernelINS0_14default_configENS1_25partition_config_selectorILNS1_17partition_subalgoE9EllbEEZZNS1_14partition_implILS5_9ELb0ES3_jPlS8_PNS0_10empty_typeENS0_5tupleIJS8_S9_EEENSB_IJS8_SA_EEENS0_18inequality_wrapperIZN2at6native12_GLOBAL__N_124unique_dim_cuda_templateIjEESt5tupleIJNSF_6TensorESK_SK_EERKSK_lbbbEUlllE0_EEPmJS9_EEE10hipError_tPvRmT3_T4_T5_T6_T7_T9_mT8_P12ihipStream_tbDpT10_ENKUlT_T0_E_clISt17integral_constantIbLb1EES1A_EEDaS15_S16_EUlS15_E_NS1_11comp_targetILNS1_3genE9ELNS1_11target_archE1100ELNS1_3gpuE3ELNS1_3repE0EEENS1_30default_config_static_selectorELNS0_4arch9wavefront6targetE1EEEvT1_,"axG",@progbits,_ZN7rocprim17ROCPRIM_400000_NS6detail17trampoline_kernelINS0_14default_configENS1_25partition_config_selectorILNS1_17partition_subalgoE9EllbEEZZNS1_14partition_implILS5_9ELb0ES3_jPlS8_PNS0_10empty_typeENS0_5tupleIJS8_S9_EEENSB_IJS8_SA_EEENS0_18inequality_wrapperIZN2at6native12_GLOBAL__N_124unique_dim_cuda_templateIjEESt5tupleIJNSF_6TensorESK_SK_EERKSK_lbbbEUlllE0_EEPmJS9_EEE10hipError_tPvRmT3_T4_T5_T6_T7_T9_mT8_P12ihipStream_tbDpT10_ENKUlT_T0_E_clISt17integral_constantIbLb1EES1A_EEDaS15_S16_EUlS15_E_NS1_11comp_targetILNS1_3genE9ELNS1_11target_archE1100ELNS1_3gpuE3ELNS1_3repE0EEENS1_30default_config_static_selectorELNS0_4arch9wavefront6targetE1EEEvT1_,comdat
	.globl	_ZN7rocprim17ROCPRIM_400000_NS6detail17trampoline_kernelINS0_14default_configENS1_25partition_config_selectorILNS1_17partition_subalgoE9EllbEEZZNS1_14partition_implILS5_9ELb0ES3_jPlS8_PNS0_10empty_typeENS0_5tupleIJS8_S9_EEENSB_IJS8_SA_EEENS0_18inequality_wrapperIZN2at6native12_GLOBAL__N_124unique_dim_cuda_templateIjEESt5tupleIJNSF_6TensorESK_SK_EERKSK_lbbbEUlllE0_EEPmJS9_EEE10hipError_tPvRmT3_T4_T5_T6_T7_T9_mT8_P12ihipStream_tbDpT10_ENKUlT_T0_E_clISt17integral_constantIbLb1EES1A_EEDaS15_S16_EUlS15_E_NS1_11comp_targetILNS1_3genE9ELNS1_11target_archE1100ELNS1_3gpuE3ELNS1_3repE0EEENS1_30default_config_static_selectorELNS0_4arch9wavefront6targetE1EEEvT1_ ; -- Begin function _ZN7rocprim17ROCPRIM_400000_NS6detail17trampoline_kernelINS0_14default_configENS1_25partition_config_selectorILNS1_17partition_subalgoE9EllbEEZZNS1_14partition_implILS5_9ELb0ES3_jPlS8_PNS0_10empty_typeENS0_5tupleIJS8_S9_EEENSB_IJS8_SA_EEENS0_18inequality_wrapperIZN2at6native12_GLOBAL__N_124unique_dim_cuda_templateIjEESt5tupleIJNSF_6TensorESK_SK_EERKSK_lbbbEUlllE0_EEPmJS9_EEE10hipError_tPvRmT3_T4_T5_T6_T7_T9_mT8_P12ihipStream_tbDpT10_ENKUlT_T0_E_clISt17integral_constantIbLb1EES1A_EEDaS15_S16_EUlS15_E_NS1_11comp_targetILNS1_3genE9ELNS1_11target_archE1100ELNS1_3gpuE3ELNS1_3repE0EEENS1_30default_config_static_selectorELNS0_4arch9wavefront6targetE1EEEvT1_
	.p2align	8
	.type	_ZN7rocprim17ROCPRIM_400000_NS6detail17trampoline_kernelINS0_14default_configENS1_25partition_config_selectorILNS1_17partition_subalgoE9EllbEEZZNS1_14partition_implILS5_9ELb0ES3_jPlS8_PNS0_10empty_typeENS0_5tupleIJS8_S9_EEENSB_IJS8_SA_EEENS0_18inequality_wrapperIZN2at6native12_GLOBAL__N_124unique_dim_cuda_templateIjEESt5tupleIJNSF_6TensorESK_SK_EERKSK_lbbbEUlllE0_EEPmJS9_EEE10hipError_tPvRmT3_T4_T5_T6_T7_T9_mT8_P12ihipStream_tbDpT10_ENKUlT_T0_E_clISt17integral_constantIbLb1EES1A_EEDaS15_S16_EUlS15_E_NS1_11comp_targetILNS1_3genE9ELNS1_11target_archE1100ELNS1_3gpuE3ELNS1_3repE0EEENS1_30default_config_static_selectorELNS0_4arch9wavefront6targetE1EEEvT1_,@function
_ZN7rocprim17ROCPRIM_400000_NS6detail17trampoline_kernelINS0_14default_configENS1_25partition_config_selectorILNS1_17partition_subalgoE9EllbEEZZNS1_14partition_implILS5_9ELb0ES3_jPlS8_PNS0_10empty_typeENS0_5tupleIJS8_S9_EEENSB_IJS8_SA_EEENS0_18inequality_wrapperIZN2at6native12_GLOBAL__N_124unique_dim_cuda_templateIjEESt5tupleIJNSF_6TensorESK_SK_EERKSK_lbbbEUlllE0_EEPmJS9_EEE10hipError_tPvRmT3_T4_T5_T6_T7_T9_mT8_P12ihipStream_tbDpT10_ENKUlT_T0_E_clISt17integral_constantIbLb1EES1A_EEDaS15_S16_EUlS15_E_NS1_11comp_targetILNS1_3genE9ELNS1_11target_archE1100ELNS1_3gpuE3ELNS1_3repE0EEENS1_30default_config_static_selectorELNS0_4arch9wavefront6targetE1EEEvT1_: ; @_ZN7rocprim17ROCPRIM_400000_NS6detail17trampoline_kernelINS0_14default_configENS1_25partition_config_selectorILNS1_17partition_subalgoE9EllbEEZZNS1_14partition_implILS5_9ELb0ES3_jPlS8_PNS0_10empty_typeENS0_5tupleIJS8_S9_EEENSB_IJS8_SA_EEENS0_18inequality_wrapperIZN2at6native12_GLOBAL__N_124unique_dim_cuda_templateIjEESt5tupleIJNSF_6TensorESK_SK_EERKSK_lbbbEUlllE0_EEPmJS9_EEE10hipError_tPvRmT3_T4_T5_T6_T7_T9_mT8_P12ihipStream_tbDpT10_ENKUlT_T0_E_clISt17integral_constantIbLb1EES1A_EEDaS15_S16_EUlS15_E_NS1_11comp_targetILNS1_3genE9ELNS1_11target_archE1100ELNS1_3gpuE3ELNS1_3repE0EEENS1_30default_config_static_selectorELNS0_4arch9wavefront6targetE1EEEvT1_
; %bb.0:
	.section	.rodata,"a",@progbits
	.p2align	6, 0x0
	.amdhsa_kernel _ZN7rocprim17ROCPRIM_400000_NS6detail17trampoline_kernelINS0_14default_configENS1_25partition_config_selectorILNS1_17partition_subalgoE9EllbEEZZNS1_14partition_implILS5_9ELb0ES3_jPlS8_PNS0_10empty_typeENS0_5tupleIJS8_S9_EEENSB_IJS8_SA_EEENS0_18inequality_wrapperIZN2at6native12_GLOBAL__N_124unique_dim_cuda_templateIjEESt5tupleIJNSF_6TensorESK_SK_EERKSK_lbbbEUlllE0_EEPmJS9_EEE10hipError_tPvRmT3_T4_T5_T6_T7_T9_mT8_P12ihipStream_tbDpT10_ENKUlT_T0_E_clISt17integral_constantIbLb1EES1A_EEDaS15_S16_EUlS15_E_NS1_11comp_targetILNS1_3genE9ELNS1_11target_archE1100ELNS1_3gpuE3ELNS1_3repE0EEENS1_30default_config_static_selectorELNS0_4arch9wavefront6targetE1EEEvT1_
		.amdhsa_group_segment_fixed_size 0
		.amdhsa_private_segment_fixed_size 0
		.amdhsa_kernarg_size 136
		.amdhsa_user_sgpr_count 2
		.amdhsa_user_sgpr_dispatch_ptr 0
		.amdhsa_user_sgpr_queue_ptr 0
		.amdhsa_user_sgpr_kernarg_segment_ptr 1
		.amdhsa_user_sgpr_dispatch_id 0
		.amdhsa_user_sgpr_kernarg_preload_length 0
		.amdhsa_user_sgpr_kernarg_preload_offset 0
		.amdhsa_user_sgpr_private_segment_size 0
		.amdhsa_uses_dynamic_stack 0
		.amdhsa_enable_private_segment 0
		.amdhsa_system_sgpr_workgroup_id_x 1
		.amdhsa_system_sgpr_workgroup_id_y 0
		.amdhsa_system_sgpr_workgroup_id_z 0
		.amdhsa_system_sgpr_workgroup_info 0
		.amdhsa_system_vgpr_workitem_id 0
		.amdhsa_next_free_vgpr 1
		.amdhsa_next_free_sgpr 0
		.amdhsa_accum_offset 4
		.amdhsa_reserve_vcc 0
		.amdhsa_float_round_mode_32 0
		.amdhsa_float_round_mode_16_64 0
		.amdhsa_float_denorm_mode_32 3
		.amdhsa_float_denorm_mode_16_64 3
		.amdhsa_dx10_clamp 1
		.amdhsa_ieee_mode 1
		.amdhsa_fp16_overflow 0
		.amdhsa_tg_split 0
		.amdhsa_exception_fp_ieee_invalid_op 0
		.amdhsa_exception_fp_denorm_src 0
		.amdhsa_exception_fp_ieee_div_zero 0
		.amdhsa_exception_fp_ieee_overflow 0
		.amdhsa_exception_fp_ieee_underflow 0
		.amdhsa_exception_fp_ieee_inexact 0
		.amdhsa_exception_int_div_zero 0
	.end_amdhsa_kernel
	.section	.text._ZN7rocprim17ROCPRIM_400000_NS6detail17trampoline_kernelINS0_14default_configENS1_25partition_config_selectorILNS1_17partition_subalgoE9EllbEEZZNS1_14partition_implILS5_9ELb0ES3_jPlS8_PNS0_10empty_typeENS0_5tupleIJS8_S9_EEENSB_IJS8_SA_EEENS0_18inequality_wrapperIZN2at6native12_GLOBAL__N_124unique_dim_cuda_templateIjEESt5tupleIJNSF_6TensorESK_SK_EERKSK_lbbbEUlllE0_EEPmJS9_EEE10hipError_tPvRmT3_T4_T5_T6_T7_T9_mT8_P12ihipStream_tbDpT10_ENKUlT_T0_E_clISt17integral_constantIbLb1EES1A_EEDaS15_S16_EUlS15_E_NS1_11comp_targetILNS1_3genE9ELNS1_11target_archE1100ELNS1_3gpuE3ELNS1_3repE0EEENS1_30default_config_static_selectorELNS0_4arch9wavefront6targetE1EEEvT1_,"axG",@progbits,_ZN7rocprim17ROCPRIM_400000_NS6detail17trampoline_kernelINS0_14default_configENS1_25partition_config_selectorILNS1_17partition_subalgoE9EllbEEZZNS1_14partition_implILS5_9ELb0ES3_jPlS8_PNS0_10empty_typeENS0_5tupleIJS8_S9_EEENSB_IJS8_SA_EEENS0_18inequality_wrapperIZN2at6native12_GLOBAL__N_124unique_dim_cuda_templateIjEESt5tupleIJNSF_6TensorESK_SK_EERKSK_lbbbEUlllE0_EEPmJS9_EEE10hipError_tPvRmT3_T4_T5_T6_T7_T9_mT8_P12ihipStream_tbDpT10_ENKUlT_T0_E_clISt17integral_constantIbLb1EES1A_EEDaS15_S16_EUlS15_E_NS1_11comp_targetILNS1_3genE9ELNS1_11target_archE1100ELNS1_3gpuE3ELNS1_3repE0EEENS1_30default_config_static_selectorELNS0_4arch9wavefront6targetE1EEEvT1_,comdat
.Lfunc_end1597:
	.size	_ZN7rocprim17ROCPRIM_400000_NS6detail17trampoline_kernelINS0_14default_configENS1_25partition_config_selectorILNS1_17partition_subalgoE9EllbEEZZNS1_14partition_implILS5_9ELb0ES3_jPlS8_PNS0_10empty_typeENS0_5tupleIJS8_S9_EEENSB_IJS8_SA_EEENS0_18inequality_wrapperIZN2at6native12_GLOBAL__N_124unique_dim_cuda_templateIjEESt5tupleIJNSF_6TensorESK_SK_EERKSK_lbbbEUlllE0_EEPmJS9_EEE10hipError_tPvRmT3_T4_T5_T6_T7_T9_mT8_P12ihipStream_tbDpT10_ENKUlT_T0_E_clISt17integral_constantIbLb1EES1A_EEDaS15_S16_EUlS15_E_NS1_11comp_targetILNS1_3genE9ELNS1_11target_archE1100ELNS1_3gpuE3ELNS1_3repE0EEENS1_30default_config_static_selectorELNS0_4arch9wavefront6targetE1EEEvT1_, .Lfunc_end1597-_ZN7rocprim17ROCPRIM_400000_NS6detail17trampoline_kernelINS0_14default_configENS1_25partition_config_selectorILNS1_17partition_subalgoE9EllbEEZZNS1_14partition_implILS5_9ELb0ES3_jPlS8_PNS0_10empty_typeENS0_5tupleIJS8_S9_EEENSB_IJS8_SA_EEENS0_18inequality_wrapperIZN2at6native12_GLOBAL__N_124unique_dim_cuda_templateIjEESt5tupleIJNSF_6TensorESK_SK_EERKSK_lbbbEUlllE0_EEPmJS9_EEE10hipError_tPvRmT3_T4_T5_T6_T7_T9_mT8_P12ihipStream_tbDpT10_ENKUlT_T0_E_clISt17integral_constantIbLb1EES1A_EEDaS15_S16_EUlS15_E_NS1_11comp_targetILNS1_3genE9ELNS1_11target_archE1100ELNS1_3gpuE3ELNS1_3repE0EEENS1_30default_config_static_selectorELNS0_4arch9wavefront6targetE1EEEvT1_
                                        ; -- End function
	.section	.AMDGPU.csdata,"",@progbits
; Kernel info:
; codeLenInByte = 0
; NumSgprs: 6
; NumVgprs: 0
; NumAgprs: 0
; TotalNumVgprs: 0
; ScratchSize: 0
; MemoryBound: 0
; FloatMode: 240
; IeeeMode: 1
; LDSByteSize: 0 bytes/workgroup (compile time only)
; SGPRBlocks: 0
; VGPRBlocks: 0
; NumSGPRsForWavesPerEU: 6
; NumVGPRsForWavesPerEU: 1
; AccumOffset: 4
; Occupancy: 8
; WaveLimiterHint : 0
; COMPUTE_PGM_RSRC2:SCRATCH_EN: 0
; COMPUTE_PGM_RSRC2:USER_SGPR: 2
; COMPUTE_PGM_RSRC2:TRAP_HANDLER: 0
; COMPUTE_PGM_RSRC2:TGID_X_EN: 1
; COMPUTE_PGM_RSRC2:TGID_Y_EN: 0
; COMPUTE_PGM_RSRC2:TGID_Z_EN: 0
; COMPUTE_PGM_RSRC2:TIDIG_COMP_CNT: 0
; COMPUTE_PGM_RSRC3_GFX90A:ACCUM_OFFSET: 0
; COMPUTE_PGM_RSRC3_GFX90A:TG_SPLIT: 0
	.section	.text._ZN7rocprim17ROCPRIM_400000_NS6detail17trampoline_kernelINS0_14default_configENS1_25partition_config_selectorILNS1_17partition_subalgoE9EllbEEZZNS1_14partition_implILS5_9ELb0ES3_jPlS8_PNS0_10empty_typeENS0_5tupleIJS8_S9_EEENSB_IJS8_SA_EEENS0_18inequality_wrapperIZN2at6native12_GLOBAL__N_124unique_dim_cuda_templateIjEESt5tupleIJNSF_6TensorESK_SK_EERKSK_lbbbEUlllE0_EEPmJS9_EEE10hipError_tPvRmT3_T4_T5_T6_T7_T9_mT8_P12ihipStream_tbDpT10_ENKUlT_T0_E_clISt17integral_constantIbLb1EES1A_EEDaS15_S16_EUlS15_E_NS1_11comp_targetILNS1_3genE8ELNS1_11target_archE1030ELNS1_3gpuE2ELNS1_3repE0EEENS1_30default_config_static_selectorELNS0_4arch9wavefront6targetE1EEEvT1_,"axG",@progbits,_ZN7rocprim17ROCPRIM_400000_NS6detail17trampoline_kernelINS0_14default_configENS1_25partition_config_selectorILNS1_17partition_subalgoE9EllbEEZZNS1_14partition_implILS5_9ELb0ES3_jPlS8_PNS0_10empty_typeENS0_5tupleIJS8_S9_EEENSB_IJS8_SA_EEENS0_18inequality_wrapperIZN2at6native12_GLOBAL__N_124unique_dim_cuda_templateIjEESt5tupleIJNSF_6TensorESK_SK_EERKSK_lbbbEUlllE0_EEPmJS9_EEE10hipError_tPvRmT3_T4_T5_T6_T7_T9_mT8_P12ihipStream_tbDpT10_ENKUlT_T0_E_clISt17integral_constantIbLb1EES1A_EEDaS15_S16_EUlS15_E_NS1_11comp_targetILNS1_3genE8ELNS1_11target_archE1030ELNS1_3gpuE2ELNS1_3repE0EEENS1_30default_config_static_selectorELNS0_4arch9wavefront6targetE1EEEvT1_,comdat
	.globl	_ZN7rocprim17ROCPRIM_400000_NS6detail17trampoline_kernelINS0_14default_configENS1_25partition_config_selectorILNS1_17partition_subalgoE9EllbEEZZNS1_14partition_implILS5_9ELb0ES3_jPlS8_PNS0_10empty_typeENS0_5tupleIJS8_S9_EEENSB_IJS8_SA_EEENS0_18inequality_wrapperIZN2at6native12_GLOBAL__N_124unique_dim_cuda_templateIjEESt5tupleIJNSF_6TensorESK_SK_EERKSK_lbbbEUlllE0_EEPmJS9_EEE10hipError_tPvRmT3_T4_T5_T6_T7_T9_mT8_P12ihipStream_tbDpT10_ENKUlT_T0_E_clISt17integral_constantIbLb1EES1A_EEDaS15_S16_EUlS15_E_NS1_11comp_targetILNS1_3genE8ELNS1_11target_archE1030ELNS1_3gpuE2ELNS1_3repE0EEENS1_30default_config_static_selectorELNS0_4arch9wavefront6targetE1EEEvT1_ ; -- Begin function _ZN7rocprim17ROCPRIM_400000_NS6detail17trampoline_kernelINS0_14default_configENS1_25partition_config_selectorILNS1_17partition_subalgoE9EllbEEZZNS1_14partition_implILS5_9ELb0ES3_jPlS8_PNS0_10empty_typeENS0_5tupleIJS8_S9_EEENSB_IJS8_SA_EEENS0_18inequality_wrapperIZN2at6native12_GLOBAL__N_124unique_dim_cuda_templateIjEESt5tupleIJNSF_6TensorESK_SK_EERKSK_lbbbEUlllE0_EEPmJS9_EEE10hipError_tPvRmT3_T4_T5_T6_T7_T9_mT8_P12ihipStream_tbDpT10_ENKUlT_T0_E_clISt17integral_constantIbLb1EES1A_EEDaS15_S16_EUlS15_E_NS1_11comp_targetILNS1_3genE8ELNS1_11target_archE1030ELNS1_3gpuE2ELNS1_3repE0EEENS1_30default_config_static_selectorELNS0_4arch9wavefront6targetE1EEEvT1_
	.p2align	8
	.type	_ZN7rocprim17ROCPRIM_400000_NS6detail17trampoline_kernelINS0_14default_configENS1_25partition_config_selectorILNS1_17partition_subalgoE9EllbEEZZNS1_14partition_implILS5_9ELb0ES3_jPlS8_PNS0_10empty_typeENS0_5tupleIJS8_S9_EEENSB_IJS8_SA_EEENS0_18inequality_wrapperIZN2at6native12_GLOBAL__N_124unique_dim_cuda_templateIjEESt5tupleIJNSF_6TensorESK_SK_EERKSK_lbbbEUlllE0_EEPmJS9_EEE10hipError_tPvRmT3_T4_T5_T6_T7_T9_mT8_P12ihipStream_tbDpT10_ENKUlT_T0_E_clISt17integral_constantIbLb1EES1A_EEDaS15_S16_EUlS15_E_NS1_11comp_targetILNS1_3genE8ELNS1_11target_archE1030ELNS1_3gpuE2ELNS1_3repE0EEENS1_30default_config_static_selectorELNS0_4arch9wavefront6targetE1EEEvT1_,@function
_ZN7rocprim17ROCPRIM_400000_NS6detail17trampoline_kernelINS0_14default_configENS1_25partition_config_selectorILNS1_17partition_subalgoE9EllbEEZZNS1_14partition_implILS5_9ELb0ES3_jPlS8_PNS0_10empty_typeENS0_5tupleIJS8_S9_EEENSB_IJS8_SA_EEENS0_18inequality_wrapperIZN2at6native12_GLOBAL__N_124unique_dim_cuda_templateIjEESt5tupleIJNSF_6TensorESK_SK_EERKSK_lbbbEUlllE0_EEPmJS9_EEE10hipError_tPvRmT3_T4_T5_T6_T7_T9_mT8_P12ihipStream_tbDpT10_ENKUlT_T0_E_clISt17integral_constantIbLb1EES1A_EEDaS15_S16_EUlS15_E_NS1_11comp_targetILNS1_3genE8ELNS1_11target_archE1030ELNS1_3gpuE2ELNS1_3repE0EEENS1_30default_config_static_selectorELNS0_4arch9wavefront6targetE1EEEvT1_: ; @_ZN7rocprim17ROCPRIM_400000_NS6detail17trampoline_kernelINS0_14default_configENS1_25partition_config_selectorILNS1_17partition_subalgoE9EllbEEZZNS1_14partition_implILS5_9ELb0ES3_jPlS8_PNS0_10empty_typeENS0_5tupleIJS8_S9_EEENSB_IJS8_SA_EEENS0_18inequality_wrapperIZN2at6native12_GLOBAL__N_124unique_dim_cuda_templateIjEESt5tupleIJNSF_6TensorESK_SK_EERKSK_lbbbEUlllE0_EEPmJS9_EEE10hipError_tPvRmT3_T4_T5_T6_T7_T9_mT8_P12ihipStream_tbDpT10_ENKUlT_T0_E_clISt17integral_constantIbLb1EES1A_EEDaS15_S16_EUlS15_E_NS1_11comp_targetILNS1_3genE8ELNS1_11target_archE1030ELNS1_3gpuE2ELNS1_3repE0EEENS1_30default_config_static_selectorELNS0_4arch9wavefront6targetE1EEEvT1_
; %bb.0:
	.section	.rodata,"a",@progbits
	.p2align	6, 0x0
	.amdhsa_kernel _ZN7rocprim17ROCPRIM_400000_NS6detail17trampoline_kernelINS0_14default_configENS1_25partition_config_selectorILNS1_17partition_subalgoE9EllbEEZZNS1_14partition_implILS5_9ELb0ES3_jPlS8_PNS0_10empty_typeENS0_5tupleIJS8_S9_EEENSB_IJS8_SA_EEENS0_18inequality_wrapperIZN2at6native12_GLOBAL__N_124unique_dim_cuda_templateIjEESt5tupleIJNSF_6TensorESK_SK_EERKSK_lbbbEUlllE0_EEPmJS9_EEE10hipError_tPvRmT3_T4_T5_T6_T7_T9_mT8_P12ihipStream_tbDpT10_ENKUlT_T0_E_clISt17integral_constantIbLb1EES1A_EEDaS15_S16_EUlS15_E_NS1_11comp_targetILNS1_3genE8ELNS1_11target_archE1030ELNS1_3gpuE2ELNS1_3repE0EEENS1_30default_config_static_selectorELNS0_4arch9wavefront6targetE1EEEvT1_
		.amdhsa_group_segment_fixed_size 0
		.amdhsa_private_segment_fixed_size 0
		.amdhsa_kernarg_size 136
		.amdhsa_user_sgpr_count 2
		.amdhsa_user_sgpr_dispatch_ptr 0
		.amdhsa_user_sgpr_queue_ptr 0
		.amdhsa_user_sgpr_kernarg_segment_ptr 1
		.amdhsa_user_sgpr_dispatch_id 0
		.amdhsa_user_sgpr_kernarg_preload_length 0
		.amdhsa_user_sgpr_kernarg_preload_offset 0
		.amdhsa_user_sgpr_private_segment_size 0
		.amdhsa_uses_dynamic_stack 0
		.amdhsa_enable_private_segment 0
		.amdhsa_system_sgpr_workgroup_id_x 1
		.amdhsa_system_sgpr_workgroup_id_y 0
		.amdhsa_system_sgpr_workgroup_id_z 0
		.amdhsa_system_sgpr_workgroup_info 0
		.amdhsa_system_vgpr_workitem_id 0
		.amdhsa_next_free_vgpr 1
		.amdhsa_next_free_sgpr 0
		.amdhsa_accum_offset 4
		.amdhsa_reserve_vcc 0
		.amdhsa_float_round_mode_32 0
		.amdhsa_float_round_mode_16_64 0
		.amdhsa_float_denorm_mode_32 3
		.amdhsa_float_denorm_mode_16_64 3
		.amdhsa_dx10_clamp 1
		.amdhsa_ieee_mode 1
		.amdhsa_fp16_overflow 0
		.amdhsa_tg_split 0
		.amdhsa_exception_fp_ieee_invalid_op 0
		.amdhsa_exception_fp_denorm_src 0
		.amdhsa_exception_fp_ieee_div_zero 0
		.amdhsa_exception_fp_ieee_overflow 0
		.amdhsa_exception_fp_ieee_underflow 0
		.amdhsa_exception_fp_ieee_inexact 0
		.amdhsa_exception_int_div_zero 0
	.end_amdhsa_kernel
	.section	.text._ZN7rocprim17ROCPRIM_400000_NS6detail17trampoline_kernelINS0_14default_configENS1_25partition_config_selectorILNS1_17partition_subalgoE9EllbEEZZNS1_14partition_implILS5_9ELb0ES3_jPlS8_PNS0_10empty_typeENS0_5tupleIJS8_S9_EEENSB_IJS8_SA_EEENS0_18inequality_wrapperIZN2at6native12_GLOBAL__N_124unique_dim_cuda_templateIjEESt5tupleIJNSF_6TensorESK_SK_EERKSK_lbbbEUlllE0_EEPmJS9_EEE10hipError_tPvRmT3_T4_T5_T6_T7_T9_mT8_P12ihipStream_tbDpT10_ENKUlT_T0_E_clISt17integral_constantIbLb1EES1A_EEDaS15_S16_EUlS15_E_NS1_11comp_targetILNS1_3genE8ELNS1_11target_archE1030ELNS1_3gpuE2ELNS1_3repE0EEENS1_30default_config_static_selectorELNS0_4arch9wavefront6targetE1EEEvT1_,"axG",@progbits,_ZN7rocprim17ROCPRIM_400000_NS6detail17trampoline_kernelINS0_14default_configENS1_25partition_config_selectorILNS1_17partition_subalgoE9EllbEEZZNS1_14partition_implILS5_9ELb0ES3_jPlS8_PNS0_10empty_typeENS0_5tupleIJS8_S9_EEENSB_IJS8_SA_EEENS0_18inequality_wrapperIZN2at6native12_GLOBAL__N_124unique_dim_cuda_templateIjEESt5tupleIJNSF_6TensorESK_SK_EERKSK_lbbbEUlllE0_EEPmJS9_EEE10hipError_tPvRmT3_T4_T5_T6_T7_T9_mT8_P12ihipStream_tbDpT10_ENKUlT_T0_E_clISt17integral_constantIbLb1EES1A_EEDaS15_S16_EUlS15_E_NS1_11comp_targetILNS1_3genE8ELNS1_11target_archE1030ELNS1_3gpuE2ELNS1_3repE0EEENS1_30default_config_static_selectorELNS0_4arch9wavefront6targetE1EEEvT1_,comdat
.Lfunc_end1598:
	.size	_ZN7rocprim17ROCPRIM_400000_NS6detail17trampoline_kernelINS0_14default_configENS1_25partition_config_selectorILNS1_17partition_subalgoE9EllbEEZZNS1_14partition_implILS5_9ELb0ES3_jPlS8_PNS0_10empty_typeENS0_5tupleIJS8_S9_EEENSB_IJS8_SA_EEENS0_18inequality_wrapperIZN2at6native12_GLOBAL__N_124unique_dim_cuda_templateIjEESt5tupleIJNSF_6TensorESK_SK_EERKSK_lbbbEUlllE0_EEPmJS9_EEE10hipError_tPvRmT3_T4_T5_T6_T7_T9_mT8_P12ihipStream_tbDpT10_ENKUlT_T0_E_clISt17integral_constantIbLb1EES1A_EEDaS15_S16_EUlS15_E_NS1_11comp_targetILNS1_3genE8ELNS1_11target_archE1030ELNS1_3gpuE2ELNS1_3repE0EEENS1_30default_config_static_selectorELNS0_4arch9wavefront6targetE1EEEvT1_, .Lfunc_end1598-_ZN7rocprim17ROCPRIM_400000_NS6detail17trampoline_kernelINS0_14default_configENS1_25partition_config_selectorILNS1_17partition_subalgoE9EllbEEZZNS1_14partition_implILS5_9ELb0ES3_jPlS8_PNS0_10empty_typeENS0_5tupleIJS8_S9_EEENSB_IJS8_SA_EEENS0_18inequality_wrapperIZN2at6native12_GLOBAL__N_124unique_dim_cuda_templateIjEESt5tupleIJNSF_6TensorESK_SK_EERKSK_lbbbEUlllE0_EEPmJS9_EEE10hipError_tPvRmT3_T4_T5_T6_T7_T9_mT8_P12ihipStream_tbDpT10_ENKUlT_T0_E_clISt17integral_constantIbLb1EES1A_EEDaS15_S16_EUlS15_E_NS1_11comp_targetILNS1_3genE8ELNS1_11target_archE1030ELNS1_3gpuE2ELNS1_3repE0EEENS1_30default_config_static_selectorELNS0_4arch9wavefront6targetE1EEEvT1_
                                        ; -- End function
	.section	.AMDGPU.csdata,"",@progbits
; Kernel info:
; codeLenInByte = 0
; NumSgprs: 6
; NumVgprs: 0
; NumAgprs: 0
; TotalNumVgprs: 0
; ScratchSize: 0
; MemoryBound: 0
; FloatMode: 240
; IeeeMode: 1
; LDSByteSize: 0 bytes/workgroup (compile time only)
; SGPRBlocks: 0
; VGPRBlocks: 0
; NumSGPRsForWavesPerEU: 6
; NumVGPRsForWavesPerEU: 1
; AccumOffset: 4
; Occupancy: 8
; WaveLimiterHint : 0
; COMPUTE_PGM_RSRC2:SCRATCH_EN: 0
; COMPUTE_PGM_RSRC2:USER_SGPR: 2
; COMPUTE_PGM_RSRC2:TRAP_HANDLER: 0
; COMPUTE_PGM_RSRC2:TGID_X_EN: 1
; COMPUTE_PGM_RSRC2:TGID_Y_EN: 0
; COMPUTE_PGM_RSRC2:TGID_Z_EN: 0
; COMPUTE_PGM_RSRC2:TIDIG_COMP_CNT: 0
; COMPUTE_PGM_RSRC3_GFX90A:ACCUM_OFFSET: 0
; COMPUTE_PGM_RSRC3_GFX90A:TG_SPLIT: 0
	.section	.text._ZN7rocprim17ROCPRIM_400000_NS6detail17trampoline_kernelINS0_14default_configENS1_25partition_config_selectorILNS1_17partition_subalgoE9EllbEEZZNS1_14partition_implILS5_9ELb0ES3_jPlS8_PNS0_10empty_typeENS0_5tupleIJS8_S9_EEENSB_IJS8_SA_EEENS0_18inequality_wrapperIZN2at6native12_GLOBAL__N_124unique_dim_cuda_templateIjEESt5tupleIJNSF_6TensorESK_SK_EERKSK_lbbbEUlllE0_EEPmJS9_EEE10hipError_tPvRmT3_T4_T5_T6_T7_T9_mT8_P12ihipStream_tbDpT10_ENKUlT_T0_E_clISt17integral_constantIbLb1EES19_IbLb0EEEEDaS15_S16_EUlS15_E_NS1_11comp_targetILNS1_3genE0ELNS1_11target_archE4294967295ELNS1_3gpuE0ELNS1_3repE0EEENS1_30default_config_static_selectorELNS0_4arch9wavefront6targetE1EEEvT1_,"axG",@progbits,_ZN7rocprim17ROCPRIM_400000_NS6detail17trampoline_kernelINS0_14default_configENS1_25partition_config_selectorILNS1_17partition_subalgoE9EllbEEZZNS1_14partition_implILS5_9ELb0ES3_jPlS8_PNS0_10empty_typeENS0_5tupleIJS8_S9_EEENSB_IJS8_SA_EEENS0_18inequality_wrapperIZN2at6native12_GLOBAL__N_124unique_dim_cuda_templateIjEESt5tupleIJNSF_6TensorESK_SK_EERKSK_lbbbEUlllE0_EEPmJS9_EEE10hipError_tPvRmT3_T4_T5_T6_T7_T9_mT8_P12ihipStream_tbDpT10_ENKUlT_T0_E_clISt17integral_constantIbLb1EES19_IbLb0EEEEDaS15_S16_EUlS15_E_NS1_11comp_targetILNS1_3genE0ELNS1_11target_archE4294967295ELNS1_3gpuE0ELNS1_3repE0EEENS1_30default_config_static_selectorELNS0_4arch9wavefront6targetE1EEEvT1_,comdat
	.globl	_ZN7rocprim17ROCPRIM_400000_NS6detail17trampoline_kernelINS0_14default_configENS1_25partition_config_selectorILNS1_17partition_subalgoE9EllbEEZZNS1_14partition_implILS5_9ELb0ES3_jPlS8_PNS0_10empty_typeENS0_5tupleIJS8_S9_EEENSB_IJS8_SA_EEENS0_18inequality_wrapperIZN2at6native12_GLOBAL__N_124unique_dim_cuda_templateIjEESt5tupleIJNSF_6TensorESK_SK_EERKSK_lbbbEUlllE0_EEPmJS9_EEE10hipError_tPvRmT3_T4_T5_T6_T7_T9_mT8_P12ihipStream_tbDpT10_ENKUlT_T0_E_clISt17integral_constantIbLb1EES19_IbLb0EEEEDaS15_S16_EUlS15_E_NS1_11comp_targetILNS1_3genE0ELNS1_11target_archE4294967295ELNS1_3gpuE0ELNS1_3repE0EEENS1_30default_config_static_selectorELNS0_4arch9wavefront6targetE1EEEvT1_ ; -- Begin function _ZN7rocprim17ROCPRIM_400000_NS6detail17trampoline_kernelINS0_14default_configENS1_25partition_config_selectorILNS1_17partition_subalgoE9EllbEEZZNS1_14partition_implILS5_9ELb0ES3_jPlS8_PNS0_10empty_typeENS0_5tupleIJS8_S9_EEENSB_IJS8_SA_EEENS0_18inequality_wrapperIZN2at6native12_GLOBAL__N_124unique_dim_cuda_templateIjEESt5tupleIJNSF_6TensorESK_SK_EERKSK_lbbbEUlllE0_EEPmJS9_EEE10hipError_tPvRmT3_T4_T5_T6_T7_T9_mT8_P12ihipStream_tbDpT10_ENKUlT_T0_E_clISt17integral_constantIbLb1EES19_IbLb0EEEEDaS15_S16_EUlS15_E_NS1_11comp_targetILNS1_3genE0ELNS1_11target_archE4294967295ELNS1_3gpuE0ELNS1_3repE0EEENS1_30default_config_static_selectorELNS0_4arch9wavefront6targetE1EEEvT1_
	.p2align	8
	.type	_ZN7rocprim17ROCPRIM_400000_NS6detail17trampoline_kernelINS0_14default_configENS1_25partition_config_selectorILNS1_17partition_subalgoE9EllbEEZZNS1_14partition_implILS5_9ELb0ES3_jPlS8_PNS0_10empty_typeENS0_5tupleIJS8_S9_EEENSB_IJS8_SA_EEENS0_18inequality_wrapperIZN2at6native12_GLOBAL__N_124unique_dim_cuda_templateIjEESt5tupleIJNSF_6TensorESK_SK_EERKSK_lbbbEUlllE0_EEPmJS9_EEE10hipError_tPvRmT3_T4_T5_T6_T7_T9_mT8_P12ihipStream_tbDpT10_ENKUlT_T0_E_clISt17integral_constantIbLb1EES19_IbLb0EEEEDaS15_S16_EUlS15_E_NS1_11comp_targetILNS1_3genE0ELNS1_11target_archE4294967295ELNS1_3gpuE0ELNS1_3repE0EEENS1_30default_config_static_selectorELNS0_4arch9wavefront6targetE1EEEvT1_,@function
_ZN7rocprim17ROCPRIM_400000_NS6detail17trampoline_kernelINS0_14default_configENS1_25partition_config_selectorILNS1_17partition_subalgoE9EllbEEZZNS1_14partition_implILS5_9ELb0ES3_jPlS8_PNS0_10empty_typeENS0_5tupleIJS8_S9_EEENSB_IJS8_SA_EEENS0_18inequality_wrapperIZN2at6native12_GLOBAL__N_124unique_dim_cuda_templateIjEESt5tupleIJNSF_6TensorESK_SK_EERKSK_lbbbEUlllE0_EEPmJS9_EEE10hipError_tPvRmT3_T4_T5_T6_T7_T9_mT8_P12ihipStream_tbDpT10_ENKUlT_T0_E_clISt17integral_constantIbLb1EES19_IbLb0EEEEDaS15_S16_EUlS15_E_NS1_11comp_targetILNS1_3genE0ELNS1_11target_archE4294967295ELNS1_3gpuE0ELNS1_3repE0EEENS1_30default_config_static_selectorELNS0_4arch9wavefront6targetE1EEEvT1_: ; @_ZN7rocprim17ROCPRIM_400000_NS6detail17trampoline_kernelINS0_14default_configENS1_25partition_config_selectorILNS1_17partition_subalgoE9EllbEEZZNS1_14partition_implILS5_9ELb0ES3_jPlS8_PNS0_10empty_typeENS0_5tupleIJS8_S9_EEENSB_IJS8_SA_EEENS0_18inequality_wrapperIZN2at6native12_GLOBAL__N_124unique_dim_cuda_templateIjEESt5tupleIJNSF_6TensorESK_SK_EERKSK_lbbbEUlllE0_EEPmJS9_EEE10hipError_tPvRmT3_T4_T5_T6_T7_T9_mT8_P12ihipStream_tbDpT10_ENKUlT_T0_E_clISt17integral_constantIbLb1EES19_IbLb0EEEEDaS15_S16_EUlS15_E_NS1_11comp_targetILNS1_3genE0ELNS1_11target_archE4294967295ELNS1_3gpuE0ELNS1_3repE0EEENS1_30default_config_static_selectorELNS0_4arch9wavefront6targetE1EEEvT1_
; %bb.0:
	.section	.rodata,"a",@progbits
	.p2align	6, 0x0
	.amdhsa_kernel _ZN7rocprim17ROCPRIM_400000_NS6detail17trampoline_kernelINS0_14default_configENS1_25partition_config_selectorILNS1_17partition_subalgoE9EllbEEZZNS1_14partition_implILS5_9ELb0ES3_jPlS8_PNS0_10empty_typeENS0_5tupleIJS8_S9_EEENSB_IJS8_SA_EEENS0_18inequality_wrapperIZN2at6native12_GLOBAL__N_124unique_dim_cuda_templateIjEESt5tupleIJNSF_6TensorESK_SK_EERKSK_lbbbEUlllE0_EEPmJS9_EEE10hipError_tPvRmT3_T4_T5_T6_T7_T9_mT8_P12ihipStream_tbDpT10_ENKUlT_T0_E_clISt17integral_constantIbLb1EES19_IbLb0EEEEDaS15_S16_EUlS15_E_NS1_11comp_targetILNS1_3genE0ELNS1_11target_archE4294967295ELNS1_3gpuE0ELNS1_3repE0EEENS1_30default_config_static_selectorELNS0_4arch9wavefront6targetE1EEEvT1_
		.amdhsa_group_segment_fixed_size 0
		.amdhsa_private_segment_fixed_size 0
		.amdhsa_kernarg_size 120
		.amdhsa_user_sgpr_count 2
		.amdhsa_user_sgpr_dispatch_ptr 0
		.amdhsa_user_sgpr_queue_ptr 0
		.amdhsa_user_sgpr_kernarg_segment_ptr 1
		.amdhsa_user_sgpr_dispatch_id 0
		.amdhsa_user_sgpr_kernarg_preload_length 0
		.amdhsa_user_sgpr_kernarg_preload_offset 0
		.amdhsa_user_sgpr_private_segment_size 0
		.amdhsa_uses_dynamic_stack 0
		.amdhsa_enable_private_segment 0
		.amdhsa_system_sgpr_workgroup_id_x 1
		.amdhsa_system_sgpr_workgroup_id_y 0
		.amdhsa_system_sgpr_workgroup_id_z 0
		.amdhsa_system_sgpr_workgroup_info 0
		.amdhsa_system_vgpr_workitem_id 0
		.amdhsa_next_free_vgpr 1
		.amdhsa_next_free_sgpr 0
		.amdhsa_accum_offset 4
		.amdhsa_reserve_vcc 0
		.amdhsa_float_round_mode_32 0
		.amdhsa_float_round_mode_16_64 0
		.amdhsa_float_denorm_mode_32 3
		.amdhsa_float_denorm_mode_16_64 3
		.amdhsa_dx10_clamp 1
		.amdhsa_ieee_mode 1
		.amdhsa_fp16_overflow 0
		.amdhsa_tg_split 0
		.amdhsa_exception_fp_ieee_invalid_op 0
		.amdhsa_exception_fp_denorm_src 0
		.amdhsa_exception_fp_ieee_div_zero 0
		.amdhsa_exception_fp_ieee_overflow 0
		.amdhsa_exception_fp_ieee_underflow 0
		.amdhsa_exception_fp_ieee_inexact 0
		.amdhsa_exception_int_div_zero 0
	.end_amdhsa_kernel
	.section	.text._ZN7rocprim17ROCPRIM_400000_NS6detail17trampoline_kernelINS0_14default_configENS1_25partition_config_selectorILNS1_17partition_subalgoE9EllbEEZZNS1_14partition_implILS5_9ELb0ES3_jPlS8_PNS0_10empty_typeENS0_5tupleIJS8_S9_EEENSB_IJS8_SA_EEENS0_18inequality_wrapperIZN2at6native12_GLOBAL__N_124unique_dim_cuda_templateIjEESt5tupleIJNSF_6TensorESK_SK_EERKSK_lbbbEUlllE0_EEPmJS9_EEE10hipError_tPvRmT3_T4_T5_T6_T7_T9_mT8_P12ihipStream_tbDpT10_ENKUlT_T0_E_clISt17integral_constantIbLb1EES19_IbLb0EEEEDaS15_S16_EUlS15_E_NS1_11comp_targetILNS1_3genE0ELNS1_11target_archE4294967295ELNS1_3gpuE0ELNS1_3repE0EEENS1_30default_config_static_selectorELNS0_4arch9wavefront6targetE1EEEvT1_,"axG",@progbits,_ZN7rocprim17ROCPRIM_400000_NS6detail17trampoline_kernelINS0_14default_configENS1_25partition_config_selectorILNS1_17partition_subalgoE9EllbEEZZNS1_14partition_implILS5_9ELb0ES3_jPlS8_PNS0_10empty_typeENS0_5tupleIJS8_S9_EEENSB_IJS8_SA_EEENS0_18inequality_wrapperIZN2at6native12_GLOBAL__N_124unique_dim_cuda_templateIjEESt5tupleIJNSF_6TensorESK_SK_EERKSK_lbbbEUlllE0_EEPmJS9_EEE10hipError_tPvRmT3_T4_T5_T6_T7_T9_mT8_P12ihipStream_tbDpT10_ENKUlT_T0_E_clISt17integral_constantIbLb1EES19_IbLb0EEEEDaS15_S16_EUlS15_E_NS1_11comp_targetILNS1_3genE0ELNS1_11target_archE4294967295ELNS1_3gpuE0ELNS1_3repE0EEENS1_30default_config_static_selectorELNS0_4arch9wavefront6targetE1EEEvT1_,comdat
.Lfunc_end1599:
	.size	_ZN7rocprim17ROCPRIM_400000_NS6detail17trampoline_kernelINS0_14default_configENS1_25partition_config_selectorILNS1_17partition_subalgoE9EllbEEZZNS1_14partition_implILS5_9ELb0ES3_jPlS8_PNS0_10empty_typeENS0_5tupleIJS8_S9_EEENSB_IJS8_SA_EEENS0_18inequality_wrapperIZN2at6native12_GLOBAL__N_124unique_dim_cuda_templateIjEESt5tupleIJNSF_6TensorESK_SK_EERKSK_lbbbEUlllE0_EEPmJS9_EEE10hipError_tPvRmT3_T4_T5_T6_T7_T9_mT8_P12ihipStream_tbDpT10_ENKUlT_T0_E_clISt17integral_constantIbLb1EES19_IbLb0EEEEDaS15_S16_EUlS15_E_NS1_11comp_targetILNS1_3genE0ELNS1_11target_archE4294967295ELNS1_3gpuE0ELNS1_3repE0EEENS1_30default_config_static_selectorELNS0_4arch9wavefront6targetE1EEEvT1_, .Lfunc_end1599-_ZN7rocprim17ROCPRIM_400000_NS6detail17trampoline_kernelINS0_14default_configENS1_25partition_config_selectorILNS1_17partition_subalgoE9EllbEEZZNS1_14partition_implILS5_9ELb0ES3_jPlS8_PNS0_10empty_typeENS0_5tupleIJS8_S9_EEENSB_IJS8_SA_EEENS0_18inequality_wrapperIZN2at6native12_GLOBAL__N_124unique_dim_cuda_templateIjEESt5tupleIJNSF_6TensorESK_SK_EERKSK_lbbbEUlllE0_EEPmJS9_EEE10hipError_tPvRmT3_T4_T5_T6_T7_T9_mT8_P12ihipStream_tbDpT10_ENKUlT_T0_E_clISt17integral_constantIbLb1EES19_IbLb0EEEEDaS15_S16_EUlS15_E_NS1_11comp_targetILNS1_3genE0ELNS1_11target_archE4294967295ELNS1_3gpuE0ELNS1_3repE0EEENS1_30default_config_static_selectorELNS0_4arch9wavefront6targetE1EEEvT1_
                                        ; -- End function
	.section	.AMDGPU.csdata,"",@progbits
; Kernel info:
; codeLenInByte = 0
; NumSgprs: 6
; NumVgprs: 0
; NumAgprs: 0
; TotalNumVgprs: 0
; ScratchSize: 0
; MemoryBound: 0
; FloatMode: 240
; IeeeMode: 1
; LDSByteSize: 0 bytes/workgroup (compile time only)
; SGPRBlocks: 0
; VGPRBlocks: 0
; NumSGPRsForWavesPerEU: 6
; NumVGPRsForWavesPerEU: 1
; AccumOffset: 4
; Occupancy: 8
; WaveLimiterHint : 0
; COMPUTE_PGM_RSRC2:SCRATCH_EN: 0
; COMPUTE_PGM_RSRC2:USER_SGPR: 2
; COMPUTE_PGM_RSRC2:TRAP_HANDLER: 0
; COMPUTE_PGM_RSRC2:TGID_X_EN: 1
; COMPUTE_PGM_RSRC2:TGID_Y_EN: 0
; COMPUTE_PGM_RSRC2:TGID_Z_EN: 0
; COMPUTE_PGM_RSRC2:TIDIG_COMP_CNT: 0
; COMPUTE_PGM_RSRC3_GFX90A:ACCUM_OFFSET: 0
; COMPUTE_PGM_RSRC3_GFX90A:TG_SPLIT: 0
	.section	.text._ZN7rocprim17ROCPRIM_400000_NS6detail17trampoline_kernelINS0_14default_configENS1_25partition_config_selectorILNS1_17partition_subalgoE9EllbEEZZNS1_14partition_implILS5_9ELb0ES3_jPlS8_PNS0_10empty_typeENS0_5tupleIJS8_S9_EEENSB_IJS8_SA_EEENS0_18inequality_wrapperIZN2at6native12_GLOBAL__N_124unique_dim_cuda_templateIjEESt5tupleIJNSF_6TensorESK_SK_EERKSK_lbbbEUlllE0_EEPmJS9_EEE10hipError_tPvRmT3_T4_T5_T6_T7_T9_mT8_P12ihipStream_tbDpT10_ENKUlT_T0_E_clISt17integral_constantIbLb1EES19_IbLb0EEEEDaS15_S16_EUlS15_E_NS1_11comp_targetILNS1_3genE5ELNS1_11target_archE942ELNS1_3gpuE9ELNS1_3repE0EEENS1_30default_config_static_selectorELNS0_4arch9wavefront6targetE1EEEvT1_,"axG",@progbits,_ZN7rocprim17ROCPRIM_400000_NS6detail17trampoline_kernelINS0_14default_configENS1_25partition_config_selectorILNS1_17partition_subalgoE9EllbEEZZNS1_14partition_implILS5_9ELb0ES3_jPlS8_PNS0_10empty_typeENS0_5tupleIJS8_S9_EEENSB_IJS8_SA_EEENS0_18inequality_wrapperIZN2at6native12_GLOBAL__N_124unique_dim_cuda_templateIjEESt5tupleIJNSF_6TensorESK_SK_EERKSK_lbbbEUlllE0_EEPmJS9_EEE10hipError_tPvRmT3_T4_T5_T6_T7_T9_mT8_P12ihipStream_tbDpT10_ENKUlT_T0_E_clISt17integral_constantIbLb1EES19_IbLb0EEEEDaS15_S16_EUlS15_E_NS1_11comp_targetILNS1_3genE5ELNS1_11target_archE942ELNS1_3gpuE9ELNS1_3repE0EEENS1_30default_config_static_selectorELNS0_4arch9wavefront6targetE1EEEvT1_,comdat
	.globl	_ZN7rocprim17ROCPRIM_400000_NS6detail17trampoline_kernelINS0_14default_configENS1_25partition_config_selectorILNS1_17partition_subalgoE9EllbEEZZNS1_14partition_implILS5_9ELb0ES3_jPlS8_PNS0_10empty_typeENS0_5tupleIJS8_S9_EEENSB_IJS8_SA_EEENS0_18inequality_wrapperIZN2at6native12_GLOBAL__N_124unique_dim_cuda_templateIjEESt5tupleIJNSF_6TensorESK_SK_EERKSK_lbbbEUlllE0_EEPmJS9_EEE10hipError_tPvRmT3_T4_T5_T6_T7_T9_mT8_P12ihipStream_tbDpT10_ENKUlT_T0_E_clISt17integral_constantIbLb1EES19_IbLb0EEEEDaS15_S16_EUlS15_E_NS1_11comp_targetILNS1_3genE5ELNS1_11target_archE942ELNS1_3gpuE9ELNS1_3repE0EEENS1_30default_config_static_selectorELNS0_4arch9wavefront6targetE1EEEvT1_ ; -- Begin function _ZN7rocprim17ROCPRIM_400000_NS6detail17trampoline_kernelINS0_14default_configENS1_25partition_config_selectorILNS1_17partition_subalgoE9EllbEEZZNS1_14partition_implILS5_9ELb0ES3_jPlS8_PNS0_10empty_typeENS0_5tupleIJS8_S9_EEENSB_IJS8_SA_EEENS0_18inequality_wrapperIZN2at6native12_GLOBAL__N_124unique_dim_cuda_templateIjEESt5tupleIJNSF_6TensorESK_SK_EERKSK_lbbbEUlllE0_EEPmJS9_EEE10hipError_tPvRmT3_T4_T5_T6_T7_T9_mT8_P12ihipStream_tbDpT10_ENKUlT_T0_E_clISt17integral_constantIbLb1EES19_IbLb0EEEEDaS15_S16_EUlS15_E_NS1_11comp_targetILNS1_3genE5ELNS1_11target_archE942ELNS1_3gpuE9ELNS1_3repE0EEENS1_30default_config_static_selectorELNS0_4arch9wavefront6targetE1EEEvT1_
	.p2align	8
	.type	_ZN7rocprim17ROCPRIM_400000_NS6detail17trampoline_kernelINS0_14default_configENS1_25partition_config_selectorILNS1_17partition_subalgoE9EllbEEZZNS1_14partition_implILS5_9ELb0ES3_jPlS8_PNS0_10empty_typeENS0_5tupleIJS8_S9_EEENSB_IJS8_SA_EEENS0_18inequality_wrapperIZN2at6native12_GLOBAL__N_124unique_dim_cuda_templateIjEESt5tupleIJNSF_6TensorESK_SK_EERKSK_lbbbEUlllE0_EEPmJS9_EEE10hipError_tPvRmT3_T4_T5_T6_T7_T9_mT8_P12ihipStream_tbDpT10_ENKUlT_T0_E_clISt17integral_constantIbLb1EES19_IbLb0EEEEDaS15_S16_EUlS15_E_NS1_11comp_targetILNS1_3genE5ELNS1_11target_archE942ELNS1_3gpuE9ELNS1_3repE0EEENS1_30default_config_static_selectorELNS0_4arch9wavefront6targetE1EEEvT1_,@function
_ZN7rocprim17ROCPRIM_400000_NS6detail17trampoline_kernelINS0_14default_configENS1_25partition_config_selectorILNS1_17partition_subalgoE9EllbEEZZNS1_14partition_implILS5_9ELb0ES3_jPlS8_PNS0_10empty_typeENS0_5tupleIJS8_S9_EEENSB_IJS8_SA_EEENS0_18inequality_wrapperIZN2at6native12_GLOBAL__N_124unique_dim_cuda_templateIjEESt5tupleIJNSF_6TensorESK_SK_EERKSK_lbbbEUlllE0_EEPmJS9_EEE10hipError_tPvRmT3_T4_T5_T6_T7_T9_mT8_P12ihipStream_tbDpT10_ENKUlT_T0_E_clISt17integral_constantIbLb1EES19_IbLb0EEEEDaS15_S16_EUlS15_E_NS1_11comp_targetILNS1_3genE5ELNS1_11target_archE942ELNS1_3gpuE9ELNS1_3repE0EEENS1_30default_config_static_selectorELNS0_4arch9wavefront6targetE1EEEvT1_: ; @_ZN7rocprim17ROCPRIM_400000_NS6detail17trampoline_kernelINS0_14default_configENS1_25partition_config_selectorILNS1_17partition_subalgoE9EllbEEZZNS1_14partition_implILS5_9ELb0ES3_jPlS8_PNS0_10empty_typeENS0_5tupleIJS8_S9_EEENSB_IJS8_SA_EEENS0_18inequality_wrapperIZN2at6native12_GLOBAL__N_124unique_dim_cuda_templateIjEESt5tupleIJNSF_6TensorESK_SK_EERKSK_lbbbEUlllE0_EEPmJS9_EEE10hipError_tPvRmT3_T4_T5_T6_T7_T9_mT8_P12ihipStream_tbDpT10_ENKUlT_T0_E_clISt17integral_constantIbLb1EES19_IbLb0EEEEDaS15_S16_EUlS15_E_NS1_11comp_targetILNS1_3genE5ELNS1_11target_archE942ELNS1_3gpuE9ELNS1_3repE0EEENS1_30default_config_static_selectorELNS0_4arch9wavefront6targetE1EEEvT1_
; %bb.0:
	s_load_dwordx8 s[20:27], s[0:1], 0x40
	s_load_dwordx4 s[4:7], s[0:1], 0x8
	s_load_dwordx2 s[10:11], s[0:1], 0x18
	s_load_dword s3, s[0:1], 0x70
	s_mul_i32 s12, s2, 0xe00
	s_waitcnt lgkmcnt(0)
	v_mov_b32_e32 v2, s24
	s_lshl_b64 s[14:15], s[6:7], 3
	s_add_u32 s18, s4, s14
	s_mul_i32 s4, s3, 0xe00
	s_addc_u32 s19, s5, s15
	s_add_i32 s8, s3, -1
	s_add_i32 s3, s4, s6
	s_sub_i32 s3, s24, s3
	s_addk_i32 s3, 0xe00
	s_add_u32 s4, s6, s4
	s_addc_u32 s5, s7, 0
	v_mov_b32_e32 v3, s25
	s_cmp_eq_u32 s2, s8
	s_load_dwordx2 s[22:23], s[22:23], 0x0
	v_cmp_ge_u64_e32 vcc, s[4:5], v[2:3]
	s_cselect_b64 s[24:25], -1, 0
	s_mov_b32 s13, 0
	s_and_b64 s[8:9], s[24:25], vcc
	s_xor_b64 s[34:35], s[8:9], -1
	s_lshl_b64 s[16:17], s[12:13], 3
	s_add_u32 s12, s18, s16
	s_mov_b64 s[4:5], -1
	s_addc_u32 s13, s19, s17
	s_and_b64 vcc, exec, s[34:35]
	s_cbranch_vccz .LBB1600_2
; %bb.1:
	v_lshlrev_b32_e32 v2, 3, v0
	v_mov_b32_e32 v3, 0
	v_lshl_add_u64 v[4:5], s[12:13], 0, v[2:3]
	v_add_co_u32_e32 v8, vcc, 0x1000, v4
	global_load_dwordx2 v[6:7], v2, s[12:13]
	s_nop 0
	v_addc_co_u32_e32 v9, vcc, 0, v5, vcc
	v_add_co_u32_e32 v10, vcc, 0x2000, v4
	s_mov_b64 s[4:5], 0
	s_nop 0
	v_addc_co_u32_e32 v11, vcc, 0, v5, vcc
	v_add_co_u32_e32 v12, vcc, 0x3000, v4
	s_nop 1
	v_addc_co_u32_e32 v13, vcc, 0, v5, vcc
	v_add_co_u32_e32 v14, vcc, 0x4000, v4
	s_nop 1
	v_addc_co_u32_e32 v15, vcc, 0, v5, vcc
	global_load_dwordx2 v[16:17], v[8:9], off
	global_load_dwordx2 v[18:19], v[10:11], off
	;; [unrolled: 1-line block ×4, first 2 shown]
	v_add_co_u32_e32 v8, vcc, 0x5000, v4
	s_nop 1
	v_addc_co_u32_e32 v9, vcc, 0, v5, vcc
	v_add_co_u32_e32 v4, vcc, 0x6000, v4
	global_load_dwordx2 v[8:9], v[8:9], off
	s_nop 0
	v_addc_co_u32_e32 v5, vcc, 0, v5, vcc
	global_load_dwordx2 v[4:5], v[4:5], off
	s_waitcnt vmcnt(5)
	ds_write2st64_b64 v2, v[6:7], v[16:17] offset1:8
	s_waitcnt vmcnt(3)
	ds_write2st64_b64 v2, v[18:19], v[20:21] offset0:16 offset1:24
	s_waitcnt vmcnt(1)
	ds_write2st64_b64 v2, v[22:23], v[8:9] offset0:32 offset1:40
	s_waitcnt vmcnt(0)
	ds_write_b64 v2, v[4:5] offset:24576
	s_waitcnt lgkmcnt(0)
	s_barrier
.LBB1600_2:
	s_load_dwordx4 s[28:31], s[0:1], 0x60
	s_andn2_b64 vcc, exec, s[4:5]
	v_cmp_gt_u32_e64 s[4:5], s3, v0
	s_cbranch_vccnz .LBB1600_18
; %bb.3:
                                        ; implicit-def: $vgpr2_vgpr3_vgpr4_vgpr5_vgpr6_vgpr7_vgpr8_vgpr9_vgpr10_vgpr11_vgpr12_vgpr13_vgpr14_vgpr15_vgpr16_vgpr17
	s_and_saveexec_b64 s[18:19], s[4:5]
	s_cbranch_execz .LBB1600_5
; %bb.4:
	v_lshlrev_b32_e32 v1, 3, v0
	global_load_dwordx2 v[2:3], v1, s[12:13]
.LBB1600_5:
	s_or_b64 exec, exec, s[18:19]
	v_or_b32_e32 v1, 0x200, v0
	v_cmp_gt_u32_e32 vcc, s3, v1
	s_and_saveexec_b64 s[4:5], vcc
	s_cbranch_execz .LBB1600_7
; %bb.6:
	v_lshlrev_b32_e32 v1, 3, v1
	global_load_dwordx2 v[4:5], v1, s[12:13]
.LBB1600_7:
	s_or_b64 exec, exec, s[4:5]
	v_or_b32_e32 v1, 0x400, v0
	v_cmp_gt_u32_e32 vcc, s3, v1
	s_and_saveexec_b64 s[4:5], vcc
	;; [unrolled: 9-line block ×6, first 2 shown]
	s_cbranch_execz .LBB1600_17
; %bb.16:
	v_lshlrev_b32_e32 v1, 3, v1
	global_load_dwordx2 v[14:15], v1, s[12:13]
.LBB1600_17:
	s_or_b64 exec, exec, s[4:5]
	v_lshlrev_b32_e32 v1, 3, v0
	s_waitcnt vmcnt(0)
	ds_write2st64_b64 v1, v[2:3], v[4:5] offset1:8
	ds_write2st64_b64 v1, v[6:7], v[8:9] offset0:16 offset1:24
	ds_write2st64_b64 v1, v[10:11], v[12:13] offset0:32 offset1:40
	ds_write_b64 v1, v[14:15] offset:24576
	s_waitcnt lgkmcnt(0)
	s_barrier
.LBB1600_18:
	v_mul_u32_u24_e32 v1, 7, v0
	v_lshlrev_b32_e32 v44, 3, v1
	s_waitcnt lgkmcnt(0)
	ds_read2_b64 v[22:25], v44 offset1:1
	ds_read2_b64 v[18:21], v44 offset0:2 offset1:3
	ds_read2_b64 v[14:17], v44 offset0:4 offset1:5
	ds_read_b64 v[28:29], v44 offset:48
	s_add_u32 s4, s10, s14
	s_addc_u32 s5, s11, s15
	s_add_u32 s4, s4, s16
	s_addc_u32 s5, s5, s17
	s_mov_b64 s[10:11], -1
	s_and_b64 vcc, exec, s[34:35]
	s_waitcnt lgkmcnt(0)
	s_barrier
	s_cbranch_vccz .LBB1600_20
; %bb.19:
	v_lshlrev_b32_e32 v2, 3, v0
	v_mov_b32_e32 v3, 0
	v_lshl_add_u64 v[4:5], s[4:5], 0, v[2:3]
	v_add_co_u32_e32 v8, vcc, 0x1000, v4
	global_load_dwordx2 v[6:7], v2, s[4:5]
	s_nop 0
	v_addc_co_u32_e32 v9, vcc, 0, v5, vcc
	v_add_co_u32_e32 v10, vcc, 0x2000, v4
	s_mov_b64 s[10:11], 0
	s_nop 0
	v_addc_co_u32_e32 v11, vcc, 0, v5, vcc
	v_add_co_u32_e32 v12, vcc, 0x3000, v4
	s_nop 1
	v_addc_co_u32_e32 v13, vcc, 0, v5, vcc
	v_add_co_u32_e32 v26, vcc, 0x4000, v4
	s_nop 1
	v_addc_co_u32_e32 v27, vcc, 0, v5, vcc
	global_load_dwordx2 v[30:31], v[8:9], off
	global_load_dwordx2 v[32:33], v[10:11], off
	;; [unrolled: 1-line block ×4, first 2 shown]
	v_add_co_u32_e32 v8, vcc, 0x5000, v4
	s_nop 1
	v_addc_co_u32_e32 v9, vcc, 0, v5, vcc
	v_add_co_u32_e32 v4, vcc, 0x6000, v4
	global_load_dwordx2 v[8:9], v[8:9], off
	s_nop 0
	v_addc_co_u32_e32 v5, vcc, 0, v5, vcc
	global_load_dwordx2 v[4:5], v[4:5], off
	s_waitcnt vmcnt(5)
	ds_write2st64_b64 v2, v[6:7], v[30:31] offset1:8
	s_waitcnt vmcnt(3)
	ds_write2st64_b64 v2, v[32:33], v[34:35] offset0:16 offset1:24
	s_waitcnt vmcnt(1)
	ds_write2st64_b64 v2, v[36:37], v[8:9] offset0:32 offset1:40
	s_waitcnt vmcnt(0)
	ds_write_b64 v2, v[4:5] offset:24576
	s_waitcnt lgkmcnt(0)
	s_barrier
.LBB1600_20:
	s_andn2_b64 vcc, exec, s[10:11]
	s_cbranch_vccnz .LBB1600_36
; %bb.21:
	v_cmp_gt_u32_e32 vcc, s3, v0
                                        ; implicit-def: $vgpr2_vgpr3
	s_and_saveexec_b64 s[10:11], vcc
	s_cbranch_execz .LBB1600_23
; %bb.22:
	v_lshlrev_b32_e32 v2, 3, v0
	global_load_dwordx2 v[2:3], v2, s[4:5]
.LBB1600_23:
	s_or_b64 exec, exec, s[10:11]
	v_or_b32_e32 v6, 0x200, v0
	v_cmp_gt_u32_e32 vcc, s3, v6
                                        ; implicit-def: $vgpr4_vgpr5
	s_and_saveexec_b64 s[10:11], vcc
	s_cbranch_execz .LBB1600_25
; %bb.24:
	v_lshlrev_b32_e32 v4, 3, v6
	global_load_dwordx2 v[4:5], v4, s[4:5]
.LBB1600_25:
	s_or_b64 exec, exec, s[10:11]
	v_or_b32_e32 v8, 0x400, v0
	v_cmp_gt_u32_e32 vcc, s3, v8
                                        ; implicit-def: $vgpr6_vgpr7
	s_and_saveexec_b64 s[10:11], vcc
	s_cbranch_execz .LBB1600_27
; %bb.26:
	v_lshlrev_b32_e32 v6, 3, v8
	global_load_dwordx2 v[6:7], v6, s[4:5]
.LBB1600_27:
	s_or_b64 exec, exec, s[10:11]
	v_or_b32_e32 v10, 0x600, v0
	v_cmp_gt_u32_e32 vcc, s3, v10
                                        ; implicit-def: $vgpr8_vgpr9
	s_and_saveexec_b64 s[10:11], vcc
	s_cbranch_execz .LBB1600_29
; %bb.28:
	v_lshlrev_b32_e32 v8, 3, v10
	global_load_dwordx2 v[8:9], v8, s[4:5]
.LBB1600_29:
	s_or_b64 exec, exec, s[10:11]
	v_or_b32_e32 v12, 0x800, v0
	v_cmp_gt_u32_e32 vcc, s3, v12
                                        ; implicit-def: $vgpr10_vgpr11
	s_and_saveexec_b64 s[10:11], vcc
	s_cbranch_execz .LBB1600_31
; %bb.30:
	v_lshlrev_b32_e32 v10, 3, v12
	global_load_dwordx2 v[10:11], v10, s[4:5]
.LBB1600_31:
	s_or_b64 exec, exec, s[10:11]
	v_or_b32_e32 v26, 0xa00, v0
	v_cmp_gt_u32_e32 vcc, s3, v26
                                        ; implicit-def: $vgpr12_vgpr13
	s_and_saveexec_b64 s[10:11], vcc
	s_cbranch_execz .LBB1600_33
; %bb.32:
	v_lshlrev_b32_e32 v12, 3, v26
	global_load_dwordx2 v[12:13], v12, s[4:5]
.LBB1600_33:
	s_or_b64 exec, exec, s[10:11]
	v_or_b32_e32 v30, 0xc00, v0
	v_cmp_gt_u32_e32 vcc, s3, v30
                                        ; implicit-def: $vgpr26_vgpr27
	s_and_saveexec_b64 s[10:11], vcc
	s_cbranch_execz .LBB1600_35
; %bb.34:
	v_lshlrev_b32_e32 v26, 3, v30
	global_load_dwordx2 v[26:27], v26, s[4:5]
.LBB1600_35:
	s_or_b64 exec, exec, s[10:11]
	s_movk_i32 s4, 0xffd0
	v_mad_i32_i24 v30, v0, s4, v44
	s_waitcnt vmcnt(0)
	ds_write2st64_b64 v30, v[2:3], v[4:5] offset1:8
	ds_write2st64_b64 v30, v[6:7], v[8:9] offset0:16 offset1:24
	ds_write2st64_b64 v30, v[10:11], v[12:13] offset0:32 offset1:40
	ds_write_b64 v30, v[26:27] offset:24576
	s_waitcnt lgkmcnt(0)
	s_barrier
.LBB1600_36:
	ds_read2_b64 v[10:13], v44 offset1:1
	ds_read2_b64 v[6:9], v44 offset0:2 offset1:3
	ds_read2_b64 v[2:5], v44 offset0:4 offset1:5
	ds_read_b64 v[26:27], v44 offset:48
	s_cmp_lg_u32 s2, 0
	s_cselect_b64 s[16:17], -1, 0
	s_cmp_lg_u64 s[6:7], 0
	s_cselect_b64 s[4:5], -1, 0
	s_or_b64 s[4:5], s[16:17], s[4:5]
	v_add_u32_e32 v41, 1, v1
	v_add_u32_e32 v38, 2, v1
	;; [unrolled: 1-line block ×6, first 2 shown]
	s_mov_b64 s[10:11], 0
	s_and_b64 vcc, exec, s[4:5]
	v_cmp_gt_i64_e64 s[4:5], s[26:27], 0
	s_waitcnt lgkmcnt(0)
	s_barrier
	s_cbranch_vccz .LBB1600_45
; %bb.37:
	s_add_u32 s6, s12, -8
	s_addc_u32 s7, s13, -1
	s_load_dwordx2 s[6:7], s[6:7], 0x0
	v_cndmask_b32_e64 v30, 0, 1, s[4:5]
	v_lshlrev_b32_e32 v45, 3, v0
	s_and_b64 vcc, exec, s[34:35]
	v_cmp_ne_u32_e64 s[4:5], 1, v30
	ds_write_b64 v45, v[28:29]
	s_cbranch_vccz .LBB1600_47
; %bb.38:
	v_mul_lo_u32 v32, v17, s26
	v_mul_lo_u32 v33, v16, s27
	v_mad_u64_u32 v[30:31], s[12:13], v16, s26, 0
	v_add3_u32 v31, v31, v33, v32
	s_and_b64 vcc, exec, s[4:5]
	v_lshl_add_u64 v[30:31], v[30:31], 2, s[28:29]
	s_cbranch_vccnz .LBB1600_50
; %bb.39:
	v_mul_lo_u32 v34, v29, s26
	v_mul_lo_u32 v35, v28, s27
	v_mad_u64_u32 v[32:33], s[10:11], v28, s26, 0
	v_add3_u32 v33, v33, v35, v34
	v_lshl_add_u64 v[32:33], v[32:33], 2, s[28:29]
	global_load_dword v34, v[30:31], off
	global_load_dword v35, v[32:33], off
	s_mov_b64 s[10:11], -1
	s_waitcnt vmcnt(0)
	v_cmp_eq_u32_e32 vcc, v34, v35
	s_and_saveexec_b64 s[12:13], vcc
	s_cbranch_execz .LBB1600_49
; %bb.40:
	s_add_u32 s10, s26, -1
	v_lshl_add_u64 v[32:33], v[32:33], 0, 4
	v_lshl_add_u64 v[34:35], v[30:31], 0, 4
	s_addc_u32 s11, s27, -1
	s_mov_b64 s[14:15], 0
	s_mov_b64 s[36:37], 0
                                        ; implicit-def: $sgpr18_sgpr19
	s_branch .LBB1600_43
.LBB1600_41:                            ;   in Loop: Header=BB1600_43 Depth=1
	global_load_dword v36, v[34:35], off
	global_load_dword v37, v[32:33], off
	s_add_u32 s36, s36, 1
	s_addc_u32 s37, s37, 0
	s_andn2_b64 s[18:19], s[18:19], exec
	v_lshl_add_u64 v[32:33], v[32:33], 0, 4
	v_lshl_add_u64 v[34:35], v[34:35], 0, 4
	s_waitcnt vmcnt(0)
	v_cmp_ne_u32_e32 vcc, v36, v37
	s_and_b64 s[38:39], vcc, exec
	s_or_b64 s[18:19], s[18:19], s[38:39]
.LBB1600_42:                            ;   in Loop: Header=BB1600_43 Depth=1
	s_and_b64 s[38:39], exec, s[18:19]
	s_or_b64 s[14:15], s[38:39], s[14:15]
	v_mov_b64_e32 v[36:37], s[36:37]
	s_andn2_b64 exec, exec, s[14:15]
	s_cbranch_execz .LBB1600_48
.LBB1600_43:                            ; =>This Inner Loop Header: Depth=1
	s_or_b64 s[18:19], s[18:19], exec
	s_cmp_eq_u64 s[10:11], s[36:37]
	s_cbranch_scc0 .LBB1600_41
; %bb.44:                               ;   in Loop: Header=BB1600_43 Depth=1
                                        ; implicit-def: $vgpr32_vgpr33
                                        ; implicit-def: $vgpr34_vgpr35
	s_mov_b64 s[36:37], s[26:27]
	s_branch .LBB1600_42
.LBB1600_45:
                                        ; implicit-def: $sgpr18_sgpr19
                                        ; implicit-def: $vgpr48
                                        ; implicit-def: $vgpr47
                                        ; implicit-def: $vgpr46
                                        ; implicit-def: $vgpr34
	s_branch .LBB1600_188
.LBB1600_46:
                                        ; implicit-def: $vgpr30_vgpr31
	s_branch .LBB1600_336
.LBB1600_47:
                                        ; implicit-def: $sgpr18_sgpr19
                                        ; implicit-def: $vgpr48
                                        ; implicit-def: $vgpr47
                                        ; implicit-def: $vgpr46
                                        ; implicit-def: $vgpr34
	s_cbranch_execnz .LBB1600_107
	s_branch .LBB1600_187
.LBB1600_48:
	s_or_b64 exec, exec, s[14:15]
	v_cmp_gt_i64_e32 vcc, s[26:27], v[36:37]
	s_orn2_b64 s[10:11], vcc, exec
.LBB1600_49:
	s_or_b64 exec, exec, s[12:13]
.LBB1600_50:
	v_mul_lo_u32 v34, v15, s26
	v_mul_lo_u32 v35, v14, s27
	v_mad_u64_u32 v[32:33], s[12:13], v14, s26, 0
	v_add3_u32 v33, v33, v35, v34
	s_mov_b64 s[12:13], 0
	s_and_b64 vcc, exec, s[4:5]
	v_lshl_add_u64 v[32:33], v[32:33], 2, s[28:29]
	s_mov_b64 s[14:15], 0
	s_cbranch_vccnz .LBB1600_59
; %bb.51:
	global_load_dword v34, v[32:33], off
	global_load_dword v35, v[30:31], off
	s_mov_b64 s[14:15], -1
	s_waitcnt vmcnt(0)
	v_cmp_eq_u32_e32 vcc, v34, v35
	s_and_saveexec_b64 s[18:19], vcc
	s_cbranch_execz .LBB1600_58
; %bb.52:
	s_add_u32 s14, s26, -1
	v_lshl_add_u64 v[30:31], v[30:31], 0, 4
	v_lshl_add_u64 v[34:35], v[32:33], 0, 4
	s_addc_u32 s15, s27, -1
	s_mov_b64 s[36:37], 0
	s_mov_b64 s[40:41], 0
                                        ; implicit-def: $sgpr38_sgpr39
	s_branch .LBB1600_55
.LBB1600_53:                            ;   in Loop: Header=BB1600_55 Depth=1
	global_load_dword v36, v[34:35], off
	global_load_dword v37, v[30:31], off
	s_add_u32 s40, s40, 1
	s_addc_u32 s41, s41, 0
	s_andn2_b64 s[38:39], s[38:39], exec
	v_lshl_add_u64 v[30:31], v[30:31], 0, 4
	v_lshl_add_u64 v[34:35], v[34:35], 0, 4
	s_waitcnt vmcnt(0)
	v_cmp_ne_u32_e32 vcc, v36, v37
	s_and_b64 s[42:43], vcc, exec
	s_or_b64 s[38:39], s[38:39], s[42:43]
.LBB1600_54:                            ;   in Loop: Header=BB1600_55 Depth=1
	s_and_b64 s[42:43], exec, s[38:39]
	s_or_b64 s[36:37], s[42:43], s[36:37]
	v_mov_b64_e32 v[36:37], s[40:41]
	s_andn2_b64 exec, exec, s[36:37]
	s_cbranch_execz .LBB1600_57
.LBB1600_55:                            ; =>This Inner Loop Header: Depth=1
	s_or_b64 s[38:39], s[38:39], exec
	s_cmp_eq_u64 s[14:15], s[40:41]
	s_cbranch_scc0 .LBB1600_53
; %bb.56:                               ;   in Loop: Header=BB1600_55 Depth=1
                                        ; implicit-def: $vgpr30_vgpr31
                                        ; implicit-def: $vgpr34_vgpr35
	s_mov_b64 s[40:41], s[26:27]
	s_branch .LBB1600_54
.LBB1600_57:
	s_or_b64 exec, exec, s[36:37]
	v_cmp_gt_i64_e32 vcc, s[26:27], v[36:37]
	s_orn2_b64 s[14:15], vcc, exec
.LBB1600_58:
	s_or_b64 exec, exec, s[18:19]
.LBB1600_59:
	v_mul_lo_u32 v34, v21, s26
	v_mul_lo_u32 v35, v20, s27
	v_mad_u64_u32 v[30:31], s[18:19], v20, s26, 0
	v_add3_u32 v31, v31, v35, v34
	s_and_b64 vcc, exec, s[4:5]
	v_lshl_add_u64 v[30:31], v[30:31], 2, s[28:29]
	s_cbranch_vccnz .LBB1600_68
; %bb.60:
	global_load_dword v34, v[30:31], off
	global_load_dword v35, v[32:33], off
	s_mov_b64 s[12:13], -1
	s_waitcnt vmcnt(0)
	v_cmp_eq_u32_e32 vcc, v34, v35
	s_and_saveexec_b64 s[18:19], vcc
	s_cbranch_execz .LBB1600_67
; %bb.61:
	s_add_u32 s12, s26, -1
	v_lshl_add_u64 v[32:33], v[32:33], 0, 4
	v_lshl_add_u64 v[34:35], v[30:31], 0, 4
	s_addc_u32 s13, s27, -1
	s_mov_b64 s[36:37], 0
	s_mov_b64 s[40:41], 0
                                        ; implicit-def: $sgpr38_sgpr39
	s_branch .LBB1600_64
.LBB1600_62:                            ;   in Loop: Header=BB1600_64 Depth=1
	global_load_dword v36, v[34:35], off
	global_load_dword v37, v[32:33], off
	s_add_u32 s40, s40, 1
	s_addc_u32 s41, s41, 0
	s_andn2_b64 s[38:39], s[38:39], exec
	v_lshl_add_u64 v[32:33], v[32:33], 0, 4
	v_lshl_add_u64 v[34:35], v[34:35], 0, 4
	s_waitcnt vmcnt(0)
	v_cmp_ne_u32_e32 vcc, v36, v37
	s_and_b64 s[42:43], vcc, exec
	s_or_b64 s[38:39], s[38:39], s[42:43]
.LBB1600_63:                            ;   in Loop: Header=BB1600_64 Depth=1
	s_and_b64 s[42:43], exec, s[38:39]
	s_or_b64 s[36:37], s[42:43], s[36:37]
	v_mov_b64_e32 v[36:37], s[40:41]
	s_andn2_b64 exec, exec, s[36:37]
	s_cbranch_execz .LBB1600_66
.LBB1600_64:                            ; =>This Inner Loop Header: Depth=1
	s_or_b64 s[38:39], s[38:39], exec
	s_cmp_eq_u64 s[12:13], s[40:41]
	s_cbranch_scc0 .LBB1600_62
; %bb.65:                               ;   in Loop: Header=BB1600_64 Depth=1
                                        ; implicit-def: $vgpr32_vgpr33
                                        ; implicit-def: $vgpr34_vgpr35
	s_mov_b64 s[40:41], s[26:27]
	s_branch .LBB1600_63
.LBB1600_66:
	s_or_b64 exec, exec, s[36:37]
	v_cmp_gt_i64_e32 vcc, s[26:27], v[36:37]
	s_orn2_b64 s[12:13], vcc, exec
.LBB1600_67:
	s_or_b64 exec, exec, s[18:19]
.LBB1600_68:
	v_mul_lo_u32 v34, v19, s26
	v_mul_lo_u32 v35, v18, s27
	v_mad_u64_u32 v[32:33], s[18:19], v18, s26, 0
	v_add3_u32 v33, v33, v35, v34
	s_mov_b64 s[18:19], 0
	s_and_b64 vcc, exec, s[4:5]
	v_lshl_add_u64 v[34:35], v[32:33], 2, s[28:29]
	s_mov_b64 s[36:37], 0
	s_cbranch_vccnz .LBB1600_77
; %bb.69:
	global_load_dword v32, v[34:35], off
	global_load_dword v33, v[30:31], off
	s_mov_b64 s[36:37], -1
	s_waitcnt vmcnt(0)
	v_cmp_eq_u32_e32 vcc, v32, v33
	s_and_saveexec_b64 s[38:39], vcc
	s_cbranch_execz .LBB1600_76
; %bb.70:
	s_add_u32 s36, s26, -1
	v_lshl_add_u64 v[30:31], v[30:31], 0, 4
	v_lshl_add_u64 v[32:33], v[34:35], 0, 4
	s_addc_u32 s37, s27, -1
	s_mov_b64 s[40:41], 0
	s_mov_b64 s[44:45], 0
                                        ; implicit-def: $sgpr42_sgpr43
	s_branch .LBB1600_73
.LBB1600_71:                            ;   in Loop: Header=BB1600_73 Depth=1
	global_load_dword v36, v[32:33], off
	global_load_dword v37, v[30:31], off
	s_add_u32 s44, s44, 1
	s_addc_u32 s45, s45, 0
	s_andn2_b64 s[42:43], s[42:43], exec
	v_lshl_add_u64 v[30:31], v[30:31], 0, 4
	v_lshl_add_u64 v[32:33], v[32:33], 0, 4
	s_waitcnt vmcnt(0)
	v_cmp_ne_u32_e32 vcc, v36, v37
	s_and_b64 s[46:47], vcc, exec
	s_or_b64 s[42:43], s[42:43], s[46:47]
.LBB1600_72:                            ;   in Loop: Header=BB1600_73 Depth=1
	s_and_b64 s[46:47], exec, s[42:43]
	s_or_b64 s[40:41], s[46:47], s[40:41]
	v_mov_b64_e32 v[36:37], s[44:45]
	s_andn2_b64 exec, exec, s[40:41]
	s_cbranch_execz .LBB1600_75
.LBB1600_73:                            ; =>This Inner Loop Header: Depth=1
	s_or_b64 s[42:43], s[42:43], exec
	s_cmp_eq_u64 s[36:37], s[44:45]
	s_cbranch_scc0 .LBB1600_71
; %bb.74:                               ;   in Loop: Header=BB1600_73 Depth=1
                                        ; implicit-def: $vgpr30_vgpr31
                                        ; implicit-def: $vgpr32_vgpr33
	s_mov_b64 s[44:45], s[26:27]
	s_branch .LBB1600_72
.LBB1600_75:
	s_or_b64 exec, exec, s[40:41]
	v_cmp_gt_i64_e32 vcc, s[26:27], v[36:37]
	s_orn2_b64 s[36:37], vcc, exec
.LBB1600_76:
	s_or_b64 exec, exec, s[38:39]
.LBB1600_77:
	v_mul_lo_u32 v32, v25, s26
	v_mul_lo_u32 v33, v24, s27
	v_mad_u64_u32 v[30:31], s[38:39], v24, s26, 0
	v_add3_u32 v31, v31, v33, v32
	s_and_b64 vcc, exec, s[4:5]
	v_lshl_add_u64 v[32:33], v[30:31], 2, s[28:29]
	s_cbranch_vccnz .LBB1600_86
; %bb.78:
	global_load_dword v30, v[32:33], off
	global_load_dword v31, v[34:35], off
	s_mov_b64 s[18:19], -1
	s_waitcnt vmcnt(0)
	v_cmp_eq_u32_e32 vcc, v30, v31
	s_and_saveexec_b64 s[38:39], vcc
	s_cbranch_execz .LBB1600_85
; %bb.79:
	s_add_u32 s18, s26, -1
	v_lshl_add_u64 v[30:31], v[34:35], 0, 4
	v_lshl_add_u64 v[34:35], v[32:33], 0, 4
	s_addc_u32 s19, s27, -1
	s_mov_b64 s[40:41], 0
	s_mov_b64 s[44:45], 0
                                        ; implicit-def: $sgpr42_sgpr43
	s_branch .LBB1600_82
.LBB1600_80:                            ;   in Loop: Header=BB1600_82 Depth=1
	global_load_dword v36, v[34:35], off
	global_load_dword v37, v[30:31], off
	s_add_u32 s44, s44, 1
	s_addc_u32 s45, s45, 0
	s_andn2_b64 s[42:43], s[42:43], exec
	v_lshl_add_u64 v[30:31], v[30:31], 0, 4
	v_lshl_add_u64 v[34:35], v[34:35], 0, 4
	s_waitcnt vmcnt(0)
	v_cmp_ne_u32_e32 vcc, v36, v37
	s_and_b64 s[46:47], vcc, exec
	s_or_b64 s[42:43], s[42:43], s[46:47]
.LBB1600_81:                            ;   in Loop: Header=BB1600_82 Depth=1
	s_and_b64 s[46:47], exec, s[42:43]
	s_or_b64 s[40:41], s[46:47], s[40:41]
	v_mov_b64_e32 v[36:37], s[44:45]
	s_andn2_b64 exec, exec, s[40:41]
	s_cbranch_execz .LBB1600_84
.LBB1600_82:                            ; =>This Inner Loop Header: Depth=1
	s_or_b64 s[42:43], s[42:43], exec
	s_cmp_eq_u64 s[18:19], s[44:45]
	s_cbranch_scc0 .LBB1600_80
; %bb.83:                               ;   in Loop: Header=BB1600_82 Depth=1
                                        ; implicit-def: $vgpr30_vgpr31
                                        ; implicit-def: $vgpr34_vgpr35
	s_mov_b64 s[44:45], s[26:27]
	s_branch .LBB1600_81
.LBB1600_84:
	s_or_b64 exec, exec, s[40:41]
	v_cmp_gt_i64_e32 vcc, s[26:27], v[36:37]
	s_orn2_b64 s[18:19], vcc, exec
.LBB1600_85:
	s_or_b64 exec, exec, s[38:39]
.LBB1600_86:
	v_mul_lo_u32 v34, v23, s26
	v_mul_lo_u32 v35, v22, s27
	v_mad_u64_u32 v[30:31], s[38:39], v22, s26, 0
	v_add3_u32 v31, v31, v35, v34
	s_mov_b64 s[40:41], 0
	s_and_b64 vcc, exec, s[4:5]
	v_lshl_add_u64 v[30:31], v[30:31], 2, s[28:29]
	s_cbranch_vccnz .LBB1600_95
; %bb.87:
	global_load_dword v34, v[30:31], off
	global_load_dword v35, v[32:33], off
	s_mov_b64 s[40:41], -1
	s_waitcnt vmcnt(0)
	v_cmp_eq_u32_e32 vcc, v34, v35
	s_and_saveexec_b64 s[38:39], vcc
	s_cbranch_execz .LBB1600_94
; %bb.88:
	s_add_u32 s40, s26, -1
	v_lshl_add_u64 v[32:33], v[32:33], 0, 4
	v_lshl_add_u64 v[34:35], v[30:31], 0, 4
	s_addc_u32 s41, s27, -1
	s_mov_b64 s[42:43], 0
	s_mov_b64 s[46:47], 0
                                        ; implicit-def: $sgpr44_sgpr45
	s_branch .LBB1600_91
.LBB1600_89:                            ;   in Loop: Header=BB1600_91 Depth=1
	global_load_dword v36, v[34:35], off
	global_load_dword v37, v[32:33], off
	s_add_u32 s46, s46, 1
	s_addc_u32 s47, s47, 0
	s_andn2_b64 s[44:45], s[44:45], exec
	v_lshl_add_u64 v[32:33], v[32:33], 0, 4
	v_lshl_add_u64 v[34:35], v[34:35], 0, 4
	s_waitcnt vmcnt(0)
	v_cmp_ne_u32_e32 vcc, v36, v37
	s_and_b64 s[48:49], vcc, exec
	s_or_b64 s[44:45], s[44:45], s[48:49]
.LBB1600_90:                            ;   in Loop: Header=BB1600_91 Depth=1
	s_and_b64 s[48:49], exec, s[44:45]
	s_or_b64 s[42:43], s[48:49], s[42:43]
	v_mov_b64_e32 v[36:37], s[46:47]
	s_andn2_b64 exec, exec, s[42:43]
	s_cbranch_execz .LBB1600_93
.LBB1600_91:                            ; =>This Inner Loop Header: Depth=1
	s_or_b64 s[44:45], s[44:45], exec
	s_cmp_eq_u64 s[40:41], s[46:47]
	s_cbranch_scc0 .LBB1600_89
; %bb.92:                               ;   in Loop: Header=BB1600_91 Depth=1
                                        ; implicit-def: $vgpr32_vgpr33
                                        ; implicit-def: $vgpr34_vgpr35
	s_mov_b64 s[46:47], s[26:27]
	s_branch .LBB1600_90
.LBB1600_93:
	s_or_b64 exec, exec, s[42:43]
	v_cmp_gt_i64_e32 vcc, s[26:27], v[36:37]
	s_orn2_b64 s[40:41], vcc, exec
.LBB1600_94:
	s_or_b64 exec, exec, s[38:39]
.LBB1600_95:
	v_cmp_ne_u32_e32 vcc, 0, v0
	s_waitcnt lgkmcnt(0)
	v_mov_b64_e32 v[32:33], s[6:7]
	s_barrier
	s_and_saveexec_b64 s[38:39], vcc
	s_cbranch_execz .LBB1600_97
; %bb.96:
	v_add_u32_e32 v32, -8, v45
	ds_read_b64 v[32:33], v32
.LBB1600_97:
	s_or_b64 exec, exec, s[38:39]
	v_cndmask_b32_e64 v35, 0, 1, s[36:37]
	v_cndmask_b32_e64 v34, 0, 1, s[18:19]
	;; [unrolled: 1-line block ×3, first 2 shown]
	v_lshlrev_b16_e32 v35, 8, v35
	v_lshlrev_b16_e32 v36, 8, v36
	v_or_b32_sdwa v37, v34, v35 dst_sel:WORD_1 dst_unused:UNUSED_PAD src0_sel:DWORD src1_sel:DWORD
	s_mov_b64 s[36:37], 0
	s_and_b64 vcc, exec, s[4:5]
	s_mov_b64 s[18:19], 0
	s_cbranch_vccnz .LBB1600_106
; %bb.98:
	s_waitcnt lgkmcnt(0)
	v_mul_lo_u32 v34, v33, s26
	v_mul_lo_u32 v35, v32, s27
	v_mad_u64_u32 v[32:33], s[18:19], v32, s26, 0
	v_add3_u32 v33, v33, v35, v34
	v_lshl_add_u64 v[32:33], v[32:33], 2, s[28:29]
	global_load_dword v34, v[32:33], off
	global_load_dword v35, v[30:31], off
	s_mov_b64 s[18:19], -1
	s_waitcnt vmcnt(0)
	v_cmp_eq_u32_e32 vcc, v34, v35
	s_and_saveexec_b64 s[38:39], vcc
	s_cbranch_execz .LBB1600_105
; %bb.99:
	s_add_u32 s18, s26, -1
	v_lshl_add_u64 v[30:31], v[30:31], 0, 4
	v_lshl_add_u64 v[32:33], v[32:33], 0, 4
	s_addc_u32 s19, s27, -1
	s_mov_b64 s[40:41], 0
	s_mov_b64 s[44:45], 0
                                        ; implicit-def: $sgpr42_sgpr43
	s_branch .LBB1600_102
.LBB1600_100:                           ;   in Loop: Header=BB1600_102 Depth=1
	global_load_dword v34, v[32:33], off
	global_load_dword v35, v[30:31], off
	s_add_u32 s44, s44, 1
	s_addc_u32 s45, s45, 0
	s_andn2_b64 s[42:43], s[42:43], exec
	v_lshl_add_u64 v[30:31], v[30:31], 0, 4
	v_lshl_add_u64 v[32:33], v[32:33], 0, 4
	s_waitcnt vmcnt(0)
	v_cmp_ne_u32_e32 vcc, v34, v35
	s_and_b64 s[46:47], vcc, exec
	s_or_b64 s[42:43], s[42:43], s[46:47]
.LBB1600_101:                           ;   in Loop: Header=BB1600_102 Depth=1
	s_and_b64 s[46:47], exec, s[42:43]
	s_or_b64 s[40:41], s[46:47], s[40:41]
	v_mov_b64_e32 v[34:35], s[44:45]
	s_andn2_b64 exec, exec, s[40:41]
	s_cbranch_execz .LBB1600_104
.LBB1600_102:                           ; =>This Inner Loop Header: Depth=1
	s_or_b64 s[42:43], s[42:43], exec
	s_cmp_eq_u64 s[18:19], s[44:45]
	s_cbranch_scc0 .LBB1600_100
; %bb.103:                              ;   in Loop: Header=BB1600_102 Depth=1
                                        ; implicit-def: $vgpr30_vgpr31
                                        ; implicit-def: $vgpr32_vgpr33
	s_mov_b64 s[44:45], s[26:27]
	s_branch .LBB1600_101
.LBB1600_104:
	s_or_b64 exec, exec, s[40:41]
	v_cmp_gt_i64_e32 vcc, s[26:27], v[34:35]
	s_orn2_b64 s[18:19], vcc, exec
.LBB1600_105:
	s_or_b64 exec, exec, s[38:39]
.LBB1600_106:
	v_cndmask_b32_e64 v46, 0, 1, s[12:13]
	v_cndmask_b32_e64 v47, 0, 1, s[14:15]
	;; [unrolled: 1-line block ×3, first 2 shown]
	v_or_b32_e32 v34, v36, v37
	s_and_b64 vcc, exec, s[36:37]
	s_cbranch_vccz .LBB1600_187
.LBB1600_107:
	v_cmp_gt_u32_e32 vcc, s3, v40
	s_mov_b64 s[12:13], 0
	s_mov_b64 s[10:11], 0
	s_and_saveexec_b64 s[14:15], vcc
	s_cbranch_execz .LBB1600_118
; %bb.108:
	s_and_b64 vcc, exec, s[4:5]
	s_mov_b64 s[18:19], 0
	s_cbranch_vccnz .LBB1600_117
; %bb.109:
	s_waitcnt lgkmcnt(0)
	v_mul_lo_u32 v32, v17, s26
	v_mul_lo_u32 v33, v16, s27
	v_mad_u64_u32 v[30:31], s[10:11], v16, s26, 0
	v_add3_u32 v31, v31, v33, v32
	v_mul_lo_u32 v32, v29, s26
	v_mul_lo_u32 v33, v28, s27
	v_mad_u64_u32 v[34:35], s[10:11], v28, s26, 0
	v_add3_u32 v35, v35, v33, v32
	v_lshl_add_u64 v[32:33], v[30:31], 2, s[28:29]
	v_lshl_add_u64 v[30:31], v[34:35], 2, s[28:29]
	global_load_dword v34, v[32:33], off
	global_load_dword v35, v[30:31], off
	s_mov_b64 s[18:19], -1
	s_waitcnt vmcnt(0)
	v_cmp_eq_u32_e32 vcc, v34, v35
	s_and_saveexec_b64 s[10:11], vcc
	s_cbranch_execz .LBB1600_116
; %bb.110:
	s_add_u32 s18, s26, -1
	v_lshl_add_u64 v[30:31], v[30:31], 0, 4
	v_lshl_add_u64 v[32:33], v[32:33], 0, 4
	s_addc_u32 s19, s27, -1
	s_mov_b64 s[36:37], 0
	s_mov_b64 s[40:41], 0
                                        ; implicit-def: $sgpr38_sgpr39
	s_branch .LBB1600_113
.LBB1600_111:                           ;   in Loop: Header=BB1600_113 Depth=1
	global_load_dword v34, v[32:33], off
	global_load_dword v35, v[30:31], off
	s_add_u32 s40, s40, 1
	s_addc_u32 s41, s41, 0
	s_andn2_b64 s[38:39], s[38:39], exec
	v_lshl_add_u64 v[30:31], v[30:31], 0, 4
	v_lshl_add_u64 v[32:33], v[32:33], 0, 4
	s_waitcnt vmcnt(0)
	v_cmp_ne_u32_e32 vcc, v34, v35
	s_and_b64 s[42:43], vcc, exec
	s_or_b64 s[38:39], s[38:39], s[42:43]
.LBB1600_112:                           ;   in Loop: Header=BB1600_113 Depth=1
	s_and_b64 s[42:43], exec, s[38:39]
	s_or_b64 s[36:37], s[42:43], s[36:37]
	v_mov_b64_e32 v[34:35], s[40:41]
	s_andn2_b64 exec, exec, s[36:37]
	s_cbranch_execz .LBB1600_115
.LBB1600_113:                           ; =>This Inner Loop Header: Depth=1
	s_or_b64 s[38:39], s[38:39], exec
	s_cmp_eq_u64 s[18:19], s[40:41]
	s_cbranch_scc0 .LBB1600_111
; %bb.114:                              ;   in Loop: Header=BB1600_113 Depth=1
                                        ; implicit-def: $vgpr30_vgpr31
                                        ; implicit-def: $vgpr32_vgpr33
	s_mov_b64 s[40:41], s[26:27]
	s_branch .LBB1600_112
.LBB1600_115:
	s_or_b64 exec, exec, s[36:37]
	v_cmp_gt_i64_e32 vcc, s[26:27], v[34:35]
	s_orn2_b64 s[18:19], vcc, exec
.LBB1600_116:
	s_or_b64 exec, exec, s[10:11]
.LBB1600_117:
	s_and_b64 s[10:11], s[18:19], exec
.LBB1600_118:
	s_or_b64 exec, exec, s[14:15]
	v_cmp_gt_u32_e32 vcc, s3, v43
	s_and_saveexec_b64 s[14:15], vcc
	s_cbranch_execz .LBB1600_129
; %bb.119:
	s_and_b64 vcc, exec, s[4:5]
	s_mov_b64 s[18:19], 0
	s_cbranch_vccnz .LBB1600_128
; %bb.120:
	s_waitcnt lgkmcnt(0)
	v_mul_lo_u32 v32, v15, s26
	v_mul_lo_u32 v33, v14, s27
	v_mad_u64_u32 v[30:31], s[12:13], v14, s26, 0
	v_add3_u32 v31, v31, v33, v32
	v_mul_lo_u32 v32, v17, s26
	v_mul_lo_u32 v33, v16, s27
	v_mad_u64_u32 v[34:35], s[12:13], v16, s26, 0
	v_add3_u32 v35, v35, v33, v32
	v_lshl_add_u64 v[32:33], v[30:31], 2, s[28:29]
	v_lshl_add_u64 v[30:31], v[34:35], 2, s[28:29]
	global_load_dword v34, v[32:33], off
	global_load_dword v35, v[30:31], off
	s_mov_b64 s[18:19], -1
	s_waitcnt vmcnt(0)
	v_cmp_eq_u32_e32 vcc, v34, v35
	s_and_saveexec_b64 s[12:13], vcc
	s_cbranch_execz .LBB1600_127
; %bb.121:
	s_add_u32 s18, s26, -1
	v_lshl_add_u64 v[30:31], v[30:31], 0, 4
	v_lshl_add_u64 v[32:33], v[32:33], 0, 4
	s_addc_u32 s19, s27, -1
	s_mov_b64 s[36:37], 0
	s_mov_b64 s[40:41], 0
                                        ; implicit-def: $sgpr38_sgpr39
	s_branch .LBB1600_124
.LBB1600_122:                           ;   in Loop: Header=BB1600_124 Depth=1
	global_load_dword v34, v[32:33], off
	global_load_dword v35, v[30:31], off
	s_add_u32 s40, s40, 1
	s_addc_u32 s41, s41, 0
	s_andn2_b64 s[38:39], s[38:39], exec
	v_lshl_add_u64 v[30:31], v[30:31], 0, 4
	v_lshl_add_u64 v[32:33], v[32:33], 0, 4
	s_waitcnt vmcnt(0)
	v_cmp_ne_u32_e32 vcc, v34, v35
	s_and_b64 s[42:43], vcc, exec
	s_or_b64 s[38:39], s[38:39], s[42:43]
.LBB1600_123:                           ;   in Loop: Header=BB1600_124 Depth=1
	s_and_b64 s[42:43], exec, s[38:39]
	s_or_b64 s[36:37], s[42:43], s[36:37]
	v_mov_b64_e32 v[34:35], s[40:41]
	s_andn2_b64 exec, exec, s[36:37]
	s_cbranch_execz .LBB1600_126
.LBB1600_124:                           ; =>This Inner Loop Header: Depth=1
	s_or_b64 s[38:39], s[38:39], exec
	s_cmp_eq_u64 s[18:19], s[40:41]
	s_cbranch_scc0 .LBB1600_122
; %bb.125:                              ;   in Loop: Header=BB1600_124 Depth=1
                                        ; implicit-def: $vgpr30_vgpr31
                                        ; implicit-def: $vgpr32_vgpr33
	s_mov_b64 s[40:41], s[26:27]
	s_branch .LBB1600_123
.LBB1600_126:
	s_or_b64 exec, exec, s[36:37]
	v_cmp_gt_i64_e32 vcc, s[26:27], v[34:35]
	s_orn2_b64 s[18:19], vcc, exec
.LBB1600_127:
	s_or_b64 exec, exec, s[12:13]
.LBB1600_128:
	s_and_b64 s[12:13], s[18:19], exec
.LBB1600_129:
	s_or_b64 exec, exec, s[14:15]
	v_cmp_gt_u32_e32 vcc, s3, v39
	s_mov_b64 s[18:19], 0
	s_mov_b64 s[14:15], 0
	s_and_saveexec_b64 s[36:37], vcc
	s_cbranch_execz .LBB1600_140
; %bb.130:
	s_and_b64 vcc, exec, s[4:5]
	s_mov_b64 s[38:39], 0
	s_cbranch_vccnz .LBB1600_139
; %bb.131:
	s_waitcnt lgkmcnt(0)
	v_mul_lo_u32 v32, v21, s26
	v_mul_lo_u32 v33, v20, s27
	v_mad_u64_u32 v[30:31], s[14:15], v20, s26, 0
	v_add3_u32 v31, v31, v33, v32
	v_mul_lo_u32 v32, v15, s26
	v_mul_lo_u32 v33, v14, s27
	v_mad_u64_u32 v[34:35], s[14:15], v14, s26, 0
	v_add3_u32 v35, v35, v33, v32
	v_lshl_add_u64 v[32:33], v[30:31], 2, s[28:29]
	v_lshl_add_u64 v[30:31], v[34:35], 2, s[28:29]
	global_load_dword v34, v[32:33], off
	global_load_dword v35, v[30:31], off
	s_mov_b64 s[38:39], -1
	s_waitcnt vmcnt(0)
	v_cmp_eq_u32_e32 vcc, v34, v35
	s_and_saveexec_b64 s[14:15], vcc
	s_cbranch_execz .LBB1600_138
; %bb.132:
	s_add_u32 s38, s26, -1
	v_lshl_add_u64 v[30:31], v[30:31], 0, 4
	v_lshl_add_u64 v[32:33], v[32:33], 0, 4
	s_addc_u32 s39, s27, -1
	s_mov_b64 s[40:41], 0
	s_mov_b64 s[44:45], 0
                                        ; implicit-def: $sgpr42_sgpr43
	s_branch .LBB1600_135
.LBB1600_133:                           ;   in Loop: Header=BB1600_135 Depth=1
	global_load_dword v34, v[32:33], off
	global_load_dword v35, v[30:31], off
	s_add_u32 s44, s44, 1
	s_addc_u32 s45, s45, 0
	s_andn2_b64 s[42:43], s[42:43], exec
	v_lshl_add_u64 v[30:31], v[30:31], 0, 4
	v_lshl_add_u64 v[32:33], v[32:33], 0, 4
	s_waitcnt vmcnt(0)
	v_cmp_ne_u32_e32 vcc, v34, v35
	s_and_b64 s[46:47], vcc, exec
	s_or_b64 s[42:43], s[42:43], s[46:47]
.LBB1600_134:                           ;   in Loop: Header=BB1600_135 Depth=1
	s_and_b64 s[46:47], exec, s[42:43]
	s_or_b64 s[40:41], s[46:47], s[40:41]
	v_mov_b64_e32 v[34:35], s[44:45]
	s_andn2_b64 exec, exec, s[40:41]
	s_cbranch_execz .LBB1600_137
.LBB1600_135:                           ; =>This Inner Loop Header: Depth=1
	s_or_b64 s[42:43], s[42:43], exec
	s_cmp_eq_u64 s[38:39], s[44:45]
	s_cbranch_scc0 .LBB1600_133
; %bb.136:                              ;   in Loop: Header=BB1600_135 Depth=1
                                        ; implicit-def: $vgpr30_vgpr31
                                        ; implicit-def: $vgpr32_vgpr33
	s_mov_b64 s[44:45], s[26:27]
	s_branch .LBB1600_134
.LBB1600_137:
	s_or_b64 exec, exec, s[40:41]
	v_cmp_gt_i64_e32 vcc, s[26:27], v[34:35]
	s_orn2_b64 s[38:39], vcc, exec
.LBB1600_138:
	s_or_b64 exec, exec, s[14:15]
.LBB1600_139:
	s_and_b64 s[14:15], s[38:39], exec
.LBB1600_140:
	s_or_b64 exec, exec, s[36:37]
	v_cmp_gt_u32_e32 vcc, s3, v42
	s_and_saveexec_b64 s[36:37], vcc
	s_cbranch_execz .LBB1600_151
; %bb.141:
	s_and_b64 vcc, exec, s[4:5]
	s_mov_b64 s[38:39], 0
	s_cbranch_vccnz .LBB1600_150
; %bb.142:
	s_waitcnt lgkmcnt(0)
	v_mul_lo_u32 v32, v19, s26
	v_mul_lo_u32 v33, v18, s27
	v_mad_u64_u32 v[30:31], s[18:19], v18, s26, 0
	v_add3_u32 v31, v31, v33, v32
	v_mul_lo_u32 v32, v21, s26
	v_mul_lo_u32 v33, v20, s27
	v_mad_u64_u32 v[34:35], s[18:19], v20, s26, 0
	v_add3_u32 v35, v35, v33, v32
	v_lshl_add_u64 v[32:33], v[30:31], 2, s[28:29]
	v_lshl_add_u64 v[30:31], v[34:35], 2, s[28:29]
	global_load_dword v34, v[32:33], off
	global_load_dword v35, v[30:31], off
	s_mov_b64 s[38:39], -1
	s_waitcnt vmcnt(0)
	v_cmp_eq_u32_e32 vcc, v34, v35
	s_and_saveexec_b64 s[18:19], vcc
	s_cbranch_execz .LBB1600_149
; %bb.143:
	s_add_u32 s38, s26, -1
	v_lshl_add_u64 v[30:31], v[30:31], 0, 4
	v_lshl_add_u64 v[32:33], v[32:33], 0, 4
	s_addc_u32 s39, s27, -1
	s_mov_b64 s[40:41], 0
	s_mov_b64 s[44:45], 0
                                        ; implicit-def: $sgpr42_sgpr43
	s_branch .LBB1600_146
.LBB1600_144:                           ;   in Loop: Header=BB1600_146 Depth=1
	global_load_dword v34, v[32:33], off
	global_load_dword v35, v[30:31], off
	s_add_u32 s44, s44, 1
	s_addc_u32 s45, s45, 0
	s_andn2_b64 s[42:43], s[42:43], exec
	v_lshl_add_u64 v[30:31], v[30:31], 0, 4
	v_lshl_add_u64 v[32:33], v[32:33], 0, 4
	s_waitcnt vmcnt(0)
	v_cmp_ne_u32_e32 vcc, v34, v35
	s_and_b64 s[46:47], vcc, exec
	s_or_b64 s[42:43], s[42:43], s[46:47]
.LBB1600_145:                           ;   in Loop: Header=BB1600_146 Depth=1
	s_and_b64 s[46:47], exec, s[42:43]
	s_or_b64 s[40:41], s[46:47], s[40:41]
	v_mov_b64_e32 v[34:35], s[44:45]
	s_andn2_b64 exec, exec, s[40:41]
	s_cbranch_execz .LBB1600_148
.LBB1600_146:                           ; =>This Inner Loop Header: Depth=1
	s_or_b64 s[42:43], s[42:43], exec
	s_cmp_eq_u64 s[38:39], s[44:45]
	s_cbranch_scc0 .LBB1600_144
; %bb.147:                              ;   in Loop: Header=BB1600_146 Depth=1
                                        ; implicit-def: $vgpr30_vgpr31
                                        ; implicit-def: $vgpr32_vgpr33
	s_mov_b64 s[44:45], s[26:27]
	s_branch .LBB1600_145
.LBB1600_148:
	s_or_b64 exec, exec, s[40:41]
	v_cmp_gt_i64_e32 vcc, s[26:27], v[34:35]
	s_orn2_b64 s[38:39], vcc, exec
.LBB1600_149:
	s_or_b64 exec, exec, s[18:19]
.LBB1600_150:
	s_and_b64 s[18:19], s[38:39], exec
.LBB1600_151:
	s_or_b64 exec, exec, s[36:37]
	v_cmp_gt_u32_e32 vcc, s3, v38
	s_mov_b64 s[36:37], 0
	s_mov_b64 s[38:39], 0
	s_and_saveexec_b64 s[40:41], vcc
	s_cbranch_execz .LBB1600_162
; %bb.152:
	s_and_b64 vcc, exec, s[4:5]
	s_mov_b64 s[42:43], 0
	s_cbranch_vccnz .LBB1600_161
; %bb.153:
	s_waitcnt lgkmcnt(0)
	v_mul_lo_u32 v32, v25, s26
	v_mul_lo_u32 v33, v24, s27
	v_mad_u64_u32 v[30:31], s[38:39], v24, s26, 0
	v_add3_u32 v31, v31, v33, v32
	v_mul_lo_u32 v32, v19, s26
	v_mul_lo_u32 v33, v18, s27
	v_mad_u64_u32 v[34:35], s[38:39], v18, s26, 0
	v_add3_u32 v35, v35, v33, v32
	v_lshl_add_u64 v[32:33], v[30:31], 2, s[28:29]
	v_lshl_add_u64 v[30:31], v[34:35], 2, s[28:29]
	global_load_dword v34, v[32:33], off
	global_load_dword v35, v[30:31], off
	s_mov_b64 s[42:43], -1
	s_waitcnt vmcnt(0)
	v_cmp_eq_u32_e32 vcc, v34, v35
	s_and_saveexec_b64 s[38:39], vcc
	s_cbranch_execz .LBB1600_160
; %bb.154:
	s_add_u32 s42, s26, -1
	v_lshl_add_u64 v[30:31], v[30:31], 0, 4
	v_lshl_add_u64 v[32:33], v[32:33], 0, 4
	s_addc_u32 s43, s27, -1
	s_mov_b64 s[44:45], 0
	s_mov_b64 s[48:49], 0
                                        ; implicit-def: $sgpr46_sgpr47
	s_branch .LBB1600_157
.LBB1600_155:                           ;   in Loop: Header=BB1600_157 Depth=1
	global_load_dword v34, v[32:33], off
	global_load_dword v35, v[30:31], off
	s_add_u32 s48, s48, 1
	s_addc_u32 s49, s49, 0
	s_andn2_b64 s[46:47], s[46:47], exec
	v_lshl_add_u64 v[30:31], v[30:31], 0, 4
	v_lshl_add_u64 v[32:33], v[32:33], 0, 4
	s_waitcnt vmcnt(0)
	v_cmp_ne_u32_e32 vcc, v34, v35
	s_and_b64 s[50:51], vcc, exec
	s_or_b64 s[46:47], s[46:47], s[50:51]
.LBB1600_156:                           ;   in Loop: Header=BB1600_157 Depth=1
	s_and_b64 s[50:51], exec, s[46:47]
	s_or_b64 s[44:45], s[50:51], s[44:45]
	v_mov_b64_e32 v[34:35], s[48:49]
	s_andn2_b64 exec, exec, s[44:45]
	s_cbranch_execz .LBB1600_159
.LBB1600_157:                           ; =>This Inner Loop Header: Depth=1
	s_or_b64 s[46:47], s[46:47], exec
	s_cmp_eq_u64 s[42:43], s[48:49]
	s_cbranch_scc0 .LBB1600_155
; %bb.158:                              ;   in Loop: Header=BB1600_157 Depth=1
                                        ; implicit-def: $vgpr30_vgpr31
                                        ; implicit-def: $vgpr32_vgpr33
	s_mov_b64 s[48:49], s[26:27]
	s_branch .LBB1600_156
.LBB1600_159:
	s_or_b64 exec, exec, s[44:45]
	v_cmp_gt_i64_e32 vcc, s[26:27], v[34:35]
	s_orn2_b64 s[42:43], vcc, exec
.LBB1600_160:
	s_or_b64 exec, exec, s[38:39]
.LBB1600_161:
	s_and_b64 s[38:39], s[42:43], exec
.LBB1600_162:
	s_or_b64 exec, exec, s[40:41]
	v_cmp_gt_u32_e32 vcc, s3, v41
	s_and_saveexec_b64 s[40:41], vcc
	s_cbranch_execz .LBB1600_173
; %bb.163:
	s_and_b64 vcc, exec, s[4:5]
	s_mov_b64 s[42:43], 0
	s_cbranch_vccnz .LBB1600_172
; %bb.164:
	s_waitcnt lgkmcnt(0)
	v_mul_lo_u32 v32, v23, s26
	v_mul_lo_u32 v33, v22, s27
	v_mad_u64_u32 v[30:31], s[36:37], v22, s26, 0
	v_add3_u32 v31, v31, v33, v32
	v_mul_lo_u32 v32, v25, s26
	v_mul_lo_u32 v33, v24, s27
	v_mad_u64_u32 v[34:35], s[36:37], v24, s26, 0
	v_add3_u32 v35, v35, v33, v32
	v_lshl_add_u64 v[32:33], v[30:31], 2, s[28:29]
	v_lshl_add_u64 v[30:31], v[34:35], 2, s[28:29]
	global_load_dword v34, v[32:33], off
	global_load_dword v35, v[30:31], off
	s_mov_b64 s[42:43], -1
	s_waitcnt vmcnt(0)
	v_cmp_eq_u32_e32 vcc, v34, v35
	s_and_saveexec_b64 s[36:37], vcc
	s_cbranch_execz .LBB1600_171
; %bb.165:
	s_add_u32 s42, s26, -1
	v_lshl_add_u64 v[30:31], v[30:31], 0, 4
	v_lshl_add_u64 v[32:33], v[32:33], 0, 4
	s_addc_u32 s43, s27, -1
	s_mov_b64 s[44:45], 0
	s_mov_b64 s[48:49], 0
                                        ; implicit-def: $sgpr46_sgpr47
	s_branch .LBB1600_168
.LBB1600_166:                           ;   in Loop: Header=BB1600_168 Depth=1
	global_load_dword v34, v[32:33], off
	global_load_dword v35, v[30:31], off
	s_add_u32 s48, s48, 1
	s_addc_u32 s49, s49, 0
	s_andn2_b64 s[46:47], s[46:47], exec
	v_lshl_add_u64 v[30:31], v[30:31], 0, 4
	v_lshl_add_u64 v[32:33], v[32:33], 0, 4
	s_waitcnt vmcnt(0)
	v_cmp_ne_u32_e32 vcc, v34, v35
	s_and_b64 s[50:51], vcc, exec
	s_or_b64 s[46:47], s[46:47], s[50:51]
.LBB1600_167:                           ;   in Loop: Header=BB1600_168 Depth=1
	s_and_b64 s[50:51], exec, s[46:47]
	s_or_b64 s[44:45], s[50:51], s[44:45]
	v_mov_b64_e32 v[34:35], s[48:49]
	s_andn2_b64 exec, exec, s[44:45]
	s_cbranch_execz .LBB1600_170
.LBB1600_168:                           ; =>This Inner Loop Header: Depth=1
	s_or_b64 s[46:47], s[46:47], exec
	s_cmp_eq_u64 s[42:43], s[48:49]
	s_cbranch_scc0 .LBB1600_166
; %bb.169:                              ;   in Loop: Header=BB1600_168 Depth=1
                                        ; implicit-def: $vgpr30_vgpr31
                                        ; implicit-def: $vgpr32_vgpr33
	s_mov_b64 s[48:49], s[26:27]
	s_branch .LBB1600_167
.LBB1600_170:
	s_or_b64 exec, exec, s[44:45]
	v_cmp_gt_i64_e32 vcc, s[26:27], v[34:35]
	s_orn2_b64 s[42:43], vcc, exec
.LBB1600_171:
	s_or_b64 exec, exec, s[36:37]
.LBB1600_172:
	s_and_b64 s[36:37], s[42:43], exec
.LBB1600_173:
	s_or_b64 exec, exec, s[40:41]
	v_cmp_ne_u32_e32 vcc, 0, v0
	s_waitcnt lgkmcnt(0)
	v_mov_b64_e32 v[30:31], s[6:7]
	s_barrier
	s_and_saveexec_b64 s[6:7], vcc
	s_cbranch_execz .LBB1600_175
; %bb.174:
	v_add_u32_e32 v30, -8, v45
	ds_read_b64 v[30:31], v30
.LBB1600_175:
	s_or_b64 exec, exec, s[6:7]
	v_cndmask_b32_e64 v33, 0, 1, s[18:19]
	v_cndmask_b32_e64 v32, 0, 1, s[38:39]
	;; [unrolled: 1-line block ×3, first 2 shown]
	v_lshlrev_b16_e32 v33, 8, v33
	v_cmp_gt_u32_e32 vcc, s3, v1
	v_lshlrev_b16_e32 v36, 8, v34
	v_or_b32_sdwa v37, v32, v33 dst_sel:WORD_1 dst_unused:UNUSED_PAD src0_sel:DWORD src1_sel:DWORD
	s_mov_b64 s[18:19], 0
	s_and_saveexec_b64 s[6:7], vcc
	s_cbranch_execz .LBB1600_186
; %bb.176:
	s_and_b64 vcc, exec, s[4:5]
	s_cbranch_vccnz .LBB1600_185
; %bb.177:
	s_waitcnt lgkmcnt(0)
	v_mul_lo_u32 v32, v31, s26
	v_mul_lo_u32 v33, v30, s27
	v_mad_u64_u32 v[30:31], s[4:5], v30, s26, 0
	v_add3_u32 v31, v31, v33, v32
	v_mul_lo_u32 v32, v23, s26
	v_mul_lo_u32 v33, v22, s27
	v_mad_u64_u32 v[34:35], s[4:5], v22, s26, 0
	v_add3_u32 v35, v35, v33, v32
	v_lshl_add_u64 v[32:33], v[30:31], 2, s[28:29]
	v_lshl_add_u64 v[30:31], v[34:35], 2, s[28:29]
	global_load_dword v34, v[32:33], off
	global_load_dword v35, v[30:31], off
	s_mov_b64 s[18:19], -1
	s_waitcnt vmcnt(0)
	v_cmp_eq_u32_e32 vcc, v34, v35
	s_and_saveexec_b64 s[4:5], vcc
	s_cbranch_execz .LBB1600_184
; %bb.178:
	s_add_u32 s18, s26, -1
	v_lshl_add_u64 v[30:31], v[30:31], 0, 4
	v_lshl_add_u64 v[32:33], v[32:33], 0, 4
	s_addc_u32 s19, s27, -1
	s_mov_b64 s[36:37], 0
	s_mov_b64 s[40:41], 0
                                        ; implicit-def: $sgpr38_sgpr39
	s_branch .LBB1600_181
.LBB1600_179:                           ;   in Loop: Header=BB1600_181 Depth=1
	global_load_dword v34, v[32:33], off
	global_load_dword v35, v[30:31], off
	s_add_u32 s40, s40, 1
	s_addc_u32 s41, s41, 0
	s_andn2_b64 s[38:39], s[38:39], exec
	v_lshl_add_u64 v[30:31], v[30:31], 0, 4
	v_lshl_add_u64 v[32:33], v[32:33], 0, 4
	s_waitcnt vmcnt(0)
	v_cmp_ne_u32_e32 vcc, v34, v35
	s_and_b64 s[42:43], vcc, exec
	s_or_b64 s[38:39], s[38:39], s[42:43]
.LBB1600_180:                           ;   in Loop: Header=BB1600_181 Depth=1
	s_and_b64 s[42:43], exec, s[38:39]
	s_or_b64 s[36:37], s[42:43], s[36:37]
	v_mov_b64_e32 v[34:35], s[40:41]
	s_andn2_b64 exec, exec, s[36:37]
	s_cbranch_execz .LBB1600_183
.LBB1600_181:                           ; =>This Inner Loop Header: Depth=1
	s_or_b64 s[38:39], s[38:39], exec
	s_cmp_eq_u64 s[18:19], s[40:41]
	s_cbranch_scc0 .LBB1600_179
; %bb.182:                              ;   in Loop: Header=BB1600_181 Depth=1
                                        ; implicit-def: $vgpr30_vgpr31
                                        ; implicit-def: $vgpr32_vgpr33
	s_mov_b64 s[40:41], s[26:27]
	s_branch .LBB1600_180
.LBB1600_183:
	s_or_b64 exec, exec, s[36:37]
	v_cmp_gt_i64_e32 vcc, s[26:27], v[34:35]
	s_orn2_b64 s[18:19], vcc, exec
.LBB1600_184:
	s_or_b64 exec, exec, s[4:5]
.LBB1600_185:
	s_and_b64 s[18:19], s[18:19], exec
.LBB1600_186:
	s_or_b64 exec, exec, s[6:7]
	v_cndmask_b32_e64 v46, 0, 1, s[14:15]
	v_cndmask_b32_e64 v47, 0, 1, s[12:13]
	;; [unrolled: 1-line block ×3, first 2 shown]
	v_or_b32_e32 v34, v36, v37
.LBB1600_187:
	s_mov_b64 s[10:11], -1
	s_cbranch_execnz .LBB1600_46
.LBB1600_188:
	s_movk_i32 s4, 0xffd0
	v_mad_i32_i24 v44, v0, s4, v44
	s_mov_b64 s[12:13], 0
	s_waitcnt lgkmcnt(0)
	v_cmp_gt_i64_e64 s[6:7], s[26:27], 0
	s_and_b64 vcc, exec, s[34:35]
	ds_write_b64 v44, v[28:29]
	s_cbranch_vccz .LBB1600_196
; %bb.189:
	v_mul_lo_u32 v32, v17, s26
	v_mul_lo_u32 v33, v16, s27
	v_mad_u64_u32 v[30:31], s[4:5], v16, s26, 0
	v_add3_u32 v31, v31, v33, v32
	v_cndmask_b32_e64 v32, 0, 1, s[6:7]
	v_cmp_ne_u32_e64 s[4:5], 1, v32
	s_andn2_b64 vcc, exec, s[6:7]
	v_lshl_add_u64 v[30:31], v[30:31], 2, s[28:29]
	s_cbranch_vccnz .LBB1600_199
; %bb.190:
	v_mul_lo_u32 v34, v29, s26
	v_mul_lo_u32 v35, v28, s27
	v_mad_u64_u32 v[32:33], s[12:13], v28, s26, 0
	v_add3_u32 v33, v33, v35, v34
	v_lshl_add_u64 v[32:33], v[32:33], 2, s[28:29]
	global_load_dword v34, v[30:31], off
	global_load_dword v35, v[32:33], off
	s_mov_b64 s[12:13], -1
	s_waitcnt vmcnt(0)
	v_cmp_eq_u32_e32 vcc, v34, v35
	s_and_saveexec_b64 s[14:15], vcc
	s_cbranch_execz .LBB1600_198
; %bb.191:
	s_add_u32 s12, s26, -1
	v_lshl_add_u64 v[32:33], v[32:33], 0, 4
	v_lshl_add_u64 v[34:35], v[30:31], 0, 4
	s_addc_u32 s13, s27, -1
	s_mov_b64 s[18:19], 0
	s_mov_b64 s[38:39], 0
                                        ; implicit-def: $sgpr36_sgpr37
	s_branch .LBB1600_194
.LBB1600_192:                           ;   in Loop: Header=BB1600_194 Depth=1
	global_load_dword v36, v[34:35], off
	global_load_dword v37, v[32:33], off
	s_add_u32 s38, s38, 1
	s_addc_u32 s39, s39, 0
	s_andn2_b64 s[36:37], s[36:37], exec
	v_lshl_add_u64 v[32:33], v[32:33], 0, 4
	v_lshl_add_u64 v[34:35], v[34:35], 0, 4
	s_waitcnt vmcnt(0)
	v_cmp_ne_u32_e32 vcc, v36, v37
	s_and_b64 s[40:41], vcc, exec
	s_or_b64 s[36:37], s[36:37], s[40:41]
.LBB1600_193:                           ;   in Loop: Header=BB1600_194 Depth=1
	s_and_b64 s[40:41], exec, s[36:37]
	s_or_b64 s[18:19], s[40:41], s[18:19]
	v_mov_b64_e32 v[36:37], s[38:39]
	s_andn2_b64 exec, exec, s[18:19]
	s_cbranch_execz .LBB1600_197
.LBB1600_194:                           ; =>This Inner Loop Header: Depth=1
	s_or_b64 s[36:37], s[36:37], exec
	s_cmp_eq_u64 s[12:13], s[38:39]
	s_cbranch_scc0 .LBB1600_192
; %bb.195:                              ;   in Loop: Header=BB1600_194 Depth=1
                                        ; implicit-def: $vgpr32_vgpr33
                                        ; implicit-def: $vgpr34_vgpr35
	s_mov_b64 s[38:39], s[26:27]
	s_branch .LBB1600_193
.LBB1600_196:
                                        ; implicit-def: $sgpr18_sgpr19
                                        ; implicit-def: $vgpr48
                                        ; implicit-def: $vgpr47
                                        ; implicit-def: $vgpr46
                                        ; implicit-def: $vgpr34
                                        ; implicit-def: $vgpr30_vgpr31
	s_cbranch_execnz .LBB1600_256
	s_branch .LBB1600_336
.LBB1600_197:
	s_or_b64 exec, exec, s[18:19]
	v_cmp_gt_i64_e32 vcc, s[26:27], v[36:37]
	s_orn2_b64 s[12:13], vcc, exec
.LBB1600_198:
	s_or_b64 exec, exec, s[14:15]
.LBB1600_199:
	v_mul_lo_u32 v34, v15, s26
	v_mul_lo_u32 v35, v14, s27
	v_mad_u64_u32 v[32:33], s[14:15], v14, s26, 0
	v_add3_u32 v33, v33, v35, v34
	s_mov_b64 s[14:15], 0
	s_and_b64 vcc, exec, s[4:5]
	v_lshl_add_u64 v[32:33], v[32:33], 2, s[28:29]
	s_mov_b64 s[18:19], 0
	s_cbranch_vccnz .LBB1600_208
; %bb.200:
	global_load_dword v34, v[32:33], off
	global_load_dword v35, v[30:31], off
	s_mov_b64 s[18:19], -1
	s_waitcnt vmcnt(0)
	v_cmp_eq_u32_e32 vcc, v34, v35
	s_and_saveexec_b64 s[36:37], vcc
	s_cbranch_execz .LBB1600_207
; %bb.201:
	s_add_u32 s18, s26, -1
	v_lshl_add_u64 v[30:31], v[30:31], 0, 4
	v_lshl_add_u64 v[34:35], v[32:33], 0, 4
	s_addc_u32 s19, s27, -1
	s_mov_b64 s[38:39], 0
	s_mov_b64 s[42:43], 0
                                        ; implicit-def: $sgpr40_sgpr41
	s_branch .LBB1600_204
.LBB1600_202:                           ;   in Loop: Header=BB1600_204 Depth=1
	global_load_dword v36, v[34:35], off
	global_load_dword v37, v[30:31], off
	s_add_u32 s42, s42, 1
	s_addc_u32 s43, s43, 0
	s_andn2_b64 s[40:41], s[40:41], exec
	v_lshl_add_u64 v[30:31], v[30:31], 0, 4
	v_lshl_add_u64 v[34:35], v[34:35], 0, 4
	s_waitcnt vmcnt(0)
	v_cmp_ne_u32_e32 vcc, v36, v37
	s_and_b64 s[44:45], vcc, exec
	s_or_b64 s[40:41], s[40:41], s[44:45]
.LBB1600_203:                           ;   in Loop: Header=BB1600_204 Depth=1
	s_and_b64 s[44:45], exec, s[40:41]
	s_or_b64 s[38:39], s[44:45], s[38:39]
	v_mov_b64_e32 v[36:37], s[42:43]
	s_andn2_b64 exec, exec, s[38:39]
	s_cbranch_execz .LBB1600_206
.LBB1600_204:                           ; =>This Inner Loop Header: Depth=1
	s_or_b64 s[40:41], s[40:41], exec
	s_cmp_eq_u64 s[18:19], s[42:43]
	s_cbranch_scc0 .LBB1600_202
; %bb.205:                              ;   in Loop: Header=BB1600_204 Depth=1
                                        ; implicit-def: $vgpr30_vgpr31
                                        ; implicit-def: $vgpr34_vgpr35
	s_mov_b64 s[42:43], s[26:27]
	s_branch .LBB1600_203
.LBB1600_206:
	s_or_b64 exec, exec, s[38:39]
	v_cmp_gt_i64_e32 vcc, s[26:27], v[36:37]
	s_orn2_b64 s[18:19], vcc, exec
.LBB1600_207:
	s_or_b64 exec, exec, s[36:37]
.LBB1600_208:
	v_mul_lo_u32 v34, v21, s26
	v_mul_lo_u32 v35, v20, s27
	v_mad_u64_u32 v[30:31], s[36:37], v20, s26, 0
	v_add3_u32 v31, v31, v35, v34
	s_and_b64 vcc, exec, s[4:5]
	v_lshl_add_u64 v[30:31], v[30:31], 2, s[28:29]
	s_cbranch_vccnz .LBB1600_217
; %bb.209:
	global_load_dword v34, v[30:31], off
	global_load_dword v35, v[32:33], off
	s_mov_b64 s[14:15], -1
	s_waitcnt vmcnt(0)
	v_cmp_eq_u32_e32 vcc, v34, v35
	s_and_saveexec_b64 s[36:37], vcc
	s_cbranch_execz .LBB1600_216
; %bb.210:
	s_add_u32 s14, s26, -1
	v_lshl_add_u64 v[32:33], v[32:33], 0, 4
	v_lshl_add_u64 v[34:35], v[30:31], 0, 4
	s_addc_u32 s15, s27, -1
	s_mov_b64 s[38:39], 0
	s_mov_b64 s[42:43], 0
                                        ; implicit-def: $sgpr40_sgpr41
	s_branch .LBB1600_213
.LBB1600_211:                           ;   in Loop: Header=BB1600_213 Depth=1
	global_load_dword v36, v[34:35], off
	global_load_dword v37, v[32:33], off
	s_add_u32 s42, s42, 1
	s_addc_u32 s43, s43, 0
	s_andn2_b64 s[40:41], s[40:41], exec
	v_lshl_add_u64 v[32:33], v[32:33], 0, 4
	v_lshl_add_u64 v[34:35], v[34:35], 0, 4
	s_waitcnt vmcnt(0)
	v_cmp_ne_u32_e32 vcc, v36, v37
	s_and_b64 s[44:45], vcc, exec
	s_or_b64 s[40:41], s[40:41], s[44:45]
.LBB1600_212:                           ;   in Loop: Header=BB1600_213 Depth=1
	s_and_b64 s[44:45], exec, s[40:41]
	s_or_b64 s[38:39], s[44:45], s[38:39]
	v_mov_b64_e32 v[36:37], s[42:43]
	s_andn2_b64 exec, exec, s[38:39]
	s_cbranch_execz .LBB1600_215
.LBB1600_213:                           ; =>This Inner Loop Header: Depth=1
	s_or_b64 s[40:41], s[40:41], exec
	s_cmp_eq_u64 s[14:15], s[42:43]
	s_cbranch_scc0 .LBB1600_211
; %bb.214:                              ;   in Loop: Header=BB1600_213 Depth=1
                                        ; implicit-def: $vgpr32_vgpr33
                                        ; implicit-def: $vgpr34_vgpr35
	s_mov_b64 s[42:43], s[26:27]
	s_branch .LBB1600_212
.LBB1600_215:
	s_or_b64 exec, exec, s[38:39]
	v_cmp_gt_i64_e32 vcc, s[26:27], v[36:37]
	s_orn2_b64 s[14:15], vcc, exec
.LBB1600_216:
	s_or_b64 exec, exec, s[36:37]
.LBB1600_217:
	v_mul_lo_u32 v34, v19, s26
	v_mul_lo_u32 v35, v18, s27
	v_mad_u64_u32 v[32:33], s[36:37], v18, s26, 0
	v_add3_u32 v33, v33, v35, v34
	s_mov_b64 s[36:37], 0
	s_and_b64 vcc, exec, s[4:5]
	v_lshl_add_u64 v[32:33], v[32:33], 2, s[28:29]
	s_mov_b64 s[38:39], 0
	s_cbranch_vccnz .LBB1600_226
; %bb.218:
	global_load_dword v34, v[32:33], off
	global_load_dword v35, v[30:31], off
	s_mov_b64 s[38:39], -1
	s_waitcnt vmcnt(0)
	v_cmp_eq_u32_e32 vcc, v34, v35
	s_and_saveexec_b64 s[40:41], vcc
	s_cbranch_execz .LBB1600_225
; %bb.219:
	s_add_u32 s38, s26, -1
	v_lshl_add_u64 v[30:31], v[30:31], 0, 4
	v_lshl_add_u64 v[34:35], v[32:33], 0, 4
	s_addc_u32 s39, s27, -1
	s_mov_b64 s[42:43], 0
	s_mov_b64 s[46:47], 0
                                        ; implicit-def: $sgpr44_sgpr45
	s_branch .LBB1600_222
.LBB1600_220:                           ;   in Loop: Header=BB1600_222 Depth=1
	global_load_dword v36, v[34:35], off
	global_load_dword v37, v[30:31], off
	s_add_u32 s46, s46, 1
	s_addc_u32 s47, s47, 0
	s_andn2_b64 s[44:45], s[44:45], exec
	v_lshl_add_u64 v[30:31], v[30:31], 0, 4
	v_lshl_add_u64 v[34:35], v[34:35], 0, 4
	s_waitcnt vmcnt(0)
	v_cmp_ne_u32_e32 vcc, v36, v37
	s_and_b64 s[48:49], vcc, exec
	s_or_b64 s[44:45], s[44:45], s[48:49]
.LBB1600_221:                           ;   in Loop: Header=BB1600_222 Depth=1
	s_and_b64 s[48:49], exec, s[44:45]
	s_or_b64 s[42:43], s[48:49], s[42:43]
	v_mov_b64_e32 v[36:37], s[46:47]
	s_andn2_b64 exec, exec, s[42:43]
	s_cbranch_execz .LBB1600_224
.LBB1600_222:                           ; =>This Inner Loop Header: Depth=1
	s_or_b64 s[44:45], s[44:45], exec
	s_cmp_eq_u64 s[38:39], s[46:47]
	s_cbranch_scc0 .LBB1600_220
; %bb.223:                              ;   in Loop: Header=BB1600_222 Depth=1
                                        ; implicit-def: $vgpr30_vgpr31
                                        ; implicit-def: $vgpr34_vgpr35
	s_mov_b64 s[46:47], s[26:27]
	s_branch .LBB1600_221
.LBB1600_224:
	s_or_b64 exec, exec, s[42:43]
	v_cmp_gt_i64_e32 vcc, s[26:27], v[36:37]
	s_orn2_b64 s[38:39], vcc, exec
.LBB1600_225:
	s_or_b64 exec, exec, s[40:41]
.LBB1600_226:
	v_mul_lo_u32 v34, v25, s26
	v_mul_lo_u32 v35, v24, s27
	v_mad_u64_u32 v[30:31], s[40:41], v24, s26, 0
	v_add3_u32 v31, v31, v35, v34
	s_and_b64 vcc, exec, s[4:5]
	v_lshl_add_u64 v[30:31], v[30:31], 2, s[28:29]
	s_cbranch_vccnz .LBB1600_235
; %bb.227:
	global_load_dword v34, v[30:31], off
	global_load_dword v35, v[32:33], off
	s_mov_b64 s[36:37], -1
	s_waitcnt vmcnt(0)
	v_cmp_eq_u32_e32 vcc, v34, v35
	s_and_saveexec_b64 s[40:41], vcc
	s_cbranch_execz .LBB1600_234
; %bb.228:
	s_add_u32 s36, s26, -1
	v_lshl_add_u64 v[32:33], v[32:33], 0, 4
	v_lshl_add_u64 v[34:35], v[30:31], 0, 4
	s_addc_u32 s37, s27, -1
	s_mov_b64 s[42:43], 0
	s_mov_b64 s[46:47], 0
                                        ; implicit-def: $sgpr44_sgpr45
	s_branch .LBB1600_231
.LBB1600_229:                           ;   in Loop: Header=BB1600_231 Depth=1
	global_load_dword v36, v[34:35], off
	global_load_dword v37, v[32:33], off
	s_add_u32 s46, s46, 1
	s_addc_u32 s47, s47, 0
	s_andn2_b64 s[44:45], s[44:45], exec
	v_lshl_add_u64 v[32:33], v[32:33], 0, 4
	v_lshl_add_u64 v[34:35], v[34:35], 0, 4
	s_waitcnt vmcnt(0)
	v_cmp_ne_u32_e32 vcc, v36, v37
	s_and_b64 s[48:49], vcc, exec
	s_or_b64 s[44:45], s[44:45], s[48:49]
.LBB1600_230:                           ;   in Loop: Header=BB1600_231 Depth=1
	s_and_b64 s[48:49], exec, s[44:45]
	s_or_b64 s[42:43], s[48:49], s[42:43]
	v_mov_b64_e32 v[36:37], s[46:47]
	s_andn2_b64 exec, exec, s[42:43]
	s_cbranch_execz .LBB1600_233
.LBB1600_231:                           ; =>This Inner Loop Header: Depth=1
	s_or_b64 s[44:45], s[44:45], exec
	s_cmp_eq_u64 s[36:37], s[46:47]
	s_cbranch_scc0 .LBB1600_229
; %bb.232:                              ;   in Loop: Header=BB1600_231 Depth=1
                                        ; implicit-def: $vgpr32_vgpr33
                                        ; implicit-def: $vgpr34_vgpr35
	s_mov_b64 s[46:47], s[26:27]
	s_branch .LBB1600_230
.LBB1600_233:
	s_or_b64 exec, exec, s[42:43]
	v_cmp_gt_i64_e32 vcc, s[26:27], v[36:37]
	s_orn2_b64 s[36:37], vcc, exec
.LBB1600_234:
	s_or_b64 exec, exec, s[40:41]
.LBB1600_235:
	v_mul_lo_u32 v34, v23, s26
	v_mul_lo_u32 v35, v22, s27
	v_mad_u64_u32 v[32:33], s[40:41], v22, s26, 0
	v_add3_u32 v33, v33, v35, v34
	s_and_b64 vcc, exec, s[4:5]
	s_mov_b64 s[42:43], 0
	s_cbranch_vccnz .LBB1600_244
; %bb.236:
	v_lshl_add_u64 v[34:35], v[32:33], 2, s[28:29]
	global_load_dword v36, v[34:35], off
	global_load_dword v37, v[30:31], off
	s_mov_b64 s[42:43], -1
	s_waitcnt vmcnt(0)
	v_cmp_eq_u32_e32 vcc, v36, v37
	s_and_saveexec_b64 s[40:41], vcc
	s_cbranch_execz .LBB1600_243
; %bb.237:
	s_add_u32 s42, s26, -1
	v_lshl_add_u64 v[30:31], v[30:31], 0, 4
	v_lshl_add_u64 v[34:35], v[34:35], 0, 4
	s_addc_u32 s43, s27, -1
	s_mov_b64 s[44:45], 0
	s_mov_b64 s[48:49], 0
                                        ; implicit-def: $sgpr46_sgpr47
	s_branch .LBB1600_240
.LBB1600_238:                           ;   in Loop: Header=BB1600_240 Depth=1
	global_load_dword v36, v[34:35], off
	global_load_dword v37, v[30:31], off
	s_add_u32 s48, s48, 1
	s_addc_u32 s49, s49, 0
	s_andn2_b64 s[46:47], s[46:47], exec
	v_lshl_add_u64 v[30:31], v[30:31], 0, 4
	v_lshl_add_u64 v[34:35], v[34:35], 0, 4
	s_waitcnt vmcnt(0)
	v_cmp_ne_u32_e32 vcc, v36, v37
	s_and_b64 s[50:51], vcc, exec
	s_or_b64 s[46:47], s[46:47], s[50:51]
.LBB1600_239:                           ;   in Loop: Header=BB1600_240 Depth=1
	s_and_b64 s[50:51], exec, s[46:47]
	s_or_b64 s[44:45], s[50:51], s[44:45]
	v_mov_b64_e32 v[36:37], s[48:49]
	s_andn2_b64 exec, exec, s[44:45]
	s_cbranch_execz .LBB1600_242
.LBB1600_240:                           ; =>This Inner Loop Header: Depth=1
	s_or_b64 s[46:47], s[46:47], exec
	s_cmp_eq_u64 s[42:43], s[48:49]
	s_cbranch_scc0 .LBB1600_238
; %bb.241:                              ;   in Loop: Header=BB1600_240 Depth=1
                                        ; implicit-def: $vgpr30_vgpr31
                                        ; implicit-def: $vgpr34_vgpr35
	s_mov_b64 s[48:49], s[26:27]
	s_branch .LBB1600_239
.LBB1600_242:
	s_or_b64 exec, exec, s[44:45]
	v_cmp_gt_i64_e32 vcc, s[26:27], v[36:37]
	s_orn2_b64 s[42:43], vcc, exec
.LBB1600_243:
	s_or_b64 exec, exec, s[40:41]
.LBB1600_244:
	v_cndmask_b32_e64 v31, 0, 1, s[38:39]
	v_cndmask_b32_e64 v30, 0, 1, s[36:37]
	v_cndmask_b32_e64 v47, 0, 1, s[18:19]
	v_lshlrev_b16_e32 v31, 8, v31
	v_cndmask_b32_e64 v46, 0, 1, s[14:15]
	v_cndmask_b32_e64 v34, 0, 1, s[42:43]
	v_or_b32_sdwa v30, v30, v31 dst_sel:WORD_1 dst_unused:UNUSED_PAD src0_sel:DWORD src1_sel:DWORD
	v_lshlrev_b16_e32 v31, 8, v47
	v_lshlrev_b16_e32 v34, 8, v34
	v_or_b32_e32 v31, v46, v31
	v_or_b32_e32 v34, 1, v34
	v_and_b32_e32 v31, 0xffff, v31
	v_cndmask_b32_e64 v48, 0, 1, s[12:13]
	v_or_b32_sdwa v30, v34, v30 dst_sel:DWORD dst_unused:UNUSED_PAD src0_sel:WORD_0 src1_sel:DWORD
	v_lshl_or_b32 v31, v48, 16, v31
	v_cmp_ne_u32_e32 vcc, 0, v0
	s_waitcnt lgkmcnt(0)
	s_barrier
	s_waitcnt lgkmcnt(0)
                                        ; implicit-def: $sgpr18_sgpr19
                                        ; implicit-def: $vgpr34
	s_and_saveexec_b64 s[12:13], vcc
	s_xor_b64 s[12:13], exec, s[12:13]
	s_cbranch_execz .LBB1600_255
; %bb.245:
	s_mov_b32 s33, 0x3020104
	s_and_b64 vcc, exec, s[4:5]
	s_mov_b64 s[14:15], 0
	s_cbranch_vccnz .LBB1600_254
; %bb.246:
	v_add_u32_e32 v31, -8, v44
	ds_read_b64 v[34:35], v31
	v_lshl_add_u64 v[32:33], v[32:33], 2, s[28:29]
	s_mov_b64 s[14:15], -1
	s_waitcnt lgkmcnt(0)
	v_mul_lo_u32 v31, v35, s26
	v_mul_lo_u32 v36, v34, s27
	v_mad_u64_u32 v[34:35], s[4:5], v34, s26, 0
	v_add3_u32 v35, v35, v36, v31
	v_lshl_add_u64 v[34:35], v[34:35], 2, s[28:29]
	global_load_dword v31, v[34:35], off
	global_load_dword v36, v[32:33], off
	s_waitcnt vmcnt(0)
	v_cmp_eq_u32_e32 vcc, v31, v36
	s_and_saveexec_b64 s[4:5], vcc
	s_cbranch_execz .LBB1600_253
; %bb.247:
	s_add_u32 s14, s26, -1
	v_lshl_add_u64 v[32:33], v[32:33], 0, 4
	v_lshl_add_u64 v[34:35], v[34:35], 0, 4
	s_addc_u32 s15, s27, -1
	s_mov_b64 s[18:19], 0
	s_mov_b64 s[38:39], 0
                                        ; implicit-def: $sgpr36_sgpr37
	s_branch .LBB1600_250
.LBB1600_248:                           ;   in Loop: Header=BB1600_250 Depth=1
	global_load_dword v31, v[34:35], off
	global_load_dword v36, v[32:33], off
	s_add_u32 s38, s38, 1
	s_addc_u32 s39, s39, 0
	s_andn2_b64 s[36:37], s[36:37], exec
	v_lshl_add_u64 v[32:33], v[32:33], 0, 4
	v_lshl_add_u64 v[34:35], v[34:35], 0, 4
	s_waitcnt vmcnt(0)
	v_cmp_ne_u32_e32 vcc, v31, v36
	s_and_b64 s[40:41], vcc, exec
	s_or_b64 s[36:37], s[36:37], s[40:41]
.LBB1600_249:                           ;   in Loop: Header=BB1600_250 Depth=1
	s_and_b64 s[40:41], exec, s[36:37]
	s_or_b64 s[18:19], s[40:41], s[18:19]
	v_mov_b64_e32 v[36:37], s[38:39]
	s_andn2_b64 exec, exec, s[18:19]
	s_cbranch_execz .LBB1600_252
.LBB1600_250:                           ; =>This Inner Loop Header: Depth=1
	s_or_b64 s[36:37], s[36:37], exec
	s_cmp_eq_u64 s[14:15], s[38:39]
	s_cbranch_scc0 .LBB1600_248
; %bb.251:                              ;   in Loop: Header=BB1600_250 Depth=1
                                        ; implicit-def: $vgpr32_vgpr33
                                        ; implicit-def: $vgpr34_vgpr35
	s_mov_b64 s[38:39], s[26:27]
	s_branch .LBB1600_249
.LBB1600_252:
	s_or_b64 exec, exec, s[18:19]
	v_cmp_gt_i64_e32 vcc, s[26:27], v[36:37]
	s_orn2_b64 s[14:15], vcc, exec
.LBB1600_253:
	s_or_b64 exec, exec, s[4:5]
.LBB1600_254:
	v_perm_b32 v34, v30, v30, s33
	s_and_b64 s[18:19], s[14:15], exec
	s_or_b64 s[10:11], s[10:11], exec
                                        ; implicit-def: $vgpr30_vgpr31
.LBB1600_255:
	s_or_b64 exec, exec, s[12:13]
	s_branch .LBB1600_336
.LBB1600_256:
	v_cmp_gt_u32_e32 vcc, s3, v40
	s_mov_b64 s[12:13], 0
	s_mov_b64 s[4:5], 0
	s_and_saveexec_b64 s[14:15], vcc
	s_cbranch_execz .LBB1600_267
; %bb.257:
	s_andn2_b64 vcc, exec, s[6:7]
	s_mov_b64 s[18:19], 0
	s_cbranch_vccnz .LBB1600_266
; %bb.258:
	v_mul_lo_u32 v32, v17, s26
	v_mul_lo_u32 v33, v16, s27
	v_mad_u64_u32 v[30:31], s[4:5], v16, s26, 0
	v_add3_u32 v31, v31, v33, v32
	v_mul_lo_u32 v32, v29, s26
	v_mul_lo_u32 v33, v28, s27
	v_mad_u64_u32 v[34:35], s[4:5], v28, s26, 0
	v_add3_u32 v35, v35, v33, v32
	v_lshl_add_u64 v[32:33], v[30:31], 2, s[28:29]
	v_lshl_add_u64 v[30:31], v[34:35], 2, s[28:29]
	global_load_dword v34, v[32:33], off
	global_load_dword v35, v[30:31], off
	s_mov_b64 s[18:19], -1
	s_waitcnt vmcnt(0)
	v_cmp_eq_u32_e32 vcc, v34, v35
	s_and_saveexec_b64 s[4:5], vcc
	s_cbranch_execz .LBB1600_265
; %bb.259:
	s_add_u32 s18, s26, -1
	v_lshl_add_u64 v[30:31], v[30:31], 0, 4
	v_lshl_add_u64 v[32:33], v[32:33], 0, 4
	s_addc_u32 s19, s27, -1
	s_mov_b64 s[36:37], 0
	s_mov_b64 s[40:41], 0
                                        ; implicit-def: $sgpr38_sgpr39
	s_branch .LBB1600_262
.LBB1600_260:                           ;   in Loop: Header=BB1600_262 Depth=1
	global_load_dword v34, v[32:33], off
	global_load_dword v35, v[30:31], off
	s_add_u32 s40, s40, 1
	s_addc_u32 s41, s41, 0
	s_andn2_b64 s[38:39], s[38:39], exec
	v_lshl_add_u64 v[30:31], v[30:31], 0, 4
	v_lshl_add_u64 v[32:33], v[32:33], 0, 4
	s_waitcnt vmcnt(0)
	v_cmp_ne_u32_e32 vcc, v34, v35
	s_and_b64 s[42:43], vcc, exec
	s_or_b64 s[38:39], s[38:39], s[42:43]
.LBB1600_261:                           ;   in Loop: Header=BB1600_262 Depth=1
	s_and_b64 s[42:43], exec, s[38:39]
	s_or_b64 s[36:37], s[42:43], s[36:37]
	v_mov_b64_e32 v[34:35], s[40:41]
	s_andn2_b64 exec, exec, s[36:37]
	s_cbranch_execz .LBB1600_264
.LBB1600_262:                           ; =>This Inner Loop Header: Depth=1
	s_or_b64 s[38:39], s[38:39], exec
	s_cmp_eq_u64 s[18:19], s[40:41]
	s_cbranch_scc0 .LBB1600_260
; %bb.263:                              ;   in Loop: Header=BB1600_262 Depth=1
                                        ; implicit-def: $vgpr30_vgpr31
                                        ; implicit-def: $vgpr32_vgpr33
	s_mov_b64 s[40:41], s[26:27]
	s_branch .LBB1600_261
.LBB1600_264:
	s_or_b64 exec, exec, s[36:37]
	v_cmp_gt_i64_e32 vcc, s[26:27], v[34:35]
	s_orn2_b64 s[18:19], vcc, exec
.LBB1600_265:
	s_or_b64 exec, exec, s[4:5]
.LBB1600_266:
	s_and_b64 s[4:5], s[18:19], exec
.LBB1600_267:
	s_or_b64 exec, exec, s[14:15]
	v_cmp_gt_u32_e32 vcc, s3, v43
	s_and_saveexec_b64 s[14:15], vcc
	s_cbranch_execz .LBB1600_278
; %bb.268:
	s_andn2_b64 vcc, exec, s[6:7]
	s_mov_b64 s[18:19], 0
	s_cbranch_vccnz .LBB1600_277
; %bb.269:
	v_mul_lo_u32 v32, v15, s26
	v_mul_lo_u32 v33, v14, s27
	v_mad_u64_u32 v[30:31], s[12:13], v14, s26, 0
	v_add3_u32 v31, v31, v33, v32
	v_mul_lo_u32 v32, v17, s26
	v_mul_lo_u32 v33, v16, s27
	v_mad_u64_u32 v[34:35], s[12:13], v16, s26, 0
	v_add3_u32 v35, v35, v33, v32
	v_lshl_add_u64 v[32:33], v[30:31], 2, s[28:29]
	v_lshl_add_u64 v[30:31], v[34:35], 2, s[28:29]
	global_load_dword v34, v[32:33], off
	global_load_dword v35, v[30:31], off
	s_mov_b64 s[18:19], -1
	s_waitcnt vmcnt(0)
	v_cmp_eq_u32_e32 vcc, v34, v35
	s_and_saveexec_b64 s[12:13], vcc
	s_cbranch_execz .LBB1600_276
; %bb.270:
	s_add_u32 s18, s26, -1
	v_lshl_add_u64 v[30:31], v[30:31], 0, 4
	v_lshl_add_u64 v[32:33], v[32:33], 0, 4
	s_addc_u32 s19, s27, -1
	s_mov_b64 s[36:37], 0
	s_mov_b64 s[40:41], 0
                                        ; implicit-def: $sgpr38_sgpr39
	s_branch .LBB1600_273
.LBB1600_271:                           ;   in Loop: Header=BB1600_273 Depth=1
	global_load_dword v34, v[32:33], off
	global_load_dword v35, v[30:31], off
	s_add_u32 s40, s40, 1
	s_addc_u32 s41, s41, 0
	s_andn2_b64 s[38:39], s[38:39], exec
	v_lshl_add_u64 v[30:31], v[30:31], 0, 4
	v_lshl_add_u64 v[32:33], v[32:33], 0, 4
	s_waitcnt vmcnt(0)
	v_cmp_ne_u32_e32 vcc, v34, v35
	s_and_b64 s[42:43], vcc, exec
	s_or_b64 s[38:39], s[38:39], s[42:43]
.LBB1600_272:                           ;   in Loop: Header=BB1600_273 Depth=1
	s_and_b64 s[42:43], exec, s[38:39]
	s_or_b64 s[36:37], s[42:43], s[36:37]
	v_mov_b64_e32 v[34:35], s[40:41]
	s_andn2_b64 exec, exec, s[36:37]
	s_cbranch_execz .LBB1600_275
.LBB1600_273:                           ; =>This Inner Loop Header: Depth=1
	s_or_b64 s[38:39], s[38:39], exec
	s_cmp_eq_u64 s[18:19], s[40:41]
	s_cbranch_scc0 .LBB1600_271
; %bb.274:                              ;   in Loop: Header=BB1600_273 Depth=1
                                        ; implicit-def: $vgpr30_vgpr31
                                        ; implicit-def: $vgpr32_vgpr33
	s_mov_b64 s[40:41], s[26:27]
	s_branch .LBB1600_272
.LBB1600_275:
	s_or_b64 exec, exec, s[36:37]
	v_cmp_gt_i64_e32 vcc, s[26:27], v[34:35]
	s_orn2_b64 s[18:19], vcc, exec
.LBB1600_276:
	s_or_b64 exec, exec, s[12:13]
.LBB1600_277:
	s_and_b64 s[12:13], s[18:19], exec
.LBB1600_278:
	s_or_b64 exec, exec, s[14:15]
	v_cmp_gt_u32_e32 vcc, s3, v39
	s_mov_b64 s[18:19], 0
	s_mov_b64 s[14:15], 0
	s_and_saveexec_b64 s[36:37], vcc
	s_cbranch_execz .LBB1600_289
; %bb.279:
	s_andn2_b64 vcc, exec, s[6:7]
	s_mov_b64 s[38:39], 0
	s_cbranch_vccnz .LBB1600_288
; %bb.280:
	v_mul_lo_u32 v32, v21, s26
	v_mul_lo_u32 v33, v20, s27
	v_mad_u64_u32 v[30:31], s[14:15], v20, s26, 0
	v_add3_u32 v31, v31, v33, v32
	v_mul_lo_u32 v32, v15, s26
	v_mul_lo_u32 v33, v14, s27
	v_mad_u64_u32 v[34:35], s[14:15], v14, s26, 0
	v_add3_u32 v35, v35, v33, v32
	v_lshl_add_u64 v[32:33], v[30:31], 2, s[28:29]
	v_lshl_add_u64 v[30:31], v[34:35], 2, s[28:29]
	global_load_dword v34, v[32:33], off
	global_load_dword v35, v[30:31], off
	s_mov_b64 s[38:39], -1
	s_waitcnt vmcnt(0)
	v_cmp_eq_u32_e32 vcc, v34, v35
	s_and_saveexec_b64 s[14:15], vcc
	s_cbranch_execz .LBB1600_287
; %bb.281:
	s_add_u32 s38, s26, -1
	v_lshl_add_u64 v[30:31], v[30:31], 0, 4
	v_lshl_add_u64 v[32:33], v[32:33], 0, 4
	s_addc_u32 s39, s27, -1
	s_mov_b64 s[40:41], 0
	s_mov_b64 s[44:45], 0
                                        ; implicit-def: $sgpr42_sgpr43
	s_branch .LBB1600_284
.LBB1600_282:                           ;   in Loop: Header=BB1600_284 Depth=1
	global_load_dword v34, v[32:33], off
	global_load_dword v35, v[30:31], off
	s_add_u32 s44, s44, 1
	s_addc_u32 s45, s45, 0
	s_andn2_b64 s[42:43], s[42:43], exec
	v_lshl_add_u64 v[30:31], v[30:31], 0, 4
	v_lshl_add_u64 v[32:33], v[32:33], 0, 4
	s_waitcnt vmcnt(0)
	v_cmp_ne_u32_e32 vcc, v34, v35
	s_and_b64 s[46:47], vcc, exec
	s_or_b64 s[42:43], s[42:43], s[46:47]
.LBB1600_283:                           ;   in Loop: Header=BB1600_284 Depth=1
	s_and_b64 s[46:47], exec, s[42:43]
	s_or_b64 s[40:41], s[46:47], s[40:41]
	v_mov_b64_e32 v[34:35], s[44:45]
	s_andn2_b64 exec, exec, s[40:41]
	s_cbranch_execz .LBB1600_286
.LBB1600_284:                           ; =>This Inner Loop Header: Depth=1
	s_or_b64 s[42:43], s[42:43], exec
	s_cmp_eq_u64 s[38:39], s[44:45]
	s_cbranch_scc0 .LBB1600_282
; %bb.285:                              ;   in Loop: Header=BB1600_284 Depth=1
                                        ; implicit-def: $vgpr30_vgpr31
                                        ; implicit-def: $vgpr32_vgpr33
	s_mov_b64 s[44:45], s[26:27]
	s_branch .LBB1600_283
.LBB1600_286:
	s_or_b64 exec, exec, s[40:41]
	v_cmp_gt_i64_e32 vcc, s[26:27], v[34:35]
	s_orn2_b64 s[38:39], vcc, exec
.LBB1600_287:
	s_or_b64 exec, exec, s[14:15]
.LBB1600_288:
	s_and_b64 s[14:15], s[38:39], exec
.LBB1600_289:
	s_or_b64 exec, exec, s[36:37]
	v_cmp_gt_u32_e32 vcc, s3, v42
	s_and_saveexec_b64 s[36:37], vcc
	s_cbranch_execz .LBB1600_300
; %bb.290:
	s_andn2_b64 vcc, exec, s[6:7]
	s_mov_b64 s[38:39], 0
	s_cbranch_vccnz .LBB1600_299
; %bb.291:
	v_mul_lo_u32 v32, v19, s26
	v_mul_lo_u32 v33, v18, s27
	v_mad_u64_u32 v[30:31], s[18:19], v18, s26, 0
	v_add3_u32 v31, v31, v33, v32
	v_mul_lo_u32 v32, v21, s26
	v_mul_lo_u32 v33, v20, s27
	v_mad_u64_u32 v[34:35], s[18:19], v20, s26, 0
	v_add3_u32 v35, v35, v33, v32
	v_lshl_add_u64 v[32:33], v[30:31], 2, s[28:29]
	v_lshl_add_u64 v[30:31], v[34:35], 2, s[28:29]
	global_load_dword v34, v[32:33], off
	global_load_dword v35, v[30:31], off
	s_mov_b64 s[38:39], -1
	s_waitcnt vmcnt(0)
	v_cmp_eq_u32_e32 vcc, v34, v35
	s_and_saveexec_b64 s[18:19], vcc
	s_cbranch_execz .LBB1600_298
; %bb.292:
	s_add_u32 s38, s26, -1
	v_lshl_add_u64 v[30:31], v[30:31], 0, 4
	v_lshl_add_u64 v[32:33], v[32:33], 0, 4
	s_addc_u32 s39, s27, -1
	s_mov_b64 s[40:41], 0
	s_mov_b64 s[44:45], 0
                                        ; implicit-def: $sgpr42_sgpr43
	s_branch .LBB1600_295
.LBB1600_293:                           ;   in Loop: Header=BB1600_295 Depth=1
	global_load_dword v34, v[32:33], off
	global_load_dword v35, v[30:31], off
	s_add_u32 s44, s44, 1
	s_addc_u32 s45, s45, 0
	s_andn2_b64 s[42:43], s[42:43], exec
	v_lshl_add_u64 v[30:31], v[30:31], 0, 4
	v_lshl_add_u64 v[32:33], v[32:33], 0, 4
	s_waitcnt vmcnt(0)
	v_cmp_ne_u32_e32 vcc, v34, v35
	s_and_b64 s[46:47], vcc, exec
	s_or_b64 s[42:43], s[42:43], s[46:47]
.LBB1600_294:                           ;   in Loop: Header=BB1600_295 Depth=1
	s_and_b64 s[46:47], exec, s[42:43]
	s_or_b64 s[40:41], s[46:47], s[40:41]
	v_mov_b64_e32 v[34:35], s[44:45]
	s_andn2_b64 exec, exec, s[40:41]
	s_cbranch_execz .LBB1600_297
.LBB1600_295:                           ; =>This Inner Loop Header: Depth=1
	s_or_b64 s[42:43], s[42:43], exec
	s_cmp_eq_u64 s[38:39], s[44:45]
	s_cbranch_scc0 .LBB1600_293
; %bb.296:                              ;   in Loop: Header=BB1600_295 Depth=1
                                        ; implicit-def: $vgpr30_vgpr31
                                        ; implicit-def: $vgpr32_vgpr33
	s_mov_b64 s[44:45], s[26:27]
	s_branch .LBB1600_294
.LBB1600_297:
	s_or_b64 exec, exec, s[40:41]
	v_cmp_gt_i64_e32 vcc, s[26:27], v[34:35]
	s_orn2_b64 s[38:39], vcc, exec
.LBB1600_298:
	s_or_b64 exec, exec, s[18:19]
.LBB1600_299:
	s_and_b64 s[18:19], s[38:39], exec
.LBB1600_300:
	s_or_b64 exec, exec, s[36:37]
	v_cmp_gt_u32_e32 vcc, s3, v38
	s_mov_b64 s[36:37], 0
	s_mov_b64 s[38:39], 0
	s_and_saveexec_b64 s[40:41], vcc
	s_cbranch_execz .LBB1600_311
; %bb.301:
	s_andn2_b64 vcc, exec, s[6:7]
	s_mov_b64 s[42:43], 0
	s_cbranch_vccnz .LBB1600_310
; %bb.302:
	v_mul_lo_u32 v32, v25, s26
	v_mul_lo_u32 v33, v24, s27
	v_mad_u64_u32 v[30:31], s[38:39], v24, s26, 0
	v_add3_u32 v31, v31, v33, v32
	v_mul_lo_u32 v32, v19, s26
	v_mul_lo_u32 v33, v18, s27
	v_mad_u64_u32 v[34:35], s[38:39], v18, s26, 0
	v_add3_u32 v35, v35, v33, v32
	v_lshl_add_u64 v[32:33], v[30:31], 2, s[28:29]
	v_lshl_add_u64 v[30:31], v[34:35], 2, s[28:29]
	global_load_dword v34, v[32:33], off
	global_load_dword v35, v[30:31], off
	s_mov_b64 s[42:43], -1
	s_waitcnt vmcnt(0)
	v_cmp_eq_u32_e32 vcc, v34, v35
	s_and_saveexec_b64 s[38:39], vcc
	s_cbranch_execz .LBB1600_309
; %bb.303:
	s_add_u32 s42, s26, -1
	v_lshl_add_u64 v[30:31], v[30:31], 0, 4
	v_lshl_add_u64 v[32:33], v[32:33], 0, 4
	s_addc_u32 s43, s27, -1
	s_mov_b64 s[44:45], 0
	s_mov_b64 s[48:49], 0
                                        ; implicit-def: $sgpr46_sgpr47
	s_branch .LBB1600_306
.LBB1600_304:                           ;   in Loop: Header=BB1600_306 Depth=1
	global_load_dword v34, v[32:33], off
	global_load_dword v35, v[30:31], off
	s_add_u32 s48, s48, 1
	s_addc_u32 s49, s49, 0
	s_andn2_b64 s[46:47], s[46:47], exec
	v_lshl_add_u64 v[30:31], v[30:31], 0, 4
	v_lshl_add_u64 v[32:33], v[32:33], 0, 4
	s_waitcnt vmcnt(0)
	v_cmp_ne_u32_e32 vcc, v34, v35
	s_and_b64 s[50:51], vcc, exec
	s_or_b64 s[46:47], s[46:47], s[50:51]
.LBB1600_305:                           ;   in Loop: Header=BB1600_306 Depth=1
	s_and_b64 s[50:51], exec, s[46:47]
	s_or_b64 s[44:45], s[50:51], s[44:45]
	v_mov_b64_e32 v[34:35], s[48:49]
	s_andn2_b64 exec, exec, s[44:45]
	s_cbranch_execz .LBB1600_308
.LBB1600_306:                           ; =>This Inner Loop Header: Depth=1
	s_or_b64 s[46:47], s[46:47], exec
	s_cmp_eq_u64 s[42:43], s[48:49]
	s_cbranch_scc0 .LBB1600_304
; %bb.307:                              ;   in Loop: Header=BB1600_306 Depth=1
                                        ; implicit-def: $vgpr30_vgpr31
                                        ; implicit-def: $vgpr32_vgpr33
	s_mov_b64 s[48:49], s[26:27]
	s_branch .LBB1600_305
.LBB1600_308:
	s_or_b64 exec, exec, s[44:45]
	v_cmp_gt_i64_e32 vcc, s[26:27], v[34:35]
	s_orn2_b64 s[42:43], vcc, exec
.LBB1600_309:
	s_or_b64 exec, exec, s[38:39]
.LBB1600_310:
	s_and_b64 s[38:39], s[42:43], exec
.LBB1600_311:
	s_or_b64 exec, exec, s[40:41]
	v_cmp_gt_u32_e32 vcc, s3, v41
	s_and_saveexec_b64 s[40:41], vcc
	s_cbranch_execz .LBB1600_322
; %bb.312:
	s_andn2_b64 vcc, exec, s[6:7]
	s_mov_b64 s[42:43], 0
	s_cbranch_vccnz .LBB1600_321
; %bb.313:
	v_mul_lo_u32 v32, v23, s26
	v_mul_lo_u32 v33, v22, s27
	v_mad_u64_u32 v[30:31], s[36:37], v22, s26, 0
	v_add3_u32 v31, v31, v33, v32
	v_mul_lo_u32 v32, v25, s26
	v_mul_lo_u32 v33, v24, s27
	v_mad_u64_u32 v[34:35], s[36:37], v24, s26, 0
	v_add3_u32 v35, v35, v33, v32
	v_lshl_add_u64 v[32:33], v[30:31], 2, s[28:29]
	v_lshl_add_u64 v[30:31], v[34:35], 2, s[28:29]
	global_load_dword v34, v[32:33], off
	global_load_dword v35, v[30:31], off
	s_mov_b64 s[42:43], -1
	s_waitcnt vmcnt(0)
	v_cmp_eq_u32_e32 vcc, v34, v35
	s_and_saveexec_b64 s[36:37], vcc
	s_cbranch_execz .LBB1600_320
; %bb.314:
	s_add_u32 s42, s26, -1
	v_lshl_add_u64 v[30:31], v[30:31], 0, 4
	v_lshl_add_u64 v[32:33], v[32:33], 0, 4
	s_addc_u32 s43, s27, -1
	s_mov_b64 s[44:45], 0
	s_mov_b64 s[48:49], 0
                                        ; implicit-def: $sgpr46_sgpr47
	s_branch .LBB1600_317
.LBB1600_315:                           ;   in Loop: Header=BB1600_317 Depth=1
	global_load_dword v34, v[32:33], off
	global_load_dword v35, v[30:31], off
	s_add_u32 s48, s48, 1
	s_addc_u32 s49, s49, 0
	s_andn2_b64 s[46:47], s[46:47], exec
	v_lshl_add_u64 v[30:31], v[30:31], 0, 4
	v_lshl_add_u64 v[32:33], v[32:33], 0, 4
	s_waitcnt vmcnt(0)
	v_cmp_ne_u32_e32 vcc, v34, v35
	s_and_b64 s[50:51], vcc, exec
	s_or_b64 s[46:47], s[46:47], s[50:51]
.LBB1600_316:                           ;   in Loop: Header=BB1600_317 Depth=1
	s_and_b64 s[50:51], exec, s[46:47]
	s_or_b64 s[44:45], s[50:51], s[44:45]
	v_mov_b64_e32 v[34:35], s[48:49]
	s_andn2_b64 exec, exec, s[44:45]
	s_cbranch_execz .LBB1600_319
.LBB1600_317:                           ; =>This Inner Loop Header: Depth=1
	s_or_b64 s[46:47], s[46:47], exec
	s_cmp_eq_u64 s[42:43], s[48:49]
	s_cbranch_scc0 .LBB1600_315
; %bb.318:                              ;   in Loop: Header=BB1600_317 Depth=1
                                        ; implicit-def: $vgpr30_vgpr31
                                        ; implicit-def: $vgpr32_vgpr33
	s_mov_b64 s[48:49], s[26:27]
	s_branch .LBB1600_316
.LBB1600_319:
	s_or_b64 exec, exec, s[44:45]
	v_cmp_gt_i64_e32 vcc, s[26:27], v[34:35]
	s_orn2_b64 s[42:43], vcc, exec
.LBB1600_320:
	s_or_b64 exec, exec, s[36:37]
.LBB1600_321:
	s_and_b64 s[36:37], s[42:43], exec
.LBB1600_322:
	s_or_b64 exec, exec, s[40:41]
	v_cndmask_b32_e64 v31, 0, 1, s[18:19]
	v_cndmask_b32_e64 v30, 0, 1, s[38:39]
	;; [unrolled: 1-line block ×3, first 2 shown]
	v_lshlrev_b16_e32 v31, 8, v31
	v_cndmask_b32_e64 v46, 0, 1, s[14:15]
	v_cndmask_b32_e64 v32, 0, 1, s[36:37]
	v_or_b32_sdwa v30, v30, v31 dst_sel:WORD_1 dst_unused:UNUSED_PAD src0_sel:DWORD src1_sel:DWORD
	v_lshlrev_b16_e32 v31, 8, v47
	v_lshlrev_b16_e32 v32, 8, v32
	v_or_b32_e32 v31, v46, v31
	v_or_b32_e32 v32, 1, v32
	v_and_b32_e32 v31, 0xffff, v31
	v_cndmask_b32_e64 v48, 0, 1, s[4:5]
	v_or_b32_sdwa v30, v32, v30 dst_sel:DWORD dst_unused:UNUSED_PAD src0_sel:WORD_0 src1_sel:DWORD
	v_lshl_or_b32 v31, v48, 16, v31
	v_cmp_ne_u32_e32 vcc, 0, v0
	s_waitcnt lgkmcnt(0)
	s_barrier
	s_waitcnt lgkmcnt(0)
                                        ; implicit-def: $sgpr18_sgpr19
                                        ; implicit-def: $vgpr34
	s_and_saveexec_b64 s[4:5], vcc
	s_cbranch_execz .LBB1600_335
; %bb.323:
	v_cmp_gt_u32_e32 vcc, s3, v1
	s_mov_b32 s33, 0x3020104
	s_mov_b64 s[14:15], 0
	s_and_saveexec_b64 s[12:13], vcc
	s_cbranch_execz .LBB1600_334
; %bb.324:
	s_andn2_b64 vcc, exec, s[6:7]
	s_cbranch_vccnz .LBB1600_333
; %bb.325:
	v_add_u32_e32 v31, -8, v44
	ds_read_b64 v[32:33], v31
	v_mul_lo_u32 v31, v23, s26
	v_mad_u64_u32 v[36:37], s[6:7], v22, s26, 0
	s_mov_b64 s[14:15], -1
	s_waitcnt lgkmcnt(0)
	v_mul_lo_u32 v34, v33, s26
	v_mul_lo_u32 v35, v32, s27
	v_mad_u64_u32 v[32:33], s[6:7], v32, s26, 0
	v_add3_u32 v33, v33, v35, v34
	v_mul_lo_u32 v34, v22, s27
	v_add3_u32 v37, v37, v34, v31
	v_lshl_add_u64 v[34:35], v[32:33], 2, s[28:29]
	v_lshl_add_u64 v[32:33], v[36:37], 2, s[28:29]
	global_load_dword v31, v[34:35], off
	global_load_dword v36, v[32:33], off
	s_waitcnt vmcnt(0)
	v_cmp_eq_u32_e32 vcc, v31, v36
	s_and_saveexec_b64 s[6:7], vcc
	s_cbranch_execz .LBB1600_332
; %bb.326:
	s_add_u32 s14, s26, -1
	v_lshl_add_u64 v[32:33], v[32:33], 0, 4
	v_lshl_add_u64 v[34:35], v[34:35], 0, 4
	s_addc_u32 s15, s27, -1
	s_mov_b64 s[18:19], 0
	s_mov_b64 s[36:37], 0
                                        ; implicit-def: $sgpr28_sgpr29
	s_branch .LBB1600_329
.LBB1600_327:                           ;   in Loop: Header=BB1600_329 Depth=1
	global_load_dword v31, v[34:35], off
	global_load_dword v36, v[32:33], off
	s_add_u32 s36, s36, 1
	s_addc_u32 s37, s37, 0
	s_andn2_b64 s[28:29], s[28:29], exec
	v_lshl_add_u64 v[32:33], v[32:33], 0, 4
	v_lshl_add_u64 v[34:35], v[34:35], 0, 4
	s_waitcnt vmcnt(0)
	v_cmp_ne_u32_e32 vcc, v31, v36
	s_and_b64 s[38:39], vcc, exec
	s_or_b64 s[28:29], s[28:29], s[38:39]
.LBB1600_328:                           ;   in Loop: Header=BB1600_329 Depth=1
	s_and_b64 s[38:39], exec, s[28:29]
	s_or_b64 s[18:19], s[38:39], s[18:19]
	v_mov_b64_e32 v[36:37], s[36:37]
	s_andn2_b64 exec, exec, s[18:19]
	s_cbranch_execz .LBB1600_331
.LBB1600_329:                           ; =>This Inner Loop Header: Depth=1
	s_or_b64 s[28:29], s[28:29], exec
	s_cmp_eq_u64 s[14:15], s[36:37]
	s_cbranch_scc0 .LBB1600_327
; %bb.330:                              ;   in Loop: Header=BB1600_329 Depth=1
                                        ; implicit-def: $vgpr32_vgpr33
                                        ; implicit-def: $vgpr34_vgpr35
	s_mov_b64 s[36:37], s[26:27]
	s_branch .LBB1600_328
.LBB1600_331:
	s_or_b64 exec, exec, s[18:19]
	v_cmp_gt_i64_e32 vcc, s[26:27], v[36:37]
	s_orn2_b64 s[14:15], vcc, exec
.LBB1600_332:
	s_or_b64 exec, exec, s[6:7]
.LBB1600_333:
	s_and_b64 s[14:15], s[14:15], exec
.LBB1600_334:
	s_or_b64 exec, exec, s[12:13]
	v_perm_b32 v34, v30, v30, s33
	s_and_b64 s[18:19], s[14:15], exec
	s_or_b64 s[10:11], s[10:11], exec
                                        ; implicit-def: $vgpr30_vgpr31
.LBB1600_335:
	s_or_b64 exec, exec, s[4:5]
.LBB1600_336:
	s_and_saveexec_b64 s[4:5], s[10:11]
	s_cbranch_execz .LBB1600_338
; %bb.337:
	s_waitcnt lgkmcnt(0)
	v_lshlrev_b16_e32 v31, 8, v47
	v_and_b32_e32 v32, 0xff, v48
	v_or_b32_sdwa v31, v46, v31 dst_sel:DWORD dst_unused:UNUSED_PAD src0_sel:BYTE_0 src1_sel:DWORD
	v_lshlrev_b32_e32 v32, 16, v32
	s_movk_i32 s6, 0xff
	v_or_b32_sdwa v31, v31, v32 dst_sel:DWORD dst_unused:UNUSED_PAD src0_sel:WORD_0 src1_sel:DWORD
	v_lshrrev_b32_e32 v32, 24, v34
	v_lshlrev_b16_e32 v32, 8, v32
	v_and_b32_sdwa v33, v34, s6 dst_sel:DWORD dst_unused:UNUSED_PAD src0_sel:WORD_1 src1_sel:DWORD
	v_or_b32_sdwa v32, v33, v32 dst_sel:WORD_1 dst_unused:UNUSED_PAD src0_sel:DWORD src1_sel:DWORD
	v_mov_b32_e32 v33, 8
	v_cndmask_b32_e64 v30, 0, 1, s[18:19]
	v_lshrrev_b32_sdwa v33, v33, v34 dst_sel:BYTE_1 dst_unused:UNUSED_PAD src0_sel:DWORD src1_sel:DWORD
	s_nop 0
	v_or_b32_e32 v30, v30, v33
	v_or_b32_sdwa v30, v30, v32 dst_sel:DWORD dst_unused:UNUSED_PAD src0_sel:WORD_0 src1_sel:DWORD
.LBB1600_338:
	s_or_b64 exec, exec, s[4:5]
	s_andn2_b64 vcc, exec, s[8:9]
	s_cbranch_vccnz .LBB1600_340
; %bb.339:
	s_waitcnt lgkmcnt(0)
	v_and_b32_e32 v32, 0xffff0000, v30
	v_cmp_gt_u32_e32 vcc, s3, v1
	s_mov_b32 s4, 0x40c0100
	s_nop 0
	v_cndmask_b32_e32 v1, v32, v30, vcc
	v_and_b32_e32 v1, 0xffff00ff, v1
	v_cmp_gt_u32_e32 vcc, s3, v41
	s_nop 1
	v_cndmask_b32_e32 v1, v1, v30, vcc
	v_lshrrev_b32_e32 v32, 24, v1
	v_perm_b32 v1, v32, v1, s4
	v_cmp_gt_u32_e32 vcc, s3, v38
	v_and_b32_e32 v32, 0xffffff00, v31
	s_nop 0
	v_cndmask_b32_e32 v1, v1, v30, vcc
	v_and_b32_e32 v1, 0xffffff, v1
	v_cmp_gt_u32_e32 vcc, s3, v42
	s_nop 1
	v_cndmask_b32_e32 v1, v1, v30, vcc
	v_cmp_gt_u32_e32 vcc, s3, v39
	s_nop 1
	v_cndmask_b32_e32 v32, v32, v31, vcc
	v_and_b32_e32 v32, 0xffff00ff, v32
	v_cndmask_b32_e32 v1, v1, v30, vcc
	v_cmp_gt_u32_e32 vcc, s3, v43
	s_nop 1
	v_cndmask_b32_e32 v32, v32, v31, vcc
	v_lshrrev_b32_e32 v33, 24, v32
	v_cndmask_b32_e32 v1, v1, v30, vcc
	v_perm_b32 v32, v33, v32, s4
	v_cmp_gt_u32_e32 vcc, s3, v40
	s_mov_b32 s3, 0x3020104
	s_nop 0
	v_cndmask_b32_e32 v1, v1, v30, vcc
	v_cndmask_b32_e32 v30, v32, v31, vcc
	v_mov_b32_e32 v31, 8
	v_lshrrev_b32_sdwa v31, v31, v30 dst_sel:BYTE_1 dst_unused:UNUSED_PAD src0_sel:DWORD src1_sel:DWORD
	s_nop 0
	v_or_b32_sdwa v31, v30, v31 dst_sel:DWORD dst_unused:UNUSED_PAD src0_sel:BYTE_0 src1_sel:DWORD
	v_and_b32_e32 v31, 0xffff, v31
	v_bfe_u32 v30, v30, 16, 8
	v_lshl_or_b32 v31, v30, 16, v31
	v_perm_b32 v30, v1, v1, s3
.LBB1600_340:
	s_waitcnt lgkmcnt(0)
	v_and_b32_e32 v1, 0xff, v30
	v_bfe_u32 v43, v30, 8, 8
	v_bfe_u32 v45, v30, 16, 8
	v_alignbit_b32 v32, v31, v30, 24
	v_and_b32_e32 v47, 0xff, v32
	v_and_b32_e32 v48, 0xff, v31
	v_add3_u32 v33, v43, v1, v45
	v_bfe_u32 v49, v31, 8, 8
	v_bfe_u32 v32, v31, 16, 8
	v_add3_u32 v33, v33, v47, v48
	v_add3_u32 v52, v33, v49, v32
	v_mbcnt_lo_u32_b32 v32, -1, 0
	v_mbcnt_hi_u32_b32 v50, -1, v32
	v_and_b32_e32 v32, 15, v50
	v_cmp_eq_u32_e64 s[14:15], 0, v32
	v_cmp_lt_u32_e64 s[12:13], 1, v32
	v_cmp_lt_u32_e64 s[10:11], 3, v32
	;; [unrolled: 1-line block ×3, first 2 shown]
	v_and_b32_e32 v32, 16, v50
	v_cmp_eq_u32_e64 s[6:7], 0, v32
	v_or_b32_e32 v32, 63, v0
	v_cmp_lt_u32_e64 s[18:19], 31, v50
	v_lshrrev_b32_e32 v51, 6, v0
	v_cmp_eq_u32_e64 s[4:5], v32, v0
	s_and_b64 vcc, exec, s[16:17]
	s_barrier
	s_cbranch_vccz .LBB1600_371
; %bb.341:
	v_mov_b32_dpp v32, v52 row_shr:1 row_mask:0xf bank_mask:0xf
	v_cndmask_b32_e64 v32, v32, 0, s[14:15]
	v_add_u32_e32 v32, v32, v52
	s_nop 1
	v_mov_b32_dpp v33, v32 row_shr:2 row_mask:0xf bank_mask:0xf
	v_cndmask_b32_e64 v33, 0, v33, s[12:13]
	v_add_u32_e32 v32, v32, v33
	s_nop 1
	;; [unrolled: 4-line block ×4, first 2 shown]
	v_mov_b32_dpp v33, v32 row_bcast:15 row_mask:0xf bank_mask:0xf
	v_cndmask_b32_e64 v33, v33, 0, s[6:7]
	v_add_u32_e32 v32, v32, v33
	s_nop 1
	v_mov_b32_dpp v33, v32 row_bcast:31 row_mask:0xf bank_mask:0xf
	v_cndmask_b32_e64 v33, 0, v33, s[18:19]
	v_add_u32_e32 v32, v32, v33
	s_and_saveexec_b64 s[16:17], s[4:5]
	s_cbranch_execz .LBB1600_343
; %bb.342:
	v_lshlrev_b32_e32 v33, 2, v51
	ds_write_b32 v33, v32
.LBB1600_343:
	s_or_b64 exec, exec, s[16:17]
	v_cmp_gt_u32_e32 vcc, 8, v0
	s_waitcnt lgkmcnt(0)
	s_barrier
	s_and_saveexec_b64 s[16:17], vcc
	s_cbranch_execz .LBB1600_345
; %bb.344:
	v_lshlrev_b32_e32 v33, 2, v0
	ds_read_b32 v34, v33
	v_and_b32_e32 v35, 7, v50
	v_cmp_ne_u32_e32 vcc, 0, v35
	s_waitcnt lgkmcnt(0)
	v_mov_b32_dpp v36, v34 row_shr:1 row_mask:0xf bank_mask:0xf
	v_cndmask_b32_e32 v36, 0, v36, vcc
	v_add_u32_e32 v34, v36, v34
	v_cmp_lt_u32_e32 vcc, 1, v35
	s_nop 0
	v_mov_b32_dpp v36, v34 row_shr:2 row_mask:0xf bank_mask:0xf
	v_cndmask_b32_e32 v36, 0, v36, vcc
	v_add_u32_e32 v34, v34, v36
	v_cmp_lt_u32_e32 vcc, 3, v35
	s_nop 0
	v_mov_b32_dpp v36, v34 row_shr:4 row_mask:0xf bank_mask:0xf
	v_cndmask_b32_e32 v35, 0, v36, vcc
	v_add_u32_e32 v34, v34, v35
	ds_write_b32 v33, v34
.LBB1600_345:
	s_or_b64 exec, exec, s[16:17]
	v_cmp_gt_u32_e32 vcc, 64, v0
	v_cmp_lt_u32_e64 s[16:17], 63, v0
	s_waitcnt lgkmcnt(0)
	s_barrier
	s_waitcnt lgkmcnt(0)
                                        ; implicit-def: $vgpr42
	s_and_saveexec_b64 s[26:27], s[16:17]
	s_cbranch_execz .LBB1600_347
; %bb.346:
	v_lshl_add_u32 v33, v51, 2, -4
	ds_read_b32 v42, v33
	s_waitcnt lgkmcnt(0)
	v_add_u32_e32 v32, v42, v32
.LBB1600_347:
	s_or_b64 exec, exec, s[26:27]
	v_add_u32_e32 v33, -1, v50
	v_and_b32_e32 v34, 64, v50
	v_cmp_lt_i32_e64 s[16:17], v33, v34
	s_nop 1
	v_cndmask_b32_e64 v33, v33, v50, s[16:17]
	v_lshlrev_b32_e32 v33, 2, v33
	ds_bpermute_b32 v44, v33, v32
	v_cmp_eq_u32_e64 s[16:17], 0, v50
	s_and_saveexec_b64 s[26:27], vcc
	s_cbranch_execz .LBB1600_370
; %bb.348:
	v_mov_b32_e32 v41, 0
	ds_read_b32 v32, v41 offset:28
	s_and_saveexec_b64 s[28:29], s[16:17]
	s_cbranch_execz .LBB1600_350
; %bb.349:
	s_add_i32 s36, s2, 64
	s_mov_b32 s37, 0
	s_lshl_b64 s[36:37], s[36:37], 3
	s_add_u32 s36, s30, s36
	v_mov_b32_e32 v33, 1
	s_addc_u32 s37, s31, s37
	s_waitcnt lgkmcnt(0)
	global_store_dwordx2 v41, v[32:33], s[36:37] sc1
.LBB1600_350:
	s_or_b64 exec, exec, s[28:29]
	v_xad_u32 v34, v50, -1, s2
	v_add_u32_e32 v40, 64, v34
	v_lshl_add_u64 v[36:37], v[40:41], 3, s[30:31]
	global_load_dwordx2 v[38:39], v[36:37], off sc1
	s_waitcnt vmcnt(0)
	v_cmp_eq_u16_sdwa s[36:37], v39, v41 src0_sel:BYTE_0 src1_sel:DWORD
	s_and_saveexec_b64 s[28:29], s[36:37]
	s_cbranch_execz .LBB1600_356
; %bb.351:
	s_mov_b32 s3, 1
	s_mov_b64 s[36:37], 0
	v_mov_b32_e32 v33, 0
.LBB1600_352:                           ; =>This Loop Header: Depth=1
                                        ;     Child Loop BB1600_353 Depth 2
	s_max_u32 s33, s3, 1
.LBB1600_353:                           ;   Parent Loop BB1600_352 Depth=1
                                        ; =>  This Inner Loop Header: Depth=2
	s_add_i32 s33, s33, -1
	s_cmp_eq_u32 s33, 0
	s_sleep 1
	s_cbranch_scc0 .LBB1600_353
; %bb.354:                              ;   in Loop: Header=BB1600_352 Depth=1
	global_load_dwordx2 v[38:39], v[36:37], off sc1
	s_cmp_lt_u32 s3, 32
	s_cselect_b64 s[38:39], -1, 0
	s_cmp_lg_u64 s[38:39], 0
	s_addc_u32 s3, s3, 0
	s_waitcnt vmcnt(0)
	v_cmp_ne_u16_sdwa s[38:39], v39, v33 src0_sel:BYTE_0 src1_sel:DWORD
	s_or_b64 s[36:37], s[38:39], s[36:37]
	s_andn2_b64 exec, exec, s[36:37]
	s_cbranch_execnz .LBB1600_352
; %bb.355:
	s_or_b64 exec, exec, s[36:37]
.LBB1600_356:
	s_or_b64 exec, exec, s[28:29]
	v_and_b32_e32 v46, 63, v50
	v_mov_b32_e32 v33, 2
	v_cmp_ne_u32_e32 vcc, 63, v46
	v_cmp_eq_u16_sdwa s[28:29], v39, v33 src0_sel:BYTE_0 src1_sel:DWORD
	v_lshlrev_b64 v[36:37], v50, -1
	v_addc_co_u32_e32 v41, vcc, 0, v50, vcc
	v_and_b32_e32 v35, s29, v37
	v_lshlrev_b32_e32 v53, 2, v41
	v_or_b32_e32 v35, 0x80000000, v35
	ds_bpermute_b32 v41, v53, v38
	v_and_b32_e32 v40, s28, v36
	v_ffbl_b32_e32 v35, v35
	v_add_u32_e32 v35, 32, v35
	v_ffbl_b32_e32 v40, v40
	v_min_u32_e32 v35, v40, v35
	v_cmp_lt_u32_e32 vcc, v46, v35
	v_add_u32_e32 v55, 2, v46
	v_add_u32_e32 v57, 4, v46
	s_waitcnt lgkmcnt(0)
	v_cndmask_b32_e32 v40, 0, v41, vcc
	v_cmp_gt_u32_e32 vcc, 62, v46
	v_add_u32_e32 v38, v40, v38
	v_add_u32_e32 v59, 8, v46
	v_cndmask_b32_e64 v40, 0, 1, vcc
	v_lshlrev_b32_e32 v40, 1, v40
	v_add_lshl_u32 v54, v40, v50, 2
	ds_bpermute_b32 v40, v54, v38
	v_cmp_le_u32_e32 vcc, v55, v35
	v_add_u32_e32 v62, 16, v46
	v_add_u32_e32 v64, 32, v46
	s_waitcnt lgkmcnt(0)
	v_cndmask_b32_e32 v40, 0, v40, vcc
	v_cmp_gt_u32_e32 vcc, 60, v46
	v_add_u32_e32 v38, v38, v40
	s_nop 0
	v_cndmask_b32_e64 v40, 0, 1, vcc
	v_lshlrev_b32_e32 v40, 2, v40
	v_add_lshl_u32 v56, v40, v50, 2
	ds_bpermute_b32 v40, v56, v38
	v_cmp_le_u32_e32 vcc, v57, v35
	s_waitcnt lgkmcnt(0)
	s_nop 0
	v_cndmask_b32_e32 v40, 0, v40, vcc
	v_cmp_gt_u32_e32 vcc, 56, v46
	v_add_u32_e32 v38, v38, v40
	s_nop 0
	v_cndmask_b32_e64 v40, 0, 1, vcc
	v_lshlrev_b32_e32 v40, 3, v40
	v_add_lshl_u32 v58, v40, v50, 2
	ds_bpermute_b32 v40, v58, v38
	v_cmp_le_u32_e32 vcc, v59, v35
	s_waitcnt lgkmcnt(0)
	s_nop 0
	;; [unrolled: 11-line block ×4, first 2 shown]
	v_cndmask_b32_e32 v35, 0, v40, vcc
	v_add_u32_e32 v38, v38, v35
	v_mov_b32_e32 v35, 0
	s_branch .LBB1600_358
.LBB1600_357:                           ;   in Loop: Header=BB1600_358 Depth=1
	s_or_b64 exec, exec, s[28:29]
	v_cmp_eq_u16_sdwa s[28:29], v39, v33 src0_sel:BYTE_0 src1_sel:DWORD
	ds_bpermute_b32 v65, v53, v38
	v_subrev_u32_e32 v34, 64, v34
	v_and_b32_e32 v40, s29, v37
	v_or_b32_e32 v40, 0x80000000, v40
	v_and_b32_e32 v41, s28, v36
	v_ffbl_b32_e32 v40, v40
	v_add_u32_e32 v40, 32, v40
	v_ffbl_b32_e32 v41, v41
	v_min_u32_e32 v40, v41, v40
	v_cmp_lt_u32_e32 vcc, v46, v40
	s_waitcnt lgkmcnt(0)
	s_nop 0
	v_cndmask_b32_e32 v41, 0, v65, vcc
	v_add_u32_e32 v38, v41, v38
	ds_bpermute_b32 v41, v54, v38
	v_cmp_le_u32_e32 vcc, v55, v40
	s_waitcnt lgkmcnt(0)
	s_nop 0
	v_cndmask_b32_e32 v41, 0, v41, vcc
	v_add_u32_e32 v38, v38, v41
	ds_bpermute_b32 v41, v56, v38
	v_cmp_le_u32_e32 vcc, v57, v40
	;; [unrolled: 6-line block ×5, first 2 shown]
	s_waitcnt lgkmcnt(0)
	s_nop 0
	v_cndmask_b32_e32 v40, 0, v41, vcc
	v_add3_u32 v38, v40, v60, v38
.LBB1600_358:                           ; =>This Loop Header: Depth=1
                                        ;     Child Loop BB1600_361 Depth 2
                                        ;       Child Loop BB1600_362 Depth 3
	v_cmp_ne_u16_sdwa s[28:29], v39, v33 src0_sel:BYTE_0 src1_sel:DWORD
	v_mov_b32_e32 v60, v38
	s_nop 0
	v_cndmask_b32_e64 v39, 0, 1, s[28:29]
	;;#ASMSTART
	;;#ASMEND
	s_nop 0
	v_cmp_ne_u32_e32 vcc, 0, v39
	s_cmp_lg_u64 vcc, exec
	s_cbranch_scc1 .LBB1600_365
; %bb.359:                              ;   in Loop: Header=BB1600_358 Depth=1
	v_lshl_add_u64 v[40:41], v[34:35], 3, s[30:31]
	global_load_dwordx2 v[38:39], v[40:41], off sc1
	s_waitcnt vmcnt(0)
	v_cmp_eq_u16_sdwa s[36:37], v39, v35 src0_sel:BYTE_0 src1_sel:DWORD
	s_and_saveexec_b64 s[28:29], s[36:37]
	s_cbranch_execz .LBB1600_357
; %bb.360:                              ;   in Loop: Header=BB1600_358 Depth=1
	s_mov_b32 s3, 1
	s_mov_b64 s[36:37], 0
.LBB1600_361:                           ;   Parent Loop BB1600_358 Depth=1
                                        ; =>  This Loop Header: Depth=2
                                        ;       Child Loop BB1600_362 Depth 3
	s_max_u32 s33, s3, 1
.LBB1600_362:                           ;   Parent Loop BB1600_358 Depth=1
                                        ;     Parent Loop BB1600_361 Depth=2
                                        ; =>    This Inner Loop Header: Depth=3
	s_add_i32 s33, s33, -1
	s_cmp_eq_u32 s33, 0
	s_sleep 1
	s_cbranch_scc0 .LBB1600_362
; %bb.363:                              ;   in Loop: Header=BB1600_361 Depth=2
	global_load_dwordx2 v[38:39], v[40:41], off sc1
	s_cmp_lt_u32 s3, 32
	s_cselect_b64 s[38:39], -1, 0
	s_cmp_lg_u64 s[38:39], 0
	s_addc_u32 s3, s3, 0
	s_waitcnt vmcnt(0)
	v_cmp_ne_u16_sdwa s[38:39], v39, v35 src0_sel:BYTE_0 src1_sel:DWORD
	s_or_b64 s[36:37], s[38:39], s[36:37]
	s_andn2_b64 exec, exec, s[36:37]
	s_cbranch_execnz .LBB1600_361
; %bb.364:                              ;   in Loop: Header=BB1600_358 Depth=1
	s_or_b64 exec, exec, s[36:37]
	s_branch .LBB1600_357
.LBB1600_365:                           ;   in Loop: Header=BB1600_358 Depth=1
                                        ; implicit-def: $vgpr38
                                        ; implicit-def: $vgpr39
	s_cbranch_execz .LBB1600_358
; %bb.366:
	s_and_saveexec_b64 s[28:29], s[16:17]
	s_cbranch_execz .LBB1600_368
; %bb.367:
	s_add_i32 s2, s2, 64
	s_mov_b32 s3, 0
	s_lshl_b64 s[2:3], s[2:3], 3
	s_add_u32 s2, s30, s2
	v_add_u32_e32 v34, v60, v32
	v_mov_b32_e32 v35, 2
	s_addc_u32 s3, s31, s3
	v_mov_b32_e32 v33, 0
	global_store_dwordx2 v33, v[34:35], s[2:3] sc1
	s_movk_i32 s2, 0x7000
	v_add_u32_e64 v33, s2, 0
	ds_write2_b32 v33, v32, v60 offset1:2
.LBB1600_368:
	s_or_b64 exec, exec, s[28:29]
	v_cmp_eq_u32_e32 vcc, 0, v0
	s_and_b64 exec, exec, vcc
	s_cbranch_execz .LBB1600_370
; %bb.369:
	v_mov_b32_e32 v32, 0
	ds_write_b32 v32, v60 offset:28
.LBB1600_370:
	s_or_b64 exec, exec, s[26:27]
	v_mov_b32_e32 v32, 0
	s_waitcnt lgkmcnt(0)
	s_barrier
	ds_read_b32 v32, v32 offset:28
	v_cndmask_b32_e64 v33, v44, v42, s[16:17]
	v_cmp_ne_u32_e32 vcc, 0, v0
	s_movk_i32 s2, 0x7000
	s_waitcnt lgkmcnt(0)
	v_cndmask_b32_e32 v33, 0, v33, vcc
	v_add_u32_e32 v46, v32, v33
	v_add_u32_e64 v32, s2, 0
	v_add_u32_e32 v44, v46, v1
	s_barrier
	ds_read2_b32 v[32:33], v32 offset1:2
	v_add_u32_e32 v42, v44, v43
	v_add_u32_e32 v40, v42, v45
	;; [unrolled: 1-line block ×5, first 2 shown]
	s_waitcnt lgkmcnt(0)
	v_readfirstlane_b32 s26, v32
	v_readfirstlane_b32 s16, v33
	v_lshrrev_b64 v[32:33], 24, v[30:31]
	s_branch .LBB1600_381
.LBB1600_371:
                                        ; implicit-def: $vgpr34
                                        ; implicit-def: $vgpr36
                                        ; implicit-def: $vgpr38
                                        ; implicit-def: $vgpr40
                                        ; implicit-def: $vgpr42
                                        ; implicit-def: $vgpr44
                                        ; implicit-def: $vgpr46
                                        ; implicit-def: $sgpr16
                                        ; implicit-def: $sgpr26
	v_lshrrev_b64 v[32:33], 24, v[30:31]
	s_cbranch_execz .LBB1600_381
; %bb.372:
	s_nop 0
	v_mov_b32_dpp v33, v52 row_shr:1 row_mask:0xf bank_mask:0xf
	v_cndmask_b32_e64 v33, v33, 0, s[14:15]
	v_add_u32_e32 v33, v33, v52
	s_nop 1
	v_mov_b32_dpp v34, v33 row_shr:2 row_mask:0xf bank_mask:0xf
	v_cndmask_b32_e64 v34, 0, v34, s[12:13]
	v_add_u32_e32 v33, v33, v34
	;; [unrolled: 4-line block ×4, first 2 shown]
	s_nop 1
	v_mov_b32_dpp v34, v33 row_bcast:15 row_mask:0xf bank_mask:0xf
	v_cndmask_b32_e64 v34, v34, 0, s[6:7]
	v_add_u32_e32 v33, v33, v34
	s_nop 1
	v_mov_b32_dpp v34, v33 row_bcast:31 row_mask:0xf bank_mask:0xf
	v_cndmask_b32_e64 v34, 0, v34, s[18:19]
	v_add_u32_e32 v33, v33, v34
	s_and_saveexec_b64 s[2:3], s[4:5]
	s_cbranch_execz .LBB1600_374
; %bb.373:
	v_lshlrev_b32_e32 v34, 2, v51
	ds_write_b32 v34, v33
.LBB1600_374:
	s_or_b64 exec, exec, s[2:3]
	v_cmp_gt_u32_e32 vcc, 8, v0
	s_waitcnt lgkmcnt(0)
	s_barrier
	s_and_saveexec_b64 s[2:3], vcc
	s_cbranch_execz .LBB1600_376
; %bb.375:
	v_lshlrev_b32_e32 v34, 2, v0
	ds_read_b32 v35, v34
	v_and_b32_e32 v36, 7, v50
	v_cmp_ne_u32_e32 vcc, 0, v36
	s_waitcnt lgkmcnt(0)
	v_mov_b32_dpp v37, v35 row_shr:1 row_mask:0xf bank_mask:0xf
	v_cndmask_b32_e32 v37, 0, v37, vcc
	v_add_u32_e32 v35, v37, v35
	v_cmp_lt_u32_e32 vcc, 1, v36
	s_nop 0
	v_mov_b32_dpp v37, v35 row_shr:2 row_mask:0xf bank_mask:0xf
	v_cndmask_b32_e32 v37, 0, v37, vcc
	v_add_u32_e32 v35, v35, v37
	v_cmp_lt_u32_e32 vcc, 3, v36
	s_nop 0
	v_mov_b32_dpp v37, v35 row_shr:4 row_mask:0xf bank_mask:0xf
	v_cndmask_b32_e32 v36, 0, v37, vcc
	v_add_u32_e32 v35, v35, v36
	ds_write_b32 v34, v35
.LBB1600_376:
	s_or_b64 exec, exec, s[2:3]
	v_cmp_lt_u32_e32 vcc, 63, v0
	v_mov_b32_e32 v35, 0
	v_mov_b32_e32 v34, 0
	s_waitcnt lgkmcnt(0)
	s_barrier
	s_and_saveexec_b64 s[2:3], vcc
	s_cbranch_execz .LBB1600_378
; %bb.377:
	v_lshl_add_u32 v34, v51, 2, -4
	ds_read_b32 v34, v34
.LBB1600_378:
	s_or_b64 exec, exec, s[2:3]
	v_add_u32_e32 v36, -1, v50
	v_and_b32_e32 v37, 64, v50
	v_cmp_lt_i32_e32 vcc, v36, v37
	s_waitcnt lgkmcnt(0)
	v_add_u32_e32 v33, v34, v33
	ds_read_b32 v35, v35 offset:28
	v_cndmask_b32_e32 v36, v36, v50, vcc
	v_lshlrev_b32_e32 v36, 2, v36
	ds_bpermute_b32 v33, v36, v33
	s_mov_b32 s16, 0
	v_cmp_eq_u32_e32 vcc, 0, v0
	s_waitcnt lgkmcnt(1)
	v_readfirstlane_b32 s26, v35
	s_and_saveexec_b64 s[2:3], vcc
	s_cbranch_execz .LBB1600_380
; %bb.379:
	v_mov_b32_e32 v35, 0
	v_mov_b32_e32 v36, s26
	;; [unrolled: 1-line block ×3, first 2 shown]
	global_store_dwordx2 v35, v[36:37], s[30:31] offset:512 sc1
.LBB1600_380:
	s_or_b64 exec, exec, s[2:3]
	v_cmp_eq_u32_e64 s[2:3], 0, v50
	s_waitcnt lgkmcnt(0)
	s_barrier
	v_cndmask_b32_e64 v33, v33, v34, s[2:3]
	v_cndmask_b32_e64 v46, v33, 0, vcc
	v_add_u32_e32 v44, v46, v1
	v_add_u32_e32 v42, v44, v43
	v_add_u32_e32 v40, v42, v45
	v_add_u32_e32 v38, v40, v47
	v_add_u32_e32 v36, v38, v48
	v_add_u32_e32 v34, v36, v49
.LBB1600_381:
	s_load_dwordx4 s[4:7], s[0:1], 0x28
	s_cmpk_lt_u32 s26, 0x201
	s_cselect_b64 s[2:3], -1, 0
	v_lshrrev_b32_e32 v33, 8, v30
	v_lshrrev_b32_e32 v1, 8, v31
	s_mov_b64 s[0:1], -1
	s_and_b64 vcc, exec, s[2:3]
	s_cbranch_vccz .LBB1600_404
; %bb.382:
	s_add_i32 s8, s16, s26
	v_cmp_gt_u32_e32 vcc, s8, v46
	s_or_b64 s[10:11], s[34:35], vcc
	s_and_saveexec_b64 s[0:1], s[10:11]
	s_cbranch_execz .LBB1600_385
; %bb.383:
	v_and_b32_e32 v35, 1, v30
	v_cmp_eq_u32_e32 vcc, 1, v35
	s_and_b64 exec, exec, vcc
	s_cbranch_execz .LBB1600_385
; %bb.384:
	s_lshl_b64 s[10:11], s[22:23], 3
	s_waitcnt lgkmcnt(0)
	s_add_u32 s10, s4, s10
	s_addc_u32 s11, s5, s11
	v_mov_b32_e32 v47, 0
	v_lshl_add_u64 v[48:49], v[46:47], 3, s[10:11]
	global_store_dwordx2 v[48:49], v[22:23], off
.LBB1600_385:
	s_or_b64 exec, exec, s[0:1]
	v_cmp_gt_u32_e32 vcc, s8, v44
	s_or_b64 s[10:11], s[34:35], vcc
	s_and_saveexec_b64 s[0:1], s[10:11]
	s_cbranch_execz .LBB1600_388
; %bb.386:
	v_and_b32_e32 v35, 1, v33
	v_cmp_eq_u32_e32 vcc, 1, v35
	s_and_b64 exec, exec, vcc
	s_cbranch_execz .LBB1600_388
; %bb.387:
	s_lshl_b64 s[10:11], s[22:23], 3
	s_waitcnt lgkmcnt(0)
	s_add_u32 s10, s4, s10
	s_addc_u32 s11, s5, s11
	v_mov_b32_e32 v45, 0
	v_lshl_add_u64 v[48:49], v[44:45], 3, s[10:11]
	global_store_dwordx2 v[48:49], v[24:25], off
.LBB1600_388:
	s_or_b64 exec, exec, s[0:1]
	v_cmp_gt_u32_e32 vcc, s8, v42
	s_or_b64 s[10:11], s[34:35], vcc
	s_and_saveexec_b64 s[0:1], s[10:11]
	s_cbranch_execz .LBB1600_391
; %bb.389:
	v_mov_b32_e32 v35, 1
	v_and_b32_sdwa v35, v35, v30 dst_sel:DWORD dst_unused:UNUSED_PAD src0_sel:DWORD src1_sel:WORD_1
	v_cmp_eq_u32_e32 vcc, 1, v35
	s_and_b64 exec, exec, vcc
	s_cbranch_execz .LBB1600_391
; %bb.390:
	s_lshl_b64 s[10:11], s[22:23], 3
	s_waitcnt lgkmcnt(0)
	s_add_u32 s10, s4, s10
	s_addc_u32 s11, s5, s11
	v_mov_b32_e32 v43, 0
	v_lshl_add_u64 v[48:49], v[42:43], 3, s[10:11]
	global_store_dwordx2 v[48:49], v[18:19], off
.LBB1600_391:
	s_or_b64 exec, exec, s[0:1]
	v_cmp_gt_u32_e32 vcc, s8, v40
	s_or_b64 s[10:11], s[34:35], vcc
	s_and_saveexec_b64 s[0:1], s[10:11]
	s_cbranch_execz .LBB1600_394
; %bb.392:
	v_and_b32_e32 v35, 1, v32
	v_cmp_eq_u32_e32 vcc, 1, v35
	s_and_b64 exec, exec, vcc
	s_cbranch_execz .LBB1600_394
; %bb.393:
	s_lshl_b64 s[10:11], s[22:23], 3
	s_waitcnt lgkmcnt(0)
	s_add_u32 s10, s4, s10
	s_addc_u32 s11, s5, s11
	v_mov_b32_e32 v41, 0
	v_lshl_add_u64 v[48:49], v[40:41], 3, s[10:11]
	global_store_dwordx2 v[48:49], v[20:21], off
.LBB1600_394:
	s_or_b64 exec, exec, s[0:1]
	v_cmp_gt_u32_e32 vcc, s8, v38
	s_or_b64 s[10:11], s[34:35], vcc
	s_and_saveexec_b64 s[0:1], s[10:11]
	s_cbranch_execz .LBB1600_397
; %bb.395:
	v_and_b32_e32 v35, 1, v31
	v_cmp_eq_u32_e32 vcc, 1, v35
	s_and_b64 exec, exec, vcc
	s_cbranch_execz .LBB1600_397
; %bb.396:
	s_lshl_b64 s[10:11], s[22:23], 3
	s_waitcnt lgkmcnt(0)
	s_add_u32 s10, s4, s10
	s_addc_u32 s11, s5, s11
	v_mov_b32_e32 v39, 0
	v_lshl_add_u64 v[48:49], v[38:39], 3, s[10:11]
	global_store_dwordx2 v[48:49], v[14:15], off
.LBB1600_397:
	;; [unrolled: 19-line block ×3, first 2 shown]
	s_or_b64 exec, exec, s[0:1]
	v_cmp_gt_u32_e32 vcc, s8, v34
	s_or_b64 s[8:9], s[34:35], vcc
	s_and_saveexec_b64 s[0:1], s[8:9]
	s_cbranch_execz .LBB1600_403
; %bb.401:
	v_mov_b32_e32 v35, 1
	v_and_b32_sdwa v35, v35, v31 dst_sel:DWORD dst_unused:UNUSED_PAD src0_sel:DWORD src1_sel:WORD_1
	v_cmp_eq_u32_e32 vcc, 1, v35
	s_and_b64 exec, exec, vcc
	s_cbranch_execz .LBB1600_403
; %bb.402:
	s_lshl_b64 s[8:9], s[22:23], 3
	s_waitcnt lgkmcnt(0)
	s_add_u32 s8, s4, s8
	s_addc_u32 s9, s5, s9
	v_mov_b32_e32 v35, 0
	v_lshl_add_u64 v[48:49], v[34:35], 3, s[8:9]
	global_store_dwordx2 v[48:49], v[28:29], off
.LBB1600_403:
	s_or_b64 exec, exec, s[0:1]
	s_mov_b64 s[0:1], 0
.LBB1600_404:
	v_and_b32_e32 v48, 1, v30
	s_and_b64 vcc, exec, s[0:1]
	v_cmp_eq_u32_e64 s[0:1], 1, v48
	s_cbranch_vccz .LBB1600_423
; %bb.405:
	s_and_saveexec_b64 s[8:9], s[0:1]
	s_cbranch_execz .LBB1600_407
; %bb.406:
	v_subrev_u32_e32 v35, s16, v46
	v_lshlrev_b32_e32 v35, 3, v35
	ds_write_b64 v35, v[22:23]
.LBB1600_407:
	s_or_b64 exec, exec, s[8:9]
	v_and_b32_e32 v22, 1, v33
	v_cmp_eq_u32_e32 vcc, 1, v22
	s_and_saveexec_b64 s[0:1], vcc
	s_cbranch_execz .LBB1600_409
; %bb.408:
	v_subrev_u32_e32 v22, s16, v44
	v_lshlrev_b32_e32 v22, 3, v22
	ds_write_b64 v22, v[24:25]
.LBB1600_409:
	s_or_b64 exec, exec, s[0:1]
	v_mov_b32_e32 v22, 1
	v_and_b32_sdwa v22, v22, v30 dst_sel:DWORD dst_unused:UNUSED_PAD src0_sel:DWORD src1_sel:WORD_1
	v_cmp_eq_u32_e32 vcc, 1, v22
	s_and_saveexec_b64 s[0:1], vcc
	s_cbranch_execz .LBB1600_411
; %bb.410:
	v_subrev_u32_e32 v22, s16, v42
	v_lshlrev_b32_e32 v22, 3, v22
	ds_write_b64 v22, v[18:19]
.LBB1600_411:
	s_or_b64 exec, exec, s[0:1]
	v_and_b32_e32 v18, 1, v32
	v_cmp_eq_u32_e32 vcc, 1, v18
	s_and_saveexec_b64 s[0:1], vcc
	s_cbranch_execz .LBB1600_413
; %bb.412:
	v_subrev_u32_e32 v18, s16, v40
	v_lshlrev_b32_e32 v18, 3, v18
	ds_write_b64 v18, v[20:21]
.LBB1600_413:
	s_or_b64 exec, exec, s[0:1]
	v_and_b32_e32 v18, 1, v31
	;; [unrolled: 10-line block ×3, first 2 shown]
	v_cmp_eq_u32_e32 vcc, 1, v14
	s_and_saveexec_b64 s[0:1], vcc
	s_cbranch_execz .LBB1600_417
; %bb.416:
	v_subrev_u32_e32 v14, s16, v36
	v_lshlrev_b32_e32 v14, 3, v14
	ds_write_b64 v14, v[16:17]
.LBB1600_417:
	s_or_b64 exec, exec, s[0:1]
	v_mov_b32_e32 v14, 1
	v_and_b32_sdwa v14, v14, v31 dst_sel:DWORD dst_unused:UNUSED_PAD src0_sel:DWORD src1_sel:WORD_1
	v_cmp_eq_u32_e32 vcc, 1, v14
	s_and_saveexec_b64 s[0:1], vcc
	s_cbranch_execz .LBB1600_419
; %bb.418:
	v_subrev_u32_e32 v14, s16, v34
	v_lshlrev_b32_e32 v14, 3, v14
	ds_write_b64 v14, v[28:29]
.LBB1600_419:
	s_or_b64 exec, exec, s[0:1]
	v_cmp_gt_u32_e32 vcc, s26, v0
	s_waitcnt lgkmcnt(0)
	s_barrier
	s_and_saveexec_b64 s[0:1], vcc
	s_cbranch_execz .LBB1600_422
; %bb.420:
	s_mov_b32 s17, 0
	s_lshl_b64 s[8:9], s[22:23], 3
	s_lshl_b64 s[10:11], s[16:17], 3
	s_add_u32 s8, s8, s10
	s_addc_u32 s9, s9, s11
	s_add_u32 s4, s4, s8
	v_lshlrev_b32_e32 v14, 3, v0
	v_mov_b32_e32 v15, 0
	s_addc_u32 s5, s5, s9
	v_lshl_add_u64 v[16:17], s[4:5], 0, v[14:15]
	s_mov_b64 s[4:5], 0
	s_mov_b64 s[8:9], 0x1000
	v_mov_b32_e32 v15, v0
.LBB1600_421:                           ; =>This Inner Loop Header: Depth=1
	ds_read_b64 v[18:19], v14
	v_add_u32_e32 v15, 0x200, v15
	v_cmp_le_u32_e32 vcc, s26, v15
	v_add_u32_e32 v14, 0x1000, v14
	s_or_b64 s[4:5], vcc, s[4:5]
	s_waitcnt lgkmcnt(0)
	global_store_dwordx2 v[16:17], v[18:19], off
	v_lshl_add_u64 v[16:17], v[16:17], 0, s[8:9]
	s_andn2_b64 exec, exec, s[4:5]
	s_cbranch_execnz .LBB1600_421
.LBB1600_422:
	s_or_b64 exec, exec, s[0:1]
.LBB1600_423:
	s_mov_b64 s[0:1], -1
	s_and_b64 vcc, exec, s[2:3]
	s_waitcnt lgkmcnt(0)
	s_barrier
	s_cbranch_vccnz .LBB1600_427
; %bb.424:
	s_and_b64 vcc, exec, s[0:1]
	s_cbranch_vccnz .LBB1600_449
.LBB1600_425:
	v_cmp_eq_u32_e32 vcc, 0, v0
	s_and_b64 s[0:1], vcc, s[24:25]
	s_and_saveexec_b64 s[2:3], s[0:1]
	s_cbranch_execnz .LBB1600_467
.LBB1600_426:
	s_endpgm
.LBB1600_427:
	s_add_i32 s2, s16, s26
	v_cmp_gt_u32_e32 vcc, s2, v46
	s_or_b64 s[4:5], s[34:35], vcc
	s_and_saveexec_b64 s[0:1], s[4:5]
	s_cbranch_execz .LBB1600_430
; %bb.428:
	v_cmp_eq_u32_e32 vcc, 1, v48
	s_and_b64 exec, exec, vcc
	s_cbranch_execz .LBB1600_430
; %bb.429:
	s_lshl_b64 s[4:5], s[22:23], 3
	s_add_u32 s4, s6, s4
	s_addc_u32 s5, s7, s5
	v_mov_b32_e32 v47, 0
	v_lshl_add_u64 v[14:15], v[46:47], 3, s[4:5]
	global_store_dwordx2 v[14:15], v[10:11], off
.LBB1600_430:
	s_or_b64 exec, exec, s[0:1]
	v_cmp_gt_u32_e32 vcc, s2, v44
	s_or_b64 s[4:5], s[34:35], vcc
	s_and_saveexec_b64 s[0:1], s[4:5]
	s_cbranch_execz .LBB1600_433
; %bb.431:
	v_and_b32_e32 v14, 1, v33
	v_cmp_eq_u32_e32 vcc, 1, v14
	s_and_b64 exec, exec, vcc
	s_cbranch_execz .LBB1600_433
; %bb.432:
	s_lshl_b64 s[4:5], s[22:23], 3
	s_add_u32 s4, s6, s4
	s_addc_u32 s5, s7, s5
	v_mov_b32_e32 v45, 0
	v_lshl_add_u64 v[14:15], v[44:45], 3, s[4:5]
	global_store_dwordx2 v[14:15], v[12:13], off
.LBB1600_433:
	s_or_b64 exec, exec, s[0:1]
	v_cmp_gt_u32_e32 vcc, s2, v42
	s_or_b64 s[4:5], s[34:35], vcc
	s_and_saveexec_b64 s[0:1], s[4:5]
	s_cbranch_execz .LBB1600_436
; %bb.434:
	v_mov_b32_e32 v14, 1
	v_and_b32_sdwa v14, v14, v30 dst_sel:DWORD dst_unused:UNUSED_PAD src0_sel:DWORD src1_sel:WORD_1
	v_cmp_eq_u32_e32 vcc, 1, v14
	s_and_b64 exec, exec, vcc
	s_cbranch_execz .LBB1600_436
; %bb.435:
	s_lshl_b64 s[4:5], s[22:23], 3
	s_add_u32 s4, s6, s4
	s_addc_u32 s5, s7, s5
	v_mov_b32_e32 v43, 0
	v_lshl_add_u64 v[14:15], v[42:43], 3, s[4:5]
	global_store_dwordx2 v[14:15], v[6:7], off
.LBB1600_436:
	s_or_b64 exec, exec, s[0:1]
	v_cmp_gt_u32_e32 vcc, s2, v40
	s_or_b64 s[4:5], s[34:35], vcc
	s_and_saveexec_b64 s[0:1], s[4:5]
	s_cbranch_execz .LBB1600_439
; %bb.437:
	v_and_b32_e32 v14, 1, v32
	v_cmp_eq_u32_e32 vcc, 1, v14
	s_and_b64 exec, exec, vcc
	s_cbranch_execz .LBB1600_439
; %bb.438:
	s_lshl_b64 s[4:5], s[22:23], 3
	s_add_u32 s4, s6, s4
	s_addc_u32 s5, s7, s5
	v_mov_b32_e32 v41, 0
	v_lshl_add_u64 v[14:15], v[40:41], 3, s[4:5]
	global_store_dwordx2 v[14:15], v[8:9], off
.LBB1600_439:
	s_or_b64 exec, exec, s[0:1]
	v_cmp_gt_u32_e32 vcc, s2, v38
	s_or_b64 s[4:5], s[34:35], vcc
	s_and_saveexec_b64 s[0:1], s[4:5]
	s_cbranch_execz .LBB1600_442
; %bb.440:
	v_and_b32_e32 v14, 1, v31
	v_cmp_eq_u32_e32 vcc, 1, v14
	s_and_b64 exec, exec, vcc
	s_cbranch_execz .LBB1600_442
; %bb.441:
	s_lshl_b64 s[4:5], s[22:23], 3
	s_add_u32 s4, s6, s4
	s_addc_u32 s5, s7, s5
	v_mov_b32_e32 v39, 0
	v_lshl_add_u64 v[14:15], v[38:39], 3, s[4:5]
	global_store_dwordx2 v[14:15], v[2:3], off
.LBB1600_442:
	;; [unrolled: 18-line block ×3, first 2 shown]
	s_or_b64 exec, exec, s[0:1]
	v_cmp_gt_u32_e32 vcc, s2, v34
	s_or_b64 s[2:3], s[34:35], vcc
	s_and_saveexec_b64 s[0:1], s[2:3]
	s_cbranch_execz .LBB1600_448
; %bb.446:
	v_mov_b32_e32 v14, 1
	v_and_b32_sdwa v14, v14, v31 dst_sel:DWORD dst_unused:UNUSED_PAD src0_sel:DWORD src1_sel:WORD_1
	v_cmp_eq_u32_e32 vcc, 1, v14
	s_and_b64 exec, exec, vcc
	s_cbranch_execz .LBB1600_448
; %bb.447:
	s_lshl_b64 s[2:3], s[22:23], 3
	s_add_u32 s2, s6, s2
	s_addc_u32 s3, s7, s3
	v_mov_b32_e32 v35, 0
	v_lshl_add_u64 v[14:15], v[34:35], 3, s[2:3]
	global_store_dwordx2 v[14:15], v[26:27], off
.LBB1600_448:
	s_or_b64 exec, exec, s[0:1]
	s_branch .LBB1600_425
.LBB1600_449:
	v_cmp_eq_u32_e32 vcc, 1, v48
	s_and_saveexec_b64 s[0:1], vcc
	s_cbranch_execz .LBB1600_451
; %bb.450:
	v_subrev_u32_e32 v14, s16, v46
	v_lshlrev_b32_e32 v14, 3, v14
	ds_write_b64 v14, v[10:11]
.LBB1600_451:
	s_or_b64 exec, exec, s[0:1]
	v_and_b32_e32 v10, 1, v33
	v_cmp_eq_u32_e32 vcc, 1, v10
	s_and_saveexec_b64 s[0:1], vcc
	s_cbranch_execz .LBB1600_453
; %bb.452:
	v_subrev_u32_e32 v10, s16, v44
	v_lshlrev_b32_e32 v10, 3, v10
	ds_write_b64 v10, v[12:13]
.LBB1600_453:
	s_or_b64 exec, exec, s[0:1]
	v_mov_b32_e32 v10, 1
	v_and_b32_sdwa v10, v10, v30 dst_sel:DWORD dst_unused:UNUSED_PAD src0_sel:DWORD src1_sel:WORD_1
	v_cmp_eq_u32_e32 vcc, 1, v10
	s_and_saveexec_b64 s[0:1], vcc
	s_cbranch_execz .LBB1600_455
; %bb.454:
	v_subrev_u32_e32 v10, s16, v42
	v_lshlrev_b32_e32 v10, 3, v10
	ds_write_b64 v10, v[6:7]
.LBB1600_455:
	s_or_b64 exec, exec, s[0:1]
	v_and_b32_e32 v6, 1, v32
	v_cmp_eq_u32_e32 vcc, 1, v6
	s_and_saveexec_b64 s[0:1], vcc
	s_cbranch_execz .LBB1600_457
; %bb.456:
	v_subrev_u32_e32 v6, s16, v40
	v_lshlrev_b32_e32 v6, 3, v6
	ds_write_b64 v6, v[8:9]
.LBB1600_457:
	s_or_b64 exec, exec, s[0:1]
	v_and_b32_e32 v6, 1, v31
	;; [unrolled: 10-line block ×3, first 2 shown]
	v_cmp_eq_u32_e32 vcc, 1, v1
	s_and_saveexec_b64 s[0:1], vcc
	s_cbranch_execz .LBB1600_461
; %bb.460:
	v_subrev_u32_e32 v1, s16, v36
	v_lshlrev_b32_e32 v1, 3, v1
	ds_write_b64 v1, v[4:5]
.LBB1600_461:
	s_or_b64 exec, exec, s[0:1]
	v_mov_b32_e32 v1, 1
	v_and_b32_sdwa v1, v1, v31 dst_sel:DWORD dst_unused:UNUSED_PAD src0_sel:DWORD src1_sel:WORD_1
	v_cmp_eq_u32_e32 vcc, 1, v1
	s_and_saveexec_b64 s[0:1], vcc
	s_cbranch_execz .LBB1600_463
; %bb.462:
	v_subrev_u32_e32 v1, s16, v34
	v_lshlrev_b32_e32 v1, 3, v1
	ds_write_b64 v1, v[26:27]
.LBB1600_463:
	s_or_b64 exec, exec, s[0:1]
	v_cmp_gt_u32_e32 vcc, s26, v0
	s_waitcnt lgkmcnt(0)
	s_barrier
	s_and_saveexec_b64 s[0:1], vcc
	s_cbranch_execz .LBB1600_466
; %bb.464:
	s_mov_b32 s17, 0
	s_lshl_b64 s[2:3], s[22:23], 3
	s_lshl_b64 s[4:5], s[16:17], 3
	s_add_u32 s2, s2, s4
	s_addc_u32 s3, s3, s5
	s_add_u32 s2, s6, s2
	v_lshlrev_b32_e32 v2, 3, v0
	v_mov_b32_e32 v3, 0
	s_addc_u32 s3, s7, s3
	v_lshl_add_u64 v[4:5], s[2:3], 0, v[2:3]
	s_mov_b64 s[2:3], 0
	s_mov_b64 s[4:5], 0x1000
	v_mov_b32_e32 v1, v0
.LBB1600_465:                           ; =>This Inner Loop Header: Depth=1
	ds_read_b64 v[6:7], v2
	v_add_u32_e32 v1, 0x200, v1
	v_cmp_le_u32_e32 vcc, s26, v1
	v_add_u32_e32 v2, 0x1000, v2
	s_or_b64 s[2:3], vcc, s[2:3]
	s_waitcnt lgkmcnt(0)
	global_store_dwordx2 v[4:5], v[6:7], off
	v_lshl_add_u64 v[4:5], v[4:5], 0, s[4:5]
	s_andn2_b64 exec, exec, s[2:3]
	s_cbranch_execnz .LBB1600_465
.LBB1600_466:
	s_or_b64 exec, exec, s[0:1]
	v_cmp_eq_u32_e32 vcc, 0, v0
	s_and_b64 s[0:1], vcc, s[24:25]
	s_and_saveexec_b64 s[2:3], s[0:1]
	s_cbranch_execz .LBB1600_426
.LBB1600_467:
	s_add_u32 s0, s22, s26
	s_addc_u32 s1, s23, 0
	s_add_u32 s0, s0, s16
	s_addc_u32 s1, s1, 0
	v_mov_b32_e32 v2, 0
	v_mov_b64_e32 v[0:1], s[0:1]
	global_store_dwordx2 v2, v[0:1], s[20:21]
	s_endpgm
	.section	.rodata,"a",@progbits
	.p2align	6, 0x0
	.amdhsa_kernel _ZN7rocprim17ROCPRIM_400000_NS6detail17trampoline_kernelINS0_14default_configENS1_25partition_config_selectorILNS1_17partition_subalgoE9EllbEEZZNS1_14partition_implILS5_9ELb0ES3_jPlS8_PNS0_10empty_typeENS0_5tupleIJS8_S9_EEENSB_IJS8_SA_EEENS0_18inequality_wrapperIZN2at6native12_GLOBAL__N_124unique_dim_cuda_templateIjEESt5tupleIJNSF_6TensorESK_SK_EERKSK_lbbbEUlllE0_EEPmJS9_EEE10hipError_tPvRmT3_T4_T5_T6_T7_T9_mT8_P12ihipStream_tbDpT10_ENKUlT_T0_E_clISt17integral_constantIbLb1EES19_IbLb0EEEEDaS15_S16_EUlS15_E_NS1_11comp_targetILNS1_3genE5ELNS1_11target_archE942ELNS1_3gpuE9ELNS1_3repE0EEENS1_30default_config_static_selectorELNS0_4arch9wavefront6targetE1EEEvT1_
		.amdhsa_group_segment_fixed_size 28684
		.amdhsa_private_segment_fixed_size 0
		.amdhsa_kernarg_size 120
		.amdhsa_user_sgpr_count 2
		.amdhsa_user_sgpr_dispatch_ptr 0
		.amdhsa_user_sgpr_queue_ptr 0
		.amdhsa_user_sgpr_kernarg_segment_ptr 1
		.amdhsa_user_sgpr_dispatch_id 0
		.amdhsa_user_sgpr_kernarg_preload_length 0
		.amdhsa_user_sgpr_kernarg_preload_offset 0
		.amdhsa_user_sgpr_private_segment_size 0
		.amdhsa_uses_dynamic_stack 0
		.amdhsa_enable_private_segment 0
		.amdhsa_system_sgpr_workgroup_id_x 1
		.amdhsa_system_sgpr_workgroup_id_y 0
		.amdhsa_system_sgpr_workgroup_id_z 0
		.amdhsa_system_sgpr_workgroup_info 0
		.amdhsa_system_vgpr_workitem_id 0
		.amdhsa_next_free_vgpr 66
		.amdhsa_next_free_sgpr 52
		.amdhsa_accum_offset 68
		.amdhsa_reserve_vcc 1
		.amdhsa_float_round_mode_32 0
		.amdhsa_float_round_mode_16_64 0
		.amdhsa_float_denorm_mode_32 3
		.amdhsa_float_denorm_mode_16_64 3
		.amdhsa_dx10_clamp 1
		.amdhsa_ieee_mode 1
		.amdhsa_fp16_overflow 0
		.amdhsa_tg_split 0
		.amdhsa_exception_fp_ieee_invalid_op 0
		.amdhsa_exception_fp_denorm_src 0
		.amdhsa_exception_fp_ieee_div_zero 0
		.amdhsa_exception_fp_ieee_overflow 0
		.amdhsa_exception_fp_ieee_underflow 0
		.amdhsa_exception_fp_ieee_inexact 0
		.amdhsa_exception_int_div_zero 0
	.end_amdhsa_kernel
	.section	.text._ZN7rocprim17ROCPRIM_400000_NS6detail17trampoline_kernelINS0_14default_configENS1_25partition_config_selectorILNS1_17partition_subalgoE9EllbEEZZNS1_14partition_implILS5_9ELb0ES3_jPlS8_PNS0_10empty_typeENS0_5tupleIJS8_S9_EEENSB_IJS8_SA_EEENS0_18inequality_wrapperIZN2at6native12_GLOBAL__N_124unique_dim_cuda_templateIjEESt5tupleIJNSF_6TensorESK_SK_EERKSK_lbbbEUlllE0_EEPmJS9_EEE10hipError_tPvRmT3_T4_T5_T6_T7_T9_mT8_P12ihipStream_tbDpT10_ENKUlT_T0_E_clISt17integral_constantIbLb1EES19_IbLb0EEEEDaS15_S16_EUlS15_E_NS1_11comp_targetILNS1_3genE5ELNS1_11target_archE942ELNS1_3gpuE9ELNS1_3repE0EEENS1_30default_config_static_selectorELNS0_4arch9wavefront6targetE1EEEvT1_,"axG",@progbits,_ZN7rocprim17ROCPRIM_400000_NS6detail17trampoline_kernelINS0_14default_configENS1_25partition_config_selectorILNS1_17partition_subalgoE9EllbEEZZNS1_14partition_implILS5_9ELb0ES3_jPlS8_PNS0_10empty_typeENS0_5tupleIJS8_S9_EEENSB_IJS8_SA_EEENS0_18inequality_wrapperIZN2at6native12_GLOBAL__N_124unique_dim_cuda_templateIjEESt5tupleIJNSF_6TensorESK_SK_EERKSK_lbbbEUlllE0_EEPmJS9_EEE10hipError_tPvRmT3_T4_T5_T6_T7_T9_mT8_P12ihipStream_tbDpT10_ENKUlT_T0_E_clISt17integral_constantIbLb1EES19_IbLb0EEEEDaS15_S16_EUlS15_E_NS1_11comp_targetILNS1_3genE5ELNS1_11target_archE942ELNS1_3gpuE9ELNS1_3repE0EEENS1_30default_config_static_selectorELNS0_4arch9wavefront6targetE1EEEvT1_,comdat
.Lfunc_end1600:
	.size	_ZN7rocprim17ROCPRIM_400000_NS6detail17trampoline_kernelINS0_14default_configENS1_25partition_config_selectorILNS1_17partition_subalgoE9EllbEEZZNS1_14partition_implILS5_9ELb0ES3_jPlS8_PNS0_10empty_typeENS0_5tupleIJS8_S9_EEENSB_IJS8_SA_EEENS0_18inequality_wrapperIZN2at6native12_GLOBAL__N_124unique_dim_cuda_templateIjEESt5tupleIJNSF_6TensorESK_SK_EERKSK_lbbbEUlllE0_EEPmJS9_EEE10hipError_tPvRmT3_T4_T5_T6_T7_T9_mT8_P12ihipStream_tbDpT10_ENKUlT_T0_E_clISt17integral_constantIbLb1EES19_IbLb0EEEEDaS15_S16_EUlS15_E_NS1_11comp_targetILNS1_3genE5ELNS1_11target_archE942ELNS1_3gpuE9ELNS1_3repE0EEENS1_30default_config_static_selectorELNS0_4arch9wavefront6targetE1EEEvT1_, .Lfunc_end1600-_ZN7rocprim17ROCPRIM_400000_NS6detail17trampoline_kernelINS0_14default_configENS1_25partition_config_selectorILNS1_17partition_subalgoE9EllbEEZZNS1_14partition_implILS5_9ELb0ES3_jPlS8_PNS0_10empty_typeENS0_5tupleIJS8_S9_EEENSB_IJS8_SA_EEENS0_18inequality_wrapperIZN2at6native12_GLOBAL__N_124unique_dim_cuda_templateIjEESt5tupleIJNSF_6TensorESK_SK_EERKSK_lbbbEUlllE0_EEPmJS9_EEE10hipError_tPvRmT3_T4_T5_T6_T7_T9_mT8_P12ihipStream_tbDpT10_ENKUlT_T0_E_clISt17integral_constantIbLb1EES19_IbLb0EEEEDaS15_S16_EUlS15_E_NS1_11comp_targetILNS1_3genE5ELNS1_11target_archE942ELNS1_3gpuE9ELNS1_3repE0EEENS1_30default_config_static_selectorELNS0_4arch9wavefront6targetE1EEEvT1_
                                        ; -- End function
	.section	.AMDGPU.csdata,"",@progbits
; Kernel info:
; codeLenInByte = 14472
; NumSgprs: 58
; NumVgprs: 66
; NumAgprs: 0
; TotalNumVgprs: 66
; ScratchSize: 0
; MemoryBound: 0
; FloatMode: 240
; IeeeMode: 1
; LDSByteSize: 28684 bytes/workgroup (compile time only)
; SGPRBlocks: 7
; VGPRBlocks: 8
; NumSGPRsForWavesPerEU: 58
; NumVGPRsForWavesPerEU: 66
; AccumOffset: 68
; Occupancy: 4
; WaveLimiterHint : 1
; COMPUTE_PGM_RSRC2:SCRATCH_EN: 0
; COMPUTE_PGM_RSRC2:USER_SGPR: 2
; COMPUTE_PGM_RSRC2:TRAP_HANDLER: 0
; COMPUTE_PGM_RSRC2:TGID_X_EN: 1
; COMPUTE_PGM_RSRC2:TGID_Y_EN: 0
; COMPUTE_PGM_RSRC2:TGID_Z_EN: 0
; COMPUTE_PGM_RSRC2:TIDIG_COMP_CNT: 0
; COMPUTE_PGM_RSRC3_GFX90A:ACCUM_OFFSET: 16
; COMPUTE_PGM_RSRC3_GFX90A:TG_SPLIT: 0
	.section	.text._ZN7rocprim17ROCPRIM_400000_NS6detail17trampoline_kernelINS0_14default_configENS1_25partition_config_selectorILNS1_17partition_subalgoE9EllbEEZZNS1_14partition_implILS5_9ELb0ES3_jPlS8_PNS0_10empty_typeENS0_5tupleIJS8_S9_EEENSB_IJS8_SA_EEENS0_18inequality_wrapperIZN2at6native12_GLOBAL__N_124unique_dim_cuda_templateIjEESt5tupleIJNSF_6TensorESK_SK_EERKSK_lbbbEUlllE0_EEPmJS9_EEE10hipError_tPvRmT3_T4_T5_T6_T7_T9_mT8_P12ihipStream_tbDpT10_ENKUlT_T0_E_clISt17integral_constantIbLb1EES19_IbLb0EEEEDaS15_S16_EUlS15_E_NS1_11comp_targetILNS1_3genE4ELNS1_11target_archE910ELNS1_3gpuE8ELNS1_3repE0EEENS1_30default_config_static_selectorELNS0_4arch9wavefront6targetE1EEEvT1_,"axG",@progbits,_ZN7rocprim17ROCPRIM_400000_NS6detail17trampoline_kernelINS0_14default_configENS1_25partition_config_selectorILNS1_17partition_subalgoE9EllbEEZZNS1_14partition_implILS5_9ELb0ES3_jPlS8_PNS0_10empty_typeENS0_5tupleIJS8_S9_EEENSB_IJS8_SA_EEENS0_18inequality_wrapperIZN2at6native12_GLOBAL__N_124unique_dim_cuda_templateIjEESt5tupleIJNSF_6TensorESK_SK_EERKSK_lbbbEUlllE0_EEPmJS9_EEE10hipError_tPvRmT3_T4_T5_T6_T7_T9_mT8_P12ihipStream_tbDpT10_ENKUlT_T0_E_clISt17integral_constantIbLb1EES19_IbLb0EEEEDaS15_S16_EUlS15_E_NS1_11comp_targetILNS1_3genE4ELNS1_11target_archE910ELNS1_3gpuE8ELNS1_3repE0EEENS1_30default_config_static_selectorELNS0_4arch9wavefront6targetE1EEEvT1_,comdat
	.globl	_ZN7rocprim17ROCPRIM_400000_NS6detail17trampoline_kernelINS0_14default_configENS1_25partition_config_selectorILNS1_17partition_subalgoE9EllbEEZZNS1_14partition_implILS5_9ELb0ES3_jPlS8_PNS0_10empty_typeENS0_5tupleIJS8_S9_EEENSB_IJS8_SA_EEENS0_18inequality_wrapperIZN2at6native12_GLOBAL__N_124unique_dim_cuda_templateIjEESt5tupleIJNSF_6TensorESK_SK_EERKSK_lbbbEUlllE0_EEPmJS9_EEE10hipError_tPvRmT3_T4_T5_T6_T7_T9_mT8_P12ihipStream_tbDpT10_ENKUlT_T0_E_clISt17integral_constantIbLb1EES19_IbLb0EEEEDaS15_S16_EUlS15_E_NS1_11comp_targetILNS1_3genE4ELNS1_11target_archE910ELNS1_3gpuE8ELNS1_3repE0EEENS1_30default_config_static_selectorELNS0_4arch9wavefront6targetE1EEEvT1_ ; -- Begin function _ZN7rocprim17ROCPRIM_400000_NS6detail17trampoline_kernelINS0_14default_configENS1_25partition_config_selectorILNS1_17partition_subalgoE9EllbEEZZNS1_14partition_implILS5_9ELb0ES3_jPlS8_PNS0_10empty_typeENS0_5tupleIJS8_S9_EEENSB_IJS8_SA_EEENS0_18inequality_wrapperIZN2at6native12_GLOBAL__N_124unique_dim_cuda_templateIjEESt5tupleIJNSF_6TensorESK_SK_EERKSK_lbbbEUlllE0_EEPmJS9_EEE10hipError_tPvRmT3_T4_T5_T6_T7_T9_mT8_P12ihipStream_tbDpT10_ENKUlT_T0_E_clISt17integral_constantIbLb1EES19_IbLb0EEEEDaS15_S16_EUlS15_E_NS1_11comp_targetILNS1_3genE4ELNS1_11target_archE910ELNS1_3gpuE8ELNS1_3repE0EEENS1_30default_config_static_selectorELNS0_4arch9wavefront6targetE1EEEvT1_
	.p2align	8
	.type	_ZN7rocprim17ROCPRIM_400000_NS6detail17trampoline_kernelINS0_14default_configENS1_25partition_config_selectorILNS1_17partition_subalgoE9EllbEEZZNS1_14partition_implILS5_9ELb0ES3_jPlS8_PNS0_10empty_typeENS0_5tupleIJS8_S9_EEENSB_IJS8_SA_EEENS0_18inequality_wrapperIZN2at6native12_GLOBAL__N_124unique_dim_cuda_templateIjEESt5tupleIJNSF_6TensorESK_SK_EERKSK_lbbbEUlllE0_EEPmJS9_EEE10hipError_tPvRmT3_T4_T5_T6_T7_T9_mT8_P12ihipStream_tbDpT10_ENKUlT_T0_E_clISt17integral_constantIbLb1EES19_IbLb0EEEEDaS15_S16_EUlS15_E_NS1_11comp_targetILNS1_3genE4ELNS1_11target_archE910ELNS1_3gpuE8ELNS1_3repE0EEENS1_30default_config_static_selectorELNS0_4arch9wavefront6targetE1EEEvT1_,@function
_ZN7rocprim17ROCPRIM_400000_NS6detail17trampoline_kernelINS0_14default_configENS1_25partition_config_selectorILNS1_17partition_subalgoE9EllbEEZZNS1_14partition_implILS5_9ELb0ES3_jPlS8_PNS0_10empty_typeENS0_5tupleIJS8_S9_EEENSB_IJS8_SA_EEENS0_18inequality_wrapperIZN2at6native12_GLOBAL__N_124unique_dim_cuda_templateIjEESt5tupleIJNSF_6TensorESK_SK_EERKSK_lbbbEUlllE0_EEPmJS9_EEE10hipError_tPvRmT3_T4_T5_T6_T7_T9_mT8_P12ihipStream_tbDpT10_ENKUlT_T0_E_clISt17integral_constantIbLb1EES19_IbLb0EEEEDaS15_S16_EUlS15_E_NS1_11comp_targetILNS1_3genE4ELNS1_11target_archE910ELNS1_3gpuE8ELNS1_3repE0EEENS1_30default_config_static_selectorELNS0_4arch9wavefront6targetE1EEEvT1_: ; @_ZN7rocprim17ROCPRIM_400000_NS6detail17trampoline_kernelINS0_14default_configENS1_25partition_config_selectorILNS1_17partition_subalgoE9EllbEEZZNS1_14partition_implILS5_9ELb0ES3_jPlS8_PNS0_10empty_typeENS0_5tupleIJS8_S9_EEENSB_IJS8_SA_EEENS0_18inequality_wrapperIZN2at6native12_GLOBAL__N_124unique_dim_cuda_templateIjEESt5tupleIJNSF_6TensorESK_SK_EERKSK_lbbbEUlllE0_EEPmJS9_EEE10hipError_tPvRmT3_T4_T5_T6_T7_T9_mT8_P12ihipStream_tbDpT10_ENKUlT_T0_E_clISt17integral_constantIbLb1EES19_IbLb0EEEEDaS15_S16_EUlS15_E_NS1_11comp_targetILNS1_3genE4ELNS1_11target_archE910ELNS1_3gpuE8ELNS1_3repE0EEENS1_30default_config_static_selectorELNS0_4arch9wavefront6targetE1EEEvT1_
; %bb.0:
	.section	.rodata,"a",@progbits
	.p2align	6, 0x0
	.amdhsa_kernel _ZN7rocprim17ROCPRIM_400000_NS6detail17trampoline_kernelINS0_14default_configENS1_25partition_config_selectorILNS1_17partition_subalgoE9EllbEEZZNS1_14partition_implILS5_9ELb0ES3_jPlS8_PNS0_10empty_typeENS0_5tupleIJS8_S9_EEENSB_IJS8_SA_EEENS0_18inequality_wrapperIZN2at6native12_GLOBAL__N_124unique_dim_cuda_templateIjEESt5tupleIJNSF_6TensorESK_SK_EERKSK_lbbbEUlllE0_EEPmJS9_EEE10hipError_tPvRmT3_T4_T5_T6_T7_T9_mT8_P12ihipStream_tbDpT10_ENKUlT_T0_E_clISt17integral_constantIbLb1EES19_IbLb0EEEEDaS15_S16_EUlS15_E_NS1_11comp_targetILNS1_3genE4ELNS1_11target_archE910ELNS1_3gpuE8ELNS1_3repE0EEENS1_30default_config_static_selectorELNS0_4arch9wavefront6targetE1EEEvT1_
		.amdhsa_group_segment_fixed_size 0
		.amdhsa_private_segment_fixed_size 0
		.amdhsa_kernarg_size 120
		.amdhsa_user_sgpr_count 2
		.amdhsa_user_sgpr_dispatch_ptr 0
		.amdhsa_user_sgpr_queue_ptr 0
		.amdhsa_user_sgpr_kernarg_segment_ptr 1
		.amdhsa_user_sgpr_dispatch_id 0
		.amdhsa_user_sgpr_kernarg_preload_length 0
		.amdhsa_user_sgpr_kernarg_preload_offset 0
		.amdhsa_user_sgpr_private_segment_size 0
		.amdhsa_uses_dynamic_stack 0
		.amdhsa_enable_private_segment 0
		.amdhsa_system_sgpr_workgroup_id_x 1
		.amdhsa_system_sgpr_workgroup_id_y 0
		.amdhsa_system_sgpr_workgroup_id_z 0
		.amdhsa_system_sgpr_workgroup_info 0
		.amdhsa_system_vgpr_workitem_id 0
		.amdhsa_next_free_vgpr 1
		.amdhsa_next_free_sgpr 0
		.amdhsa_accum_offset 4
		.amdhsa_reserve_vcc 0
		.amdhsa_float_round_mode_32 0
		.amdhsa_float_round_mode_16_64 0
		.amdhsa_float_denorm_mode_32 3
		.amdhsa_float_denorm_mode_16_64 3
		.amdhsa_dx10_clamp 1
		.amdhsa_ieee_mode 1
		.amdhsa_fp16_overflow 0
		.amdhsa_tg_split 0
		.amdhsa_exception_fp_ieee_invalid_op 0
		.amdhsa_exception_fp_denorm_src 0
		.amdhsa_exception_fp_ieee_div_zero 0
		.amdhsa_exception_fp_ieee_overflow 0
		.amdhsa_exception_fp_ieee_underflow 0
		.amdhsa_exception_fp_ieee_inexact 0
		.amdhsa_exception_int_div_zero 0
	.end_amdhsa_kernel
	.section	.text._ZN7rocprim17ROCPRIM_400000_NS6detail17trampoline_kernelINS0_14default_configENS1_25partition_config_selectorILNS1_17partition_subalgoE9EllbEEZZNS1_14partition_implILS5_9ELb0ES3_jPlS8_PNS0_10empty_typeENS0_5tupleIJS8_S9_EEENSB_IJS8_SA_EEENS0_18inequality_wrapperIZN2at6native12_GLOBAL__N_124unique_dim_cuda_templateIjEESt5tupleIJNSF_6TensorESK_SK_EERKSK_lbbbEUlllE0_EEPmJS9_EEE10hipError_tPvRmT3_T4_T5_T6_T7_T9_mT8_P12ihipStream_tbDpT10_ENKUlT_T0_E_clISt17integral_constantIbLb1EES19_IbLb0EEEEDaS15_S16_EUlS15_E_NS1_11comp_targetILNS1_3genE4ELNS1_11target_archE910ELNS1_3gpuE8ELNS1_3repE0EEENS1_30default_config_static_selectorELNS0_4arch9wavefront6targetE1EEEvT1_,"axG",@progbits,_ZN7rocprim17ROCPRIM_400000_NS6detail17trampoline_kernelINS0_14default_configENS1_25partition_config_selectorILNS1_17partition_subalgoE9EllbEEZZNS1_14partition_implILS5_9ELb0ES3_jPlS8_PNS0_10empty_typeENS0_5tupleIJS8_S9_EEENSB_IJS8_SA_EEENS0_18inequality_wrapperIZN2at6native12_GLOBAL__N_124unique_dim_cuda_templateIjEESt5tupleIJNSF_6TensorESK_SK_EERKSK_lbbbEUlllE0_EEPmJS9_EEE10hipError_tPvRmT3_T4_T5_T6_T7_T9_mT8_P12ihipStream_tbDpT10_ENKUlT_T0_E_clISt17integral_constantIbLb1EES19_IbLb0EEEEDaS15_S16_EUlS15_E_NS1_11comp_targetILNS1_3genE4ELNS1_11target_archE910ELNS1_3gpuE8ELNS1_3repE0EEENS1_30default_config_static_selectorELNS0_4arch9wavefront6targetE1EEEvT1_,comdat
.Lfunc_end1601:
	.size	_ZN7rocprim17ROCPRIM_400000_NS6detail17trampoline_kernelINS0_14default_configENS1_25partition_config_selectorILNS1_17partition_subalgoE9EllbEEZZNS1_14partition_implILS5_9ELb0ES3_jPlS8_PNS0_10empty_typeENS0_5tupleIJS8_S9_EEENSB_IJS8_SA_EEENS0_18inequality_wrapperIZN2at6native12_GLOBAL__N_124unique_dim_cuda_templateIjEESt5tupleIJNSF_6TensorESK_SK_EERKSK_lbbbEUlllE0_EEPmJS9_EEE10hipError_tPvRmT3_T4_T5_T6_T7_T9_mT8_P12ihipStream_tbDpT10_ENKUlT_T0_E_clISt17integral_constantIbLb1EES19_IbLb0EEEEDaS15_S16_EUlS15_E_NS1_11comp_targetILNS1_3genE4ELNS1_11target_archE910ELNS1_3gpuE8ELNS1_3repE0EEENS1_30default_config_static_selectorELNS0_4arch9wavefront6targetE1EEEvT1_, .Lfunc_end1601-_ZN7rocprim17ROCPRIM_400000_NS6detail17trampoline_kernelINS0_14default_configENS1_25partition_config_selectorILNS1_17partition_subalgoE9EllbEEZZNS1_14partition_implILS5_9ELb0ES3_jPlS8_PNS0_10empty_typeENS0_5tupleIJS8_S9_EEENSB_IJS8_SA_EEENS0_18inequality_wrapperIZN2at6native12_GLOBAL__N_124unique_dim_cuda_templateIjEESt5tupleIJNSF_6TensorESK_SK_EERKSK_lbbbEUlllE0_EEPmJS9_EEE10hipError_tPvRmT3_T4_T5_T6_T7_T9_mT8_P12ihipStream_tbDpT10_ENKUlT_T0_E_clISt17integral_constantIbLb1EES19_IbLb0EEEEDaS15_S16_EUlS15_E_NS1_11comp_targetILNS1_3genE4ELNS1_11target_archE910ELNS1_3gpuE8ELNS1_3repE0EEENS1_30default_config_static_selectorELNS0_4arch9wavefront6targetE1EEEvT1_
                                        ; -- End function
	.section	.AMDGPU.csdata,"",@progbits
; Kernel info:
; codeLenInByte = 0
; NumSgprs: 6
; NumVgprs: 0
; NumAgprs: 0
; TotalNumVgprs: 0
; ScratchSize: 0
; MemoryBound: 0
; FloatMode: 240
; IeeeMode: 1
; LDSByteSize: 0 bytes/workgroup (compile time only)
; SGPRBlocks: 0
; VGPRBlocks: 0
; NumSGPRsForWavesPerEU: 6
; NumVGPRsForWavesPerEU: 1
; AccumOffset: 4
; Occupancy: 8
; WaveLimiterHint : 0
; COMPUTE_PGM_RSRC2:SCRATCH_EN: 0
; COMPUTE_PGM_RSRC2:USER_SGPR: 2
; COMPUTE_PGM_RSRC2:TRAP_HANDLER: 0
; COMPUTE_PGM_RSRC2:TGID_X_EN: 1
; COMPUTE_PGM_RSRC2:TGID_Y_EN: 0
; COMPUTE_PGM_RSRC2:TGID_Z_EN: 0
; COMPUTE_PGM_RSRC2:TIDIG_COMP_CNT: 0
; COMPUTE_PGM_RSRC3_GFX90A:ACCUM_OFFSET: 0
; COMPUTE_PGM_RSRC3_GFX90A:TG_SPLIT: 0
	.section	.text._ZN7rocprim17ROCPRIM_400000_NS6detail17trampoline_kernelINS0_14default_configENS1_25partition_config_selectorILNS1_17partition_subalgoE9EllbEEZZNS1_14partition_implILS5_9ELb0ES3_jPlS8_PNS0_10empty_typeENS0_5tupleIJS8_S9_EEENSB_IJS8_SA_EEENS0_18inequality_wrapperIZN2at6native12_GLOBAL__N_124unique_dim_cuda_templateIjEESt5tupleIJNSF_6TensorESK_SK_EERKSK_lbbbEUlllE0_EEPmJS9_EEE10hipError_tPvRmT3_T4_T5_T6_T7_T9_mT8_P12ihipStream_tbDpT10_ENKUlT_T0_E_clISt17integral_constantIbLb1EES19_IbLb0EEEEDaS15_S16_EUlS15_E_NS1_11comp_targetILNS1_3genE3ELNS1_11target_archE908ELNS1_3gpuE7ELNS1_3repE0EEENS1_30default_config_static_selectorELNS0_4arch9wavefront6targetE1EEEvT1_,"axG",@progbits,_ZN7rocprim17ROCPRIM_400000_NS6detail17trampoline_kernelINS0_14default_configENS1_25partition_config_selectorILNS1_17partition_subalgoE9EllbEEZZNS1_14partition_implILS5_9ELb0ES3_jPlS8_PNS0_10empty_typeENS0_5tupleIJS8_S9_EEENSB_IJS8_SA_EEENS0_18inequality_wrapperIZN2at6native12_GLOBAL__N_124unique_dim_cuda_templateIjEESt5tupleIJNSF_6TensorESK_SK_EERKSK_lbbbEUlllE0_EEPmJS9_EEE10hipError_tPvRmT3_T4_T5_T6_T7_T9_mT8_P12ihipStream_tbDpT10_ENKUlT_T0_E_clISt17integral_constantIbLb1EES19_IbLb0EEEEDaS15_S16_EUlS15_E_NS1_11comp_targetILNS1_3genE3ELNS1_11target_archE908ELNS1_3gpuE7ELNS1_3repE0EEENS1_30default_config_static_selectorELNS0_4arch9wavefront6targetE1EEEvT1_,comdat
	.globl	_ZN7rocprim17ROCPRIM_400000_NS6detail17trampoline_kernelINS0_14default_configENS1_25partition_config_selectorILNS1_17partition_subalgoE9EllbEEZZNS1_14partition_implILS5_9ELb0ES3_jPlS8_PNS0_10empty_typeENS0_5tupleIJS8_S9_EEENSB_IJS8_SA_EEENS0_18inequality_wrapperIZN2at6native12_GLOBAL__N_124unique_dim_cuda_templateIjEESt5tupleIJNSF_6TensorESK_SK_EERKSK_lbbbEUlllE0_EEPmJS9_EEE10hipError_tPvRmT3_T4_T5_T6_T7_T9_mT8_P12ihipStream_tbDpT10_ENKUlT_T0_E_clISt17integral_constantIbLb1EES19_IbLb0EEEEDaS15_S16_EUlS15_E_NS1_11comp_targetILNS1_3genE3ELNS1_11target_archE908ELNS1_3gpuE7ELNS1_3repE0EEENS1_30default_config_static_selectorELNS0_4arch9wavefront6targetE1EEEvT1_ ; -- Begin function _ZN7rocprim17ROCPRIM_400000_NS6detail17trampoline_kernelINS0_14default_configENS1_25partition_config_selectorILNS1_17partition_subalgoE9EllbEEZZNS1_14partition_implILS5_9ELb0ES3_jPlS8_PNS0_10empty_typeENS0_5tupleIJS8_S9_EEENSB_IJS8_SA_EEENS0_18inequality_wrapperIZN2at6native12_GLOBAL__N_124unique_dim_cuda_templateIjEESt5tupleIJNSF_6TensorESK_SK_EERKSK_lbbbEUlllE0_EEPmJS9_EEE10hipError_tPvRmT3_T4_T5_T6_T7_T9_mT8_P12ihipStream_tbDpT10_ENKUlT_T0_E_clISt17integral_constantIbLb1EES19_IbLb0EEEEDaS15_S16_EUlS15_E_NS1_11comp_targetILNS1_3genE3ELNS1_11target_archE908ELNS1_3gpuE7ELNS1_3repE0EEENS1_30default_config_static_selectorELNS0_4arch9wavefront6targetE1EEEvT1_
	.p2align	8
	.type	_ZN7rocprim17ROCPRIM_400000_NS6detail17trampoline_kernelINS0_14default_configENS1_25partition_config_selectorILNS1_17partition_subalgoE9EllbEEZZNS1_14partition_implILS5_9ELb0ES3_jPlS8_PNS0_10empty_typeENS0_5tupleIJS8_S9_EEENSB_IJS8_SA_EEENS0_18inequality_wrapperIZN2at6native12_GLOBAL__N_124unique_dim_cuda_templateIjEESt5tupleIJNSF_6TensorESK_SK_EERKSK_lbbbEUlllE0_EEPmJS9_EEE10hipError_tPvRmT3_T4_T5_T6_T7_T9_mT8_P12ihipStream_tbDpT10_ENKUlT_T0_E_clISt17integral_constantIbLb1EES19_IbLb0EEEEDaS15_S16_EUlS15_E_NS1_11comp_targetILNS1_3genE3ELNS1_11target_archE908ELNS1_3gpuE7ELNS1_3repE0EEENS1_30default_config_static_selectorELNS0_4arch9wavefront6targetE1EEEvT1_,@function
_ZN7rocprim17ROCPRIM_400000_NS6detail17trampoline_kernelINS0_14default_configENS1_25partition_config_selectorILNS1_17partition_subalgoE9EllbEEZZNS1_14partition_implILS5_9ELb0ES3_jPlS8_PNS0_10empty_typeENS0_5tupleIJS8_S9_EEENSB_IJS8_SA_EEENS0_18inequality_wrapperIZN2at6native12_GLOBAL__N_124unique_dim_cuda_templateIjEESt5tupleIJNSF_6TensorESK_SK_EERKSK_lbbbEUlllE0_EEPmJS9_EEE10hipError_tPvRmT3_T4_T5_T6_T7_T9_mT8_P12ihipStream_tbDpT10_ENKUlT_T0_E_clISt17integral_constantIbLb1EES19_IbLb0EEEEDaS15_S16_EUlS15_E_NS1_11comp_targetILNS1_3genE3ELNS1_11target_archE908ELNS1_3gpuE7ELNS1_3repE0EEENS1_30default_config_static_selectorELNS0_4arch9wavefront6targetE1EEEvT1_: ; @_ZN7rocprim17ROCPRIM_400000_NS6detail17trampoline_kernelINS0_14default_configENS1_25partition_config_selectorILNS1_17partition_subalgoE9EllbEEZZNS1_14partition_implILS5_9ELb0ES3_jPlS8_PNS0_10empty_typeENS0_5tupleIJS8_S9_EEENSB_IJS8_SA_EEENS0_18inequality_wrapperIZN2at6native12_GLOBAL__N_124unique_dim_cuda_templateIjEESt5tupleIJNSF_6TensorESK_SK_EERKSK_lbbbEUlllE0_EEPmJS9_EEE10hipError_tPvRmT3_T4_T5_T6_T7_T9_mT8_P12ihipStream_tbDpT10_ENKUlT_T0_E_clISt17integral_constantIbLb1EES19_IbLb0EEEEDaS15_S16_EUlS15_E_NS1_11comp_targetILNS1_3genE3ELNS1_11target_archE908ELNS1_3gpuE7ELNS1_3repE0EEENS1_30default_config_static_selectorELNS0_4arch9wavefront6targetE1EEEvT1_
; %bb.0:
	.section	.rodata,"a",@progbits
	.p2align	6, 0x0
	.amdhsa_kernel _ZN7rocprim17ROCPRIM_400000_NS6detail17trampoline_kernelINS0_14default_configENS1_25partition_config_selectorILNS1_17partition_subalgoE9EllbEEZZNS1_14partition_implILS5_9ELb0ES3_jPlS8_PNS0_10empty_typeENS0_5tupleIJS8_S9_EEENSB_IJS8_SA_EEENS0_18inequality_wrapperIZN2at6native12_GLOBAL__N_124unique_dim_cuda_templateIjEESt5tupleIJNSF_6TensorESK_SK_EERKSK_lbbbEUlllE0_EEPmJS9_EEE10hipError_tPvRmT3_T4_T5_T6_T7_T9_mT8_P12ihipStream_tbDpT10_ENKUlT_T0_E_clISt17integral_constantIbLb1EES19_IbLb0EEEEDaS15_S16_EUlS15_E_NS1_11comp_targetILNS1_3genE3ELNS1_11target_archE908ELNS1_3gpuE7ELNS1_3repE0EEENS1_30default_config_static_selectorELNS0_4arch9wavefront6targetE1EEEvT1_
		.amdhsa_group_segment_fixed_size 0
		.amdhsa_private_segment_fixed_size 0
		.amdhsa_kernarg_size 120
		.amdhsa_user_sgpr_count 2
		.amdhsa_user_sgpr_dispatch_ptr 0
		.amdhsa_user_sgpr_queue_ptr 0
		.amdhsa_user_sgpr_kernarg_segment_ptr 1
		.amdhsa_user_sgpr_dispatch_id 0
		.amdhsa_user_sgpr_kernarg_preload_length 0
		.amdhsa_user_sgpr_kernarg_preload_offset 0
		.amdhsa_user_sgpr_private_segment_size 0
		.amdhsa_uses_dynamic_stack 0
		.amdhsa_enable_private_segment 0
		.amdhsa_system_sgpr_workgroup_id_x 1
		.amdhsa_system_sgpr_workgroup_id_y 0
		.amdhsa_system_sgpr_workgroup_id_z 0
		.amdhsa_system_sgpr_workgroup_info 0
		.amdhsa_system_vgpr_workitem_id 0
		.amdhsa_next_free_vgpr 1
		.amdhsa_next_free_sgpr 0
		.amdhsa_accum_offset 4
		.amdhsa_reserve_vcc 0
		.amdhsa_float_round_mode_32 0
		.amdhsa_float_round_mode_16_64 0
		.amdhsa_float_denorm_mode_32 3
		.amdhsa_float_denorm_mode_16_64 3
		.amdhsa_dx10_clamp 1
		.amdhsa_ieee_mode 1
		.amdhsa_fp16_overflow 0
		.amdhsa_tg_split 0
		.amdhsa_exception_fp_ieee_invalid_op 0
		.amdhsa_exception_fp_denorm_src 0
		.amdhsa_exception_fp_ieee_div_zero 0
		.amdhsa_exception_fp_ieee_overflow 0
		.amdhsa_exception_fp_ieee_underflow 0
		.amdhsa_exception_fp_ieee_inexact 0
		.amdhsa_exception_int_div_zero 0
	.end_amdhsa_kernel
	.section	.text._ZN7rocprim17ROCPRIM_400000_NS6detail17trampoline_kernelINS0_14default_configENS1_25partition_config_selectorILNS1_17partition_subalgoE9EllbEEZZNS1_14partition_implILS5_9ELb0ES3_jPlS8_PNS0_10empty_typeENS0_5tupleIJS8_S9_EEENSB_IJS8_SA_EEENS0_18inequality_wrapperIZN2at6native12_GLOBAL__N_124unique_dim_cuda_templateIjEESt5tupleIJNSF_6TensorESK_SK_EERKSK_lbbbEUlllE0_EEPmJS9_EEE10hipError_tPvRmT3_T4_T5_T6_T7_T9_mT8_P12ihipStream_tbDpT10_ENKUlT_T0_E_clISt17integral_constantIbLb1EES19_IbLb0EEEEDaS15_S16_EUlS15_E_NS1_11comp_targetILNS1_3genE3ELNS1_11target_archE908ELNS1_3gpuE7ELNS1_3repE0EEENS1_30default_config_static_selectorELNS0_4arch9wavefront6targetE1EEEvT1_,"axG",@progbits,_ZN7rocprim17ROCPRIM_400000_NS6detail17trampoline_kernelINS0_14default_configENS1_25partition_config_selectorILNS1_17partition_subalgoE9EllbEEZZNS1_14partition_implILS5_9ELb0ES3_jPlS8_PNS0_10empty_typeENS0_5tupleIJS8_S9_EEENSB_IJS8_SA_EEENS0_18inequality_wrapperIZN2at6native12_GLOBAL__N_124unique_dim_cuda_templateIjEESt5tupleIJNSF_6TensorESK_SK_EERKSK_lbbbEUlllE0_EEPmJS9_EEE10hipError_tPvRmT3_T4_T5_T6_T7_T9_mT8_P12ihipStream_tbDpT10_ENKUlT_T0_E_clISt17integral_constantIbLb1EES19_IbLb0EEEEDaS15_S16_EUlS15_E_NS1_11comp_targetILNS1_3genE3ELNS1_11target_archE908ELNS1_3gpuE7ELNS1_3repE0EEENS1_30default_config_static_selectorELNS0_4arch9wavefront6targetE1EEEvT1_,comdat
.Lfunc_end1602:
	.size	_ZN7rocprim17ROCPRIM_400000_NS6detail17trampoline_kernelINS0_14default_configENS1_25partition_config_selectorILNS1_17partition_subalgoE9EllbEEZZNS1_14partition_implILS5_9ELb0ES3_jPlS8_PNS0_10empty_typeENS0_5tupleIJS8_S9_EEENSB_IJS8_SA_EEENS0_18inequality_wrapperIZN2at6native12_GLOBAL__N_124unique_dim_cuda_templateIjEESt5tupleIJNSF_6TensorESK_SK_EERKSK_lbbbEUlllE0_EEPmJS9_EEE10hipError_tPvRmT3_T4_T5_T6_T7_T9_mT8_P12ihipStream_tbDpT10_ENKUlT_T0_E_clISt17integral_constantIbLb1EES19_IbLb0EEEEDaS15_S16_EUlS15_E_NS1_11comp_targetILNS1_3genE3ELNS1_11target_archE908ELNS1_3gpuE7ELNS1_3repE0EEENS1_30default_config_static_selectorELNS0_4arch9wavefront6targetE1EEEvT1_, .Lfunc_end1602-_ZN7rocprim17ROCPRIM_400000_NS6detail17trampoline_kernelINS0_14default_configENS1_25partition_config_selectorILNS1_17partition_subalgoE9EllbEEZZNS1_14partition_implILS5_9ELb0ES3_jPlS8_PNS0_10empty_typeENS0_5tupleIJS8_S9_EEENSB_IJS8_SA_EEENS0_18inequality_wrapperIZN2at6native12_GLOBAL__N_124unique_dim_cuda_templateIjEESt5tupleIJNSF_6TensorESK_SK_EERKSK_lbbbEUlllE0_EEPmJS9_EEE10hipError_tPvRmT3_T4_T5_T6_T7_T9_mT8_P12ihipStream_tbDpT10_ENKUlT_T0_E_clISt17integral_constantIbLb1EES19_IbLb0EEEEDaS15_S16_EUlS15_E_NS1_11comp_targetILNS1_3genE3ELNS1_11target_archE908ELNS1_3gpuE7ELNS1_3repE0EEENS1_30default_config_static_selectorELNS0_4arch9wavefront6targetE1EEEvT1_
                                        ; -- End function
	.section	.AMDGPU.csdata,"",@progbits
; Kernel info:
; codeLenInByte = 0
; NumSgprs: 6
; NumVgprs: 0
; NumAgprs: 0
; TotalNumVgprs: 0
; ScratchSize: 0
; MemoryBound: 0
; FloatMode: 240
; IeeeMode: 1
; LDSByteSize: 0 bytes/workgroup (compile time only)
; SGPRBlocks: 0
; VGPRBlocks: 0
; NumSGPRsForWavesPerEU: 6
; NumVGPRsForWavesPerEU: 1
; AccumOffset: 4
; Occupancy: 8
; WaveLimiterHint : 0
; COMPUTE_PGM_RSRC2:SCRATCH_EN: 0
; COMPUTE_PGM_RSRC2:USER_SGPR: 2
; COMPUTE_PGM_RSRC2:TRAP_HANDLER: 0
; COMPUTE_PGM_RSRC2:TGID_X_EN: 1
; COMPUTE_PGM_RSRC2:TGID_Y_EN: 0
; COMPUTE_PGM_RSRC2:TGID_Z_EN: 0
; COMPUTE_PGM_RSRC2:TIDIG_COMP_CNT: 0
; COMPUTE_PGM_RSRC3_GFX90A:ACCUM_OFFSET: 0
; COMPUTE_PGM_RSRC3_GFX90A:TG_SPLIT: 0
	.section	.text._ZN7rocprim17ROCPRIM_400000_NS6detail17trampoline_kernelINS0_14default_configENS1_25partition_config_selectorILNS1_17partition_subalgoE9EllbEEZZNS1_14partition_implILS5_9ELb0ES3_jPlS8_PNS0_10empty_typeENS0_5tupleIJS8_S9_EEENSB_IJS8_SA_EEENS0_18inequality_wrapperIZN2at6native12_GLOBAL__N_124unique_dim_cuda_templateIjEESt5tupleIJNSF_6TensorESK_SK_EERKSK_lbbbEUlllE0_EEPmJS9_EEE10hipError_tPvRmT3_T4_T5_T6_T7_T9_mT8_P12ihipStream_tbDpT10_ENKUlT_T0_E_clISt17integral_constantIbLb1EES19_IbLb0EEEEDaS15_S16_EUlS15_E_NS1_11comp_targetILNS1_3genE2ELNS1_11target_archE906ELNS1_3gpuE6ELNS1_3repE0EEENS1_30default_config_static_selectorELNS0_4arch9wavefront6targetE1EEEvT1_,"axG",@progbits,_ZN7rocprim17ROCPRIM_400000_NS6detail17trampoline_kernelINS0_14default_configENS1_25partition_config_selectorILNS1_17partition_subalgoE9EllbEEZZNS1_14partition_implILS5_9ELb0ES3_jPlS8_PNS0_10empty_typeENS0_5tupleIJS8_S9_EEENSB_IJS8_SA_EEENS0_18inequality_wrapperIZN2at6native12_GLOBAL__N_124unique_dim_cuda_templateIjEESt5tupleIJNSF_6TensorESK_SK_EERKSK_lbbbEUlllE0_EEPmJS9_EEE10hipError_tPvRmT3_T4_T5_T6_T7_T9_mT8_P12ihipStream_tbDpT10_ENKUlT_T0_E_clISt17integral_constantIbLb1EES19_IbLb0EEEEDaS15_S16_EUlS15_E_NS1_11comp_targetILNS1_3genE2ELNS1_11target_archE906ELNS1_3gpuE6ELNS1_3repE0EEENS1_30default_config_static_selectorELNS0_4arch9wavefront6targetE1EEEvT1_,comdat
	.globl	_ZN7rocprim17ROCPRIM_400000_NS6detail17trampoline_kernelINS0_14default_configENS1_25partition_config_selectorILNS1_17partition_subalgoE9EllbEEZZNS1_14partition_implILS5_9ELb0ES3_jPlS8_PNS0_10empty_typeENS0_5tupleIJS8_S9_EEENSB_IJS8_SA_EEENS0_18inequality_wrapperIZN2at6native12_GLOBAL__N_124unique_dim_cuda_templateIjEESt5tupleIJNSF_6TensorESK_SK_EERKSK_lbbbEUlllE0_EEPmJS9_EEE10hipError_tPvRmT3_T4_T5_T6_T7_T9_mT8_P12ihipStream_tbDpT10_ENKUlT_T0_E_clISt17integral_constantIbLb1EES19_IbLb0EEEEDaS15_S16_EUlS15_E_NS1_11comp_targetILNS1_3genE2ELNS1_11target_archE906ELNS1_3gpuE6ELNS1_3repE0EEENS1_30default_config_static_selectorELNS0_4arch9wavefront6targetE1EEEvT1_ ; -- Begin function _ZN7rocprim17ROCPRIM_400000_NS6detail17trampoline_kernelINS0_14default_configENS1_25partition_config_selectorILNS1_17partition_subalgoE9EllbEEZZNS1_14partition_implILS5_9ELb0ES3_jPlS8_PNS0_10empty_typeENS0_5tupleIJS8_S9_EEENSB_IJS8_SA_EEENS0_18inequality_wrapperIZN2at6native12_GLOBAL__N_124unique_dim_cuda_templateIjEESt5tupleIJNSF_6TensorESK_SK_EERKSK_lbbbEUlllE0_EEPmJS9_EEE10hipError_tPvRmT3_T4_T5_T6_T7_T9_mT8_P12ihipStream_tbDpT10_ENKUlT_T0_E_clISt17integral_constantIbLb1EES19_IbLb0EEEEDaS15_S16_EUlS15_E_NS1_11comp_targetILNS1_3genE2ELNS1_11target_archE906ELNS1_3gpuE6ELNS1_3repE0EEENS1_30default_config_static_selectorELNS0_4arch9wavefront6targetE1EEEvT1_
	.p2align	8
	.type	_ZN7rocprim17ROCPRIM_400000_NS6detail17trampoline_kernelINS0_14default_configENS1_25partition_config_selectorILNS1_17partition_subalgoE9EllbEEZZNS1_14partition_implILS5_9ELb0ES3_jPlS8_PNS0_10empty_typeENS0_5tupleIJS8_S9_EEENSB_IJS8_SA_EEENS0_18inequality_wrapperIZN2at6native12_GLOBAL__N_124unique_dim_cuda_templateIjEESt5tupleIJNSF_6TensorESK_SK_EERKSK_lbbbEUlllE0_EEPmJS9_EEE10hipError_tPvRmT3_T4_T5_T6_T7_T9_mT8_P12ihipStream_tbDpT10_ENKUlT_T0_E_clISt17integral_constantIbLb1EES19_IbLb0EEEEDaS15_S16_EUlS15_E_NS1_11comp_targetILNS1_3genE2ELNS1_11target_archE906ELNS1_3gpuE6ELNS1_3repE0EEENS1_30default_config_static_selectorELNS0_4arch9wavefront6targetE1EEEvT1_,@function
_ZN7rocprim17ROCPRIM_400000_NS6detail17trampoline_kernelINS0_14default_configENS1_25partition_config_selectorILNS1_17partition_subalgoE9EllbEEZZNS1_14partition_implILS5_9ELb0ES3_jPlS8_PNS0_10empty_typeENS0_5tupleIJS8_S9_EEENSB_IJS8_SA_EEENS0_18inequality_wrapperIZN2at6native12_GLOBAL__N_124unique_dim_cuda_templateIjEESt5tupleIJNSF_6TensorESK_SK_EERKSK_lbbbEUlllE0_EEPmJS9_EEE10hipError_tPvRmT3_T4_T5_T6_T7_T9_mT8_P12ihipStream_tbDpT10_ENKUlT_T0_E_clISt17integral_constantIbLb1EES19_IbLb0EEEEDaS15_S16_EUlS15_E_NS1_11comp_targetILNS1_3genE2ELNS1_11target_archE906ELNS1_3gpuE6ELNS1_3repE0EEENS1_30default_config_static_selectorELNS0_4arch9wavefront6targetE1EEEvT1_: ; @_ZN7rocprim17ROCPRIM_400000_NS6detail17trampoline_kernelINS0_14default_configENS1_25partition_config_selectorILNS1_17partition_subalgoE9EllbEEZZNS1_14partition_implILS5_9ELb0ES3_jPlS8_PNS0_10empty_typeENS0_5tupleIJS8_S9_EEENSB_IJS8_SA_EEENS0_18inequality_wrapperIZN2at6native12_GLOBAL__N_124unique_dim_cuda_templateIjEESt5tupleIJNSF_6TensorESK_SK_EERKSK_lbbbEUlllE0_EEPmJS9_EEE10hipError_tPvRmT3_T4_T5_T6_T7_T9_mT8_P12ihipStream_tbDpT10_ENKUlT_T0_E_clISt17integral_constantIbLb1EES19_IbLb0EEEEDaS15_S16_EUlS15_E_NS1_11comp_targetILNS1_3genE2ELNS1_11target_archE906ELNS1_3gpuE6ELNS1_3repE0EEENS1_30default_config_static_selectorELNS0_4arch9wavefront6targetE1EEEvT1_
; %bb.0:
	.section	.rodata,"a",@progbits
	.p2align	6, 0x0
	.amdhsa_kernel _ZN7rocprim17ROCPRIM_400000_NS6detail17trampoline_kernelINS0_14default_configENS1_25partition_config_selectorILNS1_17partition_subalgoE9EllbEEZZNS1_14partition_implILS5_9ELb0ES3_jPlS8_PNS0_10empty_typeENS0_5tupleIJS8_S9_EEENSB_IJS8_SA_EEENS0_18inequality_wrapperIZN2at6native12_GLOBAL__N_124unique_dim_cuda_templateIjEESt5tupleIJNSF_6TensorESK_SK_EERKSK_lbbbEUlllE0_EEPmJS9_EEE10hipError_tPvRmT3_T4_T5_T6_T7_T9_mT8_P12ihipStream_tbDpT10_ENKUlT_T0_E_clISt17integral_constantIbLb1EES19_IbLb0EEEEDaS15_S16_EUlS15_E_NS1_11comp_targetILNS1_3genE2ELNS1_11target_archE906ELNS1_3gpuE6ELNS1_3repE0EEENS1_30default_config_static_selectorELNS0_4arch9wavefront6targetE1EEEvT1_
		.amdhsa_group_segment_fixed_size 0
		.amdhsa_private_segment_fixed_size 0
		.amdhsa_kernarg_size 120
		.amdhsa_user_sgpr_count 2
		.amdhsa_user_sgpr_dispatch_ptr 0
		.amdhsa_user_sgpr_queue_ptr 0
		.amdhsa_user_sgpr_kernarg_segment_ptr 1
		.amdhsa_user_sgpr_dispatch_id 0
		.amdhsa_user_sgpr_kernarg_preload_length 0
		.amdhsa_user_sgpr_kernarg_preload_offset 0
		.amdhsa_user_sgpr_private_segment_size 0
		.amdhsa_uses_dynamic_stack 0
		.amdhsa_enable_private_segment 0
		.amdhsa_system_sgpr_workgroup_id_x 1
		.amdhsa_system_sgpr_workgroup_id_y 0
		.amdhsa_system_sgpr_workgroup_id_z 0
		.amdhsa_system_sgpr_workgroup_info 0
		.amdhsa_system_vgpr_workitem_id 0
		.amdhsa_next_free_vgpr 1
		.amdhsa_next_free_sgpr 0
		.amdhsa_accum_offset 4
		.amdhsa_reserve_vcc 0
		.amdhsa_float_round_mode_32 0
		.amdhsa_float_round_mode_16_64 0
		.amdhsa_float_denorm_mode_32 3
		.amdhsa_float_denorm_mode_16_64 3
		.amdhsa_dx10_clamp 1
		.amdhsa_ieee_mode 1
		.amdhsa_fp16_overflow 0
		.amdhsa_tg_split 0
		.amdhsa_exception_fp_ieee_invalid_op 0
		.amdhsa_exception_fp_denorm_src 0
		.amdhsa_exception_fp_ieee_div_zero 0
		.amdhsa_exception_fp_ieee_overflow 0
		.amdhsa_exception_fp_ieee_underflow 0
		.amdhsa_exception_fp_ieee_inexact 0
		.amdhsa_exception_int_div_zero 0
	.end_amdhsa_kernel
	.section	.text._ZN7rocprim17ROCPRIM_400000_NS6detail17trampoline_kernelINS0_14default_configENS1_25partition_config_selectorILNS1_17partition_subalgoE9EllbEEZZNS1_14partition_implILS5_9ELb0ES3_jPlS8_PNS0_10empty_typeENS0_5tupleIJS8_S9_EEENSB_IJS8_SA_EEENS0_18inequality_wrapperIZN2at6native12_GLOBAL__N_124unique_dim_cuda_templateIjEESt5tupleIJNSF_6TensorESK_SK_EERKSK_lbbbEUlllE0_EEPmJS9_EEE10hipError_tPvRmT3_T4_T5_T6_T7_T9_mT8_P12ihipStream_tbDpT10_ENKUlT_T0_E_clISt17integral_constantIbLb1EES19_IbLb0EEEEDaS15_S16_EUlS15_E_NS1_11comp_targetILNS1_3genE2ELNS1_11target_archE906ELNS1_3gpuE6ELNS1_3repE0EEENS1_30default_config_static_selectorELNS0_4arch9wavefront6targetE1EEEvT1_,"axG",@progbits,_ZN7rocprim17ROCPRIM_400000_NS6detail17trampoline_kernelINS0_14default_configENS1_25partition_config_selectorILNS1_17partition_subalgoE9EllbEEZZNS1_14partition_implILS5_9ELb0ES3_jPlS8_PNS0_10empty_typeENS0_5tupleIJS8_S9_EEENSB_IJS8_SA_EEENS0_18inequality_wrapperIZN2at6native12_GLOBAL__N_124unique_dim_cuda_templateIjEESt5tupleIJNSF_6TensorESK_SK_EERKSK_lbbbEUlllE0_EEPmJS9_EEE10hipError_tPvRmT3_T4_T5_T6_T7_T9_mT8_P12ihipStream_tbDpT10_ENKUlT_T0_E_clISt17integral_constantIbLb1EES19_IbLb0EEEEDaS15_S16_EUlS15_E_NS1_11comp_targetILNS1_3genE2ELNS1_11target_archE906ELNS1_3gpuE6ELNS1_3repE0EEENS1_30default_config_static_selectorELNS0_4arch9wavefront6targetE1EEEvT1_,comdat
.Lfunc_end1603:
	.size	_ZN7rocprim17ROCPRIM_400000_NS6detail17trampoline_kernelINS0_14default_configENS1_25partition_config_selectorILNS1_17partition_subalgoE9EllbEEZZNS1_14partition_implILS5_9ELb0ES3_jPlS8_PNS0_10empty_typeENS0_5tupleIJS8_S9_EEENSB_IJS8_SA_EEENS0_18inequality_wrapperIZN2at6native12_GLOBAL__N_124unique_dim_cuda_templateIjEESt5tupleIJNSF_6TensorESK_SK_EERKSK_lbbbEUlllE0_EEPmJS9_EEE10hipError_tPvRmT3_T4_T5_T6_T7_T9_mT8_P12ihipStream_tbDpT10_ENKUlT_T0_E_clISt17integral_constantIbLb1EES19_IbLb0EEEEDaS15_S16_EUlS15_E_NS1_11comp_targetILNS1_3genE2ELNS1_11target_archE906ELNS1_3gpuE6ELNS1_3repE0EEENS1_30default_config_static_selectorELNS0_4arch9wavefront6targetE1EEEvT1_, .Lfunc_end1603-_ZN7rocprim17ROCPRIM_400000_NS6detail17trampoline_kernelINS0_14default_configENS1_25partition_config_selectorILNS1_17partition_subalgoE9EllbEEZZNS1_14partition_implILS5_9ELb0ES3_jPlS8_PNS0_10empty_typeENS0_5tupleIJS8_S9_EEENSB_IJS8_SA_EEENS0_18inequality_wrapperIZN2at6native12_GLOBAL__N_124unique_dim_cuda_templateIjEESt5tupleIJNSF_6TensorESK_SK_EERKSK_lbbbEUlllE0_EEPmJS9_EEE10hipError_tPvRmT3_T4_T5_T6_T7_T9_mT8_P12ihipStream_tbDpT10_ENKUlT_T0_E_clISt17integral_constantIbLb1EES19_IbLb0EEEEDaS15_S16_EUlS15_E_NS1_11comp_targetILNS1_3genE2ELNS1_11target_archE906ELNS1_3gpuE6ELNS1_3repE0EEENS1_30default_config_static_selectorELNS0_4arch9wavefront6targetE1EEEvT1_
                                        ; -- End function
	.section	.AMDGPU.csdata,"",@progbits
; Kernel info:
; codeLenInByte = 0
; NumSgprs: 6
; NumVgprs: 0
; NumAgprs: 0
; TotalNumVgprs: 0
; ScratchSize: 0
; MemoryBound: 0
; FloatMode: 240
; IeeeMode: 1
; LDSByteSize: 0 bytes/workgroup (compile time only)
; SGPRBlocks: 0
; VGPRBlocks: 0
; NumSGPRsForWavesPerEU: 6
; NumVGPRsForWavesPerEU: 1
; AccumOffset: 4
; Occupancy: 8
; WaveLimiterHint : 0
; COMPUTE_PGM_RSRC2:SCRATCH_EN: 0
; COMPUTE_PGM_RSRC2:USER_SGPR: 2
; COMPUTE_PGM_RSRC2:TRAP_HANDLER: 0
; COMPUTE_PGM_RSRC2:TGID_X_EN: 1
; COMPUTE_PGM_RSRC2:TGID_Y_EN: 0
; COMPUTE_PGM_RSRC2:TGID_Z_EN: 0
; COMPUTE_PGM_RSRC2:TIDIG_COMP_CNT: 0
; COMPUTE_PGM_RSRC3_GFX90A:ACCUM_OFFSET: 0
; COMPUTE_PGM_RSRC3_GFX90A:TG_SPLIT: 0
	.section	.text._ZN7rocprim17ROCPRIM_400000_NS6detail17trampoline_kernelINS0_14default_configENS1_25partition_config_selectorILNS1_17partition_subalgoE9EllbEEZZNS1_14partition_implILS5_9ELb0ES3_jPlS8_PNS0_10empty_typeENS0_5tupleIJS8_S9_EEENSB_IJS8_SA_EEENS0_18inequality_wrapperIZN2at6native12_GLOBAL__N_124unique_dim_cuda_templateIjEESt5tupleIJNSF_6TensorESK_SK_EERKSK_lbbbEUlllE0_EEPmJS9_EEE10hipError_tPvRmT3_T4_T5_T6_T7_T9_mT8_P12ihipStream_tbDpT10_ENKUlT_T0_E_clISt17integral_constantIbLb1EES19_IbLb0EEEEDaS15_S16_EUlS15_E_NS1_11comp_targetILNS1_3genE10ELNS1_11target_archE1200ELNS1_3gpuE4ELNS1_3repE0EEENS1_30default_config_static_selectorELNS0_4arch9wavefront6targetE1EEEvT1_,"axG",@progbits,_ZN7rocprim17ROCPRIM_400000_NS6detail17trampoline_kernelINS0_14default_configENS1_25partition_config_selectorILNS1_17partition_subalgoE9EllbEEZZNS1_14partition_implILS5_9ELb0ES3_jPlS8_PNS0_10empty_typeENS0_5tupleIJS8_S9_EEENSB_IJS8_SA_EEENS0_18inequality_wrapperIZN2at6native12_GLOBAL__N_124unique_dim_cuda_templateIjEESt5tupleIJNSF_6TensorESK_SK_EERKSK_lbbbEUlllE0_EEPmJS9_EEE10hipError_tPvRmT3_T4_T5_T6_T7_T9_mT8_P12ihipStream_tbDpT10_ENKUlT_T0_E_clISt17integral_constantIbLb1EES19_IbLb0EEEEDaS15_S16_EUlS15_E_NS1_11comp_targetILNS1_3genE10ELNS1_11target_archE1200ELNS1_3gpuE4ELNS1_3repE0EEENS1_30default_config_static_selectorELNS0_4arch9wavefront6targetE1EEEvT1_,comdat
	.globl	_ZN7rocprim17ROCPRIM_400000_NS6detail17trampoline_kernelINS0_14default_configENS1_25partition_config_selectorILNS1_17partition_subalgoE9EllbEEZZNS1_14partition_implILS5_9ELb0ES3_jPlS8_PNS0_10empty_typeENS0_5tupleIJS8_S9_EEENSB_IJS8_SA_EEENS0_18inequality_wrapperIZN2at6native12_GLOBAL__N_124unique_dim_cuda_templateIjEESt5tupleIJNSF_6TensorESK_SK_EERKSK_lbbbEUlllE0_EEPmJS9_EEE10hipError_tPvRmT3_T4_T5_T6_T7_T9_mT8_P12ihipStream_tbDpT10_ENKUlT_T0_E_clISt17integral_constantIbLb1EES19_IbLb0EEEEDaS15_S16_EUlS15_E_NS1_11comp_targetILNS1_3genE10ELNS1_11target_archE1200ELNS1_3gpuE4ELNS1_3repE0EEENS1_30default_config_static_selectorELNS0_4arch9wavefront6targetE1EEEvT1_ ; -- Begin function _ZN7rocprim17ROCPRIM_400000_NS6detail17trampoline_kernelINS0_14default_configENS1_25partition_config_selectorILNS1_17partition_subalgoE9EllbEEZZNS1_14partition_implILS5_9ELb0ES3_jPlS8_PNS0_10empty_typeENS0_5tupleIJS8_S9_EEENSB_IJS8_SA_EEENS0_18inequality_wrapperIZN2at6native12_GLOBAL__N_124unique_dim_cuda_templateIjEESt5tupleIJNSF_6TensorESK_SK_EERKSK_lbbbEUlllE0_EEPmJS9_EEE10hipError_tPvRmT3_T4_T5_T6_T7_T9_mT8_P12ihipStream_tbDpT10_ENKUlT_T0_E_clISt17integral_constantIbLb1EES19_IbLb0EEEEDaS15_S16_EUlS15_E_NS1_11comp_targetILNS1_3genE10ELNS1_11target_archE1200ELNS1_3gpuE4ELNS1_3repE0EEENS1_30default_config_static_selectorELNS0_4arch9wavefront6targetE1EEEvT1_
	.p2align	8
	.type	_ZN7rocprim17ROCPRIM_400000_NS6detail17trampoline_kernelINS0_14default_configENS1_25partition_config_selectorILNS1_17partition_subalgoE9EllbEEZZNS1_14partition_implILS5_9ELb0ES3_jPlS8_PNS0_10empty_typeENS0_5tupleIJS8_S9_EEENSB_IJS8_SA_EEENS0_18inequality_wrapperIZN2at6native12_GLOBAL__N_124unique_dim_cuda_templateIjEESt5tupleIJNSF_6TensorESK_SK_EERKSK_lbbbEUlllE0_EEPmJS9_EEE10hipError_tPvRmT3_T4_T5_T6_T7_T9_mT8_P12ihipStream_tbDpT10_ENKUlT_T0_E_clISt17integral_constantIbLb1EES19_IbLb0EEEEDaS15_S16_EUlS15_E_NS1_11comp_targetILNS1_3genE10ELNS1_11target_archE1200ELNS1_3gpuE4ELNS1_3repE0EEENS1_30default_config_static_selectorELNS0_4arch9wavefront6targetE1EEEvT1_,@function
_ZN7rocprim17ROCPRIM_400000_NS6detail17trampoline_kernelINS0_14default_configENS1_25partition_config_selectorILNS1_17partition_subalgoE9EllbEEZZNS1_14partition_implILS5_9ELb0ES3_jPlS8_PNS0_10empty_typeENS0_5tupleIJS8_S9_EEENSB_IJS8_SA_EEENS0_18inequality_wrapperIZN2at6native12_GLOBAL__N_124unique_dim_cuda_templateIjEESt5tupleIJNSF_6TensorESK_SK_EERKSK_lbbbEUlllE0_EEPmJS9_EEE10hipError_tPvRmT3_T4_T5_T6_T7_T9_mT8_P12ihipStream_tbDpT10_ENKUlT_T0_E_clISt17integral_constantIbLb1EES19_IbLb0EEEEDaS15_S16_EUlS15_E_NS1_11comp_targetILNS1_3genE10ELNS1_11target_archE1200ELNS1_3gpuE4ELNS1_3repE0EEENS1_30default_config_static_selectorELNS0_4arch9wavefront6targetE1EEEvT1_: ; @_ZN7rocprim17ROCPRIM_400000_NS6detail17trampoline_kernelINS0_14default_configENS1_25partition_config_selectorILNS1_17partition_subalgoE9EllbEEZZNS1_14partition_implILS5_9ELb0ES3_jPlS8_PNS0_10empty_typeENS0_5tupleIJS8_S9_EEENSB_IJS8_SA_EEENS0_18inequality_wrapperIZN2at6native12_GLOBAL__N_124unique_dim_cuda_templateIjEESt5tupleIJNSF_6TensorESK_SK_EERKSK_lbbbEUlllE0_EEPmJS9_EEE10hipError_tPvRmT3_T4_T5_T6_T7_T9_mT8_P12ihipStream_tbDpT10_ENKUlT_T0_E_clISt17integral_constantIbLb1EES19_IbLb0EEEEDaS15_S16_EUlS15_E_NS1_11comp_targetILNS1_3genE10ELNS1_11target_archE1200ELNS1_3gpuE4ELNS1_3repE0EEENS1_30default_config_static_selectorELNS0_4arch9wavefront6targetE1EEEvT1_
; %bb.0:
	.section	.rodata,"a",@progbits
	.p2align	6, 0x0
	.amdhsa_kernel _ZN7rocprim17ROCPRIM_400000_NS6detail17trampoline_kernelINS0_14default_configENS1_25partition_config_selectorILNS1_17partition_subalgoE9EllbEEZZNS1_14partition_implILS5_9ELb0ES3_jPlS8_PNS0_10empty_typeENS0_5tupleIJS8_S9_EEENSB_IJS8_SA_EEENS0_18inequality_wrapperIZN2at6native12_GLOBAL__N_124unique_dim_cuda_templateIjEESt5tupleIJNSF_6TensorESK_SK_EERKSK_lbbbEUlllE0_EEPmJS9_EEE10hipError_tPvRmT3_T4_T5_T6_T7_T9_mT8_P12ihipStream_tbDpT10_ENKUlT_T0_E_clISt17integral_constantIbLb1EES19_IbLb0EEEEDaS15_S16_EUlS15_E_NS1_11comp_targetILNS1_3genE10ELNS1_11target_archE1200ELNS1_3gpuE4ELNS1_3repE0EEENS1_30default_config_static_selectorELNS0_4arch9wavefront6targetE1EEEvT1_
		.amdhsa_group_segment_fixed_size 0
		.amdhsa_private_segment_fixed_size 0
		.amdhsa_kernarg_size 120
		.amdhsa_user_sgpr_count 2
		.amdhsa_user_sgpr_dispatch_ptr 0
		.amdhsa_user_sgpr_queue_ptr 0
		.amdhsa_user_sgpr_kernarg_segment_ptr 1
		.amdhsa_user_sgpr_dispatch_id 0
		.amdhsa_user_sgpr_kernarg_preload_length 0
		.amdhsa_user_sgpr_kernarg_preload_offset 0
		.amdhsa_user_sgpr_private_segment_size 0
		.amdhsa_uses_dynamic_stack 0
		.amdhsa_enable_private_segment 0
		.amdhsa_system_sgpr_workgroup_id_x 1
		.amdhsa_system_sgpr_workgroup_id_y 0
		.amdhsa_system_sgpr_workgroup_id_z 0
		.amdhsa_system_sgpr_workgroup_info 0
		.amdhsa_system_vgpr_workitem_id 0
		.amdhsa_next_free_vgpr 1
		.amdhsa_next_free_sgpr 0
		.amdhsa_accum_offset 4
		.amdhsa_reserve_vcc 0
		.amdhsa_float_round_mode_32 0
		.amdhsa_float_round_mode_16_64 0
		.amdhsa_float_denorm_mode_32 3
		.amdhsa_float_denorm_mode_16_64 3
		.amdhsa_dx10_clamp 1
		.amdhsa_ieee_mode 1
		.amdhsa_fp16_overflow 0
		.amdhsa_tg_split 0
		.amdhsa_exception_fp_ieee_invalid_op 0
		.amdhsa_exception_fp_denorm_src 0
		.amdhsa_exception_fp_ieee_div_zero 0
		.amdhsa_exception_fp_ieee_overflow 0
		.amdhsa_exception_fp_ieee_underflow 0
		.amdhsa_exception_fp_ieee_inexact 0
		.amdhsa_exception_int_div_zero 0
	.end_amdhsa_kernel
	.section	.text._ZN7rocprim17ROCPRIM_400000_NS6detail17trampoline_kernelINS0_14default_configENS1_25partition_config_selectorILNS1_17partition_subalgoE9EllbEEZZNS1_14partition_implILS5_9ELb0ES3_jPlS8_PNS0_10empty_typeENS0_5tupleIJS8_S9_EEENSB_IJS8_SA_EEENS0_18inequality_wrapperIZN2at6native12_GLOBAL__N_124unique_dim_cuda_templateIjEESt5tupleIJNSF_6TensorESK_SK_EERKSK_lbbbEUlllE0_EEPmJS9_EEE10hipError_tPvRmT3_T4_T5_T6_T7_T9_mT8_P12ihipStream_tbDpT10_ENKUlT_T0_E_clISt17integral_constantIbLb1EES19_IbLb0EEEEDaS15_S16_EUlS15_E_NS1_11comp_targetILNS1_3genE10ELNS1_11target_archE1200ELNS1_3gpuE4ELNS1_3repE0EEENS1_30default_config_static_selectorELNS0_4arch9wavefront6targetE1EEEvT1_,"axG",@progbits,_ZN7rocprim17ROCPRIM_400000_NS6detail17trampoline_kernelINS0_14default_configENS1_25partition_config_selectorILNS1_17partition_subalgoE9EllbEEZZNS1_14partition_implILS5_9ELb0ES3_jPlS8_PNS0_10empty_typeENS0_5tupleIJS8_S9_EEENSB_IJS8_SA_EEENS0_18inequality_wrapperIZN2at6native12_GLOBAL__N_124unique_dim_cuda_templateIjEESt5tupleIJNSF_6TensorESK_SK_EERKSK_lbbbEUlllE0_EEPmJS9_EEE10hipError_tPvRmT3_T4_T5_T6_T7_T9_mT8_P12ihipStream_tbDpT10_ENKUlT_T0_E_clISt17integral_constantIbLb1EES19_IbLb0EEEEDaS15_S16_EUlS15_E_NS1_11comp_targetILNS1_3genE10ELNS1_11target_archE1200ELNS1_3gpuE4ELNS1_3repE0EEENS1_30default_config_static_selectorELNS0_4arch9wavefront6targetE1EEEvT1_,comdat
.Lfunc_end1604:
	.size	_ZN7rocprim17ROCPRIM_400000_NS6detail17trampoline_kernelINS0_14default_configENS1_25partition_config_selectorILNS1_17partition_subalgoE9EllbEEZZNS1_14partition_implILS5_9ELb0ES3_jPlS8_PNS0_10empty_typeENS0_5tupleIJS8_S9_EEENSB_IJS8_SA_EEENS0_18inequality_wrapperIZN2at6native12_GLOBAL__N_124unique_dim_cuda_templateIjEESt5tupleIJNSF_6TensorESK_SK_EERKSK_lbbbEUlllE0_EEPmJS9_EEE10hipError_tPvRmT3_T4_T5_T6_T7_T9_mT8_P12ihipStream_tbDpT10_ENKUlT_T0_E_clISt17integral_constantIbLb1EES19_IbLb0EEEEDaS15_S16_EUlS15_E_NS1_11comp_targetILNS1_3genE10ELNS1_11target_archE1200ELNS1_3gpuE4ELNS1_3repE0EEENS1_30default_config_static_selectorELNS0_4arch9wavefront6targetE1EEEvT1_, .Lfunc_end1604-_ZN7rocprim17ROCPRIM_400000_NS6detail17trampoline_kernelINS0_14default_configENS1_25partition_config_selectorILNS1_17partition_subalgoE9EllbEEZZNS1_14partition_implILS5_9ELb0ES3_jPlS8_PNS0_10empty_typeENS0_5tupleIJS8_S9_EEENSB_IJS8_SA_EEENS0_18inequality_wrapperIZN2at6native12_GLOBAL__N_124unique_dim_cuda_templateIjEESt5tupleIJNSF_6TensorESK_SK_EERKSK_lbbbEUlllE0_EEPmJS9_EEE10hipError_tPvRmT3_T4_T5_T6_T7_T9_mT8_P12ihipStream_tbDpT10_ENKUlT_T0_E_clISt17integral_constantIbLb1EES19_IbLb0EEEEDaS15_S16_EUlS15_E_NS1_11comp_targetILNS1_3genE10ELNS1_11target_archE1200ELNS1_3gpuE4ELNS1_3repE0EEENS1_30default_config_static_selectorELNS0_4arch9wavefront6targetE1EEEvT1_
                                        ; -- End function
	.section	.AMDGPU.csdata,"",@progbits
; Kernel info:
; codeLenInByte = 0
; NumSgprs: 6
; NumVgprs: 0
; NumAgprs: 0
; TotalNumVgprs: 0
; ScratchSize: 0
; MemoryBound: 0
; FloatMode: 240
; IeeeMode: 1
; LDSByteSize: 0 bytes/workgroup (compile time only)
; SGPRBlocks: 0
; VGPRBlocks: 0
; NumSGPRsForWavesPerEU: 6
; NumVGPRsForWavesPerEU: 1
; AccumOffset: 4
; Occupancy: 8
; WaveLimiterHint : 0
; COMPUTE_PGM_RSRC2:SCRATCH_EN: 0
; COMPUTE_PGM_RSRC2:USER_SGPR: 2
; COMPUTE_PGM_RSRC2:TRAP_HANDLER: 0
; COMPUTE_PGM_RSRC2:TGID_X_EN: 1
; COMPUTE_PGM_RSRC2:TGID_Y_EN: 0
; COMPUTE_PGM_RSRC2:TGID_Z_EN: 0
; COMPUTE_PGM_RSRC2:TIDIG_COMP_CNT: 0
; COMPUTE_PGM_RSRC3_GFX90A:ACCUM_OFFSET: 0
; COMPUTE_PGM_RSRC3_GFX90A:TG_SPLIT: 0
	.section	.text._ZN7rocprim17ROCPRIM_400000_NS6detail17trampoline_kernelINS0_14default_configENS1_25partition_config_selectorILNS1_17partition_subalgoE9EllbEEZZNS1_14partition_implILS5_9ELb0ES3_jPlS8_PNS0_10empty_typeENS0_5tupleIJS8_S9_EEENSB_IJS8_SA_EEENS0_18inequality_wrapperIZN2at6native12_GLOBAL__N_124unique_dim_cuda_templateIjEESt5tupleIJNSF_6TensorESK_SK_EERKSK_lbbbEUlllE0_EEPmJS9_EEE10hipError_tPvRmT3_T4_T5_T6_T7_T9_mT8_P12ihipStream_tbDpT10_ENKUlT_T0_E_clISt17integral_constantIbLb1EES19_IbLb0EEEEDaS15_S16_EUlS15_E_NS1_11comp_targetILNS1_3genE9ELNS1_11target_archE1100ELNS1_3gpuE3ELNS1_3repE0EEENS1_30default_config_static_selectorELNS0_4arch9wavefront6targetE1EEEvT1_,"axG",@progbits,_ZN7rocprim17ROCPRIM_400000_NS6detail17trampoline_kernelINS0_14default_configENS1_25partition_config_selectorILNS1_17partition_subalgoE9EllbEEZZNS1_14partition_implILS5_9ELb0ES3_jPlS8_PNS0_10empty_typeENS0_5tupleIJS8_S9_EEENSB_IJS8_SA_EEENS0_18inequality_wrapperIZN2at6native12_GLOBAL__N_124unique_dim_cuda_templateIjEESt5tupleIJNSF_6TensorESK_SK_EERKSK_lbbbEUlllE0_EEPmJS9_EEE10hipError_tPvRmT3_T4_T5_T6_T7_T9_mT8_P12ihipStream_tbDpT10_ENKUlT_T0_E_clISt17integral_constantIbLb1EES19_IbLb0EEEEDaS15_S16_EUlS15_E_NS1_11comp_targetILNS1_3genE9ELNS1_11target_archE1100ELNS1_3gpuE3ELNS1_3repE0EEENS1_30default_config_static_selectorELNS0_4arch9wavefront6targetE1EEEvT1_,comdat
	.globl	_ZN7rocprim17ROCPRIM_400000_NS6detail17trampoline_kernelINS0_14default_configENS1_25partition_config_selectorILNS1_17partition_subalgoE9EllbEEZZNS1_14partition_implILS5_9ELb0ES3_jPlS8_PNS0_10empty_typeENS0_5tupleIJS8_S9_EEENSB_IJS8_SA_EEENS0_18inequality_wrapperIZN2at6native12_GLOBAL__N_124unique_dim_cuda_templateIjEESt5tupleIJNSF_6TensorESK_SK_EERKSK_lbbbEUlllE0_EEPmJS9_EEE10hipError_tPvRmT3_T4_T5_T6_T7_T9_mT8_P12ihipStream_tbDpT10_ENKUlT_T0_E_clISt17integral_constantIbLb1EES19_IbLb0EEEEDaS15_S16_EUlS15_E_NS1_11comp_targetILNS1_3genE9ELNS1_11target_archE1100ELNS1_3gpuE3ELNS1_3repE0EEENS1_30default_config_static_selectorELNS0_4arch9wavefront6targetE1EEEvT1_ ; -- Begin function _ZN7rocprim17ROCPRIM_400000_NS6detail17trampoline_kernelINS0_14default_configENS1_25partition_config_selectorILNS1_17partition_subalgoE9EllbEEZZNS1_14partition_implILS5_9ELb0ES3_jPlS8_PNS0_10empty_typeENS0_5tupleIJS8_S9_EEENSB_IJS8_SA_EEENS0_18inequality_wrapperIZN2at6native12_GLOBAL__N_124unique_dim_cuda_templateIjEESt5tupleIJNSF_6TensorESK_SK_EERKSK_lbbbEUlllE0_EEPmJS9_EEE10hipError_tPvRmT3_T4_T5_T6_T7_T9_mT8_P12ihipStream_tbDpT10_ENKUlT_T0_E_clISt17integral_constantIbLb1EES19_IbLb0EEEEDaS15_S16_EUlS15_E_NS1_11comp_targetILNS1_3genE9ELNS1_11target_archE1100ELNS1_3gpuE3ELNS1_3repE0EEENS1_30default_config_static_selectorELNS0_4arch9wavefront6targetE1EEEvT1_
	.p2align	8
	.type	_ZN7rocprim17ROCPRIM_400000_NS6detail17trampoline_kernelINS0_14default_configENS1_25partition_config_selectorILNS1_17partition_subalgoE9EllbEEZZNS1_14partition_implILS5_9ELb0ES3_jPlS8_PNS0_10empty_typeENS0_5tupleIJS8_S9_EEENSB_IJS8_SA_EEENS0_18inequality_wrapperIZN2at6native12_GLOBAL__N_124unique_dim_cuda_templateIjEESt5tupleIJNSF_6TensorESK_SK_EERKSK_lbbbEUlllE0_EEPmJS9_EEE10hipError_tPvRmT3_T4_T5_T6_T7_T9_mT8_P12ihipStream_tbDpT10_ENKUlT_T0_E_clISt17integral_constantIbLb1EES19_IbLb0EEEEDaS15_S16_EUlS15_E_NS1_11comp_targetILNS1_3genE9ELNS1_11target_archE1100ELNS1_3gpuE3ELNS1_3repE0EEENS1_30default_config_static_selectorELNS0_4arch9wavefront6targetE1EEEvT1_,@function
_ZN7rocprim17ROCPRIM_400000_NS6detail17trampoline_kernelINS0_14default_configENS1_25partition_config_selectorILNS1_17partition_subalgoE9EllbEEZZNS1_14partition_implILS5_9ELb0ES3_jPlS8_PNS0_10empty_typeENS0_5tupleIJS8_S9_EEENSB_IJS8_SA_EEENS0_18inequality_wrapperIZN2at6native12_GLOBAL__N_124unique_dim_cuda_templateIjEESt5tupleIJNSF_6TensorESK_SK_EERKSK_lbbbEUlllE0_EEPmJS9_EEE10hipError_tPvRmT3_T4_T5_T6_T7_T9_mT8_P12ihipStream_tbDpT10_ENKUlT_T0_E_clISt17integral_constantIbLb1EES19_IbLb0EEEEDaS15_S16_EUlS15_E_NS1_11comp_targetILNS1_3genE9ELNS1_11target_archE1100ELNS1_3gpuE3ELNS1_3repE0EEENS1_30default_config_static_selectorELNS0_4arch9wavefront6targetE1EEEvT1_: ; @_ZN7rocprim17ROCPRIM_400000_NS6detail17trampoline_kernelINS0_14default_configENS1_25partition_config_selectorILNS1_17partition_subalgoE9EllbEEZZNS1_14partition_implILS5_9ELb0ES3_jPlS8_PNS0_10empty_typeENS0_5tupleIJS8_S9_EEENSB_IJS8_SA_EEENS0_18inequality_wrapperIZN2at6native12_GLOBAL__N_124unique_dim_cuda_templateIjEESt5tupleIJNSF_6TensorESK_SK_EERKSK_lbbbEUlllE0_EEPmJS9_EEE10hipError_tPvRmT3_T4_T5_T6_T7_T9_mT8_P12ihipStream_tbDpT10_ENKUlT_T0_E_clISt17integral_constantIbLb1EES19_IbLb0EEEEDaS15_S16_EUlS15_E_NS1_11comp_targetILNS1_3genE9ELNS1_11target_archE1100ELNS1_3gpuE3ELNS1_3repE0EEENS1_30default_config_static_selectorELNS0_4arch9wavefront6targetE1EEEvT1_
; %bb.0:
	.section	.rodata,"a",@progbits
	.p2align	6, 0x0
	.amdhsa_kernel _ZN7rocprim17ROCPRIM_400000_NS6detail17trampoline_kernelINS0_14default_configENS1_25partition_config_selectorILNS1_17partition_subalgoE9EllbEEZZNS1_14partition_implILS5_9ELb0ES3_jPlS8_PNS0_10empty_typeENS0_5tupleIJS8_S9_EEENSB_IJS8_SA_EEENS0_18inequality_wrapperIZN2at6native12_GLOBAL__N_124unique_dim_cuda_templateIjEESt5tupleIJNSF_6TensorESK_SK_EERKSK_lbbbEUlllE0_EEPmJS9_EEE10hipError_tPvRmT3_T4_T5_T6_T7_T9_mT8_P12ihipStream_tbDpT10_ENKUlT_T0_E_clISt17integral_constantIbLb1EES19_IbLb0EEEEDaS15_S16_EUlS15_E_NS1_11comp_targetILNS1_3genE9ELNS1_11target_archE1100ELNS1_3gpuE3ELNS1_3repE0EEENS1_30default_config_static_selectorELNS0_4arch9wavefront6targetE1EEEvT1_
		.amdhsa_group_segment_fixed_size 0
		.amdhsa_private_segment_fixed_size 0
		.amdhsa_kernarg_size 120
		.amdhsa_user_sgpr_count 2
		.amdhsa_user_sgpr_dispatch_ptr 0
		.amdhsa_user_sgpr_queue_ptr 0
		.amdhsa_user_sgpr_kernarg_segment_ptr 1
		.amdhsa_user_sgpr_dispatch_id 0
		.amdhsa_user_sgpr_kernarg_preload_length 0
		.amdhsa_user_sgpr_kernarg_preload_offset 0
		.amdhsa_user_sgpr_private_segment_size 0
		.amdhsa_uses_dynamic_stack 0
		.amdhsa_enable_private_segment 0
		.amdhsa_system_sgpr_workgroup_id_x 1
		.amdhsa_system_sgpr_workgroup_id_y 0
		.amdhsa_system_sgpr_workgroup_id_z 0
		.amdhsa_system_sgpr_workgroup_info 0
		.amdhsa_system_vgpr_workitem_id 0
		.amdhsa_next_free_vgpr 1
		.amdhsa_next_free_sgpr 0
		.amdhsa_accum_offset 4
		.amdhsa_reserve_vcc 0
		.amdhsa_float_round_mode_32 0
		.amdhsa_float_round_mode_16_64 0
		.amdhsa_float_denorm_mode_32 3
		.amdhsa_float_denorm_mode_16_64 3
		.amdhsa_dx10_clamp 1
		.amdhsa_ieee_mode 1
		.amdhsa_fp16_overflow 0
		.amdhsa_tg_split 0
		.amdhsa_exception_fp_ieee_invalid_op 0
		.amdhsa_exception_fp_denorm_src 0
		.amdhsa_exception_fp_ieee_div_zero 0
		.amdhsa_exception_fp_ieee_overflow 0
		.amdhsa_exception_fp_ieee_underflow 0
		.amdhsa_exception_fp_ieee_inexact 0
		.amdhsa_exception_int_div_zero 0
	.end_amdhsa_kernel
	.section	.text._ZN7rocprim17ROCPRIM_400000_NS6detail17trampoline_kernelINS0_14default_configENS1_25partition_config_selectorILNS1_17partition_subalgoE9EllbEEZZNS1_14partition_implILS5_9ELb0ES3_jPlS8_PNS0_10empty_typeENS0_5tupleIJS8_S9_EEENSB_IJS8_SA_EEENS0_18inequality_wrapperIZN2at6native12_GLOBAL__N_124unique_dim_cuda_templateIjEESt5tupleIJNSF_6TensorESK_SK_EERKSK_lbbbEUlllE0_EEPmJS9_EEE10hipError_tPvRmT3_T4_T5_T6_T7_T9_mT8_P12ihipStream_tbDpT10_ENKUlT_T0_E_clISt17integral_constantIbLb1EES19_IbLb0EEEEDaS15_S16_EUlS15_E_NS1_11comp_targetILNS1_3genE9ELNS1_11target_archE1100ELNS1_3gpuE3ELNS1_3repE0EEENS1_30default_config_static_selectorELNS0_4arch9wavefront6targetE1EEEvT1_,"axG",@progbits,_ZN7rocprim17ROCPRIM_400000_NS6detail17trampoline_kernelINS0_14default_configENS1_25partition_config_selectorILNS1_17partition_subalgoE9EllbEEZZNS1_14partition_implILS5_9ELb0ES3_jPlS8_PNS0_10empty_typeENS0_5tupleIJS8_S9_EEENSB_IJS8_SA_EEENS0_18inequality_wrapperIZN2at6native12_GLOBAL__N_124unique_dim_cuda_templateIjEESt5tupleIJNSF_6TensorESK_SK_EERKSK_lbbbEUlllE0_EEPmJS9_EEE10hipError_tPvRmT3_T4_T5_T6_T7_T9_mT8_P12ihipStream_tbDpT10_ENKUlT_T0_E_clISt17integral_constantIbLb1EES19_IbLb0EEEEDaS15_S16_EUlS15_E_NS1_11comp_targetILNS1_3genE9ELNS1_11target_archE1100ELNS1_3gpuE3ELNS1_3repE0EEENS1_30default_config_static_selectorELNS0_4arch9wavefront6targetE1EEEvT1_,comdat
.Lfunc_end1605:
	.size	_ZN7rocprim17ROCPRIM_400000_NS6detail17trampoline_kernelINS0_14default_configENS1_25partition_config_selectorILNS1_17partition_subalgoE9EllbEEZZNS1_14partition_implILS5_9ELb0ES3_jPlS8_PNS0_10empty_typeENS0_5tupleIJS8_S9_EEENSB_IJS8_SA_EEENS0_18inequality_wrapperIZN2at6native12_GLOBAL__N_124unique_dim_cuda_templateIjEESt5tupleIJNSF_6TensorESK_SK_EERKSK_lbbbEUlllE0_EEPmJS9_EEE10hipError_tPvRmT3_T4_T5_T6_T7_T9_mT8_P12ihipStream_tbDpT10_ENKUlT_T0_E_clISt17integral_constantIbLb1EES19_IbLb0EEEEDaS15_S16_EUlS15_E_NS1_11comp_targetILNS1_3genE9ELNS1_11target_archE1100ELNS1_3gpuE3ELNS1_3repE0EEENS1_30default_config_static_selectorELNS0_4arch9wavefront6targetE1EEEvT1_, .Lfunc_end1605-_ZN7rocprim17ROCPRIM_400000_NS6detail17trampoline_kernelINS0_14default_configENS1_25partition_config_selectorILNS1_17partition_subalgoE9EllbEEZZNS1_14partition_implILS5_9ELb0ES3_jPlS8_PNS0_10empty_typeENS0_5tupleIJS8_S9_EEENSB_IJS8_SA_EEENS0_18inequality_wrapperIZN2at6native12_GLOBAL__N_124unique_dim_cuda_templateIjEESt5tupleIJNSF_6TensorESK_SK_EERKSK_lbbbEUlllE0_EEPmJS9_EEE10hipError_tPvRmT3_T4_T5_T6_T7_T9_mT8_P12ihipStream_tbDpT10_ENKUlT_T0_E_clISt17integral_constantIbLb1EES19_IbLb0EEEEDaS15_S16_EUlS15_E_NS1_11comp_targetILNS1_3genE9ELNS1_11target_archE1100ELNS1_3gpuE3ELNS1_3repE0EEENS1_30default_config_static_selectorELNS0_4arch9wavefront6targetE1EEEvT1_
                                        ; -- End function
	.section	.AMDGPU.csdata,"",@progbits
; Kernel info:
; codeLenInByte = 0
; NumSgprs: 6
; NumVgprs: 0
; NumAgprs: 0
; TotalNumVgprs: 0
; ScratchSize: 0
; MemoryBound: 0
; FloatMode: 240
; IeeeMode: 1
; LDSByteSize: 0 bytes/workgroup (compile time only)
; SGPRBlocks: 0
; VGPRBlocks: 0
; NumSGPRsForWavesPerEU: 6
; NumVGPRsForWavesPerEU: 1
; AccumOffset: 4
; Occupancy: 8
; WaveLimiterHint : 0
; COMPUTE_PGM_RSRC2:SCRATCH_EN: 0
; COMPUTE_PGM_RSRC2:USER_SGPR: 2
; COMPUTE_PGM_RSRC2:TRAP_HANDLER: 0
; COMPUTE_PGM_RSRC2:TGID_X_EN: 1
; COMPUTE_PGM_RSRC2:TGID_Y_EN: 0
; COMPUTE_PGM_RSRC2:TGID_Z_EN: 0
; COMPUTE_PGM_RSRC2:TIDIG_COMP_CNT: 0
; COMPUTE_PGM_RSRC3_GFX90A:ACCUM_OFFSET: 0
; COMPUTE_PGM_RSRC3_GFX90A:TG_SPLIT: 0
	.section	.text._ZN7rocprim17ROCPRIM_400000_NS6detail17trampoline_kernelINS0_14default_configENS1_25partition_config_selectorILNS1_17partition_subalgoE9EllbEEZZNS1_14partition_implILS5_9ELb0ES3_jPlS8_PNS0_10empty_typeENS0_5tupleIJS8_S9_EEENSB_IJS8_SA_EEENS0_18inequality_wrapperIZN2at6native12_GLOBAL__N_124unique_dim_cuda_templateIjEESt5tupleIJNSF_6TensorESK_SK_EERKSK_lbbbEUlllE0_EEPmJS9_EEE10hipError_tPvRmT3_T4_T5_T6_T7_T9_mT8_P12ihipStream_tbDpT10_ENKUlT_T0_E_clISt17integral_constantIbLb1EES19_IbLb0EEEEDaS15_S16_EUlS15_E_NS1_11comp_targetILNS1_3genE8ELNS1_11target_archE1030ELNS1_3gpuE2ELNS1_3repE0EEENS1_30default_config_static_selectorELNS0_4arch9wavefront6targetE1EEEvT1_,"axG",@progbits,_ZN7rocprim17ROCPRIM_400000_NS6detail17trampoline_kernelINS0_14default_configENS1_25partition_config_selectorILNS1_17partition_subalgoE9EllbEEZZNS1_14partition_implILS5_9ELb0ES3_jPlS8_PNS0_10empty_typeENS0_5tupleIJS8_S9_EEENSB_IJS8_SA_EEENS0_18inequality_wrapperIZN2at6native12_GLOBAL__N_124unique_dim_cuda_templateIjEESt5tupleIJNSF_6TensorESK_SK_EERKSK_lbbbEUlllE0_EEPmJS9_EEE10hipError_tPvRmT3_T4_T5_T6_T7_T9_mT8_P12ihipStream_tbDpT10_ENKUlT_T0_E_clISt17integral_constantIbLb1EES19_IbLb0EEEEDaS15_S16_EUlS15_E_NS1_11comp_targetILNS1_3genE8ELNS1_11target_archE1030ELNS1_3gpuE2ELNS1_3repE0EEENS1_30default_config_static_selectorELNS0_4arch9wavefront6targetE1EEEvT1_,comdat
	.globl	_ZN7rocprim17ROCPRIM_400000_NS6detail17trampoline_kernelINS0_14default_configENS1_25partition_config_selectorILNS1_17partition_subalgoE9EllbEEZZNS1_14partition_implILS5_9ELb0ES3_jPlS8_PNS0_10empty_typeENS0_5tupleIJS8_S9_EEENSB_IJS8_SA_EEENS0_18inequality_wrapperIZN2at6native12_GLOBAL__N_124unique_dim_cuda_templateIjEESt5tupleIJNSF_6TensorESK_SK_EERKSK_lbbbEUlllE0_EEPmJS9_EEE10hipError_tPvRmT3_T4_T5_T6_T7_T9_mT8_P12ihipStream_tbDpT10_ENKUlT_T0_E_clISt17integral_constantIbLb1EES19_IbLb0EEEEDaS15_S16_EUlS15_E_NS1_11comp_targetILNS1_3genE8ELNS1_11target_archE1030ELNS1_3gpuE2ELNS1_3repE0EEENS1_30default_config_static_selectorELNS0_4arch9wavefront6targetE1EEEvT1_ ; -- Begin function _ZN7rocprim17ROCPRIM_400000_NS6detail17trampoline_kernelINS0_14default_configENS1_25partition_config_selectorILNS1_17partition_subalgoE9EllbEEZZNS1_14partition_implILS5_9ELb0ES3_jPlS8_PNS0_10empty_typeENS0_5tupleIJS8_S9_EEENSB_IJS8_SA_EEENS0_18inequality_wrapperIZN2at6native12_GLOBAL__N_124unique_dim_cuda_templateIjEESt5tupleIJNSF_6TensorESK_SK_EERKSK_lbbbEUlllE0_EEPmJS9_EEE10hipError_tPvRmT3_T4_T5_T6_T7_T9_mT8_P12ihipStream_tbDpT10_ENKUlT_T0_E_clISt17integral_constantIbLb1EES19_IbLb0EEEEDaS15_S16_EUlS15_E_NS1_11comp_targetILNS1_3genE8ELNS1_11target_archE1030ELNS1_3gpuE2ELNS1_3repE0EEENS1_30default_config_static_selectorELNS0_4arch9wavefront6targetE1EEEvT1_
	.p2align	8
	.type	_ZN7rocprim17ROCPRIM_400000_NS6detail17trampoline_kernelINS0_14default_configENS1_25partition_config_selectorILNS1_17partition_subalgoE9EllbEEZZNS1_14partition_implILS5_9ELb0ES3_jPlS8_PNS0_10empty_typeENS0_5tupleIJS8_S9_EEENSB_IJS8_SA_EEENS0_18inequality_wrapperIZN2at6native12_GLOBAL__N_124unique_dim_cuda_templateIjEESt5tupleIJNSF_6TensorESK_SK_EERKSK_lbbbEUlllE0_EEPmJS9_EEE10hipError_tPvRmT3_T4_T5_T6_T7_T9_mT8_P12ihipStream_tbDpT10_ENKUlT_T0_E_clISt17integral_constantIbLb1EES19_IbLb0EEEEDaS15_S16_EUlS15_E_NS1_11comp_targetILNS1_3genE8ELNS1_11target_archE1030ELNS1_3gpuE2ELNS1_3repE0EEENS1_30default_config_static_selectorELNS0_4arch9wavefront6targetE1EEEvT1_,@function
_ZN7rocprim17ROCPRIM_400000_NS6detail17trampoline_kernelINS0_14default_configENS1_25partition_config_selectorILNS1_17partition_subalgoE9EllbEEZZNS1_14partition_implILS5_9ELb0ES3_jPlS8_PNS0_10empty_typeENS0_5tupleIJS8_S9_EEENSB_IJS8_SA_EEENS0_18inequality_wrapperIZN2at6native12_GLOBAL__N_124unique_dim_cuda_templateIjEESt5tupleIJNSF_6TensorESK_SK_EERKSK_lbbbEUlllE0_EEPmJS9_EEE10hipError_tPvRmT3_T4_T5_T6_T7_T9_mT8_P12ihipStream_tbDpT10_ENKUlT_T0_E_clISt17integral_constantIbLb1EES19_IbLb0EEEEDaS15_S16_EUlS15_E_NS1_11comp_targetILNS1_3genE8ELNS1_11target_archE1030ELNS1_3gpuE2ELNS1_3repE0EEENS1_30default_config_static_selectorELNS0_4arch9wavefront6targetE1EEEvT1_: ; @_ZN7rocprim17ROCPRIM_400000_NS6detail17trampoline_kernelINS0_14default_configENS1_25partition_config_selectorILNS1_17partition_subalgoE9EllbEEZZNS1_14partition_implILS5_9ELb0ES3_jPlS8_PNS0_10empty_typeENS0_5tupleIJS8_S9_EEENSB_IJS8_SA_EEENS0_18inequality_wrapperIZN2at6native12_GLOBAL__N_124unique_dim_cuda_templateIjEESt5tupleIJNSF_6TensorESK_SK_EERKSK_lbbbEUlllE0_EEPmJS9_EEE10hipError_tPvRmT3_T4_T5_T6_T7_T9_mT8_P12ihipStream_tbDpT10_ENKUlT_T0_E_clISt17integral_constantIbLb1EES19_IbLb0EEEEDaS15_S16_EUlS15_E_NS1_11comp_targetILNS1_3genE8ELNS1_11target_archE1030ELNS1_3gpuE2ELNS1_3repE0EEENS1_30default_config_static_selectorELNS0_4arch9wavefront6targetE1EEEvT1_
; %bb.0:
	.section	.rodata,"a",@progbits
	.p2align	6, 0x0
	.amdhsa_kernel _ZN7rocprim17ROCPRIM_400000_NS6detail17trampoline_kernelINS0_14default_configENS1_25partition_config_selectorILNS1_17partition_subalgoE9EllbEEZZNS1_14partition_implILS5_9ELb0ES3_jPlS8_PNS0_10empty_typeENS0_5tupleIJS8_S9_EEENSB_IJS8_SA_EEENS0_18inequality_wrapperIZN2at6native12_GLOBAL__N_124unique_dim_cuda_templateIjEESt5tupleIJNSF_6TensorESK_SK_EERKSK_lbbbEUlllE0_EEPmJS9_EEE10hipError_tPvRmT3_T4_T5_T6_T7_T9_mT8_P12ihipStream_tbDpT10_ENKUlT_T0_E_clISt17integral_constantIbLb1EES19_IbLb0EEEEDaS15_S16_EUlS15_E_NS1_11comp_targetILNS1_3genE8ELNS1_11target_archE1030ELNS1_3gpuE2ELNS1_3repE0EEENS1_30default_config_static_selectorELNS0_4arch9wavefront6targetE1EEEvT1_
		.amdhsa_group_segment_fixed_size 0
		.amdhsa_private_segment_fixed_size 0
		.amdhsa_kernarg_size 120
		.amdhsa_user_sgpr_count 2
		.amdhsa_user_sgpr_dispatch_ptr 0
		.amdhsa_user_sgpr_queue_ptr 0
		.amdhsa_user_sgpr_kernarg_segment_ptr 1
		.amdhsa_user_sgpr_dispatch_id 0
		.amdhsa_user_sgpr_kernarg_preload_length 0
		.amdhsa_user_sgpr_kernarg_preload_offset 0
		.amdhsa_user_sgpr_private_segment_size 0
		.amdhsa_uses_dynamic_stack 0
		.amdhsa_enable_private_segment 0
		.amdhsa_system_sgpr_workgroup_id_x 1
		.amdhsa_system_sgpr_workgroup_id_y 0
		.amdhsa_system_sgpr_workgroup_id_z 0
		.amdhsa_system_sgpr_workgroup_info 0
		.amdhsa_system_vgpr_workitem_id 0
		.amdhsa_next_free_vgpr 1
		.amdhsa_next_free_sgpr 0
		.amdhsa_accum_offset 4
		.amdhsa_reserve_vcc 0
		.amdhsa_float_round_mode_32 0
		.amdhsa_float_round_mode_16_64 0
		.amdhsa_float_denorm_mode_32 3
		.amdhsa_float_denorm_mode_16_64 3
		.amdhsa_dx10_clamp 1
		.amdhsa_ieee_mode 1
		.amdhsa_fp16_overflow 0
		.amdhsa_tg_split 0
		.amdhsa_exception_fp_ieee_invalid_op 0
		.amdhsa_exception_fp_denorm_src 0
		.amdhsa_exception_fp_ieee_div_zero 0
		.amdhsa_exception_fp_ieee_overflow 0
		.amdhsa_exception_fp_ieee_underflow 0
		.amdhsa_exception_fp_ieee_inexact 0
		.amdhsa_exception_int_div_zero 0
	.end_amdhsa_kernel
	.section	.text._ZN7rocprim17ROCPRIM_400000_NS6detail17trampoline_kernelINS0_14default_configENS1_25partition_config_selectorILNS1_17partition_subalgoE9EllbEEZZNS1_14partition_implILS5_9ELb0ES3_jPlS8_PNS0_10empty_typeENS0_5tupleIJS8_S9_EEENSB_IJS8_SA_EEENS0_18inequality_wrapperIZN2at6native12_GLOBAL__N_124unique_dim_cuda_templateIjEESt5tupleIJNSF_6TensorESK_SK_EERKSK_lbbbEUlllE0_EEPmJS9_EEE10hipError_tPvRmT3_T4_T5_T6_T7_T9_mT8_P12ihipStream_tbDpT10_ENKUlT_T0_E_clISt17integral_constantIbLb1EES19_IbLb0EEEEDaS15_S16_EUlS15_E_NS1_11comp_targetILNS1_3genE8ELNS1_11target_archE1030ELNS1_3gpuE2ELNS1_3repE0EEENS1_30default_config_static_selectorELNS0_4arch9wavefront6targetE1EEEvT1_,"axG",@progbits,_ZN7rocprim17ROCPRIM_400000_NS6detail17trampoline_kernelINS0_14default_configENS1_25partition_config_selectorILNS1_17partition_subalgoE9EllbEEZZNS1_14partition_implILS5_9ELb0ES3_jPlS8_PNS0_10empty_typeENS0_5tupleIJS8_S9_EEENSB_IJS8_SA_EEENS0_18inequality_wrapperIZN2at6native12_GLOBAL__N_124unique_dim_cuda_templateIjEESt5tupleIJNSF_6TensorESK_SK_EERKSK_lbbbEUlllE0_EEPmJS9_EEE10hipError_tPvRmT3_T4_T5_T6_T7_T9_mT8_P12ihipStream_tbDpT10_ENKUlT_T0_E_clISt17integral_constantIbLb1EES19_IbLb0EEEEDaS15_S16_EUlS15_E_NS1_11comp_targetILNS1_3genE8ELNS1_11target_archE1030ELNS1_3gpuE2ELNS1_3repE0EEENS1_30default_config_static_selectorELNS0_4arch9wavefront6targetE1EEEvT1_,comdat
.Lfunc_end1606:
	.size	_ZN7rocprim17ROCPRIM_400000_NS6detail17trampoline_kernelINS0_14default_configENS1_25partition_config_selectorILNS1_17partition_subalgoE9EllbEEZZNS1_14partition_implILS5_9ELb0ES3_jPlS8_PNS0_10empty_typeENS0_5tupleIJS8_S9_EEENSB_IJS8_SA_EEENS0_18inequality_wrapperIZN2at6native12_GLOBAL__N_124unique_dim_cuda_templateIjEESt5tupleIJNSF_6TensorESK_SK_EERKSK_lbbbEUlllE0_EEPmJS9_EEE10hipError_tPvRmT3_T4_T5_T6_T7_T9_mT8_P12ihipStream_tbDpT10_ENKUlT_T0_E_clISt17integral_constantIbLb1EES19_IbLb0EEEEDaS15_S16_EUlS15_E_NS1_11comp_targetILNS1_3genE8ELNS1_11target_archE1030ELNS1_3gpuE2ELNS1_3repE0EEENS1_30default_config_static_selectorELNS0_4arch9wavefront6targetE1EEEvT1_, .Lfunc_end1606-_ZN7rocprim17ROCPRIM_400000_NS6detail17trampoline_kernelINS0_14default_configENS1_25partition_config_selectorILNS1_17partition_subalgoE9EllbEEZZNS1_14partition_implILS5_9ELb0ES3_jPlS8_PNS0_10empty_typeENS0_5tupleIJS8_S9_EEENSB_IJS8_SA_EEENS0_18inequality_wrapperIZN2at6native12_GLOBAL__N_124unique_dim_cuda_templateIjEESt5tupleIJNSF_6TensorESK_SK_EERKSK_lbbbEUlllE0_EEPmJS9_EEE10hipError_tPvRmT3_T4_T5_T6_T7_T9_mT8_P12ihipStream_tbDpT10_ENKUlT_T0_E_clISt17integral_constantIbLb1EES19_IbLb0EEEEDaS15_S16_EUlS15_E_NS1_11comp_targetILNS1_3genE8ELNS1_11target_archE1030ELNS1_3gpuE2ELNS1_3repE0EEENS1_30default_config_static_selectorELNS0_4arch9wavefront6targetE1EEEvT1_
                                        ; -- End function
	.section	.AMDGPU.csdata,"",@progbits
; Kernel info:
; codeLenInByte = 0
; NumSgprs: 6
; NumVgprs: 0
; NumAgprs: 0
; TotalNumVgprs: 0
; ScratchSize: 0
; MemoryBound: 0
; FloatMode: 240
; IeeeMode: 1
; LDSByteSize: 0 bytes/workgroup (compile time only)
; SGPRBlocks: 0
; VGPRBlocks: 0
; NumSGPRsForWavesPerEU: 6
; NumVGPRsForWavesPerEU: 1
; AccumOffset: 4
; Occupancy: 8
; WaveLimiterHint : 0
; COMPUTE_PGM_RSRC2:SCRATCH_EN: 0
; COMPUTE_PGM_RSRC2:USER_SGPR: 2
; COMPUTE_PGM_RSRC2:TRAP_HANDLER: 0
; COMPUTE_PGM_RSRC2:TGID_X_EN: 1
; COMPUTE_PGM_RSRC2:TGID_Y_EN: 0
; COMPUTE_PGM_RSRC2:TGID_Z_EN: 0
; COMPUTE_PGM_RSRC2:TIDIG_COMP_CNT: 0
; COMPUTE_PGM_RSRC3_GFX90A:ACCUM_OFFSET: 0
; COMPUTE_PGM_RSRC3_GFX90A:TG_SPLIT: 0
	.section	.text._ZN7rocprim17ROCPRIM_400000_NS6detail17trampoline_kernelINS0_14default_configENS1_25partition_config_selectorILNS1_17partition_subalgoE9EllbEEZZNS1_14partition_implILS5_9ELb0ES3_jPlS8_PNS0_10empty_typeENS0_5tupleIJS8_S9_EEENSB_IJS8_SA_EEENS0_18inequality_wrapperIZN2at6native12_GLOBAL__N_124unique_dim_cuda_templateIjEESt5tupleIJNSF_6TensorESK_SK_EERKSK_lbbbEUlllE0_EEPmJS9_EEE10hipError_tPvRmT3_T4_T5_T6_T7_T9_mT8_P12ihipStream_tbDpT10_ENKUlT_T0_E_clISt17integral_constantIbLb0EES19_IbLb1EEEEDaS15_S16_EUlS15_E_NS1_11comp_targetILNS1_3genE0ELNS1_11target_archE4294967295ELNS1_3gpuE0ELNS1_3repE0EEENS1_30default_config_static_selectorELNS0_4arch9wavefront6targetE1EEEvT1_,"axG",@progbits,_ZN7rocprim17ROCPRIM_400000_NS6detail17trampoline_kernelINS0_14default_configENS1_25partition_config_selectorILNS1_17partition_subalgoE9EllbEEZZNS1_14partition_implILS5_9ELb0ES3_jPlS8_PNS0_10empty_typeENS0_5tupleIJS8_S9_EEENSB_IJS8_SA_EEENS0_18inequality_wrapperIZN2at6native12_GLOBAL__N_124unique_dim_cuda_templateIjEESt5tupleIJNSF_6TensorESK_SK_EERKSK_lbbbEUlllE0_EEPmJS9_EEE10hipError_tPvRmT3_T4_T5_T6_T7_T9_mT8_P12ihipStream_tbDpT10_ENKUlT_T0_E_clISt17integral_constantIbLb0EES19_IbLb1EEEEDaS15_S16_EUlS15_E_NS1_11comp_targetILNS1_3genE0ELNS1_11target_archE4294967295ELNS1_3gpuE0ELNS1_3repE0EEENS1_30default_config_static_selectorELNS0_4arch9wavefront6targetE1EEEvT1_,comdat
	.globl	_ZN7rocprim17ROCPRIM_400000_NS6detail17trampoline_kernelINS0_14default_configENS1_25partition_config_selectorILNS1_17partition_subalgoE9EllbEEZZNS1_14partition_implILS5_9ELb0ES3_jPlS8_PNS0_10empty_typeENS0_5tupleIJS8_S9_EEENSB_IJS8_SA_EEENS0_18inequality_wrapperIZN2at6native12_GLOBAL__N_124unique_dim_cuda_templateIjEESt5tupleIJNSF_6TensorESK_SK_EERKSK_lbbbEUlllE0_EEPmJS9_EEE10hipError_tPvRmT3_T4_T5_T6_T7_T9_mT8_P12ihipStream_tbDpT10_ENKUlT_T0_E_clISt17integral_constantIbLb0EES19_IbLb1EEEEDaS15_S16_EUlS15_E_NS1_11comp_targetILNS1_3genE0ELNS1_11target_archE4294967295ELNS1_3gpuE0ELNS1_3repE0EEENS1_30default_config_static_selectorELNS0_4arch9wavefront6targetE1EEEvT1_ ; -- Begin function _ZN7rocprim17ROCPRIM_400000_NS6detail17trampoline_kernelINS0_14default_configENS1_25partition_config_selectorILNS1_17partition_subalgoE9EllbEEZZNS1_14partition_implILS5_9ELb0ES3_jPlS8_PNS0_10empty_typeENS0_5tupleIJS8_S9_EEENSB_IJS8_SA_EEENS0_18inequality_wrapperIZN2at6native12_GLOBAL__N_124unique_dim_cuda_templateIjEESt5tupleIJNSF_6TensorESK_SK_EERKSK_lbbbEUlllE0_EEPmJS9_EEE10hipError_tPvRmT3_T4_T5_T6_T7_T9_mT8_P12ihipStream_tbDpT10_ENKUlT_T0_E_clISt17integral_constantIbLb0EES19_IbLb1EEEEDaS15_S16_EUlS15_E_NS1_11comp_targetILNS1_3genE0ELNS1_11target_archE4294967295ELNS1_3gpuE0ELNS1_3repE0EEENS1_30default_config_static_selectorELNS0_4arch9wavefront6targetE1EEEvT1_
	.p2align	8
	.type	_ZN7rocprim17ROCPRIM_400000_NS6detail17trampoline_kernelINS0_14default_configENS1_25partition_config_selectorILNS1_17partition_subalgoE9EllbEEZZNS1_14partition_implILS5_9ELb0ES3_jPlS8_PNS0_10empty_typeENS0_5tupleIJS8_S9_EEENSB_IJS8_SA_EEENS0_18inequality_wrapperIZN2at6native12_GLOBAL__N_124unique_dim_cuda_templateIjEESt5tupleIJNSF_6TensorESK_SK_EERKSK_lbbbEUlllE0_EEPmJS9_EEE10hipError_tPvRmT3_T4_T5_T6_T7_T9_mT8_P12ihipStream_tbDpT10_ENKUlT_T0_E_clISt17integral_constantIbLb0EES19_IbLb1EEEEDaS15_S16_EUlS15_E_NS1_11comp_targetILNS1_3genE0ELNS1_11target_archE4294967295ELNS1_3gpuE0ELNS1_3repE0EEENS1_30default_config_static_selectorELNS0_4arch9wavefront6targetE1EEEvT1_,@function
_ZN7rocprim17ROCPRIM_400000_NS6detail17trampoline_kernelINS0_14default_configENS1_25partition_config_selectorILNS1_17partition_subalgoE9EllbEEZZNS1_14partition_implILS5_9ELb0ES3_jPlS8_PNS0_10empty_typeENS0_5tupleIJS8_S9_EEENSB_IJS8_SA_EEENS0_18inequality_wrapperIZN2at6native12_GLOBAL__N_124unique_dim_cuda_templateIjEESt5tupleIJNSF_6TensorESK_SK_EERKSK_lbbbEUlllE0_EEPmJS9_EEE10hipError_tPvRmT3_T4_T5_T6_T7_T9_mT8_P12ihipStream_tbDpT10_ENKUlT_T0_E_clISt17integral_constantIbLb0EES19_IbLb1EEEEDaS15_S16_EUlS15_E_NS1_11comp_targetILNS1_3genE0ELNS1_11target_archE4294967295ELNS1_3gpuE0ELNS1_3repE0EEENS1_30default_config_static_selectorELNS0_4arch9wavefront6targetE1EEEvT1_: ; @_ZN7rocprim17ROCPRIM_400000_NS6detail17trampoline_kernelINS0_14default_configENS1_25partition_config_selectorILNS1_17partition_subalgoE9EllbEEZZNS1_14partition_implILS5_9ELb0ES3_jPlS8_PNS0_10empty_typeENS0_5tupleIJS8_S9_EEENSB_IJS8_SA_EEENS0_18inequality_wrapperIZN2at6native12_GLOBAL__N_124unique_dim_cuda_templateIjEESt5tupleIJNSF_6TensorESK_SK_EERKSK_lbbbEUlllE0_EEPmJS9_EEE10hipError_tPvRmT3_T4_T5_T6_T7_T9_mT8_P12ihipStream_tbDpT10_ENKUlT_T0_E_clISt17integral_constantIbLb0EES19_IbLb1EEEEDaS15_S16_EUlS15_E_NS1_11comp_targetILNS1_3genE0ELNS1_11target_archE4294967295ELNS1_3gpuE0ELNS1_3repE0EEENS1_30default_config_static_selectorELNS0_4arch9wavefront6targetE1EEEvT1_
; %bb.0:
	.section	.rodata,"a",@progbits
	.p2align	6, 0x0
	.amdhsa_kernel _ZN7rocprim17ROCPRIM_400000_NS6detail17trampoline_kernelINS0_14default_configENS1_25partition_config_selectorILNS1_17partition_subalgoE9EllbEEZZNS1_14partition_implILS5_9ELb0ES3_jPlS8_PNS0_10empty_typeENS0_5tupleIJS8_S9_EEENSB_IJS8_SA_EEENS0_18inequality_wrapperIZN2at6native12_GLOBAL__N_124unique_dim_cuda_templateIjEESt5tupleIJNSF_6TensorESK_SK_EERKSK_lbbbEUlllE0_EEPmJS9_EEE10hipError_tPvRmT3_T4_T5_T6_T7_T9_mT8_P12ihipStream_tbDpT10_ENKUlT_T0_E_clISt17integral_constantIbLb0EES19_IbLb1EEEEDaS15_S16_EUlS15_E_NS1_11comp_targetILNS1_3genE0ELNS1_11target_archE4294967295ELNS1_3gpuE0ELNS1_3repE0EEENS1_30default_config_static_selectorELNS0_4arch9wavefront6targetE1EEEvT1_
		.amdhsa_group_segment_fixed_size 0
		.amdhsa_private_segment_fixed_size 0
		.amdhsa_kernarg_size 136
		.amdhsa_user_sgpr_count 2
		.amdhsa_user_sgpr_dispatch_ptr 0
		.amdhsa_user_sgpr_queue_ptr 0
		.amdhsa_user_sgpr_kernarg_segment_ptr 1
		.amdhsa_user_sgpr_dispatch_id 0
		.amdhsa_user_sgpr_kernarg_preload_length 0
		.amdhsa_user_sgpr_kernarg_preload_offset 0
		.amdhsa_user_sgpr_private_segment_size 0
		.amdhsa_uses_dynamic_stack 0
		.amdhsa_enable_private_segment 0
		.amdhsa_system_sgpr_workgroup_id_x 1
		.amdhsa_system_sgpr_workgroup_id_y 0
		.amdhsa_system_sgpr_workgroup_id_z 0
		.amdhsa_system_sgpr_workgroup_info 0
		.amdhsa_system_vgpr_workitem_id 0
		.amdhsa_next_free_vgpr 1
		.amdhsa_next_free_sgpr 0
		.amdhsa_accum_offset 4
		.amdhsa_reserve_vcc 0
		.amdhsa_float_round_mode_32 0
		.amdhsa_float_round_mode_16_64 0
		.amdhsa_float_denorm_mode_32 3
		.amdhsa_float_denorm_mode_16_64 3
		.amdhsa_dx10_clamp 1
		.amdhsa_ieee_mode 1
		.amdhsa_fp16_overflow 0
		.amdhsa_tg_split 0
		.amdhsa_exception_fp_ieee_invalid_op 0
		.amdhsa_exception_fp_denorm_src 0
		.amdhsa_exception_fp_ieee_div_zero 0
		.amdhsa_exception_fp_ieee_overflow 0
		.amdhsa_exception_fp_ieee_underflow 0
		.amdhsa_exception_fp_ieee_inexact 0
		.amdhsa_exception_int_div_zero 0
	.end_amdhsa_kernel
	.section	.text._ZN7rocprim17ROCPRIM_400000_NS6detail17trampoline_kernelINS0_14default_configENS1_25partition_config_selectorILNS1_17partition_subalgoE9EllbEEZZNS1_14partition_implILS5_9ELb0ES3_jPlS8_PNS0_10empty_typeENS0_5tupleIJS8_S9_EEENSB_IJS8_SA_EEENS0_18inequality_wrapperIZN2at6native12_GLOBAL__N_124unique_dim_cuda_templateIjEESt5tupleIJNSF_6TensorESK_SK_EERKSK_lbbbEUlllE0_EEPmJS9_EEE10hipError_tPvRmT3_T4_T5_T6_T7_T9_mT8_P12ihipStream_tbDpT10_ENKUlT_T0_E_clISt17integral_constantIbLb0EES19_IbLb1EEEEDaS15_S16_EUlS15_E_NS1_11comp_targetILNS1_3genE0ELNS1_11target_archE4294967295ELNS1_3gpuE0ELNS1_3repE0EEENS1_30default_config_static_selectorELNS0_4arch9wavefront6targetE1EEEvT1_,"axG",@progbits,_ZN7rocprim17ROCPRIM_400000_NS6detail17trampoline_kernelINS0_14default_configENS1_25partition_config_selectorILNS1_17partition_subalgoE9EllbEEZZNS1_14partition_implILS5_9ELb0ES3_jPlS8_PNS0_10empty_typeENS0_5tupleIJS8_S9_EEENSB_IJS8_SA_EEENS0_18inequality_wrapperIZN2at6native12_GLOBAL__N_124unique_dim_cuda_templateIjEESt5tupleIJNSF_6TensorESK_SK_EERKSK_lbbbEUlllE0_EEPmJS9_EEE10hipError_tPvRmT3_T4_T5_T6_T7_T9_mT8_P12ihipStream_tbDpT10_ENKUlT_T0_E_clISt17integral_constantIbLb0EES19_IbLb1EEEEDaS15_S16_EUlS15_E_NS1_11comp_targetILNS1_3genE0ELNS1_11target_archE4294967295ELNS1_3gpuE0ELNS1_3repE0EEENS1_30default_config_static_selectorELNS0_4arch9wavefront6targetE1EEEvT1_,comdat
.Lfunc_end1607:
	.size	_ZN7rocprim17ROCPRIM_400000_NS6detail17trampoline_kernelINS0_14default_configENS1_25partition_config_selectorILNS1_17partition_subalgoE9EllbEEZZNS1_14partition_implILS5_9ELb0ES3_jPlS8_PNS0_10empty_typeENS0_5tupleIJS8_S9_EEENSB_IJS8_SA_EEENS0_18inequality_wrapperIZN2at6native12_GLOBAL__N_124unique_dim_cuda_templateIjEESt5tupleIJNSF_6TensorESK_SK_EERKSK_lbbbEUlllE0_EEPmJS9_EEE10hipError_tPvRmT3_T4_T5_T6_T7_T9_mT8_P12ihipStream_tbDpT10_ENKUlT_T0_E_clISt17integral_constantIbLb0EES19_IbLb1EEEEDaS15_S16_EUlS15_E_NS1_11comp_targetILNS1_3genE0ELNS1_11target_archE4294967295ELNS1_3gpuE0ELNS1_3repE0EEENS1_30default_config_static_selectorELNS0_4arch9wavefront6targetE1EEEvT1_, .Lfunc_end1607-_ZN7rocprim17ROCPRIM_400000_NS6detail17trampoline_kernelINS0_14default_configENS1_25partition_config_selectorILNS1_17partition_subalgoE9EllbEEZZNS1_14partition_implILS5_9ELb0ES3_jPlS8_PNS0_10empty_typeENS0_5tupleIJS8_S9_EEENSB_IJS8_SA_EEENS0_18inequality_wrapperIZN2at6native12_GLOBAL__N_124unique_dim_cuda_templateIjEESt5tupleIJNSF_6TensorESK_SK_EERKSK_lbbbEUlllE0_EEPmJS9_EEE10hipError_tPvRmT3_T4_T5_T6_T7_T9_mT8_P12ihipStream_tbDpT10_ENKUlT_T0_E_clISt17integral_constantIbLb0EES19_IbLb1EEEEDaS15_S16_EUlS15_E_NS1_11comp_targetILNS1_3genE0ELNS1_11target_archE4294967295ELNS1_3gpuE0ELNS1_3repE0EEENS1_30default_config_static_selectorELNS0_4arch9wavefront6targetE1EEEvT1_
                                        ; -- End function
	.section	.AMDGPU.csdata,"",@progbits
; Kernel info:
; codeLenInByte = 0
; NumSgprs: 6
; NumVgprs: 0
; NumAgprs: 0
; TotalNumVgprs: 0
; ScratchSize: 0
; MemoryBound: 0
; FloatMode: 240
; IeeeMode: 1
; LDSByteSize: 0 bytes/workgroup (compile time only)
; SGPRBlocks: 0
; VGPRBlocks: 0
; NumSGPRsForWavesPerEU: 6
; NumVGPRsForWavesPerEU: 1
; AccumOffset: 4
; Occupancy: 8
; WaveLimiterHint : 0
; COMPUTE_PGM_RSRC2:SCRATCH_EN: 0
; COMPUTE_PGM_RSRC2:USER_SGPR: 2
; COMPUTE_PGM_RSRC2:TRAP_HANDLER: 0
; COMPUTE_PGM_RSRC2:TGID_X_EN: 1
; COMPUTE_PGM_RSRC2:TGID_Y_EN: 0
; COMPUTE_PGM_RSRC2:TGID_Z_EN: 0
; COMPUTE_PGM_RSRC2:TIDIG_COMP_CNT: 0
; COMPUTE_PGM_RSRC3_GFX90A:ACCUM_OFFSET: 0
; COMPUTE_PGM_RSRC3_GFX90A:TG_SPLIT: 0
	.section	.text._ZN7rocprim17ROCPRIM_400000_NS6detail17trampoline_kernelINS0_14default_configENS1_25partition_config_selectorILNS1_17partition_subalgoE9EllbEEZZNS1_14partition_implILS5_9ELb0ES3_jPlS8_PNS0_10empty_typeENS0_5tupleIJS8_S9_EEENSB_IJS8_SA_EEENS0_18inequality_wrapperIZN2at6native12_GLOBAL__N_124unique_dim_cuda_templateIjEESt5tupleIJNSF_6TensorESK_SK_EERKSK_lbbbEUlllE0_EEPmJS9_EEE10hipError_tPvRmT3_T4_T5_T6_T7_T9_mT8_P12ihipStream_tbDpT10_ENKUlT_T0_E_clISt17integral_constantIbLb0EES19_IbLb1EEEEDaS15_S16_EUlS15_E_NS1_11comp_targetILNS1_3genE5ELNS1_11target_archE942ELNS1_3gpuE9ELNS1_3repE0EEENS1_30default_config_static_selectorELNS0_4arch9wavefront6targetE1EEEvT1_,"axG",@progbits,_ZN7rocprim17ROCPRIM_400000_NS6detail17trampoline_kernelINS0_14default_configENS1_25partition_config_selectorILNS1_17partition_subalgoE9EllbEEZZNS1_14partition_implILS5_9ELb0ES3_jPlS8_PNS0_10empty_typeENS0_5tupleIJS8_S9_EEENSB_IJS8_SA_EEENS0_18inequality_wrapperIZN2at6native12_GLOBAL__N_124unique_dim_cuda_templateIjEESt5tupleIJNSF_6TensorESK_SK_EERKSK_lbbbEUlllE0_EEPmJS9_EEE10hipError_tPvRmT3_T4_T5_T6_T7_T9_mT8_P12ihipStream_tbDpT10_ENKUlT_T0_E_clISt17integral_constantIbLb0EES19_IbLb1EEEEDaS15_S16_EUlS15_E_NS1_11comp_targetILNS1_3genE5ELNS1_11target_archE942ELNS1_3gpuE9ELNS1_3repE0EEENS1_30default_config_static_selectorELNS0_4arch9wavefront6targetE1EEEvT1_,comdat
	.globl	_ZN7rocprim17ROCPRIM_400000_NS6detail17trampoline_kernelINS0_14default_configENS1_25partition_config_selectorILNS1_17partition_subalgoE9EllbEEZZNS1_14partition_implILS5_9ELb0ES3_jPlS8_PNS0_10empty_typeENS0_5tupleIJS8_S9_EEENSB_IJS8_SA_EEENS0_18inequality_wrapperIZN2at6native12_GLOBAL__N_124unique_dim_cuda_templateIjEESt5tupleIJNSF_6TensorESK_SK_EERKSK_lbbbEUlllE0_EEPmJS9_EEE10hipError_tPvRmT3_T4_T5_T6_T7_T9_mT8_P12ihipStream_tbDpT10_ENKUlT_T0_E_clISt17integral_constantIbLb0EES19_IbLb1EEEEDaS15_S16_EUlS15_E_NS1_11comp_targetILNS1_3genE5ELNS1_11target_archE942ELNS1_3gpuE9ELNS1_3repE0EEENS1_30default_config_static_selectorELNS0_4arch9wavefront6targetE1EEEvT1_ ; -- Begin function _ZN7rocprim17ROCPRIM_400000_NS6detail17trampoline_kernelINS0_14default_configENS1_25partition_config_selectorILNS1_17partition_subalgoE9EllbEEZZNS1_14partition_implILS5_9ELb0ES3_jPlS8_PNS0_10empty_typeENS0_5tupleIJS8_S9_EEENSB_IJS8_SA_EEENS0_18inequality_wrapperIZN2at6native12_GLOBAL__N_124unique_dim_cuda_templateIjEESt5tupleIJNSF_6TensorESK_SK_EERKSK_lbbbEUlllE0_EEPmJS9_EEE10hipError_tPvRmT3_T4_T5_T6_T7_T9_mT8_P12ihipStream_tbDpT10_ENKUlT_T0_E_clISt17integral_constantIbLb0EES19_IbLb1EEEEDaS15_S16_EUlS15_E_NS1_11comp_targetILNS1_3genE5ELNS1_11target_archE942ELNS1_3gpuE9ELNS1_3repE0EEENS1_30default_config_static_selectorELNS0_4arch9wavefront6targetE1EEEvT1_
	.p2align	8
	.type	_ZN7rocprim17ROCPRIM_400000_NS6detail17trampoline_kernelINS0_14default_configENS1_25partition_config_selectorILNS1_17partition_subalgoE9EllbEEZZNS1_14partition_implILS5_9ELb0ES3_jPlS8_PNS0_10empty_typeENS0_5tupleIJS8_S9_EEENSB_IJS8_SA_EEENS0_18inequality_wrapperIZN2at6native12_GLOBAL__N_124unique_dim_cuda_templateIjEESt5tupleIJNSF_6TensorESK_SK_EERKSK_lbbbEUlllE0_EEPmJS9_EEE10hipError_tPvRmT3_T4_T5_T6_T7_T9_mT8_P12ihipStream_tbDpT10_ENKUlT_T0_E_clISt17integral_constantIbLb0EES19_IbLb1EEEEDaS15_S16_EUlS15_E_NS1_11comp_targetILNS1_3genE5ELNS1_11target_archE942ELNS1_3gpuE9ELNS1_3repE0EEENS1_30default_config_static_selectorELNS0_4arch9wavefront6targetE1EEEvT1_,@function
_ZN7rocprim17ROCPRIM_400000_NS6detail17trampoline_kernelINS0_14default_configENS1_25partition_config_selectorILNS1_17partition_subalgoE9EllbEEZZNS1_14partition_implILS5_9ELb0ES3_jPlS8_PNS0_10empty_typeENS0_5tupleIJS8_S9_EEENSB_IJS8_SA_EEENS0_18inequality_wrapperIZN2at6native12_GLOBAL__N_124unique_dim_cuda_templateIjEESt5tupleIJNSF_6TensorESK_SK_EERKSK_lbbbEUlllE0_EEPmJS9_EEE10hipError_tPvRmT3_T4_T5_T6_T7_T9_mT8_P12ihipStream_tbDpT10_ENKUlT_T0_E_clISt17integral_constantIbLb0EES19_IbLb1EEEEDaS15_S16_EUlS15_E_NS1_11comp_targetILNS1_3genE5ELNS1_11target_archE942ELNS1_3gpuE9ELNS1_3repE0EEENS1_30default_config_static_selectorELNS0_4arch9wavefront6targetE1EEEvT1_: ; @_ZN7rocprim17ROCPRIM_400000_NS6detail17trampoline_kernelINS0_14default_configENS1_25partition_config_selectorILNS1_17partition_subalgoE9EllbEEZZNS1_14partition_implILS5_9ELb0ES3_jPlS8_PNS0_10empty_typeENS0_5tupleIJS8_S9_EEENSB_IJS8_SA_EEENS0_18inequality_wrapperIZN2at6native12_GLOBAL__N_124unique_dim_cuda_templateIjEESt5tupleIJNSF_6TensorESK_SK_EERKSK_lbbbEUlllE0_EEPmJS9_EEE10hipError_tPvRmT3_T4_T5_T6_T7_T9_mT8_P12ihipStream_tbDpT10_ENKUlT_T0_E_clISt17integral_constantIbLb0EES19_IbLb1EEEEDaS15_S16_EUlS15_E_NS1_11comp_targetILNS1_3genE5ELNS1_11target_archE942ELNS1_3gpuE9ELNS1_3repE0EEENS1_30default_config_static_selectorELNS0_4arch9wavefront6targetE1EEEvT1_
; %bb.0:
	s_load_dwordx4 s[4:7], s[0:1], 0x8
	s_load_dwordx2 s[10:11], s[0:1], 0x18
	s_load_dwordx8 s[20:27], s[0:1], 0x40
	s_load_dwordx4 s[36:39], s[0:1], 0x60
	v_cmp_ne_u32_e64 s[2:3], 0, v0
	v_cmp_eq_u32_e64 s[18:19], 0, v0
	s_and_saveexec_b64 s[8:9], s[18:19]
	s_cbranch_execz .LBB1608_4
; %bb.1:
	s_mov_b64 s[14:15], exec
	v_mbcnt_lo_u32_b32 v1, s14, 0
	v_mbcnt_hi_u32_b32 v1, s15, v1
	v_cmp_eq_u32_e32 vcc, 0, v1
                                        ; implicit-def: $vgpr2
	s_and_saveexec_b64 s[12:13], vcc
	s_cbranch_execz .LBB1608_3
; %bb.2:
	s_load_dwordx2 s[16:17], s[0:1], 0x78
	s_bcnt1_i32_b64 s14, s[14:15]
	v_mov_b32_e32 v2, 0
	v_mov_b32_e32 v3, s14
	s_waitcnt lgkmcnt(0)
	global_atomic_add v2, v2, v3, s[16:17] sc0
.LBB1608_3:
	s_or_b64 exec, exec, s[12:13]
	s_waitcnt vmcnt(0)
	v_readfirstlane_b32 s12, v2
	v_mov_b32_e32 v2, 0
	s_nop 0
	v_add_u32_e32 v1, s12, v1
	ds_write_b32 v2, v1
.LBB1608_4:
	s_or_b64 exec, exec, s[8:9]
	v_mov_b32_e32 v3, 0
	s_load_dwordx4 s[28:31], s[0:1], 0x28
	s_load_dword s8, s[0:1], 0x70
	s_waitcnt lgkmcnt(0)
	s_barrier
	ds_read_b32 v1, v3
	s_waitcnt lgkmcnt(0)
	s_barrier
	global_load_dwordx2 v[4:5], v3, s[22:23]
	s_lshl_b64 s[12:13], s[6:7], 3
	s_mul_i32 s14, s8, 0xe00
	s_add_u32 s16, s4, s12
	s_addc_u32 s17, s5, s13
	s_add_i32 s4, s14, s6
	s_sub_i32 s54, s24, s4
	s_add_i32 s15, s8, -1
	s_addk_i32 s54, 0xe00
	s_add_u32 s4, s6, s14
	v_readfirstlane_b32 s33, v1
	s_addc_u32 s5, s7, 0
	v_mov_b32_e32 v6, s24
	v_mov_b32_e32 v7, s25
	s_cmp_eq_u32 s33, s15
	s_mov_b32 s9, 0
	s_mul_i32 s8, s33, 0xe00
	v_cmp_ge_u64_e32 vcc, s[4:5], v[6:7]
	s_cselect_b64 s[24:25], -1, 0
	s_lshl_b64 s[14:15], s[8:9], 3
	s_and_b64 s[8:9], vcc, s[24:25]
	s_xor_b64 s[34:35], s[8:9], -1
	s_add_u32 s4, s16, s14
	s_mov_b64 s[0:1], -1
	s_addc_u32 s5, s17, s15
	s_and_b64 vcc, exec, s[34:35]
	s_waitcnt vmcnt(0)
	v_readfirstlane_b32 s22, v4
	v_readfirstlane_b32 s23, v5
	s_cbranch_vccz .LBB1608_6
; %bb.5:
	v_lshlrev_b32_e32 v2, 3, v0
	v_lshl_add_u64 v[4:5], s[4:5], 0, v[2:3]
	v_add_co_u32_e32 v8, vcc, 0x1000, v4
	global_load_dwordx2 v[6:7], v2, s[4:5]
	s_nop 0
	v_addc_co_u32_e32 v9, vcc, 0, v5, vcc
	v_add_co_u32_e32 v10, vcc, 0x2000, v4
	s_mov_b64 s[0:1], 0
	s_nop 0
	v_addc_co_u32_e32 v11, vcc, 0, v5, vcc
	v_add_co_u32_e32 v12, vcc, 0x3000, v4
	s_nop 1
	v_addc_co_u32_e32 v13, vcc, 0, v5, vcc
	v_add_co_u32_e32 v14, vcc, 0x4000, v4
	s_nop 1
	v_addc_co_u32_e32 v15, vcc, 0, v5, vcc
	global_load_dwordx2 v[16:17], v[8:9], off
	global_load_dwordx2 v[18:19], v[10:11], off
	;; [unrolled: 1-line block ×4, first 2 shown]
	v_add_co_u32_e32 v8, vcc, 0x5000, v4
	s_nop 1
	v_addc_co_u32_e32 v9, vcc, 0, v5, vcc
	v_add_co_u32_e32 v4, vcc, 0x6000, v4
	global_load_dwordx2 v[8:9], v[8:9], off
	s_nop 0
	v_addc_co_u32_e32 v5, vcc, 0, v5, vcc
	global_load_dwordx2 v[4:5], v[4:5], off
	s_waitcnt vmcnt(5)
	ds_write2st64_b64 v2, v[6:7], v[16:17] offset1:8
	s_waitcnt vmcnt(3)
	ds_write2st64_b64 v2, v[18:19], v[20:21] offset0:16 offset1:24
	s_waitcnt vmcnt(1)
	ds_write2st64_b64 v2, v[22:23], v[8:9] offset0:32 offset1:40
	s_waitcnt vmcnt(0)
	ds_write_b64 v2, v[4:5] offset:24576
	s_waitcnt lgkmcnt(0)
	s_barrier
.LBB1608_6:
	s_andn2_b64 vcc, exec, s[0:1]
	v_cmp_gt_u32_e64 s[0:1], s54, v0
	s_cbranch_vccnz .LBB1608_22
; %bb.7:
                                        ; implicit-def: $vgpr2_vgpr3_vgpr4_vgpr5_vgpr6_vgpr7_vgpr8_vgpr9_vgpr10_vgpr11_vgpr12_vgpr13_vgpr14_vgpr15_vgpr16_vgpr17
	s_and_saveexec_b64 s[16:17], s[0:1]
	s_cbranch_execz .LBB1608_9
; %bb.8:
	v_lshlrev_b32_e32 v1, 3, v0
	global_load_dwordx2 v[2:3], v1, s[4:5]
.LBB1608_9:
	s_or_b64 exec, exec, s[16:17]
	v_or_b32_e32 v1, 0x200, v0
	v_cmp_gt_u32_e32 vcc, s54, v1
	s_and_saveexec_b64 s[0:1], vcc
	s_cbranch_execz .LBB1608_11
; %bb.10:
	v_lshlrev_b32_e32 v1, 3, v1
	global_load_dwordx2 v[4:5], v1, s[4:5]
.LBB1608_11:
	s_or_b64 exec, exec, s[0:1]
	v_or_b32_e32 v1, 0x400, v0
	v_cmp_gt_u32_e32 vcc, s54, v1
	s_and_saveexec_b64 s[0:1], vcc
	;; [unrolled: 9-line block ×6, first 2 shown]
	s_cbranch_execz .LBB1608_21
; %bb.20:
	v_lshlrev_b32_e32 v1, 3, v1
	global_load_dwordx2 v[14:15], v1, s[4:5]
.LBB1608_21:
	s_or_b64 exec, exec, s[0:1]
	v_lshlrev_b32_e32 v1, 3, v0
	s_waitcnt vmcnt(0)
	ds_write2st64_b64 v1, v[2:3], v[4:5] offset1:8
	ds_write2st64_b64 v1, v[6:7], v[8:9] offset0:16 offset1:24
	ds_write2st64_b64 v1, v[10:11], v[12:13] offset0:32 offset1:40
	ds_write_b64 v1, v[14:15] offset:24576
	s_waitcnt lgkmcnt(0)
	s_barrier
.LBB1608_22:
	v_mul_u32_u24_e32 v1, 7, v0
	v_lshlrev_b32_e32 v46, 3, v1
	ds_read2_b64 v[22:25], v46 offset1:1
	ds_read2_b64 v[18:21], v46 offset0:2 offset1:3
	ds_read2_b64 v[14:17], v46 offset0:4 offset1:5
	ds_read_b64 v[28:29], v46 offset:48
	s_add_u32 s0, s10, s12
	s_addc_u32 s1, s11, s13
	s_add_u32 s0, s0, s14
	s_addc_u32 s1, s1, s15
	s_mov_b64 s[10:11], -1
	s_and_b64 vcc, exec, s[34:35]
	s_waitcnt lgkmcnt(0)
	s_barrier
	s_cbranch_vccz .LBB1608_24
; %bb.23:
	v_lshlrev_b32_e32 v2, 3, v0
	v_mov_b32_e32 v3, 0
	v_lshl_add_u64 v[4:5], s[0:1], 0, v[2:3]
	v_add_co_u32_e32 v8, vcc, 0x1000, v4
	global_load_dwordx2 v[6:7], v2, s[0:1]
	s_nop 0
	v_addc_co_u32_e32 v9, vcc, 0, v5, vcc
	v_add_co_u32_e32 v10, vcc, 0x2000, v4
	s_mov_b64 s[10:11], 0
	s_nop 0
	v_addc_co_u32_e32 v11, vcc, 0, v5, vcc
	v_add_co_u32_e32 v12, vcc, 0x3000, v4
	s_nop 1
	v_addc_co_u32_e32 v13, vcc, 0, v5, vcc
	v_add_co_u32_e32 v26, vcc, 0x4000, v4
	s_nop 1
	v_addc_co_u32_e32 v27, vcc, 0, v5, vcc
	global_load_dwordx2 v[30:31], v[8:9], off
	global_load_dwordx2 v[32:33], v[10:11], off
	;; [unrolled: 1-line block ×4, first 2 shown]
	v_add_co_u32_e32 v8, vcc, 0x5000, v4
	s_nop 1
	v_addc_co_u32_e32 v9, vcc, 0, v5, vcc
	v_add_co_u32_e32 v4, vcc, 0x6000, v4
	global_load_dwordx2 v[8:9], v[8:9], off
	s_nop 0
	v_addc_co_u32_e32 v5, vcc, 0, v5, vcc
	global_load_dwordx2 v[4:5], v[4:5], off
	s_waitcnt vmcnt(5)
	ds_write2st64_b64 v2, v[6:7], v[30:31] offset1:8
	s_waitcnt vmcnt(3)
	ds_write2st64_b64 v2, v[32:33], v[34:35] offset0:16 offset1:24
	s_waitcnt vmcnt(1)
	ds_write2st64_b64 v2, v[36:37], v[8:9] offset0:32 offset1:40
	s_waitcnt vmcnt(0)
	ds_write_b64 v2, v[4:5] offset:24576
	s_waitcnt lgkmcnt(0)
	s_barrier
.LBB1608_24:
	s_andn2_b64 vcc, exec, s[10:11]
	s_cbranch_vccnz .LBB1608_40
; %bb.25:
	v_cmp_gt_u32_e32 vcc, s54, v0
                                        ; implicit-def: $vgpr2_vgpr3
	s_and_saveexec_b64 s[10:11], vcc
	s_cbranch_execz .LBB1608_27
; %bb.26:
	v_lshlrev_b32_e32 v2, 3, v0
	global_load_dwordx2 v[2:3], v2, s[0:1]
.LBB1608_27:
	s_or_b64 exec, exec, s[10:11]
	v_or_b32_e32 v6, 0x200, v0
	v_cmp_gt_u32_e32 vcc, s54, v6
                                        ; implicit-def: $vgpr4_vgpr5
	s_and_saveexec_b64 s[10:11], vcc
	s_cbranch_execz .LBB1608_29
; %bb.28:
	v_lshlrev_b32_e32 v4, 3, v6
	global_load_dwordx2 v[4:5], v4, s[0:1]
.LBB1608_29:
	s_or_b64 exec, exec, s[10:11]
	v_or_b32_e32 v8, 0x400, v0
	v_cmp_gt_u32_e32 vcc, s54, v8
                                        ; implicit-def: $vgpr6_vgpr7
	s_and_saveexec_b64 s[10:11], vcc
	s_cbranch_execz .LBB1608_31
; %bb.30:
	v_lshlrev_b32_e32 v6, 3, v8
	global_load_dwordx2 v[6:7], v6, s[0:1]
.LBB1608_31:
	s_or_b64 exec, exec, s[10:11]
	v_or_b32_e32 v10, 0x600, v0
	v_cmp_gt_u32_e32 vcc, s54, v10
                                        ; implicit-def: $vgpr8_vgpr9
	s_and_saveexec_b64 s[10:11], vcc
	s_cbranch_execz .LBB1608_33
; %bb.32:
	v_lshlrev_b32_e32 v8, 3, v10
	global_load_dwordx2 v[8:9], v8, s[0:1]
.LBB1608_33:
	s_or_b64 exec, exec, s[10:11]
	v_or_b32_e32 v12, 0x800, v0
	v_cmp_gt_u32_e32 vcc, s54, v12
                                        ; implicit-def: $vgpr10_vgpr11
	s_and_saveexec_b64 s[10:11], vcc
	s_cbranch_execz .LBB1608_35
; %bb.34:
	v_lshlrev_b32_e32 v10, 3, v12
	global_load_dwordx2 v[10:11], v10, s[0:1]
.LBB1608_35:
	s_or_b64 exec, exec, s[10:11]
	v_or_b32_e32 v26, 0xa00, v0
	v_cmp_gt_u32_e32 vcc, s54, v26
                                        ; implicit-def: $vgpr12_vgpr13
	s_and_saveexec_b64 s[10:11], vcc
	s_cbranch_execz .LBB1608_37
; %bb.36:
	v_lshlrev_b32_e32 v12, 3, v26
	global_load_dwordx2 v[12:13], v12, s[0:1]
.LBB1608_37:
	s_or_b64 exec, exec, s[10:11]
	v_or_b32_e32 v30, 0xc00, v0
	v_cmp_gt_u32_e32 vcc, s54, v30
                                        ; implicit-def: $vgpr26_vgpr27
	s_and_saveexec_b64 s[10:11], vcc
	s_cbranch_execz .LBB1608_39
; %bb.38:
	v_lshlrev_b32_e32 v26, 3, v30
	global_load_dwordx2 v[26:27], v26, s[0:1]
.LBB1608_39:
	s_or_b64 exec, exec, s[10:11]
	s_movk_i32 s0, 0xffd0
	v_mad_i32_i24 v30, v0, s0, v46
	s_waitcnt vmcnt(0)
	ds_write2st64_b64 v30, v[2:3], v[4:5] offset1:8
	ds_write2st64_b64 v30, v[6:7], v[8:9] offset0:16 offset1:24
	ds_write2st64_b64 v30, v[10:11], v[12:13] offset0:32 offset1:40
	ds_write_b64 v30, v[26:27] offset:24576
	s_waitcnt lgkmcnt(0)
	s_barrier
.LBB1608_40:
	ds_read2_b64 v[10:13], v46 offset1:1
	ds_read2_b64 v[6:9], v46 offset0:2 offset1:3
	ds_read2_b64 v[2:5], v46 offset0:4 offset1:5
	ds_read_b64 v[26:27], v46 offset:48
	s_cmp_lg_u32 s33, 0
	s_cselect_b64 s[0:1], -1, 0
	s_cmp_lg_u64 s[6:7], 0
	s_cselect_b64 s[6:7], -1, 0
	s_or_b64 s[6:7], s[6:7], s[0:1]
	v_add_u32_e32 v43, 1, v1
	v_add_u32_e32 v40, 2, v1
	;; [unrolled: 1-line block ×6, first 2 shown]
	s_mov_b64 s[10:11], 0
	s_and_b64 vcc, exec, s[6:7]
	v_cmp_gt_i64_e64 s[12:13], s[26:27], 0
	s_waitcnt lgkmcnt(0)
	s_barrier
	s_cbranch_vccz .LBB1608_49
; %bb.41:
	v_mov_b32_e32 v30, 0
	global_load_dwordx2 v[30:31], v30, s[4:5] offset:-8
	v_cndmask_b32_e64 v32, 0, 1, s[12:13]
	v_lshlrev_b32_e32 v47, 3, v0
	s_mov_b64 s[6:7], 0
	s_and_b64 vcc, exec, s[34:35]
	v_cmp_ne_u32_e64 s[4:5], 1, v32
	ds_write_b64 v47, v[28:29]
	s_cbranch_vccz .LBB1608_51
; %bb.42:
	v_mul_lo_u32 v34, v17, s26
	v_mul_lo_u32 v35, v16, s27
	v_mad_u64_u32 v[32:33], s[10:11], v16, s26, 0
	v_add3_u32 v33, v33, v35, v34
	s_and_b64 vcc, exec, s[4:5]
	v_lshl_add_u64 v[32:33], v[32:33], 2, s[36:37]
	s_cbranch_vccnz .LBB1608_54
; %bb.43:
	v_mul_lo_u32 v36, v29, s26
	v_mul_lo_u32 v37, v28, s27
	v_mad_u64_u32 v[34:35], s[6:7], v28, s26, 0
	v_add3_u32 v35, v35, v37, v36
	v_lshl_add_u64 v[34:35], v[34:35], 2, s[36:37]
	global_load_dword v36, v[32:33], off
	global_load_dword v37, v[34:35], off
	s_mov_b64 s[6:7], -1
	s_waitcnt vmcnt(0)
	v_cmp_eq_u32_e32 vcc, v36, v37
	s_and_saveexec_b64 s[10:11], vcc
	s_cbranch_execz .LBB1608_53
; %bb.44:
	s_add_u32 s6, s26, -1
	v_lshl_add_u64 v[34:35], v[34:35], 0, 4
	v_lshl_add_u64 v[36:37], v[32:33], 0, 4
	s_addc_u32 s7, s27, -1
	s_mov_b64 s[12:13], 0
	s_mov_b64 s[16:17], 0
                                        ; implicit-def: $sgpr14_sgpr15
	s_branch .LBB1608_47
.LBB1608_45:                            ;   in Loop: Header=BB1608_47 Depth=1
	global_load_dword v38, v[36:37], off
	global_load_dword v39, v[34:35], off
	s_add_u32 s16, s16, 1
	s_addc_u32 s17, s17, 0
	s_andn2_b64 s[14:15], s[14:15], exec
	v_lshl_add_u64 v[34:35], v[34:35], 0, 4
	v_lshl_add_u64 v[36:37], v[36:37], 0, 4
	s_waitcnt vmcnt(0)
	v_cmp_ne_u32_e32 vcc, v38, v39
	s_and_b64 s[40:41], vcc, exec
	s_or_b64 s[14:15], s[14:15], s[40:41]
.LBB1608_46:                            ;   in Loop: Header=BB1608_47 Depth=1
	s_and_b64 s[40:41], exec, s[14:15]
	s_or_b64 s[12:13], s[40:41], s[12:13]
	v_mov_b64_e32 v[38:39], s[16:17]
	s_andn2_b64 exec, exec, s[12:13]
	s_cbranch_execz .LBB1608_52
.LBB1608_47:                            ; =>This Inner Loop Header: Depth=1
	s_or_b64 s[14:15], s[14:15], exec
	s_cmp_eq_u64 s[6:7], s[16:17]
	s_cbranch_scc0 .LBB1608_45
; %bb.48:                               ;   in Loop: Header=BB1608_47 Depth=1
                                        ; implicit-def: $vgpr34_vgpr35
                                        ; implicit-def: $vgpr36_vgpr37
	s_mov_b64 s[16:17], s[26:27]
	s_branch .LBB1608_46
.LBB1608_49:
                                        ; implicit-def: $sgpr14_sgpr15
                                        ; implicit-def: $vgpr49
                                        ; implicit-def: $vgpr48
                                        ; implicit-def: $vgpr39
                                        ; implicit-def: $vgpr34
	s_branch .LBB1608_192
.LBB1608_50:
                                        ; implicit-def: $vgpr30_vgpr31
	s_branch .LBB1608_340
.LBB1608_51:
                                        ; implicit-def: $sgpr14_sgpr15
                                        ; implicit-def: $vgpr49
                                        ; implicit-def: $vgpr48
                                        ; implicit-def: $vgpr39
                                        ; implicit-def: $vgpr34
	s_cbranch_execnz .LBB1608_111
	s_branch .LBB1608_191
.LBB1608_52:
	s_or_b64 exec, exec, s[12:13]
	v_cmp_gt_i64_e32 vcc, s[26:27], v[38:39]
	s_orn2_b64 s[6:7], vcc, exec
.LBB1608_53:
	s_or_b64 exec, exec, s[10:11]
.LBB1608_54:
	v_mul_lo_u32 v36, v15, s26
	v_mul_lo_u32 v37, v14, s27
	v_mad_u64_u32 v[34:35], s[10:11], v14, s26, 0
	v_add3_u32 v35, v35, v37, v36
	s_mov_b64 s[10:11], 0
	s_and_b64 vcc, exec, s[4:5]
	v_lshl_add_u64 v[34:35], v[34:35], 2, s[36:37]
	s_mov_b64 s[12:13], 0
	s_cbranch_vccnz .LBB1608_63
; %bb.55:
	global_load_dword v36, v[34:35], off
	global_load_dword v37, v[32:33], off
	s_mov_b64 s[12:13], -1
	s_waitcnt vmcnt(0)
	v_cmp_eq_u32_e32 vcc, v36, v37
	s_and_saveexec_b64 s[14:15], vcc
	s_cbranch_execz .LBB1608_62
; %bb.56:
	s_add_u32 s12, s26, -1
	v_lshl_add_u64 v[32:33], v[32:33], 0, 4
	v_lshl_add_u64 v[36:37], v[34:35], 0, 4
	s_addc_u32 s13, s27, -1
	s_mov_b64 s[16:17], 0
	s_mov_b64 s[42:43], 0
                                        ; implicit-def: $sgpr40_sgpr41
	s_branch .LBB1608_59
.LBB1608_57:                            ;   in Loop: Header=BB1608_59 Depth=1
	global_load_dword v38, v[36:37], off
	global_load_dword v39, v[32:33], off
	s_add_u32 s42, s42, 1
	s_addc_u32 s43, s43, 0
	s_andn2_b64 s[40:41], s[40:41], exec
	v_lshl_add_u64 v[32:33], v[32:33], 0, 4
	v_lshl_add_u64 v[36:37], v[36:37], 0, 4
	s_waitcnt vmcnt(0)
	v_cmp_ne_u32_e32 vcc, v38, v39
	s_and_b64 s[44:45], vcc, exec
	s_or_b64 s[40:41], s[40:41], s[44:45]
.LBB1608_58:                            ;   in Loop: Header=BB1608_59 Depth=1
	s_and_b64 s[44:45], exec, s[40:41]
	s_or_b64 s[16:17], s[44:45], s[16:17]
	v_mov_b64_e32 v[38:39], s[42:43]
	s_andn2_b64 exec, exec, s[16:17]
	s_cbranch_execz .LBB1608_61
.LBB1608_59:                            ; =>This Inner Loop Header: Depth=1
	s_or_b64 s[40:41], s[40:41], exec
	s_cmp_eq_u64 s[12:13], s[42:43]
	s_cbranch_scc0 .LBB1608_57
; %bb.60:                               ;   in Loop: Header=BB1608_59 Depth=1
                                        ; implicit-def: $vgpr32_vgpr33
                                        ; implicit-def: $vgpr36_vgpr37
	s_mov_b64 s[42:43], s[26:27]
	s_branch .LBB1608_58
.LBB1608_61:
	s_or_b64 exec, exec, s[16:17]
	v_cmp_gt_i64_e32 vcc, s[26:27], v[38:39]
	s_orn2_b64 s[12:13], vcc, exec
.LBB1608_62:
	s_or_b64 exec, exec, s[14:15]
.LBB1608_63:
	v_mul_lo_u32 v36, v21, s26
	v_mul_lo_u32 v37, v20, s27
	v_mad_u64_u32 v[32:33], s[14:15], v20, s26, 0
	v_add3_u32 v33, v33, v37, v36
	s_and_b64 vcc, exec, s[4:5]
	v_lshl_add_u64 v[32:33], v[32:33], 2, s[36:37]
	s_cbranch_vccnz .LBB1608_72
; %bb.64:
	global_load_dword v36, v[32:33], off
	global_load_dword v37, v[34:35], off
	s_mov_b64 s[10:11], -1
	s_waitcnt vmcnt(0)
	v_cmp_eq_u32_e32 vcc, v36, v37
	s_and_saveexec_b64 s[14:15], vcc
	s_cbranch_execz .LBB1608_71
; %bb.65:
	s_add_u32 s10, s26, -1
	v_lshl_add_u64 v[34:35], v[34:35], 0, 4
	v_lshl_add_u64 v[36:37], v[32:33], 0, 4
	s_addc_u32 s11, s27, -1
	s_mov_b64 s[16:17], 0
	s_mov_b64 s[42:43], 0
                                        ; implicit-def: $sgpr40_sgpr41
	s_branch .LBB1608_68
.LBB1608_66:                            ;   in Loop: Header=BB1608_68 Depth=1
	global_load_dword v38, v[36:37], off
	global_load_dword v39, v[34:35], off
	s_add_u32 s42, s42, 1
	s_addc_u32 s43, s43, 0
	s_andn2_b64 s[40:41], s[40:41], exec
	v_lshl_add_u64 v[34:35], v[34:35], 0, 4
	v_lshl_add_u64 v[36:37], v[36:37], 0, 4
	s_waitcnt vmcnt(0)
	v_cmp_ne_u32_e32 vcc, v38, v39
	s_and_b64 s[44:45], vcc, exec
	s_or_b64 s[40:41], s[40:41], s[44:45]
.LBB1608_67:                            ;   in Loop: Header=BB1608_68 Depth=1
	s_and_b64 s[44:45], exec, s[40:41]
	s_or_b64 s[16:17], s[44:45], s[16:17]
	v_mov_b64_e32 v[38:39], s[42:43]
	s_andn2_b64 exec, exec, s[16:17]
	s_cbranch_execz .LBB1608_70
.LBB1608_68:                            ; =>This Inner Loop Header: Depth=1
	s_or_b64 s[40:41], s[40:41], exec
	s_cmp_eq_u64 s[10:11], s[42:43]
	s_cbranch_scc0 .LBB1608_66
; %bb.69:                               ;   in Loop: Header=BB1608_68 Depth=1
                                        ; implicit-def: $vgpr34_vgpr35
                                        ; implicit-def: $vgpr36_vgpr37
	s_mov_b64 s[42:43], s[26:27]
	s_branch .LBB1608_67
.LBB1608_70:
	s_or_b64 exec, exec, s[16:17]
	v_cmp_gt_i64_e32 vcc, s[26:27], v[38:39]
	s_orn2_b64 s[10:11], vcc, exec
.LBB1608_71:
	s_or_b64 exec, exec, s[14:15]
.LBB1608_72:
	v_mul_lo_u32 v36, v19, s26
	v_mul_lo_u32 v37, v18, s27
	v_mad_u64_u32 v[34:35], s[14:15], v18, s26, 0
	v_add3_u32 v35, v35, v37, v36
	s_mov_b64 s[14:15], 0
	s_and_b64 vcc, exec, s[4:5]
	v_lshl_add_u64 v[36:37], v[34:35], 2, s[36:37]
	s_mov_b64 s[16:17], 0
	s_cbranch_vccnz .LBB1608_81
; %bb.73:
	global_load_dword v34, v[36:37], off
	global_load_dword v35, v[32:33], off
	s_mov_b64 s[16:17], -1
	s_waitcnt vmcnt(0)
	v_cmp_eq_u32_e32 vcc, v34, v35
	s_and_saveexec_b64 s[40:41], vcc
	s_cbranch_execz .LBB1608_80
; %bb.74:
	s_add_u32 s16, s26, -1
	v_lshl_add_u64 v[32:33], v[32:33], 0, 4
	v_lshl_add_u64 v[34:35], v[36:37], 0, 4
	s_addc_u32 s17, s27, -1
	s_mov_b64 s[42:43], 0
	s_mov_b64 s[46:47], 0
                                        ; implicit-def: $sgpr44_sgpr45
	s_branch .LBB1608_77
.LBB1608_75:                            ;   in Loop: Header=BB1608_77 Depth=1
	global_load_dword v38, v[34:35], off
	global_load_dword v39, v[32:33], off
	s_add_u32 s46, s46, 1
	s_addc_u32 s47, s47, 0
	s_andn2_b64 s[44:45], s[44:45], exec
	v_lshl_add_u64 v[32:33], v[32:33], 0, 4
	v_lshl_add_u64 v[34:35], v[34:35], 0, 4
	s_waitcnt vmcnt(0)
	v_cmp_ne_u32_e32 vcc, v38, v39
	s_and_b64 s[48:49], vcc, exec
	s_or_b64 s[44:45], s[44:45], s[48:49]
.LBB1608_76:                            ;   in Loop: Header=BB1608_77 Depth=1
	s_and_b64 s[48:49], exec, s[44:45]
	s_or_b64 s[42:43], s[48:49], s[42:43]
	v_mov_b64_e32 v[38:39], s[46:47]
	s_andn2_b64 exec, exec, s[42:43]
	s_cbranch_execz .LBB1608_79
.LBB1608_77:                            ; =>This Inner Loop Header: Depth=1
	s_or_b64 s[44:45], s[44:45], exec
	s_cmp_eq_u64 s[16:17], s[46:47]
	s_cbranch_scc0 .LBB1608_75
; %bb.78:                               ;   in Loop: Header=BB1608_77 Depth=1
                                        ; implicit-def: $vgpr32_vgpr33
                                        ; implicit-def: $vgpr34_vgpr35
	s_mov_b64 s[46:47], s[26:27]
	s_branch .LBB1608_76
.LBB1608_79:
	s_or_b64 exec, exec, s[42:43]
	v_cmp_gt_i64_e32 vcc, s[26:27], v[38:39]
	s_orn2_b64 s[16:17], vcc, exec
.LBB1608_80:
	s_or_b64 exec, exec, s[40:41]
.LBB1608_81:
	v_mul_lo_u32 v34, v25, s26
	v_mul_lo_u32 v35, v24, s27
	v_mad_u64_u32 v[32:33], s[40:41], v24, s26, 0
	v_add3_u32 v33, v33, v35, v34
	s_and_b64 vcc, exec, s[4:5]
	v_lshl_add_u64 v[34:35], v[32:33], 2, s[36:37]
	s_cbranch_vccnz .LBB1608_90
; %bb.82:
	global_load_dword v32, v[34:35], off
	global_load_dword v33, v[36:37], off
	s_mov_b64 s[14:15], -1
	s_waitcnt vmcnt(0)
	v_cmp_eq_u32_e32 vcc, v32, v33
	s_and_saveexec_b64 s[40:41], vcc
	s_cbranch_execz .LBB1608_89
; %bb.83:
	s_add_u32 s14, s26, -1
	v_lshl_add_u64 v[32:33], v[36:37], 0, 4
	v_lshl_add_u64 v[36:37], v[34:35], 0, 4
	s_addc_u32 s15, s27, -1
	s_mov_b64 s[42:43], 0
	s_mov_b64 s[46:47], 0
                                        ; implicit-def: $sgpr44_sgpr45
	s_branch .LBB1608_86
.LBB1608_84:                            ;   in Loop: Header=BB1608_86 Depth=1
	global_load_dword v38, v[36:37], off
	global_load_dword v39, v[32:33], off
	s_add_u32 s46, s46, 1
	s_addc_u32 s47, s47, 0
	s_andn2_b64 s[44:45], s[44:45], exec
	v_lshl_add_u64 v[32:33], v[32:33], 0, 4
	v_lshl_add_u64 v[36:37], v[36:37], 0, 4
	s_waitcnt vmcnt(0)
	v_cmp_ne_u32_e32 vcc, v38, v39
	s_and_b64 s[48:49], vcc, exec
	s_or_b64 s[44:45], s[44:45], s[48:49]
.LBB1608_85:                            ;   in Loop: Header=BB1608_86 Depth=1
	s_and_b64 s[48:49], exec, s[44:45]
	s_or_b64 s[42:43], s[48:49], s[42:43]
	v_mov_b64_e32 v[38:39], s[46:47]
	s_andn2_b64 exec, exec, s[42:43]
	s_cbranch_execz .LBB1608_88
.LBB1608_86:                            ; =>This Inner Loop Header: Depth=1
	s_or_b64 s[44:45], s[44:45], exec
	s_cmp_eq_u64 s[14:15], s[46:47]
	s_cbranch_scc0 .LBB1608_84
; %bb.87:                               ;   in Loop: Header=BB1608_86 Depth=1
                                        ; implicit-def: $vgpr32_vgpr33
                                        ; implicit-def: $vgpr36_vgpr37
	s_mov_b64 s[46:47], s[26:27]
	s_branch .LBB1608_85
.LBB1608_88:
	s_or_b64 exec, exec, s[42:43]
	v_cmp_gt_i64_e32 vcc, s[26:27], v[38:39]
	s_orn2_b64 s[14:15], vcc, exec
.LBB1608_89:
	s_or_b64 exec, exec, s[40:41]
.LBB1608_90:
	v_mul_lo_u32 v36, v23, s26
	v_mul_lo_u32 v37, v22, s27
	v_mad_u64_u32 v[32:33], s[40:41], v22, s26, 0
	v_add3_u32 v33, v33, v37, v36
	s_mov_b64 s[42:43], 0
	s_and_b64 vcc, exec, s[4:5]
	v_lshl_add_u64 v[32:33], v[32:33], 2, s[36:37]
	s_cbranch_vccnz .LBB1608_99
; %bb.91:
	global_load_dword v36, v[32:33], off
	global_load_dword v37, v[34:35], off
	s_mov_b64 s[42:43], -1
	s_waitcnt vmcnt(0)
	v_cmp_eq_u32_e32 vcc, v36, v37
	s_and_saveexec_b64 s[40:41], vcc
	s_cbranch_execz .LBB1608_98
; %bb.92:
	s_add_u32 s42, s26, -1
	v_lshl_add_u64 v[34:35], v[34:35], 0, 4
	v_lshl_add_u64 v[36:37], v[32:33], 0, 4
	s_addc_u32 s43, s27, -1
	s_mov_b64 s[44:45], 0
	s_mov_b64 s[48:49], 0
                                        ; implicit-def: $sgpr46_sgpr47
	s_branch .LBB1608_95
.LBB1608_93:                            ;   in Loop: Header=BB1608_95 Depth=1
	global_load_dword v38, v[36:37], off
	global_load_dword v39, v[34:35], off
	s_add_u32 s48, s48, 1
	s_addc_u32 s49, s49, 0
	s_andn2_b64 s[46:47], s[46:47], exec
	v_lshl_add_u64 v[34:35], v[34:35], 0, 4
	v_lshl_add_u64 v[36:37], v[36:37], 0, 4
	s_waitcnt vmcnt(0)
	v_cmp_ne_u32_e32 vcc, v38, v39
	s_and_b64 s[50:51], vcc, exec
	s_or_b64 s[46:47], s[46:47], s[50:51]
.LBB1608_94:                            ;   in Loop: Header=BB1608_95 Depth=1
	s_and_b64 s[50:51], exec, s[46:47]
	s_or_b64 s[44:45], s[50:51], s[44:45]
	v_mov_b64_e32 v[38:39], s[48:49]
	s_andn2_b64 exec, exec, s[44:45]
	s_cbranch_execz .LBB1608_97
.LBB1608_95:                            ; =>This Inner Loop Header: Depth=1
	s_or_b64 s[46:47], s[46:47], exec
	s_cmp_eq_u64 s[42:43], s[48:49]
	s_cbranch_scc0 .LBB1608_93
; %bb.96:                               ;   in Loop: Header=BB1608_95 Depth=1
                                        ; implicit-def: $vgpr34_vgpr35
                                        ; implicit-def: $vgpr36_vgpr37
	s_mov_b64 s[48:49], s[26:27]
	s_branch .LBB1608_94
.LBB1608_97:
	s_or_b64 exec, exec, s[44:45]
	v_cmp_gt_i64_e32 vcc, s[26:27], v[38:39]
	s_orn2_b64 s[42:43], vcc, exec
.LBB1608_98:
	s_or_b64 exec, exec, s[40:41]
.LBB1608_99:
	s_waitcnt vmcnt(0)
	v_mov_b64_e32 v[34:35], v[30:31]
	s_waitcnt lgkmcnt(0)
	s_barrier
	s_and_saveexec_b64 s[40:41], s[2:3]
	s_cbranch_execz .LBB1608_101
; %bb.100:
	v_add_u32_e32 v34, -8, v47
	ds_read_b64 v[34:35], v34
.LBB1608_101:
	s_or_b64 exec, exec, s[40:41]
	v_cndmask_b32_e64 v37, 0, 1, s[16:17]
	v_cndmask_b32_e64 v36, 0, 1, s[14:15]
	;; [unrolled: 1-line block ×3, first 2 shown]
	v_lshlrev_b16_e32 v37, 8, v37
	v_lshlrev_b16_e32 v38, 8, v38
	v_or_b32_sdwa v50, v36, v37 dst_sel:WORD_1 dst_unused:UNUSED_PAD src0_sel:DWORD src1_sel:DWORD
	s_mov_b64 s[16:17], 0
	s_and_b64 vcc, exec, s[4:5]
	s_mov_b64 s[14:15], 0
	s_cbranch_vccnz .LBB1608_110
; %bb.102:
	s_waitcnt lgkmcnt(0)
	v_mul_lo_u32 v36, v35, s26
	v_mul_lo_u32 v37, v34, s27
	v_mad_u64_u32 v[34:35], s[14:15], v34, s26, 0
	v_add3_u32 v35, v35, v37, v36
	v_lshl_add_u64 v[34:35], v[34:35], 2, s[36:37]
	global_load_dword v36, v[34:35], off
	global_load_dword v37, v[32:33], off
	s_mov_b64 s[14:15], -1
	s_waitcnt vmcnt(0)
	v_cmp_eq_u32_e32 vcc, v36, v37
	s_and_saveexec_b64 s[40:41], vcc
	s_cbranch_execz .LBB1608_109
; %bb.103:
	s_add_u32 s14, s26, -1
	v_lshl_add_u64 v[32:33], v[32:33], 0, 4
	v_lshl_add_u64 v[34:35], v[34:35], 0, 4
	s_addc_u32 s15, s27, -1
	s_mov_b64 s[42:43], 0
	s_mov_b64 s[46:47], 0
                                        ; implicit-def: $sgpr44_sgpr45
	s_branch .LBB1608_106
.LBB1608_104:                           ;   in Loop: Header=BB1608_106 Depth=1
	global_load_dword v36, v[34:35], off
	global_load_dword v37, v[32:33], off
	s_add_u32 s46, s46, 1
	s_addc_u32 s47, s47, 0
	s_andn2_b64 s[44:45], s[44:45], exec
	v_lshl_add_u64 v[32:33], v[32:33], 0, 4
	v_lshl_add_u64 v[34:35], v[34:35], 0, 4
	s_waitcnt vmcnt(0)
	v_cmp_ne_u32_e32 vcc, v36, v37
	s_and_b64 s[48:49], vcc, exec
	s_or_b64 s[44:45], s[44:45], s[48:49]
.LBB1608_105:                           ;   in Loop: Header=BB1608_106 Depth=1
	s_and_b64 s[48:49], exec, s[44:45]
	s_or_b64 s[42:43], s[48:49], s[42:43]
	v_mov_b64_e32 v[36:37], s[46:47]
	s_andn2_b64 exec, exec, s[42:43]
	s_cbranch_execz .LBB1608_108
.LBB1608_106:                           ; =>This Inner Loop Header: Depth=1
	s_or_b64 s[44:45], s[44:45], exec
	s_cmp_eq_u64 s[14:15], s[46:47]
	s_cbranch_scc0 .LBB1608_104
; %bb.107:                              ;   in Loop: Header=BB1608_106 Depth=1
                                        ; implicit-def: $vgpr32_vgpr33
                                        ; implicit-def: $vgpr34_vgpr35
	s_mov_b64 s[46:47], s[26:27]
	s_branch .LBB1608_105
.LBB1608_108:
	s_or_b64 exec, exec, s[42:43]
	v_cmp_gt_i64_e32 vcc, s[26:27], v[36:37]
	s_orn2_b64 s[14:15], vcc, exec
.LBB1608_109:
	s_or_b64 exec, exec, s[40:41]
.LBB1608_110:
	v_cndmask_b32_e64 v39, 0, 1, s[10:11]
	v_cndmask_b32_e64 v48, 0, 1, s[12:13]
	;; [unrolled: 1-line block ×3, first 2 shown]
	s_waitcnt lgkmcnt(0)
	v_or_b32_e32 v34, v38, v50
	s_and_b64 vcc, exec, s[16:17]
	s_cbranch_vccz .LBB1608_191
.LBB1608_111:
	v_cmp_gt_u32_e32 vcc, s54, v42
	s_mov_b64 s[10:11], 0
	s_mov_b64 s[6:7], 0
	s_and_saveexec_b64 s[12:13], vcc
	s_cbranch_execz .LBB1608_122
; %bb.112:
	s_and_b64 vcc, exec, s[4:5]
	s_mov_b64 s[14:15], 0
	s_cbranch_vccnz .LBB1608_121
; %bb.113:
	v_mul_lo_u32 v34, v17, s26
	v_mul_lo_u32 v35, v16, s27
	v_mad_u64_u32 v[32:33], s[6:7], v16, s26, 0
	v_add3_u32 v33, v33, v35, v34
	v_mul_lo_u32 v34, v29, s26
	v_mul_lo_u32 v35, v28, s27
	v_mad_u64_u32 v[36:37], s[6:7], v28, s26, 0
	v_add3_u32 v37, v37, v35, v34
	v_lshl_add_u64 v[34:35], v[32:33], 2, s[36:37]
	v_lshl_add_u64 v[32:33], v[36:37], 2, s[36:37]
	global_load_dword v36, v[34:35], off
	global_load_dword v37, v[32:33], off
	s_mov_b64 s[14:15], -1
	s_waitcnt vmcnt(0)
	v_cmp_eq_u32_e32 vcc, v36, v37
	s_and_saveexec_b64 s[6:7], vcc
	s_cbranch_execz .LBB1608_120
; %bb.114:
	s_add_u32 s14, s26, -1
	v_lshl_add_u64 v[32:33], v[32:33], 0, 4
	v_lshl_add_u64 v[34:35], v[34:35], 0, 4
	s_addc_u32 s15, s27, -1
	s_mov_b64 s[16:17], 0
	s_mov_b64 s[42:43], 0
                                        ; implicit-def: $sgpr40_sgpr41
	s_branch .LBB1608_117
.LBB1608_115:                           ;   in Loop: Header=BB1608_117 Depth=1
	global_load_dword v36, v[34:35], off
	global_load_dword v37, v[32:33], off
	s_add_u32 s42, s42, 1
	s_addc_u32 s43, s43, 0
	s_andn2_b64 s[40:41], s[40:41], exec
	v_lshl_add_u64 v[32:33], v[32:33], 0, 4
	v_lshl_add_u64 v[34:35], v[34:35], 0, 4
	s_waitcnt vmcnt(0)
	v_cmp_ne_u32_e32 vcc, v36, v37
	s_and_b64 s[44:45], vcc, exec
	s_or_b64 s[40:41], s[40:41], s[44:45]
.LBB1608_116:                           ;   in Loop: Header=BB1608_117 Depth=1
	s_and_b64 s[44:45], exec, s[40:41]
	s_or_b64 s[16:17], s[44:45], s[16:17]
	v_mov_b64_e32 v[36:37], s[42:43]
	s_andn2_b64 exec, exec, s[16:17]
	s_cbranch_execz .LBB1608_119
.LBB1608_117:                           ; =>This Inner Loop Header: Depth=1
	s_or_b64 s[40:41], s[40:41], exec
	s_cmp_eq_u64 s[14:15], s[42:43]
	s_cbranch_scc0 .LBB1608_115
; %bb.118:                              ;   in Loop: Header=BB1608_117 Depth=1
                                        ; implicit-def: $vgpr32_vgpr33
                                        ; implicit-def: $vgpr34_vgpr35
	s_mov_b64 s[42:43], s[26:27]
	s_branch .LBB1608_116
.LBB1608_119:
	s_or_b64 exec, exec, s[16:17]
	v_cmp_gt_i64_e32 vcc, s[26:27], v[36:37]
	s_orn2_b64 s[14:15], vcc, exec
.LBB1608_120:
	s_or_b64 exec, exec, s[6:7]
.LBB1608_121:
	s_and_b64 s[6:7], s[14:15], exec
.LBB1608_122:
	s_or_b64 exec, exec, s[12:13]
	v_cmp_gt_u32_e32 vcc, s54, v45
	s_and_saveexec_b64 s[12:13], vcc
	s_cbranch_execz .LBB1608_133
; %bb.123:
	s_and_b64 vcc, exec, s[4:5]
	s_mov_b64 s[14:15], 0
	s_cbranch_vccnz .LBB1608_132
; %bb.124:
	v_mul_lo_u32 v34, v15, s26
	v_mul_lo_u32 v35, v14, s27
	v_mad_u64_u32 v[32:33], s[10:11], v14, s26, 0
	v_add3_u32 v33, v33, v35, v34
	v_mul_lo_u32 v34, v17, s26
	v_mul_lo_u32 v35, v16, s27
	v_mad_u64_u32 v[36:37], s[10:11], v16, s26, 0
	v_add3_u32 v37, v37, v35, v34
	v_lshl_add_u64 v[34:35], v[32:33], 2, s[36:37]
	v_lshl_add_u64 v[32:33], v[36:37], 2, s[36:37]
	global_load_dword v36, v[34:35], off
	global_load_dword v37, v[32:33], off
	s_mov_b64 s[14:15], -1
	s_waitcnt vmcnt(0)
	v_cmp_eq_u32_e32 vcc, v36, v37
	s_and_saveexec_b64 s[10:11], vcc
	s_cbranch_execz .LBB1608_131
; %bb.125:
	s_add_u32 s14, s26, -1
	v_lshl_add_u64 v[32:33], v[32:33], 0, 4
	v_lshl_add_u64 v[34:35], v[34:35], 0, 4
	s_addc_u32 s15, s27, -1
	s_mov_b64 s[16:17], 0
	s_mov_b64 s[42:43], 0
                                        ; implicit-def: $sgpr40_sgpr41
	s_branch .LBB1608_128
.LBB1608_126:                           ;   in Loop: Header=BB1608_128 Depth=1
	global_load_dword v36, v[34:35], off
	global_load_dword v37, v[32:33], off
	s_add_u32 s42, s42, 1
	s_addc_u32 s43, s43, 0
	s_andn2_b64 s[40:41], s[40:41], exec
	v_lshl_add_u64 v[32:33], v[32:33], 0, 4
	v_lshl_add_u64 v[34:35], v[34:35], 0, 4
	s_waitcnt vmcnt(0)
	v_cmp_ne_u32_e32 vcc, v36, v37
	s_and_b64 s[44:45], vcc, exec
	s_or_b64 s[40:41], s[40:41], s[44:45]
.LBB1608_127:                           ;   in Loop: Header=BB1608_128 Depth=1
	s_and_b64 s[44:45], exec, s[40:41]
	s_or_b64 s[16:17], s[44:45], s[16:17]
	v_mov_b64_e32 v[36:37], s[42:43]
	s_andn2_b64 exec, exec, s[16:17]
	s_cbranch_execz .LBB1608_130
.LBB1608_128:                           ; =>This Inner Loop Header: Depth=1
	s_or_b64 s[40:41], s[40:41], exec
	s_cmp_eq_u64 s[14:15], s[42:43]
	s_cbranch_scc0 .LBB1608_126
; %bb.129:                              ;   in Loop: Header=BB1608_128 Depth=1
                                        ; implicit-def: $vgpr32_vgpr33
                                        ; implicit-def: $vgpr34_vgpr35
	s_mov_b64 s[42:43], s[26:27]
	s_branch .LBB1608_127
.LBB1608_130:
	s_or_b64 exec, exec, s[16:17]
	v_cmp_gt_i64_e32 vcc, s[26:27], v[36:37]
	s_orn2_b64 s[14:15], vcc, exec
.LBB1608_131:
	s_or_b64 exec, exec, s[10:11]
.LBB1608_132:
	s_and_b64 s[10:11], s[14:15], exec
.LBB1608_133:
	s_or_b64 exec, exec, s[12:13]
	v_cmp_gt_u32_e32 vcc, s54, v41
	s_mov_b64 s[14:15], 0
	s_mov_b64 s[12:13], 0
	s_and_saveexec_b64 s[16:17], vcc
	s_cbranch_execz .LBB1608_144
; %bb.134:
	s_and_b64 vcc, exec, s[4:5]
	s_mov_b64 s[40:41], 0
	s_cbranch_vccnz .LBB1608_143
; %bb.135:
	v_mul_lo_u32 v34, v21, s26
	v_mul_lo_u32 v35, v20, s27
	v_mad_u64_u32 v[32:33], s[12:13], v20, s26, 0
	v_add3_u32 v33, v33, v35, v34
	v_mul_lo_u32 v34, v15, s26
	v_mul_lo_u32 v35, v14, s27
	v_mad_u64_u32 v[36:37], s[12:13], v14, s26, 0
	v_add3_u32 v37, v37, v35, v34
	v_lshl_add_u64 v[34:35], v[32:33], 2, s[36:37]
	v_lshl_add_u64 v[32:33], v[36:37], 2, s[36:37]
	global_load_dword v36, v[34:35], off
	global_load_dword v37, v[32:33], off
	s_mov_b64 s[40:41], -1
	s_waitcnt vmcnt(0)
	v_cmp_eq_u32_e32 vcc, v36, v37
	s_and_saveexec_b64 s[12:13], vcc
	s_cbranch_execz .LBB1608_142
; %bb.136:
	s_add_u32 s40, s26, -1
	v_lshl_add_u64 v[32:33], v[32:33], 0, 4
	v_lshl_add_u64 v[34:35], v[34:35], 0, 4
	s_addc_u32 s41, s27, -1
	s_mov_b64 s[42:43], 0
	s_mov_b64 s[46:47], 0
                                        ; implicit-def: $sgpr44_sgpr45
	s_branch .LBB1608_139
.LBB1608_137:                           ;   in Loop: Header=BB1608_139 Depth=1
	global_load_dword v36, v[34:35], off
	global_load_dword v37, v[32:33], off
	s_add_u32 s46, s46, 1
	s_addc_u32 s47, s47, 0
	s_andn2_b64 s[44:45], s[44:45], exec
	v_lshl_add_u64 v[32:33], v[32:33], 0, 4
	v_lshl_add_u64 v[34:35], v[34:35], 0, 4
	s_waitcnt vmcnt(0)
	v_cmp_ne_u32_e32 vcc, v36, v37
	s_and_b64 s[48:49], vcc, exec
	s_or_b64 s[44:45], s[44:45], s[48:49]
.LBB1608_138:                           ;   in Loop: Header=BB1608_139 Depth=1
	s_and_b64 s[48:49], exec, s[44:45]
	s_or_b64 s[42:43], s[48:49], s[42:43]
	v_mov_b64_e32 v[36:37], s[46:47]
	s_andn2_b64 exec, exec, s[42:43]
	s_cbranch_execz .LBB1608_141
.LBB1608_139:                           ; =>This Inner Loop Header: Depth=1
	s_or_b64 s[44:45], s[44:45], exec
	s_cmp_eq_u64 s[40:41], s[46:47]
	s_cbranch_scc0 .LBB1608_137
; %bb.140:                              ;   in Loop: Header=BB1608_139 Depth=1
                                        ; implicit-def: $vgpr32_vgpr33
                                        ; implicit-def: $vgpr34_vgpr35
	s_mov_b64 s[46:47], s[26:27]
	s_branch .LBB1608_138
.LBB1608_141:
	s_or_b64 exec, exec, s[42:43]
	v_cmp_gt_i64_e32 vcc, s[26:27], v[36:37]
	s_orn2_b64 s[40:41], vcc, exec
.LBB1608_142:
	s_or_b64 exec, exec, s[12:13]
.LBB1608_143:
	s_and_b64 s[12:13], s[40:41], exec
.LBB1608_144:
	s_or_b64 exec, exec, s[16:17]
	v_cmp_gt_u32_e32 vcc, s54, v44
	s_and_saveexec_b64 s[16:17], vcc
	s_cbranch_execz .LBB1608_155
; %bb.145:
	s_and_b64 vcc, exec, s[4:5]
	s_mov_b64 s[40:41], 0
	s_cbranch_vccnz .LBB1608_154
; %bb.146:
	v_mul_lo_u32 v34, v19, s26
	v_mul_lo_u32 v35, v18, s27
	v_mad_u64_u32 v[32:33], s[14:15], v18, s26, 0
	v_add3_u32 v33, v33, v35, v34
	v_mul_lo_u32 v34, v21, s26
	v_mul_lo_u32 v35, v20, s27
	v_mad_u64_u32 v[36:37], s[14:15], v20, s26, 0
	v_add3_u32 v37, v37, v35, v34
	v_lshl_add_u64 v[34:35], v[32:33], 2, s[36:37]
	v_lshl_add_u64 v[32:33], v[36:37], 2, s[36:37]
	global_load_dword v36, v[34:35], off
	global_load_dword v37, v[32:33], off
	s_mov_b64 s[40:41], -1
	s_waitcnt vmcnt(0)
	v_cmp_eq_u32_e32 vcc, v36, v37
	s_and_saveexec_b64 s[14:15], vcc
	s_cbranch_execz .LBB1608_153
; %bb.147:
	s_add_u32 s40, s26, -1
	v_lshl_add_u64 v[32:33], v[32:33], 0, 4
	v_lshl_add_u64 v[34:35], v[34:35], 0, 4
	s_addc_u32 s41, s27, -1
	s_mov_b64 s[42:43], 0
	s_mov_b64 s[46:47], 0
                                        ; implicit-def: $sgpr44_sgpr45
	s_branch .LBB1608_150
.LBB1608_148:                           ;   in Loop: Header=BB1608_150 Depth=1
	global_load_dword v36, v[34:35], off
	global_load_dword v37, v[32:33], off
	s_add_u32 s46, s46, 1
	s_addc_u32 s47, s47, 0
	s_andn2_b64 s[44:45], s[44:45], exec
	v_lshl_add_u64 v[32:33], v[32:33], 0, 4
	v_lshl_add_u64 v[34:35], v[34:35], 0, 4
	s_waitcnt vmcnt(0)
	v_cmp_ne_u32_e32 vcc, v36, v37
	s_and_b64 s[48:49], vcc, exec
	s_or_b64 s[44:45], s[44:45], s[48:49]
.LBB1608_149:                           ;   in Loop: Header=BB1608_150 Depth=1
	s_and_b64 s[48:49], exec, s[44:45]
	s_or_b64 s[42:43], s[48:49], s[42:43]
	v_mov_b64_e32 v[36:37], s[46:47]
	s_andn2_b64 exec, exec, s[42:43]
	s_cbranch_execz .LBB1608_152
.LBB1608_150:                           ; =>This Inner Loop Header: Depth=1
	s_or_b64 s[44:45], s[44:45], exec
	s_cmp_eq_u64 s[40:41], s[46:47]
	s_cbranch_scc0 .LBB1608_148
; %bb.151:                              ;   in Loop: Header=BB1608_150 Depth=1
                                        ; implicit-def: $vgpr32_vgpr33
                                        ; implicit-def: $vgpr34_vgpr35
	s_mov_b64 s[46:47], s[26:27]
	s_branch .LBB1608_149
.LBB1608_152:
	s_or_b64 exec, exec, s[42:43]
	v_cmp_gt_i64_e32 vcc, s[26:27], v[36:37]
	s_orn2_b64 s[40:41], vcc, exec
.LBB1608_153:
	s_or_b64 exec, exec, s[14:15]
.LBB1608_154:
	s_and_b64 s[14:15], s[40:41], exec
.LBB1608_155:
	s_or_b64 exec, exec, s[16:17]
	v_cmp_gt_u32_e32 vcc, s54, v40
	s_mov_b64 s[16:17], 0
	s_mov_b64 s[40:41], 0
	s_and_saveexec_b64 s[42:43], vcc
	s_cbranch_execz .LBB1608_166
; %bb.156:
	s_and_b64 vcc, exec, s[4:5]
	s_mov_b64 s[44:45], 0
	s_cbranch_vccnz .LBB1608_165
; %bb.157:
	v_mul_lo_u32 v34, v25, s26
	v_mul_lo_u32 v35, v24, s27
	v_mad_u64_u32 v[32:33], s[40:41], v24, s26, 0
	v_add3_u32 v33, v33, v35, v34
	v_mul_lo_u32 v34, v19, s26
	v_mul_lo_u32 v35, v18, s27
	v_mad_u64_u32 v[36:37], s[40:41], v18, s26, 0
	v_add3_u32 v37, v37, v35, v34
	v_lshl_add_u64 v[34:35], v[32:33], 2, s[36:37]
	v_lshl_add_u64 v[32:33], v[36:37], 2, s[36:37]
	global_load_dword v36, v[34:35], off
	global_load_dword v37, v[32:33], off
	s_mov_b64 s[44:45], -1
	s_waitcnt vmcnt(0)
	v_cmp_eq_u32_e32 vcc, v36, v37
	s_and_saveexec_b64 s[40:41], vcc
	s_cbranch_execz .LBB1608_164
; %bb.158:
	s_add_u32 s44, s26, -1
	v_lshl_add_u64 v[32:33], v[32:33], 0, 4
	v_lshl_add_u64 v[34:35], v[34:35], 0, 4
	s_addc_u32 s45, s27, -1
	s_mov_b64 s[46:47], 0
	s_mov_b64 s[50:51], 0
                                        ; implicit-def: $sgpr48_sgpr49
	s_branch .LBB1608_161
.LBB1608_159:                           ;   in Loop: Header=BB1608_161 Depth=1
	global_load_dword v36, v[34:35], off
	global_load_dword v37, v[32:33], off
	s_add_u32 s50, s50, 1
	s_addc_u32 s51, s51, 0
	s_andn2_b64 s[48:49], s[48:49], exec
	v_lshl_add_u64 v[32:33], v[32:33], 0, 4
	v_lshl_add_u64 v[34:35], v[34:35], 0, 4
	s_waitcnt vmcnt(0)
	v_cmp_ne_u32_e32 vcc, v36, v37
	s_and_b64 s[52:53], vcc, exec
	s_or_b64 s[48:49], s[48:49], s[52:53]
.LBB1608_160:                           ;   in Loop: Header=BB1608_161 Depth=1
	s_and_b64 s[52:53], exec, s[48:49]
	s_or_b64 s[46:47], s[52:53], s[46:47]
	v_mov_b64_e32 v[36:37], s[50:51]
	s_andn2_b64 exec, exec, s[46:47]
	s_cbranch_execz .LBB1608_163
.LBB1608_161:                           ; =>This Inner Loop Header: Depth=1
	s_or_b64 s[48:49], s[48:49], exec
	s_cmp_eq_u64 s[44:45], s[50:51]
	s_cbranch_scc0 .LBB1608_159
; %bb.162:                              ;   in Loop: Header=BB1608_161 Depth=1
                                        ; implicit-def: $vgpr32_vgpr33
                                        ; implicit-def: $vgpr34_vgpr35
	s_mov_b64 s[50:51], s[26:27]
	s_branch .LBB1608_160
.LBB1608_163:
	s_or_b64 exec, exec, s[46:47]
	v_cmp_gt_i64_e32 vcc, s[26:27], v[36:37]
	s_orn2_b64 s[44:45], vcc, exec
.LBB1608_164:
	s_or_b64 exec, exec, s[40:41]
.LBB1608_165:
	s_and_b64 s[40:41], s[44:45], exec
.LBB1608_166:
	s_or_b64 exec, exec, s[42:43]
	v_cmp_gt_u32_e32 vcc, s54, v43
	s_and_saveexec_b64 s[42:43], vcc
	s_cbranch_execz .LBB1608_177
; %bb.167:
	s_and_b64 vcc, exec, s[4:5]
	s_mov_b64 s[44:45], 0
	s_cbranch_vccnz .LBB1608_176
; %bb.168:
	v_mul_lo_u32 v34, v23, s26
	v_mul_lo_u32 v35, v22, s27
	v_mad_u64_u32 v[32:33], s[16:17], v22, s26, 0
	v_add3_u32 v33, v33, v35, v34
	v_mul_lo_u32 v34, v25, s26
	v_mul_lo_u32 v35, v24, s27
	v_mad_u64_u32 v[36:37], s[16:17], v24, s26, 0
	v_add3_u32 v37, v37, v35, v34
	v_lshl_add_u64 v[34:35], v[32:33], 2, s[36:37]
	v_lshl_add_u64 v[32:33], v[36:37], 2, s[36:37]
	global_load_dword v36, v[34:35], off
	global_load_dword v37, v[32:33], off
	s_mov_b64 s[44:45], -1
	s_waitcnt vmcnt(0)
	v_cmp_eq_u32_e32 vcc, v36, v37
	s_and_saveexec_b64 s[16:17], vcc
	s_cbranch_execz .LBB1608_175
; %bb.169:
	s_add_u32 s44, s26, -1
	v_lshl_add_u64 v[32:33], v[32:33], 0, 4
	v_lshl_add_u64 v[34:35], v[34:35], 0, 4
	s_addc_u32 s45, s27, -1
	s_mov_b64 s[46:47], 0
	s_mov_b64 s[50:51], 0
                                        ; implicit-def: $sgpr48_sgpr49
	s_branch .LBB1608_172
.LBB1608_170:                           ;   in Loop: Header=BB1608_172 Depth=1
	global_load_dword v36, v[34:35], off
	global_load_dword v37, v[32:33], off
	s_add_u32 s50, s50, 1
	s_addc_u32 s51, s51, 0
	s_andn2_b64 s[48:49], s[48:49], exec
	v_lshl_add_u64 v[32:33], v[32:33], 0, 4
	v_lshl_add_u64 v[34:35], v[34:35], 0, 4
	s_waitcnt vmcnt(0)
	v_cmp_ne_u32_e32 vcc, v36, v37
	s_and_b64 s[52:53], vcc, exec
	s_or_b64 s[48:49], s[48:49], s[52:53]
.LBB1608_171:                           ;   in Loop: Header=BB1608_172 Depth=1
	s_and_b64 s[52:53], exec, s[48:49]
	s_or_b64 s[46:47], s[52:53], s[46:47]
	v_mov_b64_e32 v[36:37], s[50:51]
	s_andn2_b64 exec, exec, s[46:47]
	s_cbranch_execz .LBB1608_174
.LBB1608_172:                           ; =>This Inner Loop Header: Depth=1
	s_or_b64 s[48:49], s[48:49], exec
	s_cmp_eq_u64 s[44:45], s[50:51]
	s_cbranch_scc0 .LBB1608_170
; %bb.173:                              ;   in Loop: Header=BB1608_172 Depth=1
                                        ; implicit-def: $vgpr32_vgpr33
                                        ; implicit-def: $vgpr34_vgpr35
	s_mov_b64 s[50:51], s[26:27]
	s_branch .LBB1608_171
.LBB1608_174:
	s_or_b64 exec, exec, s[46:47]
	v_cmp_gt_i64_e32 vcc, s[26:27], v[36:37]
	s_orn2_b64 s[44:45], vcc, exec
.LBB1608_175:
	s_or_b64 exec, exec, s[16:17]
.LBB1608_176:
	s_and_b64 s[16:17], s[44:45], exec
.LBB1608_177:
	s_or_b64 exec, exec, s[42:43]
	s_waitcnt lgkmcnt(0)
	s_barrier
	s_and_saveexec_b64 s[42:43], s[2:3]
	s_cbranch_execz .LBB1608_179
; %bb.178:
	s_waitcnt vmcnt(0)
	v_add_u32_e32 v30, -8, v47
	ds_read_b64 v[30:31], v30
.LBB1608_179:
	s_or_b64 exec, exec, s[42:43]
	v_cndmask_b32_e64 v33, 0, 1, s[14:15]
	v_cndmask_b32_e64 v32, 0, 1, s[40:41]
	v_cndmask_b32_e64 v34, 0, 1, s[16:17]
	v_lshlrev_b16_e32 v33, 8, v33
	v_cmp_gt_u32_e32 vcc, s54, v1
	v_lshlrev_b16_e32 v36, 8, v34
	v_or_b32_sdwa v37, v32, v33 dst_sel:WORD_1 dst_unused:UNUSED_PAD src0_sel:DWORD src1_sel:DWORD
	s_mov_b64 s[14:15], 0
	s_and_saveexec_b64 s[16:17], vcc
	s_cbranch_execz .LBB1608_190
; %bb.180:
	s_and_b64 vcc, exec, s[4:5]
	s_cbranch_vccnz .LBB1608_189
; %bb.181:
	s_waitcnt vmcnt(0) lgkmcnt(0)
	v_mul_lo_u32 v32, v31, s26
	v_mul_lo_u32 v33, v30, s27
	v_mad_u64_u32 v[30:31], s[4:5], v30, s26, 0
	v_add3_u32 v31, v31, v33, v32
	v_mul_lo_u32 v32, v23, s26
	v_mul_lo_u32 v33, v22, s27
	v_mad_u64_u32 v[34:35], s[4:5], v22, s26, 0
	v_add3_u32 v35, v35, v33, v32
	v_lshl_add_u64 v[32:33], v[30:31], 2, s[36:37]
	v_lshl_add_u64 v[30:31], v[34:35], 2, s[36:37]
	global_load_dword v34, v[32:33], off
	global_load_dword v35, v[30:31], off
	s_mov_b64 s[14:15], -1
	s_waitcnt vmcnt(0)
	v_cmp_eq_u32_e32 vcc, v34, v35
	s_and_saveexec_b64 s[4:5], vcc
	s_cbranch_execz .LBB1608_188
; %bb.182:
	s_add_u32 s14, s26, -1
	v_lshl_add_u64 v[30:31], v[30:31], 0, 4
	v_lshl_add_u64 v[32:33], v[32:33], 0, 4
	s_addc_u32 s15, s27, -1
	s_mov_b64 s[40:41], 0
	s_mov_b64 s[44:45], 0
                                        ; implicit-def: $sgpr42_sgpr43
	s_branch .LBB1608_185
.LBB1608_183:                           ;   in Loop: Header=BB1608_185 Depth=1
	global_load_dword v34, v[32:33], off
	global_load_dword v35, v[30:31], off
	s_add_u32 s44, s44, 1
	s_addc_u32 s45, s45, 0
	s_andn2_b64 s[42:43], s[42:43], exec
	v_lshl_add_u64 v[30:31], v[30:31], 0, 4
	v_lshl_add_u64 v[32:33], v[32:33], 0, 4
	s_waitcnt vmcnt(0)
	v_cmp_ne_u32_e32 vcc, v34, v35
	s_and_b64 s[46:47], vcc, exec
	s_or_b64 s[42:43], s[42:43], s[46:47]
.LBB1608_184:                           ;   in Loop: Header=BB1608_185 Depth=1
	s_and_b64 s[46:47], exec, s[42:43]
	s_or_b64 s[40:41], s[46:47], s[40:41]
	v_mov_b64_e32 v[34:35], s[44:45]
	s_andn2_b64 exec, exec, s[40:41]
	s_cbranch_execz .LBB1608_187
.LBB1608_185:                           ; =>This Inner Loop Header: Depth=1
	s_or_b64 s[42:43], s[42:43], exec
	s_cmp_eq_u64 s[14:15], s[44:45]
	s_cbranch_scc0 .LBB1608_183
; %bb.186:                              ;   in Loop: Header=BB1608_185 Depth=1
                                        ; implicit-def: $vgpr30_vgpr31
                                        ; implicit-def: $vgpr32_vgpr33
	s_mov_b64 s[44:45], s[26:27]
	s_branch .LBB1608_184
.LBB1608_187:
	s_or_b64 exec, exec, s[40:41]
	v_cmp_gt_i64_e32 vcc, s[26:27], v[34:35]
	s_orn2_b64 s[14:15], vcc, exec
.LBB1608_188:
	s_or_b64 exec, exec, s[4:5]
.LBB1608_189:
	s_and_b64 s[14:15], s[14:15], exec
.LBB1608_190:
	s_or_b64 exec, exec, s[16:17]
	v_cndmask_b32_e64 v39, 0, 1, s[12:13]
	v_cndmask_b32_e64 v48, 0, 1, s[10:11]
	;; [unrolled: 1-line block ×3, first 2 shown]
	v_or_b32_e32 v34, v36, v37
.LBB1608_191:
	s_mov_b64 s[10:11], -1
	s_cbranch_execnz .LBB1608_50
.LBB1608_192:
	s_movk_i32 s4, 0xffd0
	v_mad_i32_i24 v38, v0, s4, v46
	s_mov_b64 s[12:13], 0
	v_cmp_gt_i64_e64 s[6:7], s[26:27], 0
	s_and_b64 vcc, exec, s[34:35]
	ds_write_b64 v38, v[28:29]
	s_cbranch_vccz .LBB1608_200
; %bb.193:
	v_mul_lo_u32 v32, v17, s26
	v_mul_lo_u32 v33, v16, s27
	s_waitcnt vmcnt(0) lgkmcnt(1)
	v_mad_u64_u32 v[30:31], s[4:5], v16, s26, 0
	v_add3_u32 v31, v31, v33, v32
	v_cndmask_b32_e64 v32, 0, 1, s[6:7]
	v_cmp_ne_u32_e64 s[4:5], 1, v32
	s_andn2_b64 vcc, exec, s[6:7]
	v_lshl_add_u64 v[30:31], v[30:31], 2, s[36:37]
	s_cbranch_vccnz .LBB1608_203
; %bb.194:
	v_mul_lo_u32 v34, v29, s26
	v_mul_lo_u32 v35, v28, s27
	v_mad_u64_u32 v[32:33], s[12:13], v28, s26, 0
	v_add3_u32 v33, v33, v35, v34
	v_lshl_add_u64 v[32:33], v[32:33], 2, s[36:37]
	global_load_dword v34, v[30:31], off
	global_load_dword v35, v[32:33], off
	s_mov_b64 s[12:13], -1
	s_waitcnt vmcnt(0)
	v_cmp_eq_u32_e32 vcc, v34, v35
	s_and_saveexec_b64 s[14:15], vcc
	s_cbranch_execz .LBB1608_202
; %bb.195:
	s_add_u32 s12, s26, -1
	v_lshl_add_u64 v[32:33], v[32:33], 0, 4
	v_lshl_add_u64 v[34:35], v[30:31], 0, 4
	s_addc_u32 s13, s27, -1
	s_mov_b64 s[16:17], 0
	s_mov_b64 s[42:43], 0
                                        ; implicit-def: $sgpr40_sgpr41
	s_branch .LBB1608_198
.LBB1608_196:                           ;   in Loop: Header=BB1608_198 Depth=1
	global_load_dword v36, v[34:35], off
	global_load_dword v37, v[32:33], off
	s_add_u32 s42, s42, 1
	s_addc_u32 s43, s43, 0
	s_andn2_b64 s[40:41], s[40:41], exec
	v_lshl_add_u64 v[32:33], v[32:33], 0, 4
	v_lshl_add_u64 v[34:35], v[34:35], 0, 4
	s_waitcnt vmcnt(0)
	v_cmp_ne_u32_e32 vcc, v36, v37
	s_and_b64 s[44:45], vcc, exec
	s_or_b64 s[40:41], s[40:41], s[44:45]
.LBB1608_197:                           ;   in Loop: Header=BB1608_198 Depth=1
	s_and_b64 s[44:45], exec, s[40:41]
	s_or_b64 s[16:17], s[44:45], s[16:17]
	v_mov_b64_e32 v[36:37], s[42:43]
	s_andn2_b64 exec, exec, s[16:17]
	s_cbranch_execz .LBB1608_201
.LBB1608_198:                           ; =>This Inner Loop Header: Depth=1
	s_or_b64 s[40:41], s[40:41], exec
	s_cmp_eq_u64 s[12:13], s[42:43]
	s_cbranch_scc0 .LBB1608_196
; %bb.199:                              ;   in Loop: Header=BB1608_198 Depth=1
                                        ; implicit-def: $vgpr32_vgpr33
                                        ; implicit-def: $vgpr34_vgpr35
	s_mov_b64 s[42:43], s[26:27]
	s_branch .LBB1608_197
.LBB1608_200:
                                        ; implicit-def: $sgpr14_sgpr15
                                        ; implicit-def: $vgpr49
                                        ; implicit-def: $vgpr48
                                        ; implicit-def: $vgpr39
                                        ; implicit-def: $vgpr34
                                        ; implicit-def: $vgpr30_vgpr31
	s_cbranch_execnz .LBB1608_260
	s_branch .LBB1608_340
.LBB1608_201:
	s_or_b64 exec, exec, s[16:17]
	v_cmp_gt_i64_e32 vcc, s[26:27], v[36:37]
	s_orn2_b64 s[12:13], vcc, exec
.LBB1608_202:
	s_or_b64 exec, exec, s[14:15]
.LBB1608_203:
	v_mul_lo_u32 v34, v15, s26
	v_mul_lo_u32 v35, v14, s27
	v_mad_u64_u32 v[32:33], s[14:15], v14, s26, 0
	v_add3_u32 v33, v33, v35, v34
	s_mov_b64 s[14:15], 0
	s_and_b64 vcc, exec, s[4:5]
	v_lshl_add_u64 v[32:33], v[32:33], 2, s[36:37]
	s_mov_b64 s[16:17], 0
	s_cbranch_vccnz .LBB1608_212
; %bb.204:
	global_load_dword v34, v[32:33], off
	global_load_dword v35, v[30:31], off
	s_mov_b64 s[16:17], -1
	s_waitcnt vmcnt(0)
	v_cmp_eq_u32_e32 vcc, v34, v35
	s_and_saveexec_b64 s[40:41], vcc
	s_cbranch_execz .LBB1608_211
; %bb.205:
	s_add_u32 s16, s26, -1
	v_lshl_add_u64 v[30:31], v[30:31], 0, 4
	v_lshl_add_u64 v[34:35], v[32:33], 0, 4
	s_addc_u32 s17, s27, -1
	s_mov_b64 s[42:43], 0
	s_mov_b64 s[46:47], 0
                                        ; implicit-def: $sgpr44_sgpr45
	s_branch .LBB1608_208
.LBB1608_206:                           ;   in Loop: Header=BB1608_208 Depth=1
	global_load_dword v36, v[34:35], off
	global_load_dword v37, v[30:31], off
	s_add_u32 s46, s46, 1
	s_addc_u32 s47, s47, 0
	s_andn2_b64 s[44:45], s[44:45], exec
	v_lshl_add_u64 v[30:31], v[30:31], 0, 4
	v_lshl_add_u64 v[34:35], v[34:35], 0, 4
	s_waitcnt vmcnt(0)
	v_cmp_ne_u32_e32 vcc, v36, v37
	s_and_b64 s[48:49], vcc, exec
	s_or_b64 s[44:45], s[44:45], s[48:49]
.LBB1608_207:                           ;   in Loop: Header=BB1608_208 Depth=1
	s_and_b64 s[48:49], exec, s[44:45]
	s_or_b64 s[42:43], s[48:49], s[42:43]
	v_mov_b64_e32 v[36:37], s[46:47]
	s_andn2_b64 exec, exec, s[42:43]
	s_cbranch_execz .LBB1608_210
.LBB1608_208:                           ; =>This Inner Loop Header: Depth=1
	s_or_b64 s[44:45], s[44:45], exec
	s_cmp_eq_u64 s[16:17], s[46:47]
	s_cbranch_scc0 .LBB1608_206
; %bb.209:                              ;   in Loop: Header=BB1608_208 Depth=1
                                        ; implicit-def: $vgpr30_vgpr31
                                        ; implicit-def: $vgpr34_vgpr35
	s_mov_b64 s[46:47], s[26:27]
	s_branch .LBB1608_207
.LBB1608_210:
	s_or_b64 exec, exec, s[42:43]
	v_cmp_gt_i64_e32 vcc, s[26:27], v[36:37]
	s_orn2_b64 s[16:17], vcc, exec
.LBB1608_211:
	s_or_b64 exec, exec, s[40:41]
.LBB1608_212:
	v_mul_lo_u32 v34, v21, s26
	v_mul_lo_u32 v35, v20, s27
	v_mad_u64_u32 v[30:31], s[40:41], v20, s26, 0
	v_add3_u32 v31, v31, v35, v34
	s_and_b64 vcc, exec, s[4:5]
	v_lshl_add_u64 v[30:31], v[30:31], 2, s[36:37]
	s_cbranch_vccnz .LBB1608_221
; %bb.213:
	global_load_dword v34, v[30:31], off
	global_load_dword v35, v[32:33], off
	s_mov_b64 s[14:15], -1
	s_waitcnt vmcnt(0)
	v_cmp_eq_u32_e32 vcc, v34, v35
	s_and_saveexec_b64 s[40:41], vcc
	s_cbranch_execz .LBB1608_220
; %bb.214:
	s_add_u32 s14, s26, -1
	v_lshl_add_u64 v[32:33], v[32:33], 0, 4
	v_lshl_add_u64 v[34:35], v[30:31], 0, 4
	s_addc_u32 s15, s27, -1
	s_mov_b64 s[42:43], 0
	s_mov_b64 s[46:47], 0
                                        ; implicit-def: $sgpr44_sgpr45
	s_branch .LBB1608_217
.LBB1608_215:                           ;   in Loop: Header=BB1608_217 Depth=1
	global_load_dword v36, v[34:35], off
	global_load_dword v37, v[32:33], off
	s_add_u32 s46, s46, 1
	s_addc_u32 s47, s47, 0
	s_andn2_b64 s[44:45], s[44:45], exec
	v_lshl_add_u64 v[32:33], v[32:33], 0, 4
	v_lshl_add_u64 v[34:35], v[34:35], 0, 4
	s_waitcnt vmcnt(0)
	v_cmp_ne_u32_e32 vcc, v36, v37
	s_and_b64 s[48:49], vcc, exec
	s_or_b64 s[44:45], s[44:45], s[48:49]
.LBB1608_216:                           ;   in Loop: Header=BB1608_217 Depth=1
	s_and_b64 s[48:49], exec, s[44:45]
	s_or_b64 s[42:43], s[48:49], s[42:43]
	v_mov_b64_e32 v[36:37], s[46:47]
	s_andn2_b64 exec, exec, s[42:43]
	s_cbranch_execz .LBB1608_219
.LBB1608_217:                           ; =>This Inner Loop Header: Depth=1
	s_or_b64 s[44:45], s[44:45], exec
	s_cmp_eq_u64 s[14:15], s[46:47]
	s_cbranch_scc0 .LBB1608_215
; %bb.218:                              ;   in Loop: Header=BB1608_217 Depth=1
                                        ; implicit-def: $vgpr32_vgpr33
                                        ; implicit-def: $vgpr34_vgpr35
	s_mov_b64 s[46:47], s[26:27]
	s_branch .LBB1608_216
.LBB1608_219:
	s_or_b64 exec, exec, s[42:43]
	v_cmp_gt_i64_e32 vcc, s[26:27], v[36:37]
	s_orn2_b64 s[14:15], vcc, exec
.LBB1608_220:
	s_or_b64 exec, exec, s[40:41]
.LBB1608_221:
	v_mul_lo_u32 v34, v19, s26
	v_mul_lo_u32 v35, v18, s27
	v_mad_u64_u32 v[32:33], s[40:41], v18, s26, 0
	v_add3_u32 v33, v33, v35, v34
	s_mov_b64 s[40:41], 0
	s_and_b64 vcc, exec, s[4:5]
	v_lshl_add_u64 v[32:33], v[32:33], 2, s[36:37]
	s_mov_b64 s[42:43], 0
	s_cbranch_vccnz .LBB1608_230
; %bb.222:
	global_load_dword v34, v[32:33], off
	global_load_dword v35, v[30:31], off
	s_mov_b64 s[42:43], -1
	s_waitcnt vmcnt(0)
	v_cmp_eq_u32_e32 vcc, v34, v35
	s_and_saveexec_b64 s[44:45], vcc
	s_cbranch_execz .LBB1608_229
; %bb.223:
	s_add_u32 s42, s26, -1
	v_lshl_add_u64 v[30:31], v[30:31], 0, 4
	v_lshl_add_u64 v[34:35], v[32:33], 0, 4
	s_addc_u32 s43, s27, -1
	s_mov_b64 s[46:47], 0
	s_mov_b64 s[50:51], 0
                                        ; implicit-def: $sgpr48_sgpr49
	s_branch .LBB1608_226
.LBB1608_224:                           ;   in Loop: Header=BB1608_226 Depth=1
	global_load_dword v36, v[34:35], off
	global_load_dword v37, v[30:31], off
	s_add_u32 s50, s50, 1
	s_addc_u32 s51, s51, 0
	s_andn2_b64 s[48:49], s[48:49], exec
	v_lshl_add_u64 v[30:31], v[30:31], 0, 4
	v_lshl_add_u64 v[34:35], v[34:35], 0, 4
	s_waitcnt vmcnt(0)
	v_cmp_ne_u32_e32 vcc, v36, v37
	s_and_b64 s[52:53], vcc, exec
	s_or_b64 s[48:49], s[48:49], s[52:53]
.LBB1608_225:                           ;   in Loop: Header=BB1608_226 Depth=1
	s_and_b64 s[52:53], exec, s[48:49]
	s_or_b64 s[46:47], s[52:53], s[46:47]
	v_mov_b64_e32 v[36:37], s[50:51]
	s_andn2_b64 exec, exec, s[46:47]
	s_cbranch_execz .LBB1608_228
.LBB1608_226:                           ; =>This Inner Loop Header: Depth=1
	s_or_b64 s[48:49], s[48:49], exec
	s_cmp_eq_u64 s[42:43], s[50:51]
	s_cbranch_scc0 .LBB1608_224
; %bb.227:                              ;   in Loop: Header=BB1608_226 Depth=1
                                        ; implicit-def: $vgpr30_vgpr31
                                        ; implicit-def: $vgpr34_vgpr35
	s_mov_b64 s[50:51], s[26:27]
	s_branch .LBB1608_225
.LBB1608_228:
	s_or_b64 exec, exec, s[46:47]
	v_cmp_gt_i64_e32 vcc, s[26:27], v[36:37]
	s_orn2_b64 s[42:43], vcc, exec
.LBB1608_229:
	s_or_b64 exec, exec, s[44:45]
.LBB1608_230:
	v_mul_lo_u32 v34, v25, s26
	v_mul_lo_u32 v35, v24, s27
	v_mad_u64_u32 v[30:31], s[44:45], v24, s26, 0
	v_add3_u32 v31, v31, v35, v34
	s_and_b64 vcc, exec, s[4:5]
	v_lshl_add_u64 v[30:31], v[30:31], 2, s[36:37]
	s_cbranch_vccnz .LBB1608_239
; %bb.231:
	global_load_dword v34, v[30:31], off
	global_load_dword v35, v[32:33], off
	s_mov_b64 s[40:41], -1
	s_waitcnt vmcnt(0)
	v_cmp_eq_u32_e32 vcc, v34, v35
	s_and_saveexec_b64 s[44:45], vcc
	s_cbranch_execz .LBB1608_238
; %bb.232:
	s_add_u32 s40, s26, -1
	v_lshl_add_u64 v[32:33], v[32:33], 0, 4
	v_lshl_add_u64 v[34:35], v[30:31], 0, 4
	s_addc_u32 s41, s27, -1
	s_mov_b64 s[46:47], 0
	s_mov_b64 s[50:51], 0
                                        ; implicit-def: $sgpr48_sgpr49
	s_branch .LBB1608_235
.LBB1608_233:                           ;   in Loop: Header=BB1608_235 Depth=1
	global_load_dword v36, v[34:35], off
	global_load_dword v37, v[32:33], off
	s_add_u32 s50, s50, 1
	s_addc_u32 s51, s51, 0
	s_andn2_b64 s[48:49], s[48:49], exec
	v_lshl_add_u64 v[32:33], v[32:33], 0, 4
	v_lshl_add_u64 v[34:35], v[34:35], 0, 4
	s_waitcnt vmcnt(0)
	v_cmp_ne_u32_e32 vcc, v36, v37
	s_and_b64 s[52:53], vcc, exec
	s_or_b64 s[48:49], s[48:49], s[52:53]
.LBB1608_234:                           ;   in Loop: Header=BB1608_235 Depth=1
	s_and_b64 s[52:53], exec, s[48:49]
	s_or_b64 s[46:47], s[52:53], s[46:47]
	v_mov_b64_e32 v[36:37], s[50:51]
	s_andn2_b64 exec, exec, s[46:47]
	s_cbranch_execz .LBB1608_237
.LBB1608_235:                           ; =>This Inner Loop Header: Depth=1
	s_or_b64 s[48:49], s[48:49], exec
	s_cmp_eq_u64 s[40:41], s[50:51]
	s_cbranch_scc0 .LBB1608_233
; %bb.236:                              ;   in Loop: Header=BB1608_235 Depth=1
                                        ; implicit-def: $vgpr32_vgpr33
                                        ; implicit-def: $vgpr34_vgpr35
	s_mov_b64 s[50:51], s[26:27]
	s_branch .LBB1608_234
.LBB1608_237:
	s_or_b64 exec, exec, s[46:47]
	v_cmp_gt_i64_e32 vcc, s[26:27], v[36:37]
	s_orn2_b64 s[40:41], vcc, exec
.LBB1608_238:
	s_or_b64 exec, exec, s[44:45]
.LBB1608_239:
	v_mul_lo_u32 v34, v23, s26
	v_mul_lo_u32 v35, v22, s27
	v_mad_u64_u32 v[32:33], s[44:45], v22, s26, 0
	v_add3_u32 v33, v33, v35, v34
	s_and_b64 vcc, exec, s[4:5]
	s_mov_b64 s[46:47], 0
	s_cbranch_vccnz .LBB1608_248
; %bb.240:
	v_lshl_add_u64 v[34:35], v[32:33], 2, s[36:37]
	global_load_dword v36, v[34:35], off
	global_load_dword v37, v[30:31], off
	s_mov_b64 s[46:47], -1
	s_waitcnt vmcnt(0)
	v_cmp_eq_u32_e32 vcc, v36, v37
	s_and_saveexec_b64 s[44:45], vcc
	s_cbranch_execz .LBB1608_247
; %bb.241:
	s_add_u32 s46, s26, -1
	v_lshl_add_u64 v[30:31], v[30:31], 0, 4
	v_lshl_add_u64 v[34:35], v[34:35], 0, 4
	s_addc_u32 s47, s27, -1
	s_mov_b64 s[48:49], 0
	s_mov_b64 s[52:53], 0
                                        ; implicit-def: $sgpr50_sgpr51
	s_branch .LBB1608_244
.LBB1608_242:                           ;   in Loop: Header=BB1608_244 Depth=1
	global_load_dword v36, v[34:35], off
	global_load_dword v37, v[30:31], off
	s_add_u32 s52, s52, 1
	s_addc_u32 s53, s53, 0
	s_andn2_b64 s[50:51], s[50:51], exec
	v_lshl_add_u64 v[30:31], v[30:31], 0, 4
	v_lshl_add_u64 v[34:35], v[34:35], 0, 4
	s_waitcnt vmcnt(0)
	v_cmp_ne_u32_e32 vcc, v36, v37
	s_and_b64 s[56:57], vcc, exec
	s_or_b64 s[50:51], s[50:51], s[56:57]
.LBB1608_243:                           ;   in Loop: Header=BB1608_244 Depth=1
	s_and_b64 s[56:57], exec, s[50:51]
	s_or_b64 s[48:49], s[56:57], s[48:49]
	v_mov_b64_e32 v[36:37], s[52:53]
	s_andn2_b64 exec, exec, s[48:49]
	s_cbranch_execz .LBB1608_246
.LBB1608_244:                           ; =>This Inner Loop Header: Depth=1
	s_or_b64 s[50:51], s[50:51], exec
	s_cmp_eq_u64 s[46:47], s[52:53]
	s_cbranch_scc0 .LBB1608_242
; %bb.245:                              ;   in Loop: Header=BB1608_244 Depth=1
                                        ; implicit-def: $vgpr30_vgpr31
                                        ; implicit-def: $vgpr34_vgpr35
	s_mov_b64 s[52:53], s[26:27]
	s_branch .LBB1608_243
.LBB1608_246:
	s_or_b64 exec, exec, s[48:49]
	v_cmp_gt_i64_e32 vcc, s[26:27], v[36:37]
	s_orn2_b64 s[46:47], vcc, exec
.LBB1608_247:
	s_or_b64 exec, exec, s[44:45]
.LBB1608_248:
	v_cndmask_b32_e64 v31, 0, 1, s[42:43]
	v_cndmask_b32_e64 v30, 0, 1, s[40:41]
	;; [unrolled: 1-line block ×3, first 2 shown]
	v_lshlrev_b16_e32 v31, 8, v31
	v_cndmask_b32_e64 v39, 0, 1, s[14:15]
	v_cndmask_b32_e64 v34, 0, 1, s[46:47]
	v_or_b32_sdwa v30, v30, v31 dst_sel:WORD_1 dst_unused:UNUSED_PAD src0_sel:DWORD src1_sel:DWORD
	v_lshlrev_b16_e32 v31, 8, v48
	v_lshlrev_b16_e32 v34, 8, v34
	v_or_b32_e32 v31, v39, v31
	v_or_b32_e32 v34, 1, v34
	v_and_b32_e32 v31, 0xffff, v31
	v_cndmask_b32_e64 v49, 0, 1, s[12:13]
	v_or_b32_sdwa v30, v34, v30 dst_sel:DWORD dst_unused:UNUSED_PAD src0_sel:WORD_0 src1_sel:DWORD
	v_lshl_or_b32 v31, v49, 16, v31
	s_waitcnt lgkmcnt(0)
	s_barrier
	s_waitcnt lgkmcnt(0)
                                        ; implicit-def: $sgpr14_sgpr15
                                        ; implicit-def: $vgpr34
	s_and_saveexec_b64 s[12:13], s[2:3]
	s_xor_b64 s[12:13], exec, s[12:13]
	s_cbranch_execz .LBB1608_259
; %bb.249:
	s_mov_b32 s44, 0x3020104
	s_and_b64 vcc, exec, s[4:5]
	s_mov_b64 s[14:15], 0
	s_cbranch_vccnz .LBB1608_258
; %bb.250:
	v_add_u32_e32 v31, -8, v38
	ds_read_b64 v[34:35], v31
	v_lshl_add_u64 v[32:33], v[32:33], 2, s[36:37]
	s_mov_b64 s[14:15], -1
	s_waitcnt lgkmcnt(0)
	v_mul_lo_u32 v31, v35, s26
	v_mul_lo_u32 v36, v34, s27
	v_mad_u64_u32 v[34:35], s[4:5], v34, s26, 0
	v_add3_u32 v35, v35, v36, v31
	v_lshl_add_u64 v[34:35], v[34:35], 2, s[36:37]
	global_load_dword v31, v[34:35], off
	global_load_dword v36, v[32:33], off
	s_waitcnt vmcnt(0)
	v_cmp_eq_u32_e32 vcc, v31, v36
	s_and_saveexec_b64 s[4:5], vcc
	s_cbranch_execz .LBB1608_257
; %bb.251:
	s_add_u32 s14, s26, -1
	v_lshl_add_u64 v[32:33], v[32:33], 0, 4
	v_lshl_add_u64 v[34:35], v[34:35], 0, 4
	s_addc_u32 s15, s27, -1
	s_mov_b64 s[16:17], 0
	s_mov_b64 s[42:43], 0
                                        ; implicit-def: $sgpr40_sgpr41
	s_branch .LBB1608_254
.LBB1608_252:                           ;   in Loop: Header=BB1608_254 Depth=1
	global_load_dword v31, v[34:35], off
	global_load_dword v36, v[32:33], off
	s_add_u32 s42, s42, 1
	s_addc_u32 s43, s43, 0
	s_andn2_b64 s[40:41], s[40:41], exec
	v_lshl_add_u64 v[32:33], v[32:33], 0, 4
	v_lshl_add_u64 v[34:35], v[34:35], 0, 4
	s_waitcnt vmcnt(0)
	v_cmp_ne_u32_e32 vcc, v31, v36
	s_and_b64 s[46:47], vcc, exec
	s_or_b64 s[40:41], s[40:41], s[46:47]
.LBB1608_253:                           ;   in Loop: Header=BB1608_254 Depth=1
	s_and_b64 s[46:47], exec, s[40:41]
	s_or_b64 s[16:17], s[46:47], s[16:17]
	v_mov_b64_e32 v[36:37], s[42:43]
	s_andn2_b64 exec, exec, s[16:17]
	s_cbranch_execz .LBB1608_256
.LBB1608_254:                           ; =>This Inner Loop Header: Depth=1
	s_or_b64 s[40:41], s[40:41], exec
	s_cmp_eq_u64 s[14:15], s[42:43]
	s_cbranch_scc0 .LBB1608_252
; %bb.255:                              ;   in Loop: Header=BB1608_254 Depth=1
                                        ; implicit-def: $vgpr32_vgpr33
                                        ; implicit-def: $vgpr34_vgpr35
	s_mov_b64 s[42:43], s[26:27]
	s_branch .LBB1608_253
.LBB1608_256:
	s_or_b64 exec, exec, s[16:17]
	v_cmp_gt_i64_e32 vcc, s[26:27], v[36:37]
	s_orn2_b64 s[14:15], vcc, exec
.LBB1608_257:
	s_or_b64 exec, exec, s[4:5]
.LBB1608_258:
	v_perm_b32 v34, v30, v30, s44
	s_and_b64 s[14:15], s[14:15], exec
	s_or_b64 s[10:11], s[10:11], exec
                                        ; implicit-def: $vgpr30_vgpr31
.LBB1608_259:
	s_or_b64 exec, exec, s[12:13]
	s_branch .LBB1608_340
.LBB1608_260:
	v_cmp_gt_u32_e32 vcc, s54, v42
	s_mov_b64 s[12:13], 0
	s_mov_b64 s[4:5], 0
	s_and_saveexec_b64 s[14:15], vcc
	s_cbranch_execz .LBB1608_271
; %bb.261:
	s_andn2_b64 vcc, exec, s[6:7]
	s_mov_b64 s[16:17], 0
	s_cbranch_vccnz .LBB1608_270
; %bb.262:
	v_mul_lo_u32 v32, v17, s26
	v_mul_lo_u32 v33, v16, s27
	s_waitcnt vmcnt(0) lgkmcnt(1)
	v_mad_u64_u32 v[30:31], s[4:5], v16, s26, 0
	v_add3_u32 v31, v31, v33, v32
	v_mul_lo_u32 v32, v29, s26
	v_mul_lo_u32 v33, v28, s27
	v_mad_u64_u32 v[34:35], s[4:5], v28, s26, 0
	v_add3_u32 v35, v35, v33, v32
	v_lshl_add_u64 v[32:33], v[30:31], 2, s[36:37]
	v_lshl_add_u64 v[30:31], v[34:35], 2, s[36:37]
	global_load_dword v34, v[32:33], off
	global_load_dword v35, v[30:31], off
	s_mov_b64 s[16:17], -1
	s_waitcnt vmcnt(0)
	v_cmp_eq_u32_e32 vcc, v34, v35
	s_and_saveexec_b64 s[4:5], vcc
	s_cbranch_execz .LBB1608_269
; %bb.263:
	s_add_u32 s16, s26, -1
	v_lshl_add_u64 v[30:31], v[30:31], 0, 4
	v_lshl_add_u64 v[32:33], v[32:33], 0, 4
	s_addc_u32 s17, s27, -1
	s_mov_b64 s[40:41], 0
	s_mov_b64 s[44:45], 0
                                        ; implicit-def: $sgpr42_sgpr43
	s_branch .LBB1608_266
.LBB1608_264:                           ;   in Loop: Header=BB1608_266 Depth=1
	global_load_dword v34, v[32:33], off
	global_load_dword v35, v[30:31], off
	s_add_u32 s44, s44, 1
	s_addc_u32 s45, s45, 0
	s_andn2_b64 s[42:43], s[42:43], exec
	v_lshl_add_u64 v[30:31], v[30:31], 0, 4
	v_lshl_add_u64 v[32:33], v[32:33], 0, 4
	s_waitcnt vmcnt(0)
	v_cmp_ne_u32_e32 vcc, v34, v35
	s_and_b64 s[46:47], vcc, exec
	s_or_b64 s[42:43], s[42:43], s[46:47]
.LBB1608_265:                           ;   in Loop: Header=BB1608_266 Depth=1
	s_and_b64 s[46:47], exec, s[42:43]
	s_or_b64 s[40:41], s[46:47], s[40:41]
	v_mov_b64_e32 v[34:35], s[44:45]
	s_andn2_b64 exec, exec, s[40:41]
	s_cbranch_execz .LBB1608_268
.LBB1608_266:                           ; =>This Inner Loop Header: Depth=1
	s_or_b64 s[42:43], s[42:43], exec
	s_cmp_eq_u64 s[16:17], s[44:45]
	s_cbranch_scc0 .LBB1608_264
; %bb.267:                              ;   in Loop: Header=BB1608_266 Depth=1
                                        ; implicit-def: $vgpr30_vgpr31
                                        ; implicit-def: $vgpr32_vgpr33
	s_mov_b64 s[44:45], s[26:27]
	s_branch .LBB1608_265
.LBB1608_268:
	s_or_b64 exec, exec, s[40:41]
	v_cmp_gt_i64_e32 vcc, s[26:27], v[34:35]
	s_orn2_b64 s[16:17], vcc, exec
.LBB1608_269:
	s_or_b64 exec, exec, s[4:5]
.LBB1608_270:
	s_and_b64 s[4:5], s[16:17], exec
.LBB1608_271:
	s_or_b64 exec, exec, s[14:15]
	v_cmp_gt_u32_e32 vcc, s54, v45
	s_and_saveexec_b64 s[14:15], vcc
	s_cbranch_execz .LBB1608_282
; %bb.272:
	s_andn2_b64 vcc, exec, s[6:7]
	s_mov_b64 s[16:17], 0
	s_cbranch_vccnz .LBB1608_281
; %bb.273:
	v_mul_lo_u32 v32, v15, s26
	v_mul_lo_u32 v33, v14, s27
	s_waitcnt vmcnt(0) lgkmcnt(1)
	v_mad_u64_u32 v[30:31], s[12:13], v14, s26, 0
	v_add3_u32 v31, v31, v33, v32
	v_mul_lo_u32 v32, v17, s26
	v_mul_lo_u32 v33, v16, s27
	v_mad_u64_u32 v[34:35], s[12:13], v16, s26, 0
	v_add3_u32 v35, v35, v33, v32
	v_lshl_add_u64 v[32:33], v[30:31], 2, s[36:37]
	v_lshl_add_u64 v[30:31], v[34:35], 2, s[36:37]
	global_load_dword v34, v[32:33], off
	global_load_dword v35, v[30:31], off
	s_mov_b64 s[16:17], -1
	s_waitcnt vmcnt(0)
	v_cmp_eq_u32_e32 vcc, v34, v35
	s_and_saveexec_b64 s[12:13], vcc
	s_cbranch_execz .LBB1608_280
; %bb.274:
	s_add_u32 s16, s26, -1
	v_lshl_add_u64 v[30:31], v[30:31], 0, 4
	v_lshl_add_u64 v[32:33], v[32:33], 0, 4
	s_addc_u32 s17, s27, -1
	s_mov_b64 s[40:41], 0
	s_mov_b64 s[44:45], 0
                                        ; implicit-def: $sgpr42_sgpr43
	s_branch .LBB1608_277
.LBB1608_275:                           ;   in Loop: Header=BB1608_277 Depth=1
	global_load_dword v34, v[32:33], off
	global_load_dword v35, v[30:31], off
	s_add_u32 s44, s44, 1
	s_addc_u32 s45, s45, 0
	s_andn2_b64 s[42:43], s[42:43], exec
	v_lshl_add_u64 v[30:31], v[30:31], 0, 4
	v_lshl_add_u64 v[32:33], v[32:33], 0, 4
	s_waitcnt vmcnt(0)
	v_cmp_ne_u32_e32 vcc, v34, v35
	s_and_b64 s[46:47], vcc, exec
	s_or_b64 s[42:43], s[42:43], s[46:47]
.LBB1608_276:                           ;   in Loop: Header=BB1608_277 Depth=1
	s_and_b64 s[46:47], exec, s[42:43]
	s_or_b64 s[40:41], s[46:47], s[40:41]
	v_mov_b64_e32 v[34:35], s[44:45]
	s_andn2_b64 exec, exec, s[40:41]
	s_cbranch_execz .LBB1608_279
.LBB1608_277:                           ; =>This Inner Loop Header: Depth=1
	s_or_b64 s[42:43], s[42:43], exec
	s_cmp_eq_u64 s[16:17], s[44:45]
	s_cbranch_scc0 .LBB1608_275
; %bb.278:                              ;   in Loop: Header=BB1608_277 Depth=1
                                        ; implicit-def: $vgpr30_vgpr31
                                        ; implicit-def: $vgpr32_vgpr33
	s_mov_b64 s[44:45], s[26:27]
	s_branch .LBB1608_276
.LBB1608_279:
	s_or_b64 exec, exec, s[40:41]
	v_cmp_gt_i64_e32 vcc, s[26:27], v[34:35]
	s_orn2_b64 s[16:17], vcc, exec
.LBB1608_280:
	s_or_b64 exec, exec, s[12:13]
.LBB1608_281:
	s_and_b64 s[12:13], s[16:17], exec
.LBB1608_282:
	s_or_b64 exec, exec, s[14:15]
	v_cmp_gt_u32_e32 vcc, s54, v41
	s_mov_b64 s[16:17], 0
	s_mov_b64 s[14:15], 0
	s_and_saveexec_b64 s[40:41], vcc
	s_cbranch_execz .LBB1608_293
; %bb.283:
	s_andn2_b64 vcc, exec, s[6:7]
	s_mov_b64 s[42:43], 0
	s_cbranch_vccnz .LBB1608_292
; %bb.284:
	v_mul_lo_u32 v32, v21, s26
	v_mul_lo_u32 v33, v20, s27
	s_waitcnt vmcnt(0) lgkmcnt(1)
	v_mad_u64_u32 v[30:31], s[14:15], v20, s26, 0
	v_add3_u32 v31, v31, v33, v32
	v_mul_lo_u32 v32, v15, s26
	v_mul_lo_u32 v33, v14, s27
	v_mad_u64_u32 v[34:35], s[14:15], v14, s26, 0
	v_add3_u32 v35, v35, v33, v32
	v_lshl_add_u64 v[32:33], v[30:31], 2, s[36:37]
	v_lshl_add_u64 v[30:31], v[34:35], 2, s[36:37]
	global_load_dword v34, v[32:33], off
	global_load_dword v35, v[30:31], off
	s_mov_b64 s[42:43], -1
	s_waitcnt vmcnt(0)
	v_cmp_eq_u32_e32 vcc, v34, v35
	s_and_saveexec_b64 s[14:15], vcc
	s_cbranch_execz .LBB1608_291
; %bb.285:
	s_add_u32 s42, s26, -1
	v_lshl_add_u64 v[30:31], v[30:31], 0, 4
	v_lshl_add_u64 v[32:33], v[32:33], 0, 4
	s_addc_u32 s43, s27, -1
	s_mov_b64 s[44:45], 0
	s_mov_b64 s[48:49], 0
                                        ; implicit-def: $sgpr46_sgpr47
	s_branch .LBB1608_288
.LBB1608_286:                           ;   in Loop: Header=BB1608_288 Depth=1
	global_load_dword v34, v[32:33], off
	global_load_dword v35, v[30:31], off
	s_add_u32 s48, s48, 1
	s_addc_u32 s49, s49, 0
	s_andn2_b64 s[46:47], s[46:47], exec
	v_lshl_add_u64 v[30:31], v[30:31], 0, 4
	v_lshl_add_u64 v[32:33], v[32:33], 0, 4
	s_waitcnt vmcnt(0)
	v_cmp_ne_u32_e32 vcc, v34, v35
	s_and_b64 s[50:51], vcc, exec
	s_or_b64 s[46:47], s[46:47], s[50:51]
.LBB1608_287:                           ;   in Loop: Header=BB1608_288 Depth=1
	s_and_b64 s[50:51], exec, s[46:47]
	s_or_b64 s[44:45], s[50:51], s[44:45]
	v_mov_b64_e32 v[34:35], s[48:49]
	s_andn2_b64 exec, exec, s[44:45]
	s_cbranch_execz .LBB1608_290
.LBB1608_288:                           ; =>This Inner Loop Header: Depth=1
	s_or_b64 s[46:47], s[46:47], exec
	s_cmp_eq_u64 s[42:43], s[48:49]
	s_cbranch_scc0 .LBB1608_286
; %bb.289:                              ;   in Loop: Header=BB1608_288 Depth=1
                                        ; implicit-def: $vgpr30_vgpr31
                                        ; implicit-def: $vgpr32_vgpr33
	s_mov_b64 s[48:49], s[26:27]
	s_branch .LBB1608_287
.LBB1608_290:
	s_or_b64 exec, exec, s[44:45]
	v_cmp_gt_i64_e32 vcc, s[26:27], v[34:35]
	s_orn2_b64 s[42:43], vcc, exec
.LBB1608_291:
	s_or_b64 exec, exec, s[14:15]
.LBB1608_292:
	s_and_b64 s[14:15], s[42:43], exec
.LBB1608_293:
	s_or_b64 exec, exec, s[40:41]
	v_cmp_gt_u32_e32 vcc, s54, v44
	s_and_saveexec_b64 s[40:41], vcc
	s_cbranch_execz .LBB1608_304
; %bb.294:
	s_andn2_b64 vcc, exec, s[6:7]
	s_mov_b64 s[42:43], 0
	s_cbranch_vccnz .LBB1608_303
; %bb.295:
	v_mul_lo_u32 v32, v19, s26
	v_mul_lo_u32 v33, v18, s27
	s_waitcnt vmcnt(0) lgkmcnt(1)
	v_mad_u64_u32 v[30:31], s[16:17], v18, s26, 0
	v_add3_u32 v31, v31, v33, v32
	v_mul_lo_u32 v32, v21, s26
	v_mul_lo_u32 v33, v20, s27
	v_mad_u64_u32 v[34:35], s[16:17], v20, s26, 0
	v_add3_u32 v35, v35, v33, v32
	v_lshl_add_u64 v[32:33], v[30:31], 2, s[36:37]
	v_lshl_add_u64 v[30:31], v[34:35], 2, s[36:37]
	global_load_dword v34, v[32:33], off
	global_load_dword v35, v[30:31], off
	s_mov_b64 s[42:43], -1
	s_waitcnt vmcnt(0)
	v_cmp_eq_u32_e32 vcc, v34, v35
	s_and_saveexec_b64 s[16:17], vcc
	s_cbranch_execz .LBB1608_302
; %bb.296:
	s_add_u32 s42, s26, -1
	v_lshl_add_u64 v[30:31], v[30:31], 0, 4
	v_lshl_add_u64 v[32:33], v[32:33], 0, 4
	s_addc_u32 s43, s27, -1
	s_mov_b64 s[44:45], 0
	s_mov_b64 s[48:49], 0
                                        ; implicit-def: $sgpr46_sgpr47
	s_branch .LBB1608_299
.LBB1608_297:                           ;   in Loop: Header=BB1608_299 Depth=1
	global_load_dword v34, v[32:33], off
	global_load_dword v35, v[30:31], off
	s_add_u32 s48, s48, 1
	s_addc_u32 s49, s49, 0
	s_andn2_b64 s[46:47], s[46:47], exec
	v_lshl_add_u64 v[30:31], v[30:31], 0, 4
	v_lshl_add_u64 v[32:33], v[32:33], 0, 4
	s_waitcnt vmcnt(0)
	v_cmp_ne_u32_e32 vcc, v34, v35
	s_and_b64 s[50:51], vcc, exec
	s_or_b64 s[46:47], s[46:47], s[50:51]
.LBB1608_298:                           ;   in Loop: Header=BB1608_299 Depth=1
	s_and_b64 s[50:51], exec, s[46:47]
	s_or_b64 s[44:45], s[50:51], s[44:45]
	v_mov_b64_e32 v[34:35], s[48:49]
	s_andn2_b64 exec, exec, s[44:45]
	s_cbranch_execz .LBB1608_301
.LBB1608_299:                           ; =>This Inner Loop Header: Depth=1
	s_or_b64 s[46:47], s[46:47], exec
	s_cmp_eq_u64 s[42:43], s[48:49]
	s_cbranch_scc0 .LBB1608_297
; %bb.300:                              ;   in Loop: Header=BB1608_299 Depth=1
                                        ; implicit-def: $vgpr30_vgpr31
                                        ; implicit-def: $vgpr32_vgpr33
	s_mov_b64 s[48:49], s[26:27]
	s_branch .LBB1608_298
.LBB1608_301:
	s_or_b64 exec, exec, s[44:45]
	v_cmp_gt_i64_e32 vcc, s[26:27], v[34:35]
	s_orn2_b64 s[42:43], vcc, exec
.LBB1608_302:
	s_or_b64 exec, exec, s[16:17]
.LBB1608_303:
	s_and_b64 s[16:17], s[42:43], exec
.LBB1608_304:
	s_or_b64 exec, exec, s[40:41]
	v_cmp_gt_u32_e32 vcc, s54, v40
	s_mov_b64 s[40:41], 0
	s_mov_b64 s[42:43], 0
	s_and_saveexec_b64 s[44:45], vcc
	s_cbranch_execz .LBB1608_315
; %bb.305:
	s_andn2_b64 vcc, exec, s[6:7]
	s_mov_b64 s[46:47], 0
	s_cbranch_vccnz .LBB1608_314
; %bb.306:
	v_mul_lo_u32 v32, v25, s26
	v_mul_lo_u32 v33, v24, s27
	s_waitcnt vmcnt(0) lgkmcnt(1)
	v_mad_u64_u32 v[30:31], s[42:43], v24, s26, 0
	v_add3_u32 v31, v31, v33, v32
	v_mul_lo_u32 v32, v19, s26
	v_mul_lo_u32 v33, v18, s27
	v_mad_u64_u32 v[34:35], s[42:43], v18, s26, 0
	v_add3_u32 v35, v35, v33, v32
	v_lshl_add_u64 v[32:33], v[30:31], 2, s[36:37]
	v_lshl_add_u64 v[30:31], v[34:35], 2, s[36:37]
	global_load_dword v34, v[32:33], off
	global_load_dword v35, v[30:31], off
	s_mov_b64 s[46:47], -1
	s_waitcnt vmcnt(0)
	v_cmp_eq_u32_e32 vcc, v34, v35
	s_and_saveexec_b64 s[42:43], vcc
	s_cbranch_execz .LBB1608_313
; %bb.307:
	s_add_u32 s46, s26, -1
	v_lshl_add_u64 v[30:31], v[30:31], 0, 4
	v_lshl_add_u64 v[32:33], v[32:33], 0, 4
	s_addc_u32 s47, s27, -1
	s_mov_b64 s[48:49], 0
	s_mov_b64 s[52:53], 0
                                        ; implicit-def: $sgpr50_sgpr51
	s_branch .LBB1608_310
.LBB1608_308:                           ;   in Loop: Header=BB1608_310 Depth=1
	global_load_dword v34, v[32:33], off
	global_load_dword v35, v[30:31], off
	s_add_u32 s52, s52, 1
	s_addc_u32 s53, s53, 0
	s_andn2_b64 s[50:51], s[50:51], exec
	v_lshl_add_u64 v[30:31], v[30:31], 0, 4
	v_lshl_add_u64 v[32:33], v[32:33], 0, 4
	s_waitcnt vmcnt(0)
	v_cmp_ne_u32_e32 vcc, v34, v35
	s_and_b64 s[56:57], vcc, exec
	s_or_b64 s[50:51], s[50:51], s[56:57]
.LBB1608_309:                           ;   in Loop: Header=BB1608_310 Depth=1
	s_and_b64 s[56:57], exec, s[50:51]
	s_or_b64 s[48:49], s[56:57], s[48:49]
	v_mov_b64_e32 v[34:35], s[52:53]
	s_andn2_b64 exec, exec, s[48:49]
	s_cbranch_execz .LBB1608_312
.LBB1608_310:                           ; =>This Inner Loop Header: Depth=1
	s_or_b64 s[50:51], s[50:51], exec
	s_cmp_eq_u64 s[46:47], s[52:53]
	s_cbranch_scc0 .LBB1608_308
; %bb.311:                              ;   in Loop: Header=BB1608_310 Depth=1
                                        ; implicit-def: $vgpr30_vgpr31
                                        ; implicit-def: $vgpr32_vgpr33
	s_mov_b64 s[52:53], s[26:27]
	s_branch .LBB1608_309
.LBB1608_312:
	s_or_b64 exec, exec, s[48:49]
	v_cmp_gt_i64_e32 vcc, s[26:27], v[34:35]
	s_orn2_b64 s[46:47], vcc, exec
.LBB1608_313:
	s_or_b64 exec, exec, s[42:43]
.LBB1608_314:
	s_and_b64 s[42:43], s[46:47], exec
.LBB1608_315:
	s_or_b64 exec, exec, s[44:45]
	v_cmp_gt_u32_e32 vcc, s54, v43
	s_and_saveexec_b64 s[44:45], vcc
	s_cbranch_execz .LBB1608_326
; %bb.316:
	s_andn2_b64 vcc, exec, s[6:7]
	s_mov_b64 s[46:47], 0
	s_cbranch_vccnz .LBB1608_325
; %bb.317:
	v_mul_lo_u32 v32, v23, s26
	v_mul_lo_u32 v33, v22, s27
	s_waitcnt vmcnt(0) lgkmcnt(1)
	v_mad_u64_u32 v[30:31], s[40:41], v22, s26, 0
	v_add3_u32 v31, v31, v33, v32
	v_mul_lo_u32 v32, v25, s26
	v_mul_lo_u32 v33, v24, s27
	v_mad_u64_u32 v[34:35], s[40:41], v24, s26, 0
	v_add3_u32 v35, v35, v33, v32
	v_lshl_add_u64 v[32:33], v[30:31], 2, s[36:37]
	v_lshl_add_u64 v[30:31], v[34:35], 2, s[36:37]
	global_load_dword v34, v[32:33], off
	global_load_dword v35, v[30:31], off
	s_mov_b64 s[46:47], -1
	s_waitcnt vmcnt(0)
	v_cmp_eq_u32_e32 vcc, v34, v35
	s_and_saveexec_b64 s[40:41], vcc
	s_cbranch_execz .LBB1608_324
; %bb.318:
	s_add_u32 s46, s26, -1
	v_lshl_add_u64 v[30:31], v[30:31], 0, 4
	v_lshl_add_u64 v[32:33], v[32:33], 0, 4
	s_addc_u32 s47, s27, -1
	s_mov_b64 s[48:49], 0
	s_mov_b64 s[52:53], 0
                                        ; implicit-def: $sgpr50_sgpr51
	s_branch .LBB1608_321
.LBB1608_319:                           ;   in Loop: Header=BB1608_321 Depth=1
	global_load_dword v34, v[32:33], off
	global_load_dword v35, v[30:31], off
	s_add_u32 s52, s52, 1
	s_addc_u32 s53, s53, 0
	s_andn2_b64 s[50:51], s[50:51], exec
	v_lshl_add_u64 v[30:31], v[30:31], 0, 4
	v_lshl_add_u64 v[32:33], v[32:33], 0, 4
	s_waitcnt vmcnt(0)
	v_cmp_ne_u32_e32 vcc, v34, v35
	s_and_b64 s[56:57], vcc, exec
	s_or_b64 s[50:51], s[50:51], s[56:57]
.LBB1608_320:                           ;   in Loop: Header=BB1608_321 Depth=1
	s_and_b64 s[56:57], exec, s[50:51]
	s_or_b64 s[48:49], s[56:57], s[48:49]
	v_mov_b64_e32 v[34:35], s[52:53]
	s_andn2_b64 exec, exec, s[48:49]
	s_cbranch_execz .LBB1608_323
.LBB1608_321:                           ; =>This Inner Loop Header: Depth=1
	s_or_b64 s[50:51], s[50:51], exec
	s_cmp_eq_u64 s[46:47], s[52:53]
	s_cbranch_scc0 .LBB1608_319
; %bb.322:                              ;   in Loop: Header=BB1608_321 Depth=1
                                        ; implicit-def: $vgpr30_vgpr31
                                        ; implicit-def: $vgpr32_vgpr33
	s_mov_b64 s[52:53], s[26:27]
	s_branch .LBB1608_320
.LBB1608_323:
	s_or_b64 exec, exec, s[48:49]
	v_cmp_gt_i64_e32 vcc, s[26:27], v[34:35]
	s_orn2_b64 s[46:47], vcc, exec
.LBB1608_324:
	s_or_b64 exec, exec, s[40:41]
.LBB1608_325:
	s_and_b64 s[40:41], s[46:47], exec
.LBB1608_326:
	s_or_b64 exec, exec, s[44:45]
	s_waitcnt vmcnt(0) lgkmcnt(1)
	v_cndmask_b32_e64 v31, 0, 1, s[16:17]
	v_cndmask_b32_e64 v30, 0, 1, s[42:43]
	v_cndmask_b32_e64 v48, 0, 1, s[12:13]
	v_lshlrev_b16_e32 v31, 8, v31
	v_cndmask_b32_e64 v39, 0, 1, s[14:15]
	v_cndmask_b32_e64 v32, 0, 1, s[40:41]
	v_or_b32_sdwa v30, v30, v31 dst_sel:WORD_1 dst_unused:UNUSED_PAD src0_sel:DWORD src1_sel:DWORD
	v_lshlrev_b16_e32 v31, 8, v48
	v_lshlrev_b16_e32 v32, 8, v32
	v_or_b32_e32 v31, v39, v31
	v_or_b32_e32 v32, 1, v32
	v_and_b32_e32 v31, 0xffff, v31
	v_cndmask_b32_e64 v49, 0, 1, s[4:5]
	v_or_b32_sdwa v30, v32, v30 dst_sel:DWORD dst_unused:UNUSED_PAD src0_sel:WORD_0 src1_sel:DWORD
	v_lshl_or_b32 v31, v49, 16, v31
	s_waitcnt lgkmcnt(0)
	s_barrier
	s_waitcnt lgkmcnt(0)
                                        ; implicit-def: $sgpr14_sgpr15
                                        ; implicit-def: $vgpr34
	s_and_saveexec_b64 s[4:5], s[2:3]
	s_cbranch_execz .LBB1608_339
; %bb.327:
	v_cmp_gt_u32_e32 vcc, s54, v1
	s_mov_b32 s40, 0x3020104
	s_mov_b64 s[12:13], 0
	s_and_saveexec_b64 s[2:3], vcc
	s_cbranch_execz .LBB1608_338
; %bb.328:
	s_andn2_b64 vcc, exec, s[6:7]
	s_cbranch_vccnz .LBB1608_337
; %bb.329:
	v_add_u32_e32 v31, -8, v38
	ds_read_b64 v[32:33], v31
	v_mul_lo_u32 v31, v23, s26
	v_mad_u64_u32 v[36:37], s[6:7], v22, s26, 0
	s_mov_b64 s[12:13], -1
	s_waitcnt lgkmcnt(0)
	v_mul_lo_u32 v34, v33, s26
	v_mul_lo_u32 v35, v32, s27
	v_mad_u64_u32 v[32:33], s[6:7], v32, s26, 0
	v_add3_u32 v33, v33, v35, v34
	v_mul_lo_u32 v34, v22, s27
	v_add3_u32 v37, v37, v34, v31
	v_lshl_add_u64 v[34:35], v[32:33], 2, s[36:37]
	v_lshl_add_u64 v[32:33], v[36:37], 2, s[36:37]
	global_load_dword v31, v[34:35], off
	global_load_dword v36, v[32:33], off
	s_waitcnt vmcnt(0)
	v_cmp_eq_u32_e32 vcc, v31, v36
	s_and_saveexec_b64 s[6:7], vcc
	s_cbranch_execz .LBB1608_336
; %bb.330:
	s_add_u32 s12, s26, -1
	v_lshl_add_u64 v[32:33], v[32:33], 0, 4
	v_lshl_add_u64 v[34:35], v[34:35], 0, 4
	s_addc_u32 s13, s27, -1
	s_mov_b64 s[14:15], 0
	s_mov_b64 s[36:37], 0
                                        ; implicit-def: $sgpr16_sgpr17
	s_branch .LBB1608_333
.LBB1608_331:                           ;   in Loop: Header=BB1608_333 Depth=1
	global_load_dword v31, v[34:35], off
	global_load_dword v36, v[32:33], off
	s_add_u32 s36, s36, 1
	s_addc_u32 s37, s37, 0
	s_andn2_b64 s[16:17], s[16:17], exec
	v_lshl_add_u64 v[32:33], v[32:33], 0, 4
	v_lshl_add_u64 v[34:35], v[34:35], 0, 4
	s_waitcnt vmcnt(0)
	v_cmp_ne_u32_e32 vcc, v31, v36
	s_and_b64 s[42:43], vcc, exec
	s_or_b64 s[16:17], s[16:17], s[42:43]
.LBB1608_332:                           ;   in Loop: Header=BB1608_333 Depth=1
	s_and_b64 s[42:43], exec, s[16:17]
	s_or_b64 s[14:15], s[42:43], s[14:15]
	v_mov_b64_e32 v[36:37], s[36:37]
	s_andn2_b64 exec, exec, s[14:15]
	s_cbranch_execz .LBB1608_335
.LBB1608_333:                           ; =>This Inner Loop Header: Depth=1
	s_or_b64 s[16:17], s[16:17], exec
	s_cmp_eq_u64 s[12:13], s[36:37]
	s_cbranch_scc0 .LBB1608_331
; %bb.334:                              ;   in Loop: Header=BB1608_333 Depth=1
                                        ; implicit-def: $vgpr32_vgpr33
                                        ; implicit-def: $vgpr34_vgpr35
	s_mov_b64 s[36:37], s[26:27]
	s_branch .LBB1608_332
.LBB1608_335:
	s_or_b64 exec, exec, s[14:15]
	v_cmp_gt_i64_e32 vcc, s[26:27], v[36:37]
	s_orn2_b64 s[12:13], vcc, exec
.LBB1608_336:
	s_or_b64 exec, exec, s[6:7]
.LBB1608_337:
	s_and_b64 s[12:13], s[12:13], exec
.LBB1608_338:
	s_or_b64 exec, exec, s[2:3]
	v_perm_b32 v34, v30, v30, s40
	s_and_b64 s[14:15], s[12:13], exec
	s_or_b64 s[10:11], s[10:11], exec
                                        ; implicit-def: $vgpr30_vgpr31
.LBB1608_339:
	s_or_b64 exec, exec, s[4:5]
.LBB1608_340:
	s_and_saveexec_b64 s[2:3], s[10:11]
	s_cbranch_execz .LBB1608_342
; %bb.341:
	s_waitcnt vmcnt(0) lgkmcnt(0)
	v_lshlrev_b16_e32 v31, 8, v48
	v_and_b32_e32 v32, 0xff, v49
	v_or_b32_sdwa v31, v39, v31 dst_sel:DWORD dst_unused:UNUSED_PAD src0_sel:BYTE_0 src1_sel:DWORD
	v_lshlrev_b32_e32 v32, 16, v32
	s_movk_i32 s4, 0xff
	v_or_b32_sdwa v31, v31, v32 dst_sel:DWORD dst_unused:UNUSED_PAD src0_sel:WORD_0 src1_sel:DWORD
	v_lshrrev_b32_e32 v32, 24, v34
	v_lshlrev_b16_e32 v32, 8, v32
	v_and_b32_sdwa v33, v34, s4 dst_sel:DWORD dst_unused:UNUSED_PAD src0_sel:WORD_1 src1_sel:DWORD
	v_or_b32_sdwa v32, v33, v32 dst_sel:WORD_1 dst_unused:UNUSED_PAD src0_sel:DWORD src1_sel:DWORD
	v_mov_b32_e32 v33, 8
	v_cndmask_b32_e64 v30, 0, 1, s[14:15]
	v_lshrrev_b32_sdwa v33, v33, v34 dst_sel:BYTE_1 dst_unused:UNUSED_PAD src0_sel:DWORD src1_sel:DWORD
	s_nop 0
	v_or_b32_e32 v30, v30, v33
	v_or_b32_sdwa v30, v30, v32 dst_sel:DWORD dst_unused:UNUSED_PAD src0_sel:WORD_0 src1_sel:DWORD
.LBB1608_342:
	s_or_b64 exec, exec, s[2:3]
	s_andn2_b64 vcc, exec, s[8:9]
	s_cbranch_vccnz .LBB1608_344
; %bb.343:
	s_waitcnt vmcnt(0) lgkmcnt(0)
	v_and_b32_e32 v32, 0xffff0000, v30
	v_cmp_gt_u32_e32 vcc, s54, v1
	s_mov_b32 s2, 0x40c0100
	s_nop 0
	v_cndmask_b32_e32 v1, v32, v30, vcc
	v_and_b32_e32 v1, 0xffff00ff, v1
	v_cmp_gt_u32_e32 vcc, s54, v43
	s_nop 1
	v_cndmask_b32_e32 v1, v1, v30, vcc
	v_lshrrev_b32_e32 v32, 24, v1
	v_perm_b32 v1, v32, v1, s2
	v_cmp_gt_u32_e32 vcc, s54, v40
	v_and_b32_e32 v32, 0xffffff00, v31
	s_nop 0
	v_cndmask_b32_e32 v1, v1, v30, vcc
	v_and_b32_e32 v1, 0xffffff, v1
	v_cmp_gt_u32_e32 vcc, s54, v44
	s_nop 1
	v_cndmask_b32_e32 v1, v1, v30, vcc
	v_cmp_gt_u32_e32 vcc, s54, v41
	s_nop 1
	v_cndmask_b32_e32 v32, v32, v31, vcc
	v_and_b32_e32 v32, 0xffff00ff, v32
	v_cndmask_b32_e32 v1, v1, v30, vcc
	v_cmp_gt_u32_e32 vcc, s54, v45
	s_nop 1
	v_cndmask_b32_e32 v32, v32, v31, vcc
	v_lshrrev_b32_e32 v33, 24, v32
	v_cndmask_b32_e32 v1, v1, v30, vcc
	v_perm_b32 v32, v33, v32, s2
	v_cmp_gt_u32_e32 vcc, s54, v42
	s_mov_b32 s2, 0x3020104
	s_nop 0
	v_cndmask_b32_e32 v1, v1, v30, vcc
	v_cndmask_b32_e32 v30, v32, v31, vcc
	v_mov_b32_e32 v31, 8
	v_lshrrev_b32_sdwa v31, v31, v30 dst_sel:BYTE_1 dst_unused:UNUSED_PAD src0_sel:DWORD src1_sel:DWORD
	s_nop 0
	v_or_b32_sdwa v31, v30, v31 dst_sel:DWORD dst_unused:UNUSED_PAD src0_sel:BYTE_0 src1_sel:DWORD
	v_and_b32_e32 v31, 0xffff, v31
	v_bfe_u32 v30, v30, 16, 8
	v_lshl_or_b32 v31, v30, 16, v31
	v_perm_b32 v30, v1, v1, s2
.LBB1608_344:
	s_waitcnt vmcnt(0) lgkmcnt(0)
	v_and_b32_e32 v1, 0xff, v30
	v_bfe_u32 v43, v30, 8, 8
	v_bfe_u32 v45, v30, 16, 8
	v_alignbit_b32 v32, v31, v30, 24
	v_and_b32_e32 v47, 0xff, v32
	v_and_b32_e32 v48, 0xff, v31
	v_add3_u32 v33, v43, v1, v45
	v_bfe_u32 v49, v31, 8, 8
	v_bfe_u32 v32, v31, 16, 8
	v_add3_u32 v33, v33, v47, v48
	v_add3_u32 v52, v33, v49, v32
	v_mbcnt_lo_u32_b32 v32, -1, 0
	v_mbcnt_hi_u32_b32 v50, -1, v32
	v_and_b32_e32 v32, 15, v50
	v_cmp_eq_u32_e64 s[14:15], 0, v32
	v_cmp_lt_u32_e64 s[12:13], 1, v32
	v_cmp_lt_u32_e64 s[10:11], 3, v32
	;; [unrolled: 1-line block ×3, first 2 shown]
	v_and_b32_e32 v32, 16, v50
	v_cmp_eq_u32_e64 s[6:7], 0, v32
	v_or_b32_e32 v32, 63, v0
	v_cmp_lt_u32_e64 s[2:3], 31, v50
	v_lshrrev_b32_e32 v51, 6, v0
	v_cmp_eq_u32_e64 s[4:5], v32, v0
	s_and_b64 vcc, exec, s[0:1]
	s_barrier
	s_cbranch_vccz .LBB1608_371
; %bb.345:
	v_mov_b32_dpp v32, v52 row_shr:1 row_mask:0xf bank_mask:0xf
	v_cndmask_b32_e64 v32, v32, 0, s[14:15]
	v_add_u32_e32 v32, v32, v52
	s_nop 1
	v_mov_b32_dpp v33, v32 row_shr:2 row_mask:0xf bank_mask:0xf
	v_cndmask_b32_e64 v33, 0, v33, s[12:13]
	v_add_u32_e32 v32, v32, v33
	s_nop 1
	;; [unrolled: 4-line block ×4, first 2 shown]
	v_mov_b32_dpp v33, v32 row_bcast:15 row_mask:0xf bank_mask:0xf
	v_cndmask_b32_e64 v33, v33, 0, s[6:7]
	v_add_u32_e32 v32, v32, v33
	s_nop 1
	v_mov_b32_dpp v33, v32 row_bcast:31 row_mask:0xf bank_mask:0xf
	v_cndmask_b32_e64 v33, 0, v33, s[2:3]
	v_add_u32_e32 v32, v32, v33
	s_and_saveexec_b64 s[0:1], s[4:5]
	s_cbranch_execz .LBB1608_347
; %bb.346:
	v_lshlrev_b32_e32 v33, 2, v51
	ds_write_b32 v33, v32
.LBB1608_347:
	s_or_b64 exec, exec, s[0:1]
	v_cmp_gt_u32_e32 vcc, 8, v0
	s_waitcnt lgkmcnt(0)
	s_barrier
	s_and_saveexec_b64 s[0:1], vcc
	s_cbranch_execz .LBB1608_349
; %bb.348:
	v_lshlrev_b32_e32 v33, 2, v0
	ds_read_b32 v34, v33
	v_and_b32_e32 v35, 7, v50
	v_cmp_ne_u32_e32 vcc, 0, v35
	s_waitcnt lgkmcnt(0)
	v_mov_b32_dpp v36, v34 row_shr:1 row_mask:0xf bank_mask:0xf
	v_cndmask_b32_e32 v36, 0, v36, vcc
	v_add_u32_e32 v34, v36, v34
	v_cmp_lt_u32_e32 vcc, 1, v35
	s_nop 0
	v_mov_b32_dpp v36, v34 row_shr:2 row_mask:0xf bank_mask:0xf
	v_cndmask_b32_e32 v36, 0, v36, vcc
	v_add_u32_e32 v34, v34, v36
	v_cmp_lt_u32_e32 vcc, 3, v35
	s_nop 0
	v_mov_b32_dpp v36, v34 row_shr:4 row_mask:0xf bank_mask:0xf
	v_cndmask_b32_e32 v35, 0, v36, vcc
	v_add_u32_e32 v34, v34, v35
	ds_write_b32 v33, v34
.LBB1608_349:
	s_or_b64 exec, exec, s[0:1]
	v_cmp_gt_u32_e32 vcc, 64, v0
	v_cmp_lt_u32_e64 s[0:1], 63, v0
	s_waitcnt lgkmcnt(0)
	s_barrier
	s_waitcnt lgkmcnt(0)
                                        ; implicit-def: $vgpr42
	s_and_saveexec_b64 s[16:17], s[0:1]
	s_cbranch_execz .LBB1608_351
; %bb.350:
	v_lshl_add_u32 v33, v51, 2, -4
	ds_read_b32 v42, v33
	s_waitcnt lgkmcnt(0)
	v_add_u32_e32 v32, v42, v32
.LBB1608_351:
	s_or_b64 exec, exec, s[16:17]
	v_add_u32_e32 v33, -1, v50
	v_and_b32_e32 v34, 64, v50
	v_cmp_lt_i32_e64 s[0:1], v33, v34
	v_cmp_eq_u32_e64 s[16:17], 0, v50
	s_nop 0
	v_cndmask_b32_e64 v33, v33, v50, s[0:1]
	v_lshlrev_b32_e32 v33, 2, v33
	ds_bpermute_b32 v44, v33, v32
	s_and_saveexec_b64 s[0:1], vcc
	s_cbranch_execz .LBB1608_370
; %bb.352:
	v_mov_b32_e32 v39, 0
	ds_read_b32 v32, v39 offset:28
	s_and_saveexec_b64 s[26:27], s[16:17]
	s_cbranch_execz .LBB1608_354
; %bb.353:
	s_add_i32 s36, s33, 64
	s_mov_b32 s37, 0
	s_lshl_b64 s[36:37], s[36:37], 3
	s_add_u32 s36, s38, s36
	v_mov_b32_e32 v33, 1
	s_addc_u32 s37, s39, s37
	s_waitcnt lgkmcnt(0)
	global_store_dwordx2 v39, v[32:33], s[36:37] sc1
.LBB1608_354:
	s_or_b64 exec, exec, s[26:27]
	v_xad_u32 v34, v50, -1, s33
	v_add_u32_e32 v38, 64, v34
	v_lshl_add_u64 v[40:41], v[38:39], 3, s[38:39]
	global_load_dwordx2 v[36:37], v[40:41], off sc1
	s_waitcnt vmcnt(0)
	v_cmp_eq_u16_sdwa s[36:37], v37, v39 src0_sel:BYTE_0 src1_sel:DWORD
	s_and_saveexec_b64 s[26:27], s[36:37]
	s_cbranch_execz .LBB1608_358
; %bb.355:
	s_mov_b64 s[36:37], 0
	v_mov_b32_e32 v33, 0
.LBB1608_356:                           ; =>This Inner Loop Header: Depth=1
	global_load_dwordx2 v[36:37], v[40:41], off sc1
	s_waitcnt vmcnt(0)
	v_cmp_ne_u16_sdwa s[40:41], v37, v33 src0_sel:BYTE_0 src1_sel:DWORD
	s_or_b64 s[36:37], s[40:41], s[36:37]
	s_andn2_b64 exec, exec, s[36:37]
	s_cbranch_execnz .LBB1608_356
; %bb.357:
	s_or_b64 exec, exec, s[36:37]
.LBB1608_358:
	s_or_b64 exec, exec, s[26:27]
	v_and_b32_e32 v46, 63, v50
	v_mov_b32_e32 v33, 2
	v_cmp_ne_u32_e32 vcc, 63, v46
	v_cmp_eq_u16_sdwa s[26:27], v37, v33 src0_sel:BYTE_0 src1_sel:DWORD
	v_lshlrev_b64 v[38:39], v50, -1
	v_addc_co_u32_e32 v41, vcc, 0, v50, vcc
	v_and_b32_e32 v35, s27, v39
	v_lshlrev_b32_e32 v53, 2, v41
	v_or_b32_e32 v35, 0x80000000, v35
	ds_bpermute_b32 v41, v53, v36
	v_and_b32_e32 v40, s26, v38
	v_ffbl_b32_e32 v35, v35
	v_add_u32_e32 v35, 32, v35
	v_ffbl_b32_e32 v40, v40
	v_min_u32_e32 v35, v40, v35
	v_cmp_lt_u32_e32 vcc, v46, v35
	v_add_u32_e32 v55, 2, v46
	v_add_u32_e32 v57, 4, v46
	s_waitcnt lgkmcnt(0)
	v_cndmask_b32_e32 v40, 0, v41, vcc
	v_cmp_gt_u32_e32 vcc, 62, v46
	v_add_u32_e32 v36, v40, v36
	v_add_u32_e32 v59, 8, v46
	v_cndmask_b32_e64 v40, 0, 1, vcc
	v_lshlrev_b32_e32 v40, 1, v40
	v_add_lshl_u32 v54, v40, v50, 2
	ds_bpermute_b32 v40, v54, v36
	v_cmp_le_u32_e32 vcc, v55, v35
	v_add_u32_e32 v62, 16, v46
	v_add_u32_e32 v64, 32, v46
	s_waitcnt lgkmcnt(0)
	v_cndmask_b32_e32 v40, 0, v40, vcc
	v_cmp_gt_u32_e32 vcc, 60, v46
	v_add_u32_e32 v36, v36, v40
	s_nop 0
	v_cndmask_b32_e64 v40, 0, 1, vcc
	v_lshlrev_b32_e32 v40, 2, v40
	v_add_lshl_u32 v56, v40, v50, 2
	ds_bpermute_b32 v40, v56, v36
	v_cmp_le_u32_e32 vcc, v57, v35
	s_waitcnt lgkmcnt(0)
	s_nop 0
	v_cndmask_b32_e32 v40, 0, v40, vcc
	v_cmp_gt_u32_e32 vcc, 56, v46
	v_add_u32_e32 v36, v36, v40
	s_nop 0
	v_cndmask_b32_e64 v40, 0, 1, vcc
	v_lshlrev_b32_e32 v40, 3, v40
	v_add_lshl_u32 v58, v40, v50, 2
	ds_bpermute_b32 v40, v58, v36
	v_cmp_le_u32_e32 vcc, v59, v35
	s_waitcnt lgkmcnt(0)
	s_nop 0
	;; [unrolled: 11-line block ×4, first 2 shown]
	v_cndmask_b32_e32 v35, 0, v40, vcc
	v_add_u32_e32 v36, v36, v35
	v_mov_b32_e32 v35, 0
	s_branch .LBB1608_360
.LBB1608_359:                           ;   in Loop: Header=BB1608_360 Depth=1
	s_or_b64 exec, exec, s[26:27]
	v_cmp_eq_u16_sdwa s[26:27], v37, v33 src0_sel:BYTE_0 src1_sel:DWORD
	ds_bpermute_b32 v65, v53, v36
	v_subrev_u32_e32 v34, 64, v34
	v_and_b32_e32 v40, s27, v39
	v_or_b32_e32 v40, 0x80000000, v40
	v_and_b32_e32 v41, s26, v38
	v_ffbl_b32_e32 v40, v40
	v_add_u32_e32 v40, 32, v40
	v_ffbl_b32_e32 v41, v41
	v_min_u32_e32 v40, v41, v40
	v_cmp_lt_u32_e32 vcc, v46, v40
	s_waitcnt lgkmcnt(0)
	s_nop 0
	v_cndmask_b32_e32 v41, 0, v65, vcc
	v_add_u32_e32 v36, v41, v36
	ds_bpermute_b32 v41, v54, v36
	v_cmp_le_u32_e32 vcc, v55, v40
	s_waitcnt lgkmcnt(0)
	s_nop 0
	v_cndmask_b32_e32 v41, 0, v41, vcc
	v_add_u32_e32 v36, v36, v41
	ds_bpermute_b32 v41, v56, v36
	v_cmp_le_u32_e32 vcc, v57, v40
	;; [unrolled: 6-line block ×5, first 2 shown]
	s_waitcnt lgkmcnt(0)
	s_nop 0
	v_cndmask_b32_e32 v40, 0, v41, vcc
	v_add3_u32 v36, v40, v60, v36
.LBB1608_360:                           ; =>This Loop Header: Depth=1
                                        ;     Child Loop BB1608_363 Depth 2
	v_cmp_ne_u16_sdwa s[26:27], v37, v33 src0_sel:BYTE_0 src1_sel:DWORD
	v_mov_b32_e32 v60, v36
	s_nop 0
	v_cndmask_b32_e64 v37, 0, 1, s[26:27]
	;;#ASMSTART
	;;#ASMEND
	s_nop 0
	v_cmp_ne_u32_e32 vcc, 0, v37
	s_cmp_lg_u64 vcc, exec
	s_cbranch_scc1 .LBB1608_365
; %bb.361:                              ;   in Loop: Header=BB1608_360 Depth=1
	v_lshl_add_u64 v[40:41], v[34:35], 3, s[38:39]
	global_load_dwordx2 v[36:37], v[40:41], off sc1
	s_waitcnt vmcnt(0)
	v_cmp_eq_u16_sdwa s[36:37], v37, v35 src0_sel:BYTE_0 src1_sel:DWORD
	s_and_saveexec_b64 s[26:27], s[36:37]
	s_cbranch_execz .LBB1608_359
; %bb.362:                              ;   in Loop: Header=BB1608_360 Depth=1
	s_mov_b64 s[36:37], 0
.LBB1608_363:                           ;   Parent Loop BB1608_360 Depth=1
                                        ; =>  This Inner Loop Header: Depth=2
	global_load_dwordx2 v[36:37], v[40:41], off sc1
	s_waitcnt vmcnt(0)
	v_cmp_ne_u16_sdwa s[40:41], v37, v35 src0_sel:BYTE_0 src1_sel:DWORD
	s_or_b64 s[36:37], s[40:41], s[36:37]
	s_andn2_b64 exec, exec, s[36:37]
	s_cbranch_execnz .LBB1608_363
; %bb.364:                              ;   in Loop: Header=BB1608_360 Depth=1
	s_or_b64 exec, exec, s[36:37]
	s_branch .LBB1608_359
.LBB1608_365:                           ;   in Loop: Header=BB1608_360 Depth=1
                                        ; implicit-def: $vgpr36
                                        ; implicit-def: $vgpr37
	s_cbranch_execz .LBB1608_360
; %bb.366:
	s_and_saveexec_b64 s[26:27], s[16:17]
	s_cbranch_execz .LBB1608_368
; %bb.367:
	s_add_i32 s36, s33, 64
	s_mov_b32 s37, 0
	s_lshl_b64 s[36:37], s[36:37], 3
	s_add_u32 s36, s38, s36
	v_add_u32_e32 v34, v60, v32
	v_mov_b32_e32 v35, 2
	s_addc_u32 s37, s39, s37
	v_mov_b32_e32 v33, 0
	s_movk_i32 s33, 0x7000
	global_store_dwordx2 v33, v[34:35], s[36:37] sc1
	v_add_u32_e64 v33, s33, 0
	ds_write2_b32 v33, v32, v60 offset1:2
.LBB1608_368:
	s_or_b64 exec, exec, s[26:27]
	s_and_b64 exec, exec, s[18:19]
	s_cbranch_execz .LBB1608_370
; %bb.369:
	v_mov_b32_e32 v32, 0
	ds_write_b32 v32, v60 offset:28
.LBB1608_370:
	s_or_b64 exec, exec, s[0:1]
	v_mov_b32_e32 v32, 0
	s_waitcnt lgkmcnt(0)
	s_barrier
	ds_read_b32 v32, v32 offset:28
	v_cndmask_b32_e64 v33, v44, v42, s[16:17]
	v_cndmask_b32_e64 v33, v33, 0, s[18:19]
	s_movk_i32 s0, 0x7000
	s_waitcnt lgkmcnt(0)
	v_add_u32_e32 v46, v32, v33
	v_add_u32_e64 v32, s0, 0
	v_add_u32_e32 v44, v46, v1
	s_barrier
	ds_read2_b32 v[32:33], v32 offset1:2
	v_add_u32_e32 v42, v44, v43
	v_add_u32_e32 v40, v42, v45
	;; [unrolled: 1-line block ×5, first 2 shown]
	s_waitcnt lgkmcnt(0)
	v_readfirstlane_b32 s26, v32
	v_readfirstlane_b32 s16, v33
	v_lshrrev_b64 v[32:33], 24, v[30:31]
	s_branch .LBB1608_381
.LBB1608_371:
                                        ; implicit-def: $vgpr34
                                        ; implicit-def: $vgpr36
                                        ; implicit-def: $vgpr38
                                        ; implicit-def: $vgpr40
                                        ; implicit-def: $vgpr42
                                        ; implicit-def: $vgpr44
                                        ; implicit-def: $vgpr46
                                        ; implicit-def: $sgpr16
                                        ; implicit-def: $sgpr26
	v_lshrrev_b64 v[32:33], 24, v[30:31]
	s_cbranch_execz .LBB1608_381
; %bb.372:
	s_nop 0
	v_mov_b32_dpp v33, v52 row_shr:1 row_mask:0xf bank_mask:0xf
	v_cndmask_b32_e64 v33, v33, 0, s[14:15]
	v_add_u32_e32 v33, v33, v52
	s_nop 1
	v_mov_b32_dpp v34, v33 row_shr:2 row_mask:0xf bank_mask:0xf
	v_cndmask_b32_e64 v34, 0, v34, s[12:13]
	v_add_u32_e32 v33, v33, v34
	;; [unrolled: 4-line block ×4, first 2 shown]
	s_nop 1
	v_mov_b32_dpp v34, v33 row_bcast:15 row_mask:0xf bank_mask:0xf
	v_cndmask_b32_e64 v34, v34, 0, s[6:7]
	v_add_u32_e32 v33, v33, v34
	s_nop 1
	v_mov_b32_dpp v34, v33 row_bcast:31 row_mask:0xf bank_mask:0xf
	v_cndmask_b32_e64 v34, 0, v34, s[2:3]
	v_add_u32_e32 v33, v33, v34
	s_and_saveexec_b64 s[0:1], s[4:5]
	s_cbranch_execz .LBB1608_374
; %bb.373:
	v_lshlrev_b32_e32 v34, 2, v51
	ds_write_b32 v34, v33
.LBB1608_374:
	s_or_b64 exec, exec, s[0:1]
	v_cmp_gt_u32_e32 vcc, 8, v0
	s_waitcnt lgkmcnt(0)
	s_barrier
	s_and_saveexec_b64 s[0:1], vcc
	s_cbranch_execz .LBB1608_376
; %bb.375:
	v_lshlrev_b32_e32 v34, 2, v0
	ds_read_b32 v35, v34
	v_and_b32_e32 v36, 7, v50
	v_cmp_ne_u32_e32 vcc, 0, v36
	s_waitcnt lgkmcnt(0)
	v_mov_b32_dpp v37, v35 row_shr:1 row_mask:0xf bank_mask:0xf
	v_cndmask_b32_e32 v37, 0, v37, vcc
	v_add_u32_e32 v35, v37, v35
	v_cmp_lt_u32_e32 vcc, 1, v36
	s_nop 0
	v_mov_b32_dpp v37, v35 row_shr:2 row_mask:0xf bank_mask:0xf
	v_cndmask_b32_e32 v37, 0, v37, vcc
	v_add_u32_e32 v35, v35, v37
	v_cmp_lt_u32_e32 vcc, 3, v36
	s_nop 0
	v_mov_b32_dpp v37, v35 row_shr:4 row_mask:0xf bank_mask:0xf
	v_cndmask_b32_e32 v36, 0, v37, vcc
	v_add_u32_e32 v35, v35, v36
	ds_write_b32 v34, v35
.LBB1608_376:
	s_or_b64 exec, exec, s[0:1]
	v_cmp_lt_u32_e32 vcc, 63, v0
	v_mov_b32_e32 v35, 0
	v_mov_b32_e32 v34, 0
	s_waitcnt lgkmcnt(0)
	s_barrier
	s_and_saveexec_b64 s[0:1], vcc
	s_cbranch_execz .LBB1608_378
; %bb.377:
	v_lshl_add_u32 v34, v51, 2, -4
	ds_read_b32 v34, v34
.LBB1608_378:
	s_or_b64 exec, exec, s[0:1]
	v_add_u32_e32 v36, -1, v50
	v_and_b32_e32 v37, 64, v50
	v_cmp_lt_i32_e32 vcc, v36, v37
	s_waitcnt lgkmcnt(0)
	v_add_u32_e32 v33, v34, v33
	ds_read_b32 v35, v35 offset:28
	v_cndmask_b32_e32 v36, v36, v50, vcc
	v_lshlrev_b32_e32 v36, 2, v36
	ds_bpermute_b32 v33, v36, v33
	s_waitcnt lgkmcnt(1)
	v_readfirstlane_b32 s26, v35
	s_and_saveexec_b64 s[0:1], s[18:19]
	s_cbranch_execz .LBB1608_380
; %bb.379:
	v_mov_b32_e32 v35, 0
	v_mov_b32_e32 v36, s26
	;; [unrolled: 1-line block ×3, first 2 shown]
	global_store_dwordx2 v35, v[36:37], s[38:39] offset:512 sc1
.LBB1608_380:
	s_or_b64 exec, exec, s[0:1]
	v_cmp_eq_u32_e32 vcc, 0, v50
	s_mov_b32 s16, 0
	s_waitcnt lgkmcnt(0)
	v_cndmask_b32_e32 v33, v33, v34, vcc
	v_cndmask_b32_e64 v46, v33, 0, s[18:19]
	v_add_u32_e32 v44, v46, v1
	v_add_u32_e32 v42, v44, v43
	;; [unrolled: 1-line block ×6, first 2 shown]
	s_barrier
.LBB1608_381:
	s_cmpk_lt_u32 s26, 0x201
	s_cselect_b64 s[2:3], -1, 0
	v_lshrrev_b32_e32 v33, 8, v30
	v_lshrrev_b32_e32 v1, 8, v31
	s_mov_b64 s[0:1], -1
	s_and_b64 vcc, exec, s[2:3]
	s_cbranch_vccz .LBB1608_404
; %bb.382:
	s_add_i32 s4, s16, s26
	v_cmp_gt_u32_e32 vcc, s4, v46
	s_or_b64 s[6:7], s[34:35], vcc
	s_and_saveexec_b64 s[0:1], s[6:7]
	s_cbranch_execz .LBB1608_385
; %bb.383:
	v_and_b32_e32 v35, 1, v30
	v_cmp_eq_u32_e32 vcc, 1, v35
	s_and_b64 exec, exec, vcc
	s_cbranch_execz .LBB1608_385
; %bb.384:
	s_lshl_b64 s[6:7], s[22:23], 3
	s_add_u32 s6, s28, s6
	s_addc_u32 s7, s29, s7
	v_mov_b32_e32 v47, 0
	v_lshl_add_u64 v[48:49], v[46:47], 3, s[6:7]
	global_store_dwordx2 v[48:49], v[22:23], off
.LBB1608_385:
	s_or_b64 exec, exec, s[0:1]
	v_cmp_gt_u32_e32 vcc, s4, v44
	s_or_b64 s[6:7], s[34:35], vcc
	s_and_saveexec_b64 s[0:1], s[6:7]
	s_cbranch_execz .LBB1608_388
; %bb.386:
	v_and_b32_e32 v35, 1, v33
	v_cmp_eq_u32_e32 vcc, 1, v35
	s_and_b64 exec, exec, vcc
	s_cbranch_execz .LBB1608_388
; %bb.387:
	s_lshl_b64 s[6:7], s[22:23], 3
	s_add_u32 s6, s28, s6
	s_addc_u32 s7, s29, s7
	v_mov_b32_e32 v45, 0
	v_lshl_add_u64 v[48:49], v[44:45], 3, s[6:7]
	global_store_dwordx2 v[48:49], v[24:25], off
.LBB1608_388:
	s_or_b64 exec, exec, s[0:1]
	v_cmp_gt_u32_e32 vcc, s4, v42
	s_or_b64 s[6:7], s[34:35], vcc
	s_and_saveexec_b64 s[0:1], s[6:7]
	s_cbranch_execz .LBB1608_391
; %bb.389:
	v_mov_b32_e32 v35, 1
	v_and_b32_sdwa v35, v35, v30 dst_sel:DWORD dst_unused:UNUSED_PAD src0_sel:DWORD src1_sel:WORD_1
	v_cmp_eq_u32_e32 vcc, 1, v35
	s_and_b64 exec, exec, vcc
	s_cbranch_execz .LBB1608_391
; %bb.390:
	s_lshl_b64 s[6:7], s[22:23], 3
	s_add_u32 s6, s28, s6
	s_addc_u32 s7, s29, s7
	v_mov_b32_e32 v43, 0
	v_lshl_add_u64 v[48:49], v[42:43], 3, s[6:7]
	global_store_dwordx2 v[48:49], v[18:19], off
.LBB1608_391:
	s_or_b64 exec, exec, s[0:1]
	v_cmp_gt_u32_e32 vcc, s4, v40
	s_or_b64 s[6:7], s[34:35], vcc
	s_and_saveexec_b64 s[0:1], s[6:7]
	s_cbranch_execz .LBB1608_394
; %bb.392:
	v_and_b32_e32 v35, 1, v32
	v_cmp_eq_u32_e32 vcc, 1, v35
	s_and_b64 exec, exec, vcc
	s_cbranch_execz .LBB1608_394
; %bb.393:
	s_lshl_b64 s[6:7], s[22:23], 3
	s_add_u32 s6, s28, s6
	s_addc_u32 s7, s29, s7
	v_mov_b32_e32 v41, 0
	v_lshl_add_u64 v[48:49], v[40:41], 3, s[6:7]
	global_store_dwordx2 v[48:49], v[20:21], off
.LBB1608_394:
	s_or_b64 exec, exec, s[0:1]
	v_cmp_gt_u32_e32 vcc, s4, v38
	s_or_b64 s[6:7], s[34:35], vcc
	s_and_saveexec_b64 s[0:1], s[6:7]
	s_cbranch_execz .LBB1608_397
; %bb.395:
	v_and_b32_e32 v35, 1, v31
	v_cmp_eq_u32_e32 vcc, 1, v35
	s_and_b64 exec, exec, vcc
	s_cbranch_execz .LBB1608_397
; %bb.396:
	s_lshl_b64 s[6:7], s[22:23], 3
	s_add_u32 s6, s28, s6
	s_addc_u32 s7, s29, s7
	v_mov_b32_e32 v39, 0
	v_lshl_add_u64 v[48:49], v[38:39], 3, s[6:7]
	global_store_dwordx2 v[48:49], v[14:15], off
.LBB1608_397:
	;; [unrolled: 18-line block ×3, first 2 shown]
	s_or_b64 exec, exec, s[0:1]
	v_cmp_gt_u32_e32 vcc, s4, v34
	s_or_b64 s[4:5], s[34:35], vcc
	s_and_saveexec_b64 s[0:1], s[4:5]
	s_cbranch_execz .LBB1608_403
; %bb.401:
	v_mov_b32_e32 v35, 1
	v_and_b32_sdwa v35, v35, v31 dst_sel:DWORD dst_unused:UNUSED_PAD src0_sel:DWORD src1_sel:WORD_1
	v_cmp_eq_u32_e32 vcc, 1, v35
	s_and_b64 exec, exec, vcc
	s_cbranch_execz .LBB1608_403
; %bb.402:
	s_lshl_b64 s[4:5], s[22:23], 3
	s_add_u32 s4, s28, s4
	s_addc_u32 s5, s29, s5
	v_mov_b32_e32 v35, 0
	v_lshl_add_u64 v[48:49], v[34:35], 3, s[4:5]
	global_store_dwordx2 v[48:49], v[28:29], off
.LBB1608_403:
	s_or_b64 exec, exec, s[0:1]
	s_mov_b64 s[0:1], 0
.LBB1608_404:
	v_and_b32_e32 v48, 1, v30
	s_and_b64 vcc, exec, s[0:1]
	v_cmp_eq_u32_e64 s[0:1], 1, v48
	s_cbranch_vccz .LBB1608_423
; %bb.405:
	s_and_saveexec_b64 s[4:5], s[0:1]
	s_cbranch_execz .LBB1608_407
; %bb.406:
	v_subrev_u32_e32 v35, s16, v46
	v_lshlrev_b32_e32 v35, 3, v35
	ds_write_b64 v35, v[22:23]
.LBB1608_407:
	s_or_b64 exec, exec, s[4:5]
	v_and_b32_e32 v22, 1, v33
	v_cmp_eq_u32_e32 vcc, 1, v22
	s_and_saveexec_b64 s[0:1], vcc
	s_cbranch_execz .LBB1608_409
; %bb.408:
	v_subrev_u32_e32 v22, s16, v44
	v_lshlrev_b32_e32 v22, 3, v22
	ds_write_b64 v22, v[24:25]
.LBB1608_409:
	s_or_b64 exec, exec, s[0:1]
	v_mov_b32_e32 v22, 1
	v_and_b32_sdwa v22, v22, v30 dst_sel:DWORD dst_unused:UNUSED_PAD src0_sel:DWORD src1_sel:WORD_1
	v_cmp_eq_u32_e32 vcc, 1, v22
	s_and_saveexec_b64 s[0:1], vcc
	s_cbranch_execz .LBB1608_411
; %bb.410:
	v_subrev_u32_e32 v22, s16, v42
	v_lshlrev_b32_e32 v22, 3, v22
	ds_write_b64 v22, v[18:19]
.LBB1608_411:
	s_or_b64 exec, exec, s[0:1]
	v_and_b32_e32 v18, 1, v32
	v_cmp_eq_u32_e32 vcc, 1, v18
	s_and_saveexec_b64 s[0:1], vcc
	s_cbranch_execz .LBB1608_413
; %bb.412:
	v_subrev_u32_e32 v18, s16, v40
	v_lshlrev_b32_e32 v18, 3, v18
	ds_write_b64 v18, v[20:21]
.LBB1608_413:
	s_or_b64 exec, exec, s[0:1]
	v_and_b32_e32 v18, 1, v31
	;; [unrolled: 10-line block ×3, first 2 shown]
	v_cmp_eq_u32_e32 vcc, 1, v14
	s_and_saveexec_b64 s[0:1], vcc
	s_cbranch_execz .LBB1608_417
; %bb.416:
	v_subrev_u32_e32 v14, s16, v36
	v_lshlrev_b32_e32 v14, 3, v14
	ds_write_b64 v14, v[16:17]
.LBB1608_417:
	s_or_b64 exec, exec, s[0:1]
	v_mov_b32_e32 v14, 1
	v_and_b32_sdwa v14, v14, v31 dst_sel:DWORD dst_unused:UNUSED_PAD src0_sel:DWORD src1_sel:WORD_1
	v_cmp_eq_u32_e32 vcc, 1, v14
	s_and_saveexec_b64 s[0:1], vcc
	s_cbranch_execz .LBB1608_419
; %bb.418:
	v_subrev_u32_e32 v14, s16, v34
	v_lshlrev_b32_e32 v14, 3, v14
	ds_write_b64 v14, v[28:29]
.LBB1608_419:
	s_or_b64 exec, exec, s[0:1]
	v_cmp_gt_u32_e32 vcc, s26, v0
	s_waitcnt lgkmcnt(0)
	s_barrier
	s_and_saveexec_b64 s[0:1], vcc
	s_cbranch_execz .LBB1608_422
; %bb.420:
	s_mov_b32 s17, 0
	s_lshl_b64 s[4:5], s[22:23], 3
	s_lshl_b64 s[6:7], s[16:17], 3
	s_add_u32 s4, s4, s6
	s_addc_u32 s5, s5, s7
	s_add_u32 s4, s28, s4
	v_lshlrev_b32_e32 v14, 3, v0
	v_mov_b32_e32 v15, 0
	s_addc_u32 s5, s29, s5
	v_lshl_add_u64 v[16:17], s[4:5], 0, v[14:15]
	s_mov_b64 s[4:5], 0
	s_mov_b64 s[6:7], 0x1000
	v_mov_b32_e32 v15, v0
.LBB1608_421:                           ; =>This Inner Loop Header: Depth=1
	ds_read_b64 v[18:19], v14
	v_add_u32_e32 v15, 0x200, v15
	v_cmp_le_u32_e32 vcc, s26, v15
	v_add_u32_e32 v14, 0x1000, v14
	s_or_b64 s[4:5], vcc, s[4:5]
	s_waitcnt lgkmcnt(0)
	global_store_dwordx2 v[16:17], v[18:19], off
	v_lshl_add_u64 v[16:17], v[16:17], 0, s[6:7]
	s_andn2_b64 exec, exec, s[4:5]
	s_cbranch_execnz .LBB1608_421
.LBB1608_422:
	s_or_b64 exec, exec, s[0:1]
.LBB1608_423:
	s_mov_b64 s[0:1], -1
	s_and_b64 vcc, exec, s[2:3]
	s_barrier
	s_cbranch_vccnz .LBB1608_427
; %bb.424:
	s_and_b64 vcc, exec, s[0:1]
	s_cbranch_vccnz .LBB1608_449
.LBB1608_425:
	s_and_b64 s[0:1], s[18:19], s[24:25]
	s_and_saveexec_b64 s[2:3], s[0:1]
	s_cbranch_execnz .LBB1608_467
.LBB1608_426:
	s_endpgm
.LBB1608_427:
	s_add_i32 s2, s16, s26
	v_cmp_gt_u32_e32 vcc, s2, v46
	s_or_b64 s[4:5], s[34:35], vcc
	s_and_saveexec_b64 s[0:1], s[4:5]
	s_cbranch_execz .LBB1608_430
; %bb.428:
	v_cmp_eq_u32_e32 vcc, 1, v48
	s_and_b64 exec, exec, vcc
	s_cbranch_execz .LBB1608_430
; %bb.429:
	s_lshl_b64 s[4:5], s[22:23], 3
	s_add_u32 s4, s30, s4
	s_addc_u32 s5, s31, s5
	v_mov_b32_e32 v47, 0
	v_lshl_add_u64 v[14:15], v[46:47], 3, s[4:5]
	global_store_dwordx2 v[14:15], v[10:11], off
.LBB1608_430:
	s_or_b64 exec, exec, s[0:1]
	v_cmp_gt_u32_e32 vcc, s2, v44
	s_or_b64 s[4:5], s[34:35], vcc
	s_and_saveexec_b64 s[0:1], s[4:5]
	s_cbranch_execz .LBB1608_433
; %bb.431:
	v_and_b32_e32 v14, 1, v33
	v_cmp_eq_u32_e32 vcc, 1, v14
	s_and_b64 exec, exec, vcc
	s_cbranch_execz .LBB1608_433
; %bb.432:
	s_lshl_b64 s[4:5], s[22:23], 3
	s_add_u32 s4, s30, s4
	s_addc_u32 s5, s31, s5
	v_mov_b32_e32 v45, 0
	v_lshl_add_u64 v[14:15], v[44:45], 3, s[4:5]
	global_store_dwordx2 v[14:15], v[12:13], off
.LBB1608_433:
	s_or_b64 exec, exec, s[0:1]
	v_cmp_gt_u32_e32 vcc, s2, v42
	s_or_b64 s[4:5], s[34:35], vcc
	s_and_saveexec_b64 s[0:1], s[4:5]
	s_cbranch_execz .LBB1608_436
; %bb.434:
	v_mov_b32_e32 v14, 1
	v_and_b32_sdwa v14, v14, v30 dst_sel:DWORD dst_unused:UNUSED_PAD src0_sel:DWORD src1_sel:WORD_1
	v_cmp_eq_u32_e32 vcc, 1, v14
	s_and_b64 exec, exec, vcc
	s_cbranch_execz .LBB1608_436
; %bb.435:
	s_lshl_b64 s[4:5], s[22:23], 3
	s_add_u32 s4, s30, s4
	s_addc_u32 s5, s31, s5
	v_mov_b32_e32 v43, 0
	v_lshl_add_u64 v[14:15], v[42:43], 3, s[4:5]
	global_store_dwordx2 v[14:15], v[6:7], off
.LBB1608_436:
	s_or_b64 exec, exec, s[0:1]
	v_cmp_gt_u32_e32 vcc, s2, v40
	s_or_b64 s[4:5], s[34:35], vcc
	s_and_saveexec_b64 s[0:1], s[4:5]
	s_cbranch_execz .LBB1608_439
; %bb.437:
	v_and_b32_e32 v14, 1, v32
	v_cmp_eq_u32_e32 vcc, 1, v14
	s_and_b64 exec, exec, vcc
	s_cbranch_execz .LBB1608_439
; %bb.438:
	s_lshl_b64 s[4:5], s[22:23], 3
	s_add_u32 s4, s30, s4
	s_addc_u32 s5, s31, s5
	v_mov_b32_e32 v41, 0
	v_lshl_add_u64 v[14:15], v[40:41], 3, s[4:5]
	global_store_dwordx2 v[14:15], v[8:9], off
.LBB1608_439:
	s_or_b64 exec, exec, s[0:1]
	v_cmp_gt_u32_e32 vcc, s2, v38
	s_or_b64 s[4:5], s[34:35], vcc
	s_and_saveexec_b64 s[0:1], s[4:5]
	s_cbranch_execz .LBB1608_442
; %bb.440:
	v_and_b32_e32 v14, 1, v31
	v_cmp_eq_u32_e32 vcc, 1, v14
	s_and_b64 exec, exec, vcc
	s_cbranch_execz .LBB1608_442
; %bb.441:
	s_lshl_b64 s[4:5], s[22:23], 3
	s_add_u32 s4, s30, s4
	s_addc_u32 s5, s31, s5
	v_mov_b32_e32 v39, 0
	v_lshl_add_u64 v[14:15], v[38:39], 3, s[4:5]
	global_store_dwordx2 v[14:15], v[2:3], off
.LBB1608_442:
	;; [unrolled: 18-line block ×3, first 2 shown]
	s_or_b64 exec, exec, s[0:1]
	v_cmp_gt_u32_e32 vcc, s2, v34
	s_or_b64 s[2:3], s[34:35], vcc
	s_and_saveexec_b64 s[0:1], s[2:3]
	s_cbranch_execz .LBB1608_448
; %bb.446:
	v_mov_b32_e32 v14, 1
	v_and_b32_sdwa v14, v14, v31 dst_sel:DWORD dst_unused:UNUSED_PAD src0_sel:DWORD src1_sel:WORD_1
	v_cmp_eq_u32_e32 vcc, 1, v14
	s_and_b64 exec, exec, vcc
	s_cbranch_execz .LBB1608_448
; %bb.447:
	s_lshl_b64 s[2:3], s[22:23], 3
	s_add_u32 s2, s30, s2
	s_addc_u32 s3, s31, s3
	v_mov_b32_e32 v35, 0
	v_lshl_add_u64 v[14:15], v[34:35], 3, s[2:3]
	global_store_dwordx2 v[14:15], v[26:27], off
.LBB1608_448:
	s_or_b64 exec, exec, s[0:1]
	s_branch .LBB1608_425
.LBB1608_449:
	v_cmp_eq_u32_e32 vcc, 1, v48
	s_and_saveexec_b64 s[0:1], vcc
	s_cbranch_execz .LBB1608_451
; %bb.450:
	v_subrev_u32_e32 v14, s16, v46
	v_lshlrev_b32_e32 v14, 3, v14
	ds_write_b64 v14, v[10:11]
.LBB1608_451:
	s_or_b64 exec, exec, s[0:1]
	v_and_b32_e32 v10, 1, v33
	v_cmp_eq_u32_e32 vcc, 1, v10
	s_and_saveexec_b64 s[0:1], vcc
	s_cbranch_execz .LBB1608_453
; %bb.452:
	v_subrev_u32_e32 v10, s16, v44
	v_lshlrev_b32_e32 v10, 3, v10
	ds_write_b64 v10, v[12:13]
.LBB1608_453:
	s_or_b64 exec, exec, s[0:1]
	v_mov_b32_e32 v10, 1
	v_and_b32_sdwa v10, v10, v30 dst_sel:DWORD dst_unused:UNUSED_PAD src0_sel:DWORD src1_sel:WORD_1
	v_cmp_eq_u32_e32 vcc, 1, v10
	s_and_saveexec_b64 s[0:1], vcc
	s_cbranch_execz .LBB1608_455
; %bb.454:
	v_subrev_u32_e32 v10, s16, v42
	v_lshlrev_b32_e32 v10, 3, v10
	ds_write_b64 v10, v[6:7]
.LBB1608_455:
	s_or_b64 exec, exec, s[0:1]
	v_and_b32_e32 v6, 1, v32
	v_cmp_eq_u32_e32 vcc, 1, v6
	s_and_saveexec_b64 s[0:1], vcc
	s_cbranch_execz .LBB1608_457
; %bb.456:
	v_subrev_u32_e32 v6, s16, v40
	v_lshlrev_b32_e32 v6, 3, v6
	ds_write_b64 v6, v[8:9]
.LBB1608_457:
	s_or_b64 exec, exec, s[0:1]
	v_and_b32_e32 v6, 1, v31
	;; [unrolled: 10-line block ×3, first 2 shown]
	v_cmp_eq_u32_e32 vcc, 1, v1
	s_and_saveexec_b64 s[0:1], vcc
	s_cbranch_execz .LBB1608_461
; %bb.460:
	v_subrev_u32_e32 v1, s16, v36
	v_lshlrev_b32_e32 v1, 3, v1
	ds_write_b64 v1, v[4:5]
.LBB1608_461:
	s_or_b64 exec, exec, s[0:1]
	v_mov_b32_e32 v1, 1
	v_and_b32_sdwa v1, v1, v31 dst_sel:DWORD dst_unused:UNUSED_PAD src0_sel:DWORD src1_sel:WORD_1
	v_cmp_eq_u32_e32 vcc, 1, v1
	s_and_saveexec_b64 s[0:1], vcc
	s_cbranch_execz .LBB1608_463
; %bb.462:
	v_subrev_u32_e32 v1, s16, v34
	v_lshlrev_b32_e32 v1, 3, v1
	ds_write_b64 v1, v[26:27]
.LBB1608_463:
	s_or_b64 exec, exec, s[0:1]
	v_cmp_gt_u32_e32 vcc, s26, v0
	s_waitcnt lgkmcnt(0)
	s_barrier
	s_and_saveexec_b64 s[0:1], vcc
	s_cbranch_execz .LBB1608_466
; %bb.464:
	s_mov_b32 s17, 0
	s_lshl_b64 s[2:3], s[22:23], 3
	s_lshl_b64 s[4:5], s[16:17], 3
	s_add_u32 s2, s2, s4
	s_addc_u32 s3, s3, s5
	s_add_u32 s2, s30, s2
	v_lshlrev_b32_e32 v2, 3, v0
	v_mov_b32_e32 v3, 0
	s_addc_u32 s3, s31, s3
	v_lshl_add_u64 v[4:5], s[2:3], 0, v[2:3]
	s_mov_b64 s[2:3], 0
	s_mov_b64 s[4:5], 0x1000
.LBB1608_465:                           ; =>This Inner Loop Header: Depth=1
	ds_read_b64 v[6:7], v2
	v_add_u32_e32 v0, 0x200, v0
	v_cmp_le_u32_e32 vcc, s26, v0
	v_add_u32_e32 v2, 0x1000, v2
	s_or_b64 s[2:3], vcc, s[2:3]
	s_waitcnt lgkmcnt(0)
	global_store_dwordx2 v[4:5], v[6:7], off
	v_lshl_add_u64 v[4:5], v[4:5], 0, s[4:5]
	s_andn2_b64 exec, exec, s[2:3]
	s_cbranch_execnz .LBB1608_465
.LBB1608_466:
	s_or_b64 exec, exec, s[0:1]
	s_and_b64 s[0:1], s[18:19], s[24:25]
	s_and_saveexec_b64 s[2:3], s[0:1]
	s_cbranch_execz .LBB1608_426
.LBB1608_467:
	s_add_u32 s0, s22, s26
	s_addc_u32 s1, s23, 0
	s_add_u32 s0, s0, s16
	s_addc_u32 s1, s1, 0
	v_mov_b32_e32 v2, 0
	v_mov_b64_e32 v[0:1], s[0:1]
	global_store_dwordx2 v2, v[0:1], s[20:21]
	s_endpgm
	.section	.rodata,"a",@progbits
	.p2align	6, 0x0
	.amdhsa_kernel _ZN7rocprim17ROCPRIM_400000_NS6detail17trampoline_kernelINS0_14default_configENS1_25partition_config_selectorILNS1_17partition_subalgoE9EllbEEZZNS1_14partition_implILS5_9ELb0ES3_jPlS8_PNS0_10empty_typeENS0_5tupleIJS8_S9_EEENSB_IJS8_SA_EEENS0_18inequality_wrapperIZN2at6native12_GLOBAL__N_124unique_dim_cuda_templateIjEESt5tupleIJNSF_6TensorESK_SK_EERKSK_lbbbEUlllE0_EEPmJS9_EEE10hipError_tPvRmT3_T4_T5_T6_T7_T9_mT8_P12ihipStream_tbDpT10_ENKUlT_T0_E_clISt17integral_constantIbLb0EES19_IbLb1EEEEDaS15_S16_EUlS15_E_NS1_11comp_targetILNS1_3genE5ELNS1_11target_archE942ELNS1_3gpuE9ELNS1_3repE0EEENS1_30default_config_static_selectorELNS0_4arch9wavefront6targetE1EEEvT1_
		.amdhsa_group_segment_fixed_size 28684
		.amdhsa_private_segment_fixed_size 0
		.amdhsa_kernarg_size 136
		.amdhsa_user_sgpr_count 2
		.amdhsa_user_sgpr_dispatch_ptr 0
		.amdhsa_user_sgpr_queue_ptr 0
		.amdhsa_user_sgpr_kernarg_segment_ptr 1
		.amdhsa_user_sgpr_dispatch_id 0
		.amdhsa_user_sgpr_kernarg_preload_length 0
		.amdhsa_user_sgpr_kernarg_preload_offset 0
		.amdhsa_user_sgpr_private_segment_size 0
		.amdhsa_uses_dynamic_stack 0
		.amdhsa_enable_private_segment 0
		.amdhsa_system_sgpr_workgroup_id_x 1
		.amdhsa_system_sgpr_workgroup_id_y 0
		.amdhsa_system_sgpr_workgroup_id_z 0
		.amdhsa_system_sgpr_workgroup_info 0
		.amdhsa_system_vgpr_workitem_id 0
		.amdhsa_next_free_vgpr 66
		.amdhsa_next_free_sgpr 58
		.amdhsa_accum_offset 68
		.amdhsa_reserve_vcc 1
		.amdhsa_float_round_mode_32 0
		.amdhsa_float_round_mode_16_64 0
		.amdhsa_float_denorm_mode_32 3
		.amdhsa_float_denorm_mode_16_64 3
		.amdhsa_dx10_clamp 1
		.amdhsa_ieee_mode 1
		.amdhsa_fp16_overflow 0
		.amdhsa_tg_split 0
		.amdhsa_exception_fp_ieee_invalid_op 0
		.amdhsa_exception_fp_denorm_src 0
		.amdhsa_exception_fp_ieee_div_zero 0
		.amdhsa_exception_fp_ieee_overflow 0
		.amdhsa_exception_fp_ieee_underflow 0
		.amdhsa_exception_fp_ieee_inexact 0
		.amdhsa_exception_int_div_zero 0
	.end_amdhsa_kernel
	.section	.text._ZN7rocprim17ROCPRIM_400000_NS6detail17trampoline_kernelINS0_14default_configENS1_25partition_config_selectorILNS1_17partition_subalgoE9EllbEEZZNS1_14partition_implILS5_9ELb0ES3_jPlS8_PNS0_10empty_typeENS0_5tupleIJS8_S9_EEENSB_IJS8_SA_EEENS0_18inequality_wrapperIZN2at6native12_GLOBAL__N_124unique_dim_cuda_templateIjEESt5tupleIJNSF_6TensorESK_SK_EERKSK_lbbbEUlllE0_EEPmJS9_EEE10hipError_tPvRmT3_T4_T5_T6_T7_T9_mT8_P12ihipStream_tbDpT10_ENKUlT_T0_E_clISt17integral_constantIbLb0EES19_IbLb1EEEEDaS15_S16_EUlS15_E_NS1_11comp_targetILNS1_3genE5ELNS1_11target_archE942ELNS1_3gpuE9ELNS1_3repE0EEENS1_30default_config_static_selectorELNS0_4arch9wavefront6targetE1EEEvT1_,"axG",@progbits,_ZN7rocprim17ROCPRIM_400000_NS6detail17trampoline_kernelINS0_14default_configENS1_25partition_config_selectorILNS1_17partition_subalgoE9EllbEEZZNS1_14partition_implILS5_9ELb0ES3_jPlS8_PNS0_10empty_typeENS0_5tupleIJS8_S9_EEENSB_IJS8_SA_EEENS0_18inequality_wrapperIZN2at6native12_GLOBAL__N_124unique_dim_cuda_templateIjEESt5tupleIJNSF_6TensorESK_SK_EERKSK_lbbbEUlllE0_EEPmJS9_EEE10hipError_tPvRmT3_T4_T5_T6_T7_T9_mT8_P12ihipStream_tbDpT10_ENKUlT_T0_E_clISt17integral_constantIbLb0EES19_IbLb1EEEEDaS15_S16_EUlS15_E_NS1_11comp_targetILNS1_3genE5ELNS1_11target_archE942ELNS1_3gpuE9ELNS1_3repE0EEENS1_30default_config_static_selectorELNS0_4arch9wavefront6targetE1EEEvT1_,comdat
.Lfunc_end1608:
	.size	_ZN7rocprim17ROCPRIM_400000_NS6detail17trampoline_kernelINS0_14default_configENS1_25partition_config_selectorILNS1_17partition_subalgoE9EllbEEZZNS1_14partition_implILS5_9ELb0ES3_jPlS8_PNS0_10empty_typeENS0_5tupleIJS8_S9_EEENSB_IJS8_SA_EEENS0_18inequality_wrapperIZN2at6native12_GLOBAL__N_124unique_dim_cuda_templateIjEESt5tupleIJNSF_6TensorESK_SK_EERKSK_lbbbEUlllE0_EEPmJS9_EEE10hipError_tPvRmT3_T4_T5_T6_T7_T9_mT8_P12ihipStream_tbDpT10_ENKUlT_T0_E_clISt17integral_constantIbLb0EES19_IbLb1EEEEDaS15_S16_EUlS15_E_NS1_11comp_targetILNS1_3genE5ELNS1_11target_archE942ELNS1_3gpuE9ELNS1_3repE0EEENS1_30default_config_static_selectorELNS0_4arch9wavefront6targetE1EEEvT1_, .Lfunc_end1608-_ZN7rocprim17ROCPRIM_400000_NS6detail17trampoline_kernelINS0_14default_configENS1_25partition_config_selectorILNS1_17partition_subalgoE9EllbEEZZNS1_14partition_implILS5_9ELb0ES3_jPlS8_PNS0_10empty_typeENS0_5tupleIJS8_S9_EEENSB_IJS8_SA_EEENS0_18inequality_wrapperIZN2at6native12_GLOBAL__N_124unique_dim_cuda_templateIjEESt5tupleIJNSF_6TensorESK_SK_EERKSK_lbbbEUlllE0_EEPmJS9_EEE10hipError_tPvRmT3_T4_T5_T6_T7_T9_mT8_P12ihipStream_tbDpT10_ENKUlT_T0_E_clISt17integral_constantIbLb0EES19_IbLb1EEEEDaS15_S16_EUlS15_E_NS1_11comp_targetILNS1_3genE5ELNS1_11target_archE942ELNS1_3gpuE9ELNS1_3repE0EEENS1_30default_config_static_selectorELNS0_4arch9wavefront6targetE1EEEvT1_
                                        ; -- End function
	.section	.AMDGPU.csdata,"",@progbits
; Kernel info:
; codeLenInByte = 14484
; NumSgprs: 64
; NumVgprs: 66
; NumAgprs: 0
; TotalNumVgprs: 66
; ScratchSize: 0
; MemoryBound: 0
; FloatMode: 240
; IeeeMode: 1
; LDSByteSize: 28684 bytes/workgroup (compile time only)
; SGPRBlocks: 7
; VGPRBlocks: 8
; NumSGPRsForWavesPerEU: 64
; NumVGPRsForWavesPerEU: 66
; AccumOffset: 68
; Occupancy: 4
; WaveLimiterHint : 1
; COMPUTE_PGM_RSRC2:SCRATCH_EN: 0
; COMPUTE_PGM_RSRC2:USER_SGPR: 2
; COMPUTE_PGM_RSRC2:TRAP_HANDLER: 0
; COMPUTE_PGM_RSRC2:TGID_X_EN: 1
; COMPUTE_PGM_RSRC2:TGID_Y_EN: 0
; COMPUTE_PGM_RSRC2:TGID_Z_EN: 0
; COMPUTE_PGM_RSRC2:TIDIG_COMP_CNT: 0
; COMPUTE_PGM_RSRC3_GFX90A:ACCUM_OFFSET: 16
; COMPUTE_PGM_RSRC3_GFX90A:TG_SPLIT: 0
	.section	.text._ZN7rocprim17ROCPRIM_400000_NS6detail17trampoline_kernelINS0_14default_configENS1_25partition_config_selectorILNS1_17partition_subalgoE9EllbEEZZNS1_14partition_implILS5_9ELb0ES3_jPlS8_PNS0_10empty_typeENS0_5tupleIJS8_S9_EEENSB_IJS8_SA_EEENS0_18inequality_wrapperIZN2at6native12_GLOBAL__N_124unique_dim_cuda_templateIjEESt5tupleIJNSF_6TensorESK_SK_EERKSK_lbbbEUlllE0_EEPmJS9_EEE10hipError_tPvRmT3_T4_T5_T6_T7_T9_mT8_P12ihipStream_tbDpT10_ENKUlT_T0_E_clISt17integral_constantIbLb0EES19_IbLb1EEEEDaS15_S16_EUlS15_E_NS1_11comp_targetILNS1_3genE4ELNS1_11target_archE910ELNS1_3gpuE8ELNS1_3repE0EEENS1_30default_config_static_selectorELNS0_4arch9wavefront6targetE1EEEvT1_,"axG",@progbits,_ZN7rocprim17ROCPRIM_400000_NS6detail17trampoline_kernelINS0_14default_configENS1_25partition_config_selectorILNS1_17partition_subalgoE9EllbEEZZNS1_14partition_implILS5_9ELb0ES3_jPlS8_PNS0_10empty_typeENS0_5tupleIJS8_S9_EEENSB_IJS8_SA_EEENS0_18inequality_wrapperIZN2at6native12_GLOBAL__N_124unique_dim_cuda_templateIjEESt5tupleIJNSF_6TensorESK_SK_EERKSK_lbbbEUlllE0_EEPmJS9_EEE10hipError_tPvRmT3_T4_T5_T6_T7_T9_mT8_P12ihipStream_tbDpT10_ENKUlT_T0_E_clISt17integral_constantIbLb0EES19_IbLb1EEEEDaS15_S16_EUlS15_E_NS1_11comp_targetILNS1_3genE4ELNS1_11target_archE910ELNS1_3gpuE8ELNS1_3repE0EEENS1_30default_config_static_selectorELNS0_4arch9wavefront6targetE1EEEvT1_,comdat
	.globl	_ZN7rocprim17ROCPRIM_400000_NS6detail17trampoline_kernelINS0_14default_configENS1_25partition_config_selectorILNS1_17partition_subalgoE9EllbEEZZNS1_14partition_implILS5_9ELb0ES3_jPlS8_PNS0_10empty_typeENS0_5tupleIJS8_S9_EEENSB_IJS8_SA_EEENS0_18inequality_wrapperIZN2at6native12_GLOBAL__N_124unique_dim_cuda_templateIjEESt5tupleIJNSF_6TensorESK_SK_EERKSK_lbbbEUlllE0_EEPmJS9_EEE10hipError_tPvRmT3_T4_T5_T6_T7_T9_mT8_P12ihipStream_tbDpT10_ENKUlT_T0_E_clISt17integral_constantIbLb0EES19_IbLb1EEEEDaS15_S16_EUlS15_E_NS1_11comp_targetILNS1_3genE4ELNS1_11target_archE910ELNS1_3gpuE8ELNS1_3repE0EEENS1_30default_config_static_selectorELNS0_4arch9wavefront6targetE1EEEvT1_ ; -- Begin function _ZN7rocprim17ROCPRIM_400000_NS6detail17trampoline_kernelINS0_14default_configENS1_25partition_config_selectorILNS1_17partition_subalgoE9EllbEEZZNS1_14partition_implILS5_9ELb0ES3_jPlS8_PNS0_10empty_typeENS0_5tupleIJS8_S9_EEENSB_IJS8_SA_EEENS0_18inequality_wrapperIZN2at6native12_GLOBAL__N_124unique_dim_cuda_templateIjEESt5tupleIJNSF_6TensorESK_SK_EERKSK_lbbbEUlllE0_EEPmJS9_EEE10hipError_tPvRmT3_T4_T5_T6_T7_T9_mT8_P12ihipStream_tbDpT10_ENKUlT_T0_E_clISt17integral_constantIbLb0EES19_IbLb1EEEEDaS15_S16_EUlS15_E_NS1_11comp_targetILNS1_3genE4ELNS1_11target_archE910ELNS1_3gpuE8ELNS1_3repE0EEENS1_30default_config_static_selectorELNS0_4arch9wavefront6targetE1EEEvT1_
	.p2align	8
	.type	_ZN7rocprim17ROCPRIM_400000_NS6detail17trampoline_kernelINS0_14default_configENS1_25partition_config_selectorILNS1_17partition_subalgoE9EllbEEZZNS1_14partition_implILS5_9ELb0ES3_jPlS8_PNS0_10empty_typeENS0_5tupleIJS8_S9_EEENSB_IJS8_SA_EEENS0_18inequality_wrapperIZN2at6native12_GLOBAL__N_124unique_dim_cuda_templateIjEESt5tupleIJNSF_6TensorESK_SK_EERKSK_lbbbEUlllE0_EEPmJS9_EEE10hipError_tPvRmT3_T4_T5_T6_T7_T9_mT8_P12ihipStream_tbDpT10_ENKUlT_T0_E_clISt17integral_constantIbLb0EES19_IbLb1EEEEDaS15_S16_EUlS15_E_NS1_11comp_targetILNS1_3genE4ELNS1_11target_archE910ELNS1_3gpuE8ELNS1_3repE0EEENS1_30default_config_static_selectorELNS0_4arch9wavefront6targetE1EEEvT1_,@function
_ZN7rocprim17ROCPRIM_400000_NS6detail17trampoline_kernelINS0_14default_configENS1_25partition_config_selectorILNS1_17partition_subalgoE9EllbEEZZNS1_14partition_implILS5_9ELb0ES3_jPlS8_PNS0_10empty_typeENS0_5tupleIJS8_S9_EEENSB_IJS8_SA_EEENS0_18inequality_wrapperIZN2at6native12_GLOBAL__N_124unique_dim_cuda_templateIjEESt5tupleIJNSF_6TensorESK_SK_EERKSK_lbbbEUlllE0_EEPmJS9_EEE10hipError_tPvRmT3_T4_T5_T6_T7_T9_mT8_P12ihipStream_tbDpT10_ENKUlT_T0_E_clISt17integral_constantIbLb0EES19_IbLb1EEEEDaS15_S16_EUlS15_E_NS1_11comp_targetILNS1_3genE4ELNS1_11target_archE910ELNS1_3gpuE8ELNS1_3repE0EEENS1_30default_config_static_selectorELNS0_4arch9wavefront6targetE1EEEvT1_: ; @_ZN7rocprim17ROCPRIM_400000_NS6detail17trampoline_kernelINS0_14default_configENS1_25partition_config_selectorILNS1_17partition_subalgoE9EllbEEZZNS1_14partition_implILS5_9ELb0ES3_jPlS8_PNS0_10empty_typeENS0_5tupleIJS8_S9_EEENSB_IJS8_SA_EEENS0_18inequality_wrapperIZN2at6native12_GLOBAL__N_124unique_dim_cuda_templateIjEESt5tupleIJNSF_6TensorESK_SK_EERKSK_lbbbEUlllE0_EEPmJS9_EEE10hipError_tPvRmT3_T4_T5_T6_T7_T9_mT8_P12ihipStream_tbDpT10_ENKUlT_T0_E_clISt17integral_constantIbLb0EES19_IbLb1EEEEDaS15_S16_EUlS15_E_NS1_11comp_targetILNS1_3genE4ELNS1_11target_archE910ELNS1_3gpuE8ELNS1_3repE0EEENS1_30default_config_static_selectorELNS0_4arch9wavefront6targetE1EEEvT1_
; %bb.0:
	.section	.rodata,"a",@progbits
	.p2align	6, 0x0
	.amdhsa_kernel _ZN7rocprim17ROCPRIM_400000_NS6detail17trampoline_kernelINS0_14default_configENS1_25partition_config_selectorILNS1_17partition_subalgoE9EllbEEZZNS1_14partition_implILS5_9ELb0ES3_jPlS8_PNS0_10empty_typeENS0_5tupleIJS8_S9_EEENSB_IJS8_SA_EEENS0_18inequality_wrapperIZN2at6native12_GLOBAL__N_124unique_dim_cuda_templateIjEESt5tupleIJNSF_6TensorESK_SK_EERKSK_lbbbEUlllE0_EEPmJS9_EEE10hipError_tPvRmT3_T4_T5_T6_T7_T9_mT8_P12ihipStream_tbDpT10_ENKUlT_T0_E_clISt17integral_constantIbLb0EES19_IbLb1EEEEDaS15_S16_EUlS15_E_NS1_11comp_targetILNS1_3genE4ELNS1_11target_archE910ELNS1_3gpuE8ELNS1_3repE0EEENS1_30default_config_static_selectorELNS0_4arch9wavefront6targetE1EEEvT1_
		.amdhsa_group_segment_fixed_size 0
		.amdhsa_private_segment_fixed_size 0
		.amdhsa_kernarg_size 136
		.amdhsa_user_sgpr_count 2
		.amdhsa_user_sgpr_dispatch_ptr 0
		.amdhsa_user_sgpr_queue_ptr 0
		.amdhsa_user_sgpr_kernarg_segment_ptr 1
		.amdhsa_user_sgpr_dispatch_id 0
		.amdhsa_user_sgpr_kernarg_preload_length 0
		.amdhsa_user_sgpr_kernarg_preload_offset 0
		.amdhsa_user_sgpr_private_segment_size 0
		.amdhsa_uses_dynamic_stack 0
		.amdhsa_enable_private_segment 0
		.amdhsa_system_sgpr_workgroup_id_x 1
		.amdhsa_system_sgpr_workgroup_id_y 0
		.amdhsa_system_sgpr_workgroup_id_z 0
		.amdhsa_system_sgpr_workgroup_info 0
		.amdhsa_system_vgpr_workitem_id 0
		.amdhsa_next_free_vgpr 1
		.amdhsa_next_free_sgpr 0
		.amdhsa_accum_offset 4
		.amdhsa_reserve_vcc 0
		.amdhsa_float_round_mode_32 0
		.amdhsa_float_round_mode_16_64 0
		.amdhsa_float_denorm_mode_32 3
		.amdhsa_float_denorm_mode_16_64 3
		.amdhsa_dx10_clamp 1
		.amdhsa_ieee_mode 1
		.amdhsa_fp16_overflow 0
		.amdhsa_tg_split 0
		.amdhsa_exception_fp_ieee_invalid_op 0
		.amdhsa_exception_fp_denorm_src 0
		.amdhsa_exception_fp_ieee_div_zero 0
		.amdhsa_exception_fp_ieee_overflow 0
		.amdhsa_exception_fp_ieee_underflow 0
		.amdhsa_exception_fp_ieee_inexact 0
		.amdhsa_exception_int_div_zero 0
	.end_amdhsa_kernel
	.section	.text._ZN7rocprim17ROCPRIM_400000_NS6detail17trampoline_kernelINS0_14default_configENS1_25partition_config_selectorILNS1_17partition_subalgoE9EllbEEZZNS1_14partition_implILS5_9ELb0ES3_jPlS8_PNS0_10empty_typeENS0_5tupleIJS8_S9_EEENSB_IJS8_SA_EEENS0_18inequality_wrapperIZN2at6native12_GLOBAL__N_124unique_dim_cuda_templateIjEESt5tupleIJNSF_6TensorESK_SK_EERKSK_lbbbEUlllE0_EEPmJS9_EEE10hipError_tPvRmT3_T4_T5_T6_T7_T9_mT8_P12ihipStream_tbDpT10_ENKUlT_T0_E_clISt17integral_constantIbLb0EES19_IbLb1EEEEDaS15_S16_EUlS15_E_NS1_11comp_targetILNS1_3genE4ELNS1_11target_archE910ELNS1_3gpuE8ELNS1_3repE0EEENS1_30default_config_static_selectorELNS0_4arch9wavefront6targetE1EEEvT1_,"axG",@progbits,_ZN7rocprim17ROCPRIM_400000_NS6detail17trampoline_kernelINS0_14default_configENS1_25partition_config_selectorILNS1_17partition_subalgoE9EllbEEZZNS1_14partition_implILS5_9ELb0ES3_jPlS8_PNS0_10empty_typeENS0_5tupleIJS8_S9_EEENSB_IJS8_SA_EEENS0_18inequality_wrapperIZN2at6native12_GLOBAL__N_124unique_dim_cuda_templateIjEESt5tupleIJNSF_6TensorESK_SK_EERKSK_lbbbEUlllE0_EEPmJS9_EEE10hipError_tPvRmT3_T4_T5_T6_T7_T9_mT8_P12ihipStream_tbDpT10_ENKUlT_T0_E_clISt17integral_constantIbLb0EES19_IbLb1EEEEDaS15_S16_EUlS15_E_NS1_11comp_targetILNS1_3genE4ELNS1_11target_archE910ELNS1_3gpuE8ELNS1_3repE0EEENS1_30default_config_static_selectorELNS0_4arch9wavefront6targetE1EEEvT1_,comdat
.Lfunc_end1609:
	.size	_ZN7rocprim17ROCPRIM_400000_NS6detail17trampoline_kernelINS0_14default_configENS1_25partition_config_selectorILNS1_17partition_subalgoE9EllbEEZZNS1_14partition_implILS5_9ELb0ES3_jPlS8_PNS0_10empty_typeENS0_5tupleIJS8_S9_EEENSB_IJS8_SA_EEENS0_18inequality_wrapperIZN2at6native12_GLOBAL__N_124unique_dim_cuda_templateIjEESt5tupleIJNSF_6TensorESK_SK_EERKSK_lbbbEUlllE0_EEPmJS9_EEE10hipError_tPvRmT3_T4_T5_T6_T7_T9_mT8_P12ihipStream_tbDpT10_ENKUlT_T0_E_clISt17integral_constantIbLb0EES19_IbLb1EEEEDaS15_S16_EUlS15_E_NS1_11comp_targetILNS1_3genE4ELNS1_11target_archE910ELNS1_3gpuE8ELNS1_3repE0EEENS1_30default_config_static_selectorELNS0_4arch9wavefront6targetE1EEEvT1_, .Lfunc_end1609-_ZN7rocprim17ROCPRIM_400000_NS6detail17trampoline_kernelINS0_14default_configENS1_25partition_config_selectorILNS1_17partition_subalgoE9EllbEEZZNS1_14partition_implILS5_9ELb0ES3_jPlS8_PNS0_10empty_typeENS0_5tupleIJS8_S9_EEENSB_IJS8_SA_EEENS0_18inequality_wrapperIZN2at6native12_GLOBAL__N_124unique_dim_cuda_templateIjEESt5tupleIJNSF_6TensorESK_SK_EERKSK_lbbbEUlllE0_EEPmJS9_EEE10hipError_tPvRmT3_T4_T5_T6_T7_T9_mT8_P12ihipStream_tbDpT10_ENKUlT_T0_E_clISt17integral_constantIbLb0EES19_IbLb1EEEEDaS15_S16_EUlS15_E_NS1_11comp_targetILNS1_3genE4ELNS1_11target_archE910ELNS1_3gpuE8ELNS1_3repE0EEENS1_30default_config_static_selectorELNS0_4arch9wavefront6targetE1EEEvT1_
                                        ; -- End function
	.section	.AMDGPU.csdata,"",@progbits
; Kernel info:
; codeLenInByte = 0
; NumSgprs: 6
; NumVgprs: 0
; NumAgprs: 0
; TotalNumVgprs: 0
; ScratchSize: 0
; MemoryBound: 0
; FloatMode: 240
; IeeeMode: 1
; LDSByteSize: 0 bytes/workgroup (compile time only)
; SGPRBlocks: 0
; VGPRBlocks: 0
; NumSGPRsForWavesPerEU: 6
; NumVGPRsForWavesPerEU: 1
; AccumOffset: 4
; Occupancy: 8
; WaveLimiterHint : 0
; COMPUTE_PGM_RSRC2:SCRATCH_EN: 0
; COMPUTE_PGM_RSRC2:USER_SGPR: 2
; COMPUTE_PGM_RSRC2:TRAP_HANDLER: 0
; COMPUTE_PGM_RSRC2:TGID_X_EN: 1
; COMPUTE_PGM_RSRC2:TGID_Y_EN: 0
; COMPUTE_PGM_RSRC2:TGID_Z_EN: 0
; COMPUTE_PGM_RSRC2:TIDIG_COMP_CNT: 0
; COMPUTE_PGM_RSRC3_GFX90A:ACCUM_OFFSET: 0
; COMPUTE_PGM_RSRC3_GFX90A:TG_SPLIT: 0
	.section	.text._ZN7rocprim17ROCPRIM_400000_NS6detail17trampoline_kernelINS0_14default_configENS1_25partition_config_selectorILNS1_17partition_subalgoE9EllbEEZZNS1_14partition_implILS5_9ELb0ES3_jPlS8_PNS0_10empty_typeENS0_5tupleIJS8_S9_EEENSB_IJS8_SA_EEENS0_18inequality_wrapperIZN2at6native12_GLOBAL__N_124unique_dim_cuda_templateIjEESt5tupleIJNSF_6TensorESK_SK_EERKSK_lbbbEUlllE0_EEPmJS9_EEE10hipError_tPvRmT3_T4_T5_T6_T7_T9_mT8_P12ihipStream_tbDpT10_ENKUlT_T0_E_clISt17integral_constantIbLb0EES19_IbLb1EEEEDaS15_S16_EUlS15_E_NS1_11comp_targetILNS1_3genE3ELNS1_11target_archE908ELNS1_3gpuE7ELNS1_3repE0EEENS1_30default_config_static_selectorELNS0_4arch9wavefront6targetE1EEEvT1_,"axG",@progbits,_ZN7rocprim17ROCPRIM_400000_NS6detail17trampoline_kernelINS0_14default_configENS1_25partition_config_selectorILNS1_17partition_subalgoE9EllbEEZZNS1_14partition_implILS5_9ELb0ES3_jPlS8_PNS0_10empty_typeENS0_5tupleIJS8_S9_EEENSB_IJS8_SA_EEENS0_18inequality_wrapperIZN2at6native12_GLOBAL__N_124unique_dim_cuda_templateIjEESt5tupleIJNSF_6TensorESK_SK_EERKSK_lbbbEUlllE0_EEPmJS9_EEE10hipError_tPvRmT3_T4_T5_T6_T7_T9_mT8_P12ihipStream_tbDpT10_ENKUlT_T0_E_clISt17integral_constantIbLb0EES19_IbLb1EEEEDaS15_S16_EUlS15_E_NS1_11comp_targetILNS1_3genE3ELNS1_11target_archE908ELNS1_3gpuE7ELNS1_3repE0EEENS1_30default_config_static_selectorELNS0_4arch9wavefront6targetE1EEEvT1_,comdat
	.globl	_ZN7rocprim17ROCPRIM_400000_NS6detail17trampoline_kernelINS0_14default_configENS1_25partition_config_selectorILNS1_17partition_subalgoE9EllbEEZZNS1_14partition_implILS5_9ELb0ES3_jPlS8_PNS0_10empty_typeENS0_5tupleIJS8_S9_EEENSB_IJS8_SA_EEENS0_18inequality_wrapperIZN2at6native12_GLOBAL__N_124unique_dim_cuda_templateIjEESt5tupleIJNSF_6TensorESK_SK_EERKSK_lbbbEUlllE0_EEPmJS9_EEE10hipError_tPvRmT3_T4_T5_T6_T7_T9_mT8_P12ihipStream_tbDpT10_ENKUlT_T0_E_clISt17integral_constantIbLb0EES19_IbLb1EEEEDaS15_S16_EUlS15_E_NS1_11comp_targetILNS1_3genE3ELNS1_11target_archE908ELNS1_3gpuE7ELNS1_3repE0EEENS1_30default_config_static_selectorELNS0_4arch9wavefront6targetE1EEEvT1_ ; -- Begin function _ZN7rocprim17ROCPRIM_400000_NS6detail17trampoline_kernelINS0_14default_configENS1_25partition_config_selectorILNS1_17partition_subalgoE9EllbEEZZNS1_14partition_implILS5_9ELb0ES3_jPlS8_PNS0_10empty_typeENS0_5tupleIJS8_S9_EEENSB_IJS8_SA_EEENS0_18inequality_wrapperIZN2at6native12_GLOBAL__N_124unique_dim_cuda_templateIjEESt5tupleIJNSF_6TensorESK_SK_EERKSK_lbbbEUlllE0_EEPmJS9_EEE10hipError_tPvRmT3_T4_T5_T6_T7_T9_mT8_P12ihipStream_tbDpT10_ENKUlT_T0_E_clISt17integral_constantIbLb0EES19_IbLb1EEEEDaS15_S16_EUlS15_E_NS1_11comp_targetILNS1_3genE3ELNS1_11target_archE908ELNS1_3gpuE7ELNS1_3repE0EEENS1_30default_config_static_selectorELNS0_4arch9wavefront6targetE1EEEvT1_
	.p2align	8
	.type	_ZN7rocprim17ROCPRIM_400000_NS6detail17trampoline_kernelINS0_14default_configENS1_25partition_config_selectorILNS1_17partition_subalgoE9EllbEEZZNS1_14partition_implILS5_9ELb0ES3_jPlS8_PNS0_10empty_typeENS0_5tupleIJS8_S9_EEENSB_IJS8_SA_EEENS0_18inequality_wrapperIZN2at6native12_GLOBAL__N_124unique_dim_cuda_templateIjEESt5tupleIJNSF_6TensorESK_SK_EERKSK_lbbbEUlllE0_EEPmJS9_EEE10hipError_tPvRmT3_T4_T5_T6_T7_T9_mT8_P12ihipStream_tbDpT10_ENKUlT_T0_E_clISt17integral_constantIbLb0EES19_IbLb1EEEEDaS15_S16_EUlS15_E_NS1_11comp_targetILNS1_3genE3ELNS1_11target_archE908ELNS1_3gpuE7ELNS1_3repE0EEENS1_30default_config_static_selectorELNS0_4arch9wavefront6targetE1EEEvT1_,@function
_ZN7rocprim17ROCPRIM_400000_NS6detail17trampoline_kernelINS0_14default_configENS1_25partition_config_selectorILNS1_17partition_subalgoE9EllbEEZZNS1_14partition_implILS5_9ELb0ES3_jPlS8_PNS0_10empty_typeENS0_5tupleIJS8_S9_EEENSB_IJS8_SA_EEENS0_18inequality_wrapperIZN2at6native12_GLOBAL__N_124unique_dim_cuda_templateIjEESt5tupleIJNSF_6TensorESK_SK_EERKSK_lbbbEUlllE0_EEPmJS9_EEE10hipError_tPvRmT3_T4_T5_T6_T7_T9_mT8_P12ihipStream_tbDpT10_ENKUlT_T0_E_clISt17integral_constantIbLb0EES19_IbLb1EEEEDaS15_S16_EUlS15_E_NS1_11comp_targetILNS1_3genE3ELNS1_11target_archE908ELNS1_3gpuE7ELNS1_3repE0EEENS1_30default_config_static_selectorELNS0_4arch9wavefront6targetE1EEEvT1_: ; @_ZN7rocprim17ROCPRIM_400000_NS6detail17trampoline_kernelINS0_14default_configENS1_25partition_config_selectorILNS1_17partition_subalgoE9EllbEEZZNS1_14partition_implILS5_9ELb0ES3_jPlS8_PNS0_10empty_typeENS0_5tupleIJS8_S9_EEENSB_IJS8_SA_EEENS0_18inequality_wrapperIZN2at6native12_GLOBAL__N_124unique_dim_cuda_templateIjEESt5tupleIJNSF_6TensorESK_SK_EERKSK_lbbbEUlllE0_EEPmJS9_EEE10hipError_tPvRmT3_T4_T5_T6_T7_T9_mT8_P12ihipStream_tbDpT10_ENKUlT_T0_E_clISt17integral_constantIbLb0EES19_IbLb1EEEEDaS15_S16_EUlS15_E_NS1_11comp_targetILNS1_3genE3ELNS1_11target_archE908ELNS1_3gpuE7ELNS1_3repE0EEENS1_30default_config_static_selectorELNS0_4arch9wavefront6targetE1EEEvT1_
; %bb.0:
	.section	.rodata,"a",@progbits
	.p2align	6, 0x0
	.amdhsa_kernel _ZN7rocprim17ROCPRIM_400000_NS6detail17trampoline_kernelINS0_14default_configENS1_25partition_config_selectorILNS1_17partition_subalgoE9EllbEEZZNS1_14partition_implILS5_9ELb0ES3_jPlS8_PNS0_10empty_typeENS0_5tupleIJS8_S9_EEENSB_IJS8_SA_EEENS0_18inequality_wrapperIZN2at6native12_GLOBAL__N_124unique_dim_cuda_templateIjEESt5tupleIJNSF_6TensorESK_SK_EERKSK_lbbbEUlllE0_EEPmJS9_EEE10hipError_tPvRmT3_T4_T5_T6_T7_T9_mT8_P12ihipStream_tbDpT10_ENKUlT_T0_E_clISt17integral_constantIbLb0EES19_IbLb1EEEEDaS15_S16_EUlS15_E_NS1_11comp_targetILNS1_3genE3ELNS1_11target_archE908ELNS1_3gpuE7ELNS1_3repE0EEENS1_30default_config_static_selectorELNS0_4arch9wavefront6targetE1EEEvT1_
		.amdhsa_group_segment_fixed_size 0
		.amdhsa_private_segment_fixed_size 0
		.amdhsa_kernarg_size 136
		.amdhsa_user_sgpr_count 2
		.amdhsa_user_sgpr_dispatch_ptr 0
		.amdhsa_user_sgpr_queue_ptr 0
		.amdhsa_user_sgpr_kernarg_segment_ptr 1
		.amdhsa_user_sgpr_dispatch_id 0
		.amdhsa_user_sgpr_kernarg_preload_length 0
		.amdhsa_user_sgpr_kernarg_preload_offset 0
		.amdhsa_user_sgpr_private_segment_size 0
		.amdhsa_uses_dynamic_stack 0
		.amdhsa_enable_private_segment 0
		.amdhsa_system_sgpr_workgroup_id_x 1
		.amdhsa_system_sgpr_workgroup_id_y 0
		.amdhsa_system_sgpr_workgroup_id_z 0
		.amdhsa_system_sgpr_workgroup_info 0
		.amdhsa_system_vgpr_workitem_id 0
		.amdhsa_next_free_vgpr 1
		.amdhsa_next_free_sgpr 0
		.amdhsa_accum_offset 4
		.amdhsa_reserve_vcc 0
		.amdhsa_float_round_mode_32 0
		.amdhsa_float_round_mode_16_64 0
		.amdhsa_float_denorm_mode_32 3
		.amdhsa_float_denorm_mode_16_64 3
		.amdhsa_dx10_clamp 1
		.amdhsa_ieee_mode 1
		.amdhsa_fp16_overflow 0
		.amdhsa_tg_split 0
		.amdhsa_exception_fp_ieee_invalid_op 0
		.amdhsa_exception_fp_denorm_src 0
		.amdhsa_exception_fp_ieee_div_zero 0
		.amdhsa_exception_fp_ieee_overflow 0
		.amdhsa_exception_fp_ieee_underflow 0
		.amdhsa_exception_fp_ieee_inexact 0
		.amdhsa_exception_int_div_zero 0
	.end_amdhsa_kernel
	.section	.text._ZN7rocprim17ROCPRIM_400000_NS6detail17trampoline_kernelINS0_14default_configENS1_25partition_config_selectorILNS1_17partition_subalgoE9EllbEEZZNS1_14partition_implILS5_9ELb0ES3_jPlS8_PNS0_10empty_typeENS0_5tupleIJS8_S9_EEENSB_IJS8_SA_EEENS0_18inequality_wrapperIZN2at6native12_GLOBAL__N_124unique_dim_cuda_templateIjEESt5tupleIJNSF_6TensorESK_SK_EERKSK_lbbbEUlllE0_EEPmJS9_EEE10hipError_tPvRmT3_T4_T5_T6_T7_T9_mT8_P12ihipStream_tbDpT10_ENKUlT_T0_E_clISt17integral_constantIbLb0EES19_IbLb1EEEEDaS15_S16_EUlS15_E_NS1_11comp_targetILNS1_3genE3ELNS1_11target_archE908ELNS1_3gpuE7ELNS1_3repE0EEENS1_30default_config_static_selectorELNS0_4arch9wavefront6targetE1EEEvT1_,"axG",@progbits,_ZN7rocprim17ROCPRIM_400000_NS6detail17trampoline_kernelINS0_14default_configENS1_25partition_config_selectorILNS1_17partition_subalgoE9EllbEEZZNS1_14partition_implILS5_9ELb0ES3_jPlS8_PNS0_10empty_typeENS0_5tupleIJS8_S9_EEENSB_IJS8_SA_EEENS0_18inequality_wrapperIZN2at6native12_GLOBAL__N_124unique_dim_cuda_templateIjEESt5tupleIJNSF_6TensorESK_SK_EERKSK_lbbbEUlllE0_EEPmJS9_EEE10hipError_tPvRmT3_T4_T5_T6_T7_T9_mT8_P12ihipStream_tbDpT10_ENKUlT_T0_E_clISt17integral_constantIbLb0EES19_IbLb1EEEEDaS15_S16_EUlS15_E_NS1_11comp_targetILNS1_3genE3ELNS1_11target_archE908ELNS1_3gpuE7ELNS1_3repE0EEENS1_30default_config_static_selectorELNS0_4arch9wavefront6targetE1EEEvT1_,comdat
.Lfunc_end1610:
	.size	_ZN7rocprim17ROCPRIM_400000_NS6detail17trampoline_kernelINS0_14default_configENS1_25partition_config_selectorILNS1_17partition_subalgoE9EllbEEZZNS1_14partition_implILS5_9ELb0ES3_jPlS8_PNS0_10empty_typeENS0_5tupleIJS8_S9_EEENSB_IJS8_SA_EEENS0_18inequality_wrapperIZN2at6native12_GLOBAL__N_124unique_dim_cuda_templateIjEESt5tupleIJNSF_6TensorESK_SK_EERKSK_lbbbEUlllE0_EEPmJS9_EEE10hipError_tPvRmT3_T4_T5_T6_T7_T9_mT8_P12ihipStream_tbDpT10_ENKUlT_T0_E_clISt17integral_constantIbLb0EES19_IbLb1EEEEDaS15_S16_EUlS15_E_NS1_11comp_targetILNS1_3genE3ELNS1_11target_archE908ELNS1_3gpuE7ELNS1_3repE0EEENS1_30default_config_static_selectorELNS0_4arch9wavefront6targetE1EEEvT1_, .Lfunc_end1610-_ZN7rocprim17ROCPRIM_400000_NS6detail17trampoline_kernelINS0_14default_configENS1_25partition_config_selectorILNS1_17partition_subalgoE9EllbEEZZNS1_14partition_implILS5_9ELb0ES3_jPlS8_PNS0_10empty_typeENS0_5tupleIJS8_S9_EEENSB_IJS8_SA_EEENS0_18inequality_wrapperIZN2at6native12_GLOBAL__N_124unique_dim_cuda_templateIjEESt5tupleIJNSF_6TensorESK_SK_EERKSK_lbbbEUlllE0_EEPmJS9_EEE10hipError_tPvRmT3_T4_T5_T6_T7_T9_mT8_P12ihipStream_tbDpT10_ENKUlT_T0_E_clISt17integral_constantIbLb0EES19_IbLb1EEEEDaS15_S16_EUlS15_E_NS1_11comp_targetILNS1_3genE3ELNS1_11target_archE908ELNS1_3gpuE7ELNS1_3repE0EEENS1_30default_config_static_selectorELNS0_4arch9wavefront6targetE1EEEvT1_
                                        ; -- End function
	.section	.AMDGPU.csdata,"",@progbits
; Kernel info:
; codeLenInByte = 0
; NumSgprs: 6
; NumVgprs: 0
; NumAgprs: 0
; TotalNumVgprs: 0
; ScratchSize: 0
; MemoryBound: 0
; FloatMode: 240
; IeeeMode: 1
; LDSByteSize: 0 bytes/workgroup (compile time only)
; SGPRBlocks: 0
; VGPRBlocks: 0
; NumSGPRsForWavesPerEU: 6
; NumVGPRsForWavesPerEU: 1
; AccumOffset: 4
; Occupancy: 8
; WaveLimiterHint : 0
; COMPUTE_PGM_RSRC2:SCRATCH_EN: 0
; COMPUTE_PGM_RSRC2:USER_SGPR: 2
; COMPUTE_PGM_RSRC2:TRAP_HANDLER: 0
; COMPUTE_PGM_RSRC2:TGID_X_EN: 1
; COMPUTE_PGM_RSRC2:TGID_Y_EN: 0
; COMPUTE_PGM_RSRC2:TGID_Z_EN: 0
; COMPUTE_PGM_RSRC2:TIDIG_COMP_CNT: 0
; COMPUTE_PGM_RSRC3_GFX90A:ACCUM_OFFSET: 0
; COMPUTE_PGM_RSRC3_GFX90A:TG_SPLIT: 0
	.section	.text._ZN7rocprim17ROCPRIM_400000_NS6detail17trampoline_kernelINS0_14default_configENS1_25partition_config_selectorILNS1_17partition_subalgoE9EllbEEZZNS1_14partition_implILS5_9ELb0ES3_jPlS8_PNS0_10empty_typeENS0_5tupleIJS8_S9_EEENSB_IJS8_SA_EEENS0_18inequality_wrapperIZN2at6native12_GLOBAL__N_124unique_dim_cuda_templateIjEESt5tupleIJNSF_6TensorESK_SK_EERKSK_lbbbEUlllE0_EEPmJS9_EEE10hipError_tPvRmT3_T4_T5_T6_T7_T9_mT8_P12ihipStream_tbDpT10_ENKUlT_T0_E_clISt17integral_constantIbLb0EES19_IbLb1EEEEDaS15_S16_EUlS15_E_NS1_11comp_targetILNS1_3genE2ELNS1_11target_archE906ELNS1_3gpuE6ELNS1_3repE0EEENS1_30default_config_static_selectorELNS0_4arch9wavefront6targetE1EEEvT1_,"axG",@progbits,_ZN7rocprim17ROCPRIM_400000_NS6detail17trampoline_kernelINS0_14default_configENS1_25partition_config_selectorILNS1_17partition_subalgoE9EllbEEZZNS1_14partition_implILS5_9ELb0ES3_jPlS8_PNS0_10empty_typeENS0_5tupleIJS8_S9_EEENSB_IJS8_SA_EEENS0_18inequality_wrapperIZN2at6native12_GLOBAL__N_124unique_dim_cuda_templateIjEESt5tupleIJNSF_6TensorESK_SK_EERKSK_lbbbEUlllE0_EEPmJS9_EEE10hipError_tPvRmT3_T4_T5_T6_T7_T9_mT8_P12ihipStream_tbDpT10_ENKUlT_T0_E_clISt17integral_constantIbLb0EES19_IbLb1EEEEDaS15_S16_EUlS15_E_NS1_11comp_targetILNS1_3genE2ELNS1_11target_archE906ELNS1_3gpuE6ELNS1_3repE0EEENS1_30default_config_static_selectorELNS0_4arch9wavefront6targetE1EEEvT1_,comdat
	.globl	_ZN7rocprim17ROCPRIM_400000_NS6detail17trampoline_kernelINS0_14default_configENS1_25partition_config_selectorILNS1_17partition_subalgoE9EllbEEZZNS1_14partition_implILS5_9ELb0ES3_jPlS8_PNS0_10empty_typeENS0_5tupleIJS8_S9_EEENSB_IJS8_SA_EEENS0_18inequality_wrapperIZN2at6native12_GLOBAL__N_124unique_dim_cuda_templateIjEESt5tupleIJNSF_6TensorESK_SK_EERKSK_lbbbEUlllE0_EEPmJS9_EEE10hipError_tPvRmT3_T4_T5_T6_T7_T9_mT8_P12ihipStream_tbDpT10_ENKUlT_T0_E_clISt17integral_constantIbLb0EES19_IbLb1EEEEDaS15_S16_EUlS15_E_NS1_11comp_targetILNS1_3genE2ELNS1_11target_archE906ELNS1_3gpuE6ELNS1_3repE0EEENS1_30default_config_static_selectorELNS0_4arch9wavefront6targetE1EEEvT1_ ; -- Begin function _ZN7rocprim17ROCPRIM_400000_NS6detail17trampoline_kernelINS0_14default_configENS1_25partition_config_selectorILNS1_17partition_subalgoE9EllbEEZZNS1_14partition_implILS5_9ELb0ES3_jPlS8_PNS0_10empty_typeENS0_5tupleIJS8_S9_EEENSB_IJS8_SA_EEENS0_18inequality_wrapperIZN2at6native12_GLOBAL__N_124unique_dim_cuda_templateIjEESt5tupleIJNSF_6TensorESK_SK_EERKSK_lbbbEUlllE0_EEPmJS9_EEE10hipError_tPvRmT3_T4_T5_T6_T7_T9_mT8_P12ihipStream_tbDpT10_ENKUlT_T0_E_clISt17integral_constantIbLb0EES19_IbLb1EEEEDaS15_S16_EUlS15_E_NS1_11comp_targetILNS1_3genE2ELNS1_11target_archE906ELNS1_3gpuE6ELNS1_3repE0EEENS1_30default_config_static_selectorELNS0_4arch9wavefront6targetE1EEEvT1_
	.p2align	8
	.type	_ZN7rocprim17ROCPRIM_400000_NS6detail17trampoline_kernelINS0_14default_configENS1_25partition_config_selectorILNS1_17partition_subalgoE9EllbEEZZNS1_14partition_implILS5_9ELb0ES3_jPlS8_PNS0_10empty_typeENS0_5tupleIJS8_S9_EEENSB_IJS8_SA_EEENS0_18inequality_wrapperIZN2at6native12_GLOBAL__N_124unique_dim_cuda_templateIjEESt5tupleIJNSF_6TensorESK_SK_EERKSK_lbbbEUlllE0_EEPmJS9_EEE10hipError_tPvRmT3_T4_T5_T6_T7_T9_mT8_P12ihipStream_tbDpT10_ENKUlT_T0_E_clISt17integral_constantIbLb0EES19_IbLb1EEEEDaS15_S16_EUlS15_E_NS1_11comp_targetILNS1_3genE2ELNS1_11target_archE906ELNS1_3gpuE6ELNS1_3repE0EEENS1_30default_config_static_selectorELNS0_4arch9wavefront6targetE1EEEvT1_,@function
_ZN7rocprim17ROCPRIM_400000_NS6detail17trampoline_kernelINS0_14default_configENS1_25partition_config_selectorILNS1_17partition_subalgoE9EllbEEZZNS1_14partition_implILS5_9ELb0ES3_jPlS8_PNS0_10empty_typeENS0_5tupleIJS8_S9_EEENSB_IJS8_SA_EEENS0_18inequality_wrapperIZN2at6native12_GLOBAL__N_124unique_dim_cuda_templateIjEESt5tupleIJNSF_6TensorESK_SK_EERKSK_lbbbEUlllE0_EEPmJS9_EEE10hipError_tPvRmT3_T4_T5_T6_T7_T9_mT8_P12ihipStream_tbDpT10_ENKUlT_T0_E_clISt17integral_constantIbLb0EES19_IbLb1EEEEDaS15_S16_EUlS15_E_NS1_11comp_targetILNS1_3genE2ELNS1_11target_archE906ELNS1_3gpuE6ELNS1_3repE0EEENS1_30default_config_static_selectorELNS0_4arch9wavefront6targetE1EEEvT1_: ; @_ZN7rocprim17ROCPRIM_400000_NS6detail17trampoline_kernelINS0_14default_configENS1_25partition_config_selectorILNS1_17partition_subalgoE9EllbEEZZNS1_14partition_implILS5_9ELb0ES3_jPlS8_PNS0_10empty_typeENS0_5tupleIJS8_S9_EEENSB_IJS8_SA_EEENS0_18inequality_wrapperIZN2at6native12_GLOBAL__N_124unique_dim_cuda_templateIjEESt5tupleIJNSF_6TensorESK_SK_EERKSK_lbbbEUlllE0_EEPmJS9_EEE10hipError_tPvRmT3_T4_T5_T6_T7_T9_mT8_P12ihipStream_tbDpT10_ENKUlT_T0_E_clISt17integral_constantIbLb0EES19_IbLb1EEEEDaS15_S16_EUlS15_E_NS1_11comp_targetILNS1_3genE2ELNS1_11target_archE906ELNS1_3gpuE6ELNS1_3repE0EEENS1_30default_config_static_selectorELNS0_4arch9wavefront6targetE1EEEvT1_
; %bb.0:
	.section	.rodata,"a",@progbits
	.p2align	6, 0x0
	.amdhsa_kernel _ZN7rocprim17ROCPRIM_400000_NS6detail17trampoline_kernelINS0_14default_configENS1_25partition_config_selectorILNS1_17partition_subalgoE9EllbEEZZNS1_14partition_implILS5_9ELb0ES3_jPlS8_PNS0_10empty_typeENS0_5tupleIJS8_S9_EEENSB_IJS8_SA_EEENS0_18inequality_wrapperIZN2at6native12_GLOBAL__N_124unique_dim_cuda_templateIjEESt5tupleIJNSF_6TensorESK_SK_EERKSK_lbbbEUlllE0_EEPmJS9_EEE10hipError_tPvRmT3_T4_T5_T6_T7_T9_mT8_P12ihipStream_tbDpT10_ENKUlT_T0_E_clISt17integral_constantIbLb0EES19_IbLb1EEEEDaS15_S16_EUlS15_E_NS1_11comp_targetILNS1_3genE2ELNS1_11target_archE906ELNS1_3gpuE6ELNS1_3repE0EEENS1_30default_config_static_selectorELNS0_4arch9wavefront6targetE1EEEvT1_
		.amdhsa_group_segment_fixed_size 0
		.amdhsa_private_segment_fixed_size 0
		.amdhsa_kernarg_size 136
		.amdhsa_user_sgpr_count 2
		.amdhsa_user_sgpr_dispatch_ptr 0
		.amdhsa_user_sgpr_queue_ptr 0
		.amdhsa_user_sgpr_kernarg_segment_ptr 1
		.amdhsa_user_sgpr_dispatch_id 0
		.amdhsa_user_sgpr_kernarg_preload_length 0
		.amdhsa_user_sgpr_kernarg_preload_offset 0
		.amdhsa_user_sgpr_private_segment_size 0
		.amdhsa_uses_dynamic_stack 0
		.amdhsa_enable_private_segment 0
		.amdhsa_system_sgpr_workgroup_id_x 1
		.amdhsa_system_sgpr_workgroup_id_y 0
		.amdhsa_system_sgpr_workgroup_id_z 0
		.amdhsa_system_sgpr_workgroup_info 0
		.amdhsa_system_vgpr_workitem_id 0
		.amdhsa_next_free_vgpr 1
		.amdhsa_next_free_sgpr 0
		.amdhsa_accum_offset 4
		.amdhsa_reserve_vcc 0
		.amdhsa_float_round_mode_32 0
		.amdhsa_float_round_mode_16_64 0
		.amdhsa_float_denorm_mode_32 3
		.amdhsa_float_denorm_mode_16_64 3
		.amdhsa_dx10_clamp 1
		.amdhsa_ieee_mode 1
		.amdhsa_fp16_overflow 0
		.amdhsa_tg_split 0
		.amdhsa_exception_fp_ieee_invalid_op 0
		.amdhsa_exception_fp_denorm_src 0
		.amdhsa_exception_fp_ieee_div_zero 0
		.amdhsa_exception_fp_ieee_overflow 0
		.amdhsa_exception_fp_ieee_underflow 0
		.amdhsa_exception_fp_ieee_inexact 0
		.amdhsa_exception_int_div_zero 0
	.end_amdhsa_kernel
	.section	.text._ZN7rocprim17ROCPRIM_400000_NS6detail17trampoline_kernelINS0_14default_configENS1_25partition_config_selectorILNS1_17partition_subalgoE9EllbEEZZNS1_14partition_implILS5_9ELb0ES3_jPlS8_PNS0_10empty_typeENS0_5tupleIJS8_S9_EEENSB_IJS8_SA_EEENS0_18inequality_wrapperIZN2at6native12_GLOBAL__N_124unique_dim_cuda_templateIjEESt5tupleIJNSF_6TensorESK_SK_EERKSK_lbbbEUlllE0_EEPmJS9_EEE10hipError_tPvRmT3_T4_T5_T6_T7_T9_mT8_P12ihipStream_tbDpT10_ENKUlT_T0_E_clISt17integral_constantIbLb0EES19_IbLb1EEEEDaS15_S16_EUlS15_E_NS1_11comp_targetILNS1_3genE2ELNS1_11target_archE906ELNS1_3gpuE6ELNS1_3repE0EEENS1_30default_config_static_selectorELNS0_4arch9wavefront6targetE1EEEvT1_,"axG",@progbits,_ZN7rocprim17ROCPRIM_400000_NS6detail17trampoline_kernelINS0_14default_configENS1_25partition_config_selectorILNS1_17partition_subalgoE9EllbEEZZNS1_14partition_implILS5_9ELb0ES3_jPlS8_PNS0_10empty_typeENS0_5tupleIJS8_S9_EEENSB_IJS8_SA_EEENS0_18inequality_wrapperIZN2at6native12_GLOBAL__N_124unique_dim_cuda_templateIjEESt5tupleIJNSF_6TensorESK_SK_EERKSK_lbbbEUlllE0_EEPmJS9_EEE10hipError_tPvRmT3_T4_T5_T6_T7_T9_mT8_P12ihipStream_tbDpT10_ENKUlT_T0_E_clISt17integral_constantIbLb0EES19_IbLb1EEEEDaS15_S16_EUlS15_E_NS1_11comp_targetILNS1_3genE2ELNS1_11target_archE906ELNS1_3gpuE6ELNS1_3repE0EEENS1_30default_config_static_selectorELNS0_4arch9wavefront6targetE1EEEvT1_,comdat
.Lfunc_end1611:
	.size	_ZN7rocprim17ROCPRIM_400000_NS6detail17trampoline_kernelINS0_14default_configENS1_25partition_config_selectorILNS1_17partition_subalgoE9EllbEEZZNS1_14partition_implILS5_9ELb0ES3_jPlS8_PNS0_10empty_typeENS0_5tupleIJS8_S9_EEENSB_IJS8_SA_EEENS0_18inequality_wrapperIZN2at6native12_GLOBAL__N_124unique_dim_cuda_templateIjEESt5tupleIJNSF_6TensorESK_SK_EERKSK_lbbbEUlllE0_EEPmJS9_EEE10hipError_tPvRmT3_T4_T5_T6_T7_T9_mT8_P12ihipStream_tbDpT10_ENKUlT_T0_E_clISt17integral_constantIbLb0EES19_IbLb1EEEEDaS15_S16_EUlS15_E_NS1_11comp_targetILNS1_3genE2ELNS1_11target_archE906ELNS1_3gpuE6ELNS1_3repE0EEENS1_30default_config_static_selectorELNS0_4arch9wavefront6targetE1EEEvT1_, .Lfunc_end1611-_ZN7rocprim17ROCPRIM_400000_NS6detail17trampoline_kernelINS0_14default_configENS1_25partition_config_selectorILNS1_17partition_subalgoE9EllbEEZZNS1_14partition_implILS5_9ELb0ES3_jPlS8_PNS0_10empty_typeENS0_5tupleIJS8_S9_EEENSB_IJS8_SA_EEENS0_18inequality_wrapperIZN2at6native12_GLOBAL__N_124unique_dim_cuda_templateIjEESt5tupleIJNSF_6TensorESK_SK_EERKSK_lbbbEUlllE0_EEPmJS9_EEE10hipError_tPvRmT3_T4_T5_T6_T7_T9_mT8_P12ihipStream_tbDpT10_ENKUlT_T0_E_clISt17integral_constantIbLb0EES19_IbLb1EEEEDaS15_S16_EUlS15_E_NS1_11comp_targetILNS1_3genE2ELNS1_11target_archE906ELNS1_3gpuE6ELNS1_3repE0EEENS1_30default_config_static_selectorELNS0_4arch9wavefront6targetE1EEEvT1_
                                        ; -- End function
	.section	.AMDGPU.csdata,"",@progbits
; Kernel info:
; codeLenInByte = 0
; NumSgprs: 6
; NumVgprs: 0
; NumAgprs: 0
; TotalNumVgprs: 0
; ScratchSize: 0
; MemoryBound: 0
; FloatMode: 240
; IeeeMode: 1
; LDSByteSize: 0 bytes/workgroup (compile time only)
; SGPRBlocks: 0
; VGPRBlocks: 0
; NumSGPRsForWavesPerEU: 6
; NumVGPRsForWavesPerEU: 1
; AccumOffset: 4
; Occupancy: 8
; WaveLimiterHint : 0
; COMPUTE_PGM_RSRC2:SCRATCH_EN: 0
; COMPUTE_PGM_RSRC2:USER_SGPR: 2
; COMPUTE_PGM_RSRC2:TRAP_HANDLER: 0
; COMPUTE_PGM_RSRC2:TGID_X_EN: 1
; COMPUTE_PGM_RSRC2:TGID_Y_EN: 0
; COMPUTE_PGM_RSRC2:TGID_Z_EN: 0
; COMPUTE_PGM_RSRC2:TIDIG_COMP_CNT: 0
; COMPUTE_PGM_RSRC3_GFX90A:ACCUM_OFFSET: 0
; COMPUTE_PGM_RSRC3_GFX90A:TG_SPLIT: 0
	.section	.text._ZN7rocprim17ROCPRIM_400000_NS6detail17trampoline_kernelINS0_14default_configENS1_25partition_config_selectorILNS1_17partition_subalgoE9EllbEEZZNS1_14partition_implILS5_9ELb0ES3_jPlS8_PNS0_10empty_typeENS0_5tupleIJS8_S9_EEENSB_IJS8_SA_EEENS0_18inequality_wrapperIZN2at6native12_GLOBAL__N_124unique_dim_cuda_templateIjEESt5tupleIJNSF_6TensorESK_SK_EERKSK_lbbbEUlllE0_EEPmJS9_EEE10hipError_tPvRmT3_T4_T5_T6_T7_T9_mT8_P12ihipStream_tbDpT10_ENKUlT_T0_E_clISt17integral_constantIbLb0EES19_IbLb1EEEEDaS15_S16_EUlS15_E_NS1_11comp_targetILNS1_3genE10ELNS1_11target_archE1200ELNS1_3gpuE4ELNS1_3repE0EEENS1_30default_config_static_selectorELNS0_4arch9wavefront6targetE1EEEvT1_,"axG",@progbits,_ZN7rocprim17ROCPRIM_400000_NS6detail17trampoline_kernelINS0_14default_configENS1_25partition_config_selectorILNS1_17partition_subalgoE9EllbEEZZNS1_14partition_implILS5_9ELb0ES3_jPlS8_PNS0_10empty_typeENS0_5tupleIJS8_S9_EEENSB_IJS8_SA_EEENS0_18inequality_wrapperIZN2at6native12_GLOBAL__N_124unique_dim_cuda_templateIjEESt5tupleIJNSF_6TensorESK_SK_EERKSK_lbbbEUlllE0_EEPmJS9_EEE10hipError_tPvRmT3_T4_T5_T6_T7_T9_mT8_P12ihipStream_tbDpT10_ENKUlT_T0_E_clISt17integral_constantIbLb0EES19_IbLb1EEEEDaS15_S16_EUlS15_E_NS1_11comp_targetILNS1_3genE10ELNS1_11target_archE1200ELNS1_3gpuE4ELNS1_3repE0EEENS1_30default_config_static_selectorELNS0_4arch9wavefront6targetE1EEEvT1_,comdat
	.globl	_ZN7rocprim17ROCPRIM_400000_NS6detail17trampoline_kernelINS0_14default_configENS1_25partition_config_selectorILNS1_17partition_subalgoE9EllbEEZZNS1_14partition_implILS5_9ELb0ES3_jPlS8_PNS0_10empty_typeENS0_5tupleIJS8_S9_EEENSB_IJS8_SA_EEENS0_18inequality_wrapperIZN2at6native12_GLOBAL__N_124unique_dim_cuda_templateIjEESt5tupleIJNSF_6TensorESK_SK_EERKSK_lbbbEUlllE0_EEPmJS9_EEE10hipError_tPvRmT3_T4_T5_T6_T7_T9_mT8_P12ihipStream_tbDpT10_ENKUlT_T0_E_clISt17integral_constantIbLb0EES19_IbLb1EEEEDaS15_S16_EUlS15_E_NS1_11comp_targetILNS1_3genE10ELNS1_11target_archE1200ELNS1_3gpuE4ELNS1_3repE0EEENS1_30default_config_static_selectorELNS0_4arch9wavefront6targetE1EEEvT1_ ; -- Begin function _ZN7rocprim17ROCPRIM_400000_NS6detail17trampoline_kernelINS0_14default_configENS1_25partition_config_selectorILNS1_17partition_subalgoE9EllbEEZZNS1_14partition_implILS5_9ELb0ES3_jPlS8_PNS0_10empty_typeENS0_5tupleIJS8_S9_EEENSB_IJS8_SA_EEENS0_18inequality_wrapperIZN2at6native12_GLOBAL__N_124unique_dim_cuda_templateIjEESt5tupleIJNSF_6TensorESK_SK_EERKSK_lbbbEUlllE0_EEPmJS9_EEE10hipError_tPvRmT3_T4_T5_T6_T7_T9_mT8_P12ihipStream_tbDpT10_ENKUlT_T0_E_clISt17integral_constantIbLb0EES19_IbLb1EEEEDaS15_S16_EUlS15_E_NS1_11comp_targetILNS1_3genE10ELNS1_11target_archE1200ELNS1_3gpuE4ELNS1_3repE0EEENS1_30default_config_static_selectorELNS0_4arch9wavefront6targetE1EEEvT1_
	.p2align	8
	.type	_ZN7rocprim17ROCPRIM_400000_NS6detail17trampoline_kernelINS0_14default_configENS1_25partition_config_selectorILNS1_17partition_subalgoE9EllbEEZZNS1_14partition_implILS5_9ELb0ES3_jPlS8_PNS0_10empty_typeENS0_5tupleIJS8_S9_EEENSB_IJS8_SA_EEENS0_18inequality_wrapperIZN2at6native12_GLOBAL__N_124unique_dim_cuda_templateIjEESt5tupleIJNSF_6TensorESK_SK_EERKSK_lbbbEUlllE0_EEPmJS9_EEE10hipError_tPvRmT3_T4_T5_T6_T7_T9_mT8_P12ihipStream_tbDpT10_ENKUlT_T0_E_clISt17integral_constantIbLb0EES19_IbLb1EEEEDaS15_S16_EUlS15_E_NS1_11comp_targetILNS1_3genE10ELNS1_11target_archE1200ELNS1_3gpuE4ELNS1_3repE0EEENS1_30default_config_static_selectorELNS0_4arch9wavefront6targetE1EEEvT1_,@function
_ZN7rocprim17ROCPRIM_400000_NS6detail17trampoline_kernelINS0_14default_configENS1_25partition_config_selectorILNS1_17partition_subalgoE9EllbEEZZNS1_14partition_implILS5_9ELb0ES3_jPlS8_PNS0_10empty_typeENS0_5tupleIJS8_S9_EEENSB_IJS8_SA_EEENS0_18inequality_wrapperIZN2at6native12_GLOBAL__N_124unique_dim_cuda_templateIjEESt5tupleIJNSF_6TensorESK_SK_EERKSK_lbbbEUlllE0_EEPmJS9_EEE10hipError_tPvRmT3_T4_T5_T6_T7_T9_mT8_P12ihipStream_tbDpT10_ENKUlT_T0_E_clISt17integral_constantIbLb0EES19_IbLb1EEEEDaS15_S16_EUlS15_E_NS1_11comp_targetILNS1_3genE10ELNS1_11target_archE1200ELNS1_3gpuE4ELNS1_3repE0EEENS1_30default_config_static_selectorELNS0_4arch9wavefront6targetE1EEEvT1_: ; @_ZN7rocprim17ROCPRIM_400000_NS6detail17trampoline_kernelINS0_14default_configENS1_25partition_config_selectorILNS1_17partition_subalgoE9EllbEEZZNS1_14partition_implILS5_9ELb0ES3_jPlS8_PNS0_10empty_typeENS0_5tupleIJS8_S9_EEENSB_IJS8_SA_EEENS0_18inequality_wrapperIZN2at6native12_GLOBAL__N_124unique_dim_cuda_templateIjEESt5tupleIJNSF_6TensorESK_SK_EERKSK_lbbbEUlllE0_EEPmJS9_EEE10hipError_tPvRmT3_T4_T5_T6_T7_T9_mT8_P12ihipStream_tbDpT10_ENKUlT_T0_E_clISt17integral_constantIbLb0EES19_IbLb1EEEEDaS15_S16_EUlS15_E_NS1_11comp_targetILNS1_3genE10ELNS1_11target_archE1200ELNS1_3gpuE4ELNS1_3repE0EEENS1_30default_config_static_selectorELNS0_4arch9wavefront6targetE1EEEvT1_
; %bb.0:
	.section	.rodata,"a",@progbits
	.p2align	6, 0x0
	.amdhsa_kernel _ZN7rocprim17ROCPRIM_400000_NS6detail17trampoline_kernelINS0_14default_configENS1_25partition_config_selectorILNS1_17partition_subalgoE9EllbEEZZNS1_14partition_implILS5_9ELb0ES3_jPlS8_PNS0_10empty_typeENS0_5tupleIJS8_S9_EEENSB_IJS8_SA_EEENS0_18inequality_wrapperIZN2at6native12_GLOBAL__N_124unique_dim_cuda_templateIjEESt5tupleIJNSF_6TensorESK_SK_EERKSK_lbbbEUlllE0_EEPmJS9_EEE10hipError_tPvRmT3_T4_T5_T6_T7_T9_mT8_P12ihipStream_tbDpT10_ENKUlT_T0_E_clISt17integral_constantIbLb0EES19_IbLb1EEEEDaS15_S16_EUlS15_E_NS1_11comp_targetILNS1_3genE10ELNS1_11target_archE1200ELNS1_3gpuE4ELNS1_3repE0EEENS1_30default_config_static_selectorELNS0_4arch9wavefront6targetE1EEEvT1_
		.amdhsa_group_segment_fixed_size 0
		.amdhsa_private_segment_fixed_size 0
		.amdhsa_kernarg_size 136
		.amdhsa_user_sgpr_count 2
		.amdhsa_user_sgpr_dispatch_ptr 0
		.amdhsa_user_sgpr_queue_ptr 0
		.amdhsa_user_sgpr_kernarg_segment_ptr 1
		.amdhsa_user_sgpr_dispatch_id 0
		.amdhsa_user_sgpr_kernarg_preload_length 0
		.amdhsa_user_sgpr_kernarg_preload_offset 0
		.amdhsa_user_sgpr_private_segment_size 0
		.amdhsa_uses_dynamic_stack 0
		.amdhsa_enable_private_segment 0
		.amdhsa_system_sgpr_workgroup_id_x 1
		.amdhsa_system_sgpr_workgroup_id_y 0
		.amdhsa_system_sgpr_workgroup_id_z 0
		.amdhsa_system_sgpr_workgroup_info 0
		.amdhsa_system_vgpr_workitem_id 0
		.amdhsa_next_free_vgpr 1
		.amdhsa_next_free_sgpr 0
		.amdhsa_accum_offset 4
		.amdhsa_reserve_vcc 0
		.amdhsa_float_round_mode_32 0
		.amdhsa_float_round_mode_16_64 0
		.amdhsa_float_denorm_mode_32 3
		.amdhsa_float_denorm_mode_16_64 3
		.amdhsa_dx10_clamp 1
		.amdhsa_ieee_mode 1
		.amdhsa_fp16_overflow 0
		.amdhsa_tg_split 0
		.amdhsa_exception_fp_ieee_invalid_op 0
		.amdhsa_exception_fp_denorm_src 0
		.amdhsa_exception_fp_ieee_div_zero 0
		.amdhsa_exception_fp_ieee_overflow 0
		.amdhsa_exception_fp_ieee_underflow 0
		.amdhsa_exception_fp_ieee_inexact 0
		.amdhsa_exception_int_div_zero 0
	.end_amdhsa_kernel
	.section	.text._ZN7rocprim17ROCPRIM_400000_NS6detail17trampoline_kernelINS0_14default_configENS1_25partition_config_selectorILNS1_17partition_subalgoE9EllbEEZZNS1_14partition_implILS5_9ELb0ES3_jPlS8_PNS0_10empty_typeENS0_5tupleIJS8_S9_EEENSB_IJS8_SA_EEENS0_18inequality_wrapperIZN2at6native12_GLOBAL__N_124unique_dim_cuda_templateIjEESt5tupleIJNSF_6TensorESK_SK_EERKSK_lbbbEUlllE0_EEPmJS9_EEE10hipError_tPvRmT3_T4_T5_T6_T7_T9_mT8_P12ihipStream_tbDpT10_ENKUlT_T0_E_clISt17integral_constantIbLb0EES19_IbLb1EEEEDaS15_S16_EUlS15_E_NS1_11comp_targetILNS1_3genE10ELNS1_11target_archE1200ELNS1_3gpuE4ELNS1_3repE0EEENS1_30default_config_static_selectorELNS0_4arch9wavefront6targetE1EEEvT1_,"axG",@progbits,_ZN7rocprim17ROCPRIM_400000_NS6detail17trampoline_kernelINS0_14default_configENS1_25partition_config_selectorILNS1_17partition_subalgoE9EllbEEZZNS1_14partition_implILS5_9ELb0ES3_jPlS8_PNS0_10empty_typeENS0_5tupleIJS8_S9_EEENSB_IJS8_SA_EEENS0_18inequality_wrapperIZN2at6native12_GLOBAL__N_124unique_dim_cuda_templateIjEESt5tupleIJNSF_6TensorESK_SK_EERKSK_lbbbEUlllE0_EEPmJS9_EEE10hipError_tPvRmT3_T4_T5_T6_T7_T9_mT8_P12ihipStream_tbDpT10_ENKUlT_T0_E_clISt17integral_constantIbLb0EES19_IbLb1EEEEDaS15_S16_EUlS15_E_NS1_11comp_targetILNS1_3genE10ELNS1_11target_archE1200ELNS1_3gpuE4ELNS1_3repE0EEENS1_30default_config_static_selectorELNS0_4arch9wavefront6targetE1EEEvT1_,comdat
.Lfunc_end1612:
	.size	_ZN7rocprim17ROCPRIM_400000_NS6detail17trampoline_kernelINS0_14default_configENS1_25partition_config_selectorILNS1_17partition_subalgoE9EllbEEZZNS1_14partition_implILS5_9ELb0ES3_jPlS8_PNS0_10empty_typeENS0_5tupleIJS8_S9_EEENSB_IJS8_SA_EEENS0_18inequality_wrapperIZN2at6native12_GLOBAL__N_124unique_dim_cuda_templateIjEESt5tupleIJNSF_6TensorESK_SK_EERKSK_lbbbEUlllE0_EEPmJS9_EEE10hipError_tPvRmT3_T4_T5_T6_T7_T9_mT8_P12ihipStream_tbDpT10_ENKUlT_T0_E_clISt17integral_constantIbLb0EES19_IbLb1EEEEDaS15_S16_EUlS15_E_NS1_11comp_targetILNS1_3genE10ELNS1_11target_archE1200ELNS1_3gpuE4ELNS1_3repE0EEENS1_30default_config_static_selectorELNS0_4arch9wavefront6targetE1EEEvT1_, .Lfunc_end1612-_ZN7rocprim17ROCPRIM_400000_NS6detail17trampoline_kernelINS0_14default_configENS1_25partition_config_selectorILNS1_17partition_subalgoE9EllbEEZZNS1_14partition_implILS5_9ELb0ES3_jPlS8_PNS0_10empty_typeENS0_5tupleIJS8_S9_EEENSB_IJS8_SA_EEENS0_18inequality_wrapperIZN2at6native12_GLOBAL__N_124unique_dim_cuda_templateIjEESt5tupleIJNSF_6TensorESK_SK_EERKSK_lbbbEUlllE0_EEPmJS9_EEE10hipError_tPvRmT3_T4_T5_T6_T7_T9_mT8_P12ihipStream_tbDpT10_ENKUlT_T0_E_clISt17integral_constantIbLb0EES19_IbLb1EEEEDaS15_S16_EUlS15_E_NS1_11comp_targetILNS1_3genE10ELNS1_11target_archE1200ELNS1_3gpuE4ELNS1_3repE0EEENS1_30default_config_static_selectorELNS0_4arch9wavefront6targetE1EEEvT1_
                                        ; -- End function
	.section	.AMDGPU.csdata,"",@progbits
; Kernel info:
; codeLenInByte = 0
; NumSgprs: 6
; NumVgprs: 0
; NumAgprs: 0
; TotalNumVgprs: 0
; ScratchSize: 0
; MemoryBound: 0
; FloatMode: 240
; IeeeMode: 1
; LDSByteSize: 0 bytes/workgroup (compile time only)
; SGPRBlocks: 0
; VGPRBlocks: 0
; NumSGPRsForWavesPerEU: 6
; NumVGPRsForWavesPerEU: 1
; AccumOffset: 4
; Occupancy: 8
; WaveLimiterHint : 0
; COMPUTE_PGM_RSRC2:SCRATCH_EN: 0
; COMPUTE_PGM_RSRC2:USER_SGPR: 2
; COMPUTE_PGM_RSRC2:TRAP_HANDLER: 0
; COMPUTE_PGM_RSRC2:TGID_X_EN: 1
; COMPUTE_PGM_RSRC2:TGID_Y_EN: 0
; COMPUTE_PGM_RSRC2:TGID_Z_EN: 0
; COMPUTE_PGM_RSRC2:TIDIG_COMP_CNT: 0
; COMPUTE_PGM_RSRC3_GFX90A:ACCUM_OFFSET: 0
; COMPUTE_PGM_RSRC3_GFX90A:TG_SPLIT: 0
	.section	.text._ZN7rocprim17ROCPRIM_400000_NS6detail17trampoline_kernelINS0_14default_configENS1_25partition_config_selectorILNS1_17partition_subalgoE9EllbEEZZNS1_14partition_implILS5_9ELb0ES3_jPlS8_PNS0_10empty_typeENS0_5tupleIJS8_S9_EEENSB_IJS8_SA_EEENS0_18inequality_wrapperIZN2at6native12_GLOBAL__N_124unique_dim_cuda_templateIjEESt5tupleIJNSF_6TensorESK_SK_EERKSK_lbbbEUlllE0_EEPmJS9_EEE10hipError_tPvRmT3_T4_T5_T6_T7_T9_mT8_P12ihipStream_tbDpT10_ENKUlT_T0_E_clISt17integral_constantIbLb0EES19_IbLb1EEEEDaS15_S16_EUlS15_E_NS1_11comp_targetILNS1_3genE9ELNS1_11target_archE1100ELNS1_3gpuE3ELNS1_3repE0EEENS1_30default_config_static_selectorELNS0_4arch9wavefront6targetE1EEEvT1_,"axG",@progbits,_ZN7rocprim17ROCPRIM_400000_NS6detail17trampoline_kernelINS0_14default_configENS1_25partition_config_selectorILNS1_17partition_subalgoE9EllbEEZZNS1_14partition_implILS5_9ELb0ES3_jPlS8_PNS0_10empty_typeENS0_5tupleIJS8_S9_EEENSB_IJS8_SA_EEENS0_18inequality_wrapperIZN2at6native12_GLOBAL__N_124unique_dim_cuda_templateIjEESt5tupleIJNSF_6TensorESK_SK_EERKSK_lbbbEUlllE0_EEPmJS9_EEE10hipError_tPvRmT3_T4_T5_T6_T7_T9_mT8_P12ihipStream_tbDpT10_ENKUlT_T0_E_clISt17integral_constantIbLb0EES19_IbLb1EEEEDaS15_S16_EUlS15_E_NS1_11comp_targetILNS1_3genE9ELNS1_11target_archE1100ELNS1_3gpuE3ELNS1_3repE0EEENS1_30default_config_static_selectorELNS0_4arch9wavefront6targetE1EEEvT1_,comdat
	.globl	_ZN7rocprim17ROCPRIM_400000_NS6detail17trampoline_kernelINS0_14default_configENS1_25partition_config_selectorILNS1_17partition_subalgoE9EllbEEZZNS1_14partition_implILS5_9ELb0ES3_jPlS8_PNS0_10empty_typeENS0_5tupleIJS8_S9_EEENSB_IJS8_SA_EEENS0_18inequality_wrapperIZN2at6native12_GLOBAL__N_124unique_dim_cuda_templateIjEESt5tupleIJNSF_6TensorESK_SK_EERKSK_lbbbEUlllE0_EEPmJS9_EEE10hipError_tPvRmT3_T4_T5_T6_T7_T9_mT8_P12ihipStream_tbDpT10_ENKUlT_T0_E_clISt17integral_constantIbLb0EES19_IbLb1EEEEDaS15_S16_EUlS15_E_NS1_11comp_targetILNS1_3genE9ELNS1_11target_archE1100ELNS1_3gpuE3ELNS1_3repE0EEENS1_30default_config_static_selectorELNS0_4arch9wavefront6targetE1EEEvT1_ ; -- Begin function _ZN7rocprim17ROCPRIM_400000_NS6detail17trampoline_kernelINS0_14default_configENS1_25partition_config_selectorILNS1_17partition_subalgoE9EllbEEZZNS1_14partition_implILS5_9ELb0ES3_jPlS8_PNS0_10empty_typeENS0_5tupleIJS8_S9_EEENSB_IJS8_SA_EEENS0_18inequality_wrapperIZN2at6native12_GLOBAL__N_124unique_dim_cuda_templateIjEESt5tupleIJNSF_6TensorESK_SK_EERKSK_lbbbEUlllE0_EEPmJS9_EEE10hipError_tPvRmT3_T4_T5_T6_T7_T9_mT8_P12ihipStream_tbDpT10_ENKUlT_T0_E_clISt17integral_constantIbLb0EES19_IbLb1EEEEDaS15_S16_EUlS15_E_NS1_11comp_targetILNS1_3genE9ELNS1_11target_archE1100ELNS1_3gpuE3ELNS1_3repE0EEENS1_30default_config_static_selectorELNS0_4arch9wavefront6targetE1EEEvT1_
	.p2align	8
	.type	_ZN7rocprim17ROCPRIM_400000_NS6detail17trampoline_kernelINS0_14default_configENS1_25partition_config_selectorILNS1_17partition_subalgoE9EllbEEZZNS1_14partition_implILS5_9ELb0ES3_jPlS8_PNS0_10empty_typeENS0_5tupleIJS8_S9_EEENSB_IJS8_SA_EEENS0_18inequality_wrapperIZN2at6native12_GLOBAL__N_124unique_dim_cuda_templateIjEESt5tupleIJNSF_6TensorESK_SK_EERKSK_lbbbEUlllE0_EEPmJS9_EEE10hipError_tPvRmT3_T4_T5_T6_T7_T9_mT8_P12ihipStream_tbDpT10_ENKUlT_T0_E_clISt17integral_constantIbLb0EES19_IbLb1EEEEDaS15_S16_EUlS15_E_NS1_11comp_targetILNS1_3genE9ELNS1_11target_archE1100ELNS1_3gpuE3ELNS1_3repE0EEENS1_30default_config_static_selectorELNS0_4arch9wavefront6targetE1EEEvT1_,@function
_ZN7rocprim17ROCPRIM_400000_NS6detail17trampoline_kernelINS0_14default_configENS1_25partition_config_selectorILNS1_17partition_subalgoE9EllbEEZZNS1_14partition_implILS5_9ELb0ES3_jPlS8_PNS0_10empty_typeENS0_5tupleIJS8_S9_EEENSB_IJS8_SA_EEENS0_18inequality_wrapperIZN2at6native12_GLOBAL__N_124unique_dim_cuda_templateIjEESt5tupleIJNSF_6TensorESK_SK_EERKSK_lbbbEUlllE0_EEPmJS9_EEE10hipError_tPvRmT3_T4_T5_T6_T7_T9_mT8_P12ihipStream_tbDpT10_ENKUlT_T0_E_clISt17integral_constantIbLb0EES19_IbLb1EEEEDaS15_S16_EUlS15_E_NS1_11comp_targetILNS1_3genE9ELNS1_11target_archE1100ELNS1_3gpuE3ELNS1_3repE0EEENS1_30default_config_static_selectorELNS0_4arch9wavefront6targetE1EEEvT1_: ; @_ZN7rocprim17ROCPRIM_400000_NS6detail17trampoline_kernelINS0_14default_configENS1_25partition_config_selectorILNS1_17partition_subalgoE9EllbEEZZNS1_14partition_implILS5_9ELb0ES3_jPlS8_PNS0_10empty_typeENS0_5tupleIJS8_S9_EEENSB_IJS8_SA_EEENS0_18inequality_wrapperIZN2at6native12_GLOBAL__N_124unique_dim_cuda_templateIjEESt5tupleIJNSF_6TensorESK_SK_EERKSK_lbbbEUlllE0_EEPmJS9_EEE10hipError_tPvRmT3_T4_T5_T6_T7_T9_mT8_P12ihipStream_tbDpT10_ENKUlT_T0_E_clISt17integral_constantIbLb0EES19_IbLb1EEEEDaS15_S16_EUlS15_E_NS1_11comp_targetILNS1_3genE9ELNS1_11target_archE1100ELNS1_3gpuE3ELNS1_3repE0EEENS1_30default_config_static_selectorELNS0_4arch9wavefront6targetE1EEEvT1_
; %bb.0:
	.section	.rodata,"a",@progbits
	.p2align	6, 0x0
	.amdhsa_kernel _ZN7rocprim17ROCPRIM_400000_NS6detail17trampoline_kernelINS0_14default_configENS1_25partition_config_selectorILNS1_17partition_subalgoE9EllbEEZZNS1_14partition_implILS5_9ELb0ES3_jPlS8_PNS0_10empty_typeENS0_5tupleIJS8_S9_EEENSB_IJS8_SA_EEENS0_18inequality_wrapperIZN2at6native12_GLOBAL__N_124unique_dim_cuda_templateIjEESt5tupleIJNSF_6TensorESK_SK_EERKSK_lbbbEUlllE0_EEPmJS9_EEE10hipError_tPvRmT3_T4_T5_T6_T7_T9_mT8_P12ihipStream_tbDpT10_ENKUlT_T0_E_clISt17integral_constantIbLb0EES19_IbLb1EEEEDaS15_S16_EUlS15_E_NS1_11comp_targetILNS1_3genE9ELNS1_11target_archE1100ELNS1_3gpuE3ELNS1_3repE0EEENS1_30default_config_static_selectorELNS0_4arch9wavefront6targetE1EEEvT1_
		.amdhsa_group_segment_fixed_size 0
		.amdhsa_private_segment_fixed_size 0
		.amdhsa_kernarg_size 136
		.amdhsa_user_sgpr_count 2
		.amdhsa_user_sgpr_dispatch_ptr 0
		.amdhsa_user_sgpr_queue_ptr 0
		.amdhsa_user_sgpr_kernarg_segment_ptr 1
		.amdhsa_user_sgpr_dispatch_id 0
		.amdhsa_user_sgpr_kernarg_preload_length 0
		.amdhsa_user_sgpr_kernarg_preload_offset 0
		.amdhsa_user_sgpr_private_segment_size 0
		.amdhsa_uses_dynamic_stack 0
		.amdhsa_enable_private_segment 0
		.amdhsa_system_sgpr_workgroup_id_x 1
		.amdhsa_system_sgpr_workgroup_id_y 0
		.amdhsa_system_sgpr_workgroup_id_z 0
		.amdhsa_system_sgpr_workgroup_info 0
		.amdhsa_system_vgpr_workitem_id 0
		.amdhsa_next_free_vgpr 1
		.amdhsa_next_free_sgpr 0
		.amdhsa_accum_offset 4
		.amdhsa_reserve_vcc 0
		.amdhsa_float_round_mode_32 0
		.amdhsa_float_round_mode_16_64 0
		.amdhsa_float_denorm_mode_32 3
		.amdhsa_float_denorm_mode_16_64 3
		.amdhsa_dx10_clamp 1
		.amdhsa_ieee_mode 1
		.amdhsa_fp16_overflow 0
		.amdhsa_tg_split 0
		.amdhsa_exception_fp_ieee_invalid_op 0
		.amdhsa_exception_fp_denorm_src 0
		.amdhsa_exception_fp_ieee_div_zero 0
		.amdhsa_exception_fp_ieee_overflow 0
		.amdhsa_exception_fp_ieee_underflow 0
		.amdhsa_exception_fp_ieee_inexact 0
		.amdhsa_exception_int_div_zero 0
	.end_amdhsa_kernel
	.section	.text._ZN7rocprim17ROCPRIM_400000_NS6detail17trampoline_kernelINS0_14default_configENS1_25partition_config_selectorILNS1_17partition_subalgoE9EllbEEZZNS1_14partition_implILS5_9ELb0ES3_jPlS8_PNS0_10empty_typeENS0_5tupleIJS8_S9_EEENSB_IJS8_SA_EEENS0_18inequality_wrapperIZN2at6native12_GLOBAL__N_124unique_dim_cuda_templateIjEESt5tupleIJNSF_6TensorESK_SK_EERKSK_lbbbEUlllE0_EEPmJS9_EEE10hipError_tPvRmT3_T4_T5_T6_T7_T9_mT8_P12ihipStream_tbDpT10_ENKUlT_T0_E_clISt17integral_constantIbLb0EES19_IbLb1EEEEDaS15_S16_EUlS15_E_NS1_11comp_targetILNS1_3genE9ELNS1_11target_archE1100ELNS1_3gpuE3ELNS1_3repE0EEENS1_30default_config_static_selectorELNS0_4arch9wavefront6targetE1EEEvT1_,"axG",@progbits,_ZN7rocprim17ROCPRIM_400000_NS6detail17trampoline_kernelINS0_14default_configENS1_25partition_config_selectorILNS1_17partition_subalgoE9EllbEEZZNS1_14partition_implILS5_9ELb0ES3_jPlS8_PNS0_10empty_typeENS0_5tupleIJS8_S9_EEENSB_IJS8_SA_EEENS0_18inequality_wrapperIZN2at6native12_GLOBAL__N_124unique_dim_cuda_templateIjEESt5tupleIJNSF_6TensorESK_SK_EERKSK_lbbbEUlllE0_EEPmJS9_EEE10hipError_tPvRmT3_T4_T5_T6_T7_T9_mT8_P12ihipStream_tbDpT10_ENKUlT_T0_E_clISt17integral_constantIbLb0EES19_IbLb1EEEEDaS15_S16_EUlS15_E_NS1_11comp_targetILNS1_3genE9ELNS1_11target_archE1100ELNS1_3gpuE3ELNS1_3repE0EEENS1_30default_config_static_selectorELNS0_4arch9wavefront6targetE1EEEvT1_,comdat
.Lfunc_end1613:
	.size	_ZN7rocprim17ROCPRIM_400000_NS6detail17trampoline_kernelINS0_14default_configENS1_25partition_config_selectorILNS1_17partition_subalgoE9EllbEEZZNS1_14partition_implILS5_9ELb0ES3_jPlS8_PNS0_10empty_typeENS0_5tupleIJS8_S9_EEENSB_IJS8_SA_EEENS0_18inequality_wrapperIZN2at6native12_GLOBAL__N_124unique_dim_cuda_templateIjEESt5tupleIJNSF_6TensorESK_SK_EERKSK_lbbbEUlllE0_EEPmJS9_EEE10hipError_tPvRmT3_T4_T5_T6_T7_T9_mT8_P12ihipStream_tbDpT10_ENKUlT_T0_E_clISt17integral_constantIbLb0EES19_IbLb1EEEEDaS15_S16_EUlS15_E_NS1_11comp_targetILNS1_3genE9ELNS1_11target_archE1100ELNS1_3gpuE3ELNS1_3repE0EEENS1_30default_config_static_selectorELNS0_4arch9wavefront6targetE1EEEvT1_, .Lfunc_end1613-_ZN7rocprim17ROCPRIM_400000_NS6detail17trampoline_kernelINS0_14default_configENS1_25partition_config_selectorILNS1_17partition_subalgoE9EllbEEZZNS1_14partition_implILS5_9ELb0ES3_jPlS8_PNS0_10empty_typeENS0_5tupleIJS8_S9_EEENSB_IJS8_SA_EEENS0_18inequality_wrapperIZN2at6native12_GLOBAL__N_124unique_dim_cuda_templateIjEESt5tupleIJNSF_6TensorESK_SK_EERKSK_lbbbEUlllE0_EEPmJS9_EEE10hipError_tPvRmT3_T4_T5_T6_T7_T9_mT8_P12ihipStream_tbDpT10_ENKUlT_T0_E_clISt17integral_constantIbLb0EES19_IbLb1EEEEDaS15_S16_EUlS15_E_NS1_11comp_targetILNS1_3genE9ELNS1_11target_archE1100ELNS1_3gpuE3ELNS1_3repE0EEENS1_30default_config_static_selectorELNS0_4arch9wavefront6targetE1EEEvT1_
                                        ; -- End function
	.section	.AMDGPU.csdata,"",@progbits
; Kernel info:
; codeLenInByte = 0
; NumSgprs: 6
; NumVgprs: 0
; NumAgprs: 0
; TotalNumVgprs: 0
; ScratchSize: 0
; MemoryBound: 0
; FloatMode: 240
; IeeeMode: 1
; LDSByteSize: 0 bytes/workgroup (compile time only)
; SGPRBlocks: 0
; VGPRBlocks: 0
; NumSGPRsForWavesPerEU: 6
; NumVGPRsForWavesPerEU: 1
; AccumOffset: 4
; Occupancy: 8
; WaveLimiterHint : 0
; COMPUTE_PGM_RSRC2:SCRATCH_EN: 0
; COMPUTE_PGM_RSRC2:USER_SGPR: 2
; COMPUTE_PGM_RSRC2:TRAP_HANDLER: 0
; COMPUTE_PGM_RSRC2:TGID_X_EN: 1
; COMPUTE_PGM_RSRC2:TGID_Y_EN: 0
; COMPUTE_PGM_RSRC2:TGID_Z_EN: 0
; COMPUTE_PGM_RSRC2:TIDIG_COMP_CNT: 0
; COMPUTE_PGM_RSRC3_GFX90A:ACCUM_OFFSET: 0
; COMPUTE_PGM_RSRC3_GFX90A:TG_SPLIT: 0
	.section	.text._ZN7rocprim17ROCPRIM_400000_NS6detail17trampoline_kernelINS0_14default_configENS1_25partition_config_selectorILNS1_17partition_subalgoE9EllbEEZZNS1_14partition_implILS5_9ELb0ES3_jPlS8_PNS0_10empty_typeENS0_5tupleIJS8_S9_EEENSB_IJS8_SA_EEENS0_18inequality_wrapperIZN2at6native12_GLOBAL__N_124unique_dim_cuda_templateIjEESt5tupleIJNSF_6TensorESK_SK_EERKSK_lbbbEUlllE0_EEPmJS9_EEE10hipError_tPvRmT3_T4_T5_T6_T7_T9_mT8_P12ihipStream_tbDpT10_ENKUlT_T0_E_clISt17integral_constantIbLb0EES19_IbLb1EEEEDaS15_S16_EUlS15_E_NS1_11comp_targetILNS1_3genE8ELNS1_11target_archE1030ELNS1_3gpuE2ELNS1_3repE0EEENS1_30default_config_static_selectorELNS0_4arch9wavefront6targetE1EEEvT1_,"axG",@progbits,_ZN7rocprim17ROCPRIM_400000_NS6detail17trampoline_kernelINS0_14default_configENS1_25partition_config_selectorILNS1_17partition_subalgoE9EllbEEZZNS1_14partition_implILS5_9ELb0ES3_jPlS8_PNS0_10empty_typeENS0_5tupleIJS8_S9_EEENSB_IJS8_SA_EEENS0_18inequality_wrapperIZN2at6native12_GLOBAL__N_124unique_dim_cuda_templateIjEESt5tupleIJNSF_6TensorESK_SK_EERKSK_lbbbEUlllE0_EEPmJS9_EEE10hipError_tPvRmT3_T4_T5_T6_T7_T9_mT8_P12ihipStream_tbDpT10_ENKUlT_T0_E_clISt17integral_constantIbLb0EES19_IbLb1EEEEDaS15_S16_EUlS15_E_NS1_11comp_targetILNS1_3genE8ELNS1_11target_archE1030ELNS1_3gpuE2ELNS1_3repE0EEENS1_30default_config_static_selectorELNS0_4arch9wavefront6targetE1EEEvT1_,comdat
	.globl	_ZN7rocprim17ROCPRIM_400000_NS6detail17trampoline_kernelINS0_14default_configENS1_25partition_config_selectorILNS1_17partition_subalgoE9EllbEEZZNS1_14partition_implILS5_9ELb0ES3_jPlS8_PNS0_10empty_typeENS0_5tupleIJS8_S9_EEENSB_IJS8_SA_EEENS0_18inequality_wrapperIZN2at6native12_GLOBAL__N_124unique_dim_cuda_templateIjEESt5tupleIJNSF_6TensorESK_SK_EERKSK_lbbbEUlllE0_EEPmJS9_EEE10hipError_tPvRmT3_T4_T5_T6_T7_T9_mT8_P12ihipStream_tbDpT10_ENKUlT_T0_E_clISt17integral_constantIbLb0EES19_IbLb1EEEEDaS15_S16_EUlS15_E_NS1_11comp_targetILNS1_3genE8ELNS1_11target_archE1030ELNS1_3gpuE2ELNS1_3repE0EEENS1_30default_config_static_selectorELNS0_4arch9wavefront6targetE1EEEvT1_ ; -- Begin function _ZN7rocprim17ROCPRIM_400000_NS6detail17trampoline_kernelINS0_14default_configENS1_25partition_config_selectorILNS1_17partition_subalgoE9EllbEEZZNS1_14partition_implILS5_9ELb0ES3_jPlS8_PNS0_10empty_typeENS0_5tupleIJS8_S9_EEENSB_IJS8_SA_EEENS0_18inequality_wrapperIZN2at6native12_GLOBAL__N_124unique_dim_cuda_templateIjEESt5tupleIJNSF_6TensorESK_SK_EERKSK_lbbbEUlllE0_EEPmJS9_EEE10hipError_tPvRmT3_T4_T5_T6_T7_T9_mT8_P12ihipStream_tbDpT10_ENKUlT_T0_E_clISt17integral_constantIbLb0EES19_IbLb1EEEEDaS15_S16_EUlS15_E_NS1_11comp_targetILNS1_3genE8ELNS1_11target_archE1030ELNS1_3gpuE2ELNS1_3repE0EEENS1_30default_config_static_selectorELNS0_4arch9wavefront6targetE1EEEvT1_
	.p2align	8
	.type	_ZN7rocprim17ROCPRIM_400000_NS6detail17trampoline_kernelINS0_14default_configENS1_25partition_config_selectorILNS1_17partition_subalgoE9EllbEEZZNS1_14partition_implILS5_9ELb0ES3_jPlS8_PNS0_10empty_typeENS0_5tupleIJS8_S9_EEENSB_IJS8_SA_EEENS0_18inequality_wrapperIZN2at6native12_GLOBAL__N_124unique_dim_cuda_templateIjEESt5tupleIJNSF_6TensorESK_SK_EERKSK_lbbbEUlllE0_EEPmJS9_EEE10hipError_tPvRmT3_T4_T5_T6_T7_T9_mT8_P12ihipStream_tbDpT10_ENKUlT_T0_E_clISt17integral_constantIbLb0EES19_IbLb1EEEEDaS15_S16_EUlS15_E_NS1_11comp_targetILNS1_3genE8ELNS1_11target_archE1030ELNS1_3gpuE2ELNS1_3repE0EEENS1_30default_config_static_selectorELNS0_4arch9wavefront6targetE1EEEvT1_,@function
_ZN7rocprim17ROCPRIM_400000_NS6detail17trampoline_kernelINS0_14default_configENS1_25partition_config_selectorILNS1_17partition_subalgoE9EllbEEZZNS1_14partition_implILS5_9ELb0ES3_jPlS8_PNS0_10empty_typeENS0_5tupleIJS8_S9_EEENSB_IJS8_SA_EEENS0_18inequality_wrapperIZN2at6native12_GLOBAL__N_124unique_dim_cuda_templateIjEESt5tupleIJNSF_6TensorESK_SK_EERKSK_lbbbEUlllE0_EEPmJS9_EEE10hipError_tPvRmT3_T4_T5_T6_T7_T9_mT8_P12ihipStream_tbDpT10_ENKUlT_T0_E_clISt17integral_constantIbLb0EES19_IbLb1EEEEDaS15_S16_EUlS15_E_NS1_11comp_targetILNS1_3genE8ELNS1_11target_archE1030ELNS1_3gpuE2ELNS1_3repE0EEENS1_30default_config_static_selectorELNS0_4arch9wavefront6targetE1EEEvT1_: ; @_ZN7rocprim17ROCPRIM_400000_NS6detail17trampoline_kernelINS0_14default_configENS1_25partition_config_selectorILNS1_17partition_subalgoE9EllbEEZZNS1_14partition_implILS5_9ELb0ES3_jPlS8_PNS0_10empty_typeENS0_5tupleIJS8_S9_EEENSB_IJS8_SA_EEENS0_18inequality_wrapperIZN2at6native12_GLOBAL__N_124unique_dim_cuda_templateIjEESt5tupleIJNSF_6TensorESK_SK_EERKSK_lbbbEUlllE0_EEPmJS9_EEE10hipError_tPvRmT3_T4_T5_T6_T7_T9_mT8_P12ihipStream_tbDpT10_ENKUlT_T0_E_clISt17integral_constantIbLb0EES19_IbLb1EEEEDaS15_S16_EUlS15_E_NS1_11comp_targetILNS1_3genE8ELNS1_11target_archE1030ELNS1_3gpuE2ELNS1_3repE0EEENS1_30default_config_static_selectorELNS0_4arch9wavefront6targetE1EEEvT1_
; %bb.0:
	.section	.rodata,"a",@progbits
	.p2align	6, 0x0
	.amdhsa_kernel _ZN7rocprim17ROCPRIM_400000_NS6detail17trampoline_kernelINS0_14default_configENS1_25partition_config_selectorILNS1_17partition_subalgoE9EllbEEZZNS1_14partition_implILS5_9ELb0ES3_jPlS8_PNS0_10empty_typeENS0_5tupleIJS8_S9_EEENSB_IJS8_SA_EEENS0_18inequality_wrapperIZN2at6native12_GLOBAL__N_124unique_dim_cuda_templateIjEESt5tupleIJNSF_6TensorESK_SK_EERKSK_lbbbEUlllE0_EEPmJS9_EEE10hipError_tPvRmT3_T4_T5_T6_T7_T9_mT8_P12ihipStream_tbDpT10_ENKUlT_T0_E_clISt17integral_constantIbLb0EES19_IbLb1EEEEDaS15_S16_EUlS15_E_NS1_11comp_targetILNS1_3genE8ELNS1_11target_archE1030ELNS1_3gpuE2ELNS1_3repE0EEENS1_30default_config_static_selectorELNS0_4arch9wavefront6targetE1EEEvT1_
		.amdhsa_group_segment_fixed_size 0
		.amdhsa_private_segment_fixed_size 0
		.amdhsa_kernarg_size 136
		.amdhsa_user_sgpr_count 2
		.amdhsa_user_sgpr_dispatch_ptr 0
		.amdhsa_user_sgpr_queue_ptr 0
		.amdhsa_user_sgpr_kernarg_segment_ptr 1
		.amdhsa_user_sgpr_dispatch_id 0
		.amdhsa_user_sgpr_kernarg_preload_length 0
		.amdhsa_user_sgpr_kernarg_preload_offset 0
		.amdhsa_user_sgpr_private_segment_size 0
		.amdhsa_uses_dynamic_stack 0
		.amdhsa_enable_private_segment 0
		.amdhsa_system_sgpr_workgroup_id_x 1
		.amdhsa_system_sgpr_workgroup_id_y 0
		.amdhsa_system_sgpr_workgroup_id_z 0
		.amdhsa_system_sgpr_workgroup_info 0
		.amdhsa_system_vgpr_workitem_id 0
		.amdhsa_next_free_vgpr 1
		.amdhsa_next_free_sgpr 0
		.amdhsa_accum_offset 4
		.amdhsa_reserve_vcc 0
		.amdhsa_float_round_mode_32 0
		.amdhsa_float_round_mode_16_64 0
		.amdhsa_float_denorm_mode_32 3
		.amdhsa_float_denorm_mode_16_64 3
		.amdhsa_dx10_clamp 1
		.amdhsa_ieee_mode 1
		.amdhsa_fp16_overflow 0
		.amdhsa_tg_split 0
		.amdhsa_exception_fp_ieee_invalid_op 0
		.amdhsa_exception_fp_denorm_src 0
		.amdhsa_exception_fp_ieee_div_zero 0
		.amdhsa_exception_fp_ieee_overflow 0
		.amdhsa_exception_fp_ieee_underflow 0
		.amdhsa_exception_fp_ieee_inexact 0
		.amdhsa_exception_int_div_zero 0
	.end_amdhsa_kernel
	.section	.text._ZN7rocprim17ROCPRIM_400000_NS6detail17trampoline_kernelINS0_14default_configENS1_25partition_config_selectorILNS1_17partition_subalgoE9EllbEEZZNS1_14partition_implILS5_9ELb0ES3_jPlS8_PNS0_10empty_typeENS0_5tupleIJS8_S9_EEENSB_IJS8_SA_EEENS0_18inequality_wrapperIZN2at6native12_GLOBAL__N_124unique_dim_cuda_templateIjEESt5tupleIJNSF_6TensorESK_SK_EERKSK_lbbbEUlllE0_EEPmJS9_EEE10hipError_tPvRmT3_T4_T5_T6_T7_T9_mT8_P12ihipStream_tbDpT10_ENKUlT_T0_E_clISt17integral_constantIbLb0EES19_IbLb1EEEEDaS15_S16_EUlS15_E_NS1_11comp_targetILNS1_3genE8ELNS1_11target_archE1030ELNS1_3gpuE2ELNS1_3repE0EEENS1_30default_config_static_selectorELNS0_4arch9wavefront6targetE1EEEvT1_,"axG",@progbits,_ZN7rocprim17ROCPRIM_400000_NS6detail17trampoline_kernelINS0_14default_configENS1_25partition_config_selectorILNS1_17partition_subalgoE9EllbEEZZNS1_14partition_implILS5_9ELb0ES3_jPlS8_PNS0_10empty_typeENS0_5tupleIJS8_S9_EEENSB_IJS8_SA_EEENS0_18inequality_wrapperIZN2at6native12_GLOBAL__N_124unique_dim_cuda_templateIjEESt5tupleIJNSF_6TensorESK_SK_EERKSK_lbbbEUlllE0_EEPmJS9_EEE10hipError_tPvRmT3_T4_T5_T6_T7_T9_mT8_P12ihipStream_tbDpT10_ENKUlT_T0_E_clISt17integral_constantIbLb0EES19_IbLb1EEEEDaS15_S16_EUlS15_E_NS1_11comp_targetILNS1_3genE8ELNS1_11target_archE1030ELNS1_3gpuE2ELNS1_3repE0EEENS1_30default_config_static_selectorELNS0_4arch9wavefront6targetE1EEEvT1_,comdat
.Lfunc_end1614:
	.size	_ZN7rocprim17ROCPRIM_400000_NS6detail17trampoline_kernelINS0_14default_configENS1_25partition_config_selectorILNS1_17partition_subalgoE9EllbEEZZNS1_14partition_implILS5_9ELb0ES3_jPlS8_PNS0_10empty_typeENS0_5tupleIJS8_S9_EEENSB_IJS8_SA_EEENS0_18inequality_wrapperIZN2at6native12_GLOBAL__N_124unique_dim_cuda_templateIjEESt5tupleIJNSF_6TensorESK_SK_EERKSK_lbbbEUlllE0_EEPmJS9_EEE10hipError_tPvRmT3_T4_T5_T6_T7_T9_mT8_P12ihipStream_tbDpT10_ENKUlT_T0_E_clISt17integral_constantIbLb0EES19_IbLb1EEEEDaS15_S16_EUlS15_E_NS1_11comp_targetILNS1_3genE8ELNS1_11target_archE1030ELNS1_3gpuE2ELNS1_3repE0EEENS1_30default_config_static_selectorELNS0_4arch9wavefront6targetE1EEEvT1_, .Lfunc_end1614-_ZN7rocprim17ROCPRIM_400000_NS6detail17trampoline_kernelINS0_14default_configENS1_25partition_config_selectorILNS1_17partition_subalgoE9EllbEEZZNS1_14partition_implILS5_9ELb0ES3_jPlS8_PNS0_10empty_typeENS0_5tupleIJS8_S9_EEENSB_IJS8_SA_EEENS0_18inequality_wrapperIZN2at6native12_GLOBAL__N_124unique_dim_cuda_templateIjEESt5tupleIJNSF_6TensorESK_SK_EERKSK_lbbbEUlllE0_EEPmJS9_EEE10hipError_tPvRmT3_T4_T5_T6_T7_T9_mT8_P12ihipStream_tbDpT10_ENKUlT_T0_E_clISt17integral_constantIbLb0EES19_IbLb1EEEEDaS15_S16_EUlS15_E_NS1_11comp_targetILNS1_3genE8ELNS1_11target_archE1030ELNS1_3gpuE2ELNS1_3repE0EEENS1_30default_config_static_selectorELNS0_4arch9wavefront6targetE1EEEvT1_
                                        ; -- End function
	.section	.AMDGPU.csdata,"",@progbits
; Kernel info:
; codeLenInByte = 0
; NumSgprs: 6
; NumVgprs: 0
; NumAgprs: 0
; TotalNumVgprs: 0
; ScratchSize: 0
; MemoryBound: 0
; FloatMode: 240
; IeeeMode: 1
; LDSByteSize: 0 bytes/workgroup (compile time only)
; SGPRBlocks: 0
; VGPRBlocks: 0
; NumSGPRsForWavesPerEU: 6
; NumVGPRsForWavesPerEU: 1
; AccumOffset: 4
; Occupancy: 8
; WaveLimiterHint : 0
; COMPUTE_PGM_RSRC2:SCRATCH_EN: 0
; COMPUTE_PGM_RSRC2:USER_SGPR: 2
; COMPUTE_PGM_RSRC2:TRAP_HANDLER: 0
; COMPUTE_PGM_RSRC2:TGID_X_EN: 1
; COMPUTE_PGM_RSRC2:TGID_Y_EN: 0
; COMPUTE_PGM_RSRC2:TGID_Z_EN: 0
; COMPUTE_PGM_RSRC2:TIDIG_COMP_CNT: 0
; COMPUTE_PGM_RSRC3_GFX90A:ACCUM_OFFSET: 0
; COMPUTE_PGM_RSRC3_GFX90A:TG_SPLIT: 0
	.section	.text._ZN7rocprim17ROCPRIM_400000_NS6detail17trampoline_kernelINS0_14default_configENS1_37merge_sort_block_sort_config_selectorIlNS0_10empty_typeEEEZNS1_21merge_sort_block_sortIS3_PlS8_PS5_S9_ZN2at6native12_GLOBAL__N_124unique_dim_cuda_templateImEESt5tupleIJNSA_6TensorESF_SF_EERKSF_lbbbEUlllE_EE10hipError_tT0_T1_T2_T3_mRjT4_P12ihipStream_tbNS1_7vsmem_tEEUlT_E_NS1_11comp_targetILNS1_3genE0ELNS1_11target_archE4294967295ELNS1_3gpuE0ELNS1_3repE0EEENS1_30default_config_static_selectorELNS0_4arch9wavefront6targetE1EEEvSM_,"axG",@progbits,_ZN7rocprim17ROCPRIM_400000_NS6detail17trampoline_kernelINS0_14default_configENS1_37merge_sort_block_sort_config_selectorIlNS0_10empty_typeEEEZNS1_21merge_sort_block_sortIS3_PlS8_PS5_S9_ZN2at6native12_GLOBAL__N_124unique_dim_cuda_templateImEESt5tupleIJNSA_6TensorESF_SF_EERKSF_lbbbEUlllE_EE10hipError_tT0_T1_T2_T3_mRjT4_P12ihipStream_tbNS1_7vsmem_tEEUlT_E_NS1_11comp_targetILNS1_3genE0ELNS1_11target_archE4294967295ELNS1_3gpuE0ELNS1_3repE0EEENS1_30default_config_static_selectorELNS0_4arch9wavefront6targetE1EEEvSM_,comdat
	.globl	_ZN7rocprim17ROCPRIM_400000_NS6detail17trampoline_kernelINS0_14default_configENS1_37merge_sort_block_sort_config_selectorIlNS0_10empty_typeEEEZNS1_21merge_sort_block_sortIS3_PlS8_PS5_S9_ZN2at6native12_GLOBAL__N_124unique_dim_cuda_templateImEESt5tupleIJNSA_6TensorESF_SF_EERKSF_lbbbEUlllE_EE10hipError_tT0_T1_T2_T3_mRjT4_P12ihipStream_tbNS1_7vsmem_tEEUlT_E_NS1_11comp_targetILNS1_3genE0ELNS1_11target_archE4294967295ELNS1_3gpuE0ELNS1_3repE0EEENS1_30default_config_static_selectorELNS0_4arch9wavefront6targetE1EEEvSM_ ; -- Begin function _ZN7rocprim17ROCPRIM_400000_NS6detail17trampoline_kernelINS0_14default_configENS1_37merge_sort_block_sort_config_selectorIlNS0_10empty_typeEEEZNS1_21merge_sort_block_sortIS3_PlS8_PS5_S9_ZN2at6native12_GLOBAL__N_124unique_dim_cuda_templateImEESt5tupleIJNSA_6TensorESF_SF_EERKSF_lbbbEUlllE_EE10hipError_tT0_T1_T2_T3_mRjT4_P12ihipStream_tbNS1_7vsmem_tEEUlT_E_NS1_11comp_targetILNS1_3genE0ELNS1_11target_archE4294967295ELNS1_3gpuE0ELNS1_3repE0EEENS1_30default_config_static_selectorELNS0_4arch9wavefront6targetE1EEEvSM_
	.p2align	8
	.type	_ZN7rocprim17ROCPRIM_400000_NS6detail17trampoline_kernelINS0_14default_configENS1_37merge_sort_block_sort_config_selectorIlNS0_10empty_typeEEEZNS1_21merge_sort_block_sortIS3_PlS8_PS5_S9_ZN2at6native12_GLOBAL__N_124unique_dim_cuda_templateImEESt5tupleIJNSA_6TensorESF_SF_EERKSF_lbbbEUlllE_EE10hipError_tT0_T1_T2_T3_mRjT4_P12ihipStream_tbNS1_7vsmem_tEEUlT_E_NS1_11comp_targetILNS1_3genE0ELNS1_11target_archE4294967295ELNS1_3gpuE0ELNS1_3repE0EEENS1_30default_config_static_selectorELNS0_4arch9wavefront6targetE1EEEvSM_,@function
_ZN7rocprim17ROCPRIM_400000_NS6detail17trampoline_kernelINS0_14default_configENS1_37merge_sort_block_sort_config_selectorIlNS0_10empty_typeEEEZNS1_21merge_sort_block_sortIS3_PlS8_PS5_S9_ZN2at6native12_GLOBAL__N_124unique_dim_cuda_templateImEESt5tupleIJNSA_6TensorESF_SF_EERKSF_lbbbEUlllE_EE10hipError_tT0_T1_T2_T3_mRjT4_P12ihipStream_tbNS1_7vsmem_tEEUlT_E_NS1_11comp_targetILNS1_3genE0ELNS1_11target_archE4294967295ELNS1_3gpuE0ELNS1_3repE0EEENS1_30default_config_static_selectorELNS0_4arch9wavefront6targetE1EEEvSM_: ; @_ZN7rocprim17ROCPRIM_400000_NS6detail17trampoline_kernelINS0_14default_configENS1_37merge_sort_block_sort_config_selectorIlNS0_10empty_typeEEEZNS1_21merge_sort_block_sortIS3_PlS8_PS5_S9_ZN2at6native12_GLOBAL__N_124unique_dim_cuda_templateImEESt5tupleIJNSA_6TensorESF_SF_EERKSF_lbbbEUlllE_EE10hipError_tT0_T1_T2_T3_mRjT4_P12ihipStream_tbNS1_7vsmem_tEEUlT_E_NS1_11comp_targetILNS1_3genE0ELNS1_11target_archE4294967295ELNS1_3gpuE0ELNS1_3repE0EEENS1_30default_config_static_selectorELNS0_4arch9wavefront6targetE1EEEvSM_
; %bb.0:
	.section	.rodata,"a",@progbits
	.p2align	6, 0x0
	.amdhsa_kernel _ZN7rocprim17ROCPRIM_400000_NS6detail17trampoline_kernelINS0_14default_configENS1_37merge_sort_block_sort_config_selectorIlNS0_10empty_typeEEEZNS1_21merge_sort_block_sortIS3_PlS8_PS5_S9_ZN2at6native12_GLOBAL__N_124unique_dim_cuda_templateImEESt5tupleIJNSA_6TensorESF_SF_EERKSF_lbbbEUlllE_EE10hipError_tT0_T1_T2_T3_mRjT4_P12ihipStream_tbNS1_7vsmem_tEEUlT_E_NS1_11comp_targetILNS1_3genE0ELNS1_11target_archE4294967295ELNS1_3gpuE0ELNS1_3repE0EEENS1_30default_config_static_selectorELNS0_4arch9wavefront6targetE1EEEvSM_
		.amdhsa_group_segment_fixed_size 0
		.amdhsa_private_segment_fixed_size 0
		.amdhsa_kernarg_size 72
		.amdhsa_user_sgpr_count 2
		.amdhsa_user_sgpr_dispatch_ptr 0
		.amdhsa_user_sgpr_queue_ptr 0
		.amdhsa_user_sgpr_kernarg_segment_ptr 1
		.amdhsa_user_sgpr_dispatch_id 0
		.amdhsa_user_sgpr_kernarg_preload_length 0
		.amdhsa_user_sgpr_kernarg_preload_offset 0
		.amdhsa_user_sgpr_private_segment_size 0
		.amdhsa_uses_dynamic_stack 0
		.amdhsa_enable_private_segment 0
		.amdhsa_system_sgpr_workgroup_id_x 1
		.amdhsa_system_sgpr_workgroup_id_y 0
		.amdhsa_system_sgpr_workgroup_id_z 0
		.amdhsa_system_sgpr_workgroup_info 0
		.amdhsa_system_vgpr_workitem_id 0
		.amdhsa_next_free_vgpr 1
		.amdhsa_next_free_sgpr 0
		.amdhsa_accum_offset 4
		.amdhsa_reserve_vcc 0
		.amdhsa_float_round_mode_32 0
		.amdhsa_float_round_mode_16_64 0
		.amdhsa_float_denorm_mode_32 3
		.amdhsa_float_denorm_mode_16_64 3
		.amdhsa_dx10_clamp 1
		.amdhsa_ieee_mode 1
		.amdhsa_fp16_overflow 0
		.amdhsa_tg_split 0
		.amdhsa_exception_fp_ieee_invalid_op 0
		.amdhsa_exception_fp_denorm_src 0
		.amdhsa_exception_fp_ieee_div_zero 0
		.amdhsa_exception_fp_ieee_overflow 0
		.amdhsa_exception_fp_ieee_underflow 0
		.amdhsa_exception_fp_ieee_inexact 0
		.amdhsa_exception_int_div_zero 0
	.end_amdhsa_kernel
	.section	.text._ZN7rocprim17ROCPRIM_400000_NS6detail17trampoline_kernelINS0_14default_configENS1_37merge_sort_block_sort_config_selectorIlNS0_10empty_typeEEEZNS1_21merge_sort_block_sortIS3_PlS8_PS5_S9_ZN2at6native12_GLOBAL__N_124unique_dim_cuda_templateImEESt5tupleIJNSA_6TensorESF_SF_EERKSF_lbbbEUlllE_EE10hipError_tT0_T1_T2_T3_mRjT4_P12ihipStream_tbNS1_7vsmem_tEEUlT_E_NS1_11comp_targetILNS1_3genE0ELNS1_11target_archE4294967295ELNS1_3gpuE0ELNS1_3repE0EEENS1_30default_config_static_selectorELNS0_4arch9wavefront6targetE1EEEvSM_,"axG",@progbits,_ZN7rocprim17ROCPRIM_400000_NS6detail17trampoline_kernelINS0_14default_configENS1_37merge_sort_block_sort_config_selectorIlNS0_10empty_typeEEEZNS1_21merge_sort_block_sortIS3_PlS8_PS5_S9_ZN2at6native12_GLOBAL__N_124unique_dim_cuda_templateImEESt5tupleIJNSA_6TensorESF_SF_EERKSF_lbbbEUlllE_EE10hipError_tT0_T1_T2_T3_mRjT4_P12ihipStream_tbNS1_7vsmem_tEEUlT_E_NS1_11comp_targetILNS1_3genE0ELNS1_11target_archE4294967295ELNS1_3gpuE0ELNS1_3repE0EEENS1_30default_config_static_selectorELNS0_4arch9wavefront6targetE1EEEvSM_,comdat
.Lfunc_end1615:
	.size	_ZN7rocprim17ROCPRIM_400000_NS6detail17trampoline_kernelINS0_14default_configENS1_37merge_sort_block_sort_config_selectorIlNS0_10empty_typeEEEZNS1_21merge_sort_block_sortIS3_PlS8_PS5_S9_ZN2at6native12_GLOBAL__N_124unique_dim_cuda_templateImEESt5tupleIJNSA_6TensorESF_SF_EERKSF_lbbbEUlllE_EE10hipError_tT0_T1_T2_T3_mRjT4_P12ihipStream_tbNS1_7vsmem_tEEUlT_E_NS1_11comp_targetILNS1_3genE0ELNS1_11target_archE4294967295ELNS1_3gpuE0ELNS1_3repE0EEENS1_30default_config_static_selectorELNS0_4arch9wavefront6targetE1EEEvSM_, .Lfunc_end1615-_ZN7rocprim17ROCPRIM_400000_NS6detail17trampoline_kernelINS0_14default_configENS1_37merge_sort_block_sort_config_selectorIlNS0_10empty_typeEEEZNS1_21merge_sort_block_sortIS3_PlS8_PS5_S9_ZN2at6native12_GLOBAL__N_124unique_dim_cuda_templateImEESt5tupleIJNSA_6TensorESF_SF_EERKSF_lbbbEUlllE_EE10hipError_tT0_T1_T2_T3_mRjT4_P12ihipStream_tbNS1_7vsmem_tEEUlT_E_NS1_11comp_targetILNS1_3genE0ELNS1_11target_archE4294967295ELNS1_3gpuE0ELNS1_3repE0EEENS1_30default_config_static_selectorELNS0_4arch9wavefront6targetE1EEEvSM_
                                        ; -- End function
	.section	.AMDGPU.csdata,"",@progbits
; Kernel info:
; codeLenInByte = 0
; NumSgprs: 6
; NumVgprs: 0
; NumAgprs: 0
; TotalNumVgprs: 0
; ScratchSize: 0
; MemoryBound: 0
; FloatMode: 240
; IeeeMode: 1
; LDSByteSize: 0 bytes/workgroup (compile time only)
; SGPRBlocks: 0
; VGPRBlocks: 0
; NumSGPRsForWavesPerEU: 6
; NumVGPRsForWavesPerEU: 1
; AccumOffset: 4
; Occupancy: 8
; WaveLimiterHint : 0
; COMPUTE_PGM_RSRC2:SCRATCH_EN: 0
; COMPUTE_PGM_RSRC2:USER_SGPR: 2
; COMPUTE_PGM_RSRC2:TRAP_HANDLER: 0
; COMPUTE_PGM_RSRC2:TGID_X_EN: 1
; COMPUTE_PGM_RSRC2:TGID_Y_EN: 0
; COMPUTE_PGM_RSRC2:TGID_Z_EN: 0
; COMPUTE_PGM_RSRC2:TIDIG_COMP_CNT: 0
; COMPUTE_PGM_RSRC3_GFX90A:ACCUM_OFFSET: 0
; COMPUTE_PGM_RSRC3_GFX90A:TG_SPLIT: 0
	.text
	.p2align	2                               ; -- Begin function _ZN7rocprim17ROCPRIM_400000_NS6detail15block_sort_implIlNS0_10empty_typeELj256ELj8ELNS0_4arch9wavefront6targetE1EvE4sortIPlS9_PS3_SA_ZN2at6native12_GLOBAL__N_124unique_dim_cuda_templateImEESt5tupleIJNSB_6TensorESG_SG_EERKSG_lbbbEUlllE_EEvjbT_T0_T1_T2_T3_RNS7_12storage_typeE
	.type	_ZN7rocprim17ROCPRIM_400000_NS6detail15block_sort_implIlNS0_10empty_typeELj256ELj8ELNS0_4arch9wavefront6targetE1EvE4sortIPlS9_PS3_SA_ZN2at6native12_GLOBAL__N_124unique_dim_cuda_templateImEESt5tupleIJNSB_6TensorESG_SG_EERKSG_lbbbEUlllE_EEvjbT_T0_T1_T2_T3_RNS7_12storage_typeE,@function
_ZN7rocprim17ROCPRIM_400000_NS6detail15block_sort_implIlNS0_10empty_typeELj256ELj8ELNS0_4arch9wavefront6targetE1EvE4sortIPlS9_PS3_SA_ZN2at6native12_GLOBAL__N_124unique_dim_cuda_templateImEESt5tupleIJNSB_6TensorESG_SG_EERKSG_lbbbEUlllE_EEvjbT_T0_T1_T2_T3_RNS7_12storage_typeE: ; @_ZN7rocprim17ROCPRIM_400000_NS6detail15block_sort_implIlNS0_10empty_typeELj256ELj8ELNS0_4arch9wavefront6targetE1EvE4sortIPlS9_PS3_SA_ZN2at6native12_GLOBAL__N_124unique_dim_cuda_templateImEESt5tupleIJNSB_6TensorESG_SG_EERKSG_lbbbEUlllE_EEvjbT_T0_T1_T2_T3_RNS7_12storage_typeE
; %bb.0:
	s_waitcnt vmcnt(0) expcnt(0) lgkmcnt(0)
	s_or_saveexec_b64 s[0:1], -1
	scratch_store_dword off, v40, s32       ; 4-byte Folded Spill
	s_mov_b64 exec, s[0:1]
	v_writelane_b32 v40, s34, 0
	v_writelane_b32 v40, s35, 1
	v_writelane_b32 v40, s36, 2
	v_writelane_b32 v40, s37, 3
	v_writelane_b32 v40, s38, 4
	v_writelane_b32 v40, s39, 5
	v_writelane_b32 v40, s40, 6
	v_writelane_b32 v40, s41, 7
	v_writelane_b32 v40, s42, 8
	v_writelane_b32 v40, s43, 9
	v_writelane_b32 v40, s44, 10
	v_writelane_b32 v40, s45, 11
	v_writelane_b32 v40, s46, 12
	v_writelane_b32 v40, s47, 13
	v_writelane_b32 v40, s48, 14
	v_writelane_b32 v40, s49, 15
	v_writelane_b32 v40, s50, 16
	v_writelane_b32 v40, s51, 17
	v_writelane_b32 v40, s52, 18
	v_writelane_b32 v40, s53, 19
	v_writelane_b32 v40, s54, 20
	v_writelane_b32 v40, s55, 21
	v_writelane_b32 v40, s56, 22
	v_writelane_b32 v40, s57, 23
	v_writelane_b32 v40, s58, 24
	v_writelane_b32 v40, s59, 25
	v_writelane_b32 v40, s60, 26
	v_writelane_b32 v40, s61, 27
	v_writelane_b32 v40, s62, 28
	v_writelane_b32 v40, s63, 29
	v_writelane_b32 v40, s64, 30
	v_writelane_b32 v40, s65, 31
	v_writelane_b32 v40, s66, 32
	v_writelane_b32 v40, s67, 33
	v_writelane_b32 v40, s68, 34
	v_writelane_b32 v40, s30, 35
	s_nop 1
	v_writelane_b32 v40, s31, 36
	v_and_b32_e32 v1, 1, v1
	v_cmp_eq_u32_e32 vcc, 1, v1
	v_and_b32_e32 v28, 0x3ff, v31
	s_xor_b64 s[0:1], vcc, -1
	s_mov_b64 s[38:39], 0
	v_bfe_u32 v64, v31, 10, 10
	v_bfe_u32 v65, v31, 20, 10
	v_lshlrev_b32_e32 v30, 3, v28
	v_lshrrev_b32_e32 v32, 5, v28
	v_lshrrev_b32_e32 v1, 2, v28
                                        ; implicit-def: $vgpr12_vgpr13
	s_and_saveexec_b64 s[2:3], s[0:1]
	s_xor_b64 s[6:7], exec, s[2:3]
	s_cbranch_execnz .LBB1616_5
; %bb.1:
	s_andn2_saveexec_b64 s[40:41], s[6:7]
	s_cbranch_execnz .LBB1616_705
.LBB1616_2:
	s_or_b64 exec, exec, s[40:41]
	s_and_saveexec_b64 s[0:1], s[38:39]
	s_cbranch_execz .LBB1616_4
.LBB1616_3:
	s_waitcnt vmcnt(0) lgkmcnt(0)
	v_lshl_add_u64 v[0:1], v[28:29], 3, v[4:5]
	v_add_co_u32_e32 v0, vcc, 0x3000, v0
	s_nop 1
	v_addc_co_u32_e32 v1, vcc, 0, v1, vcc
	flat_store_dwordx2 v[0:1], v[12:13] offset:2048
.LBB1616_4:
	s_or_b64 exec, exec, s[0:1]
	v_readlane_b32 s30, v40, 35
	v_readlane_b32 s31, v40, 36
	;; [unrolled: 1-line block ×37, first 2 shown]
	s_or_saveexec_b64 s[0:1], -1
	scratch_load_dword v40, off, s32        ; 4-byte Folded Reload
	s_mov_b64 exec, s[0:1]
	s_waitcnt vmcnt(0) lgkmcnt(0)
	s_setpc_b64 s[30:31]
.LBB1616_5:
	v_mov_b32_e32 v29, 0
	v_mov_b32_e32 v31, v29
	v_lshl_add_u64 v[2:3], v[2:3], 0, v[30:31]
	v_add_co_u32_e32 v12, vcc, 0x1000, v2
	v_add_u32_e32 v26, 0x200, v28
	s_nop 0
	v_addc_co_u32_e32 v13, vcc, 0, v3, vcc
	flat_load_dwordx2 v[14:15], v[2:3]
	flat_load_dwordx2 v[16:17], v[2:3] offset:2048
	flat_load_dwordx2 v[18:19], v[12:13]
	flat_load_dwordx2 v[20:21], v[12:13] offset:2048
	v_add_co_u32_e32 v12, vcc, 0x2000, v2
	v_add_u32_e32 v27, 0x300, v28
	s_nop 0
	v_addc_co_u32_e32 v13, vcc, 0, v3, vcc
	v_add_co_u32_e32 v2, vcc, 0x3000, v2
	v_or_b32_e32 v31, 0x400, v28
	s_nop 0
	v_addc_co_u32_e32 v3, vcc, 0, v3, vcc
	flat_load_dwordx2 v[22:23], v[12:13]
	flat_load_dwordx2 v[54:55], v[12:13] offset:2048
	flat_load_dwordx2 v[66:67], v[2:3]
	flat_load_dwordx2 v[68:69], v[2:3] offset:2048
	v_add_u32_e32 v3, 0x100, v28
	v_add_u32_e32 v34, 0x500, v28
	v_add_u32_e32 v35, 0x600, v28
	v_add_u32_e32 v52, 0x700, v28
	v_add_lshl_u32 v0, v32, v28, 3
	v_add_lshl_u32 v2, v1, v30, 3
	v_mov_b32_e32 v1, v29
	v_lshrrev_b32_e32 v12, 5, v3
	v_lshrrev_b32_e32 v32, 5, v26
	;; [unrolled: 1-line block ×7, first 2 shown]
	v_mov_b32_e32 v3, v29
	v_mov_b32_e32 v13, v29
	v_mov_b32_e32 v33, v29
	v_mov_b32_e32 v37, v29
	v_mov_b32_e32 v39, v29
	v_mov_b32_e32 v49, v29
	v_mov_b32_e32 v51, v29
	v_mov_b32_e32 v71, v29
	v_lshl_add_u64 v[24:25], v[10:11], 0, v[0:1]
	v_add_lshl_u32 v12, v12, v28, 3
	v_add_lshl_u32 v32, v32, v26, 3
	;; [unrolled: 1-line block ×7, first 2 shown]
	v_lshl_add_u64 v[52:53], v[10:11], 0, v[2:3]
	v_lshl_add_u64 v[26:27], v[10:11], 0, v[12:13]
	;; [unrolled: 1-line block ×8, first 2 shown]
	v_cmp_lt_i64_e32 vcc, 0, v[6:7]
	s_waitcnt vmcnt(0) lgkmcnt(0)
	flat_store_dwordx2 v[24:25], v[14:15]
	flat_store_dwordx2 v[26:27], v[16:17] offset:2048
	flat_store_dwordx2 v[34:35], v[18:19]
	flat_store_dwordx2 v[32:33], v[20:21]
	flat_store_dwordx2 v[38:39], v[22:23]
	flat_store_dwordx2 v[36:37], v[54:55]
	flat_store_dwordx2 v[50:51], v[66:67]
	flat_store_dwordx2 v[48:49], v[68:69]
	s_waitcnt lgkmcnt(0)
	s_barrier
	flat_load_dwordx4 v[20:23], v[52:53]
	flat_load_dwordx4 v[16:19], v[52:53] offset:16
	flat_load_dwordx4 v[12:15], v[52:53] offset:32
	;; [unrolled: 1-line block ×3, first 2 shown]
	s_waitcnt lgkmcnt(0)
	s_barrier
	s_load_dwordx2 s[0:1], s[8:9], 0x0
	s_waitcnt lgkmcnt(0)
	s_cmp_lt_u32 s12, s0
	s_cselect_b32 s2, 12, 18
	s_cmp_lt_u32 s13, s1
	s_cselect_b32 s0, 14, 20
	s_add_u32 s0, s8, s0
	s_addc_u32 s1, s9, 0
	s_add_u32 s2, s8, s2
	s_addc_u32 s3, s9, 0
	global_load_ushort v31, v29, s[0:1]
	global_load_ushort v54, v29, s[2:3]
	s_movk_i32 s0, 0x800
	s_waitcnt vmcnt(0)
	v_mad_u32_u24 v31, v65, v31, v64
	v_mul_lo_u32 v31, v31, v54
	v_add_lshl_u32 v31, v31, v28, 3
	v_cmp_gt_u32_e64 s[0:1], s0, v31
	s_and_saveexec_b64 s[10:11], s[0:1]
	s_cbranch_execz .LBB1616_231
; %bb.6:
	s_and_saveexec_b64 s[14:15], vcc
	s_cbranch_execnz .LBB1616_34
; %bb.7:
	s_or_b64 exec, exec, s[14:15]
	s_and_saveexec_b64 s[14:15], vcc
	s_cbranch_execnz .LBB1616_41
.LBB1616_8:
	s_or_b64 exec, exec, s[14:15]
	s_and_saveexec_b64 s[14:15], vcc
	s_cbranch_execnz .LBB1616_48
.LBB1616_9:
	s_or_b64 exec, exec, s[14:15]
	s_and_saveexec_b64 s[14:15], vcc
	s_cbranch_execnz .LBB1616_55
.LBB1616_10:
	s_or_b64 exec, exec, s[14:15]
	s_and_saveexec_b64 s[0:1], vcc
	s_xor_b64 s[14:15], exec, s[0:1]
	s_cbranch_execnz .LBB1616_62
.LBB1616_11:
	s_or_b64 exec, exec, s[14:15]
	s_and_saveexec_b64 s[14:15], vcc
	s_cbranch_execnz .LBB1616_69
.LBB1616_12:
	s_or_b64 exec, exec, s[14:15]
	s_and_saveexec_b64 s[14:15], vcc
	s_cbranch_execnz .LBB1616_76
.LBB1616_13:
	s_or_b64 exec, exec, s[14:15]
	s_and_saveexec_b64 s[14:15], vcc
	s_cbranch_execnz .LBB1616_83
.LBB1616_14:
	s_or_b64 exec, exec, s[14:15]
	s_and_saveexec_b64 s[14:15], vcc
	s_cbranch_execnz .LBB1616_90
.LBB1616_15:
	s_or_b64 exec, exec, s[14:15]
	s_and_saveexec_b64 s[14:15], vcc
	s_cbranch_execnz .LBB1616_97
.LBB1616_16:
	s_or_b64 exec, exec, s[14:15]
	s_and_saveexec_b64 s[14:15], vcc
	s_cbranch_execnz .LBB1616_104
.LBB1616_17:
	s_or_b64 exec, exec, s[14:15]
	s_and_saveexec_b64 s[14:15], vcc
	s_cbranch_execnz .LBB1616_111
.LBB1616_18:
	s_or_b64 exec, exec, s[14:15]
	s_and_saveexec_b64 s[14:15], vcc
	s_cbranch_execnz .LBB1616_118
.LBB1616_19:
	s_or_b64 exec, exec, s[14:15]
	s_and_saveexec_b64 s[14:15], vcc
	s_cbranch_execnz .LBB1616_125
.LBB1616_20:
	s_or_b64 exec, exec, s[14:15]
	s_and_saveexec_b64 s[14:15], vcc
	s_cbranch_execnz .LBB1616_132
.LBB1616_21:
	s_or_b64 exec, exec, s[14:15]
	s_and_saveexec_b64 s[14:15], vcc
	s_cbranch_execnz .LBB1616_139
.LBB1616_22:
	s_or_b64 exec, exec, s[14:15]
	s_and_saveexec_b64 s[14:15], vcc
	s_cbranch_execnz .LBB1616_146
.LBB1616_23:
	s_or_b64 exec, exec, s[14:15]
	s_and_saveexec_b64 s[14:15], vcc
	s_cbranch_execnz .LBB1616_153
.LBB1616_24:
	s_or_b64 exec, exec, s[14:15]
	s_and_saveexec_b64 s[14:15], vcc
	s_cbranch_execnz .LBB1616_160
.LBB1616_25:
	s_or_b64 exec, exec, s[14:15]
	s_and_saveexec_b64 s[14:15], vcc
	s_cbranch_execnz .LBB1616_167
.LBB1616_26:
	s_or_b64 exec, exec, s[14:15]
	s_and_saveexec_b64 s[14:15], vcc
	s_cbranch_execnz .LBB1616_174
.LBB1616_27:
	s_or_b64 exec, exec, s[14:15]
	s_and_saveexec_b64 s[14:15], vcc
	s_cbranch_execnz .LBB1616_181
.LBB1616_28:
	s_or_b64 exec, exec, s[14:15]
	s_and_saveexec_b64 s[14:15], vcc
	s_cbranch_execnz .LBB1616_188
.LBB1616_29:
	s_or_b64 exec, exec, s[14:15]
	s_and_saveexec_b64 s[14:15], vcc
	s_cbranch_execnz .LBB1616_195
.LBB1616_30:
	s_or_b64 exec, exec, s[14:15]
	s_and_saveexec_b64 s[14:15], vcc
	s_cbranch_execnz .LBB1616_202
.LBB1616_31:
	s_or_b64 exec, exec, s[14:15]
	s_and_saveexec_b64 s[14:15], vcc
	s_cbranch_execnz .LBB1616_209
.LBB1616_32:
	s_or_b64 exec, exec, s[14:15]
	s_and_saveexec_b64 s[14:15], vcc
	s_cbranch_execnz .LBB1616_216
.LBB1616_33:
	s_or_b64 exec, exec, s[14:15]
	s_and_saveexec_b64 s[14:15], vcc
	s_cbranch_execnz .LBB1616_223
	s_branch .LBB1616_230
.LBB1616_34:
	v_mul_lo_u32 v64, v21, v6
	v_mul_lo_u32 v65, v20, v7
	v_mad_u64_u32 v[54:55], s[0:1], v20, v6, 0
	v_add3_u32 v55, v55, v65, v64
	v_mul_lo_u32 v66, v23, v6
	v_mul_lo_u32 v67, v22, v7
	v_mad_u64_u32 v[64:65], s[0:1], v22, v6, 0
	v_add3_u32 v65, v65, v67, v66
	v_lshl_add_u64 v[54:55], v[54:55], 3, v[8:9]
	v_lshl_add_u64 v[64:65], v[64:65], 3, v[8:9]
	s_mov_b64 s[18:19], 0
	v_mov_b64_e32 v[66:67], v[6:7]
                                        ; implicit-def: $sgpr16_sgpr17
                                        ; implicit-def: $sgpr20_sgpr21
                                        ; implicit-def: $sgpr24_sgpr25
                                        ; implicit-def: $sgpr22_sgpr23
                                        ; implicit-def: $sgpr26_sgpr27
                                        ; implicit-def: $sgpr28_sgpr29
	s_branch .LBB1616_36
.LBB1616_35:                            ;   in Loop: Header=BB1616_36 Depth=1
	s_or_b64 exec, exec, s[30:31]
	s_and_b64 s[0:1], exec, s[24:25]
	s_or_b64 s[18:19], s[0:1], s[18:19]
	s_andn2_b64 s[0:1], s[28:29], exec
	s_and_b64 s[4:5], s[26:27], exec
	s_or_b64 s[28:29], s[0:1], s[4:5]
	s_andn2_b64 s[0:1], s[20:21], exec
	s_and_b64 s[4:5], s[22:23], exec
	;; [unrolled: 3-line block ×3, first 2 shown]
	s_or_b64 s[16:17], s[0:1], s[2:3]
	s_andn2_b64 exec, exec, s[18:19]
	s_cbranch_execz .LBB1616_38
.LBB1616_36:                            ; =>This Inner Loop Header: Depth=1
	flat_load_dwordx2 v[68:69], v[64:65]
	flat_load_dwordx2 v[70:71], v[54:55]
	s_andn2_b64 s[26:27], s[26:27], exec
	s_or_b64 s[22:23], s[22:23], exec
	s_or_b64 s[24:25], s[24:25], exec
	s_waitcnt vmcnt(0) lgkmcnt(0)
	v_cmp_le_u64_e64 s[2:3], v[68:69], v[70:71]
	v_cmp_lt_u64_e64 s[0:1], v[68:69], v[70:71]
	s_and_b64 s[2:3], s[2:3], s[28:29]
	v_cmp_eq_u64_e64 s[4:5], v[68:69], v[70:71]
	s_or_b64 s[2:3], s[0:1], s[2:3]
	s_and_saveexec_b64 s[30:31], s[4:5]
	s_cbranch_execz .LBB1616_35
; %bb.37:                               ;   in Loop: Header=BB1616_36 Depth=1
	v_lshl_add_u64 v[66:67], v[66:67], 0, -1
	v_cmp_eq_u64_e64 s[0:1], 0, v[66:67]
	s_andn2_b64 s[4:5], s[26:27], exec
	s_and_b64 s[26:27], s[2:3], exec
	s_or_b64 s[26:27], s[4:5], s[26:27]
	s_andn2_b64 s[4:5], s[24:25], exec
	s_and_b64 s[0:1], s[0:1], exec
	v_lshl_add_u64 v[54:55], v[54:55], 0, 8
	v_lshl_add_u64 v[64:65], v[64:65], 0, 8
	s_andn2_b64 s[22:23], s[22:23], exec
	s_or_b64 s[24:25], s[4:5], s[0:1]
                                        ; implicit-def: $sgpr28_sgpr29
	s_branch .LBB1616_35
.LBB1616_38:
	s_or_b64 exec, exec, s[18:19]
	s_and_saveexec_b64 s[0:1], s[20:21]
	s_xor_b64 s[0:1], exec, s[0:1]
; %bb.39:
	v_cndmask_b32_e64 v55, v23, v21, s[16:17]
	v_cndmask_b32_e64 v54, v22, v20, s[16:17]
	;; [unrolled: 1-line block ×4, first 2 shown]
	v_mov_b64_e32 v[22:23], v[54:55]
; %bb.40:
	s_or_b64 exec, exec, s[0:1]
	s_or_b64 exec, exec, s[14:15]
	s_and_saveexec_b64 s[14:15], vcc
	s_cbranch_execz .LBB1616_8
.LBB1616_41:
	v_mul_lo_u32 v64, v17, v6
	v_mul_lo_u32 v65, v16, v7
	v_mad_u64_u32 v[54:55], s[0:1], v16, v6, 0
	v_add3_u32 v55, v55, v65, v64
	v_mul_lo_u32 v66, v19, v6
	v_mul_lo_u32 v67, v18, v7
	v_mad_u64_u32 v[64:65], s[0:1], v18, v6, 0
	v_add3_u32 v65, v65, v67, v66
	v_lshl_add_u64 v[54:55], v[54:55], 3, v[8:9]
	v_lshl_add_u64 v[64:65], v[64:65], 3, v[8:9]
	s_mov_b64 s[18:19], 0
	v_mov_b64_e32 v[66:67], v[6:7]
                                        ; implicit-def: $sgpr16_sgpr17
                                        ; implicit-def: $sgpr20_sgpr21
                                        ; implicit-def: $sgpr24_sgpr25
                                        ; implicit-def: $sgpr22_sgpr23
                                        ; implicit-def: $sgpr26_sgpr27
                                        ; implicit-def: $sgpr28_sgpr29
	s_branch .LBB1616_43
.LBB1616_42:                            ;   in Loop: Header=BB1616_43 Depth=1
	s_or_b64 exec, exec, s[30:31]
	s_and_b64 s[0:1], exec, s[24:25]
	s_or_b64 s[18:19], s[0:1], s[18:19]
	s_andn2_b64 s[0:1], s[28:29], exec
	s_and_b64 s[4:5], s[26:27], exec
	s_or_b64 s[28:29], s[0:1], s[4:5]
	s_andn2_b64 s[0:1], s[20:21], exec
	s_and_b64 s[4:5], s[22:23], exec
	;; [unrolled: 3-line block ×3, first 2 shown]
	s_or_b64 s[16:17], s[0:1], s[2:3]
	s_andn2_b64 exec, exec, s[18:19]
	s_cbranch_execz .LBB1616_45
.LBB1616_43:                            ; =>This Inner Loop Header: Depth=1
	flat_load_dwordx2 v[68:69], v[64:65]
	flat_load_dwordx2 v[70:71], v[54:55]
	s_andn2_b64 s[26:27], s[26:27], exec
	s_or_b64 s[22:23], s[22:23], exec
	s_or_b64 s[24:25], s[24:25], exec
	s_waitcnt vmcnt(0) lgkmcnt(0)
	v_cmp_le_u64_e64 s[2:3], v[68:69], v[70:71]
	v_cmp_lt_u64_e64 s[0:1], v[68:69], v[70:71]
	s_and_b64 s[2:3], s[2:3], s[28:29]
	v_cmp_eq_u64_e64 s[4:5], v[68:69], v[70:71]
	s_or_b64 s[2:3], s[0:1], s[2:3]
	s_and_saveexec_b64 s[30:31], s[4:5]
	s_cbranch_execz .LBB1616_42
; %bb.44:                               ;   in Loop: Header=BB1616_43 Depth=1
	v_lshl_add_u64 v[66:67], v[66:67], 0, -1
	v_cmp_eq_u64_e64 s[0:1], 0, v[66:67]
	s_andn2_b64 s[4:5], s[26:27], exec
	s_and_b64 s[26:27], s[2:3], exec
	s_or_b64 s[26:27], s[4:5], s[26:27]
	s_andn2_b64 s[4:5], s[24:25], exec
	s_and_b64 s[0:1], s[0:1], exec
	v_lshl_add_u64 v[54:55], v[54:55], 0, 8
	v_lshl_add_u64 v[64:65], v[64:65], 0, 8
	s_andn2_b64 s[22:23], s[22:23], exec
	s_or_b64 s[24:25], s[4:5], s[0:1]
                                        ; implicit-def: $sgpr28_sgpr29
	s_branch .LBB1616_42
.LBB1616_45:
	s_or_b64 exec, exec, s[18:19]
	s_and_saveexec_b64 s[0:1], s[20:21]
	s_xor_b64 s[0:1], exec, s[0:1]
; %bb.46:
	v_cndmask_b32_e64 v55, v17, v19, s[16:17]
	v_cndmask_b32_e64 v54, v16, v18, s[16:17]
	;; [unrolled: 1-line block ×4, first 2 shown]
	v_mov_b64_e32 v[16:17], v[54:55]
; %bb.47:
	s_or_b64 exec, exec, s[0:1]
	s_or_b64 exec, exec, s[14:15]
	s_and_saveexec_b64 s[14:15], vcc
	s_cbranch_execz .LBB1616_9
.LBB1616_48:
	v_mul_lo_u32 v64, v13, v6
	v_mul_lo_u32 v65, v12, v7
	v_mad_u64_u32 v[54:55], s[0:1], v12, v6, 0
	v_add3_u32 v55, v55, v65, v64
	v_mul_lo_u32 v66, v15, v6
	v_mul_lo_u32 v67, v14, v7
	v_mad_u64_u32 v[64:65], s[0:1], v14, v6, 0
	v_add3_u32 v65, v65, v67, v66
	v_lshl_add_u64 v[54:55], v[54:55], 3, v[8:9]
	v_lshl_add_u64 v[64:65], v[64:65], 3, v[8:9]
	s_mov_b64 s[18:19], 0
	v_mov_b64_e32 v[66:67], v[6:7]
                                        ; implicit-def: $sgpr16_sgpr17
                                        ; implicit-def: $sgpr20_sgpr21
                                        ; implicit-def: $sgpr24_sgpr25
                                        ; implicit-def: $sgpr22_sgpr23
                                        ; implicit-def: $sgpr26_sgpr27
                                        ; implicit-def: $sgpr28_sgpr29
	s_branch .LBB1616_50
.LBB1616_49:                            ;   in Loop: Header=BB1616_50 Depth=1
	s_or_b64 exec, exec, s[30:31]
	s_and_b64 s[0:1], exec, s[24:25]
	s_or_b64 s[18:19], s[0:1], s[18:19]
	s_andn2_b64 s[0:1], s[28:29], exec
	s_and_b64 s[4:5], s[26:27], exec
	s_or_b64 s[28:29], s[0:1], s[4:5]
	s_andn2_b64 s[0:1], s[20:21], exec
	s_and_b64 s[4:5], s[22:23], exec
	;; [unrolled: 3-line block ×3, first 2 shown]
	s_or_b64 s[16:17], s[0:1], s[2:3]
	s_andn2_b64 exec, exec, s[18:19]
	s_cbranch_execz .LBB1616_52
.LBB1616_50:                            ; =>This Inner Loop Header: Depth=1
	flat_load_dwordx2 v[68:69], v[64:65]
	flat_load_dwordx2 v[70:71], v[54:55]
	s_andn2_b64 s[26:27], s[26:27], exec
	s_or_b64 s[22:23], s[22:23], exec
	s_or_b64 s[24:25], s[24:25], exec
	s_waitcnt vmcnt(0) lgkmcnt(0)
	v_cmp_le_u64_e64 s[2:3], v[68:69], v[70:71]
	v_cmp_lt_u64_e64 s[0:1], v[68:69], v[70:71]
	s_and_b64 s[2:3], s[2:3], s[28:29]
	v_cmp_eq_u64_e64 s[4:5], v[68:69], v[70:71]
	s_or_b64 s[2:3], s[0:1], s[2:3]
	s_and_saveexec_b64 s[30:31], s[4:5]
	s_cbranch_execz .LBB1616_49
; %bb.51:                               ;   in Loop: Header=BB1616_50 Depth=1
	v_lshl_add_u64 v[66:67], v[66:67], 0, -1
	v_cmp_eq_u64_e64 s[0:1], 0, v[66:67]
	s_andn2_b64 s[4:5], s[26:27], exec
	s_and_b64 s[26:27], s[2:3], exec
	s_or_b64 s[26:27], s[4:5], s[26:27]
	s_andn2_b64 s[4:5], s[24:25], exec
	s_and_b64 s[0:1], s[0:1], exec
	v_lshl_add_u64 v[54:55], v[54:55], 0, 8
	v_lshl_add_u64 v[64:65], v[64:65], 0, 8
	s_andn2_b64 s[22:23], s[22:23], exec
	s_or_b64 s[24:25], s[4:5], s[0:1]
                                        ; implicit-def: $sgpr28_sgpr29
	s_branch .LBB1616_49
.LBB1616_52:
	s_or_b64 exec, exec, s[18:19]
	s_and_saveexec_b64 s[0:1], s[20:21]
	s_xor_b64 s[0:1], exec, s[0:1]
; %bb.53:
	v_cndmask_b32_e64 v55, v13, v15, s[16:17]
	v_cndmask_b32_e64 v54, v12, v14, s[16:17]
	v_cndmask_b32_e64 v15, v15, v13, s[16:17]
	v_cndmask_b32_e64 v14, v14, v12, s[16:17]
	v_mov_b64_e32 v[12:13], v[54:55]
; %bb.54:
	s_or_b64 exec, exec, s[0:1]
	s_or_b64 exec, exec, s[14:15]
	s_and_saveexec_b64 s[14:15], vcc
	s_cbranch_execz .LBB1616_10
.LBB1616_55:
	v_mul_lo_u32 v64, v1, v6
	v_mul_lo_u32 v65, v0, v7
	v_mad_u64_u32 v[54:55], s[0:1], v0, v6, 0
	v_add3_u32 v55, v55, v65, v64
	v_mul_lo_u32 v66, v3, v6
	v_mul_lo_u32 v67, v2, v7
	v_mad_u64_u32 v[64:65], s[0:1], v2, v6, 0
	v_add3_u32 v65, v65, v67, v66
	v_lshl_add_u64 v[54:55], v[54:55], 3, v[8:9]
	v_lshl_add_u64 v[64:65], v[64:65], 3, v[8:9]
	s_mov_b64 s[18:19], 0
	v_mov_b64_e32 v[66:67], v[6:7]
                                        ; implicit-def: $sgpr16_sgpr17
                                        ; implicit-def: $sgpr20_sgpr21
                                        ; implicit-def: $sgpr24_sgpr25
                                        ; implicit-def: $sgpr22_sgpr23
                                        ; implicit-def: $sgpr26_sgpr27
                                        ; implicit-def: $sgpr28_sgpr29
	s_branch .LBB1616_57
.LBB1616_56:                            ;   in Loop: Header=BB1616_57 Depth=1
	s_or_b64 exec, exec, s[30:31]
	s_and_b64 s[0:1], exec, s[24:25]
	s_or_b64 s[18:19], s[0:1], s[18:19]
	s_andn2_b64 s[0:1], s[28:29], exec
	s_and_b64 s[4:5], s[26:27], exec
	s_or_b64 s[28:29], s[0:1], s[4:5]
	s_andn2_b64 s[0:1], s[20:21], exec
	s_and_b64 s[4:5], s[22:23], exec
	;; [unrolled: 3-line block ×3, first 2 shown]
	s_or_b64 s[16:17], s[0:1], s[2:3]
	s_andn2_b64 exec, exec, s[18:19]
	s_cbranch_execz .LBB1616_59
.LBB1616_57:                            ; =>This Inner Loop Header: Depth=1
	flat_load_dwordx2 v[68:69], v[64:65]
	flat_load_dwordx2 v[70:71], v[54:55]
	s_andn2_b64 s[26:27], s[26:27], exec
	s_or_b64 s[22:23], s[22:23], exec
	s_or_b64 s[24:25], s[24:25], exec
	s_waitcnt vmcnt(0) lgkmcnt(0)
	v_cmp_le_u64_e64 s[2:3], v[68:69], v[70:71]
	v_cmp_lt_u64_e64 s[0:1], v[68:69], v[70:71]
	s_and_b64 s[2:3], s[2:3], s[28:29]
	v_cmp_eq_u64_e64 s[4:5], v[68:69], v[70:71]
	s_or_b64 s[2:3], s[0:1], s[2:3]
	s_and_saveexec_b64 s[30:31], s[4:5]
	s_cbranch_execz .LBB1616_56
; %bb.58:                               ;   in Loop: Header=BB1616_57 Depth=1
	v_lshl_add_u64 v[66:67], v[66:67], 0, -1
	v_cmp_eq_u64_e64 s[0:1], 0, v[66:67]
	s_andn2_b64 s[4:5], s[26:27], exec
	s_and_b64 s[26:27], s[2:3], exec
	s_or_b64 s[26:27], s[4:5], s[26:27]
	s_andn2_b64 s[4:5], s[24:25], exec
	s_and_b64 s[0:1], s[0:1], exec
	v_lshl_add_u64 v[54:55], v[54:55], 0, 8
	v_lshl_add_u64 v[64:65], v[64:65], 0, 8
	s_andn2_b64 s[22:23], s[22:23], exec
	s_or_b64 s[24:25], s[4:5], s[0:1]
                                        ; implicit-def: $sgpr28_sgpr29
	s_branch .LBB1616_56
.LBB1616_59:
	s_or_b64 exec, exec, s[18:19]
	s_and_saveexec_b64 s[0:1], s[20:21]
	s_xor_b64 s[0:1], exec, s[0:1]
; %bb.60:
	v_cndmask_b32_e64 v55, v1, v3, s[16:17]
	v_cndmask_b32_e64 v54, v0, v2, s[16:17]
	;; [unrolled: 1-line block ×4, first 2 shown]
	v_mov_b64_e32 v[0:1], v[54:55]
; %bb.61:
	s_or_b64 exec, exec, s[0:1]
	s_or_b64 exec, exec, s[14:15]
	s_and_saveexec_b64 s[0:1], vcc
	s_xor_b64 s[14:15], exec, s[0:1]
	s_cbranch_execz .LBB1616_11
.LBB1616_62:
	v_mul_lo_u32 v64, v23, v6
	v_mul_lo_u32 v65, v22, v7
	v_mad_u64_u32 v[54:55], s[0:1], v22, v6, 0
	v_add3_u32 v55, v55, v65, v64
	v_mul_lo_u32 v66, v17, v6
	v_mul_lo_u32 v67, v16, v7
	v_mad_u64_u32 v[64:65], s[0:1], v16, v6, 0
	v_add3_u32 v65, v65, v67, v66
	v_lshl_add_u64 v[54:55], v[54:55], 3, v[8:9]
	v_lshl_add_u64 v[64:65], v[64:65], 3, v[8:9]
	s_mov_b64 s[18:19], 0
	v_mov_b64_e32 v[66:67], v[6:7]
                                        ; implicit-def: $sgpr16_sgpr17
                                        ; implicit-def: $sgpr20_sgpr21
                                        ; implicit-def: $sgpr24_sgpr25
                                        ; implicit-def: $sgpr22_sgpr23
                                        ; implicit-def: $sgpr26_sgpr27
                                        ; implicit-def: $sgpr28_sgpr29
	s_branch .LBB1616_64
.LBB1616_63:                            ;   in Loop: Header=BB1616_64 Depth=1
	s_or_b64 exec, exec, s[30:31]
	s_and_b64 s[0:1], exec, s[24:25]
	s_or_b64 s[18:19], s[0:1], s[18:19]
	s_andn2_b64 s[0:1], s[28:29], exec
	s_and_b64 s[4:5], s[26:27], exec
	s_or_b64 s[28:29], s[0:1], s[4:5]
	s_andn2_b64 s[0:1], s[20:21], exec
	s_and_b64 s[4:5], s[22:23], exec
	;; [unrolled: 3-line block ×3, first 2 shown]
	s_or_b64 s[16:17], s[0:1], s[2:3]
	s_andn2_b64 exec, exec, s[18:19]
	s_cbranch_execz .LBB1616_66
.LBB1616_64:                            ; =>This Inner Loop Header: Depth=1
	flat_load_dwordx2 v[68:69], v[64:65]
	flat_load_dwordx2 v[70:71], v[54:55]
	s_andn2_b64 s[26:27], s[26:27], exec
	s_or_b64 s[22:23], s[22:23], exec
	s_or_b64 s[24:25], s[24:25], exec
	s_waitcnt vmcnt(0) lgkmcnt(0)
	v_cmp_le_u64_e64 s[2:3], v[68:69], v[70:71]
	v_cmp_lt_u64_e64 s[0:1], v[68:69], v[70:71]
	s_and_b64 s[2:3], s[2:3], s[28:29]
	v_cmp_eq_u64_e64 s[4:5], v[68:69], v[70:71]
	s_or_b64 s[2:3], s[0:1], s[2:3]
	s_and_saveexec_b64 s[30:31], s[4:5]
	s_cbranch_execz .LBB1616_63
; %bb.65:                               ;   in Loop: Header=BB1616_64 Depth=1
	v_lshl_add_u64 v[66:67], v[66:67], 0, -1
	v_cmp_eq_u64_e64 s[0:1], 0, v[66:67]
	s_andn2_b64 s[4:5], s[26:27], exec
	s_and_b64 s[26:27], s[2:3], exec
	s_or_b64 s[26:27], s[4:5], s[26:27]
	s_andn2_b64 s[4:5], s[24:25], exec
	s_and_b64 s[0:1], s[0:1], exec
	v_lshl_add_u64 v[54:55], v[54:55], 0, 8
	v_lshl_add_u64 v[64:65], v[64:65], 0, 8
	s_andn2_b64 s[22:23], s[22:23], exec
	s_or_b64 s[24:25], s[4:5], s[0:1]
                                        ; implicit-def: $sgpr28_sgpr29
	s_branch .LBB1616_63
.LBB1616_66:
	s_or_b64 exec, exec, s[18:19]
	s_and_saveexec_b64 s[0:1], s[20:21]
	s_xor_b64 s[0:1], exec, s[0:1]
; %bb.67:
	v_cndmask_b32_e64 v55, v23, v17, s[16:17]
	v_cndmask_b32_e64 v54, v22, v16, s[16:17]
	;; [unrolled: 1-line block ×4, first 2 shown]
	v_mov_b64_e32 v[22:23], v[54:55]
; %bb.68:
	s_or_b64 exec, exec, s[0:1]
	s_or_b64 exec, exec, s[14:15]
	s_and_saveexec_b64 s[14:15], vcc
	s_cbranch_execz .LBB1616_12
.LBB1616_69:
	v_mul_lo_u32 v64, v19, v6
	v_mul_lo_u32 v65, v18, v7
	v_mad_u64_u32 v[54:55], s[0:1], v18, v6, 0
	v_add3_u32 v55, v55, v65, v64
	v_mul_lo_u32 v66, v13, v6
	v_mul_lo_u32 v67, v12, v7
	v_mad_u64_u32 v[64:65], s[0:1], v12, v6, 0
	v_add3_u32 v65, v65, v67, v66
	v_lshl_add_u64 v[54:55], v[54:55], 3, v[8:9]
	v_lshl_add_u64 v[64:65], v[64:65], 3, v[8:9]
	s_mov_b64 s[18:19], 0
	v_mov_b64_e32 v[66:67], v[6:7]
                                        ; implicit-def: $sgpr16_sgpr17
                                        ; implicit-def: $sgpr20_sgpr21
                                        ; implicit-def: $sgpr24_sgpr25
                                        ; implicit-def: $sgpr22_sgpr23
                                        ; implicit-def: $sgpr26_sgpr27
                                        ; implicit-def: $sgpr28_sgpr29
	s_branch .LBB1616_71
.LBB1616_70:                            ;   in Loop: Header=BB1616_71 Depth=1
	s_or_b64 exec, exec, s[30:31]
	s_and_b64 s[0:1], exec, s[24:25]
	s_or_b64 s[18:19], s[0:1], s[18:19]
	s_andn2_b64 s[0:1], s[28:29], exec
	s_and_b64 s[4:5], s[26:27], exec
	s_or_b64 s[28:29], s[0:1], s[4:5]
	s_andn2_b64 s[0:1], s[20:21], exec
	s_and_b64 s[4:5], s[22:23], exec
	;; [unrolled: 3-line block ×3, first 2 shown]
	s_or_b64 s[16:17], s[0:1], s[2:3]
	s_andn2_b64 exec, exec, s[18:19]
	s_cbranch_execz .LBB1616_73
.LBB1616_71:                            ; =>This Inner Loop Header: Depth=1
	flat_load_dwordx2 v[68:69], v[64:65]
	flat_load_dwordx2 v[70:71], v[54:55]
	s_andn2_b64 s[26:27], s[26:27], exec
	s_or_b64 s[22:23], s[22:23], exec
	s_or_b64 s[24:25], s[24:25], exec
	s_waitcnt vmcnt(0) lgkmcnt(0)
	v_cmp_le_u64_e64 s[2:3], v[68:69], v[70:71]
	v_cmp_lt_u64_e64 s[0:1], v[68:69], v[70:71]
	s_and_b64 s[2:3], s[2:3], s[28:29]
	v_cmp_eq_u64_e64 s[4:5], v[68:69], v[70:71]
	s_or_b64 s[2:3], s[0:1], s[2:3]
	s_and_saveexec_b64 s[30:31], s[4:5]
	s_cbranch_execz .LBB1616_70
; %bb.72:                               ;   in Loop: Header=BB1616_71 Depth=1
	v_lshl_add_u64 v[66:67], v[66:67], 0, -1
	v_cmp_eq_u64_e64 s[0:1], 0, v[66:67]
	s_andn2_b64 s[4:5], s[26:27], exec
	s_and_b64 s[26:27], s[2:3], exec
	s_or_b64 s[26:27], s[4:5], s[26:27]
	s_andn2_b64 s[4:5], s[24:25], exec
	s_and_b64 s[0:1], s[0:1], exec
	v_lshl_add_u64 v[54:55], v[54:55], 0, 8
	v_lshl_add_u64 v[64:65], v[64:65], 0, 8
	s_andn2_b64 s[22:23], s[22:23], exec
	s_or_b64 s[24:25], s[4:5], s[0:1]
                                        ; implicit-def: $sgpr28_sgpr29
	s_branch .LBB1616_70
.LBB1616_73:
	s_or_b64 exec, exec, s[18:19]
	s_and_saveexec_b64 s[0:1], s[20:21]
	s_xor_b64 s[0:1], exec, s[0:1]
; %bb.74:
	v_cndmask_b32_e64 v55, v19, v13, s[16:17]
	v_cndmask_b32_e64 v54, v18, v12, s[16:17]
	;; [unrolled: 1-line block ×4, first 2 shown]
	v_mov_b64_e32 v[18:19], v[54:55]
; %bb.75:
	s_or_b64 exec, exec, s[0:1]
	s_or_b64 exec, exec, s[14:15]
	s_and_saveexec_b64 s[14:15], vcc
	s_cbranch_execz .LBB1616_13
.LBB1616_76:
	v_mul_lo_u32 v64, v15, v6
	v_mul_lo_u32 v65, v14, v7
	v_mad_u64_u32 v[54:55], s[0:1], v14, v6, 0
	v_add3_u32 v55, v55, v65, v64
	v_mul_lo_u32 v66, v1, v6
	v_mul_lo_u32 v67, v0, v7
	v_mad_u64_u32 v[64:65], s[0:1], v0, v6, 0
	v_add3_u32 v65, v65, v67, v66
	v_lshl_add_u64 v[54:55], v[54:55], 3, v[8:9]
	v_lshl_add_u64 v[64:65], v[64:65], 3, v[8:9]
	s_mov_b64 s[18:19], 0
	v_mov_b64_e32 v[66:67], v[6:7]
                                        ; implicit-def: $sgpr16_sgpr17
                                        ; implicit-def: $sgpr20_sgpr21
                                        ; implicit-def: $sgpr24_sgpr25
                                        ; implicit-def: $sgpr22_sgpr23
                                        ; implicit-def: $sgpr26_sgpr27
                                        ; implicit-def: $sgpr28_sgpr29
	s_branch .LBB1616_78
.LBB1616_77:                            ;   in Loop: Header=BB1616_78 Depth=1
	s_or_b64 exec, exec, s[30:31]
	s_and_b64 s[0:1], exec, s[24:25]
	s_or_b64 s[18:19], s[0:1], s[18:19]
	s_andn2_b64 s[0:1], s[28:29], exec
	s_and_b64 s[4:5], s[26:27], exec
	s_or_b64 s[28:29], s[0:1], s[4:5]
	s_andn2_b64 s[0:1], s[20:21], exec
	s_and_b64 s[4:5], s[22:23], exec
	;; [unrolled: 3-line block ×3, first 2 shown]
	s_or_b64 s[16:17], s[0:1], s[2:3]
	s_andn2_b64 exec, exec, s[18:19]
	s_cbranch_execz .LBB1616_80
.LBB1616_78:                            ; =>This Inner Loop Header: Depth=1
	flat_load_dwordx2 v[68:69], v[64:65]
	flat_load_dwordx2 v[70:71], v[54:55]
	s_andn2_b64 s[26:27], s[26:27], exec
	s_or_b64 s[22:23], s[22:23], exec
	s_or_b64 s[24:25], s[24:25], exec
	s_waitcnt vmcnt(0) lgkmcnt(0)
	v_cmp_le_u64_e64 s[2:3], v[68:69], v[70:71]
	v_cmp_lt_u64_e64 s[0:1], v[68:69], v[70:71]
	s_and_b64 s[2:3], s[2:3], s[28:29]
	v_cmp_eq_u64_e64 s[4:5], v[68:69], v[70:71]
	s_or_b64 s[2:3], s[0:1], s[2:3]
	s_and_saveexec_b64 s[30:31], s[4:5]
	s_cbranch_execz .LBB1616_77
; %bb.79:                               ;   in Loop: Header=BB1616_78 Depth=1
	v_lshl_add_u64 v[66:67], v[66:67], 0, -1
	v_cmp_eq_u64_e64 s[0:1], 0, v[66:67]
	s_andn2_b64 s[4:5], s[26:27], exec
	s_and_b64 s[26:27], s[2:3], exec
	s_or_b64 s[26:27], s[4:5], s[26:27]
	s_andn2_b64 s[4:5], s[24:25], exec
	s_and_b64 s[0:1], s[0:1], exec
	v_lshl_add_u64 v[54:55], v[54:55], 0, 8
	v_lshl_add_u64 v[64:65], v[64:65], 0, 8
	s_andn2_b64 s[22:23], s[22:23], exec
	s_or_b64 s[24:25], s[4:5], s[0:1]
                                        ; implicit-def: $sgpr28_sgpr29
	s_branch .LBB1616_77
.LBB1616_80:
	s_or_b64 exec, exec, s[18:19]
	s_and_saveexec_b64 s[0:1], s[20:21]
	s_xor_b64 s[0:1], exec, s[0:1]
; %bb.81:
	v_cndmask_b32_e64 v55, v15, v1, s[16:17]
	v_cndmask_b32_e64 v54, v14, v0, s[16:17]
	;; [unrolled: 1-line block ×4, first 2 shown]
	v_mov_b64_e32 v[14:15], v[54:55]
; %bb.82:
	s_or_b64 exec, exec, s[0:1]
	s_or_b64 exec, exec, s[14:15]
	s_and_saveexec_b64 s[14:15], vcc
	s_cbranch_execz .LBB1616_14
.LBB1616_83:
	v_mul_lo_u32 v64, v21, v6
	v_mul_lo_u32 v65, v20, v7
	v_mad_u64_u32 v[54:55], s[0:1], v20, v6, 0
	v_add3_u32 v55, v55, v65, v64
	v_mul_lo_u32 v66, v23, v6
	v_mul_lo_u32 v67, v22, v7
	v_mad_u64_u32 v[64:65], s[0:1], v22, v6, 0
	v_add3_u32 v65, v65, v67, v66
	v_lshl_add_u64 v[54:55], v[54:55], 3, v[8:9]
	v_lshl_add_u64 v[64:65], v[64:65], 3, v[8:9]
	s_mov_b64 s[18:19], 0
	v_mov_b64_e32 v[66:67], v[6:7]
                                        ; implicit-def: $sgpr16_sgpr17
                                        ; implicit-def: $sgpr20_sgpr21
                                        ; implicit-def: $sgpr24_sgpr25
                                        ; implicit-def: $sgpr22_sgpr23
                                        ; implicit-def: $sgpr26_sgpr27
                                        ; implicit-def: $sgpr28_sgpr29
	s_branch .LBB1616_85
.LBB1616_84:                            ;   in Loop: Header=BB1616_85 Depth=1
	s_or_b64 exec, exec, s[30:31]
	s_and_b64 s[0:1], exec, s[24:25]
	s_or_b64 s[18:19], s[0:1], s[18:19]
	s_andn2_b64 s[0:1], s[28:29], exec
	s_and_b64 s[4:5], s[26:27], exec
	s_or_b64 s[28:29], s[0:1], s[4:5]
	s_andn2_b64 s[0:1], s[20:21], exec
	s_and_b64 s[4:5], s[22:23], exec
	s_or_b64 s[20:21], s[0:1], s[4:5]
	s_andn2_b64 s[0:1], s[16:17], exec
	s_and_b64 s[2:3], s[2:3], exec
	s_or_b64 s[16:17], s[0:1], s[2:3]
	s_andn2_b64 exec, exec, s[18:19]
	s_cbranch_execz .LBB1616_87
.LBB1616_85:                            ; =>This Inner Loop Header: Depth=1
	flat_load_dwordx2 v[68:69], v[64:65]
	flat_load_dwordx2 v[70:71], v[54:55]
	s_andn2_b64 s[26:27], s[26:27], exec
	s_or_b64 s[22:23], s[22:23], exec
	s_or_b64 s[24:25], s[24:25], exec
	s_waitcnt vmcnt(0) lgkmcnt(0)
	v_cmp_le_u64_e64 s[2:3], v[68:69], v[70:71]
	v_cmp_lt_u64_e64 s[0:1], v[68:69], v[70:71]
	s_and_b64 s[2:3], s[2:3], s[28:29]
	v_cmp_eq_u64_e64 s[4:5], v[68:69], v[70:71]
	s_or_b64 s[2:3], s[0:1], s[2:3]
	s_and_saveexec_b64 s[30:31], s[4:5]
	s_cbranch_execz .LBB1616_84
; %bb.86:                               ;   in Loop: Header=BB1616_85 Depth=1
	v_lshl_add_u64 v[66:67], v[66:67], 0, -1
	v_cmp_eq_u64_e64 s[0:1], 0, v[66:67]
	s_andn2_b64 s[4:5], s[26:27], exec
	s_and_b64 s[26:27], s[2:3], exec
	s_or_b64 s[26:27], s[4:5], s[26:27]
	s_andn2_b64 s[4:5], s[24:25], exec
	s_and_b64 s[0:1], s[0:1], exec
	v_lshl_add_u64 v[54:55], v[54:55], 0, 8
	v_lshl_add_u64 v[64:65], v[64:65], 0, 8
	s_andn2_b64 s[22:23], s[22:23], exec
	s_or_b64 s[24:25], s[4:5], s[0:1]
                                        ; implicit-def: $sgpr28_sgpr29
	s_branch .LBB1616_84
.LBB1616_87:
	s_or_b64 exec, exec, s[18:19]
	s_and_saveexec_b64 s[0:1], s[20:21]
	s_xor_b64 s[0:1], exec, s[0:1]
; %bb.88:
	v_cndmask_b32_e64 v55, v23, v21, s[16:17]
	v_cndmask_b32_e64 v54, v22, v20, s[16:17]
	;; [unrolled: 1-line block ×4, first 2 shown]
	v_mov_b64_e32 v[22:23], v[54:55]
; %bb.89:
	s_or_b64 exec, exec, s[0:1]
	s_or_b64 exec, exec, s[14:15]
	s_and_saveexec_b64 s[14:15], vcc
	s_cbranch_execz .LBB1616_15
.LBB1616_90:
	v_mul_lo_u32 v64, v17, v6
	v_mul_lo_u32 v65, v16, v7
	v_mad_u64_u32 v[54:55], s[0:1], v16, v6, 0
	v_add3_u32 v55, v55, v65, v64
	v_mul_lo_u32 v66, v19, v6
	v_mul_lo_u32 v67, v18, v7
	v_mad_u64_u32 v[64:65], s[0:1], v18, v6, 0
	v_add3_u32 v65, v65, v67, v66
	v_lshl_add_u64 v[54:55], v[54:55], 3, v[8:9]
	v_lshl_add_u64 v[64:65], v[64:65], 3, v[8:9]
	s_mov_b64 s[18:19], 0
	v_mov_b64_e32 v[66:67], v[6:7]
                                        ; implicit-def: $sgpr16_sgpr17
                                        ; implicit-def: $sgpr20_sgpr21
                                        ; implicit-def: $sgpr24_sgpr25
                                        ; implicit-def: $sgpr22_sgpr23
                                        ; implicit-def: $sgpr26_sgpr27
                                        ; implicit-def: $sgpr28_sgpr29
	s_branch .LBB1616_92
.LBB1616_91:                            ;   in Loop: Header=BB1616_92 Depth=1
	s_or_b64 exec, exec, s[30:31]
	s_and_b64 s[0:1], exec, s[24:25]
	s_or_b64 s[18:19], s[0:1], s[18:19]
	s_andn2_b64 s[0:1], s[28:29], exec
	s_and_b64 s[4:5], s[26:27], exec
	s_or_b64 s[28:29], s[0:1], s[4:5]
	s_andn2_b64 s[0:1], s[20:21], exec
	s_and_b64 s[4:5], s[22:23], exec
	;; [unrolled: 3-line block ×3, first 2 shown]
	s_or_b64 s[16:17], s[0:1], s[2:3]
	s_andn2_b64 exec, exec, s[18:19]
	s_cbranch_execz .LBB1616_94
.LBB1616_92:                            ; =>This Inner Loop Header: Depth=1
	flat_load_dwordx2 v[68:69], v[64:65]
	flat_load_dwordx2 v[70:71], v[54:55]
	s_andn2_b64 s[26:27], s[26:27], exec
	s_or_b64 s[22:23], s[22:23], exec
	s_or_b64 s[24:25], s[24:25], exec
	s_waitcnt vmcnt(0) lgkmcnt(0)
	v_cmp_le_u64_e64 s[2:3], v[68:69], v[70:71]
	v_cmp_lt_u64_e64 s[0:1], v[68:69], v[70:71]
	s_and_b64 s[2:3], s[2:3], s[28:29]
	v_cmp_eq_u64_e64 s[4:5], v[68:69], v[70:71]
	s_or_b64 s[2:3], s[0:1], s[2:3]
	s_and_saveexec_b64 s[30:31], s[4:5]
	s_cbranch_execz .LBB1616_91
; %bb.93:                               ;   in Loop: Header=BB1616_92 Depth=1
	v_lshl_add_u64 v[66:67], v[66:67], 0, -1
	v_cmp_eq_u64_e64 s[0:1], 0, v[66:67]
	s_andn2_b64 s[4:5], s[26:27], exec
	s_and_b64 s[26:27], s[2:3], exec
	s_or_b64 s[26:27], s[4:5], s[26:27]
	s_andn2_b64 s[4:5], s[24:25], exec
	s_and_b64 s[0:1], s[0:1], exec
	v_lshl_add_u64 v[54:55], v[54:55], 0, 8
	v_lshl_add_u64 v[64:65], v[64:65], 0, 8
	s_andn2_b64 s[22:23], s[22:23], exec
	s_or_b64 s[24:25], s[4:5], s[0:1]
                                        ; implicit-def: $sgpr28_sgpr29
	s_branch .LBB1616_91
.LBB1616_94:
	s_or_b64 exec, exec, s[18:19]
	s_and_saveexec_b64 s[0:1], s[20:21]
	s_xor_b64 s[0:1], exec, s[0:1]
; %bb.95:
	v_cndmask_b32_e64 v55, v17, v19, s[16:17]
	v_cndmask_b32_e64 v54, v16, v18, s[16:17]
	;; [unrolled: 1-line block ×4, first 2 shown]
	v_mov_b64_e32 v[16:17], v[54:55]
; %bb.96:
	s_or_b64 exec, exec, s[0:1]
	s_or_b64 exec, exec, s[14:15]
	s_and_saveexec_b64 s[14:15], vcc
	s_cbranch_execz .LBB1616_16
.LBB1616_97:
	v_mul_lo_u32 v64, v13, v6
	v_mul_lo_u32 v65, v12, v7
	v_mad_u64_u32 v[54:55], s[0:1], v12, v6, 0
	v_add3_u32 v55, v55, v65, v64
	v_mul_lo_u32 v66, v15, v6
	v_mul_lo_u32 v67, v14, v7
	v_mad_u64_u32 v[64:65], s[0:1], v14, v6, 0
	v_add3_u32 v65, v65, v67, v66
	v_lshl_add_u64 v[54:55], v[54:55], 3, v[8:9]
	v_lshl_add_u64 v[64:65], v[64:65], 3, v[8:9]
	s_mov_b64 s[18:19], 0
	v_mov_b64_e32 v[66:67], v[6:7]
                                        ; implicit-def: $sgpr16_sgpr17
                                        ; implicit-def: $sgpr20_sgpr21
                                        ; implicit-def: $sgpr24_sgpr25
                                        ; implicit-def: $sgpr22_sgpr23
                                        ; implicit-def: $sgpr26_sgpr27
                                        ; implicit-def: $sgpr28_sgpr29
	s_branch .LBB1616_99
.LBB1616_98:                            ;   in Loop: Header=BB1616_99 Depth=1
	s_or_b64 exec, exec, s[30:31]
	s_and_b64 s[0:1], exec, s[24:25]
	s_or_b64 s[18:19], s[0:1], s[18:19]
	s_andn2_b64 s[0:1], s[28:29], exec
	s_and_b64 s[4:5], s[26:27], exec
	s_or_b64 s[28:29], s[0:1], s[4:5]
	s_andn2_b64 s[0:1], s[20:21], exec
	s_and_b64 s[4:5], s[22:23], exec
	;; [unrolled: 3-line block ×3, first 2 shown]
	s_or_b64 s[16:17], s[0:1], s[2:3]
	s_andn2_b64 exec, exec, s[18:19]
	s_cbranch_execz .LBB1616_101
.LBB1616_99:                            ; =>This Inner Loop Header: Depth=1
	flat_load_dwordx2 v[68:69], v[64:65]
	flat_load_dwordx2 v[70:71], v[54:55]
	s_andn2_b64 s[26:27], s[26:27], exec
	s_or_b64 s[22:23], s[22:23], exec
	s_or_b64 s[24:25], s[24:25], exec
	s_waitcnt vmcnt(0) lgkmcnt(0)
	v_cmp_le_u64_e64 s[2:3], v[68:69], v[70:71]
	v_cmp_lt_u64_e64 s[0:1], v[68:69], v[70:71]
	s_and_b64 s[2:3], s[2:3], s[28:29]
	v_cmp_eq_u64_e64 s[4:5], v[68:69], v[70:71]
	s_or_b64 s[2:3], s[0:1], s[2:3]
	s_and_saveexec_b64 s[30:31], s[4:5]
	s_cbranch_execz .LBB1616_98
; %bb.100:                              ;   in Loop: Header=BB1616_99 Depth=1
	v_lshl_add_u64 v[66:67], v[66:67], 0, -1
	v_cmp_eq_u64_e64 s[0:1], 0, v[66:67]
	s_andn2_b64 s[4:5], s[26:27], exec
	s_and_b64 s[26:27], s[2:3], exec
	s_or_b64 s[26:27], s[4:5], s[26:27]
	s_andn2_b64 s[4:5], s[24:25], exec
	s_and_b64 s[0:1], s[0:1], exec
	v_lshl_add_u64 v[54:55], v[54:55], 0, 8
	v_lshl_add_u64 v[64:65], v[64:65], 0, 8
	s_andn2_b64 s[22:23], s[22:23], exec
	s_or_b64 s[24:25], s[4:5], s[0:1]
                                        ; implicit-def: $sgpr28_sgpr29
	s_branch .LBB1616_98
.LBB1616_101:
	s_or_b64 exec, exec, s[18:19]
	s_and_saveexec_b64 s[0:1], s[20:21]
	s_xor_b64 s[0:1], exec, s[0:1]
; %bb.102:
	v_cndmask_b32_e64 v55, v13, v15, s[16:17]
	v_cndmask_b32_e64 v54, v12, v14, s[16:17]
	;; [unrolled: 1-line block ×4, first 2 shown]
	v_mov_b64_e32 v[12:13], v[54:55]
; %bb.103:
	s_or_b64 exec, exec, s[0:1]
	s_or_b64 exec, exec, s[14:15]
	s_and_saveexec_b64 s[14:15], vcc
	s_cbranch_execz .LBB1616_17
.LBB1616_104:
	v_mul_lo_u32 v64, v1, v6
	v_mul_lo_u32 v65, v0, v7
	v_mad_u64_u32 v[54:55], s[0:1], v0, v6, 0
	v_add3_u32 v55, v55, v65, v64
	v_mul_lo_u32 v66, v3, v6
	v_mul_lo_u32 v67, v2, v7
	v_mad_u64_u32 v[64:65], s[0:1], v2, v6, 0
	v_add3_u32 v65, v65, v67, v66
	v_lshl_add_u64 v[54:55], v[54:55], 3, v[8:9]
	v_lshl_add_u64 v[64:65], v[64:65], 3, v[8:9]
	s_mov_b64 s[18:19], 0
	v_mov_b64_e32 v[66:67], v[6:7]
                                        ; implicit-def: $sgpr16_sgpr17
                                        ; implicit-def: $sgpr20_sgpr21
                                        ; implicit-def: $sgpr24_sgpr25
                                        ; implicit-def: $sgpr22_sgpr23
                                        ; implicit-def: $sgpr26_sgpr27
                                        ; implicit-def: $sgpr28_sgpr29
	s_branch .LBB1616_106
.LBB1616_105:                           ;   in Loop: Header=BB1616_106 Depth=1
	s_or_b64 exec, exec, s[30:31]
	s_and_b64 s[0:1], exec, s[24:25]
	s_or_b64 s[18:19], s[0:1], s[18:19]
	s_andn2_b64 s[0:1], s[28:29], exec
	s_and_b64 s[4:5], s[26:27], exec
	s_or_b64 s[28:29], s[0:1], s[4:5]
	s_andn2_b64 s[0:1], s[20:21], exec
	s_and_b64 s[4:5], s[22:23], exec
	;; [unrolled: 3-line block ×3, first 2 shown]
	s_or_b64 s[16:17], s[0:1], s[2:3]
	s_andn2_b64 exec, exec, s[18:19]
	s_cbranch_execz .LBB1616_108
.LBB1616_106:                           ; =>This Inner Loop Header: Depth=1
	flat_load_dwordx2 v[68:69], v[64:65]
	flat_load_dwordx2 v[70:71], v[54:55]
	s_andn2_b64 s[26:27], s[26:27], exec
	s_or_b64 s[22:23], s[22:23], exec
	s_or_b64 s[24:25], s[24:25], exec
	s_waitcnt vmcnt(0) lgkmcnt(0)
	v_cmp_le_u64_e64 s[2:3], v[68:69], v[70:71]
	v_cmp_lt_u64_e64 s[0:1], v[68:69], v[70:71]
	s_and_b64 s[2:3], s[2:3], s[28:29]
	v_cmp_eq_u64_e64 s[4:5], v[68:69], v[70:71]
	s_or_b64 s[2:3], s[0:1], s[2:3]
	s_and_saveexec_b64 s[30:31], s[4:5]
	s_cbranch_execz .LBB1616_105
; %bb.107:                              ;   in Loop: Header=BB1616_106 Depth=1
	v_lshl_add_u64 v[66:67], v[66:67], 0, -1
	v_cmp_eq_u64_e64 s[0:1], 0, v[66:67]
	s_andn2_b64 s[4:5], s[26:27], exec
	s_and_b64 s[26:27], s[2:3], exec
	s_or_b64 s[26:27], s[4:5], s[26:27]
	s_andn2_b64 s[4:5], s[24:25], exec
	s_and_b64 s[0:1], s[0:1], exec
	v_lshl_add_u64 v[54:55], v[54:55], 0, 8
	v_lshl_add_u64 v[64:65], v[64:65], 0, 8
	s_andn2_b64 s[22:23], s[22:23], exec
	s_or_b64 s[24:25], s[4:5], s[0:1]
                                        ; implicit-def: $sgpr28_sgpr29
	s_branch .LBB1616_105
.LBB1616_108:
	s_or_b64 exec, exec, s[18:19]
	s_and_saveexec_b64 s[0:1], s[20:21]
	s_xor_b64 s[0:1], exec, s[0:1]
; %bb.109:
	v_cndmask_b32_e64 v55, v1, v3, s[16:17]
	v_cndmask_b32_e64 v54, v0, v2, s[16:17]
	;; [unrolled: 1-line block ×4, first 2 shown]
	v_mov_b64_e32 v[0:1], v[54:55]
; %bb.110:
	s_or_b64 exec, exec, s[0:1]
	s_or_b64 exec, exec, s[14:15]
	s_and_saveexec_b64 s[14:15], vcc
	s_cbranch_execz .LBB1616_18
.LBB1616_111:
	v_mul_lo_u32 v64, v23, v6
	v_mul_lo_u32 v65, v22, v7
	v_mad_u64_u32 v[54:55], s[0:1], v22, v6, 0
	v_add3_u32 v55, v55, v65, v64
	v_mul_lo_u32 v66, v17, v6
	v_mul_lo_u32 v67, v16, v7
	v_mad_u64_u32 v[64:65], s[0:1], v16, v6, 0
	v_add3_u32 v65, v65, v67, v66
	v_lshl_add_u64 v[54:55], v[54:55], 3, v[8:9]
	v_lshl_add_u64 v[64:65], v[64:65], 3, v[8:9]
	s_mov_b64 s[18:19], 0
	v_mov_b64_e32 v[66:67], v[6:7]
                                        ; implicit-def: $sgpr16_sgpr17
                                        ; implicit-def: $sgpr20_sgpr21
                                        ; implicit-def: $sgpr24_sgpr25
                                        ; implicit-def: $sgpr22_sgpr23
                                        ; implicit-def: $sgpr26_sgpr27
                                        ; implicit-def: $sgpr28_sgpr29
	s_branch .LBB1616_113
.LBB1616_112:                           ;   in Loop: Header=BB1616_113 Depth=1
	s_or_b64 exec, exec, s[30:31]
	s_and_b64 s[0:1], exec, s[24:25]
	s_or_b64 s[18:19], s[0:1], s[18:19]
	s_andn2_b64 s[0:1], s[28:29], exec
	s_and_b64 s[4:5], s[26:27], exec
	s_or_b64 s[28:29], s[0:1], s[4:5]
	s_andn2_b64 s[0:1], s[20:21], exec
	s_and_b64 s[4:5], s[22:23], exec
	;; [unrolled: 3-line block ×3, first 2 shown]
	s_or_b64 s[16:17], s[0:1], s[2:3]
	s_andn2_b64 exec, exec, s[18:19]
	s_cbranch_execz .LBB1616_115
.LBB1616_113:                           ; =>This Inner Loop Header: Depth=1
	flat_load_dwordx2 v[68:69], v[64:65]
	flat_load_dwordx2 v[70:71], v[54:55]
	s_andn2_b64 s[26:27], s[26:27], exec
	s_or_b64 s[22:23], s[22:23], exec
	s_or_b64 s[24:25], s[24:25], exec
	s_waitcnt vmcnt(0) lgkmcnt(0)
	v_cmp_le_u64_e64 s[2:3], v[68:69], v[70:71]
	v_cmp_lt_u64_e64 s[0:1], v[68:69], v[70:71]
	s_and_b64 s[2:3], s[2:3], s[28:29]
	v_cmp_eq_u64_e64 s[4:5], v[68:69], v[70:71]
	s_or_b64 s[2:3], s[0:1], s[2:3]
	s_and_saveexec_b64 s[30:31], s[4:5]
	s_cbranch_execz .LBB1616_112
; %bb.114:                              ;   in Loop: Header=BB1616_113 Depth=1
	v_lshl_add_u64 v[66:67], v[66:67], 0, -1
	v_cmp_eq_u64_e64 s[0:1], 0, v[66:67]
	s_andn2_b64 s[4:5], s[26:27], exec
	s_and_b64 s[26:27], s[2:3], exec
	s_or_b64 s[26:27], s[4:5], s[26:27]
	s_andn2_b64 s[4:5], s[24:25], exec
	s_and_b64 s[0:1], s[0:1], exec
	v_lshl_add_u64 v[54:55], v[54:55], 0, 8
	v_lshl_add_u64 v[64:65], v[64:65], 0, 8
	s_andn2_b64 s[22:23], s[22:23], exec
	s_or_b64 s[24:25], s[4:5], s[0:1]
                                        ; implicit-def: $sgpr28_sgpr29
	s_branch .LBB1616_112
.LBB1616_115:
	s_or_b64 exec, exec, s[18:19]
	s_and_saveexec_b64 s[0:1], s[20:21]
	s_xor_b64 s[0:1], exec, s[0:1]
; %bb.116:
	v_cndmask_b32_e64 v55, v23, v17, s[16:17]
	v_cndmask_b32_e64 v54, v22, v16, s[16:17]
	;; [unrolled: 1-line block ×4, first 2 shown]
	v_mov_b64_e32 v[22:23], v[54:55]
; %bb.117:
	s_or_b64 exec, exec, s[0:1]
	s_or_b64 exec, exec, s[14:15]
	s_and_saveexec_b64 s[14:15], vcc
	s_cbranch_execz .LBB1616_19
.LBB1616_118:
	v_mul_lo_u32 v64, v19, v6
	v_mul_lo_u32 v65, v18, v7
	v_mad_u64_u32 v[54:55], s[0:1], v18, v6, 0
	v_add3_u32 v55, v55, v65, v64
	v_mul_lo_u32 v66, v13, v6
	v_mul_lo_u32 v67, v12, v7
	v_mad_u64_u32 v[64:65], s[0:1], v12, v6, 0
	v_add3_u32 v65, v65, v67, v66
	v_lshl_add_u64 v[54:55], v[54:55], 3, v[8:9]
	v_lshl_add_u64 v[64:65], v[64:65], 3, v[8:9]
	s_mov_b64 s[18:19], 0
	v_mov_b64_e32 v[66:67], v[6:7]
                                        ; implicit-def: $sgpr16_sgpr17
                                        ; implicit-def: $sgpr20_sgpr21
                                        ; implicit-def: $sgpr24_sgpr25
                                        ; implicit-def: $sgpr22_sgpr23
                                        ; implicit-def: $sgpr26_sgpr27
                                        ; implicit-def: $sgpr28_sgpr29
	s_branch .LBB1616_120
.LBB1616_119:                           ;   in Loop: Header=BB1616_120 Depth=1
	s_or_b64 exec, exec, s[30:31]
	s_and_b64 s[0:1], exec, s[24:25]
	s_or_b64 s[18:19], s[0:1], s[18:19]
	s_andn2_b64 s[0:1], s[28:29], exec
	s_and_b64 s[4:5], s[26:27], exec
	s_or_b64 s[28:29], s[0:1], s[4:5]
	s_andn2_b64 s[0:1], s[20:21], exec
	s_and_b64 s[4:5], s[22:23], exec
	;; [unrolled: 3-line block ×3, first 2 shown]
	s_or_b64 s[16:17], s[0:1], s[2:3]
	s_andn2_b64 exec, exec, s[18:19]
	s_cbranch_execz .LBB1616_122
.LBB1616_120:                           ; =>This Inner Loop Header: Depth=1
	flat_load_dwordx2 v[68:69], v[64:65]
	flat_load_dwordx2 v[70:71], v[54:55]
	s_andn2_b64 s[26:27], s[26:27], exec
	s_or_b64 s[22:23], s[22:23], exec
	s_or_b64 s[24:25], s[24:25], exec
	s_waitcnt vmcnt(0) lgkmcnt(0)
	v_cmp_le_u64_e64 s[2:3], v[68:69], v[70:71]
	v_cmp_lt_u64_e64 s[0:1], v[68:69], v[70:71]
	s_and_b64 s[2:3], s[2:3], s[28:29]
	v_cmp_eq_u64_e64 s[4:5], v[68:69], v[70:71]
	s_or_b64 s[2:3], s[0:1], s[2:3]
	s_and_saveexec_b64 s[30:31], s[4:5]
	s_cbranch_execz .LBB1616_119
; %bb.121:                              ;   in Loop: Header=BB1616_120 Depth=1
	v_lshl_add_u64 v[66:67], v[66:67], 0, -1
	v_cmp_eq_u64_e64 s[0:1], 0, v[66:67]
	s_andn2_b64 s[4:5], s[26:27], exec
	s_and_b64 s[26:27], s[2:3], exec
	s_or_b64 s[26:27], s[4:5], s[26:27]
	s_andn2_b64 s[4:5], s[24:25], exec
	s_and_b64 s[0:1], s[0:1], exec
	v_lshl_add_u64 v[54:55], v[54:55], 0, 8
	v_lshl_add_u64 v[64:65], v[64:65], 0, 8
	s_andn2_b64 s[22:23], s[22:23], exec
	s_or_b64 s[24:25], s[4:5], s[0:1]
                                        ; implicit-def: $sgpr28_sgpr29
	s_branch .LBB1616_119
.LBB1616_122:
	s_or_b64 exec, exec, s[18:19]
	s_and_saveexec_b64 s[0:1], s[20:21]
	s_xor_b64 s[0:1], exec, s[0:1]
; %bb.123:
	v_cndmask_b32_e64 v55, v19, v13, s[16:17]
	v_cndmask_b32_e64 v54, v18, v12, s[16:17]
	;; [unrolled: 1-line block ×4, first 2 shown]
	v_mov_b64_e32 v[18:19], v[54:55]
; %bb.124:
	s_or_b64 exec, exec, s[0:1]
	s_or_b64 exec, exec, s[14:15]
	s_and_saveexec_b64 s[14:15], vcc
	s_cbranch_execz .LBB1616_20
.LBB1616_125:
	v_mul_lo_u32 v64, v15, v6
	v_mul_lo_u32 v65, v14, v7
	v_mad_u64_u32 v[54:55], s[0:1], v14, v6, 0
	v_add3_u32 v55, v55, v65, v64
	v_mul_lo_u32 v66, v1, v6
	v_mul_lo_u32 v67, v0, v7
	v_mad_u64_u32 v[64:65], s[0:1], v0, v6, 0
	v_add3_u32 v65, v65, v67, v66
	v_lshl_add_u64 v[54:55], v[54:55], 3, v[8:9]
	v_lshl_add_u64 v[64:65], v[64:65], 3, v[8:9]
	s_mov_b64 s[18:19], 0
	v_mov_b64_e32 v[66:67], v[6:7]
                                        ; implicit-def: $sgpr16_sgpr17
                                        ; implicit-def: $sgpr20_sgpr21
                                        ; implicit-def: $sgpr24_sgpr25
                                        ; implicit-def: $sgpr22_sgpr23
                                        ; implicit-def: $sgpr26_sgpr27
                                        ; implicit-def: $sgpr28_sgpr29
	s_branch .LBB1616_127
.LBB1616_126:                           ;   in Loop: Header=BB1616_127 Depth=1
	s_or_b64 exec, exec, s[30:31]
	s_and_b64 s[0:1], exec, s[24:25]
	s_or_b64 s[18:19], s[0:1], s[18:19]
	s_andn2_b64 s[0:1], s[28:29], exec
	s_and_b64 s[4:5], s[26:27], exec
	s_or_b64 s[28:29], s[0:1], s[4:5]
	s_andn2_b64 s[0:1], s[20:21], exec
	s_and_b64 s[4:5], s[22:23], exec
	;; [unrolled: 3-line block ×3, first 2 shown]
	s_or_b64 s[16:17], s[0:1], s[2:3]
	s_andn2_b64 exec, exec, s[18:19]
	s_cbranch_execz .LBB1616_129
.LBB1616_127:                           ; =>This Inner Loop Header: Depth=1
	flat_load_dwordx2 v[68:69], v[64:65]
	flat_load_dwordx2 v[70:71], v[54:55]
	s_andn2_b64 s[26:27], s[26:27], exec
	s_or_b64 s[22:23], s[22:23], exec
	s_or_b64 s[24:25], s[24:25], exec
	s_waitcnt vmcnt(0) lgkmcnt(0)
	v_cmp_le_u64_e64 s[2:3], v[68:69], v[70:71]
	v_cmp_lt_u64_e64 s[0:1], v[68:69], v[70:71]
	s_and_b64 s[2:3], s[2:3], s[28:29]
	v_cmp_eq_u64_e64 s[4:5], v[68:69], v[70:71]
	s_or_b64 s[2:3], s[0:1], s[2:3]
	s_and_saveexec_b64 s[30:31], s[4:5]
	s_cbranch_execz .LBB1616_126
; %bb.128:                              ;   in Loop: Header=BB1616_127 Depth=1
	v_lshl_add_u64 v[66:67], v[66:67], 0, -1
	v_cmp_eq_u64_e64 s[0:1], 0, v[66:67]
	s_andn2_b64 s[4:5], s[26:27], exec
	s_and_b64 s[26:27], s[2:3], exec
	s_or_b64 s[26:27], s[4:5], s[26:27]
	s_andn2_b64 s[4:5], s[24:25], exec
	s_and_b64 s[0:1], s[0:1], exec
	v_lshl_add_u64 v[54:55], v[54:55], 0, 8
	v_lshl_add_u64 v[64:65], v[64:65], 0, 8
	s_andn2_b64 s[22:23], s[22:23], exec
	s_or_b64 s[24:25], s[4:5], s[0:1]
                                        ; implicit-def: $sgpr28_sgpr29
	s_branch .LBB1616_126
.LBB1616_129:
	s_or_b64 exec, exec, s[18:19]
	s_and_saveexec_b64 s[0:1], s[20:21]
	s_xor_b64 s[0:1], exec, s[0:1]
; %bb.130:
	v_cndmask_b32_e64 v55, v15, v1, s[16:17]
	v_cndmask_b32_e64 v54, v14, v0, s[16:17]
	;; [unrolled: 1-line block ×4, first 2 shown]
	v_mov_b64_e32 v[14:15], v[54:55]
; %bb.131:
	s_or_b64 exec, exec, s[0:1]
	s_or_b64 exec, exec, s[14:15]
	s_and_saveexec_b64 s[14:15], vcc
	s_cbranch_execz .LBB1616_21
.LBB1616_132:
	v_mul_lo_u32 v64, v21, v6
	v_mul_lo_u32 v65, v20, v7
	v_mad_u64_u32 v[54:55], s[0:1], v20, v6, 0
	v_add3_u32 v55, v55, v65, v64
	v_mul_lo_u32 v66, v23, v6
	v_mul_lo_u32 v67, v22, v7
	v_mad_u64_u32 v[64:65], s[0:1], v22, v6, 0
	v_add3_u32 v65, v65, v67, v66
	v_lshl_add_u64 v[54:55], v[54:55], 3, v[8:9]
	v_lshl_add_u64 v[64:65], v[64:65], 3, v[8:9]
	s_mov_b64 s[18:19], 0
	v_mov_b64_e32 v[66:67], v[6:7]
                                        ; implicit-def: $sgpr16_sgpr17
                                        ; implicit-def: $sgpr20_sgpr21
                                        ; implicit-def: $sgpr24_sgpr25
                                        ; implicit-def: $sgpr22_sgpr23
                                        ; implicit-def: $sgpr26_sgpr27
                                        ; implicit-def: $sgpr28_sgpr29
	s_branch .LBB1616_134
.LBB1616_133:                           ;   in Loop: Header=BB1616_134 Depth=1
	s_or_b64 exec, exec, s[30:31]
	s_and_b64 s[0:1], exec, s[24:25]
	s_or_b64 s[18:19], s[0:1], s[18:19]
	s_andn2_b64 s[0:1], s[28:29], exec
	s_and_b64 s[4:5], s[26:27], exec
	s_or_b64 s[28:29], s[0:1], s[4:5]
	s_andn2_b64 s[0:1], s[20:21], exec
	s_and_b64 s[4:5], s[22:23], exec
	;; [unrolled: 3-line block ×3, first 2 shown]
	s_or_b64 s[16:17], s[0:1], s[2:3]
	s_andn2_b64 exec, exec, s[18:19]
	s_cbranch_execz .LBB1616_136
.LBB1616_134:                           ; =>This Inner Loop Header: Depth=1
	flat_load_dwordx2 v[68:69], v[64:65]
	flat_load_dwordx2 v[70:71], v[54:55]
	s_andn2_b64 s[26:27], s[26:27], exec
	s_or_b64 s[22:23], s[22:23], exec
	s_or_b64 s[24:25], s[24:25], exec
	s_waitcnt vmcnt(0) lgkmcnt(0)
	v_cmp_le_u64_e64 s[2:3], v[68:69], v[70:71]
	v_cmp_lt_u64_e64 s[0:1], v[68:69], v[70:71]
	s_and_b64 s[2:3], s[2:3], s[28:29]
	v_cmp_eq_u64_e64 s[4:5], v[68:69], v[70:71]
	s_or_b64 s[2:3], s[0:1], s[2:3]
	s_and_saveexec_b64 s[30:31], s[4:5]
	s_cbranch_execz .LBB1616_133
; %bb.135:                              ;   in Loop: Header=BB1616_134 Depth=1
	v_lshl_add_u64 v[66:67], v[66:67], 0, -1
	v_cmp_eq_u64_e64 s[0:1], 0, v[66:67]
	s_andn2_b64 s[4:5], s[26:27], exec
	s_and_b64 s[26:27], s[2:3], exec
	s_or_b64 s[26:27], s[4:5], s[26:27]
	s_andn2_b64 s[4:5], s[24:25], exec
	s_and_b64 s[0:1], s[0:1], exec
	v_lshl_add_u64 v[54:55], v[54:55], 0, 8
	v_lshl_add_u64 v[64:65], v[64:65], 0, 8
	s_andn2_b64 s[22:23], s[22:23], exec
	s_or_b64 s[24:25], s[4:5], s[0:1]
                                        ; implicit-def: $sgpr28_sgpr29
	s_branch .LBB1616_133
.LBB1616_136:
	s_or_b64 exec, exec, s[18:19]
	s_and_saveexec_b64 s[0:1], s[20:21]
	s_xor_b64 s[0:1], exec, s[0:1]
; %bb.137:
	v_cndmask_b32_e64 v55, v23, v21, s[16:17]
	v_cndmask_b32_e64 v54, v22, v20, s[16:17]
	;; [unrolled: 1-line block ×4, first 2 shown]
	v_mov_b64_e32 v[22:23], v[54:55]
; %bb.138:
	s_or_b64 exec, exec, s[0:1]
	s_or_b64 exec, exec, s[14:15]
	s_and_saveexec_b64 s[14:15], vcc
	s_cbranch_execz .LBB1616_22
.LBB1616_139:
	v_mul_lo_u32 v64, v17, v6
	v_mul_lo_u32 v65, v16, v7
	v_mad_u64_u32 v[54:55], s[0:1], v16, v6, 0
	v_add3_u32 v55, v55, v65, v64
	v_mul_lo_u32 v66, v19, v6
	v_mul_lo_u32 v67, v18, v7
	v_mad_u64_u32 v[64:65], s[0:1], v18, v6, 0
	v_add3_u32 v65, v65, v67, v66
	v_lshl_add_u64 v[54:55], v[54:55], 3, v[8:9]
	v_lshl_add_u64 v[64:65], v[64:65], 3, v[8:9]
	s_mov_b64 s[18:19], 0
	v_mov_b64_e32 v[66:67], v[6:7]
                                        ; implicit-def: $sgpr16_sgpr17
                                        ; implicit-def: $sgpr20_sgpr21
                                        ; implicit-def: $sgpr24_sgpr25
                                        ; implicit-def: $sgpr22_sgpr23
                                        ; implicit-def: $sgpr26_sgpr27
                                        ; implicit-def: $sgpr28_sgpr29
	s_branch .LBB1616_141
.LBB1616_140:                           ;   in Loop: Header=BB1616_141 Depth=1
	s_or_b64 exec, exec, s[30:31]
	s_and_b64 s[0:1], exec, s[24:25]
	s_or_b64 s[18:19], s[0:1], s[18:19]
	s_andn2_b64 s[0:1], s[28:29], exec
	s_and_b64 s[4:5], s[26:27], exec
	s_or_b64 s[28:29], s[0:1], s[4:5]
	s_andn2_b64 s[0:1], s[20:21], exec
	s_and_b64 s[4:5], s[22:23], exec
	;; [unrolled: 3-line block ×3, first 2 shown]
	s_or_b64 s[16:17], s[0:1], s[2:3]
	s_andn2_b64 exec, exec, s[18:19]
	s_cbranch_execz .LBB1616_143
.LBB1616_141:                           ; =>This Inner Loop Header: Depth=1
	flat_load_dwordx2 v[68:69], v[64:65]
	flat_load_dwordx2 v[70:71], v[54:55]
	s_andn2_b64 s[26:27], s[26:27], exec
	s_or_b64 s[22:23], s[22:23], exec
	s_or_b64 s[24:25], s[24:25], exec
	s_waitcnt vmcnt(0) lgkmcnt(0)
	v_cmp_le_u64_e64 s[2:3], v[68:69], v[70:71]
	v_cmp_lt_u64_e64 s[0:1], v[68:69], v[70:71]
	s_and_b64 s[2:3], s[2:3], s[28:29]
	v_cmp_eq_u64_e64 s[4:5], v[68:69], v[70:71]
	s_or_b64 s[2:3], s[0:1], s[2:3]
	s_and_saveexec_b64 s[30:31], s[4:5]
	s_cbranch_execz .LBB1616_140
; %bb.142:                              ;   in Loop: Header=BB1616_141 Depth=1
	v_lshl_add_u64 v[66:67], v[66:67], 0, -1
	v_cmp_eq_u64_e64 s[0:1], 0, v[66:67]
	s_andn2_b64 s[4:5], s[26:27], exec
	s_and_b64 s[26:27], s[2:3], exec
	s_or_b64 s[26:27], s[4:5], s[26:27]
	s_andn2_b64 s[4:5], s[24:25], exec
	s_and_b64 s[0:1], s[0:1], exec
	v_lshl_add_u64 v[54:55], v[54:55], 0, 8
	v_lshl_add_u64 v[64:65], v[64:65], 0, 8
	s_andn2_b64 s[22:23], s[22:23], exec
	s_or_b64 s[24:25], s[4:5], s[0:1]
                                        ; implicit-def: $sgpr28_sgpr29
	s_branch .LBB1616_140
.LBB1616_143:
	s_or_b64 exec, exec, s[18:19]
	s_and_saveexec_b64 s[0:1], s[20:21]
	s_xor_b64 s[0:1], exec, s[0:1]
; %bb.144:
	v_cndmask_b32_e64 v55, v17, v19, s[16:17]
	v_cndmask_b32_e64 v54, v16, v18, s[16:17]
	;; [unrolled: 1-line block ×4, first 2 shown]
	v_mov_b64_e32 v[16:17], v[54:55]
; %bb.145:
	s_or_b64 exec, exec, s[0:1]
	s_or_b64 exec, exec, s[14:15]
	s_and_saveexec_b64 s[14:15], vcc
	s_cbranch_execz .LBB1616_23
.LBB1616_146:
	v_mul_lo_u32 v64, v13, v6
	v_mul_lo_u32 v65, v12, v7
	v_mad_u64_u32 v[54:55], s[0:1], v12, v6, 0
	v_add3_u32 v55, v55, v65, v64
	v_mul_lo_u32 v66, v15, v6
	v_mul_lo_u32 v67, v14, v7
	v_mad_u64_u32 v[64:65], s[0:1], v14, v6, 0
	v_add3_u32 v65, v65, v67, v66
	v_lshl_add_u64 v[54:55], v[54:55], 3, v[8:9]
	v_lshl_add_u64 v[64:65], v[64:65], 3, v[8:9]
	s_mov_b64 s[18:19], 0
	v_mov_b64_e32 v[66:67], v[6:7]
                                        ; implicit-def: $sgpr16_sgpr17
                                        ; implicit-def: $sgpr20_sgpr21
                                        ; implicit-def: $sgpr24_sgpr25
                                        ; implicit-def: $sgpr22_sgpr23
                                        ; implicit-def: $sgpr26_sgpr27
                                        ; implicit-def: $sgpr28_sgpr29
	s_branch .LBB1616_148
.LBB1616_147:                           ;   in Loop: Header=BB1616_148 Depth=1
	s_or_b64 exec, exec, s[30:31]
	s_and_b64 s[0:1], exec, s[24:25]
	s_or_b64 s[18:19], s[0:1], s[18:19]
	s_andn2_b64 s[0:1], s[28:29], exec
	s_and_b64 s[4:5], s[26:27], exec
	s_or_b64 s[28:29], s[0:1], s[4:5]
	s_andn2_b64 s[0:1], s[20:21], exec
	s_and_b64 s[4:5], s[22:23], exec
	;; [unrolled: 3-line block ×3, first 2 shown]
	s_or_b64 s[16:17], s[0:1], s[2:3]
	s_andn2_b64 exec, exec, s[18:19]
	s_cbranch_execz .LBB1616_150
.LBB1616_148:                           ; =>This Inner Loop Header: Depth=1
	flat_load_dwordx2 v[68:69], v[64:65]
	flat_load_dwordx2 v[70:71], v[54:55]
	s_andn2_b64 s[26:27], s[26:27], exec
	s_or_b64 s[22:23], s[22:23], exec
	s_or_b64 s[24:25], s[24:25], exec
	s_waitcnt vmcnt(0) lgkmcnt(0)
	v_cmp_le_u64_e64 s[2:3], v[68:69], v[70:71]
	v_cmp_lt_u64_e64 s[0:1], v[68:69], v[70:71]
	s_and_b64 s[2:3], s[2:3], s[28:29]
	v_cmp_eq_u64_e64 s[4:5], v[68:69], v[70:71]
	s_or_b64 s[2:3], s[0:1], s[2:3]
	s_and_saveexec_b64 s[30:31], s[4:5]
	s_cbranch_execz .LBB1616_147
; %bb.149:                              ;   in Loop: Header=BB1616_148 Depth=1
	v_lshl_add_u64 v[66:67], v[66:67], 0, -1
	v_cmp_eq_u64_e64 s[0:1], 0, v[66:67]
	s_andn2_b64 s[4:5], s[26:27], exec
	s_and_b64 s[26:27], s[2:3], exec
	s_or_b64 s[26:27], s[4:5], s[26:27]
	s_andn2_b64 s[4:5], s[24:25], exec
	s_and_b64 s[0:1], s[0:1], exec
	v_lshl_add_u64 v[54:55], v[54:55], 0, 8
	v_lshl_add_u64 v[64:65], v[64:65], 0, 8
	s_andn2_b64 s[22:23], s[22:23], exec
	s_or_b64 s[24:25], s[4:5], s[0:1]
                                        ; implicit-def: $sgpr28_sgpr29
	s_branch .LBB1616_147
.LBB1616_150:
	s_or_b64 exec, exec, s[18:19]
	s_and_saveexec_b64 s[0:1], s[20:21]
	s_xor_b64 s[0:1], exec, s[0:1]
; %bb.151:
	v_cndmask_b32_e64 v55, v13, v15, s[16:17]
	v_cndmask_b32_e64 v54, v12, v14, s[16:17]
	v_cndmask_b32_e64 v15, v15, v13, s[16:17]
	v_cndmask_b32_e64 v14, v14, v12, s[16:17]
	v_mov_b64_e32 v[12:13], v[54:55]
; %bb.152:
	s_or_b64 exec, exec, s[0:1]
	s_or_b64 exec, exec, s[14:15]
	s_and_saveexec_b64 s[14:15], vcc
	s_cbranch_execz .LBB1616_24
.LBB1616_153:
	v_mul_lo_u32 v64, v1, v6
	v_mul_lo_u32 v65, v0, v7
	v_mad_u64_u32 v[54:55], s[0:1], v0, v6, 0
	v_add3_u32 v55, v55, v65, v64
	v_mul_lo_u32 v66, v3, v6
	v_mul_lo_u32 v67, v2, v7
	v_mad_u64_u32 v[64:65], s[0:1], v2, v6, 0
	v_add3_u32 v65, v65, v67, v66
	v_lshl_add_u64 v[54:55], v[54:55], 3, v[8:9]
	v_lshl_add_u64 v[64:65], v[64:65], 3, v[8:9]
	s_mov_b64 s[18:19], 0
	v_mov_b64_e32 v[66:67], v[6:7]
                                        ; implicit-def: $sgpr16_sgpr17
                                        ; implicit-def: $sgpr20_sgpr21
                                        ; implicit-def: $sgpr24_sgpr25
                                        ; implicit-def: $sgpr22_sgpr23
                                        ; implicit-def: $sgpr26_sgpr27
                                        ; implicit-def: $sgpr28_sgpr29
	s_branch .LBB1616_155
.LBB1616_154:                           ;   in Loop: Header=BB1616_155 Depth=1
	s_or_b64 exec, exec, s[30:31]
	s_and_b64 s[0:1], exec, s[24:25]
	s_or_b64 s[18:19], s[0:1], s[18:19]
	s_andn2_b64 s[0:1], s[28:29], exec
	s_and_b64 s[4:5], s[26:27], exec
	s_or_b64 s[28:29], s[0:1], s[4:5]
	s_andn2_b64 s[0:1], s[20:21], exec
	s_and_b64 s[4:5], s[22:23], exec
	s_or_b64 s[20:21], s[0:1], s[4:5]
	s_andn2_b64 s[0:1], s[16:17], exec
	s_and_b64 s[2:3], s[2:3], exec
	s_or_b64 s[16:17], s[0:1], s[2:3]
	s_andn2_b64 exec, exec, s[18:19]
	s_cbranch_execz .LBB1616_157
.LBB1616_155:                           ; =>This Inner Loop Header: Depth=1
	flat_load_dwordx2 v[68:69], v[64:65]
	flat_load_dwordx2 v[70:71], v[54:55]
	s_andn2_b64 s[26:27], s[26:27], exec
	s_or_b64 s[22:23], s[22:23], exec
	s_or_b64 s[24:25], s[24:25], exec
	s_waitcnt vmcnt(0) lgkmcnt(0)
	v_cmp_le_u64_e64 s[2:3], v[68:69], v[70:71]
	v_cmp_lt_u64_e64 s[0:1], v[68:69], v[70:71]
	s_and_b64 s[2:3], s[2:3], s[28:29]
	v_cmp_eq_u64_e64 s[4:5], v[68:69], v[70:71]
	s_or_b64 s[2:3], s[0:1], s[2:3]
	s_and_saveexec_b64 s[30:31], s[4:5]
	s_cbranch_execz .LBB1616_154
; %bb.156:                              ;   in Loop: Header=BB1616_155 Depth=1
	v_lshl_add_u64 v[66:67], v[66:67], 0, -1
	v_cmp_eq_u64_e64 s[0:1], 0, v[66:67]
	s_andn2_b64 s[4:5], s[26:27], exec
	s_and_b64 s[26:27], s[2:3], exec
	s_or_b64 s[26:27], s[4:5], s[26:27]
	s_andn2_b64 s[4:5], s[24:25], exec
	s_and_b64 s[0:1], s[0:1], exec
	v_lshl_add_u64 v[54:55], v[54:55], 0, 8
	v_lshl_add_u64 v[64:65], v[64:65], 0, 8
	s_andn2_b64 s[22:23], s[22:23], exec
	s_or_b64 s[24:25], s[4:5], s[0:1]
                                        ; implicit-def: $sgpr28_sgpr29
	s_branch .LBB1616_154
.LBB1616_157:
	s_or_b64 exec, exec, s[18:19]
	s_and_saveexec_b64 s[0:1], s[20:21]
	s_xor_b64 s[0:1], exec, s[0:1]
; %bb.158:
	v_cndmask_b32_e64 v55, v1, v3, s[16:17]
	v_cndmask_b32_e64 v54, v0, v2, s[16:17]
	;; [unrolled: 1-line block ×4, first 2 shown]
	v_mov_b64_e32 v[0:1], v[54:55]
; %bb.159:
	s_or_b64 exec, exec, s[0:1]
	s_or_b64 exec, exec, s[14:15]
	s_and_saveexec_b64 s[14:15], vcc
	s_cbranch_execz .LBB1616_25
.LBB1616_160:
	v_mul_lo_u32 v64, v23, v6
	v_mul_lo_u32 v65, v22, v7
	v_mad_u64_u32 v[54:55], s[0:1], v22, v6, 0
	v_add3_u32 v55, v55, v65, v64
	v_mul_lo_u32 v66, v17, v6
	v_mul_lo_u32 v67, v16, v7
	v_mad_u64_u32 v[64:65], s[0:1], v16, v6, 0
	v_add3_u32 v65, v65, v67, v66
	v_lshl_add_u64 v[54:55], v[54:55], 3, v[8:9]
	v_lshl_add_u64 v[64:65], v[64:65], 3, v[8:9]
	s_mov_b64 s[18:19], 0
	v_mov_b64_e32 v[66:67], v[6:7]
                                        ; implicit-def: $sgpr16_sgpr17
                                        ; implicit-def: $sgpr20_sgpr21
                                        ; implicit-def: $sgpr24_sgpr25
                                        ; implicit-def: $sgpr22_sgpr23
                                        ; implicit-def: $sgpr26_sgpr27
                                        ; implicit-def: $sgpr28_sgpr29
	s_branch .LBB1616_162
.LBB1616_161:                           ;   in Loop: Header=BB1616_162 Depth=1
	s_or_b64 exec, exec, s[30:31]
	s_and_b64 s[0:1], exec, s[24:25]
	s_or_b64 s[18:19], s[0:1], s[18:19]
	s_andn2_b64 s[0:1], s[28:29], exec
	s_and_b64 s[4:5], s[26:27], exec
	s_or_b64 s[28:29], s[0:1], s[4:5]
	s_andn2_b64 s[0:1], s[20:21], exec
	s_and_b64 s[4:5], s[22:23], exec
	;; [unrolled: 3-line block ×3, first 2 shown]
	s_or_b64 s[16:17], s[0:1], s[2:3]
	s_andn2_b64 exec, exec, s[18:19]
	s_cbranch_execz .LBB1616_164
.LBB1616_162:                           ; =>This Inner Loop Header: Depth=1
	flat_load_dwordx2 v[68:69], v[64:65]
	flat_load_dwordx2 v[70:71], v[54:55]
	s_andn2_b64 s[26:27], s[26:27], exec
	s_or_b64 s[22:23], s[22:23], exec
	s_or_b64 s[24:25], s[24:25], exec
	s_waitcnt vmcnt(0) lgkmcnt(0)
	v_cmp_le_u64_e64 s[2:3], v[68:69], v[70:71]
	v_cmp_lt_u64_e64 s[0:1], v[68:69], v[70:71]
	s_and_b64 s[2:3], s[2:3], s[28:29]
	v_cmp_eq_u64_e64 s[4:5], v[68:69], v[70:71]
	s_or_b64 s[2:3], s[0:1], s[2:3]
	s_and_saveexec_b64 s[30:31], s[4:5]
	s_cbranch_execz .LBB1616_161
; %bb.163:                              ;   in Loop: Header=BB1616_162 Depth=1
	v_lshl_add_u64 v[66:67], v[66:67], 0, -1
	v_cmp_eq_u64_e64 s[0:1], 0, v[66:67]
	s_andn2_b64 s[4:5], s[26:27], exec
	s_and_b64 s[26:27], s[2:3], exec
	s_or_b64 s[26:27], s[4:5], s[26:27]
	s_andn2_b64 s[4:5], s[24:25], exec
	s_and_b64 s[0:1], s[0:1], exec
	v_lshl_add_u64 v[54:55], v[54:55], 0, 8
	v_lshl_add_u64 v[64:65], v[64:65], 0, 8
	s_andn2_b64 s[22:23], s[22:23], exec
	s_or_b64 s[24:25], s[4:5], s[0:1]
                                        ; implicit-def: $sgpr28_sgpr29
	s_branch .LBB1616_161
.LBB1616_164:
	s_or_b64 exec, exec, s[18:19]
	s_and_saveexec_b64 s[0:1], s[20:21]
	s_xor_b64 s[0:1], exec, s[0:1]
; %bb.165:
	v_cndmask_b32_e64 v55, v23, v17, s[16:17]
	v_cndmask_b32_e64 v54, v22, v16, s[16:17]
	;; [unrolled: 1-line block ×4, first 2 shown]
	v_mov_b64_e32 v[22:23], v[54:55]
; %bb.166:
	s_or_b64 exec, exec, s[0:1]
	s_or_b64 exec, exec, s[14:15]
	s_and_saveexec_b64 s[14:15], vcc
	s_cbranch_execz .LBB1616_26
.LBB1616_167:
	v_mul_lo_u32 v64, v19, v6
	v_mul_lo_u32 v65, v18, v7
	v_mad_u64_u32 v[54:55], s[0:1], v18, v6, 0
	v_add3_u32 v55, v55, v65, v64
	v_mul_lo_u32 v66, v13, v6
	v_mul_lo_u32 v67, v12, v7
	v_mad_u64_u32 v[64:65], s[0:1], v12, v6, 0
	v_add3_u32 v65, v65, v67, v66
	v_lshl_add_u64 v[54:55], v[54:55], 3, v[8:9]
	v_lshl_add_u64 v[64:65], v[64:65], 3, v[8:9]
	s_mov_b64 s[18:19], 0
	v_mov_b64_e32 v[66:67], v[6:7]
                                        ; implicit-def: $sgpr16_sgpr17
                                        ; implicit-def: $sgpr20_sgpr21
                                        ; implicit-def: $sgpr24_sgpr25
                                        ; implicit-def: $sgpr22_sgpr23
                                        ; implicit-def: $sgpr26_sgpr27
                                        ; implicit-def: $sgpr28_sgpr29
	s_branch .LBB1616_169
.LBB1616_168:                           ;   in Loop: Header=BB1616_169 Depth=1
	s_or_b64 exec, exec, s[30:31]
	s_and_b64 s[0:1], exec, s[24:25]
	s_or_b64 s[18:19], s[0:1], s[18:19]
	s_andn2_b64 s[0:1], s[28:29], exec
	s_and_b64 s[4:5], s[26:27], exec
	s_or_b64 s[28:29], s[0:1], s[4:5]
	s_andn2_b64 s[0:1], s[20:21], exec
	s_and_b64 s[4:5], s[22:23], exec
	;; [unrolled: 3-line block ×3, first 2 shown]
	s_or_b64 s[16:17], s[0:1], s[2:3]
	s_andn2_b64 exec, exec, s[18:19]
	s_cbranch_execz .LBB1616_171
.LBB1616_169:                           ; =>This Inner Loop Header: Depth=1
	flat_load_dwordx2 v[68:69], v[64:65]
	flat_load_dwordx2 v[70:71], v[54:55]
	s_andn2_b64 s[26:27], s[26:27], exec
	s_or_b64 s[22:23], s[22:23], exec
	s_or_b64 s[24:25], s[24:25], exec
	s_waitcnt vmcnt(0) lgkmcnt(0)
	v_cmp_le_u64_e64 s[2:3], v[68:69], v[70:71]
	v_cmp_lt_u64_e64 s[0:1], v[68:69], v[70:71]
	s_and_b64 s[2:3], s[2:3], s[28:29]
	v_cmp_eq_u64_e64 s[4:5], v[68:69], v[70:71]
	s_or_b64 s[2:3], s[0:1], s[2:3]
	s_and_saveexec_b64 s[30:31], s[4:5]
	s_cbranch_execz .LBB1616_168
; %bb.170:                              ;   in Loop: Header=BB1616_169 Depth=1
	v_lshl_add_u64 v[66:67], v[66:67], 0, -1
	v_cmp_eq_u64_e64 s[0:1], 0, v[66:67]
	s_andn2_b64 s[4:5], s[26:27], exec
	s_and_b64 s[26:27], s[2:3], exec
	s_or_b64 s[26:27], s[4:5], s[26:27]
	s_andn2_b64 s[4:5], s[24:25], exec
	s_and_b64 s[0:1], s[0:1], exec
	v_lshl_add_u64 v[54:55], v[54:55], 0, 8
	v_lshl_add_u64 v[64:65], v[64:65], 0, 8
	s_andn2_b64 s[22:23], s[22:23], exec
	s_or_b64 s[24:25], s[4:5], s[0:1]
                                        ; implicit-def: $sgpr28_sgpr29
	s_branch .LBB1616_168
.LBB1616_171:
	s_or_b64 exec, exec, s[18:19]
	s_and_saveexec_b64 s[0:1], s[20:21]
	s_xor_b64 s[0:1], exec, s[0:1]
; %bb.172:
	v_cndmask_b32_e64 v55, v19, v13, s[16:17]
	v_cndmask_b32_e64 v54, v18, v12, s[16:17]
	;; [unrolled: 1-line block ×4, first 2 shown]
	v_mov_b64_e32 v[18:19], v[54:55]
; %bb.173:
	s_or_b64 exec, exec, s[0:1]
	s_or_b64 exec, exec, s[14:15]
	s_and_saveexec_b64 s[14:15], vcc
	s_cbranch_execz .LBB1616_27
.LBB1616_174:
	v_mul_lo_u32 v64, v15, v6
	v_mul_lo_u32 v65, v14, v7
	v_mad_u64_u32 v[54:55], s[0:1], v14, v6, 0
	v_add3_u32 v55, v55, v65, v64
	v_mul_lo_u32 v66, v1, v6
	v_mul_lo_u32 v67, v0, v7
	v_mad_u64_u32 v[64:65], s[0:1], v0, v6, 0
	v_add3_u32 v65, v65, v67, v66
	v_lshl_add_u64 v[54:55], v[54:55], 3, v[8:9]
	v_lshl_add_u64 v[64:65], v[64:65], 3, v[8:9]
	s_mov_b64 s[18:19], 0
	v_mov_b64_e32 v[66:67], v[6:7]
                                        ; implicit-def: $sgpr16_sgpr17
                                        ; implicit-def: $sgpr20_sgpr21
                                        ; implicit-def: $sgpr24_sgpr25
                                        ; implicit-def: $sgpr22_sgpr23
                                        ; implicit-def: $sgpr26_sgpr27
                                        ; implicit-def: $sgpr28_sgpr29
	s_branch .LBB1616_176
.LBB1616_175:                           ;   in Loop: Header=BB1616_176 Depth=1
	s_or_b64 exec, exec, s[30:31]
	s_and_b64 s[0:1], exec, s[24:25]
	s_or_b64 s[18:19], s[0:1], s[18:19]
	s_andn2_b64 s[0:1], s[28:29], exec
	s_and_b64 s[4:5], s[26:27], exec
	s_or_b64 s[28:29], s[0:1], s[4:5]
	s_andn2_b64 s[0:1], s[20:21], exec
	s_and_b64 s[4:5], s[22:23], exec
	;; [unrolled: 3-line block ×3, first 2 shown]
	s_or_b64 s[16:17], s[0:1], s[2:3]
	s_andn2_b64 exec, exec, s[18:19]
	s_cbranch_execz .LBB1616_178
.LBB1616_176:                           ; =>This Inner Loop Header: Depth=1
	flat_load_dwordx2 v[68:69], v[64:65]
	flat_load_dwordx2 v[70:71], v[54:55]
	s_andn2_b64 s[26:27], s[26:27], exec
	s_or_b64 s[22:23], s[22:23], exec
	s_or_b64 s[24:25], s[24:25], exec
	s_waitcnt vmcnt(0) lgkmcnt(0)
	v_cmp_le_u64_e64 s[2:3], v[68:69], v[70:71]
	v_cmp_lt_u64_e64 s[0:1], v[68:69], v[70:71]
	s_and_b64 s[2:3], s[2:3], s[28:29]
	v_cmp_eq_u64_e64 s[4:5], v[68:69], v[70:71]
	s_or_b64 s[2:3], s[0:1], s[2:3]
	s_and_saveexec_b64 s[30:31], s[4:5]
	s_cbranch_execz .LBB1616_175
; %bb.177:                              ;   in Loop: Header=BB1616_176 Depth=1
	v_lshl_add_u64 v[66:67], v[66:67], 0, -1
	v_cmp_eq_u64_e64 s[0:1], 0, v[66:67]
	s_andn2_b64 s[4:5], s[26:27], exec
	s_and_b64 s[26:27], s[2:3], exec
	s_or_b64 s[26:27], s[4:5], s[26:27]
	s_andn2_b64 s[4:5], s[24:25], exec
	s_and_b64 s[0:1], s[0:1], exec
	v_lshl_add_u64 v[54:55], v[54:55], 0, 8
	v_lshl_add_u64 v[64:65], v[64:65], 0, 8
	s_andn2_b64 s[22:23], s[22:23], exec
	s_or_b64 s[24:25], s[4:5], s[0:1]
                                        ; implicit-def: $sgpr28_sgpr29
	s_branch .LBB1616_175
.LBB1616_178:
	s_or_b64 exec, exec, s[18:19]
	s_and_saveexec_b64 s[0:1], s[20:21]
	s_xor_b64 s[0:1], exec, s[0:1]
; %bb.179:
	v_cndmask_b32_e64 v55, v15, v1, s[16:17]
	v_cndmask_b32_e64 v54, v14, v0, s[16:17]
	;; [unrolled: 1-line block ×4, first 2 shown]
	v_mov_b64_e32 v[14:15], v[54:55]
; %bb.180:
	s_or_b64 exec, exec, s[0:1]
	s_or_b64 exec, exec, s[14:15]
	s_and_saveexec_b64 s[14:15], vcc
	s_cbranch_execz .LBB1616_28
.LBB1616_181:
	v_mul_lo_u32 v64, v21, v6
	v_mul_lo_u32 v65, v20, v7
	v_mad_u64_u32 v[54:55], s[0:1], v20, v6, 0
	v_add3_u32 v55, v55, v65, v64
	v_mul_lo_u32 v66, v23, v6
	v_mul_lo_u32 v67, v22, v7
	v_mad_u64_u32 v[64:65], s[0:1], v22, v6, 0
	v_add3_u32 v65, v65, v67, v66
	v_lshl_add_u64 v[54:55], v[54:55], 3, v[8:9]
	v_lshl_add_u64 v[64:65], v[64:65], 3, v[8:9]
	s_mov_b64 s[18:19], 0
	v_mov_b64_e32 v[66:67], v[6:7]
                                        ; implicit-def: $sgpr16_sgpr17
                                        ; implicit-def: $sgpr20_sgpr21
                                        ; implicit-def: $sgpr24_sgpr25
                                        ; implicit-def: $sgpr22_sgpr23
                                        ; implicit-def: $sgpr26_sgpr27
                                        ; implicit-def: $sgpr28_sgpr29
	s_branch .LBB1616_183
.LBB1616_182:                           ;   in Loop: Header=BB1616_183 Depth=1
	s_or_b64 exec, exec, s[30:31]
	s_and_b64 s[0:1], exec, s[24:25]
	s_or_b64 s[18:19], s[0:1], s[18:19]
	s_andn2_b64 s[0:1], s[28:29], exec
	s_and_b64 s[4:5], s[26:27], exec
	s_or_b64 s[28:29], s[0:1], s[4:5]
	s_andn2_b64 s[0:1], s[20:21], exec
	s_and_b64 s[4:5], s[22:23], exec
	;; [unrolled: 3-line block ×3, first 2 shown]
	s_or_b64 s[16:17], s[0:1], s[2:3]
	s_andn2_b64 exec, exec, s[18:19]
	s_cbranch_execz .LBB1616_185
.LBB1616_183:                           ; =>This Inner Loop Header: Depth=1
	flat_load_dwordx2 v[68:69], v[64:65]
	flat_load_dwordx2 v[70:71], v[54:55]
	s_andn2_b64 s[26:27], s[26:27], exec
	s_or_b64 s[22:23], s[22:23], exec
	s_or_b64 s[24:25], s[24:25], exec
	s_waitcnt vmcnt(0) lgkmcnt(0)
	v_cmp_le_u64_e64 s[2:3], v[68:69], v[70:71]
	v_cmp_lt_u64_e64 s[0:1], v[68:69], v[70:71]
	s_and_b64 s[2:3], s[2:3], s[28:29]
	v_cmp_eq_u64_e64 s[4:5], v[68:69], v[70:71]
	s_or_b64 s[2:3], s[0:1], s[2:3]
	s_and_saveexec_b64 s[30:31], s[4:5]
	s_cbranch_execz .LBB1616_182
; %bb.184:                              ;   in Loop: Header=BB1616_183 Depth=1
	v_lshl_add_u64 v[66:67], v[66:67], 0, -1
	v_cmp_eq_u64_e64 s[0:1], 0, v[66:67]
	s_andn2_b64 s[4:5], s[26:27], exec
	s_and_b64 s[26:27], s[2:3], exec
	s_or_b64 s[26:27], s[4:5], s[26:27]
	s_andn2_b64 s[4:5], s[24:25], exec
	s_and_b64 s[0:1], s[0:1], exec
	v_lshl_add_u64 v[54:55], v[54:55], 0, 8
	v_lshl_add_u64 v[64:65], v[64:65], 0, 8
	s_andn2_b64 s[22:23], s[22:23], exec
	s_or_b64 s[24:25], s[4:5], s[0:1]
                                        ; implicit-def: $sgpr28_sgpr29
	s_branch .LBB1616_182
.LBB1616_185:
	s_or_b64 exec, exec, s[18:19]
	s_and_saveexec_b64 s[0:1], s[20:21]
	s_xor_b64 s[0:1], exec, s[0:1]
; %bb.186:
	v_cndmask_b32_e64 v55, v23, v21, s[16:17]
	v_cndmask_b32_e64 v54, v22, v20, s[16:17]
	;; [unrolled: 1-line block ×4, first 2 shown]
	v_mov_b64_e32 v[22:23], v[54:55]
; %bb.187:
	s_or_b64 exec, exec, s[0:1]
	s_or_b64 exec, exec, s[14:15]
	s_and_saveexec_b64 s[14:15], vcc
	s_cbranch_execz .LBB1616_29
.LBB1616_188:
	v_mul_lo_u32 v64, v17, v6
	v_mul_lo_u32 v65, v16, v7
	v_mad_u64_u32 v[54:55], s[0:1], v16, v6, 0
	v_add3_u32 v55, v55, v65, v64
	v_mul_lo_u32 v66, v19, v6
	v_mul_lo_u32 v67, v18, v7
	v_mad_u64_u32 v[64:65], s[0:1], v18, v6, 0
	v_add3_u32 v65, v65, v67, v66
	v_lshl_add_u64 v[54:55], v[54:55], 3, v[8:9]
	v_lshl_add_u64 v[64:65], v[64:65], 3, v[8:9]
	s_mov_b64 s[18:19], 0
	v_mov_b64_e32 v[66:67], v[6:7]
                                        ; implicit-def: $sgpr16_sgpr17
                                        ; implicit-def: $sgpr20_sgpr21
                                        ; implicit-def: $sgpr24_sgpr25
                                        ; implicit-def: $sgpr22_sgpr23
                                        ; implicit-def: $sgpr26_sgpr27
                                        ; implicit-def: $sgpr28_sgpr29
	s_branch .LBB1616_190
.LBB1616_189:                           ;   in Loop: Header=BB1616_190 Depth=1
	s_or_b64 exec, exec, s[30:31]
	s_and_b64 s[0:1], exec, s[24:25]
	s_or_b64 s[18:19], s[0:1], s[18:19]
	s_andn2_b64 s[0:1], s[28:29], exec
	s_and_b64 s[4:5], s[26:27], exec
	s_or_b64 s[28:29], s[0:1], s[4:5]
	s_andn2_b64 s[0:1], s[20:21], exec
	s_and_b64 s[4:5], s[22:23], exec
	;; [unrolled: 3-line block ×3, first 2 shown]
	s_or_b64 s[16:17], s[0:1], s[2:3]
	s_andn2_b64 exec, exec, s[18:19]
	s_cbranch_execz .LBB1616_192
.LBB1616_190:                           ; =>This Inner Loop Header: Depth=1
	flat_load_dwordx2 v[68:69], v[64:65]
	flat_load_dwordx2 v[70:71], v[54:55]
	s_andn2_b64 s[26:27], s[26:27], exec
	s_or_b64 s[22:23], s[22:23], exec
	s_or_b64 s[24:25], s[24:25], exec
	s_waitcnt vmcnt(0) lgkmcnt(0)
	v_cmp_le_u64_e64 s[2:3], v[68:69], v[70:71]
	v_cmp_lt_u64_e64 s[0:1], v[68:69], v[70:71]
	s_and_b64 s[2:3], s[2:3], s[28:29]
	v_cmp_eq_u64_e64 s[4:5], v[68:69], v[70:71]
	s_or_b64 s[2:3], s[0:1], s[2:3]
	s_and_saveexec_b64 s[30:31], s[4:5]
	s_cbranch_execz .LBB1616_189
; %bb.191:                              ;   in Loop: Header=BB1616_190 Depth=1
	v_lshl_add_u64 v[66:67], v[66:67], 0, -1
	v_cmp_eq_u64_e64 s[0:1], 0, v[66:67]
	s_andn2_b64 s[4:5], s[26:27], exec
	s_and_b64 s[26:27], s[2:3], exec
	s_or_b64 s[26:27], s[4:5], s[26:27]
	s_andn2_b64 s[4:5], s[24:25], exec
	s_and_b64 s[0:1], s[0:1], exec
	v_lshl_add_u64 v[54:55], v[54:55], 0, 8
	v_lshl_add_u64 v[64:65], v[64:65], 0, 8
	s_andn2_b64 s[22:23], s[22:23], exec
	s_or_b64 s[24:25], s[4:5], s[0:1]
                                        ; implicit-def: $sgpr28_sgpr29
	s_branch .LBB1616_189
.LBB1616_192:
	s_or_b64 exec, exec, s[18:19]
	s_and_saveexec_b64 s[0:1], s[20:21]
	s_xor_b64 s[0:1], exec, s[0:1]
; %bb.193:
	v_cndmask_b32_e64 v55, v17, v19, s[16:17]
	v_cndmask_b32_e64 v54, v16, v18, s[16:17]
	;; [unrolled: 1-line block ×4, first 2 shown]
	v_mov_b64_e32 v[16:17], v[54:55]
; %bb.194:
	s_or_b64 exec, exec, s[0:1]
	s_or_b64 exec, exec, s[14:15]
	s_and_saveexec_b64 s[14:15], vcc
	s_cbranch_execz .LBB1616_30
.LBB1616_195:
	v_mul_lo_u32 v64, v13, v6
	v_mul_lo_u32 v65, v12, v7
	v_mad_u64_u32 v[54:55], s[0:1], v12, v6, 0
	v_add3_u32 v55, v55, v65, v64
	v_mul_lo_u32 v66, v15, v6
	v_mul_lo_u32 v67, v14, v7
	v_mad_u64_u32 v[64:65], s[0:1], v14, v6, 0
	v_add3_u32 v65, v65, v67, v66
	v_lshl_add_u64 v[54:55], v[54:55], 3, v[8:9]
	v_lshl_add_u64 v[64:65], v[64:65], 3, v[8:9]
	s_mov_b64 s[18:19], 0
	v_mov_b64_e32 v[66:67], v[6:7]
                                        ; implicit-def: $sgpr16_sgpr17
                                        ; implicit-def: $sgpr20_sgpr21
                                        ; implicit-def: $sgpr24_sgpr25
                                        ; implicit-def: $sgpr22_sgpr23
                                        ; implicit-def: $sgpr26_sgpr27
                                        ; implicit-def: $sgpr28_sgpr29
	s_branch .LBB1616_197
.LBB1616_196:                           ;   in Loop: Header=BB1616_197 Depth=1
	s_or_b64 exec, exec, s[30:31]
	s_and_b64 s[0:1], exec, s[24:25]
	s_or_b64 s[18:19], s[0:1], s[18:19]
	s_andn2_b64 s[0:1], s[28:29], exec
	s_and_b64 s[4:5], s[26:27], exec
	s_or_b64 s[28:29], s[0:1], s[4:5]
	s_andn2_b64 s[0:1], s[20:21], exec
	s_and_b64 s[4:5], s[22:23], exec
	;; [unrolled: 3-line block ×3, first 2 shown]
	s_or_b64 s[16:17], s[0:1], s[2:3]
	s_andn2_b64 exec, exec, s[18:19]
	s_cbranch_execz .LBB1616_199
.LBB1616_197:                           ; =>This Inner Loop Header: Depth=1
	flat_load_dwordx2 v[68:69], v[64:65]
	flat_load_dwordx2 v[70:71], v[54:55]
	s_andn2_b64 s[26:27], s[26:27], exec
	s_or_b64 s[22:23], s[22:23], exec
	s_or_b64 s[24:25], s[24:25], exec
	s_waitcnt vmcnt(0) lgkmcnt(0)
	v_cmp_le_u64_e64 s[2:3], v[68:69], v[70:71]
	v_cmp_lt_u64_e64 s[0:1], v[68:69], v[70:71]
	s_and_b64 s[2:3], s[2:3], s[28:29]
	v_cmp_eq_u64_e64 s[4:5], v[68:69], v[70:71]
	s_or_b64 s[2:3], s[0:1], s[2:3]
	s_and_saveexec_b64 s[30:31], s[4:5]
	s_cbranch_execz .LBB1616_196
; %bb.198:                              ;   in Loop: Header=BB1616_197 Depth=1
	v_lshl_add_u64 v[66:67], v[66:67], 0, -1
	v_cmp_eq_u64_e64 s[0:1], 0, v[66:67]
	s_andn2_b64 s[4:5], s[26:27], exec
	s_and_b64 s[26:27], s[2:3], exec
	s_or_b64 s[26:27], s[4:5], s[26:27]
	s_andn2_b64 s[4:5], s[24:25], exec
	s_and_b64 s[0:1], s[0:1], exec
	v_lshl_add_u64 v[54:55], v[54:55], 0, 8
	v_lshl_add_u64 v[64:65], v[64:65], 0, 8
	s_andn2_b64 s[22:23], s[22:23], exec
	s_or_b64 s[24:25], s[4:5], s[0:1]
                                        ; implicit-def: $sgpr28_sgpr29
	s_branch .LBB1616_196
.LBB1616_199:
	s_or_b64 exec, exec, s[18:19]
	s_and_saveexec_b64 s[0:1], s[20:21]
	s_xor_b64 s[0:1], exec, s[0:1]
; %bb.200:
	v_cndmask_b32_e64 v55, v13, v15, s[16:17]
	v_cndmask_b32_e64 v54, v12, v14, s[16:17]
	;; [unrolled: 1-line block ×4, first 2 shown]
	v_mov_b64_e32 v[12:13], v[54:55]
; %bb.201:
	s_or_b64 exec, exec, s[0:1]
	s_or_b64 exec, exec, s[14:15]
	s_and_saveexec_b64 s[14:15], vcc
	s_cbranch_execz .LBB1616_31
.LBB1616_202:
	v_mul_lo_u32 v64, v1, v6
	v_mul_lo_u32 v65, v0, v7
	v_mad_u64_u32 v[54:55], s[0:1], v0, v6, 0
	v_add3_u32 v55, v55, v65, v64
	v_mul_lo_u32 v66, v3, v6
	v_mul_lo_u32 v67, v2, v7
	v_mad_u64_u32 v[64:65], s[0:1], v2, v6, 0
	v_add3_u32 v65, v65, v67, v66
	v_lshl_add_u64 v[54:55], v[54:55], 3, v[8:9]
	v_lshl_add_u64 v[64:65], v[64:65], 3, v[8:9]
	s_mov_b64 s[18:19], 0
	v_mov_b64_e32 v[66:67], v[6:7]
                                        ; implicit-def: $sgpr16_sgpr17
                                        ; implicit-def: $sgpr20_sgpr21
                                        ; implicit-def: $sgpr24_sgpr25
                                        ; implicit-def: $sgpr22_sgpr23
                                        ; implicit-def: $sgpr26_sgpr27
                                        ; implicit-def: $sgpr28_sgpr29
	s_branch .LBB1616_204
.LBB1616_203:                           ;   in Loop: Header=BB1616_204 Depth=1
	s_or_b64 exec, exec, s[30:31]
	s_and_b64 s[0:1], exec, s[24:25]
	s_or_b64 s[18:19], s[0:1], s[18:19]
	s_andn2_b64 s[0:1], s[28:29], exec
	s_and_b64 s[4:5], s[26:27], exec
	s_or_b64 s[28:29], s[0:1], s[4:5]
	s_andn2_b64 s[0:1], s[20:21], exec
	s_and_b64 s[4:5], s[22:23], exec
	;; [unrolled: 3-line block ×3, first 2 shown]
	s_or_b64 s[16:17], s[0:1], s[2:3]
	s_andn2_b64 exec, exec, s[18:19]
	s_cbranch_execz .LBB1616_206
.LBB1616_204:                           ; =>This Inner Loop Header: Depth=1
	flat_load_dwordx2 v[68:69], v[64:65]
	flat_load_dwordx2 v[70:71], v[54:55]
	s_andn2_b64 s[26:27], s[26:27], exec
	s_or_b64 s[22:23], s[22:23], exec
	s_or_b64 s[24:25], s[24:25], exec
	s_waitcnt vmcnt(0) lgkmcnt(0)
	v_cmp_le_u64_e64 s[2:3], v[68:69], v[70:71]
	v_cmp_lt_u64_e64 s[0:1], v[68:69], v[70:71]
	s_and_b64 s[2:3], s[2:3], s[28:29]
	v_cmp_eq_u64_e64 s[4:5], v[68:69], v[70:71]
	s_or_b64 s[2:3], s[0:1], s[2:3]
	s_and_saveexec_b64 s[30:31], s[4:5]
	s_cbranch_execz .LBB1616_203
; %bb.205:                              ;   in Loop: Header=BB1616_204 Depth=1
	v_lshl_add_u64 v[66:67], v[66:67], 0, -1
	v_cmp_eq_u64_e64 s[0:1], 0, v[66:67]
	s_andn2_b64 s[4:5], s[26:27], exec
	s_and_b64 s[26:27], s[2:3], exec
	s_or_b64 s[26:27], s[4:5], s[26:27]
	s_andn2_b64 s[4:5], s[24:25], exec
	s_and_b64 s[0:1], s[0:1], exec
	v_lshl_add_u64 v[54:55], v[54:55], 0, 8
	v_lshl_add_u64 v[64:65], v[64:65], 0, 8
	s_andn2_b64 s[22:23], s[22:23], exec
	s_or_b64 s[24:25], s[4:5], s[0:1]
                                        ; implicit-def: $sgpr28_sgpr29
	s_branch .LBB1616_203
.LBB1616_206:
	s_or_b64 exec, exec, s[18:19]
	s_and_saveexec_b64 s[0:1], s[20:21]
	s_xor_b64 s[0:1], exec, s[0:1]
; %bb.207:
	v_cndmask_b32_e64 v55, v1, v3, s[16:17]
	v_cndmask_b32_e64 v54, v0, v2, s[16:17]
	;; [unrolled: 1-line block ×4, first 2 shown]
	v_mov_b64_e32 v[0:1], v[54:55]
; %bb.208:
	s_or_b64 exec, exec, s[0:1]
	s_or_b64 exec, exec, s[14:15]
	s_and_saveexec_b64 s[14:15], vcc
	s_cbranch_execz .LBB1616_32
.LBB1616_209:
	v_mul_lo_u32 v64, v23, v6
	v_mul_lo_u32 v65, v22, v7
	v_mad_u64_u32 v[54:55], s[0:1], v22, v6, 0
	v_add3_u32 v55, v55, v65, v64
	v_mul_lo_u32 v66, v17, v6
	v_mul_lo_u32 v67, v16, v7
	v_mad_u64_u32 v[64:65], s[0:1], v16, v6, 0
	v_add3_u32 v65, v65, v67, v66
	v_lshl_add_u64 v[54:55], v[54:55], 3, v[8:9]
	v_lshl_add_u64 v[64:65], v[64:65], 3, v[8:9]
	s_mov_b64 s[18:19], 0
	v_mov_b64_e32 v[66:67], v[6:7]
                                        ; implicit-def: $sgpr16_sgpr17
                                        ; implicit-def: $sgpr20_sgpr21
                                        ; implicit-def: $sgpr24_sgpr25
                                        ; implicit-def: $sgpr22_sgpr23
                                        ; implicit-def: $sgpr26_sgpr27
                                        ; implicit-def: $sgpr28_sgpr29
	s_branch .LBB1616_211
.LBB1616_210:                           ;   in Loop: Header=BB1616_211 Depth=1
	s_or_b64 exec, exec, s[30:31]
	s_and_b64 s[0:1], exec, s[24:25]
	s_or_b64 s[18:19], s[0:1], s[18:19]
	s_andn2_b64 s[0:1], s[28:29], exec
	s_and_b64 s[4:5], s[26:27], exec
	s_or_b64 s[28:29], s[0:1], s[4:5]
	s_andn2_b64 s[0:1], s[20:21], exec
	s_and_b64 s[4:5], s[22:23], exec
	;; [unrolled: 3-line block ×3, first 2 shown]
	s_or_b64 s[16:17], s[0:1], s[2:3]
	s_andn2_b64 exec, exec, s[18:19]
	s_cbranch_execz .LBB1616_213
.LBB1616_211:                           ; =>This Inner Loop Header: Depth=1
	flat_load_dwordx2 v[68:69], v[64:65]
	flat_load_dwordx2 v[70:71], v[54:55]
	s_andn2_b64 s[26:27], s[26:27], exec
	s_or_b64 s[22:23], s[22:23], exec
	s_or_b64 s[24:25], s[24:25], exec
	s_waitcnt vmcnt(0) lgkmcnt(0)
	v_cmp_le_u64_e64 s[2:3], v[68:69], v[70:71]
	v_cmp_lt_u64_e64 s[0:1], v[68:69], v[70:71]
	s_and_b64 s[2:3], s[2:3], s[28:29]
	v_cmp_eq_u64_e64 s[4:5], v[68:69], v[70:71]
	s_or_b64 s[2:3], s[0:1], s[2:3]
	s_and_saveexec_b64 s[30:31], s[4:5]
	s_cbranch_execz .LBB1616_210
; %bb.212:                              ;   in Loop: Header=BB1616_211 Depth=1
	v_lshl_add_u64 v[66:67], v[66:67], 0, -1
	v_cmp_eq_u64_e64 s[0:1], 0, v[66:67]
	s_andn2_b64 s[4:5], s[26:27], exec
	s_and_b64 s[26:27], s[2:3], exec
	s_or_b64 s[26:27], s[4:5], s[26:27]
	s_andn2_b64 s[4:5], s[24:25], exec
	s_and_b64 s[0:1], s[0:1], exec
	v_lshl_add_u64 v[54:55], v[54:55], 0, 8
	v_lshl_add_u64 v[64:65], v[64:65], 0, 8
	s_andn2_b64 s[22:23], s[22:23], exec
	s_or_b64 s[24:25], s[4:5], s[0:1]
                                        ; implicit-def: $sgpr28_sgpr29
	s_branch .LBB1616_210
.LBB1616_213:
	s_or_b64 exec, exec, s[18:19]
	s_and_saveexec_b64 s[0:1], s[20:21]
	s_xor_b64 s[0:1], exec, s[0:1]
; %bb.214:
	v_cndmask_b32_e64 v55, v23, v17, s[16:17]
	v_cndmask_b32_e64 v54, v22, v16, s[16:17]
	;; [unrolled: 1-line block ×4, first 2 shown]
	v_mov_b64_e32 v[22:23], v[54:55]
; %bb.215:
	s_or_b64 exec, exec, s[0:1]
	s_or_b64 exec, exec, s[14:15]
	s_and_saveexec_b64 s[14:15], vcc
	s_cbranch_execz .LBB1616_33
.LBB1616_216:
	v_mul_lo_u32 v64, v19, v6
	v_mul_lo_u32 v65, v18, v7
	v_mad_u64_u32 v[54:55], s[0:1], v18, v6, 0
	v_add3_u32 v55, v55, v65, v64
	v_mul_lo_u32 v66, v13, v6
	v_mul_lo_u32 v67, v12, v7
	v_mad_u64_u32 v[64:65], s[0:1], v12, v6, 0
	v_add3_u32 v65, v65, v67, v66
	v_lshl_add_u64 v[54:55], v[54:55], 3, v[8:9]
	v_lshl_add_u64 v[64:65], v[64:65], 3, v[8:9]
	s_mov_b64 s[18:19], 0
	v_mov_b64_e32 v[66:67], v[6:7]
                                        ; implicit-def: $sgpr16_sgpr17
                                        ; implicit-def: $sgpr20_sgpr21
                                        ; implicit-def: $sgpr24_sgpr25
                                        ; implicit-def: $sgpr22_sgpr23
                                        ; implicit-def: $sgpr26_sgpr27
                                        ; implicit-def: $sgpr28_sgpr29
	s_branch .LBB1616_218
.LBB1616_217:                           ;   in Loop: Header=BB1616_218 Depth=1
	s_or_b64 exec, exec, s[30:31]
	s_and_b64 s[0:1], exec, s[24:25]
	s_or_b64 s[18:19], s[0:1], s[18:19]
	s_andn2_b64 s[0:1], s[28:29], exec
	s_and_b64 s[4:5], s[26:27], exec
	s_or_b64 s[28:29], s[0:1], s[4:5]
	s_andn2_b64 s[0:1], s[20:21], exec
	s_and_b64 s[4:5], s[22:23], exec
	;; [unrolled: 3-line block ×3, first 2 shown]
	s_or_b64 s[16:17], s[0:1], s[2:3]
	s_andn2_b64 exec, exec, s[18:19]
	s_cbranch_execz .LBB1616_220
.LBB1616_218:                           ; =>This Inner Loop Header: Depth=1
	flat_load_dwordx2 v[68:69], v[64:65]
	flat_load_dwordx2 v[70:71], v[54:55]
	s_andn2_b64 s[26:27], s[26:27], exec
	s_or_b64 s[22:23], s[22:23], exec
	s_or_b64 s[24:25], s[24:25], exec
	s_waitcnt vmcnt(0) lgkmcnt(0)
	v_cmp_le_u64_e64 s[2:3], v[68:69], v[70:71]
	v_cmp_lt_u64_e64 s[0:1], v[68:69], v[70:71]
	s_and_b64 s[2:3], s[2:3], s[28:29]
	v_cmp_eq_u64_e64 s[4:5], v[68:69], v[70:71]
	s_or_b64 s[2:3], s[0:1], s[2:3]
	s_and_saveexec_b64 s[30:31], s[4:5]
	s_cbranch_execz .LBB1616_217
; %bb.219:                              ;   in Loop: Header=BB1616_218 Depth=1
	v_lshl_add_u64 v[66:67], v[66:67], 0, -1
	v_cmp_eq_u64_e64 s[0:1], 0, v[66:67]
	s_andn2_b64 s[4:5], s[26:27], exec
	s_and_b64 s[26:27], s[2:3], exec
	s_or_b64 s[26:27], s[4:5], s[26:27]
	s_andn2_b64 s[4:5], s[24:25], exec
	s_and_b64 s[0:1], s[0:1], exec
	v_lshl_add_u64 v[54:55], v[54:55], 0, 8
	v_lshl_add_u64 v[64:65], v[64:65], 0, 8
	s_andn2_b64 s[22:23], s[22:23], exec
	s_or_b64 s[24:25], s[4:5], s[0:1]
                                        ; implicit-def: $sgpr28_sgpr29
	s_branch .LBB1616_217
.LBB1616_220:
	s_or_b64 exec, exec, s[18:19]
	s_and_saveexec_b64 s[0:1], s[20:21]
	s_xor_b64 s[0:1], exec, s[0:1]
; %bb.221:
	v_cndmask_b32_e64 v55, v19, v13, s[16:17]
	v_cndmask_b32_e64 v54, v18, v12, s[16:17]
	;; [unrolled: 1-line block ×4, first 2 shown]
	v_mov_b64_e32 v[18:19], v[54:55]
; %bb.222:
	s_or_b64 exec, exec, s[0:1]
	s_or_b64 exec, exec, s[14:15]
	s_and_saveexec_b64 s[14:15], vcc
	s_cbranch_execz .LBB1616_230
.LBB1616_223:
	v_mul_lo_u32 v64, v15, v6
	v_mul_lo_u32 v65, v14, v7
	v_mad_u64_u32 v[54:55], s[0:1], v14, v6, 0
	v_add3_u32 v55, v55, v65, v64
	v_mul_lo_u32 v66, v1, v6
	v_mul_lo_u32 v67, v0, v7
	v_mad_u64_u32 v[64:65], s[0:1], v0, v6, 0
	v_add3_u32 v65, v65, v67, v66
	v_lshl_add_u64 v[54:55], v[54:55], 3, v[8:9]
	v_lshl_add_u64 v[64:65], v[64:65], 3, v[8:9]
	s_mov_b64 s[20:21], 0
	v_mov_b64_e32 v[66:67], v[6:7]
                                        ; implicit-def: $sgpr16_sgpr17
                                        ; implicit-def: $sgpr18_sgpr19
                                        ; implicit-def: $sgpr24_sgpr25
                                        ; implicit-def: $sgpr22_sgpr23
                                        ; implicit-def: $sgpr26_sgpr27
                                        ; implicit-def: $sgpr28_sgpr29
	s_branch .LBB1616_225
.LBB1616_224:                           ;   in Loop: Header=BB1616_225 Depth=1
	s_or_b64 exec, exec, s[30:31]
	s_and_b64 s[0:1], exec, s[24:25]
	s_or_b64 s[20:21], s[0:1], s[20:21]
	s_andn2_b64 s[0:1], s[28:29], exec
	s_and_b64 s[4:5], s[26:27], exec
	s_or_b64 s[28:29], s[0:1], s[4:5]
	s_andn2_b64 s[0:1], s[18:19], exec
	s_and_b64 s[4:5], s[22:23], exec
	s_or_b64 s[18:19], s[0:1], s[4:5]
	s_andn2_b64 s[0:1], s[16:17], exec
	s_and_b64 s[2:3], s[2:3], exec
	s_or_b64 s[16:17], s[0:1], s[2:3]
	s_andn2_b64 exec, exec, s[20:21]
	s_cbranch_execz .LBB1616_227
.LBB1616_225:                           ; =>This Inner Loop Header: Depth=1
	flat_load_dwordx2 v[68:69], v[64:65]
	flat_load_dwordx2 v[70:71], v[54:55]
	s_andn2_b64 s[26:27], s[26:27], exec
	s_or_b64 s[22:23], s[22:23], exec
	s_or_b64 s[24:25], s[24:25], exec
	s_waitcnt vmcnt(0) lgkmcnt(0)
	v_cmp_le_u64_e64 s[2:3], v[68:69], v[70:71]
	v_cmp_lt_u64_e64 s[0:1], v[68:69], v[70:71]
	s_and_b64 s[2:3], s[2:3], s[28:29]
	v_cmp_eq_u64_e64 s[4:5], v[68:69], v[70:71]
	s_or_b64 s[2:3], s[0:1], s[2:3]
	s_and_saveexec_b64 s[30:31], s[4:5]
	s_cbranch_execz .LBB1616_224
; %bb.226:                              ;   in Loop: Header=BB1616_225 Depth=1
	v_lshl_add_u64 v[66:67], v[66:67], 0, -1
	v_cmp_eq_u64_e64 s[0:1], 0, v[66:67]
	s_andn2_b64 s[4:5], s[26:27], exec
	s_and_b64 s[26:27], s[2:3], exec
	s_or_b64 s[26:27], s[4:5], s[26:27]
	s_andn2_b64 s[4:5], s[24:25], exec
	s_and_b64 s[0:1], s[0:1], exec
	v_lshl_add_u64 v[54:55], v[54:55], 0, 8
	v_lshl_add_u64 v[64:65], v[64:65], 0, 8
	s_andn2_b64 s[22:23], s[22:23], exec
	s_or_b64 s[24:25], s[4:5], s[0:1]
                                        ; implicit-def: $sgpr28_sgpr29
	s_branch .LBB1616_224
.LBB1616_227:
	s_or_b64 exec, exec, s[20:21]
	s_and_saveexec_b64 s[0:1], s[18:19]
	s_xor_b64 s[0:1], exec, s[0:1]
; %bb.228:
	v_cndmask_b32_e64 v55, v15, v1, s[16:17]
	v_cndmask_b32_e64 v54, v14, v0, s[16:17]
	;; [unrolled: 1-line block ×4, first 2 shown]
	v_mov_b64_e32 v[14:15], v[54:55]
; %bb.229:
	s_or_b64 exec, exec, s[0:1]
.LBB1616_230:
	s_or_b64 exec, exec, s[14:15]
.LBB1616_231:
	s_or_b64 exec, exec, s[10:11]
	v_mbcnt_lo_u32_b32 v54, -1, 0
	v_mbcnt_hi_u32_b32 v64, -1, v54
	v_and_b32_e32 v66, 0xfffffe00, v31
	s_movk_i32 s0, 0x800
	v_mov_b32_e32 v67, 0
	v_sub_u32_e64 v31, s0, v66 clamp
	v_lshl_add_u64 v[54:55], v[66:67], 3, v[10:11]
	v_lshlrev_b32_e32 v98, 3, v64
	v_lshlrev_b32_e32 v66, 6, v64
	v_lshl_add_u64 v[64:65], v[54:55], 0, v[66:67]
	v_or_b32_e32 v66, 8, v98
	v_min_u32_e32 v99, v31, v66
	v_add_u32_e32 v66, 8, v99
	v_and_b32_e32 v101, 0x3f0, v98
	v_min_u32_e32 v100, v31, v66
	v_and_b32_e32 v66, 8, v98
	v_min_u32_e32 v102, v31, v66
	v_sub_u32_e32 v66, v99, v101
	v_sub_u32_e32 v68, v100, v99
	v_sub_u32_e64 v103, v102, v68 clamp
	v_min_u32_e32 v112, v102, v66
	v_cmp_lt_u32_e64 s[0:1], v103, v112
	flat_store_dwordx4 v[64:65], v[20:23]
	flat_store_dwordx4 v[64:65], v[16:19] offset:16
	flat_store_dwordx4 v[64:65], v[12:15] offset:32
	;; [unrolled: 1-line block ×3, first 2 shown]
	; wave barrier
	s_and_saveexec_b64 s[10:11], s[0:1]
	s_cbranch_execz .LBB1616_241
; %bb.232:
	v_lshlrev_b32_e32 v66, 3, v101
	v_lshl_add_u64 v[68:69], v[54:55], 0, v[66:67]
	v_lshlrev_b32_e32 v66, 3, v99
	v_lshl_add_u64 v[70:71], v[54:55], 0, v[66:67]
	v_lshlrev_b64 v[80:81], 3, v[6:7]
	s_mov_b64 s[14:15], 0
	s_branch .LBB1616_235
.LBB1616_233:                           ;   in Loop: Header=BB1616_235 Depth=1
	s_or_b64 exec, exec, s[18:19]
	s_and_b64 s[0:1], s[20:21], exec
.LBB1616_234:                           ;   in Loop: Header=BB1616_235 Depth=1
	s_or_b64 exec, exec, s[16:17]
	v_add_u32_e32 v66, 1, v82
	v_cndmask_b32_e64 v112, v112, v82, s[0:1]
	v_cndmask_b32_e64 v103, v66, v103, s[0:1]
	v_cmp_ge_u32_e64 s[0:1], v103, v112
	s_or_b64 s[14:15], s[0:1], s[14:15]
	s_andn2_b64 exec, exec, s[14:15]
	s_cbranch_execz .LBB1616_240
.LBB1616_235:                           ; =>This Loop Header: Depth=1
                                        ;     Child Loop BB1616_238 Depth 2
	v_add_u32_e32 v66, v112, v103
	v_lshrrev_b32_e32 v82, 1, v66
	s_mov_b64 s[0:1], 0
	s_and_saveexec_b64 s[16:17], vcc
	s_cbranch_execz .LBB1616_234
; %bb.236:                              ;   in Loop: Header=BB1616_235 Depth=1
	v_mov_b32_e32 v83, v67
	v_xad_u32 v66, v82, -1, v102
	v_lshl_add_u64 v[84:85], v[82:83], 3, v[68:69]
	v_lshl_add_u64 v[86:87], v[66:67], 3, v[70:71]
	flat_load_dwordx2 v[84:85], v[84:85]
	s_mov_b64 s[18:19], 0
	flat_load_dwordx2 v[86:87], v[86:87]
                                        ; implicit-def: $sgpr20_sgpr21
                                        ; implicit-def: $sgpr22_sgpr23
                                        ; implicit-def: $sgpr24_sgpr25
                                        ; implicit-def: $sgpr2_sgpr3
                                        ; implicit-def: $sgpr26_sgpr27
	s_waitcnt vmcnt(0) lgkmcnt(0)
	v_mul_lo_u32 v66, v80, v85
	v_mul_lo_u32 v83, v81, v84
	v_mad_u64_u32 v[84:85], s[0:1], v80, v84, v[8:9]
	v_mul_lo_u32 v96, v80, v87
	v_mul_lo_u32 v97, v81, v86
	v_mad_u64_u32 v[86:87], s[0:1], v80, v86, v[8:9]
	v_add3_u32 v85, v83, v85, v66
	v_add3_u32 v87, v97, v87, v96
	v_mov_b64_e32 v[96:97], v[6:7]
	s_branch .LBB1616_238
.LBB1616_237:                           ;   in Loop: Header=BB1616_238 Depth=2
	s_or_b64 exec, exec, s[28:29]
	s_and_b64 s[0:1], exec, s[22:23]
	s_or_b64 s[18:19], s[0:1], s[18:19]
	s_andn2_b64 s[0:1], s[26:27], exec
	s_and_b64 s[4:5], s[24:25], exec
	s_or_b64 s[26:27], s[0:1], s[4:5]
	s_andn2_b64 s[0:1], s[20:21], exec
	s_and_b64 s[4:5], s[2:3], exec
	s_or_b64 s[20:21], s[0:1], s[4:5]
	s_andn2_b64 exec, exec, s[18:19]
	s_cbranch_execz .LBB1616_233
.LBB1616_238:                           ;   Parent Loop BB1616_235 Depth=1
                                        ; =>  This Inner Loop Header: Depth=2
	flat_load_dwordx2 v[114:115], v[86:87]
	flat_load_dwordx2 v[116:117], v[84:85]
	s_andn2_b64 s[28:29], s[2:3], exec
	s_andn2_b64 s[24:25], s[24:25], exec
	s_or_b64 s[22:23], s[22:23], exec
	s_waitcnt vmcnt(0) lgkmcnt(0)
	v_cmp_le_u64_e64 s[2:3], v[114:115], v[116:117]
	v_cmp_lt_u64_e64 s[0:1], v[114:115], v[116:117]
	s_and_b64 s[2:3], s[2:3], s[26:27]
	s_or_b64 s[30:31], s[0:1], s[2:3]
	s_and_b64 s[0:1], s[30:31], exec
	v_cmp_eq_u64_e64 s[4:5], v[114:115], v[116:117]
	s_or_b64 s[2:3], s[28:29], s[0:1]
	s_and_saveexec_b64 s[28:29], s[4:5]
	s_cbranch_execz .LBB1616_237
; %bb.239:                              ;   in Loop: Header=BB1616_238 Depth=2
	v_lshl_add_u64 v[96:97], v[96:97], 0, -1
	v_cmp_eq_u64_e64 s[0:1], 0, v[96:97]
	s_andn2_b64 s[4:5], s[24:25], exec
	s_and_b64 s[24:25], s[30:31], exec
	s_or_b64 s[24:25], s[4:5], s[24:25]
	s_andn2_b64 s[4:5], s[22:23], exec
	s_and_b64 s[0:1], s[0:1], exec
	v_lshl_add_u64 v[84:85], v[84:85], 0, 8
	v_lshl_add_u64 v[86:87], v[86:87], 0, 8
	s_andn2_b64 s[2:3], s[2:3], exec
	s_or_b64 s[22:23], s[4:5], s[0:1]
                                        ; implicit-def: $sgpr26_sgpr27
	s_branch .LBB1616_237
.LBB1616_240:
	s_or_b64 exec, exec, s[14:15]
.LBB1616_241:
	s_or_b64 exec, exec, s[10:11]
	v_add_u32_e32 v67, v99, v102
	v_add_u32_e32 v66, v103, v101
	v_sub_u32_e32 v68, v67, v103
	v_cmp_le_u32_e64 s[0:1], v66, v99
	v_cmp_le_u32_e64 s[2:3], v68, v100
	s_or_b64 s[0:1], s[0:1], s[2:3]
	s_and_saveexec_b64 s[10:11], s[0:1]
	s_cbranch_execz .LBB1616_325
; %bb.242:
	v_cmp_ge_u32_e64 s[0:1], v66, v99
	v_cmp_lt_u32_e64 s[2:3], v66, v99
                                        ; implicit-def: $vgpr0_vgpr1
	s_and_saveexec_b64 s[4:5], s[2:3]
	s_cbranch_execz .LBB1616_244
; %bb.243:
	v_mov_b32_e32 v67, 0
	v_lshl_add_u64 v[0:1], v[66:67], 3, v[54:55]
	flat_load_dwordx2 v[0:1], v[0:1]
.LBB1616_244:
	s_or_b64 exec, exec, s[4:5]
	v_cmp_ge_u32_e64 s[14:15], v68, v100
	v_cmp_lt_u32_e64 s[2:3], v68, v100
                                        ; implicit-def: $vgpr2_vgpr3
	s_and_saveexec_b64 s[4:5], s[2:3]
	s_cbranch_execz .LBB1616_246
; %bb.245:
	v_mov_b32_e32 v69, 0
	v_lshl_add_u64 v[2:3], v[68:69], 3, v[54:55]
	flat_load_dwordx2 v[2:3], v[2:3]
.LBB1616_246:
	s_or_b64 exec, exec, s[4:5]
	s_or_b64 s[0:1], s[0:1], s[14:15]
	s_xor_b64 s[0:1], s[0:1], -1
	s_and_saveexec_b64 s[16:17], s[0:1]
	s_cbranch_execz .LBB1616_254
; %bb.247:
	s_mov_b64 s[0:1], 0
	s_and_saveexec_b64 s[18:19], vcc
	s_cbranch_execz .LBB1616_253
; %bb.248:
	s_waitcnt vmcnt(0) lgkmcnt(0)
	v_mul_lo_u32 v14, v1, v6
	v_mul_lo_u32 v15, v0, v7
	v_mad_u64_u32 v[12:13], s[0:1], v0, v6, 0
	v_add3_u32 v13, v13, v15, v14
	v_mul_lo_u32 v16, v3, v6
	v_mul_lo_u32 v17, v2, v7
	v_mad_u64_u32 v[14:15], s[0:1], v2, v6, 0
	v_add3_u32 v15, v15, v17, v16
	v_lshl_add_u64 v[12:13], v[12:13], 3, v[8:9]
	v_lshl_add_u64 v[14:15], v[14:15], 3, v[8:9]
	s_mov_b64 s[20:21], 0
	v_mov_b64_e32 v[16:17], v[6:7]
                                        ; implicit-def: $sgpr22_sgpr23
                                        ; implicit-def: $sgpr24_sgpr25
                                        ; implicit-def: $sgpr26_sgpr27
                                        ; implicit-def: $sgpr2_sgpr3
                                        ; implicit-def: $sgpr28_sgpr29
	s_branch .LBB1616_250
.LBB1616_249:                           ;   in Loop: Header=BB1616_250 Depth=1
	s_or_b64 exec, exec, s[30:31]
	s_and_b64 s[0:1], exec, s[24:25]
	s_or_b64 s[20:21], s[0:1], s[20:21]
	s_andn2_b64 s[0:1], s[28:29], exec
	s_and_b64 s[4:5], s[26:27], exec
	s_or_b64 s[28:29], s[0:1], s[4:5]
	s_andn2_b64 s[0:1], s[22:23], exec
	s_and_b64 s[4:5], s[2:3], exec
	s_or_b64 s[22:23], s[0:1], s[4:5]
	s_andn2_b64 exec, exec, s[20:21]
	s_cbranch_execz .LBB1616_252
.LBB1616_250:                           ; =>This Inner Loop Header: Depth=1
	flat_load_dwordx2 v[18:19], v[14:15]
	flat_load_dwordx2 v[20:21], v[12:13]
	s_andn2_b64 s[30:31], s[2:3], exec
	s_andn2_b64 s[26:27], s[26:27], exec
	s_or_b64 s[24:25], s[24:25], exec
	s_waitcnt vmcnt(0) lgkmcnt(0)
	v_cmp_le_u64_e64 s[2:3], v[18:19], v[20:21]
	v_cmp_lt_u64_e64 s[0:1], v[18:19], v[20:21]
	s_and_b64 s[2:3], s[2:3], s[28:29]
	s_or_b64 s[34:35], s[0:1], s[2:3]
	s_and_b64 s[0:1], s[34:35], exec
	v_cmp_eq_u64_e64 s[4:5], v[18:19], v[20:21]
	s_or_b64 s[2:3], s[30:31], s[0:1]
	s_and_saveexec_b64 s[30:31], s[4:5]
	s_cbranch_execz .LBB1616_249
; %bb.251:                              ;   in Loop: Header=BB1616_250 Depth=1
	v_lshl_add_u64 v[16:17], v[16:17], 0, -1
	v_cmp_eq_u64_e64 s[0:1], 0, v[16:17]
	s_andn2_b64 s[4:5], s[26:27], exec
	s_and_b64 s[26:27], s[34:35], exec
	s_or_b64 s[26:27], s[4:5], s[26:27]
	s_andn2_b64 s[4:5], s[24:25], exec
	s_and_b64 s[0:1], s[0:1], exec
	v_lshl_add_u64 v[12:13], v[12:13], 0, 8
	v_lshl_add_u64 v[14:15], v[14:15], 0, 8
	s_andn2_b64 s[2:3], s[2:3], exec
	s_or_b64 s[24:25], s[4:5], s[0:1]
                                        ; implicit-def: $sgpr28_sgpr29
	s_branch .LBB1616_249
.LBB1616_252:
	s_or_b64 exec, exec, s[20:21]
	s_and_b64 s[0:1], s[22:23], exec
.LBB1616_253:
	s_or_b64 exec, exec, s[18:19]
	s_xor_b64 s[0:1], s[0:1], -1
	s_andn2_b64 s[2:3], s[14:15], exec
	s_and_b64 s[0:1], s[0:1], exec
	s_or_b64 s[14:15], s[2:3], s[0:1]
.LBB1616_254:
	s_or_b64 exec, exec, s[16:17]
	v_cndmask_b32_e64 v12, v68, v66, s[14:15]
	v_cndmask_b32_e64 v13, v100, v99, s[14:15]
	v_add_u32_e32 v16, 1, v12
	v_add_u32_e32 v12, -1, v13
	v_min_u32_e32 v12, v16, v12
	v_mov_b32_e32 v13, 0
	v_lshl_add_u64 v[14:15], v[12:13], 3, v[54:55]
	flat_load_dwordx2 v[14:15], v[14:15]
	v_cndmask_b32_e64 v23, v16, v68, s[14:15]
	s_mov_b64 s[16:17], -1
	v_cndmask_b32_e64 v66, v66, v16, s[14:15]
	v_cmp_lt_u32_e64 s[0:1], v23, v100
	s_mov_b64 s[18:19], -1
	s_waitcnt vmcnt(0) lgkmcnt(0)
	v_cndmask_b32_e64 v20, v15, v3, s[14:15]
	v_cndmask_b32_e64 v21, v14, v2, s[14:15]
	;; [unrolled: 1-line block ×4, first 2 shown]
	s_and_saveexec_b64 s[20:21], s[0:1]
	s_cbranch_execz .LBB1616_264
; %bb.255:
	v_cmp_lt_u32_e64 s[0:1], v66, v99
	s_mov_b64 s[2:3], 0
	s_and_saveexec_b64 s[18:19], s[0:1]
	s_cbranch_execz .LBB1616_263
; %bb.256:
	s_mov_b64 s[0:1], 0
	s_and_saveexec_b64 s[22:23], vcc
	s_cbranch_execz .LBB1616_262
; %bb.257:
	v_mul_lo_u32 v12, v22, v6
	v_mul_lo_u32 v16, v68, v7
	v_mad_u64_u32 v[14:15], s[0:1], v68, v6, 0
	v_add3_u32 v15, v15, v16, v12
	v_mul_lo_u32 v12, v20, v6
	v_mul_lo_u32 v18, v21, v7
	v_mad_u64_u32 v[16:17], s[0:1], v21, v6, 0
	v_add3_u32 v17, v17, v18, v12
	v_lshl_add_u64 v[14:15], v[14:15], 3, v[8:9]
	v_lshl_add_u64 v[16:17], v[16:17], 3, v[8:9]
	s_mov_b64 s[24:25], 0
	v_mov_b64_e32 v[18:19], v[6:7]
                                        ; implicit-def: $sgpr26_sgpr27
                                        ; implicit-def: $sgpr28_sgpr29
                                        ; implicit-def: $sgpr30_sgpr31
                                        ; implicit-def: $sgpr2_sgpr3
                                        ; implicit-def: $sgpr34_sgpr35
	s_branch .LBB1616_259
.LBB1616_258:                           ;   in Loop: Header=BB1616_259 Depth=1
	s_or_b64 exec, exec, s[36:37]
	s_and_b64 s[0:1], exec, s[28:29]
	s_or_b64 s[24:25], s[0:1], s[24:25]
	s_andn2_b64 s[0:1], s[34:35], exec
	s_and_b64 s[4:5], s[30:31], exec
	s_or_b64 s[34:35], s[0:1], s[4:5]
	s_andn2_b64 s[0:1], s[26:27], exec
	s_and_b64 s[4:5], s[2:3], exec
	s_or_b64 s[26:27], s[0:1], s[4:5]
	s_andn2_b64 exec, exec, s[24:25]
	s_cbranch_execz .LBB1616_261
.LBB1616_259:                           ; =>This Inner Loop Header: Depth=1
	flat_load_dwordx2 v[70:71], v[16:17]
	flat_load_dwordx2 v[80:81], v[14:15]
	s_andn2_b64 s[36:37], s[2:3], exec
	s_andn2_b64 s[30:31], s[30:31], exec
	s_or_b64 s[28:29], s[28:29], exec
	s_waitcnt vmcnt(0) lgkmcnt(0)
	v_cmp_le_u64_e64 s[2:3], v[70:71], v[80:81]
	v_cmp_lt_u64_e64 s[0:1], v[70:71], v[80:81]
	s_and_b64 s[2:3], s[2:3], s[34:35]
	s_or_b64 s[38:39], s[0:1], s[2:3]
	s_and_b64 s[0:1], s[38:39], exec
	v_cmp_eq_u64_e64 s[4:5], v[70:71], v[80:81]
	s_or_b64 s[2:3], s[36:37], s[0:1]
	s_and_saveexec_b64 s[36:37], s[4:5]
	s_cbranch_execz .LBB1616_258
; %bb.260:                              ;   in Loop: Header=BB1616_259 Depth=1
	v_lshl_add_u64 v[18:19], v[18:19], 0, -1
	v_cmp_eq_u64_e64 s[0:1], 0, v[18:19]
	s_andn2_b64 s[4:5], s[30:31], exec
	s_and_b64 s[30:31], s[38:39], exec
	s_or_b64 s[30:31], s[4:5], s[30:31]
	s_andn2_b64 s[4:5], s[28:29], exec
	s_and_b64 s[0:1], s[0:1], exec
	v_lshl_add_u64 v[14:15], v[14:15], 0, 8
	v_lshl_add_u64 v[16:17], v[16:17], 0, 8
	s_andn2_b64 s[2:3], s[2:3], exec
	s_or_b64 s[28:29], s[4:5], s[0:1]
                                        ; implicit-def: $sgpr34_sgpr35
	s_branch .LBB1616_258
.LBB1616_261:
	s_or_b64 exec, exec, s[24:25]
	s_and_b64 s[0:1], s[26:27], exec
.LBB1616_262:
	s_or_b64 exec, exec, s[22:23]
	s_xor_b64 s[0:1], s[0:1], -1
	s_and_b64 s[2:3], s[0:1], exec
.LBB1616_263:
	s_or_b64 exec, exec, s[18:19]
	s_orn2_b64 s[18:19], s[2:3], exec
.LBB1616_264:
	s_or_b64 exec, exec, s[20:21]
	v_cndmask_b32_e64 v12, v23, v66, s[18:19]
	v_cndmask_b32_e64 v14, v100, v99, s[18:19]
	v_add_u32_e32 v15, 1, v12
	v_add_u32_e32 v12, -1, v14
	v_min_u32_e32 v12, v15, v12
	v_lshl_add_u64 v[12:13], v[12:13], 3, v[54:55]
	flat_load_dwordx2 v[12:13], v[12:13]
	v_cndmask_b32_e64 v18, v15, v23, s[18:19]
	v_cndmask_b32_e64 v19, v66, v15, s[18:19]
	v_cmp_lt_u32_e64 s[0:1], v18, v100
	s_waitcnt vmcnt(0) lgkmcnt(0)
	v_cndmask_b32_e64 v23, v13, v20, s[18:19]
	v_cndmask_b32_e64 v69, v12, v21, s[18:19]
	;; [unrolled: 1-line block ×4, first 2 shown]
	s_and_saveexec_b64 s[20:21], s[0:1]
	s_cbranch_execz .LBB1616_274
; %bb.265:
	v_cmp_lt_u32_e64 s[0:1], v19, v99
	s_mov_b64 s[2:3], 0
	s_and_saveexec_b64 s[16:17], s[0:1]
	s_cbranch_execz .LBB1616_273
; %bb.266:
	s_mov_b64 s[0:1], 0
	s_and_saveexec_b64 s[22:23], vcc
	s_cbranch_execz .LBB1616_272
; %bb.267:
	v_mul_lo_u32 v14, v70, v6
	v_mul_lo_u32 v15, v71, v7
	v_mad_u64_u32 v[12:13], s[0:1], v71, v6, 0
	v_add3_u32 v13, v13, v15, v14
	v_mul_lo_u32 v16, v23, v6
	v_mul_lo_u32 v17, v69, v7
	v_mad_u64_u32 v[14:15], s[0:1], v69, v6, 0
	v_add3_u32 v15, v15, v17, v16
	v_lshl_add_u64 v[12:13], v[12:13], 3, v[8:9]
	v_lshl_add_u64 v[14:15], v[14:15], 3, v[8:9]
	s_mov_b64 s[24:25], 0
	v_mov_b64_e32 v[16:17], v[6:7]
                                        ; implicit-def: $sgpr26_sgpr27
                                        ; implicit-def: $sgpr28_sgpr29
                                        ; implicit-def: $sgpr30_sgpr31
                                        ; implicit-def: $sgpr2_sgpr3
                                        ; implicit-def: $sgpr34_sgpr35
	s_branch .LBB1616_269
.LBB1616_268:                           ;   in Loop: Header=BB1616_269 Depth=1
	s_or_b64 exec, exec, s[36:37]
	s_and_b64 s[0:1], exec, s[28:29]
	s_or_b64 s[24:25], s[0:1], s[24:25]
	s_andn2_b64 s[0:1], s[34:35], exec
	s_and_b64 s[4:5], s[30:31], exec
	s_or_b64 s[34:35], s[0:1], s[4:5]
	s_andn2_b64 s[0:1], s[26:27], exec
	s_and_b64 s[4:5], s[2:3], exec
	s_or_b64 s[26:27], s[0:1], s[4:5]
	s_andn2_b64 exec, exec, s[24:25]
	s_cbranch_execz .LBB1616_271
.LBB1616_269:                           ; =>This Inner Loop Header: Depth=1
	flat_load_dwordx2 v[66:67], v[14:15]
	flat_load_dwordx2 v[80:81], v[12:13]
	s_andn2_b64 s[36:37], s[2:3], exec
	s_andn2_b64 s[30:31], s[30:31], exec
	s_or_b64 s[28:29], s[28:29], exec
	s_waitcnt vmcnt(0) lgkmcnt(0)
	v_cmp_le_u64_e64 s[2:3], v[66:67], v[80:81]
	v_cmp_lt_u64_e64 s[0:1], v[66:67], v[80:81]
	s_and_b64 s[2:3], s[2:3], s[34:35]
	s_or_b64 s[38:39], s[0:1], s[2:3]
	s_and_b64 s[0:1], s[38:39], exec
	v_cmp_eq_u64_e64 s[4:5], v[66:67], v[80:81]
	s_or_b64 s[2:3], s[36:37], s[0:1]
	s_and_saveexec_b64 s[36:37], s[4:5]
	s_cbranch_execz .LBB1616_268
; %bb.270:                              ;   in Loop: Header=BB1616_269 Depth=1
	v_lshl_add_u64 v[16:17], v[16:17], 0, -1
	v_cmp_eq_u64_e64 s[0:1], 0, v[16:17]
	s_andn2_b64 s[4:5], s[30:31], exec
	s_and_b64 s[30:31], s[38:39], exec
	s_or_b64 s[30:31], s[4:5], s[30:31]
	s_andn2_b64 s[4:5], s[28:29], exec
	s_and_b64 s[0:1], s[0:1], exec
	v_lshl_add_u64 v[12:13], v[12:13], 0, 8
	v_lshl_add_u64 v[14:15], v[14:15], 0, 8
	s_andn2_b64 s[2:3], s[2:3], exec
	s_or_b64 s[28:29], s[4:5], s[0:1]
                                        ; implicit-def: $sgpr34_sgpr35
	s_branch .LBB1616_268
.LBB1616_271:
	s_or_b64 exec, exec, s[24:25]
	s_and_b64 s[0:1], s[26:27], exec
.LBB1616_272:
	s_or_b64 exec, exec, s[22:23]
	s_xor_b64 s[0:1], s[0:1], -1
	s_and_b64 s[2:3], s[0:1], exec
.LBB1616_273:
	s_or_b64 exec, exec, s[16:17]
	s_orn2_b64 s[16:17], s[2:3], exec
.LBB1616_274:
	s_or_b64 exec, exec, s[20:21]
	v_cndmask_b32_e64 v12, v18, v19, s[16:17]
	v_cndmask_b32_e64 v13, v100, v99, s[16:17]
	v_add_u32_e32 v16, 1, v12
	v_add_u32_e32 v12, -1, v13
	v_min_u32_e32 v12, v16, v12
	v_mov_b32_e32 v13, 0
	v_lshl_add_u64 v[14:15], v[12:13], 3, v[54:55]
	flat_load_dwordx2 v[14:15], v[14:15]
	v_cndmask_b32_e64 v66, v16, v18, s[16:17]
	s_mov_b64 s[20:21], -1
	v_cndmask_b32_e64 v67, v19, v16, s[16:17]
	v_cmp_lt_u32_e64 s[0:1], v66, v100
	s_mov_b64 s[22:23], -1
	s_waitcnt vmcnt(0) lgkmcnt(0)
	v_cndmask_b32_e64 v80, v15, v23, s[16:17]
	v_cndmask_b32_e64 v81, v14, v69, s[16:17]
	;; [unrolled: 1-line block ×4, first 2 shown]
	s_and_saveexec_b64 s[24:25], s[0:1]
	s_cbranch_execz .LBB1616_284
; %bb.275:
	v_cmp_lt_u32_e64 s[0:1], v67, v99
	s_mov_b64 s[2:3], 0
	s_and_saveexec_b64 s[22:23], s[0:1]
	s_cbranch_execz .LBB1616_283
; %bb.276:
	s_mov_b64 s[0:1], -1
	s_and_saveexec_b64 s[26:27], vcc
	s_cbranch_execz .LBB1616_282
; %bb.277:
	v_mul_lo_u32 v12, v82, v6
	v_mul_lo_u32 v16, v83, v7
	v_mad_u64_u32 v[14:15], s[0:1], v83, v6, 0
	v_add3_u32 v15, v15, v16, v12
	v_mul_lo_u32 v12, v80, v6
	v_mul_lo_u32 v18, v81, v7
	v_mad_u64_u32 v[16:17], s[0:1], v81, v6, 0
	v_add3_u32 v17, v17, v18, v12
	v_lshl_add_u64 v[14:15], v[14:15], 3, v[8:9]
	v_lshl_add_u64 v[16:17], v[16:17], 3, v[8:9]
	s_mov_b64 s[28:29], 0
	v_mov_b64_e32 v[18:19], v[6:7]
                                        ; implicit-def: $sgpr30_sgpr31
                                        ; implicit-def: $sgpr34_sgpr35
                                        ; implicit-def: $sgpr2_sgpr3
                                        ; implicit-def: $sgpr36_sgpr37
                                        ; implicit-def: $sgpr38_sgpr39
	s_branch .LBB1616_279
.LBB1616_278:                           ;   in Loop: Header=BB1616_279 Depth=1
	s_or_b64 exec, exec, s[40:41]
	s_and_b64 s[0:1], exec, s[34:35]
	s_or_b64 s[28:29], s[0:1], s[28:29]
	s_andn2_b64 s[0:1], s[38:39], exec
	s_and_b64 s[4:5], s[36:37], exec
	s_or_b64 s[38:39], s[0:1], s[4:5]
	s_andn2_b64 s[0:1], s[30:31], exec
	s_and_b64 s[4:5], s[2:3], exec
	s_or_b64 s[30:31], s[0:1], s[4:5]
	s_andn2_b64 exec, exec, s[28:29]
	s_cbranch_execz .LBB1616_281
.LBB1616_279:                           ; =>This Inner Loop Header: Depth=1
	flat_load_dwordx2 v[84:85], v[16:17]
	flat_load_dwordx2 v[86:87], v[14:15]
	s_andn2_b64 s[40:41], s[2:3], exec
	s_andn2_b64 s[36:37], s[36:37], exec
	s_or_b64 s[34:35], s[34:35], exec
	s_waitcnt vmcnt(0) lgkmcnt(0)
	v_cmp_le_u64_e64 s[2:3], v[84:85], v[86:87]
	v_cmp_lt_u64_e64 s[0:1], v[84:85], v[86:87]
	s_and_b64 s[2:3], s[2:3], s[38:39]
	s_or_b64 s[42:43], s[0:1], s[2:3]
	s_and_b64 s[0:1], s[42:43], exec
	v_cmp_eq_u64_e64 s[4:5], v[84:85], v[86:87]
	s_or_b64 s[2:3], s[40:41], s[0:1]
	s_and_saveexec_b64 s[40:41], s[4:5]
	s_cbranch_execz .LBB1616_278
; %bb.280:                              ;   in Loop: Header=BB1616_279 Depth=1
	v_lshl_add_u64 v[18:19], v[18:19], 0, -1
	v_cmp_eq_u64_e64 s[0:1], 0, v[18:19]
	s_andn2_b64 s[4:5], s[36:37], exec
	s_and_b64 s[36:37], s[42:43], exec
	s_or_b64 s[36:37], s[4:5], s[36:37]
	s_andn2_b64 s[4:5], s[34:35], exec
	s_and_b64 s[0:1], s[0:1], exec
	v_lshl_add_u64 v[14:15], v[14:15], 0, 8
	v_lshl_add_u64 v[16:17], v[16:17], 0, 8
	s_andn2_b64 s[2:3], s[2:3], exec
	s_or_b64 s[34:35], s[4:5], s[0:1]
                                        ; implicit-def: $sgpr38_sgpr39
	s_branch .LBB1616_278
.LBB1616_281:
	s_or_b64 exec, exec, s[28:29]
	s_xor_b64 s[0:1], s[30:31], -1
	s_orn2_b64 s[0:1], s[0:1], exec
.LBB1616_282:
	s_or_b64 exec, exec, s[26:27]
	s_and_b64 s[2:3], s[0:1], exec
.LBB1616_283:
	s_or_b64 exec, exec, s[22:23]
	s_orn2_b64 s[22:23], s[2:3], exec
.LBB1616_284:
	s_or_b64 exec, exec, s[24:25]
	v_cndmask_b32_e64 v12, v66, v67, s[22:23]
	v_cndmask_b32_e64 v14, v100, v99, s[22:23]
	v_add_u32_e32 v15, 1, v12
	v_add_u32_e32 v12, -1, v14
	v_min_u32_e32 v12, v15, v12
	v_lshl_add_u64 v[12:13], v[12:13], 3, v[54:55]
	flat_load_dwordx2 v[12:13], v[12:13]
	v_cndmask_b32_e64 v18, v15, v66, s[22:23]
	v_cndmask_b32_e64 v19, v67, v15, s[22:23]
	v_cmp_lt_u32_e64 s[0:1], v18, v100
	s_waitcnt vmcnt(0) lgkmcnt(0)
	v_cndmask_b32_e64 v84, v13, v80, s[22:23]
	v_cndmask_b32_e64 v85, v12, v81, s[22:23]
	;; [unrolled: 1-line block ×4, first 2 shown]
	s_and_saveexec_b64 s[24:25], s[0:1]
	s_cbranch_execz .LBB1616_294
; %bb.285:
	v_cmp_lt_u32_e64 s[0:1], v19, v99
	s_mov_b64 s[2:3], 0
	s_and_saveexec_b64 s[20:21], s[0:1]
	s_cbranch_execz .LBB1616_293
; %bb.286:
	s_mov_b64 s[0:1], -1
	s_and_saveexec_b64 s[26:27], vcc
	s_cbranch_execz .LBB1616_292
; %bb.287:
	v_mul_lo_u32 v14, v86, v6
	v_mul_lo_u32 v15, v87, v7
	v_mad_u64_u32 v[12:13], s[0:1], v87, v6, 0
	v_add3_u32 v13, v13, v15, v14
	v_mul_lo_u32 v16, v84, v6
	v_mul_lo_u32 v17, v85, v7
	v_mad_u64_u32 v[14:15], s[0:1], v85, v6, 0
	v_add3_u32 v15, v15, v17, v16
	v_lshl_add_u64 v[12:13], v[12:13], 3, v[8:9]
	v_lshl_add_u64 v[14:15], v[14:15], 3, v[8:9]
	s_mov_b64 s[28:29], 0
	v_mov_b64_e32 v[16:17], v[6:7]
                                        ; implicit-def: $sgpr30_sgpr31
                                        ; implicit-def: $sgpr34_sgpr35
                                        ; implicit-def: $sgpr2_sgpr3
                                        ; implicit-def: $sgpr36_sgpr37
                                        ; implicit-def: $sgpr38_sgpr39
	s_branch .LBB1616_289
.LBB1616_288:                           ;   in Loop: Header=BB1616_289 Depth=1
	s_or_b64 exec, exec, s[40:41]
	s_and_b64 s[0:1], exec, s[34:35]
	s_or_b64 s[28:29], s[0:1], s[28:29]
	s_andn2_b64 s[0:1], s[38:39], exec
	s_and_b64 s[4:5], s[36:37], exec
	s_or_b64 s[38:39], s[0:1], s[4:5]
	s_andn2_b64 s[0:1], s[30:31], exec
	s_and_b64 s[4:5], s[2:3], exec
	s_or_b64 s[30:31], s[0:1], s[4:5]
	s_andn2_b64 exec, exec, s[28:29]
	s_cbranch_execz .LBB1616_291
.LBB1616_289:                           ; =>This Inner Loop Header: Depth=1
	flat_load_dwordx2 v[66:67], v[14:15]
	flat_load_dwordx2 v[96:97], v[12:13]
	s_andn2_b64 s[40:41], s[2:3], exec
	s_andn2_b64 s[36:37], s[36:37], exec
	s_or_b64 s[34:35], s[34:35], exec
	s_waitcnt vmcnt(0) lgkmcnt(0)
	v_cmp_le_u64_e64 s[2:3], v[66:67], v[96:97]
	v_cmp_lt_u64_e64 s[0:1], v[66:67], v[96:97]
	s_and_b64 s[2:3], s[2:3], s[38:39]
	s_or_b64 s[42:43], s[0:1], s[2:3]
	s_and_b64 s[0:1], s[42:43], exec
	v_cmp_eq_u64_e64 s[4:5], v[66:67], v[96:97]
	s_or_b64 s[2:3], s[40:41], s[0:1]
	s_and_saveexec_b64 s[40:41], s[4:5]
	s_cbranch_execz .LBB1616_288
; %bb.290:                              ;   in Loop: Header=BB1616_289 Depth=1
	v_lshl_add_u64 v[16:17], v[16:17], 0, -1
	v_cmp_eq_u64_e64 s[0:1], 0, v[16:17]
	s_andn2_b64 s[4:5], s[36:37], exec
	s_and_b64 s[36:37], s[42:43], exec
	s_or_b64 s[36:37], s[4:5], s[36:37]
	s_andn2_b64 s[4:5], s[34:35], exec
	s_and_b64 s[0:1], s[0:1], exec
	v_lshl_add_u64 v[12:13], v[12:13], 0, 8
	v_lshl_add_u64 v[14:15], v[14:15], 0, 8
	s_andn2_b64 s[2:3], s[2:3], exec
	s_or_b64 s[34:35], s[4:5], s[0:1]
                                        ; implicit-def: $sgpr38_sgpr39
	s_branch .LBB1616_288
.LBB1616_291:
	s_or_b64 exec, exec, s[28:29]
	s_xor_b64 s[0:1], s[30:31], -1
	s_orn2_b64 s[0:1], s[0:1], exec
.LBB1616_292:
	s_or_b64 exec, exec, s[26:27]
	s_and_b64 s[2:3], s[0:1], exec
.LBB1616_293:
	s_or_b64 exec, exec, s[20:21]
	s_orn2_b64 s[20:21], s[2:3], exec
.LBB1616_294:
	s_or_b64 exec, exec, s[24:25]
	v_cndmask_b32_e64 v12, v18, v19, s[20:21]
	v_cndmask_b32_e64 v13, v100, v99, s[20:21]
	v_add_u32_e32 v16, 1, v12
	v_add_u32_e32 v12, -1, v13
	v_min_u32_e32 v12, v16, v12
	v_mov_b32_e32 v13, 0
	v_lshl_add_u64 v[14:15], v[12:13], 3, v[54:55]
	flat_load_dwordx2 v[14:15], v[14:15]
	v_cndmask_b32_e64 v66, v16, v18, s[20:21]
	s_mov_b64 s[24:25], -1
	v_cndmask_b32_e64 v67, v19, v16, s[20:21]
	v_cmp_lt_u32_e64 s[0:1], v66, v100
	s_mov_b64 s[26:27], -1
	s_waitcnt vmcnt(0) lgkmcnt(0)
	v_cndmask_b32_e64 v96, v15, v84, s[20:21]
	v_cndmask_b32_e64 v97, v14, v85, s[20:21]
	;; [unrolled: 1-line block ×4, first 2 shown]
	s_and_saveexec_b64 s[28:29], s[0:1]
	s_cbranch_execz .LBB1616_304
; %bb.295:
	v_cmp_lt_u32_e64 s[0:1], v67, v99
	s_mov_b64 s[2:3], 0
	s_and_saveexec_b64 s[26:27], s[0:1]
	s_cbranch_execz .LBB1616_303
; %bb.296:
	s_mov_b64 s[0:1], -1
	s_and_saveexec_b64 s[30:31], vcc
	s_cbranch_execz .LBB1616_302
; %bb.297:
	v_mul_lo_u32 v12, v101, v6
	v_mul_lo_u32 v16, v102, v7
	v_mad_u64_u32 v[14:15], s[0:1], v102, v6, 0
	v_add3_u32 v15, v15, v16, v12
	v_mul_lo_u32 v12, v96, v6
	v_mul_lo_u32 v18, v97, v7
	v_mad_u64_u32 v[16:17], s[0:1], v97, v6, 0
	v_add3_u32 v17, v17, v18, v12
	v_lshl_add_u64 v[14:15], v[14:15], 3, v[8:9]
	v_lshl_add_u64 v[16:17], v[16:17], 3, v[8:9]
	s_mov_b64 s[34:35], 0
	v_mov_b64_e32 v[18:19], v[6:7]
                                        ; implicit-def: $sgpr36_sgpr37
                                        ; implicit-def: $sgpr38_sgpr39
                                        ; implicit-def: $sgpr2_sgpr3
                                        ; implicit-def: $sgpr40_sgpr41
                                        ; implicit-def: $sgpr42_sgpr43
	s_branch .LBB1616_299
.LBB1616_298:                           ;   in Loop: Header=BB1616_299 Depth=1
	s_or_b64 exec, exec, s[44:45]
	s_and_b64 s[0:1], exec, s[38:39]
	s_or_b64 s[34:35], s[0:1], s[34:35]
	s_andn2_b64 s[0:1], s[42:43], exec
	s_and_b64 s[4:5], s[40:41], exec
	s_or_b64 s[42:43], s[0:1], s[4:5]
	s_andn2_b64 s[0:1], s[36:37], exec
	s_and_b64 s[4:5], s[2:3], exec
	s_or_b64 s[36:37], s[0:1], s[4:5]
	s_andn2_b64 exec, exec, s[34:35]
	s_cbranch_execz .LBB1616_301
.LBB1616_299:                           ; =>This Inner Loop Header: Depth=1
	flat_load_dwordx2 v[112:113], v[16:17]
	flat_load_dwordx2 v[114:115], v[14:15]
	s_andn2_b64 s[44:45], s[2:3], exec
	s_andn2_b64 s[40:41], s[40:41], exec
	s_or_b64 s[38:39], s[38:39], exec
	s_waitcnt vmcnt(0) lgkmcnt(0)
	v_cmp_le_u64_e64 s[2:3], v[112:113], v[114:115]
	v_cmp_lt_u64_e64 s[0:1], v[112:113], v[114:115]
	s_and_b64 s[2:3], s[2:3], s[42:43]
	s_or_b64 s[46:47], s[0:1], s[2:3]
	s_and_b64 s[0:1], s[46:47], exec
	v_cmp_eq_u64_e64 s[4:5], v[112:113], v[114:115]
	s_or_b64 s[2:3], s[44:45], s[0:1]
	s_and_saveexec_b64 s[44:45], s[4:5]
	s_cbranch_execz .LBB1616_298
; %bb.300:                              ;   in Loop: Header=BB1616_299 Depth=1
	v_lshl_add_u64 v[18:19], v[18:19], 0, -1
	v_cmp_eq_u64_e64 s[0:1], 0, v[18:19]
	s_andn2_b64 s[4:5], s[40:41], exec
	s_and_b64 s[40:41], s[46:47], exec
	s_or_b64 s[40:41], s[4:5], s[40:41]
	s_andn2_b64 s[4:5], s[38:39], exec
	s_and_b64 s[0:1], s[0:1], exec
	v_lshl_add_u64 v[14:15], v[14:15], 0, 8
	v_lshl_add_u64 v[16:17], v[16:17], 0, 8
	s_andn2_b64 s[2:3], s[2:3], exec
	s_or_b64 s[38:39], s[4:5], s[0:1]
                                        ; implicit-def: $sgpr42_sgpr43
	s_branch .LBB1616_298
.LBB1616_301:
	s_or_b64 exec, exec, s[34:35]
	s_xor_b64 s[0:1], s[36:37], -1
	s_orn2_b64 s[0:1], s[0:1], exec
.LBB1616_302:
	s_or_b64 exec, exec, s[30:31]
	s_and_b64 s[2:3], s[0:1], exec
.LBB1616_303:
	s_or_b64 exec, exec, s[26:27]
	s_orn2_b64 s[26:27], s[2:3], exec
.LBB1616_304:
	s_or_b64 exec, exec, s[28:29]
	v_cndmask_b32_e64 v12, v66, v67, s[26:27]
	v_cndmask_b32_e64 v14, v100, v99, s[26:27]
	v_add_u32_e32 v15, 1, v12
	v_add_u32_e32 v12, -1, v14
	v_min_u32_e32 v12, v15, v12
	v_lshl_add_u64 v[12:13], v[12:13], 3, v[54:55]
	flat_load_dwordx2 v[12:13], v[12:13]
	v_cndmask_b32_e64 v114, v15, v66, s[26:27]
	v_cndmask_b32_e64 v103, v67, v15, s[26:27]
	v_cmp_lt_u32_e64 s[0:1], v114, v100
	s_waitcnt vmcnt(0) lgkmcnt(0)
	v_cndmask_b32_e64 v112, v13, v96, s[26:27]
	v_cndmask_b32_e64 v113, v12, v97, s[26:27]
	;; [unrolled: 1-line block ×4, first 2 shown]
	s_and_saveexec_b64 s[28:29], s[0:1]
	s_cbranch_execz .LBB1616_314
; %bb.305:
	v_cmp_lt_u32_e64 s[0:1], v103, v99
	s_mov_b64 s[2:3], 0
	s_and_saveexec_b64 s[24:25], s[0:1]
	s_cbranch_execz .LBB1616_313
; %bb.306:
	s_mov_b64 s[0:1], -1
	s_and_saveexec_b64 s[30:31], vcc
	s_cbranch_execz .LBB1616_312
; %bb.307:
	v_mul_lo_u32 v14, v115, v6
	v_mul_lo_u32 v15, v116, v7
	v_mad_u64_u32 v[12:13], s[0:1], v116, v6, 0
	v_add3_u32 v13, v13, v15, v14
	v_mul_lo_u32 v16, v112, v6
	v_mul_lo_u32 v17, v113, v7
	v_mad_u64_u32 v[14:15], s[0:1], v113, v6, 0
	v_add3_u32 v15, v15, v17, v16
	v_lshl_add_u64 v[12:13], v[12:13], 3, v[8:9]
	v_lshl_add_u64 v[14:15], v[14:15], 3, v[8:9]
	s_mov_b64 s[34:35], 0
	v_mov_b64_e32 v[16:17], v[6:7]
                                        ; implicit-def: $sgpr36_sgpr37
                                        ; implicit-def: $sgpr38_sgpr39
                                        ; implicit-def: $sgpr2_sgpr3
                                        ; implicit-def: $sgpr40_sgpr41
                                        ; implicit-def: $sgpr42_sgpr43
	s_branch .LBB1616_309
.LBB1616_308:                           ;   in Loop: Header=BB1616_309 Depth=1
	s_or_b64 exec, exec, s[44:45]
	s_and_b64 s[0:1], exec, s[38:39]
	s_or_b64 s[34:35], s[0:1], s[34:35]
	s_andn2_b64 s[0:1], s[42:43], exec
	s_and_b64 s[4:5], s[40:41], exec
	s_or_b64 s[42:43], s[0:1], s[4:5]
	s_andn2_b64 s[0:1], s[36:37], exec
	s_and_b64 s[4:5], s[2:3], exec
	s_or_b64 s[36:37], s[0:1], s[4:5]
	s_andn2_b64 exec, exec, s[34:35]
	s_cbranch_execz .LBB1616_311
.LBB1616_309:                           ; =>This Inner Loop Header: Depth=1
	flat_load_dwordx2 v[18:19], v[14:15]
	flat_load_dwordx2 v[66:67], v[12:13]
	s_andn2_b64 s[44:45], s[2:3], exec
	s_andn2_b64 s[40:41], s[40:41], exec
	s_or_b64 s[38:39], s[38:39], exec
	s_waitcnt vmcnt(0) lgkmcnt(0)
	v_cmp_le_u64_e64 s[2:3], v[18:19], v[66:67]
	v_cmp_lt_u64_e64 s[0:1], v[18:19], v[66:67]
	s_and_b64 s[2:3], s[2:3], s[42:43]
	s_or_b64 s[46:47], s[0:1], s[2:3]
	s_and_b64 s[0:1], s[46:47], exec
	v_cmp_eq_u64_e64 s[4:5], v[18:19], v[66:67]
	s_or_b64 s[2:3], s[44:45], s[0:1]
	s_and_saveexec_b64 s[44:45], s[4:5]
	s_cbranch_execz .LBB1616_308
; %bb.310:                              ;   in Loop: Header=BB1616_309 Depth=1
	v_lshl_add_u64 v[16:17], v[16:17], 0, -1
	v_cmp_eq_u64_e64 s[0:1], 0, v[16:17]
	s_andn2_b64 s[4:5], s[40:41], exec
	s_and_b64 s[40:41], s[46:47], exec
	s_or_b64 s[40:41], s[4:5], s[40:41]
	s_andn2_b64 s[4:5], s[38:39], exec
	s_and_b64 s[0:1], s[0:1], exec
	v_lshl_add_u64 v[12:13], v[12:13], 0, 8
	v_lshl_add_u64 v[14:15], v[14:15], 0, 8
	s_andn2_b64 s[2:3], s[2:3], exec
	s_or_b64 s[38:39], s[4:5], s[0:1]
                                        ; implicit-def: $sgpr42_sgpr43
	s_branch .LBB1616_308
.LBB1616_311:
	s_or_b64 exec, exec, s[34:35]
	s_xor_b64 s[0:1], s[36:37], -1
	s_orn2_b64 s[0:1], s[0:1], exec
.LBB1616_312:
	s_or_b64 exec, exec, s[30:31]
	s_and_b64 s[2:3], s[0:1], exec
.LBB1616_313:
	s_or_b64 exec, exec, s[24:25]
	s_orn2_b64 s[24:25], s[2:3], exec
.LBB1616_314:
	s_or_b64 exec, exec, s[28:29]
	v_cndmask_b32_e64 v12, v114, v103, s[24:25]
	v_cndmask_b32_e64 v13, v100, v99, s[24:25]
	v_add_u32_e32 v117, 1, v12
	v_add_u32_e32 v12, -1, v13
	v_min_u32_e32 v12, v117, v12
	v_mov_b32_e32 v13, 0
	v_lshl_add_u64 v[12:13], v[12:13], 3, v[54:55]
	flat_load_dwordx2 v[66:67], v[12:13]
	v_cndmask_b32_e64 v17, v23, v70, s[16:17]
	v_cndmask_b32_e64 v23, v20, v22, s[18:19]
	;; [unrolled: 1-line block ×15, first 2 shown]
	v_cmp_lt_u32_e64 s[0:1], v68, v100
	s_waitcnt vmcnt(0) lgkmcnt(0)
	v_cndmask_b32_e64 v3, v115, v67, s[24:25]
	v_cndmask_b32_e64 v2, v116, v66, s[24:25]
	s_and_saveexec_b64 s[14:15], s[0:1]
	s_cbranch_execz .LBB1616_324
; %bb.315:
	v_cndmask_b32_e64 v68, v103, v117, s[24:25]
	v_cndmask_b32_e64 v67, v67, v112, s[24:25]
	;; [unrolled: 1-line block ×3, first 2 shown]
	v_cmp_lt_u32_e64 s[0:1], v68, v99
	s_and_saveexec_b64 s[16:17], s[0:1]
	s_cbranch_execz .LBB1616_323
; %bb.316:
	s_and_saveexec_b64 s[18:19], vcc
	s_cbranch_execz .LBB1616_322
; %bb.317:
	v_mul_lo_u32 v70, v3, v6
	v_mul_lo_u32 v71, v2, v7
	v_mad_u64_u32 v[68:69], s[0:1], v2, v6, 0
	v_add3_u32 v69, v69, v71, v70
	v_mul_lo_u32 v80, v67, v6
	v_mul_lo_u32 v81, v66, v7
	v_mad_u64_u32 v[70:71], s[0:1], v66, v6, 0
	v_add3_u32 v71, v71, v81, v80
	v_lshl_add_u64 v[68:69], v[68:69], 3, v[8:9]
	v_lshl_add_u64 v[70:71], v[70:71], 3, v[8:9]
	s_mov_b64 s[20:21], 0
	v_mov_b64_e32 v[80:81], v[6:7]
                                        ; implicit-def: $sgpr22_sgpr23
                                        ; implicit-def: $sgpr24_sgpr25
                                        ; implicit-def: $sgpr2_sgpr3
                                        ; implicit-def: $sgpr26_sgpr27
                                        ; implicit-def: $sgpr28_sgpr29
	s_branch .LBB1616_319
.LBB1616_318:                           ;   in Loop: Header=BB1616_319 Depth=1
	s_or_b64 exec, exec, s[30:31]
	s_and_b64 s[0:1], exec, s[24:25]
	s_or_b64 s[20:21], s[0:1], s[20:21]
	s_andn2_b64 s[0:1], s[28:29], exec
	s_and_b64 s[4:5], s[26:27], exec
	s_or_b64 s[28:29], s[0:1], s[4:5]
	s_andn2_b64 s[0:1], s[22:23], exec
	s_and_b64 s[4:5], s[2:3], exec
	s_or_b64 s[22:23], s[0:1], s[4:5]
	s_andn2_b64 exec, exec, s[20:21]
	s_cbranch_execz .LBB1616_321
.LBB1616_319:                           ; =>This Inner Loop Header: Depth=1
	flat_load_dwordx2 v[82:83], v[70:71]
	flat_load_dwordx2 v[84:85], v[68:69]
	s_andn2_b64 s[30:31], s[2:3], exec
	s_andn2_b64 s[26:27], s[26:27], exec
	s_or_b64 s[24:25], s[24:25], exec
	s_waitcnt vmcnt(0) lgkmcnt(0)
	v_cmp_le_u64_e64 s[2:3], v[82:83], v[84:85]
	v_cmp_lt_u64_e64 s[0:1], v[82:83], v[84:85]
	s_and_b64 s[2:3], s[2:3], s[28:29]
	s_or_b64 s[34:35], s[0:1], s[2:3]
	s_and_b64 s[0:1], s[34:35], exec
	v_cmp_eq_u64_e64 s[4:5], v[82:83], v[84:85]
	s_or_b64 s[2:3], s[30:31], s[0:1]
	s_and_saveexec_b64 s[30:31], s[4:5]
	s_cbranch_execz .LBB1616_318
; %bb.320:                              ;   in Loop: Header=BB1616_319 Depth=1
	v_lshl_add_u64 v[80:81], v[80:81], 0, -1
	v_cmp_eq_u64_e64 s[0:1], 0, v[80:81]
	s_andn2_b64 s[4:5], s[26:27], exec
	s_and_b64 s[26:27], s[34:35], exec
	s_or_b64 s[26:27], s[4:5], s[26:27]
	s_andn2_b64 s[4:5], s[24:25], exec
	s_and_b64 s[0:1], s[0:1], exec
	v_lshl_add_u64 v[68:69], v[68:69], 0, 8
	v_lshl_add_u64 v[70:71], v[70:71], 0, 8
	s_andn2_b64 s[2:3], s[2:3], exec
	s_or_b64 s[24:25], s[4:5], s[0:1]
                                        ; implicit-def: $sgpr28_sgpr29
	s_branch .LBB1616_318
.LBB1616_321:
	s_or_b64 exec, exec, s[20:21]
	v_cndmask_b32_e64 v3, v3, v67, s[22:23]
	v_cndmask_b32_e64 v2, v2, v66, s[22:23]
.LBB1616_322:
	s_or_b64 exec, exec, s[18:19]
	v_mov_b64_e32 v[66:67], v[2:3]
.LBB1616_323:
	s_or_b64 exec, exec, s[16:17]
	v_mov_b64_e32 v[2:3], v[66:67]
.LBB1616_324:
	s_or_b64 exec, exec, s[14:15]
.LBB1616_325:
	s_or_b64 exec, exec, s[10:11]
	v_and_b32_e32 v101, 0x3e0, v98
	v_or_b32_e32 v66, 16, v101
	v_min_u32_e32 v99, v31, v66
	v_add_u32_e32 v66, 16, v99
	v_min_u32_e32 v100, v31, v66
	v_and_b32_e32 v66, 24, v98
	v_min_u32_e32 v102, v31, v66
	v_sub_u32_e32 v66, v99, v101
	v_sub_u32_e32 v67, v100, v99
	v_sub_u32_e64 v103, v102, v67 clamp
	v_min_u32_e32 v112, v102, v66
	v_cmp_lt_u32_e64 s[0:1], v103, v112
	; wave barrier
	flat_store_dwordx4 v[64:65], v[20:23]
	flat_store_dwordx4 v[64:65], v[16:19] offset:16
	flat_store_dwordx4 v[64:65], v[12:15] offset:32
	;; [unrolled: 1-line block ×3, first 2 shown]
	; wave barrier
	s_and_saveexec_b64 s[10:11], s[0:1]
	s_cbranch_execz .LBB1616_335
; %bb.326:
	v_lshlrev_b32_e32 v66, 3, v101
	v_mov_b32_e32 v67, 0
	v_lshl_add_u64 v[68:69], v[54:55], 0, v[66:67]
	v_lshlrev_b32_e32 v66, 3, v99
	v_lshl_add_u64 v[70:71], v[54:55], 0, v[66:67]
	v_lshlrev_b64 v[80:81], 3, v[6:7]
	s_mov_b64 s[14:15], 0
	s_branch .LBB1616_329
.LBB1616_327:                           ;   in Loop: Header=BB1616_329 Depth=1
	s_or_b64 exec, exec, s[18:19]
	s_and_b64 s[0:1], s[20:21], exec
.LBB1616_328:                           ;   in Loop: Header=BB1616_329 Depth=1
	s_or_b64 exec, exec, s[16:17]
	v_add_u32_e32 v66, 1, v82
	v_cndmask_b32_e64 v112, v112, v82, s[0:1]
	v_cndmask_b32_e64 v103, v66, v103, s[0:1]
	v_cmp_ge_u32_e64 s[0:1], v103, v112
	s_or_b64 s[14:15], s[0:1], s[14:15]
	s_andn2_b64 exec, exec, s[14:15]
	s_cbranch_execz .LBB1616_334
.LBB1616_329:                           ; =>This Loop Header: Depth=1
                                        ;     Child Loop BB1616_332 Depth 2
	v_add_u32_e32 v66, v112, v103
	v_lshrrev_b32_e32 v82, 1, v66
	s_mov_b64 s[0:1], 0
	s_and_saveexec_b64 s[16:17], vcc
	s_cbranch_execz .LBB1616_328
; %bb.330:                              ;   in Loop: Header=BB1616_329 Depth=1
	v_mov_b32_e32 v83, v67
	v_xad_u32 v66, v82, -1, v102
	v_lshl_add_u64 v[84:85], v[82:83], 3, v[68:69]
	v_lshl_add_u64 v[86:87], v[66:67], 3, v[70:71]
	flat_load_dwordx2 v[84:85], v[84:85]
	s_mov_b64 s[18:19], 0
	flat_load_dwordx2 v[86:87], v[86:87]
                                        ; implicit-def: $sgpr20_sgpr21
                                        ; implicit-def: $sgpr22_sgpr23
                                        ; implicit-def: $sgpr24_sgpr25
                                        ; implicit-def: $sgpr2_sgpr3
                                        ; implicit-def: $sgpr26_sgpr27
	s_waitcnt vmcnt(0) lgkmcnt(0)
	v_mul_lo_u32 v66, v80, v85
	v_mul_lo_u32 v83, v81, v84
	v_mad_u64_u32 v[84:85], s[0:1], v80, v84, v[8:9]
	v_mul_lo_u32 v96, v80, v87
	v_mul_lo_u32 v97, v81, v86
	v_mad_u64_u32 v[86:87], s[0:1], v80, v86, v[8:9]
	v_add3_u32 v85, v83, v85, v66
	v_add3_u32 v87, v97, v87, v96
	v_mov_b64_e32 v[96:97], v[6:7]
	s_branch .LBB1616_332
.LBB1616_331:                           ;   in Loop: Header=BB1616_332 Depth=2
	s_or_b64 exec, exec, s[28:29]
	s_and_b64 s[0:1], exec, s[22:23]
	s_or_b64 s[18:19], s[0:1], s[18:19]
	s_andn2_b64 s[0:1], s[26:27], exec
	s_and_b64 s[4:5], s[24:25], exec
	s_or_b64 s[26:27], s[0:1], s[4:5]
	s_andn2_b64 s[0:1], s[20:21], exec
	s_and_b64 s[4:5], s[2:3], exec
	s_or_b64 s[20:21], s[0:1], s[4:5]
	s_andn2_b64 exec, exec, s[18:19]
	s_cbranch_execz .LBB1616_327
.LBB1616_332:                           ;   Parent Loop BB1616_329 Depth=1
                                        ; =>  This Inner Loop Header: Depth=2
	flat_load_dwordx2 v[114:115], v[86:87]
	flat_load_dwordx2 v[116:117], v[84:85]
	s_andn2_b64 s[28:29], s[2:3], exec
	s_andn2_b64 s[24:25], s[24:25], exec
	s_or_b64 s[22:23], s[22:23], exec
	s_waitcnt vmcnt(0) lgkmcnt(0)
	v_cmp_le_u64_e64 s[2:3], v[114:115], v[116:117]
	v_cmp_lt_u64_e64 s[0:1], v[114:115], v[116:117]
	s_and_b64 s[2:3], s[2:3], s[26:27]
	s_or_b64 s[30:31], s[0:1], s[2:3]
	s_and_b64 s[0:1], s[30:31], exec
	v_cmp_eq_u64_e64 s[4:5], v[114:115], v[116:117]
	s_or_b64 s[2:3], s[28:29], s[0:1]
	s_and_saveexec_b64 s[28:29], s[4:5]
	s_cbranch_execz .LBB1616_331
; %bb.333:                              ;   in Loop: Header=BB1616_332 Depth=2
	v_lshl_add_u64 v[96:97], v[96:97], 0, -1
	v_cmp_eq_u64_e64 s[0:1], 0, v[96:97]
	s_andn2_b64 s[4:5], s[24:25], exec
	s_and_b64 s[24:25], s[30:31], exec
	s_or_b64 s[24:25], s[4:5], s[24:25]
	s_andn2_b64 s[4:5], s[22:23], exec
	s_and_b64 s[0:1], s[0:1], exec
	v_lshl_add_u64 v[84:85], v[84:85], 0, 8
	v_lshl_add_u64 v[86:87], v[86:87], 0, 8
	s_andn2_b64 s[2:3], s[2:3], exec
	s_or_b64 s[22:23], s[4:5], s[0:1]
                                        ; implicit-def: $sgpr26_sgpr27
	s_branch .LBB1616_331
.LBB1616_334:
	s_or_b64 exec, exec, s[14:15]
.LBB1616_335:
	s_or_b64 exec, exec, s[10:11]
	v_add_u32_e32 v67, v99, v102
	v_add_u32_e32 v66, v103, v101
	v_sub_u32_e32 v68, v67, v103
	v_cmp_le_u32_e64 s[0:1], v66, v99
	v_cmp_le_u32_e64 s[2:3], v68, v100
	s_or_b64 s[0:1], s[0:1], s[2:3]
	s_and_saveexec_b64 s[10:11], s[0:1]
	s_cbranch_execz .LBB1616_419
; %bb.336:
	v_cmp_ge_u32_e64 s[0:1], v66, v99
	v_cmp_lt_u32_e64 s[2:3], v66, v99
                                        ; implicit-def: $vgpr0_vgpr1
	s_and_saveexec_b64 s[4:5], s[2:3]
	s_cbranch_execz .LBB1616_338
; %bb.337:
	v_mov_b32_e32 v67, 0
	v_lshl_add_u64 v[0:1], v[66:67], 3, v[54:55]
	flat_load_dwordx2 v[0:1], v[0:1]
.LBB1616_338:
	s_or_b64 exec, exec, s[4:5]
	v_cmp_ge_u32_e64 s[14:15], v68, v100
	v_cmp_lt_u32_e64 s[2:3], v68, v100
                                        ; implicit-def: $vgpr2_vgpr3
	s_and_saveexec_b64 s[4:5], s[2:3]
	s_cbranch_execz .LBB1616_340
; %bb.339:
	v_mov_b32_e32 v69, 0
	v_lshl_add_u64 v[2:3], v[68:69], 3, v[54:55]
	flat_load_dwordx2 v[2:3], v[2:3]
.LBB1616_340:
	s_or_b64 exec, exec, s[4:5]
	s_or_b64 s[0:1], s[0:1], s[14:15]
	s_xor_b64 s[0:1], s[0:1], -1
	s_and_saveexec_b64 s[16:17], s[0:1]
	s_cbranch_execz .LBB1616_348
; %bb.341:
	s_mov_b64 s[0:1], 0
	s_and_saveexec_b64 s[18:19], vcc
	s_cbranch_execz .LBB1616_347
; %bb.342:
	s_waitcnt vmcnt(0) lgkmcnt(0)
	v_mul_lo_u32 v14, v1, v6
	v_mul_lo_u32 v15, v0, v7
	v_mad_u64_u32 v[12:13], s[0:1], v0, v6, 0
	v_add3_u32 v13, v13, v15, v14
	v_mul_lo_u32 v16, v3, v6
	v_mul_lo_u32 v17, v2, v7
	v_mad_u64_u32 v[14:15], s[0:1], v2, v6, 0
	v_add3_u32 v15, v15, v17, v16
	v_lshl_add_u64 v[12:13], v[12:13], 3, v[8:9]
	v_lshl_add_u64 v[14:15], v[14:15], 3, v[8:9]
	s_mov_b64 s[20:21], 0
	v_mov_b64_e32 v[16:17], v[6:7]
                                        ; implicit-def: $sgpr22_sgpr23
                                        ; implicit-def: $sgpr24_sgpr25
                                        ; implicit-def: $sgpr26_sgpr27
                                        ; implicit-def: $sgpr2_sgpr3
                                        ; implicit-def: $sgpr28_sgpr29
	s_branch .LBB1616_344
.LBB1616_343:                           ;   in Loop: Header=BB1616_344 Depth=1
	s_or_b64 exec, exec, s[30:31]
	s_and_b64 s[0:1], exec, s[24:25]
	s_or_b64 s[20:21], s[0:1], s[20:21]
	s_andn2_b64 s[0:1], s[28:29], exec
	s_and_b64 s[4:5], s[26:27], exec
	s_or_b64 s[28:29], s[0:1], s[4:5]
	s_andn2_b64 s[0:1], s[22:23], exec
	s_and_b64 s[4:5], s[2:3], exec
	s_or_b64 s[22:23], s[0:1], s[4:5]
	s_andn2_b64 exec, exec, s[20:21]
	s_cbranch_execz .LBB1616_346
.LBB1616_344:                           ; =>This Inner Loop Header: Depth=1
	flat_load_dwordx2 v[18:19], v[14:15]
	flat_load_dwordx2 v[20:21], v[12:13]
	s_andn2_b64 s[30:31], s[2:3], exec
	s_andn2_b64 s[26:27], s[26:27], exec
	s_or_b64 s[24:25], s[24:25], exec
	s_waitcnt vmcnt(0) lgkmcnt(0)
	v_cmp_le_u64_e64 s[2:3], v[18:19], v[20:21]
	v_cmp_lt_u64_e64 s[0:1], v[18:19], v[20:21]
	s_and_b64 s[2:3], s[2:3], s[28:29]
	s_or_b64 s[34:35], s[0:1], s[2:3]
	s_and_b64 s[0:1], s[34:35], exec
	v_cmp_eq_u64_e64 s[4:5], v[18:19], v[20:21]
	s_or_b64 s[2:3], s[30:31], s[0:1]
	s_and_saveexec_b64 s[30:31], s[4:5]
	s_cbranch_execz .LBB1616_343
; %bb.345:                              ;   in Loop: Header=BB1616_344 Depth=1
	v_lshl_add_u64 v[16:17], v[16:17], 0, -1
	v_cmp_eq_u64_e64 s[0:1], 0, v[16:17]
	s_andn2_b64 s[4:5], s[26:27], exec
	s_and_b64 s[26:27], s[34:35], exec
	s_or_b64 s[26:27], s[4:5], s[26:27]
	s_andn2_b64 s[4:5], s[24:25], exec
	s_and_b64 s[0:1], s[0:1], exec
	v_lshl_add_u64 v[12:13], v[12:13], 0, 8
	v_lshl_add_u64 v[14:15], v[14:15], 0, 8
	s_andn2_b64 s[2:3], s[2:3], exec
	s_or_b64 s[24:25], s[4:5], s[0:1]
                                        ; implicit-def: $sgpr28_sgpr29
	s_branch .LBB1616_343
.LBB1616_346:
	s_or_b64 exec, exec, s[20:21]
	s_and_b64 s[0:1], s[22:23], exec
.LBB1616_347:
	s_or_b64 exec, exec, s[18:19]
	s_xor_b64 s[0:1], s[0:1], -1
	s_andn2_b64 s[2:3], s[14:15], exec
	s_and_b64 s[0:1], s[0:1], exec
	s_or_b64 s[14:15], s[2:3], s[0:1]
.LBB1616_348:
	s_or_b64 exec, exec, s[16:17]
	v_cndmask_b32_e64 v12, v68, v66, s[14:15]
	v_cndmask_b32_e64 v13, v100, v99, s[14:15]
	v_add_u32_e32 v16, 1, v12
	v_add_u32_e32 v12, -1, v13
	v_min_u32_e32 v12, v16, v12
	v_mov_b32_e32 v13, 0
	v_lshl_add_u64 v[14:15], v[12:13], 3, v[54:55]
	flat_load_dwordx2 v[14:15], v[14:15]
	v_cndmask_b32_e64 v23, v16, v68, s[14:15]
	s_mov_b64 s[16:17], -1
	v_cndmask_b32_e64 v66, v66, v16, s[14:15]
	v_cmp_lt_u32_e64 s[0:1], v23, v100
	s_mov_b64 s[18:19], -1
	s_waitcnt vmcnt(0) lgkmcnt(0)
	v_cndmask_b32_e64 v20, v15, v3, s[14:15]
	v_cndmask_b32_e64 v21, v14, v2, s[14:15]
	;; [unrolled: 1-line block ×4, first 2 shown]
	s_and_saveexec_b64 s[20:21], s[0:1]
	s_cbranch_execz .LBB1616_358
; %bb.349:
	v_cmp_lt_u32_e64 s[0:1], v66, v99
	s_mov_b64 s[2:3], 0
	s_and_saveexec_b64 s[18:19], s[0:1]
	s_cbranch_execz .LBB1616_357
; %bb.350:
	s_mov_b64 s[0:1], 0
	s_and_saveexec_b64 s[22:23], vcc
	s_cbranch_execz .LBB1616_356
; %bb.351:
	v_mul_lo_u32 v12, v22, v6
	v_mul_lo_u32 v16, v68, v7
	v_mad_u64_u32 v[14:15], s[0:1], v68, v6, 0
	v_add3_u32 v15, v15, v16, v12
	v_mul_lo_u32 v12, v20, v6
	v_mul_lo_u32 v18, v21, v7
	v_mad_u64_u32 v[16:17], s[0:1], v21, v6, 0
	v_add3_u32 v17, v17, v18, v12
	v_lshl_add_u64 v[14:15], v[14:15], 3, v[8:9]
	v_lshl_add_u64 v[16:17], v[16:17], 3, v[8:9]
	s_mov_b64 s[24:25], 0
	v_mov_b64_e32 v[18:19], v[6:7]
                                        ; implicit-def: $sgpr26_sgpr27
                                        ; implicit-def: $sgpr28_sgpr29
                                        ; implicit-def: $sgpr30_sgpr31
                                        ; implicit-def: $sgpr2_sgpr3
                                        ; implicit-def: $sgpr34_sgpr35
	s_branch .LBB1616_353
.LBB1616_352:                           ;   in Loop: Header=BB1616_353 Depth=1
	s_or_b64 exec, exec, s[36:37]
	s_and_b64 s[0:1], exec, s[28:29]
	s_or_b64 s[24:25], s[0:1], s[24:25]
	s_andn2_b64 s[0:1], s[34:35], exec
	s_and_b64 s[4:5], s[30:31], exec
	s_or_b64 s[34:35], s[0:1], s[4:5]
	s_andn2_b64 s[0:1], s[26:27], exec
	s_and_b64 s[4:5], s[2:3], exec
	s_or_b64 s[26:27], s[0:1], s[4:5]
	s_andn2_b64 exec, exec, s[24:25]
	s_cbranch_execz .LBB1616_355
.LBB1616_353:                           ; =>This Inner Loop Header: Depth=1
	flat_load_dwordx2 v[70:71], v[16:17]
	flat_load_dwordx2 v[80:81], v[14:15]
	s_andn2_b64 s[36:37], s[2:3], exec
	s_andn2_b64 s[30:31], s[30:31], exec
	s_or_b64 s[28:29], s[28:29], exec
	s_waitcnt vmcnt(0) lgkmcnt(0)
	v_cmp_le_u64_e64 s[2:3], v[70:71], v[80:81]
	v_cmp_lt_u64_e64 s[0:1], v[70:71], v[80:81]
	s_and_b64 s[2:3], s[2:3], s[34:35]
	s_or_b64 s[38:39], s[0:1], s[2:3]
	s_and_b64 s[0:1], s[38:39], exec
	v_cmp_eq_u64_e64 s[4:5], v[70:71], v[80:81]
	s_or_b64 s[2:3], s[36:37], s[0:1]
	s_and_saveexec_b64 s[36:37], s[4:5]
	s_cbranch_execz .LBB1616_352
; %bb.354:                              ;   in Loop: Header=BB1616_353 Depth=1
	v_lshl_add_u64 v[18:19], v[18:19], 0, -1
	v_cmp_eq_u64_e64 s[0:1], 0, v[18:19]
	s_andn2_b64 s[4:5], s[30:31], exec
	s_and_b64 s[30:31], s[38:39], exec
	s_or_b64 s[30:31], s[4:5], s[30:31]
	s_andn2_b64 s[4:5], s[28:29], exec
	s_and_b64 s[0:1], s[0:1], exec
	v_lshl_add_u64 v[14:15], v[14:15], 0, 8
	v_lshl_add_u64 v[16:17], v[16:17], 0, 8
	s_andn2_b64 s[2:3], s[2:3], exec
	s_or_b64 s[28:29], s[4:5], s[0:1]
                                        ; implicit-def: $sgpr34_sgpr35
	s_branch .LBB1616_352
.LBB1616_355:
	s_or_b64 exec, exec, s[24:25]
	s_and_b64 s[0:1], s[26:27], exec
.LBB1616_356:
	s_or_b64 exec, exec, s[22:23]
	s_xor_b64 s[0:1], s[0:1], -1
	s_and_b64 s[2:3], s[0:1], exec
.LBB1616_357:
	s_or_b64 exec, exec, s[18:19]
	s_orn2_b64 s[18:19], s[2:3], exec
.LBB1616_358:
	s_or_b64 exec, exec, s[20:21]
	v_cndmask_b32_e64 v12, v23, v66, s[18:19]
	v_cndmask_b32_e64 v14, v100, v99, s[18:19]
	v_add_u32_e32 v15, 1, v12
	v_add_u32_e32 v12, -1, v14
	v_min_u32_e32 v12, v15, v12
	v_lshl_add_u64 v[12:13], v[12:13], 3, v[54:55]
	flat_load_dwordx2 v[12:13], v[12:13]
	v_cndmask_b32_e64 v18, v15, v23, s[18:19]
	v_cndmask_b32_e64 v19, v66, v15, s[18:19]
	v_cmp_lt_u32_e64 s[0:1], v18, v100
	s_waitcnt vmcnt(0) lgkmcnt(0)
	v_cndmask_b32_e64 v23, v13, v20, s[18:19]
	v_cndmask_b32_e64 v69, v12, v21, s[18:19]
	;; [unrolled: 1-line block ×4, first 2 shown]
	s_and_saveexec_b64 s[20:21], s[0:1]
	s_cbranch_execz .LBB1616_368
; %bb.359:
	v_cmp_lt_u32_e64 s[0:1], v19, v99
	s_mov_b64 s[2:3], 0
	s_and_saveexec_b64 s[16:17], s[0:1]
	s_cbranch_execz .LBB1616_367
; %bb.360:
	s_mov_b64 s[0:1], 0
	s_and_saveexec_b64 s[22:23], vcc
	s_cbranch_execz .LBB1616_366
; %bb.361:
	v_mul_lo_u32 v14, v70, v6
	v_mul_lo_u32 v15, v71, v7
	v_mad_u64_u32 v[12:13], s[0:1], v71, v6, 0
	v_add3_u32 v13, v13, v15, v14
	v_mul_lo_u32 v16, v23, v6
	v_mul_lo_u32 v17, v69, v7
	v_mad_u64_u32 v[14:15], s[0:1], v69, v6, 0
	v_add3_u32 v15, v15, v17, v16
	v_lshl_add_u64 v[12:13], v[12:13], 3, v[8:9]
	v_lshl_add_u64 v[14:15], v[14:15], 3, v[8:9]
	s_mov_b64 s[24:25], 0
	v_mov_b64_e32 v[16:17], v[6:7]
                                        ; implicit-def: $sgpr26_sgpr27
                                        ; implicit-def: $sgpr28_sgpr29
                                        ; implicit-def: $sgpr30_sgpr31
                                        ; implicit-def: $sgpr2_sgpr3
                                        ; implicit-def: $sgpr34_sgpr35
	s_branch .LBB1616_363
.LBB1616_362:                           ;   in Loop: Header=BB1616_363 Depth=1
	s_or_b64 exec, exec, s[36:37]
	s_and_b64 s[0:1], exec, s[28:29]
	s_or_b64 s[24:25], s[0:1], s[24:25]
	s_andn2_b64 s[0:1], s[34:35], exec
	s_and_b64 s[4:5], s[30:31], exec
	s_or_b64 s[34:35], s[0:1], s[4:5]
	s_andn2_b64 s[0:1], s[26:27], exec
	s_and_b64 s[4:5], s[2:3], exec
	s_or_b64 s[26:27], s[0:1], s[4:5]
	s_andn2_b64 exec, exec, s[24:25]
	s_cbranch_execz .LBB1616_365
.LBB1616_363:                           ; =>This Inner Loop Header: Depth=1
	flat_load_dwordx2 v[66:67], v[14:15]
	flat_load_dwordx2 v[80:81], v[12:13]
	s_andn2_b64 s[36:37], s[2:3], exec
	s_andn2_b64 s[30:31], s[30:31], exec
	s_or_b64 s[28:29], s[28:29], exec
	s_waitcnt vmcnt(0) lgkmcnt(0)
	v_cmp_le_u64_e64 s[2:3], v[66:67], v[80:81]
	v_cmp_lt_u64_e64 s[0:1], v[66:67], v[80:81]
	s_and_b64 s[2:3], s[2:3], s[34:35]
	s_or_b64 s[38:39], s[0:1], s[2:3]
	s_and_b64 s[0:1], s[38:39], exec
	v_cmp_eq_u64_e64 s[4:5], v[66:67], v[80:81]
	s_or_b64 s[2:3], s[36:37], s[0:1]
	s_and_saveexec_b64 s[36:37], s[4:5]
	s_cbranch_execz .LBB1616_362
; %bb.364:                              ;   in Loop: Header=BB1616_363 Depth=1
	v_lshl_add_u64 v[16:17], v[16:17], 0, -1
	v_cmp_eq_u64_e64 s[0:1], 0, v[16:17]
	s_andn2_b64 s[4:5], s[30:31], exec
	s_and_b64 s[30:31], s[38:39], exec
	s_or_b64 s[30:31], s[4:5], s[30:31]
	s_andn2_b64 s[4:5], s[28:29], exec
	s_and_b64 s[0:1], s[0:1], exec
	v_lshl_add_u64 v[12:13], v[12:13], 0, 8
	v_lshl_add_u64 v[14:15], v[14:15], 0, 8
	s_andn2_b64 s[2:3], s[2:3], exec
	s_or_b64 s[28:29], s[4:5], s[0:1]
                                        ; implicit-def: $sgpr34_sgpr35
	s_branch .LBB1616_362
.LBB1616_365:
	s_or_b64 exec, exec, s[24:25]
	s_and_b64 s[0:1], s[26:27], exec
.LBB1616_366:
	s_or_b64 exec, exec, s[22:23]
	s_xor_b64 s[0:1], s[0:1], -1
	s_and_b64 s[2:3], s[0:1], exec
.LBB1616_367:
	s_or_b64 exec, exec, s[16:17]
	s_orn2_b64 s[16:17], s[2:3], exec
.LBB1616_368:
	s_or_b64 exec, exec, s[20:21]
	v_cndmask_b32_e64 v12, v18, v19, s[16:17]
	v_cndmask_b32_e64 v13, v100, v99, s[16:17]
	v_add_u32_e32 v16, 1, v12
	v_add_u32_e32 v12, -1, v13
	v_min_u32_e32 v12, v16, v12
	v_mov_b32_e32 v13, 0
	v_lshl_add_u64 v[14:15], v[12:13], 3, v[54:55]
	flat_load_dwordx2 v[14:15], v[14:15]
	v_cndmask_b32_e64 v66, v16, v18, s[16:17]
	s_mov_b64 s[20:21], -1
	v_cndmask_b32_e64 v67, v19, v16, s[16:17]
	v_cmp_lt_u32_e64 s[0:1], v66, v100
	s_mov_b64 s[22:23], -1
	s_waitcnt vmcnt(0) lgkmcnt(0)
	v_cndmask_b32_e64 v80, v15, v23, s[16:17]
	v_cndmask_b32_e64 v81, v14, v69, s[16:17]
	;; [unrolled: 1-line block ×4, first 2 shown]
	s_and_saveexec_b64 s[24:25], s[0:1]
	s_cbranch_execz .LBB1616_378
; %bb.369:
	v_cmp_lt_u32_e64 s[0:1], v67, v99
	s_mov_b64 s[2:3], 0
	s_and_saveexec_b64 s[22:23], s[0:1]
	s_cbranch_execz .LBB1616_377
; %bb.370:
	s_mov_b64 s[0:1], -1
	s_and_saveexec_b64 s[26:27], vcc
	s_cbranch_execz .LBB1616_376
; %bb.371:
	v_mul_lo_u32 v12, v82, v6
	v_mul_lo_u32 v16, v83, v7
	v_mad_u64_u32 v[14:15], s[0:1], v83, v6, 0
	v_add3_u32 v15, v15, v16, v12
	v_mul_lo_u32 v12, v80, v6
	v_mul_lo_u32 v18, v81, v7
	v_mad_u64_u32 v[16:17], s[0:1], v81, v6, 0
	v_add3_u32 v17, v17, v18, v12
	v_lshl_add_u64 v[14:15], v[14:15], 3, v[8:9]
	v_lshl_add_u64 v[16:17], v[16:17], 3, v[8:9]
	s_mov_b64 s[28:29], 0
	v_mov_b64_e32 v[18:19], v[6:7]
                                        ; implicit-def: $sgpr30_sgpr31
                                        ; implicit-def: $sgpr34_sgpr35
                                        ; implicit-def: $sgpr2_sgpr3
                                        ; implicit-def: $sgpr36_sgpr37
                                        ; implicit-def: $sgpr38_sgpr39
	s_branch .LBB1616_373
.LBB1616_372:                           ;   in Loop: Header=BB1616_373 Depth=1
	s_or_b64 exec, exec, s[40:41]
	s_and_b64 s[0:1], exec, s[34:35]
	s_or_b64 s[28:29], s[0:1], s[28:29]
	s_andn2_b64 s[0:1], s[38:39], exec
	s_and_b64 s[4:5], s[36:37], exec
	s_or_b64 s[38:39], s[0:1], s[4:5]
	s_andn2_b64 s[0:1], s[30:31], exec
	s_and_b64 s[4:5], s[2:3], exec
	s_or_b64 s[30:31], s[0:1], s[4:5]
	s_andn2_b64 exec, exec, s[28:29]
	s_cbranch_execz .LBB1616_375
.LBB1616_373:                           ; =>This Inner Loop Header: Depth=1
	flat_load_dwordx2 v[84:85], v[16:17]
	flat_load_dwordx2 v[86:87], v[14:15]
	s_andn2_b64 s[40:41], s[2:3], exec
	s_andn2_b64 s[36:37], s[36:37], exec
	s_or_b64 s[34:35], s[34:35], exec
	s_waitcnt vmcnt(0) lgkmcnt(0)
	v_cmp_le_u64_e64 s[2:3], v[84:85], v[86:87]
	v_cmp_lt_u64_e64 s[0:1], v[84:85], v[86:87]
	s_and_b64 s[2:3], s[2:3], s[38:39]
	s_or_b64 s[42:43], s[0:1], s[2:3]
	s_and_b64 s[0:1], s[42:43], exec
	v_cmp_eq_u64_e64 s[4:5], v[84:85], v[86:87]
	s_or_b64 s[2:3], s[40:41], s[0:1]
	s_and_saveexec_b64 s[40:41], s[4:5]
	s_cbranch_execz .LBB1616_372
; %bb.374:                              ;   in Loop: Header=BB1616_373 Depth=1
	v_lshl_add_u64 v[18:19], v[18:19], 0, -1
	v_cmp_eq_u64_e64 s[0:1], 0, v[18:19]
	s_andn2_b64 s[4:5], s[36:37], exec
	s_and_b64 s[36:37], s[42:43], exec
	s_or_b64 s[36:37], s[4:5], s[36:37]
	s_andn2_b64 s[4:5], s[34:35], exec
	s_and_b64 s[0:1], s[0:1], exec
	v_lshl_add_u64 v[14:15], v[14:15], 0, 8
	v_lshl_add_u64 v[16:17], v[16:17], 0, 8
	s_andn2_b64 s[2:3], s[2:3], exec
	s_or_b64 s[34:35], s[4:5], s[0:1]
                                        ; implicit-def: $sgpr38_sgpr39
	s_branch .LBB1616_372
.LBB1616_375:
	s_or_b64 exec, exec, s[28:29]
	s_xor_b64 s[0:1], s[30:31], -1
	s_orn2_b64 s[0:1], s[0:1], exec
.LBB1616_376:
	s_or_b64 exec, exec, s[26:27]
	s_and_b64 s[2:3], s[0:1], exec
.LBB1616_377:
	s_or_b64 exec, exec, s[22:23]
	s_orn2_b64 s[22:23], s[2:3], exec
.LBB1616_378:
	s_or_b64 exec, exec, s[24:25]
	v_cndmask_b32_e64 v12, v66, v67, s[22:23]
	v_cndmask_b32_e64 v14, v100, v99, s[22:23]
	v_add_u32_e32 v15, 1, v12
	v_add_u32_e32 v12, -1, v14
	v_min_u32_e32 v12, v15, v12
	v_lshl_add_u64 v[12:13], v[12:13], 3, v[54:55]
	flat_load_dwordx2 v[12:13], v[12:13]
	v_cndmask_b32_e64 v18, v15, v66, s[22:23]
	v_cndmask_b32_e64 v19, v67, v15, s[22:23]
	v_cmp_lt_u32_e64 s[0:1], v18, v100
	s_waitcnt vmcnt(0) lgkmcnt(0)
	v_cndmask_b32_e64 v84, v13, v80, s[22:23]
	v_cndmask_b32_e64 v85, v12, v81, s[22:23]
	;; [unrolled: 1-line block ×4, first 2 shown]
	s_and_saveexec_b64 s[24:25], s[0:1]
	s_cbranch_execz .LBB1616_388
; %bb.379:
	v_cmp_lt_u32_e64 s[0:1], v19, v99
	s_mov_b64 s[2:3], 0
	s_and_saveexec_b64 s[20:21], s[0:1]
	s_cbranch_execz .LBB1616_387
; %bb.380:
	s_mov_b64 s[0:1], -1
	s_and_saveexec_b64 s[26:27], vcc
	s_cbranch_execz .LBB1616_386
; %bb.381:
	v_mul_lo_u32 v14, v86, v6
	v_mul_lo_u32 v15, v87, v7
	v_mad_u64_u32 v[12:13], s[0:1], v87, v6, 0
	v_add3_u32 v13, v13, v15, v14
	v_mul_lo_u32 v16, v84, v6
	v_mul_lo_u32 v17, v85, v7
	v_mad_u64_u32 v[14:15], s[0:1], v85, v6, 0
	v_add3_u32 v15, v15, v17, v16
	v_lshl_add_u64 v[12:13], v[12:13], 3, v[8:9]
	v_lshl_add_u64 v[14:15], v[14:15], 3, v[8:9]
	s_mov_b64 s[28:29], 0
	v_mov_b64_e32 v[16:17], v[6:7]
                                        ; implicit-def: $sgpr30_sgpr31
                                        ; implicit-def: $sgpr34_sgpr35
                                        ; implicit-def: $sgpr2_sgpr3
                                        ; implicit-def: $sgpr36_sgpr37
                                        ; implicit-def: $sgpr38_sgpr39
	s_branch .LBB1616_383
.LBB1616_382:                           ;   in Loop: Header=BB1616_383 Depth=1
	s_or_b64 exec, exec, s[40:41]
	s_and_b64 s[0:1], exec, s[34:35]
	s_or_b64 s[28:29], s[0:1], s[28:29]
	s_andn2_b64 s[0:1], s[38:39], exec
	s_and_b64 s[4:5], s[36:37], exec
	s_or_b64 s[38:39], s[0:1], s[4:5]
	s_andn2_b64 s[0:1], s[30:31], exec
	s_and_b64 s[4:5], s[2:3], exec
	s_or_b64 s[30:31], s[0:1], s[4:5]
	s_andn2_b64 exec, exec, s[28:29]
	s_cbranch_execz .LBB1616_385
.LBB1616_383:                           ; =>This Inner Loop Header: Depth=1
	flat_load_dwordx2 v[66:67], v[14:15]
	flat_load_dwordx2 v[96:97], v[12:13]
	s_andn2_b64 s[40:41], s[2:3], exec
	s_andn2_b64 s[36:37], s[36:37], exec
	s_or_b64 s[34:35], s[34:35], exec
	s_waitcnt vmcnt(0) lgkmcnt(0)
	v_cmp_le_u64_e64 s[2:3], v[66:67], v[96:97]
	v_cmp_lt_u64_e64 s[0:1], v[66:67], v[96:97]
	s_and_b64 s[2:3], s[2:3], s[38:39]
	s_or_b64 s[42:43], s[0:1], s[2:3]
	s_and_b64 s[0:1], s[42:43], exec
	v_cmp_eq_u64_e64 s[4:5], v[66:67], v[96:97]
	s_or_b64 s[2:3], s[40:41], s[0:1]
	s_and_saveexec_b64 s[40:41], s[4:5]
	s_cbranch_execz .LBB1616_382
; %bb.384:                              ;   in Loop: Header=BB1616_383 Depth=1
	v_lshl_add_u64 v[16:17], v[16:17], 0, -1
	v_cmp_eq_u64_e64 s[0:1], 0, v[16:17]
	s_andn2_b64 s[4:5], s[36:37], exec
	s_and_b64 s[36:37], s[42:43], exec
	s_or_b64 s[36:37], s[4:5], s[36:37]
	s_andn2_b64 s[4:5], s[34:35], exec
	s_and_b64 s[0:1], s[0:1], exec
	v_lshl_add_u64 v[12:13], v[12:13], 0, 8
	v_lshl_add_u64 v[14:15], v[14:15], 0, 8
	s_andn2_b64 s[2:3], s[2:3], exec
	s_or_b64 s[34:35], s[4:5], s[0:1]
                                        ; implicit-def: $sgpr38_sgpr39
	s_branch .LBB1616_382
.LBB1616_385:
	s_or_b64 exec, exec, s[28:29]
	s_xor_b64 s[0:1], s[30:31], -1
	s_orn2_b64 s[0:1], s[0:1], exec
.LBB1616_386:
	s_or_b64 exec, exec, s[26:27]
	s_and_b64 s[2:3], s[0:1], exec
.LBB1616_387:
	s_or_b64 exec, exec, s[20:21]
	s_orn2_b64 s[20:21], s[2:3], exec
.LBB1616_388:
	s_or_b64 exec, exec, s[24:25]
	v_cndmask_b32_e64 v12, v18, v19, s[20:21]
	v_cndmask_b32_e64 v13, v100, v99, s[20:21]
	v_add_u32_e32 v16, 1, v12
	v_add_u32_e32 v12, -1, v13
	v_min_u32_e32 v12, v16, v12
	v_mov_b32_e32 v13, 0
	v_lshl_add_u64 v[14:15], v[12:13], 3, v[54:55]
	flat_load_dwordx2 v[14:15], v[14:15]
	v_cndmask_b32_e64 v66, v16, v18, s[20:21]
	s_mov_b64 s[24:25], -1
	v_cndmask_b32_e64 v67, v19, v16, s[20:21]
	v_cmp_lt_u32_e64 s[0:1], v66, v100
	s_mov_b64 s[26:27], -1
	s_waitcnt vmcnt(0) lgkmcnt(0)
	v_cndmask_b32_e64 v96, v15, v84, s[20:21]
	v_cndmask_b32_e64 v97, v14, v85, s[20:21]
	v_cndmask_b32_e64 v101, v86, v15, s[20:21]
	v_cndmask_b32_e64 v102, v87, v14, s[20:21]
	s_and_saveexec_b64 s[28:29], s[0:1]
	s_cbranch_execz .LBB1616_398
; %bb.389:
	v_cmp_lt_u32_e64 s[0:1], v67, v99
	s_mov_b64 s[2:3], 0
	s_and_saveexec_b64 s[26:27], s[0:1]
	s_cbranch_execz .LBB1616_397
; %bb.390:
	s_mov_b64 s[0:1], -1
	s_and_saveexec_b64 s[30:31], vcc
	s_cbranch_execz .LBB1616_396
; %bb.391:
	v_mul_lo_u32 v12, v101, v6
	v_mul_lo_u32 v16, v102, v7
	v_mad_u64_u32 v[14:15], s[0:1], v102, v6, 0
	v_add3_u32 v15, v15, v16, v12
	v_mul_lo_u32 v12, v96, v6
	v_mul_lo_u32 v18, v97, v7
	v_mad_u64_u32 v[16:17], s[0:1], v97, v6, 0
	v_add3_u32 v17, v17, v18, v12
	v_lshl_add_u64 v[14:15], v[14:15], 3, v[8:9]
	v_lshl_add_u64 v[16:17], v[16:17], 3, v[8:9]
	s_mov_b64 s[34:35], 0
	v_mov_b64_e32 v[18:19], v[6:7]
                                        ; implicit-def: $sgpr36_sgpr37
                                        ; implicit-def: $sgpr38_sgpr39
                                        ; implicit-def: $sgpr2_sgpr3
                                        ; implicit-def: $sgpr40_sgpr41
                                        ; implicit-def: $sgpr42_sgpr43
	s_branch .LBB1616_393
.LBB1616_392:                           ;   in Loop: Header=BB1616_393 Depth=1
	s_or_b64 exec, exec, s[44:45]
	s_and_b64 s[0:1], exec, s[38:39]
	s_or_b64 s[34:35], s[0:1], s[34:35]
	s_andn2_b64 s[0:1], s[42:43], exec
	s_and_b64 s[4:5], s[40:41], exec
	s_or_b64 s[42:43], s[0:1], s[4:5]
	s_andn2_b64 s[0:1], s[36:37], exec
	s_and_b64 s[4:5], s[2:3], exec
	s_or_b64 s[36:37], s[0:1], s[4:5]
	s_andn2_b64 exec, exec, s[34:35]
	s_cbranch_execz .LBB1616_395
.LBB1616_393:                           ; =>This Inner Loop Header: Depth=1
	flat_load_dwordx2 v[112:113], v[16:17]
	flat_load_dwordx2 v[114:115], v[14:15]
	s_andn2_b64 s[44:45], s[2:3], exec
	s_andn2_b64 s[40:41], s[40:41], exec
	s_or_b64 s[38:39], s[38:39], exec
	s_waitcnt vmcnt(0) lgkmcnt(0)
	v_cmp_le_u64_e64 s[2:3], v[112:113], v[114:115]
	v_cmp_lt_u64_e64 s[0:1], v[112:113], v[114:115]
	s_and_b64 s[2:3], s[2:3], s[42:43]
	s_or_b64 s[46:47], s[0:1], s[2:3]
	s_and_b64 s[0:1], s[46:47], exec
	v_cmp_eq_u64_e64 s[4:5], v[112:113], v[114:115]
	s_or_b64 s[2:3], s[44:45], s[0:1]
	s_and_saveexec_b64 s[44:45], s[4:5]
	s_cbranch_execz .LBB1616_392
; %bb.394:                              ;   in Loop: Header=BB1616_393 Depth=1
	v_lshl_add_u64 v[18:19], v[18:19], 0, -1
	v_cmp_eq_u64_e64 s[0:1], 0, v[18:19]
	s_andn2_b64 s[4:5], s[40:41], exec
	s_and_b64 s[40:41], s[46:47], exec
	s_or_b64 s[40:41], s[4:5], s[40:41]
	s_andn2_b64 s[4:5], s[38:39], exec
	s_and_b64 s[0:1], s[0:1], exec
	v_lshl_add_u64 v[14:15], v[14:15], 0, 8
	v_lshl_add_u64 v[16:17], v[16:17], 0, 8
	s_andn2_b64 s[2:3], s[2:3], exec
	s_or_b64 s[38:39], s[4:5], s[0:1]
                                        ; implicit-def: $sgpr42_sgpr43
	s_branch .LBB1616_392
.LBB1616_395:
	s_or_b64 exec, exec, s[34:35]
	s_xor_b64 s[0:1], s[36:37], -1
	s_orn2_b64 s[0:1], s[0:1], exec
.LBB1616_396:
	s_or_b64 exec, exec, s[30:31]
	s_and_b64 s[2:3], s[0:1], exec
.LBB1616_397:
	s_or_b64 exec, exec, s[26:27]
	s_orn2_b64 s[26:27], s[2:3], exec
.LBB1616_398:
	s_or_b64 exec, exec, s[28:29]
	v_cndmask_b32_e64 v12, v66, v67, s[26:27]
	v_cndmask_b32_e64 v14, v100, v99, s[26:27]
	v_add_u32_e32 v15, 1, v12
	v_add_u32_e32 v12, -1, v14
	v_min_u32_e32 v12, v15, v12
	v_lshl_add_u64 v[12:13], v[12:13], 3, v[54:55]
	flat_load_dwordx2 v[12:13], v[12:13]
	v_cndmask_b32_e64 v114, v15, v66, s[26:27]
	v_cndmask_b32_e64 v103, v67, v15, s[26:27]
	v_cmp_lt_u32_e64 s[0:1], v114, v100
	s_waitcnt vmcnt(0) lgkmcnt(0)
	v_cndmask_b32_e64 v112, v13, v96, s[26:27]
	v_cndmask_b32_e64 v113, v12, v97, s[26:27]
	v_cndmask_b32_e64 v115, v101, v13, s[26:27]
	v_cndmask_b32_e64 v116, v102, v12, s[26:27]
	s_and_saveexec_b64 s[28:29], s[0:1]
	s_cbranch_execz .LBB1616_408
; %bb.399:
	v_cmp_lt_u32_e64 s[0:1], v103, v99
	s_mov_b64 s[2:3], 0
	s_and_saveexec_b64 s[24:25], s[0:1]
	s_cbranch_execz .LBB1616_407
; %bb.400:
	s_mov_b64 s[0:1], -1
	s_and_saveexec_b64 s[30:31], vcc
	s_cbranch_execz .LBB1616_406
; %bb.401:
	v_mul_lo_u32 v14, v115, v6
	v_mul_lo_u32 v15, v116, v7
	v_mad_u64_u32 v[12:13], s[0:1], v116, v6, 0
	v_add3_u32 v13, v13, v15, v14
	v_mul_lo_u32 v16, v112, v6
	v_mul_lo_u32 v17, v113, v7
	v_mad_u64_u32 v[14:15], s[0:1], v113, v6, 0
	v_add3_u32 v15, v15, v17, v16
	v_lshl_add_u64 v[12:13], v[12:13], 3, v[8:9]
	v_lshl_add_u64 v[14:15], v[14:15], 3, v[8:9]
	s_mov_b64 s[34:35], 0
	v_mov_b64_e32 v[16:17], v[6:7]
                                        ; implicit-def: $sgpr36_sgpr37
                                        ; implicit-def: $sgpr38_sgpr39
                                        ; implicit-def: $sgpr2_sgpr3
                                        ; implicit-def: $sgpr40_sgpr41
                                        ; implicit-def: $sgpr42_sgpr43
	s_branch .LBB1616_403
.LBB1616_402:                           ;   in Loop: Header=BB1616_403 Depth=1
	s_or_b64 exec, exec, s[44:45]
	s_and_b64 s[0:1], exec, s[38:39]
	s_or_b64 s[34:35], s[0:1], s[34:35]
	s_andn2_b64 s[0:1], s[42:43], exec
	s_and_b64 s[4:5], s[40:41], exec
	s_or_b64 s[42:43], s[0:1], s[4:5]
	s_andn2_b64 s[0:1], s[36:37], exec
	s_and_b64 s[4:5], s[2:3], exec
	s_or_b64 s[36:37], s[0:1], s[4:5]
	s_andn2_b64 exec, exec, s[34:35]
	s_cbranch_execz .LBB1616_405
.LBB1616_403:                           ; =>This Inner Loop Header: Depth=1
	flat_load_dwordx2 v[18:19], v[14:15]
	flat_load_dwordx2 v[66:67], v[12:13]
	s_andn2_b64 s[44:45], s[2:3], exec
	s_andn2_b64 s[40:41], s[40:41], exec
	s_or_b64 s[38:39], s[38:39], exec
	s_waitcnt vmcnt(0) lgkmcnt(0)
	v_cmp_le_u64_e64 s[2:3], v[18:19], v[66:67]
	v_cmp_lt_u64_e64 s[0:1], v[18:19], v[66:67]
	s_and_b64 s[2:3], s[2:3], s[42:43]
	s_or_b64 s[46:47], s[0:1], s[2:3]
	s_and_b64 s[0:1], s[46:47], exec
	v_cmp_eq_u64_e64 s[4:5], v[18:19], v[66:67]
	s_or_b64 s[2:3], s[44:45], s[0:1]
	s_and_saveexec_b64 s[44:45], s[4:5]
	s_cbranch_execz .LBB1616_402
; %bb.404:                              ;   in Loop: Header=BB1616_403 Depth=1
	v_lshl_add_u64 v[16:17], v[16:17], 0, -1
	v_cmp_eq_u64_e64 s[0:1], 0, v[16:17]
	s_andn2_b64 s[4:5], s[40:41], exec
	s_and_b64 s[40:41], s[46:47], exec
	s_or_b64 s[40:41], s[4:5], s[40:41]
	s_andn2_b64 s[4:5], s[38:39], exec
	s_and_b64 s[0:1], s[0:1], exec
	v_lshl_add_u64 v[12:13], v[12:13], 0, 8
	v_lshl_add_u64 v[14:15], v[14:15], 0, 8
	s_andn2_b64 s[2:3], s[2:3], exec
	s_or_b64 s[38:39], s[4:5], s[0:1]
                                        ; implicit-def: $sgpr42_sgpr43
	s_branch .LBB1616_402
.LBB1616_405:
	s_or_b64 exec, exec, s[34:35]
	s_xor_b64 s[0:1], s[36:37], -1
	s_orn2_b64 s[0:1], s[0:1], exec
.LBB1616_406:
	s_or_b64 exec, exec, s[30:31]
	s_and_b64 s[2:3], s[0:1], exec
.LBB1616_407:
	s_or_b64 exec, exec, s[24:25]
	s_orn2_b64 s[24:25], s[2:3], exec
.LBB1616_408:
	s_or_b64 exec, exec, s[28:29]
	v_cndmask_b32_e64 v12, v114, v103, s[24:25]
	v_cndmask_b32_e64 v13, v100, v99, s[24:25]
	v_add_u32_e32 v117, 1, v12
	v_add_u32_e32 v12, -1, v13
	v_min_u32_e32 v12, v117, v12
	v_mov_b32_e32 v13, 0
	v_lshl_add_u64 v[12:13], v[12:13], 3, v[54:55]
	flat_load_dwordx2 v[66:67], v[12:13]
	v_cndmask_b32_e64 v17, v23, v70, s[16:17]
	v_cndmask_b32_e64 v23, v20, v22, s[18:19]
	;; [unrolled: 1-line block ×15, first 2 shown]
	v_cmp_lt_u32_e64 s[0:1], v68, v100
	s_waitcnt vmcnt(0) lgkmcnt(0)
	v_cndmask_b32_e64 v3, v115, v67, s[24:25]
	v_cndmask_b32_e64 v2, v116, v66, s[24:25]
	s_and_saveexec_b64 s[14:15], s[0:1]
	s_cbranch_execz .LBB1616_418
; %bb.409:
	v_cndmask_b32_e64 v68, v103, v117, s[24:25]
	v_cndmask_b32_e64 v67, v67, v112, s[24:25]
	v_cndmask_b32_e64 v66, v66, v113, s[24:25]
	v_cmp_lt_u32_e64 s[0:1], v68, v99
	s_and_saveexec_b64 s[16:17], s[0:1]
	s_cbranch_execz .LBB1616_417
; %bb.410:
	s_and_saveexec_b64 s[18:19], vcc
	s_cbranch_execz .LBB1616_416
; %bb.411:
	v_mul_lo_u32 v70, v3, v6
	v_mul_lo_u32 v71, v2, v7
	v_mad_u64_u32 v[68:69], s[0:1], v2, v6, 0
	v_add3_u32 v69, v69, v71, v70
	v_mul_lo_u32 v80, v67, v6
	v_mul_lo_u32 v81, v66, v7
	v_mad_u64_u32 v[70:71], s[0:1], v66, v6, 0
	v_add3_u32 v71, v71, v81, v80
	v_lshl_add_u64 v[68:69], v[68:69], 3, v[8:9]
	v_lshl_add_u64 v[70:71], v[70:71], 3, v[8:9]
	s_mov_b64 s[20:21], 0
	v_mov_b64_e32 v[80:81], v[6:7]
                                        ; implicit-def: $sgpr22_sgpr23
                                        ; implicit-def: $sgpr24_sgpr25
                                        ; implicit-def: $sgpr2_sgpr3
                                        ; implicit-def: $sgpr26_sgpr27
                                        ; implicit-def: $sgpr28_sgpr29
	s_branch .LBB1616_413
.LBB1616_412:                           ;   in Loop: Header=BB1616_413 Depth=1
	s_or_b64 exec, exec, s[30:31]
	s_and_b64 s[0:1], exec, s[24:25]
	s_or_b64 s[20:21], s[0:1], s[20:21]
	s_andn2_b64 s[0:1], s[28:29], exec
	s_and_b64 s[4:5], s[26:27], exec
	s_or_b64 s[28:29], s[0:1], s[4:5]
	s_andn2_b64 s[0:1], s[22:23], exec
	s_and_b64 s[4:5], s[2:3], exec
	s_or_b64 s[22:23], s[0:1], s[4:5]
	s_andn2_b64 exec, exec, s[20:21]
	s_cbranch_execz .LBB1616_415
.LBB1616_413:                           ; =>This Inner Loop Header: Depth=1
	flat_load_dwordx2 v[82:83], v[70:71]
	flat_load_dwordx2 v[84:85], v[68:69]
	s_andn2_b64 s[30:31], s[2:3], exec
	s_andn2_b64 s[26:27], s[26:27], exec
	s_or_b64 s[24:25], s[24:25], exec
	s_waitcnt vmcnt(0) lgkmcnt(0)
	v_cmp_le_u64_e64 s[2:3], v[82:83], v[84:85]
	v_cmp_lt_u64_e64 s[0:1], v[82:83], v[84:85]
	s_and_b64 s[2:3], s[2:3], s[28:29]
	s_or_b64 s[34:35], s[0:1], s[2:3]
	s_and_b64 s[0:1], s[34:35], exec
	v_cmp_eq_u64_e64 s[4:5], v[82:83], v[84:85]
	s_or_b64 s[2:3], s[30:31], s[0:1]
	s_and_saveexec_b64 s[30:31], s[4:5]
	s_cbranch_execz .LBB1616_412
; %bb.414:                              ;   in Loop: Header=BB1616_413 Depth=1
	v_lshl_add_u64 v[80:81], v[80:81], 0, -1
	v_cmp_eq_u64_e64 s[0:1], 0, v[80:81]
	s_andn2_b64 s[4:5], s[26:27], exec
	s_and_b64 s[26:27], s[34:35], exec
	s_or_b64 s[26:27], s[4:5], s[26:27]
	s_andn2_b64 s[4:5], s[24:25], exec
	s_and_b64 s[0:1], s[0:1], exec
	v_lshl_add_u64 v[68:69], v[68:69], 0, 8
	v_lshl_add_u64 v[70:71], v[70:71], 0, 8
	s_andn2_b64 s[2:3], s[2:3], exec
	s_or_b64 s[24:25], s[4:5], s[0:1]
                                        ; implicit-def: $sgpr28_sgpr29
	s_branch .LBB1616_412
.LBB1616_415:
	s_or_b64 exec, exec, s[20:21]
	v_cndmask_b32_e64 v3, v3, v67, s[22:23]
	v_cndmask_b32_e64 v2, v2, v66, s[22:23]
.LBB1616_416:
	s_or_b64 exec, exec, s[18:19]
	v_mov_b64_e32 v[66:67], v[2:3]
.LBB1616_417:
	s_or_b64 exec, exec, s[16:17]
	v_mov_b64_e32 v[2:3], v[66:67]
.LBB1616_418:
	s_or_b64 exec, exec, s[14:15]
.LBB1616_419:
	s_or_b64 exec, exec, s[10:11]
	v_and_b32_e32 v101, 0x3c0, v98
	v_or_b32_e32 v66, 32, v101
	v_min_u32_e32 v99, v31, v66
	v_add_u32_e32 v66, 32, v99
	v_min_u32_e32 v100, v31, v66
	v_and_b32_e32 v66, 56, v98
	v_min_u32_e32 v102, v31, v66
	v_sub_u32_e32 v66, v99, v101
	v_sub_u32_e32 v67, v100, v99
	v_sub_u32_e64 v103, v102, v67 clamp
	v_min_u32_e32 v112, v102, v66
	v_cmp_lt_u32_e64 s[0:1], v103, v112
	; wave barrier
	flat_store_dwordx4 v[64:65], v[20:23]
	flat_store_dwordx4 v[64:65], v[16:19] offset:16
	flat_store_dwordx4 v[64:65], v[12:15] offset:32
	;; [unrolled: 1-line block ×3, first 2 shown]
	; wave barrier
	s_and_saveexec_b64 s[10:11], s[0:1]
	s_cbranch_execz .LBB1616_429
; %bb.420:
	v_lshlrev_b32_e32 v66, 3, v101
	v_mov_b32_e32 v67, 0
	v_lshl_add_u64 v[68:69], v[54:55], 0, v[66:67]
	v_lshlrev_b32_e32 v66, 3, v99
	v_lshl_add_u64 v[70:71], v[54:55], 0, v[66:67]
	v_lshlrev_b64 v[80:81], 3, v[6:7]
	s_mov_b64 s[14:15], 0
	s_branch .LBB1616_423
.LBB1616_421:                           ;   in Loop: Header=BB1616_423 Depth=1
	s_or_b64 exec, exec, s[18:19]
	s_and_b64 s[0:1], s[20:21], exec
.LBB1616_422:                           ;   in Loop: Header=BB1616_423 Depth=1
	s_or_b64 exec, exec, s[16:17]
	v_add_u32_e32 v66, 1, v82
	v_cndmask_b32_e64 v112, v112, v82, s[0:1]
	v_cndmask_b32_e64 v103, v66, v103, s[0:1]
	v_cmp_ge_u32_e64 s[0:1], v103, v112
	s_or_b64 s[14:15], s[0:1], s[14:15]
	s_andn2_b64 exec, exec, s[14:15]
	s_cbranch_execz .LBB1616_428
.LBB1616_423:                           ; =>This Loop Header: Depth=1
                                        ;     Child Loop BB1616_426 Depth 2
	v_add_u32_e32 v66, v112, v103
	v_lshrrev_b32_e32 v82, 1, v66
	s_mov_b64 s[0:1], 0
	s_and_saveexec_b64 s[16:17], vcc
	s_cbranch_execz .LBB1616_422
; %bb.424:                              ;   in Loop: Header=BB1616_423 Depth=1
	v_mov_b32_e32 v83, v67
	v_xad_u32 v66, v82, -1, v102
	v_lshl_add_u64 v[84:85], v[82:83], 3, v[68:69]
	v_lshl_add_u64 v[86:87], v[66:67], 3, v[70:71]
	flat_load_dwordx2 v[84:85], v[84:85]
	s_mov_b64 s[18:19], 0
	flat_load_dwordx2 v[86:87], v[86:87]
                                        ; implicit-def: $sgpr20_sgpr21
                                        ; implicit-def: $sgpr22_sgpr23
                                        ; implicit-def: $sgpr24_sgpr25
                                        ; implicit-def: $sgpr2_sgpr3
                                        ; implicit-def: $sgpr26_sgpr27
	s_waitcnt vmcnt(0) lgkmcnt(0)
	v_mul_lo_u32 v66, v80, v85
	v_mul_lo_u32 v83, v81, v84
	v_mad_u64_u32 v[84:85], s[0:1], v80, v84, v[8:9]
	v_mul_lo_u32 v96, v80, v87
	v_mul_lo_u32 v97, v81, v86
	v_mad_u64_u32 v[86:87], s[0:1], v80, v86, v[8:9]
	v_add3_u32 v85, v83, v85, v66
	v_add3_u32 v87, v97, v87, v96
	v_mov_b64_e32 v[96:97], v[6:7]
	s_branch .LBB1616_426
.LBB1616_425:                           ;   in Loop: Header=BB1616_426 Depth=2
	s_or_b64 exec, exec, s[28:29]
	s_and_b64 s[0:1], exec, s[22:23]
	s_or_b64 s[18:19], s[0:1], s[18:19]
	s_andn2_b64 s[0:1], s[26:27], exec
	s_and_b64 s[4:5], s[24:25], exec
	s_or_b64 s[26:27], s[0:1], s[4:5]
	s_andn2_b64 s[0:1], s[20:21], exec
	s_and_b64 s[4:5], s[2:3], exec
	s_or_b64 s[20:21], s[0:1], s[4:5]
	s_andn2_b64 exec, exec, s[18:19]
	s_cbranch_execz .LBB1616_421
.LBB1616_426:                           ;   Parent Loop BB1616_423 Depth=1
                                        ; =>  This Inner Loop Header: Depth=2
	flat_load_dwordx2 v[114:115], v[86:87]
	flat_load_dwordx2 v[116:117], v[84:85]
	s_andn2_b64 s[28:29], s[2:3], exec
	s_andn2_b64 s[24:25], s[24:25], exec
	s_or_b64 s[22:23], s[22:23], exec
	s_waitcnt vmcnt(0) lgkmcnt(0)
	v_cmp_le_u64_e64 s[2:3], v[114:115], v[116:117]
	v_cmp_lt_u64_e64 s[0:1], v[114:115], v[116:117]
	s_and_b64 s[2:3], s[2:3], s[26:27]
	s_or_b64 s[30:31], s[0:1], s[2:3]
	s_and_b64 s[0:1], s[30:31], exec
	v_cmp_eq_u64_e64 s[4:5], v[114:115], v[116:117]
	s_or_b64 s[2:3], s[28:29], s[0:1]
	s_and_saveexec_b64 s[28:29], s[4:5]
	s_cbranch_execz .LBB1616_425
; %bb.427:                              ;   in Loop: Header=BB1616_426 Depth=2
	v_lshl_add_u64 v[96:97], v[96:97], 0, -1
	v_cmp_eq_u64_e64 s[0:1], 0, v[96:97]
	s_andn2_b64 s[4:5], s[24:25], exec
	s_and_b64 s[24:25], s[30:31], exec
	s_or_b64 s[24:25], s[4:5], s[24:25]
	s_andn2_b64 s[4:5], s[22:23], exec
	s_and_b64 s[0:1], s[0:1], exec
	v_lshl_add_u64 v[84:85], v[84:85], 0, 8
	v_lshl_add_u64 v[86:87], v[86:87], 0, 8
	s_andn2_b64 s[2:3], s[2:3], exec
	s_or_b64 s[22:23], s[4:5], s[0:1]
                                        ; implicit-def: $sgpr26_sgpr27
	s_branch .LBB1616_425
.LBB1616_428:
	s_or_b64 exec, exec, s[14:15]
.LBB1616_429:
	s_or_b64 exec, exec, s[10:11]
	v_add_u32_e32 v67, v99, v102
	v_add_u32_e32 v66, v103, v101
	v_sub_u32_e32 v68, v67, v103
	v_cmp_le_u32_e64 s[0:1], v66, v99
	v_cmp_le_u32_e64 s[2:3], v68, v100
	s_or_b64 s[0:1], s[0:1], s[2:3]
	s_and_saveexec_b64 s[10:11], s[0:1]
	s_cbranch_execz .LBB1616_513
; %bb.430:
	v_cmp_ge_u32_e64 s[0:1], v66, v99
	v_cmp_lt_u32_e64 s[2:3], v66, v99
                                        ; implicit-def: $vgpr0_vgpr1
	s_and_saveexec_b64 s[4:5], s[2:3]
	s_cbranch_execz .LBB1616_432
; %bb.431:
	v_mov_b32_e32 v67, 0
	v_lshl_add_u64 v[0:1], v[66:67], 3, v[54:55]
	flat_load_dwordx2 v[0:1], v[0:1]
.LBB1616_432:
	s_or_b64 exec, exec, s[4:5]
	v_cmp_ge_u32_e64 s[14:15], v68, v100
	v_cmp_lt_u32_e64 s[2:3], v68, v100
                                        ; implicit-def: $vgpr2_vgpr3
	s_and_saveexec_b64 s[4:5], s[2:3]
	s_cbranch_execz .LBB1616_434
; %bb.433:
	v_mov_b32_e32 v69, 0
	v_lshl_add_u64 v[2:3], v[68:69], 3, v[54:55]
	flat_load_dwordx2 v[2:3], v[2:3]
.LBB1616_434:
	s_or_b64 exec, exec, s[4:5]
	s_or_b64 s[0:1], s[0:1], s[14:15]
	s_xor_b64 s[0:1], s[0:1], -1
	s_and_saveexec_b64 s[16:17], s[0:1]
	s_cbranch_execz .LBB1616_442
; %bb.435:
	s_mov_b64 s[0:1], 0
	s_and_saveexec_b64 s[18:19], vcc
	s_cbranch_execz .LBB1616_441
; %bb.436:
	s_waitcnt vmcnt(0) lgkmcnt(0)
	v_mul_lo_u32 v14, v1, v6
	v_mul_lo_u32 v15, v0, v7
	v_mad_u64_u32 v[12:13], s[0:1], v0, v6, 0
	v_add3_u32 v13, v13, v15, v14
	v_mul_lo_u32 v16, v3, v6
	v_mul_lo_u32 v17, v2, v7
	v_mad_u64_u32 v[14:15], s[0:1], v2, v6, 0
	v_add3_u32 v15, v15, v17, v16
	v_lshl_add_u64 v[12:13], v[12:13], 3, v[8:9]
	v_lshl_add_u64 v[14:15], v[14:15], 3, v[8:9]
	s_mov_b64 s[20:21], 0
	v_mov_b64_e32 v[16:17], v[6:7]
                                        ; implicit-def: $sgpr22_sgpr23
                                        ; implicit-def: $sgpr24_sgpr25
                                        ; implicit-def: $sgpr26_sgpr27
                                        ; implicit-def: $sgpr2_sgpr3
                                        ; implicit-def: $sgpr28_sgpr29
	s_branch .LBB1616_438
.LBB1616_437:                           ;   in Loop: Header=BB1616_438 Depth=1
	s_or_b64 exec, exec, s[30:31]
	s_and_b64 s[0:1], exec, s[24:25]
	s_or_b64 s[20:21], s[0:1], s[20:21]
	s_andn2_b64 s[0:1], s[28:29], exec
	s_and_b64 s[4:5], s[26:27], exec
	s_or_b64 s[28:29], s[0:1], s[4:5]
	s_andn2_b64 s[0:1], s[22:23], exec
	s_and_b64 s[4:5], s[2:3], exec
	s_or_b64 s[22:23], s[0:1], s[4:5]
	s_andn2_b64 exec, exec, s[20:21]
	s_cbranch_execz .LBB1616_440
.LBB1616_438:                           ; =>This Inner Loop Header: Depth=1
	flat_load_dwordx2 v[18:19], v[14:15]
	flat_load_dwordx2 v[20:21], v[12:13]
	s_andn2_b64 s[30:31], s[2:3], exec
	s_andn2_b64 s[26:27], s[26:27], exec
	s_or_b64 s[24:25], s[24:25], exec
	s_waitcnt vmcnt(0) lgkmcnt(0)
	v_cmp_le_u64_e64 s[2:3], v[18:19], v[20:21]
	v_cmp_lt_u64_e64 s[0:1], v[18:19], v[20:21]
	s_and_b64 s[2:3], s[2:3], s[28:29]
	s_or_b64 s[34:35], s[0:1], s[2:3]
	s_and_b64 s[0:1], s[34:35], exec
	v_cmp_eq_u64_e64 s[4:5], v[18:19], v[20:21]
	s_or_b64 s[2:3], s[30:31], s[0:1]
	s_and_saveexec_b64 s[30:31], s[4:5]
	s_cbranch_execz .LBB1616_437
; %bb.439:                              ;   in Loop: Header=BB1616_438 Depth=1
	v_lshl_add_u64 v[16:17], v[16:17], 0, -1
	v_cmp_eq_u64_e64 s[0:1], 0, v[16:17]
	s_andn2_b64 s[4:5], s[26:27], exec
	s_and_b64 s[26:27], s[34:35], exec
	s_or_b64 s[26:27], s[4:5], s[26:27]
	s_andn2_b64 s[4:5], s[24:25], exec
	s_and_b64 s[0:1], s[0:1], exec
	v_lshl_add_u64 v[12:13], v[12:13], 0, 8
	v_lshl_add_u64 v[14:15], v[14:15], 0, 8
	s_andn2_b64 s[2:3], s[2:3], exec
	s_or_b64 s[24:25], s[4:5], s[0:1]
                                        ; implicit-def: $sgpr28_sgpr29
	s_branch .LBB1616_437
.LBB1616_440:
	s_or_b64 exec, exec, s[20:21]
	s_and_b64 s[0:1], s[22:23], exec
.LBB1616_441:
	s_or_b64 exec, exec, s[18:19]
	s_xor_b64 s[0:1], s[0:1], -1
	s_andn2_b64 s[2:3], s[14:15], exec
	s_and_b64 s[0:1], s[0:1], exec
	s_or_b64 s[14:15], s[2:3], s[0:1]
.LBB1616_442:
	s_or_b64 exec, exec, s[16:17]
	v_cndmask_b32_e64 v12, v68, v66, s[14:15]
	v_cndmask_b32_e64 v13, v100, v99, s[14:15]
	v_add_u32_e32 v16, 1, v12
	v_add_u32_e32 v12, -1, v13
	v_min_u32_e32 v12, v16, v12
	v_mov_b32_e32 v13, 0
	v_lshl_add_u64 v[14:15], v[12:13], 3, v[54:55]
	flat_load_dwordx2 v[14:15], v[14:15]
	v_cndmask_b32_e64 v23, v16, v68, s[14:15]
	s_mov_b64 s[16:17], -1
	v_cndmask_b32_e64 v66, v66, v16, s[14:15]
	v_cmp_lt_u32_e64 s[0:1], v23, v100
	s_mov_b64 s[18:19], -1
	s_waitcnt vmcnt(0) lgkmcnt(0)
	v_cndmask_b32_e64 v20, v15, v3, s[14:15]
	v_cndmask_b32_e64 v21, v14, v2, s[14:15]
	;; [unrolled: 1-line block ×4, first 2 shown]
	s_and_saveexec_b64 s[20:21], s[0:1]
	s_cbranch_execz .LBB1616_452
; %bb.443:
	v_cmp_lt_u32_e64 s[0:1], v66, v99
	s_mov_b64 s[2:3], 0
	s_and_saveexec_b64 s[18:19], s[0:1]
	s_cbranch_execz .LBB1616_451
; %bb.444:
	s_mov_b64 s[0:1], 0
	s_and_saveexec_b64 s[22:23], vcc
	s_cbranch_execz .LBB1616_450
; %bb.445:
	v_mul_lo_u32 v12, v22, v6
	v_mul_lo_u32 v16, v68, v7
	v_mad_u64_u32 v[14:15], s[0:1], v68, v6, 0
	v_add3_u32 v15, v15, v16, v12
	v_mul_lo_u32 v12, v20, v6
	v_mul_lo_u32 v18, v21, v7
	v_mad_u64_u32 v[16:17], s[0:1], v21, v6, 0
	v_add3_u32 v17, v17, v18, v12
	v_lshl_add_u64 v[14:15], v[14:15], 3, v[8:9]
	v_lshl_add_u64 v[16:17], v[16:17], 3, v[8:9]
	s_mov_b64 s[24:25], 0
	v_mov_b64_e32 v[18:19], v[6:7]
                                        ; implicit-def: $sgpr26_sgpr27
                                        ; implicit-def: $sgpr28_sgpr29
                                        ; implicit-def: $sgpr30_sgpr31
                                        ; implicit-def: $sgpr2_sgpr3
                                        ; implicit-def: $sgpr34_sgpr35
	s_branch .LBB1616_447
.LBB1616_446:                           ;   in Loop: Header=BB1616_447 Depth=1
	s_or_b64 exec, exec, s[36:37]
	s_and_b64 s[0:1], exec, s[28:29]
	s_or_b64 s[24:25], s[0:1], s[24:25]
	s_andn2_b64 s[0:1], s[34:35], exec
	s_and_b64 s[4:5], s[30:31], exec
	s_or_b64 s[34:35], s[0:1], s[4:5]
	s_andn2_b64 s[0:1], s[26:27], exec
	s_and_b64 s[4:5], s[2:3], exec
	s_or_b64 s[26:27], s[0:1], s[4:5]
	s_andn2_b64 exec, exec, s[24:25]
	s_cbranch_execz .LBB1616_449
.LBB1616_447:                           ; =>This Inner Loop Header: Depth=1
	flat_load_dwordx2 v[70:71], v[16:17]
	flat_load_dwordx2 v[80:81], v[14:15]
	s_andn2_b64 s[36:37], s[2:3], exec
	s_andn2_b64 s[30:31], s[30:31], exec
	s_or_b64 s[28:29], s[28:29], exec
	s_waitcnt vmcnt(0) lgkmcnt(0)
	v_cmp_le_u64_e64 s[2:3], v[70:71], v[80:81]
	v_cmp_lt_u64_e64 s[0:1], v[70:71], v[80:81]
	s_and_b64 s[2:3], s[2:3], s[34:35]
	s_or_b64 s[38:39], s[0:1], s[2:3]
	s_and_b64 s[0:1], s[38:39], exec
	v_cmp_eq_u64_e64 s[4:5], v[70:71], v[80:81]
	s_or_b64 s[2:3], s[36:37], s[0:1]
	s_and_saveexec_b64 s[36:37], s[4:5]
	s_cbranch_execz .LBB1616_446
; %bb.448:                              ;   in Loop: Header=BB1616_447 Depth=1
	v_lshl_add_u64 v[18:19], v[18:19], 0, -1
	v_cmp_eq_u64_e64 s[0:1], 0, v[18:19]
	s_andn2_b64 s[4:5], s[30:31], exec
	s_and_b64 s[30:31], s[38:39], exec
	s_or_b64 s[30:31], s[4:5], s[30:31]
	s_andn2_b64 s[4:5], s[28:29], exec
	s_and_b64 s[0:1], s[0:1], exec
	v_lshl_add_u64 v[14:15], v[14:15], 0, 8
	v_lshl_add_u64 v[16:17], v[16:17], 0, 8
	s_andn2_b64 s[2:3], s[2:3], exec
	s_or_b64 s[28:29], s[4:5], s[0:1]
                                        ; implicit-def: $sgpr34_sgpr35
	s_branch .LBB1616_446
.LBB1616_449:
	s_or_b64 exec, exec, s[24:25]
	s_and_b64 s[0:1], s[26:27], exec
.LBB1616_450:
	s_or_b64 exec, exec, s[22:23]
	s_xor_b64 s[0:1], s[0:1], -1
	s_and_b64 s[2:3], s[0:1], exec
.LBB1616_451:
	s_or_b64 exec, exec, s[18:19]
	s_orn2_b64 s[18:19], s[2:3], exec
.LBB1616_452:
	s_or_b64 exec, exec, s[20:21]
	v_cndmask_b32_e64 v12, v23, v66, s[18:19]
	v_cndmask_b32_e64 v14, v100, v99, s[18:19]
	v_add_u32_e32 v15, 1, v12
	v_add_u32_e32 v12, -1, v14
	v_min_u32_e32 v12, v15, v12
	v_lshl_add_u64 v[12:13], v[12:13], 3, v[54:55]
	flat_load_dwordx2 v[12:13], v[12:13]
	v_cndmask_b32_e64 v18, v15, v23, s[18:19]
	v_cndmask_b32_e64 v19, v66, v15, s[18:19]
	v_cmp_lt_u32_e64 s[0:1], v18, v100
	s_waitcnt vmcnt(0) lgkmcnt(0)
	v_cndmask_b32_e64 v23, v13, v20, s[18:19]
	v_cndmask_b32_e64 v69, v12, v21, s[18:19]
	;; [unrolled: 1-line block ×4, first 2 shown]
	s_and_saveexec_b64 s[20:21], s[0:1]
	s_cbranch_execz .LBB1616_462
; %bb.453:
	v_cmp_lt_u32_e64 s[0:1], v19, v99
	s_mov_b64 s[2:3], 0
	s_and_saveexec_b64 s[16:17], s[0:1]
	s_cbranch_execz .LBB1616_461
; %bb.454:
	s_mov_b64 s[0:1], 0
	s_and_saveexec_b64 s[22:23], vcc
	s_cbranch_execz .LBB1616_460
; %bb.455:
	v_mul_lo_u32 v14, v70, v6
	v_mul_lo_u32 v15, v71, v7
	v_mad_u64_u32 v[12:13], s[0:1], v71, v6, 0
	v_add3_u32 v13, v13, v15, v14
	v_mul_lo_u32 v16, v23, v6
	v_mul_lo_u32 v17, v69, v7
	v_mad_u64_u32 v[14:15], s[0:1], v69, v6, 0
	v_add3_u32 v15, v15, v17, v16
	v_lshl_add_u64 v[12:13], v[12:13], 3, v[8:9]
	v_lshl_add_u64 v[14:15], v[14:15], 3, v[8:9]
	s_mov_b64 s[24:25], 0
	v_mov_b64_e32 v[16:17], v[6:7]
                                        ; implicit-def: $sgpr26_sgpr27
                                        ; implicit-def: $sgpr28_sgpr29
                                        ; implicit-def: $sgpr30_sgpr31
                                        ; implicit-def: $sgpr2_sgpr3
                                        ; implicit-def: $sgpr34_sgpr35
	s_branch .LBB1616_457
.LBB1616_456:                           ;   in Loop: Header=BB1616_457 Depth=1
	s_or_b64 exec, exec, s[36:37]
	s_and_b64 s[0:1], exec, s[28:29]
	s_or_b64 s[24:25], s[0:1], s[24:25]
	s_andn2_b64 s[0:1], s[34:35], exec
	s_and_b64 s[4:5], s[30:31], exec
	s_or_b64 s[34:35], s[0:1], s[4:5]
	s_andn2_b64 s[0:1], s[26:27], exec
	s_and_b64 s[4:5], s[2:3], exec
	s_or_b64 s[26:27], s[0:1], s[4:5]
	s_andn2_b64 exec, exec, s[24:25]
	s_cbranch_execz .LBB1616_459
.LBB1616_457:                           ; =>This Inner Loop Header: Depth=1
	flat_load_dwordx2 v[66:67], v[14:15]
	flat_load_dwordx2 v[80:81], v[12:13]
	s_andn2_b64 s[36:37], s[2:3], exec
	s_andn2_b64 s[30:31], s[30:31], exec
	s_or_b64 s[28:29], s[28:29], exec
	s_waitcnt vmcnt(0) lgkmcnt(0)
	v_cmp_le_u64_e64 s[2:3], v[66:67], v[80:81]
	v_cmp_lt_u64_e64 s[0:1], v[66:67], v[80:81]
	s_and_b64 s[2:3], s[2:3], s[34:35]
	s_or_b64 s[38:39], s[0:1], s[2:3]
	s_and_b64 s[0:1], s[38:39], exec
	v_cmp_eq_u64_e64 s[4:5], v[66:67], v[80:81]
	s_or_b64 s[2:3], s[36:37], s[0:1]
	s_and_saveexec_b64 s[36:37], s[4:5]
	s_cbranch_execz .LBB1616_456
; %bb.458:                              ;   in Loop: Header=BB1616_457 Depth=1
	v_lshl_add_u64 v[16:17], v[16:17], 0, -1
	v_cmp_eq_u64_e64 s[0:1], 0, v[16:17]
	s_andn2_b64 s[4:5], s[30:31], exec
	s_and_b64 s[30:31], s[38:39], exec
	s_or_b64 s[30:31], s[4:5], s[30:31]
	s_andn2_b64 s[4:5], s[28:29], exec
	s_and_b64 s[0:1], s[0:1], exec
	v_lshl_add_u64 v[12:13], v[12:13], 0, 8
	v_lshl_add_u64 v[14:15], v[14:15], 0, 8
	s_andn2_b64 s[2:3], s[2:3], exec
	s_or_b64 s[28:29], s[4:5], s[0:1]
                                        ; implicit-def: $sgpr34_sgpr35
	s_branch .LBB1616_456
.LBB1616_459:
	s_or_b64 exec, exec, s[24:25]
	s_and_b64 s[0:1], s[26:27], exec
.LBB1616_460:
	s_or_b64 exec, exec, s[22:23]
	s_xor_b64 s[0:1], s[0:1], -1
	s_and_b64 s[2:3], s[0:1], exec
.LBB1616_461:
	s_or_b64 exec, exec, s[16:17]
	s_orn2_b64 s[16:17], s[2:3], exec
.LBB1616_462:
	s_or_b64 exec, exec, s[20:21]
	v_cndmask_b32_e64 v12, v18, v19, s[16:17]
	v_cndmask_b32_e64 v13, v100, v99, s[16:17]
	v_add_u32_e32 v16, 1, v12
	v_add_u32_e32 v12, -1, v13
	v_min_u32_e32 v12, v16, v12
	v_mov_b32_e32 v13, 0
	v_lshl_add_u64 v[14:15], v[12:13], 3, v[54:55]
	flat_load_dwordx2 v[14:15], v[14:15]
	v_cndmask_b32_e64 v66, v16, v18, s[16:17]
	s_mov_b64 s[20:21], -1
	v_cndmask_b32_e64 v67, v19, v16, s[16:17]
	v_cmp_lt_u32_e64 s[0:1], v66, v100
	s_mov_b64 s[22:23], -1
	s_waitcnt vmcnt(0) lgkmcnt(0)
	v_cndmask_b32_e64 v80, v15, v23, s[16:17]
	v_cndmask_b32_e64 v81, v14, v69, s[16:17]
	;; [unrolled: 1-line block ×4, first 2 shown]
	s_and_saveexec_b64 s[24:25], s[0:1]
	s_cbranch_execz .LBB1616_472
; %bb.463:
	v_cmp_lt_u32_e64 s[0:1], v67, v99
	s_mov_b64 s[2:3], 0
	s_and_saveexec_b64 s[22:23], s[0:1]
	s_cbranch_execz .LBB1616_471
; %bb.464:
	s_mov_b64 s[0:1], -1
	s_and_saveexec_b64 s[26:27], vcc
	s_cbranch_execz .LBB1616_470
; %bb.465:
	v_mul_lo_u32 v12, v82, v6
	v_mul_lo_u32 v16, v83, v7
	v_mad_u64_u32 v[14:15], s[0:1], v83, v6, 0
	v_add3_u32 v15, v15, v16, v12
	v_mul_lo_u32 v12, v80, v6
	v_mul_lo_u32 v18, v81, v7
	v_mad_u64_u32 v[16:17], s[0:1], v81, v6, 0
	v_add3_u32 v17, v17, v18, v12
	v_lshl_add_u64 v[14:15], v[14:15], 3, v[8:9]
	v_lshl_add_u64 v[16:17], v[16:17], 3, v[8:9]
	s_mov_b64 s[28:29], 0
	v_mov_b64_e32 v[18:19], v[6:7]
                                        ; implicit-def: $sgpr30_sgpr31
                                        ; implicit-def: $sgpr34_sgpr35
                                        ; implicit-def: $sgpr2_sgpr3
                                        ; implicit-def: $sgpr36_sgpr37
                                        ; implicit-def: $sgpr38_sgpr39
	s_branch .LBB1616_467
.LBB1616_466:                           ;   in Loop: Header=BB1616_467 Depth=1
	s_or_b64 exec, exec, s[40:41]
	s_and_b64 s[0:1], exec, s[34:35]
	s_or_b64 s[28:29], s[0:1], s[28:29]
	s_andn2_b64 s[0:1], s[38:39], exec
	s_and_b64 s[4:5], s[36:37], exec
	s_or_b64 s[38:39], s[0:1], s[4:5]
	s_andn2_b64 s[0:1], s[30:31], exec
	s_and_b64 s[4:5], s[2:3], exec
	s_or_b64 s[30:31], s[0:1], s[4:5]
	s_andn2_b64 exec, exec, s[28:29]
	s_cbranch_execz .LBB1616_469
.LBB1616_467:                           ; =>This Inner Loop Header: Depth=1
	flat_load_dwordx2 v[84:85], v[16:17]
	flat_load_dwordx2 v[86:87], v[14:15]
	s_andn2_b64 s[40:41], s[2:3], exec
	s_andn2_b64 s[36:37], s[36:37], exec
	s_or_b64 s[34:35], s[34:35], exec
	s_waitcnt vmcnt(0) lgkmcnt(0)
	v_cmp_le_u64_e64 s[2:3], v[84:85], v[86:87]
	v_cmp_lt_u64_e64 s[0:1], v[84:85], v[86:87]
	s_and_b64 s[2:3], s[2:3], s[38:39]
	s_or_b64 s[42:43], s[0:1], s[2:3]
	s_and_b64 s[0:1], s[42:43], exec
	v_cmp_eq_u64_e64 s[4:5], v[84:85], v[86:87]
	s_or_b64 s[2:3], s[40:41], s[0:1]
	s_and_saveexec_b64 s[40:41], s[4:5]
	s_cbranch_execz .LBB1616_466
; %bb.468:                              ;   in Loop: Header=BB1616_467 Depth=1
	v_lshl_add_u64 v[18:19], v[18:19], 0, -1
	v_cmp_eq_u64_e64 s[0:1], 0, v[18:19]
	s_andn2_b64 s[4:5], s[36:37], exec
	s_and_b64 s[36:37], s[42:43], exec
	s_or_b64 s[36:37], s[4:5], s[36:37]
	s_andn2_b64 s[4:5], s[34:35], exec
	s_and_b64 s[0:1], s[0:1], exec
	v_lshl_add_u64 v[14:15], v[14:15], 0, 8
	v_lshl_add_u64 v[16:17], v[16:17], 0, 8
	s_andn2_b64 s[2:3], s[2:3], exec
	s_or_b64 s[34:35], s[4:5], s[0:1]
                                        ; implicit-def: $sgpr38_sgpr39
	s_branch .LBB1616_466
.LBB1616_469:
	s_or_b64 exec, exec, s[28:29]
	s_xor_b64 s[0:1], s[30:31], -1
	s_orn2_b64 s[0:1], s[0:1], exec
.LBB1616_470:
	s_or_b64 exec, exec, s[26:27]
	s_and_b64 s[2:3], s[0:1], exec
.LBB1616_471:
	s_or_b64 exec, exec, s[22:23]
	s_orn2_b64 s[22:23], s[2:3], exec
.LBB1616_472:
	s_or_b64 exec, exec, s[24:25]
	v_cndmask_b32_e64 v12, v66, v67, s[22:23]
	v_cndmask_b32_e64 v14, v100, v99, s[22:23]
	v_add_u32_e32 v15, 1, v12
	v_add_u32_e32 v12, -1, v14
	v_min_u32_e32 v12, v15, v12
	v_lshl_add_u64 v[12:13], v[12:13], 3, v[54:55]
	flat_load_dwordx2 v[12:13], v[12:13]
	v_cndmask_b32_e64 v18, v15, v66, s[22:23]
	v_cndmask_b32_e64 v19, v67, v15, s[22:23]
	v_cmp_lt_u32_e64 s[0:1], v18, v100
	s_waitcnt vmcnt(0) lgkmcnt(0)
	v_cndmask_b32_e64 v84, v13, v80, s[22:23]
	v_cndmask_b32_e64 v85, v12, v81, s[22:23]
	;; [unrolled: 1-line block ×4, first 2 shown]
	s_and_saveexec_b64 s[24:25], s[0:1]
	s_cbranch_execz .LBB1616_482
; %bb.473:
	v_cmp_lt_u32_e64 s[0:1], v19, v99
	s_mov_b64 s[2:3], 0
	s_and_saveexec_b64 s[20:21], s[0:1]
	s_cbranch_execz .LBB1616_481
; %bb.474:
	s_mov_b64 s[0:1], -1
	s_and_saveexec_b64 s[26:27], vcc
	s_cbranch_execz .LBB1616_480
; %bb.475:
	v_mul_lo_u32 v14, v86, v6
	v_mul_lo_u32 v15, v87, v7
	v_mad_u64_u32 v[12:13], s[0:1], v87, v6, 0
	v_add3_u32 v13, v13, v15, v14
	v_mul_lo_u32 v16, v84, v6
	v_mul_lo_u32 v17, v85, v7
	v_mad_u64_u32 v[14:15], s[0:1], v85, v6, 0
	v_add3_u32 v15, v15, v17, v16
	v_lshl_add_u64 v[12:13], v[12:13], 3, v[8:9]
	v_lshl_add_u64 v[14:15], v[14:15], 3, v[8:9]
	s_mov_b64 s[28:29], 0
	v_mov_b64_e32 v[16:17], v[6:7]
                                        ; implicit-def: $sgpr30_sgpr31
                                        ; implicit-def: $sgpr34_sgpr35
                                        ; implicit-def: $sgpr2_sgpr3
                                        ; implicit-def: $sgpr36_sgpr37
                                        ; implicit-def: $sgpr38_sgpr39
	s_branch .LBB1616_477
.LBB1616_476:                           ;   in Loop: Header=BB1616_477 Depth=1
	s_or_b64 exec, exec, s[40:41]
	s_and_b64 s[0:1], exec, s[34:35]
	s_or_b64 s[28:29], s[0:1], s[28:29]
	s_andn2_b64 s[0:1], s[38:39], exec
	s_and_b64 s[4:5], s[36:37], exec
	s_or_b64 s[38:39], s[0:1], s[4:5]
	s_andn2_b64 s[0:1], s[30:31], exec
	s_and_b64 s[4:5], s[2:3], exec
	s_or_b64 s[30:31], s[0:1], s[4:5]
	s_andn2_b64 exec, exec, s[28:29]
	s_cbranch_execz .LBB1616_479
.LBB1616_477:                           ; =>This Inner Loop Header: Depth=1
	flat_load_dwordx2 v[66:67], v[14:15]
	flat_load_dwordx2 v[96:97], v[12:13]
	s_andn2_b64 s[40:41], s[2:3], exec
	s_andn2_b64 s[36:37], s[36:37], exec
	s_or_b64 s[34:35], s[34:35], exec
	s_waitcnt vmcnt(0) lgkmcnt(0)
	v_cmp_le_u64_e64 s[2:3], v[66:67], v[96:97]
	v_cmp_lt_u64_e64 s[0:1], v[66:67], v[96:97]
	s_and_b64 s[2:3], s[2:3], s[38:39]
	s_or_b64 s[42:43], s[0:1], s[2:3]
	s_and_b64 s[0:1], s[42:43], exec
	v_cmp_eq_u64_e64 s[4:5], v[66:67], v[96:97]
	s_or_b64 s[2:3], s[40:41], s[0:1]
	s_and_saveexec_b64 s[40:41], s[4:5]
	s_cbranch_execz .LBB1616_476
; %bb.478:                              ;   in Loop: Header=BB1616_477 Depth=1
	v_lshl_add_u64 v[16:17], v[16:17], 0, -1
	v_cmp_eq_u64_e64 s[0:1], 0, v[16:17]
	s_andn2_b64 s[4:5], s[36:37], exec
	s_and_b64 s[36:37], s[42:43], exec
	s_or_b64 s[36:37], s[4:5], s[36:37]
	s_andn2_b64 s[4:5], s[34:35], exec
	s_and_b64 s[0:1], s[0:1], exec
	v_lshl_add_u64 v[12:13], v[12:13], 0, 8
	v_lshl_add_u64 v[14:15], v[14:15], 0, 8
	s_andn2_b64 s[2:3], s[2:3], exec
	s_or_b64 s[34:35], s[4:5], s[0:1]
                                        ; implicit-def: $sgpr38_sgpr39
	s_branch .LBB1616_476
.LBB1616_479:
	s_or_b64 exec, exec, s[28:29]
	s_xor_b64 s[0:1], s[30:31], -1
	s_orn2_b64 s[0:1], s[0:1], exec
.LBB1616_480:
	s_or_b64 exec, exec, s[26:27]
	s_and_b64 s[2:3], s[0:1], exec
.LBB1616_481:
	s_or_b64 exec, exec, s[20:21]
	s_orn2_b64 s[20:21], s[2:3], exec
.LBB1616_482:
	s_or_b64 exec, exec, s[24:25]
	v_cndmask_b32_e64 v12, v18, v19, s[20:21]
	v_cndmask_b32_e64 v13, v100, v99, s[20:21]
	v_add_u32_e32 v16, 1, v12
	v_add_u32_e32 v12, -1, v13
	v_min_u32_e32 v12, v16, v12
	v_mov_b32_e32 v13, 0
	v_lshl_add_u64 v[14:15], v[12:13], 3, v[54:55]
	flat_load_dwordx2 v[14:15], v[14:15]
	v_cndmask_b32_e64 v66, v16, v18, s[20:21]
	s_mov_b64 s[24:25], -1
	v_cndmask_b32_e64 v67, v19, v16, s[20:21]
	v_cmp_lt_u32_e64 s[0:1], v66, v100
	s_mov_b64 s[26:27], -1
	s_waitcnt vmcnt(0) lgkmcnt(0)
	v_cndmask_b32_e64 v96, v15, v84, s[20:21]
	v_cndmask_b32_e64 v97, v14, v85, s[20:21]
	;; [unrolled: 1-line block ×4, first 2 shown]
	s_and_saveexec_b64 s[28:29], s[0:1]
	s_cbranch_execz .LBB1616_492
; %bb.483:
	v_cmp_lt_u32_e64 s[0:1], v67, v99
	s_mov_b64 s[2:3], 0
	s_and_saveexec_b64 s[26:27], s[0:1]
	s_cbranch_execz .LBB1616_491
; %bb.484:
	s_mov_b64 s[0:1], -1
	s_and_saveexec_b64 s[30:31], vcc
	s_cbranch_execz .LBB1616_490
; %bb.485:
	v_mul_lo_u32 v12, v101, v6
	v_mul_lo_u32 v16, v102, v7
	v_mad_u64_u32 v[14:15], s[0:1], v102, v6, 0
	v_add3_u32 v15, v15, v16, v12
	v_mul_lo_u32 v12, v96, v6
	v_mul_lo_u32 v18, v97, v7
	v_mad_u64_u32 v[16:17], s[0:1], v97, v6, 0
	v_add3_u32 v17, v17, v18, v12
	v_lshl_add_u64 v[14:15], v[14:15], 3, v[8:9]
	v_lshl_add_u64 v[16:17], v[16:17], 3, v[8:9]
	s_mov_b64 s[34:35], 0
	v_mov_b64_e32 v[18:19], v[6:7]
                                        ; implicit-def: $sgpr36_sgpr37
                                        ; implicit-def: $sgpr38_sgpr39
                                        ; implicit-def: $sgpr2_sgpr3
                                        ; implicit-def: $sgpr40_sgpr41
                                        ; implicit-def: $sgpr42_sgpr43
	s_branch .LBB1616_487
.LBB1616_486:                           ;   in Loop: Header=BB1616_487 Depth=1
	s_or_b64 exec, exec, s[44:45]
	s_and_b64 s[0:1], exec, s[38:39]
	s_or_b64 s[34:35], s[0:1], s[34:35]
	s_andn2_b64 s[0:1], s[42:43], exec
	s_and_b64 s[4:5], s[40:41], exec
	s_or_b64 s[42:43], s[0:1], s[4:5]
	s_andn2_b64 s[0:1], s[36:37], exec
	s_and_b64 s[4:5], s[2:3], exec
	s_or_b64 s[36:37], s[0:1], s[4:5]
	s_andn2_b64 exec, exec, s[34:35]
	s_cbranch_execz .LBB1616_489
.LBB1616_487:                           ; =>This Inner Loop Header: Depth=1
	flat_load_dwordx2 v[112:113], v[16:17]
	flat_load_dwordx2 v[114:115], v[14:15]
	s_andn2_b64 s[44:45], s[2:3], exec
	s_andn2_b64 s[40:41], s[40:41], exec
	s_or_b64 s[38:39], s[38:39], exec
	s_waitcnt vmcnt(0) lgkmcnt(0)
	v_cmp_le_u64_e64 s[2:3], v[112:113], v[114:115]
	v_cmp_lt_u64_e64 s[0:1], v[112:113], v[114:115]
	s_and_b64 s[2:3], s[2:3], s[42:43]
	s_or_b64 s[46:47], s[0:1], s[2:3]
	s_and_b64 s[0:1], s[46:47], exec
	v_cmp_eq_u64_e64 s[4:5], v[112:113], v[114:115]
	s_or_b64 s[2:3], s[44:45], s[0:1]
	s_and_saveexec_b64 s[44:45], s[4:5]
	s_cbranch_execz .LBB1616_486
; %bb.488:                              ;   in Loop: Header=BB1616_487 Depth=1
	v_lshl_add_u64 v[18:19], v[18:19], 0, -1
	v_cmp_eq_u64_e64 s[0:1], 0, v[18:19]
	s_andn2_b64 s[4:5], s[40:41], exec
	s_and_b64 s[40:41], s[46:47], exec
	s_or_b64 s[40:41], s[4:5], s[40:41]
	s_andn2_b64 s[4:5], s[38:39], exec
	s_and_b64 s[0:1], s[0:1], exec
	v_lshl_add_u64 v[14:15], v[14:15], 0, 8
	v_lshl_add_u64 v[16:17], v[16:17], 0, 8
	s_andn2_b64 s[2:3], s[2:3], exec
	s_or_b64 s[38:39], s[4:5], s[0:1]
                                        ; implicit-def: $sgpr42_sgpr43
	s_branch .LBB1616_486
.LBB1616_489:
	s_or_b64 exec, exec, s[34:35]
	s_xor_b64 s[0:1], s[36:37], -1
	s_orn2_b64 s[0:1], s[0:1], exec
.LBB1616_490:
	s_or_b64 exec, exec, s[30:31]
	s_and_b64 s[2:3], s[0:1], exec
.LBB1616_491:
	s_or_b64 exec, exec, s[26:27]
	s_orn2_b64 s[26:27], s[2:3], exec
.LBB1616_492:
	s_or_b64 exec, exec, s[28:29]
	v_cndmask_b32_e64 v12, v66, v67, s[26:27]
	v_cndmask_b32_e64 v14, v100, v99, s[26:27]
	v_add_u32_e32 v15, 1, v12
	v_add_u32_e32 v12, -1, v14
	v_min_u32_e32 v12, v15, v12
	v_lshl_add_u64 v[12:13], v[12:13], 3, v[54:55]
	flat_load_dwordx2 v[12:13], v[12:13]
	v_cndmask_b32_e64 v114, v15, v66, s[26:27]
	v_cndmask_b32_e64 v103, v67, v15, s[26:27]
	v_cmp_lt_u32_e64 s[0:1], v114, v100
	s_waitcnt vmcnt(0) lgkmcnt(0)
	v_cndmask_b32_e64 v112, v13, v96, s[26:27]
	v_cndmask_b32_e64 v113, v12, v97, s[26:27]
	;; [unrolled: 1-line block ×4, first 2 shown]
	s_and_saveexec_b64 s[28:29], s[0:1]
	s_cbranch_execz .LBB1616_502
; %bb.493:
	v_cmp_lt_u32_e64 s[0:1], v103, v99
	s_mov_b64 s[2:3], 0
	s_and_saveexec_b64 s[24:25], s[0:1]
	s_cbranch_execz .LBB1616_501
; %bb.494:
	s_mov_b64 s[0:1], -1
	s_and_saveexec_b64 s[30:31], vcc
	s_cbranch_execz .LBB1616_500
; %bb.495:
	v_mul_lo_u32 v14, v115, v6
	v_mul_lo_u32 v15, v116, v7
	v_mad_u64_u32 v[12:13], s[0:1], v116, v6, 0
	v_add3_u32 v13, v13, v15, v14
	v_mul_lo_u32 v16, v112, v6
	v_mul_lo_u32 v17, v113, v7
	v_mad_u64_u32 v[14:15], s[0:1], v113, v6, 0
	v_add3_u32 v15, v15, v17, v16
	v_lshl_add_u64 v[12:13], v[12:13], 3, v[8:9]
	v_lshl_add_u64 v[14:15], v[14:15], 3, v[8:9]
	s_mov_b64 s[34:35], 0
	v_mov_b64_e32 v[16:17], v[6:7]
                                        ; implicit-def: $sgpr36_sgpr37
                                        ; implicit-def: $sgpr38_sgpr39
                                        ; implicit-def: $sgpr2_sgpr3
                                        ; implicit-def: $sgpr40_sgpr41
                                        ; implicit-def: $sgpr42_sgpr43
	s_branch .LBB1616_497
.LBB1616_496:                           ;   in Loop: Header=BB1616_497 Depth=1
	s_or_b64 exec, exec, s[44:45]
	s_and_b64 s[0:1], exec, s[38:39]
	s_or_b64 s[34:35], s[0:1], s[34:35]
	s_andn2_b64 s[0:1], s[42:43], exec
	s_and_b64 s[4:5], s[40:41], exec
	s_or_b64 s[42:43], s[0:1], s[4:5]
	s_andn2_b64 s[0:1], s[36:37], exec
	s_and_b64 s[4:5], s[2:3], exec
	s_or_b64 s[36:37], s[0:1], s[4:5]
	s_andn2_b64 exec, exec, s[34:35]
	s_cbranch_execz .LBB1616_499
.LBB1616_497:                           ; =>This Inner Loop Header: Depth=1
	flat_load_dwordx2 v[18:19], v[14:15]
	flat_load_dwordx2 v[66:67], v[12:13]
	s_andn2_b64 s[44:45], s[2:3], exec
	s_andn2_b64 s[40:41], s[40:41], exec
	s_or_b64 s[38:39], s[38:39], exec
	s_waitcnt vmcnt(0) lgkmcnt(0)
	v_cmp_le_u64_e64 s[2:3], v[18:19], v[66:67]
	v_cmp_lt_u64_e64 s[0:1], v[18:19], v[66:67]
	s_and_b64 s[2:3], s[2:3], s[42:43]
	s_or_b64 s[46:47], s[0:1], s[2:3]
	s_and_b64 s[0:1], s[46:47], exec
	v_cmp_eq_u64_e64 s[4:5], v[18:19], v[66:67]
	s_or_b64 s[2:3], s[44:45], s[0:1]
	s_and_saveexec_b64 s[44:45], s[4:5]
	s_cbranch_execz .LBB1616_496
; %bb.498:                              ;   in Loop: Header=BB1616_497 Depth=1
	v_lshl_add_u64 v[16:17], v[16:17], 0, -1
	v_cmp_eq_u64_e64 s[0:1], 0, v[16:17]
	s_andn2_b64 s[4:5], s[40:41], exec
	s_and_b64 s[40:41], s[46:47], exec
	s_or_b64 s[40:41], s[4:5], s[40:41]
	s_andn2_b64 s[4:5], s[38:39], exec
	s_and_b64 s[0:1], s[0:1], exec
	v_lshl_add_u64 v[12:13], v[12:13], 0, 8
	v_lshl_add_u64 v[14:15], v[14:15], 0, 8
	s_andn2_b64 s[2:3], s[2:3], exec
	s_or_b64 s[38:39], s[4:5], s[0:1]
                                        ; implicit-def: $sgpr42_sgpr43
	s_branch .LBB1616_496
.LBB1616_499:
	s_or_b64 exec, exec, s[34:35]
	s_xor_b64 s[0:1], s[36:37], -1
	s_orn2_b64 s[0:1], s[0:1], exec
.LBB1616_500:
	s_or_b64 exec, exec, s[30:31]
	s_and_b64 s[2:3], s[0:1], exec
.LBB1616_501:
	s_or_b64 exec, exec, s[24:25]
	s_orn2_b64 s[24:25], s[2:3], exec
.LBB1616_502:
	s_or_b64 exec, exec, s[28:29]
	v_cndmask_b32_e64 v12, v114, v103, s[24:25]
	v_cndmask_b32_e64 v13, v100, v99, s[24:25]
	v_add_u32_e32 v117, 1, v12
	v_add_u32_e32 v12, -1, v13
	v_min_u32_e32 v12, v117, v12
	v_mov_b32_e32 v13, 0
	v_lshl_add_u64 v[12:13], v[12:13], 3, v[54:55]
	flat_load_dwordx2 v[66:67], v[12:13]
	v_cndmask_b32_e64 v17, v23, v70, s[16:17]
	v_cndmask_b32_e64 v23, v20, v22, s[18:19]
	;; [unrolled: 1-line block ×15, first 2 shown]
	v_cmp_lt_u32_e64 s[0:1], v68, v100
	s_waitcnt vmcnt(0) lgkmcnt(0)
	v_cndmask_b32_e64 v3, v115, v67, s[24:25]
	v_cndmask_b32_e64 v2, v116, v66, s[24:25]
	s_and_saveexec_b64 s[14:15], s[0:1]
	s_cbranch_execz .LBB1616_512
; %bb.503:
	v_cndmask_b32_e64 v68, v103, v117, s[24:25]
	v_cndmask_b32_e64 v67, v67, v112, s[24:25]
	;; [unrolled: 1-line block ×3, first 2 shown]
	v_cmp_lt_u32_e64 s[0:1], v68, v99
	s_and_saveexec_b64 s[16:17], s[0:1]
	s_cbranch_execz .LBB1616_511
; %bb.504:
	s_and_saveexec_b64 s[18:19], vcc
	s_cbranch_execz .LBB1616_510
; %bb.505:
	v_mul_lo_u32 v70, v3, v6
	v_mul_lo_u32 v71, v2, v7
	v_mad_u64_u32 v[68:69], s[0:1], v2, v6, 0
	v_add3_u32 v69, v69, v71, v70
	v_mul_lo_u32 v80, v67, v6
	v_mul_lo_u32 v81, v66, v7
	v_mad_u64_u32 v[70:71], s[0:1], v66, v6, 0
	v_add3_u32 v71, v71, v81, v80
	v_lshl_add_u64 v[68:69], v[68:69], 3, v[8:9]
	v_lshl_add_u64 v[70:71], v[70:71], 3, v[8:9]
	s_mov_b64 s[20:21], 0
	v_mov_b64_e32 v[80:81], v[6:7]
                                        ; implicit-def: $sgpr22_sgpr23
                                        ; implicit-def: $sgpr24_sgpr25
                                        ; implicit-def: $sgpr2_sgpr3
                                        ; implicit-def: $sgpr26_sgpr27
                                        ; implicit-def: $sgpr28_sgpr29
	s_branch .LBB1616_507
.LBB1616_506:                           ;   in Loop: Header=BB1616_507 Depth=1
	s_or_b64 exec, exec, s[30:31]
	s_and_b64 s[0:1], exec, s[24:25]
	s_or_b64 s[20:21], s[0:1], s[20:21]
	s_andn2_b64 s[0:1], s[28:29], exec
	s_and_b64 s[4:5], s[26:27], exec
	s_or_b64 s[28:29], s[0:1], s[4:5]
	s_andn2_b64 s[0:1], s[22:23], exec
	s_and_b64 s[4:5], s[2:3], exec
	s_or_b64 s[22:23], s[0:1], s[4:5]
	s_andn2_b64 exec, exec, s[20:21]
	s_cbranch_execz .LBB1616_509
.LBB1616_507:                           ; =>This Inner Loop Header: Depth=1
	flat_load_dwordx2 v[82:83], v[70:71]
	flat_load_dwordx2 v[84:85], v[68:69]
	s_andn2_b64 s[30:31], s[2:3], exec
	s_andn2_b64 s[26:27], s[26:27], exec
	s_or_b64 s[24:25], s[24:25], exec
	s_waitcnt vmcnt(0) lgkmcnt(0)
	v_cmp_le_u64_e64 s[2:3], v[82:83], v[84:85]
	v_cmp_lt_u64_e64 s[0:1], v[82:83], v[84:85]
	s_and_b64 s[2:3], s[2:3], s[28:29]
	s_or_b64 s[34:35], s[0:1], s[2:3]
	s_and_b64 s[0:1], s[34:35], exec
	v_cmp_eq_u64_e64 s[4:5], v[82:83], v[84:85]
	s_or_b64 s[2:3], s[30:31], s[0:1]
	s_and_saveexec_b64 s[30:31], s[4:5]
	s_cbranch_execz .LBB1616_506
; %bb.508:                              ;   in Loop: Header=BB1616_507 Depth=1
	v_lshl_add_u64 v[80:81], v[80:81], 0, -1
	v_cmp_eq_u64_e64 s[0:1], 0, v[80:81]
	s_andn2_b64 s[4:5], s[26:27], exec
	s_and_b64 s[26:27], s[34:35], exec
	s_or_b64 s[26:27], s[4:5], s[26:27]
	s_andn2_b64 s[4:5], s[24:25], exec
	s_and_b64 s[0:1], s[0:1], exec
	v_lshl_add_u64 v[68:69], v[68:69], 0, 8
	v_lshl_add_u64 v[70:71], v[70:71], 0, 8
	s_andn2_b64 s[2:3], s[2:3], exec
	s_or_b64 s[24:25], s[4:5], s[0:1]
                                        ; implicit-def: $sgpr28_sgpr29
	s_branch .LBB1616_506
.LBB1616_509:
	s_or_b64 exec, exec, s[20:21]
	v_cndmask_b32_e64 v3, v3, v67, s[22:23]
	v_cndmask_b32_e64 v2, v2, v66, s[22:23]
.LBB1616_510:
	s_or_b64 exec, exec, s[18:19]
	v_mov_b64_e32 v[66:67], v[2:3]
.LBB1616_511:
	s_or_b64 exec, exec, s[16:17]
	v_mov_b64_e32 v[2:3], v[66:67]
.LBB1616_512:
	s_or_b64 exec, exec, s[14:15]
.LBB1616_513:
	s_or_b64 exec, exec, s[10:11]
	v_and_b32_e32 v99, 0x380, v98
	; wave barrier
	flat_store_dwordx4 v[64:65], v[20:23]
	flat_store_dwordx4 v[64:65], v[16:19] offset:16
	flat_store_dwordx4 v[64:65], v[12:15] offset:32
	;; [unrolled: 1-line block ×3, first 2 shown]
	v_or_b32_e32 v64, 64, v99
	v_min_u32_e32 v96, v31, v64
	v_add_u32_e32 v64, 64, v96
	v_min_u32_e32 v97, v31, v64
	v_and_b32_e32 v64, 0x78, v98
	v_min_u32_e32 v31, v31, v64
	v_sub_u32_e32 v64, v96, v99
	v_sub_u32_e32 v65, v97, v96
	v_sub_u32_e64 v98, v31, v65 clamp
	v_min_u32_e32 v100, v31, v64
	v_cmp_lt_u32_e64 s[0:1], v98, v100
	; wave barrier
	s_and_saveexec_b64 s[10:11], s[0:1]
	s_cbranch_execz .LBB1616_523
; %bb.514:
	v_lshlrev_b32_e32 v64, 3, v99
	v_mov_b32_e32 v65, 0
	v_lshl_add_u64 v[66:67], v[54:55], 0, v[64:65]
	v_lshlrev_b32_e32 v64, 3, v96
	v_lshl_add_u64 v[68:69], v[54:55], 0, v[64:65]
	v_lshlrev_b64 v[70:71], 3, v[6:7]
	s_mov_b64 s[14:15], 0
	s_branch .LBB1616_517
.LBB1616_515:                           ;   in Loop: Header=BB1616_517 Depth=1
	s_or_b64 exec, exec, s[18:19]
	s_and_b64 s[0:1], s[20:21], exec
.LBB1616_516:                           ;   in Loop: Header=BB1616_517 Depth=1
	s_or_b64 exec, exec, s[16:17]
	v_add_u32_e32 v64, 1, v80
	v_cndmask_b32_e64 v100, v100, v80, s[0:1]
	v_cndmask_b32_e64 v98, v64, v98, s[0:1]
	v_cmp_ge_u32_e64 s[0:1], v98, v100
	s_or_b64 s[14:15], s[0:1], s[14:15]
	s_andn2_b64 exec, exec, s[14:15]
	s_cbranch_execz .LBB1616_522
.LBB1616_517:                           ; =>This Loop Header: Depth=1
                                        ;     Child Loop BB1616_520 Depth 2
	v_add_u32_e32 v64, v100, v98
	v_lshrrev_b32_e32 v80, 1, v64
	s_mov_b64 s[0:1], 0
	s_and_saveexec_b64 s[16:17], vcc
	s_cbranch_execz .LBB1616_516
; %bb.518:                              ;   in Loop: Header=BB1616_517 Depth=1
	v_mov_b32_e32 v81, v65
	v_xad_u32 v64, v80, -1, v31
	v_lshl_add_u64 v[82:83], v[80:81], 3, v[66:67]
	v_lshl_add_u64 v[84:85], v[64:65], 3, v[68:69]
	flat_load_dwordx2 v[82:83], v[82:83]
	s_mov_b64 s[18:19], 0
	flat_load_dwordx2 v[84:85], v[84:85]
                                        ; implicit-def: $sgpr20_sgpr21
                                        ; implicit-def: $sgpr22_sgpr23
                                        ; implicit-def: $sgpr24_sgpr25
                                        ; implicit-def: $sgpr2_sgpr3
                                        ; implicit-def: $sgpr26_sgpr27
	s_waitcnt vmcnt(0) lgkmcnt(0)
	v_mul_lo_u32 v64, v70, v83
	v_mul_lo_u32 v81, v71, v82
	v_mad_u64_u32 v[82:83], s[0:1], v70, v82, v[8:9]
	v_mul_lo_u32 v86, v70, v85
	v_mul_lo_u32 v87, v71, v84
	v_mad_u64_u32 v[84:85], s[0:1], v70, v84, v[8:9]
	v_add3_u32 v83, v81, v83, v64
	v_add3_u32 v85, v87, v85, v86
	v_mov_b64_e32 v[86:87], v[6:7]
	s_branch .LBB1616_520
.LBB1616_519:                           ;   in Loop: Header=BB1616_520 Depth=2
	s_or_b64 exec, exec, s[28:29]
	s_and_b64 s[0:1], exec, s[22:23]
	s_or_b64 s[18:19], s[0:1], s[18:19]
	s_andn2_b64 s[0:1], s[26:27], exec
	s_and_b64 s[4:5], s[24:25], exec
	s_or_b64 s[26:27], s[0:1], s[4:5]
	s_andn2_b64 s[0:1], s[20:21], exec
	s_and_b64 s[4:5], s[2:3], exec
	s_or_b64 s[20:21], s[0:1], s[4:5]
	s_andn2_b64 exec, exec, s[18:19]
	s_cbranch_execz .LBB1616_515
.LBB1616_520:                           ;   Parent Loop BB1616_517 Depth=1
                                        ; =>  This Inner Loop Header: Depth=2
	flat_load_dwordx2 v[102:103], v[84:85]
	flat_load_dwordx2 v[112:113], v[82:83]
	s_andn2_b64 s[28:29], s[2:3], exec
	s_andn2_b64 s[24:25], s[24:25], exec
	s_or_b64 s[22:23], s[22:23], exec
	s_waitcnt vmcnt(0) lgkmcnt(0)
	v_cmp_le_u64_e64 s[2:3], v[102:103], v[112:113]
	v_cmp_lt_u64_e64 s[0:1], v[102:103], v[112:113]
	s_and_b64 s[2:3], s[2:3], s[26:27]
	s_or_b64 s[30:31], s[0:1], s[2:3]
	s_and_b64 s[0:1], s[30:31], exec
	v_cmp_eq_u64_e64 s[4:5], v[102:103], v[112:113]
	s_or_b64 s[2:3], s[28:29], s[0:1]
	s_and_saveexec_b64 s[28:29], s[4:5]
	s_cbranch_execz .LBB1616_519
; %bb.521:                              ;   in Loop: Header=BB1616_520 Depth=2
	v_lshl_add_u64 v[86:87], v[86:87], 0, -1
	v_cmp_eq_u64_e64 s[0:1], 0, v[86:87]
	s_andn2_b64 s[4:5], s[24:25], exec
	s_and_b64 s[24:25], s[30:31], exec
	s_or_b64 s[24:25], s[4:5], s[24:25]
	s_andn2_b64 s[4:5], s[22:23], exec
	s_and_b64 s[0:1], s[0:1], exec
	v_lshl_add_u64 v[82:83], v[82:83], 0, 8
	v_lshl_add_u64 v[84:85], v[84:85], 0, 8
	s_andn2_b64 s[2:3], s[2:3], exec
	s_or_b64 s[22:23], s[4:5], s[0:1]
                                        ; implicit-def: $sgpr26_sgpr27
	s_branch .LBB1616_519
.LBB1616_522:
	s_or_b64 exec, exec, s[14:15]
.LBB1616_523:
	s_or_b64 exec, exec, s[10:11]
	v_add_u32_e32 v31, v96, v31
	v_add_u32_e32 v64, v98, v99
	v_sub_u32_e32 v66, v31, v98
	v_cmp_le_u32_e64 s[0:1], v64, v96
	v_cmp_le_u32_e64 s[2:3], v66, v97
	s_or_b64 s[0:1], s[0:1], s[2:3]
	s_and_saveexec_b64 s[10:11], s[0:1]
	s_cbranch_execz .LBB1616_607
; %bb.524:
	v_cmp_ge_u32_e64 s[0:1], v64, v96
	v_cmp_lt_u32_e64 s[2:3], v64, v96
                                        ; implicit-def: $vgpr0_vgpr1
	s_and_saveexec_b64 s[4:5], s[2:3]
	s_cbranch_execz .LBB1616_526
; %bb.525:
	v_mov_b32_e32 v65, 0
	v_lshl_add_u64 v[0:1], v[64:65], 3, v[54:55]
	flat_load_dwordx2 v[0:1], v[0:1]
.LBB1616_526:
	s_or_b64 exec, exec, s[4:5]
	v_cmp_ge_u32_e64 s[14:15], v66, v97
	v_cmp_lt_u32_e64 s[2:3], v66, v97
                                        ; implicit-def: $vgpr2_vgpr3
	s_and_saveexec_b64 s[4:5], s[2:3]
	s_cbranch_execz .LBB1616_528
; %bb.527:
	v_mov_b32_e32 v67, 0
	v_lshl_add_u64 v[2:3], v[66:67], 3, v[54:55]
	flat_load_dwordx2 v[2:3], v[2:3]
.LBB1616_528:
	s_or_b64 exec, exec, s[4:5]
	s_or_b64 s[0:1], s[0:1], s[14:15]
	s_xor_b64 s[0:1], s[0:1], -1
	s_and_saveexec_b64 s[16:17], s[0:1]
	s_cbranch_execz .LBB1616_536
; %bb.529:
	s_mov_b64 s[0:1], 0
	s_and_saveexec_b64 s[18:19], vcc
	s_cbranch_execz .LBB1616_535
; %bb.530:
	s_waitcnt vmcnt(0) lgkmcnt(0)
	v_mul_lo_u32 v14, v1, v6
	v_mul_lo_u32 v15, v0, v7
	v_mad_u64_u32 v[12:13], s[0:1], v0, v6, 0
	v_add3_u32 v13, v13, v15, v14
	v_mul_lo_u32 v16, v3, v6
	v_mul_lo_u32 v17, v2, v7
	v_mad_u64_u32 v[14:15], s[0:1], v2, v6, 0
	v_add3_u32 v15, v15, v17, v16
	v_lshl_add_u64 v[12:13], v[12:13], 3, v[8:9]
	v_lshl_add_u64 v[14:15], v[14:15], 3, v[8:9]
	s_mov_b64 s[20:21], 0
	v_mov_b64_e32 v[16:17], v[6:7]
                                        ; implicit-def: $sgpr22_sgpr23
                                        ; implicit-def: $sgpr24_sgpr25
                                        ; implicit-def: $sgpr26_sgpr27
                                        ; implicit-def: $sgpr2_sgpr3
                                        ; implicit-def: $sgpr28_sgpr29
	s_branch .LBB1616_532
.LBB1616_531:                           ;   in Loop: Header=BB1616_532 Depth=1
	s_or_b64 exec, exec, s[30:31]
	s_and_b64 s[0:1], exec, s[24:25]
	s_or_b64 s[20:21], s[0:1], s[20:21]
	s_andn2_b64 s[0:1], s[28:29], exec
	s_and_b64 s[4:5], s[26:27], exec
	s_or_b64 s[28:29], s[0:1], s[4:5]
	s_andn2_b64 s[0:1], s[22:23], exec
	s_and_b64 s[4:5], s[2:3], exec
	s_or_b64 s[22:23], s[0:1], s[4:5]
	s_andn2_b64 exec, exec, s[20:21]
	s_cbranch_execz .LBB1616_534
.LBB1616_532:                           ; =>This Inner Loop Header: Depth=1
	flat_load_dwordx2 v[18:19], v[14:15]
	flat_load_dwordx2 v[20:21], v[12:13]
	s_andn2_b64 s[30:31], s[2:3], exec
	s_andn2_b64 s[26:27], s[26:27], exec
	s_or_b64 s[24:25], s[24:25], exec
	s_waitcnt vmcnt(0) lgkmcnt(0)
	v_cmp_le_u64_e64 s[2:3], v[18:19], v[20:21]
	v_cmp_lt_u64_e64 s[0:1], v[18:19], v[20:21]
	s_and_b64 s[2:3], s[2:3], s[28:29]
	s_or_b64 s[34:35], s[0:1], s[2:3]
	s_and_b64 s[0:1], s[34:35], exec
	v_cmp_eq_u64_e64 s[4:5], v[18:19], v[20:21]
	s_or_b64 s[2:3], s[30:31], s[0:1]
	s_and_saveexec_b64 s[30:31], s[4:5]
	s_cbranch_execz .LBB1616_531
; %bb.533:                              ;   in Loop: Header=BB1616_532 Depth=1
	v_lshl_add_u64 v[16:17], v[16:17], 0, -1
	v_cmp_eq_u64_e64 s[0:1], 0, v[16:17]
	s_andn2_b64 s[4:5], s[26:27], exec
	s_and_b64 s[26:27], s[34:35], exec
	s_or_b64 s[26:27], s[4:5], s[26:27]
	s_andn2_b64 s[4:5], s[24:25], exec
	s_and_b64 s[0:1], s[0:1], exec
	v_lshl_add_u64 v[12:13], v[12:13], 0, 8
	v_lshl_add_u64 v[14:15], v[14:15], 0, 8
	s_andn2_b64 s[2:3], s[2:3], exec
	s_or_b64 s[24:25], s[4:5], s[0:1]
                                        ; implicit-def: $sgpr28_sgpr29
	s_branch .LBB1616_531
.LBB1616_534:
	s_or_b64 exec, exec, s[20:21]
	s_and_b64 s[0:1], s[22:23], exec
.LBB1616_535:
	s_or_b64 exec, exec, s[18:19]
	s_xor_b64 s[0:1], s[0:1], -1
	s_andn2_b64 s[2:3], s[14:15], exec
	s_and_b64 s[0:1], s[0:1], exec
	s_or_b64 s[14:15], s[2:3], s[0:1]
.LBB1616_536:
	s_or_b64 exec, exec, s[16:17]
	v_cndmask_b32_e64 v12, v66, v64, s[14:15]
	v_cndmask_b32_e64 v13, v97, v96, s[14:15]
	v_add_u32_e32 v16, 1, v12
	v_add_u32_e32 v12, -1, v13
	v_min_u32_e32 v12, v16, v12
	v_mov_b32_e32 v13, 0
	v_lshl_add_u64 v[14:15], v[12:13], 3, v[54:55]
	flat_load_dwordx2 v[14:15], v[14:15]
	v_cndmask_b32_e64 v23, v16, v66, s[14:15]
	s_mov_b64 s[16:17], -1
	v_cndmask_b32_e64 v64, v64, v16, s[14:15]
	v_cmp_lt_u32_e64 s[0:1], v23, v97
	s_mov_b64 s[18:19], -1
	s_waitcnt vmcnt(0) lgkmcnt(0)
	v_cndmask_b32_e64 v20, v15, v3, s[14:15]
	v_cndmask_b32_e64 v21, v14, v2, s[14:15]
	;; [unrolled: 1-line block ×4, first 2 shown]
	s_and_saveexec_b64 s[20:21], s[0:1]
	s_cbranch_execz .LBB1616_546
; %bb.537:
	v_cmp_lt_u32_e64 s[0:1], v64, v96
	s_mov_b64 s[2:3], 0
	s_and_saveexec_b64 s[18:19], s[0:1]
	s_cbranch_execz .LBB1616_545
; %bb.538:
	s_mov_b64 s[0:1], 0
	s_and_saveexec_b64 s[22:23], vcc
	s_cbranch_execz .LBB1616_544
; %bb.539:
	v_mul_lo_u32 v12, v22, v6
	v_mul_lo_u32 v16, v31, v7
	v_mad_u64_u32 v[14:15], s[0:1], v31, v6, 0
	v_add3_u32 v15, v15, v16, v12
	v_mul_lo_u32 v12, v20, v6
	v_mul_lo_u32 v18, v21, v7
	v_mad_u64_u32 v[16:17], s[0:1], v21, v6, 0
	v_add3_u32 v17, v17, v18, v12
	v_lshl_add_u64 v[14:15], v[14:15], 3, v[8:9]
	v_lshl_add_u64 v[16:17], v[16:17], 3, v[8:9]
	s_mov_b64 s[24:25], 0
	v_mov_b64_e32 v[18:19], v[6:7]
                                        ; implicit-def: $sgpr26_sgpr27
                                        ; implicit-def: $sgpr28_sgpr29
                                        ; implicit-def: $sgpr30_sgpr31
                                        ; implicit-def: $sgpr2_sgpr3
                                        ; implicit-def: $sgpr34_sgpr35
	s_branch .LBB1616_541
.LBB1616_540:                           ;   in Loop: Header=BB1616_541 Depth=1
	s_or_b64 exec, exec, s[36:37]
	s_and_b64 s[0:1], exec, s[28:29]
	s_or_b64 s[24:25], s[0:1], s[24:25]
	s_andn2_b64 s[0:1], s[34:35], exec
	s_and_b64 s[4:5], s[30:31], exec
	s_or_b64 s[34:35], s[0:1], s[4:5]
	s_andn2_b64 s[0:1], s[26:27], exec
	s_and_b64 s[4:5], s[2:3], exec
	s_or_b64 s[26:27], s[0:1], s[4:5]
	s_andn2_b64 exec, exec, s[24:25]
	s_cbranch_execz .LBB1616_543
.LBB1616_541:                           ; =>This Inner Loop Header: Depth=1
	flat_load_dwordx2 v[66:67], v[16:17]
	flat_load_dwordx2 v[68:69], v[14:15]
	s_andn2_b64 s[36:37], s[2:3], exec
	s_andn2_b64 s[30:31], s[30:31], exec
	s_or_b64 s[28:29], s[28:29], exec
	s_waitcnt vmcnt(0) lgkmcnt(0)
	v_cmp_le_u64_e64 s[2:3], v[66:67], v[68:69]
	v_cmp_lt_u64_e64 s[0:1], v[66:67], v[68:69]
	s_and_b64 s[2:3], s[2:3], s[34:35]
	s_or_b64 s[38:39], s[0:1], s[2:3]
	s_and_b64 s[0:1], s[38:39], exec
	v_cmp_eq_u64_e64 s[4:5], v[66:67], v[68:69]
	s_or_b64 s[2:3], s[36:37], s[0:1]
	s_and_saveexec_b64 s[36:37], s[4:5]
	s_cbranch_execz .LBB1616_540
; %bb.542:                              ;   in Loop: Header=BB1616_541 Depth=1
	v_lshl_add_u64 v[18:19], v[18:19], 0, -1
	v_cmp_eq_u64_e64 s[0:1], 0, v[18:19]
	s_andn2_b64 s[4:5], s[30:31], exec
	s_and_b64 s[30:31], s[38:39], exec
	s_or_b64 s[30:31], s[4:5], s[30:31]
	s_andn2_b64 s[4:5], s[28:29], exec
	s_and_b64 s[0:1], s[0:1], exec
	v_lshl_add_u64 v[14:15], v[14:15], 0, 8
	v_lshl_add_u64 v[16:17], v[16:17], 0, 8
	s_andn2_b64 s[2:3], s[2:3], exec
	s_or_b64 s[28:29], s[4:5], s[0:1]
                                        ; implicit-def: $sgpr34_sgpr35
	s_branch .LBB1616_540
.LBB1616_543:
	s_or_b64 exec, exec, s[24:25]
	s_and_b64 s[0:1], s[26:27], exec
.LBB1616_544:
	s_or_b64 exec, exec, s[22:23]
	s_xor_b64 s[0:1], s[0:1], -1
	s_and_b64 s[2:3], s[0:1], exec
.LBB1616_545:
	s_or_b64 exec, exec, s[18:19]
	s_orn2_b64 s[18:19], s[2:3], exec
.LBB1616_546:
	s_or_b64 exec, exec, s[20:21]
	v_cndmask_b32_e64 v12, v23, v64, s[18:19]
	v_cndmask_b32_e64 v14, v97, v96, s[18:19]
	v_add_u32_e32 v15, 1, v12
	v_add_u32_e32 v12, -1, v14
	v_min_u32_e32 v12, v15, v12
	v_lshl_add_u64 v[12:13], v[12:13], 3, v[54:55]
	flat_load_dwordx2 v[12:13], v[12:13]
	v_cndmask_b32_e64 v18, v15, v23, s[18:19]
	v_cndmask_b32_e64 v19, v64, v15, s[18:19]
	v_cmp_lt_u32_e64 s[0:1], v18, v97
	s_waitcnt vmcnt(0) lgkmcnt(0)
	v_cndmask_b32_e64 v23, v13, v20, s[18:19]
	v_cndmask_b32_e64 v64, v12, v21, s[18:19]
	;; [unrolled: 1-line block ×4, first 2 shown]
	s_and_saveexec_b64 s[20:21], s[0:1]
	s_cbranch_execz .LBB1616_556
; %bb.547:
	v_cmp_lt_u32_e64 s[0:1], v19, v96
	s_mov_b64 s[2:3], 0
	s_and_saveexec_b64 s[16:17], s[0:1]
	s_cbranch_execz .LBB1616_555
; %bb.548:
	s_mov_b64 s[0:1], 0
	s_and_saveexec_b64 s[22:23], vcc
	s_cbranch_execz .LBB1616_554
; %bb.549:
	v_mul_lo_u32 v14, v65, v6
	v_mul_lo_u32 v15, v66, v7
	v_mad_u64_u32 v[12:13], s[0:1], v66, v6, 0
	v_add3_u32 v13, v13, v15, v14
	v_mul_lo_u32 v16, v23, v6
	v_mul_lo_u32 v17, v64, v7
	v_mad_u64_u32 v[14:15], s[0:1], v64, v6, 0
	v_add3_u32 v15, v15, v17, v16
	v_lshl_add_u64 v[12:13], v[12:13], 3, v[8:9]
	v_lshl_add_u64 v[14:15], v[14:15], 3, v[8:9]
	s_mov_b64 s[24:25], 0
	v_mov_b64_e32 v[16:17], v[6:7]
                                        ; implicit-def: $sgpr26_sgpr27
                                        ; implicit-def: $sgpr28_sgpr29
                                        ; implicit-def: $sgpr30_sgpr31
                                        ; implicit-def: $sgpr2_sgpr3
                                        ; implicit-def: $sgpr34_sgpr35
	s_branch .LBB1616_551
.LBB1616_550:                           ;   in Loop: Header=BB1616_551 Depth=1
	s_or_b64 exec, exec, s[36:37]
	s_and_b64 s[0:1], exec, s[28:29]
	s_or_b64 s[24:25], s[0:1], s[24:25]
	s_andn2_b64 s[0:1], s[34:35], exec
	s_and_b64 s[4:5], s[30:31], exec
	s_or_b64 s[34:35], s[0:1], s[4:5]
	s_andn2_b64 s[0:1], s[26:27], exec
	s_and_b64 s[4:5], s[2:3], exec
	s_or_b64 s[26:27], s[0:1], s[4:5]
	s_andn2_b64 exec, exec, s[24:25]
	s_cbranch_execz .LBB1616_553
.LBB1616_551:                           ; =>This Inner Loop Header: Depth=1
	flat_load_dwordx2 v[68:69], v[14:15]
	flat_load_dwordx2 v[70:71], v[12:13]
	s_andn2_b64 s[36:37], s[2:3], exec
	s_andn2_b64 s[30:31], s[30:31], exec
	s_or_b64 s[28:29], s[28:29], exec
	s_waitcnt vmcnt(0) lgkmcnt(0)
	v_cmp_le_u64_e64 s[2:3], v[68:69], v[70:71]
	v_cmp_lt_u64_e64 s[0:1], v[68:69], v[70:71]
	s_and_b64 s[2:3], s[2:3], s[34:35]
	s_or_b64 s[38:39], s[0:1], s[2:3]
	s_and_b64 s[0:1], s[38:39], exec
	v_cmp_eq_u64_e64 s[4:5], v[68:69], v[70:71]
	s_or_b64 s[2:3], s[36:37], s[0:1]
	s_and_saveexec_b64 s[36:37], s[4:5]
	s_cbranch_execz .LBB1616_550
; %bb.552:                              ;   in Loop: Header=BB1616_551 Depth=1
	v_lshl_add_u64 v[16:17], v[16:17], 0, -1
	v_cmp_eq_u64_e64 s[0:1], 0, v[16:17]
	s_andn2_b64 s[4:5], s[30:31], exec
	s_and_b64 s[30:31], s[38:39], exec
	s_or_b64 s[30:31], s[4:5], s[30:31]
	s_andn2_b64 s[4:5], s[28:29], exec
	s_and_b64 s[0:1], s[0:1], exec
	v_lshl_add_u64 v[12:13], v[12:13], 0, 8
	v_lshl_add_u64 v[14:15], v[14:15], 0, 8
	s_andn2_b64 s[2:3], s[2:3], exec
	s_or_b64 s[28:29], s[4:5], s[0:1]
                                        ; implicit-def: $sgpr34_sgpr35
	s_branch .LBB1616_550
.LBB1616_553:
	s_or_b64 exec, exec, s[24:25]
	s_and_b64 s[0:1], s[26:27], exec
.LBB1616_554:
	s_or_b64 exec, exec, s[22:23]
	s_xor_b64 s[0:1], s[0:1], -1
	s_and_b64 s[2:3], s[0:1], exec
.LBB1616_555:
	s_or_b64 exec, exec, s[16:17]
	s_orn2_b64 s[16:17], s[2:3], exec
.LBB1616_556:
	s_or_b64 exec, exec, s[20:21]
	v_cndmask_b32_e64 v12, v18, v19, s[16:17]
	v_cndmask_b32_e64 v13, v97, v96, s[16:17]
	v_add_u32_e32 v16, 1, v12
	v_add_u32_e32 v12, -1, v13
	v_min_u32_e32 v12, v16, v12
	v_mov_b32_e32 v13, 0
	v_lshl_add_u64 v[14:15], v[12:13], 3, v[54:55]
	flat_load_dwordx2 v[14:15], v[14:15]
	v_cndmask_b32_e64 v71, v16, v18, s[16:17]
	s_mov_b64 s[20:21], -1
	v_cndmask_b32_e64 v80, v19, v16, s[16:17]
	v_cmp_lt_u32_e64 s[0:1], v71, v97
	s_mov_b64 s[22:23], -1
	s_waitcnt vmcnt(0) lgkmcnt(0)
	v_cndmask_b32_e64 v67, v15, v23, s[16:17]
	v_cndmask_b32_e64 v68, v14, v64, s[16:17]
	;; [unrolled: 1-line block ×4, first 2 shown]
	s_and_saveexec_b64 s[24:25], s[0:1]
	s_cbranch_execz .LBB1616_566
; %bb.557:
	v_cmp_lt_u32_e64 s[0:1], v80, v96
	s_mov_b64 s[2:3], 0
	s_and_saveexec_b64 s[22:23], s[0:1]
	s_cbranch_execz .LBB1616_565
; %bb.558:
	s_mov_b64 s[0:1], -1
	s_and_saveexec_b64 s[26:27], vcc
	s_cbranch_execz .LBB1616_564
; %bb.559:
	v_mul_lo_u32 v12, v69, v6
	v_mul_lo_u32 v16, v70, v7
	v_mad_u64_u32 v[14:15], s[0:1], v70, v6, 0
	v_add3_u32 v15, v15, v16, v12
	v_mul_lo_u32 v12, v67, v6
	v_mul_lo_u32 v18, v68, v7
	v_mad_u64_u32 v[16:17], s[0:1], v68, v6, 0
	v_add3_u32 v17, v17, v18, v12
	v_lshl_add_u64 v[14:15], v[14:15], 3, v[8:9]
	v_lshl_add_u64 v[16:17], v[16:17], 3, v[8:9]
	s_mov_b64 s[28:29], 0
	v_mov_b64_e32 v[18:19], v[6:7]
                                        ; implicit-def: $sgpr30_sgpr31
                                        ; implicit-def: $sgpr34_sgpr35
                                        ; implicit-def: $sgpr2_sgpr3
                                        ; implicit-def: $sgpr36_sgpr37
                                        ; implicit-def: $sgpr38_sgpr39
	s_branch .LBB1616_561
.LBB1616_560:                           ;   in Loop: Header=BB1616_561 Depth=1
	s_or_b64 exec, exec, s[40:41]
	s_and_b64 s[0:1], exec, s[34:35]
	s_or_b64 s[28:29], s[0:1], s[28:29]
	s_andn2_b64 s[0:1], s[38:39], exec
	s_and_b64 s[4:5], s[36:37], exec
	s_or_b64 s[38:39], s[0:1], s[4:5]
	s_andn2_b64 s[0:1], s[30:31], exec
	s_and_b64 s[4:5], s[2:3], exec
	s_or_b64 s[30:31], s[0:1], s[4:5]
	s_andn2_b64 exec, exec, s[28:29]
	s_cbranch_execz .LBB1616_563
.LBB1616_561:                           ; =>This Inner Loop Header: Depth=1
	flat_load_dwordx2 v[82:83], v[16:17]
	flat_load_dwordx2 v[84:85], v[14:15]
	s_andn2_b64 s[40:41], s[2:3], exec
	s_andn2_b64 s[36:37], s[36:37], exec
	s_or_b64 s[34:35], s[34:35], exec
	s_waitcnt vmcnt(0) lgkmcnt(0)
	v_cmp_le_u64_e64 s[2:3], v[82:83], v[84:85]
	v_cmp_lt_u64_e64 s[0:1], v[82:83], v[84:85]
	s_and_b64 s[2:3], s[2:3], s[38:39]
	s_or_b64 s[42:43], s[0:1], s[2:3]
	s_and_b64 s[0:1], s[42:43], exec
	v_cmp_eq_u64_e64 s[4:5], v[82:83], v[84:85]
	s_or_b64 s[2:3], s[40:41], s[0:1]
	s_and_saveexec_b64 s[40:41], s[4:5]
	s_cbranch_execz .LBB1616_560
; %bb.562:                              ;   in Loop: Header=BB1616_561 Depth=1
	v_lshl_add_u64 v[18:19], v[18:19], 0, -1
	v_cmp_eq_u64_e64 s[0:1], 0, v[18:19]
	s_andn2_b64 s[4:5], s[36:37], exec
	s_and_b64 s[36:37], s[42:43], exec
	s_or_b64 s[36:37], s[4:5], s[36:37]
	s_andn2_b64 s[4:5], s[34:35], exec
	s_and_b64 s[0:1], s[0:1], exec
	v_lshl_add_u64 v[14:15], v[14:15], 0, 8
	v_lshl_add_u64 v[16:17], v[16:17], 0, 8
	s_andn2_b64 s[2:3], s[2:3], exec
	s_or_b64 s[34:35], s[4:5], s[0:1]
                                        ; implicit-def: $sgpr38_sgpr39
	s_branch .LBB1616_560
.LBB1616_563:
	s_or_b64 exec, exec, s[28:29]
	s_xor_b64 s[0:1], s[30:31], -1
	s_orn2_b64 s[0:1], s[0:1], exec
.LBB1616_564:
	s_or_b64 exec, exec, s[26:27]
	s_and_b64 s[2:3], s[0:1], exec
.LBB1616_565:
	s_or_b64 exec, exec, s[22:23]
	s_orn2_b64 s[22:23], s[2:3], exec
.LBB1616_566:
	s_or_b64 exec, exec, s[24:25]
	v_cndmask_b32_e64 v12, v71, v80, s[22:23]
	v_cndmask_b32_e64 v14, v97, v96, s[22:23]
	v_add_u32_e32 v15, 1, v12
	v_add_u32_e32 v12, -1, v14
	v_min_u32_e32 v12, v15, v12
	v_lshl_add_u64 v[12:13], v[12:13], 3, v[54:55]
	flat_load_dwordx2 v[12:13], v[12:13]
	v_cndmask_b32_e64 v18, v15, v71, s[22:23]
	v_cndmask_b32_e64 v19, v80, v15, s[22:23]
	v_cmp_lt_u32_e64 s[0:1], v18, v97
	s_waitcnt vmcnt(0) lgkmcnt(0)
	v_cndmask_b32_e64 v71, v13, v67, s[22:23]
	v_cndmask_b32_e64 v80, v12, v68, s[22:23]
	;; [unrolled: 1-line block ×4, first 2 shown]
	s_and_saveexec_b64 s[24:25], s[0:1]
	s_cbranch_execz .LBB1616_576
; %bb.567:
	v_cmp_lt_u32_e64 s[0:1], v19, v96
	s_mov_b64 s[2:3], 0
	s_and_saveexec_b64 s[20:21], s[0:1]
	s_cbranch_execz .LBB1616_575
; %bb.568:
	s_mov_b64 s[0:1], -1
	s_and_saveexec_b64 s[26:27], vcc
	s_cbranch_execz .LBB1616_574
; %bb.569:
	v_mul_lo_u32 v14, v81, v6
	v_mul_lo_u32 v15, v82, v7
	v_mad_u64_u32 v[12:13], s[0:1], v82, v6, 0
	v_add3_u32 v13, v13, v15, v14
	v_mul_lo_u32 v16, v71, v6
	v_mul_lo_u32 v17, v80, v7
	v_mad_u64_u32 v[14:15], s[0:1], v80, v6, 0
	v_add3_u32 v15, v15, v17, v16
	v_lshl_add_u64 v[12:13], v[12:13], 3, v[8:9]
	v_lshl_add_u64 v[14:15], v[14:15], 3, v[8:9]
	s_mov_b64 s[28:29], 0
	v_mov_b64_e32 v[16:17], v[6:7]
                                        ; implicit-def: $sgpr30_sgpr31
                                        ; implicit-def: $sgpr34_sgpr35
                                        ; implicit-def: $sgpr2_sgpr3
                                        ; implicit-def: $sgpr36_sgpr37
                                        ; implicit-def: $sgpr38_sgpr39
	s_branch .LBB1616_571
.LBB1616_570:                           ;   in Loop: Header=BB1616_571 Depth=1
	s_or_b64 exec, exec, s[40:41]
	s_and_b64 s[0:1], exec, s[34:35]
	s_or_b64 s[28:29], s[0:1], s[28:29]
	s_andn2_b64 s[0:1], s[38:39], exec
	s_and_b64 s[4:5], s[36:37], exec
	s_or_b64 s[38:39], s[0:1], s[4:5]
	s_andn2_b64 s[0:1], s[30:31], exec
	s_and_b64 s[4:5], s[2:3], exec
	s_or_b64 s[30:31], s[0:1], s[4:5]
	s_andn2_b64 exec, exec, s[28:29]
	s_cbranch_execz .LBB1616_573
.LBB1616_571:                           ; =>This Inner Loop Header: Depth=1
	flat_load_dwordx2 v[84:85], v[14:15]
	flat_load_dwordx2 v[86:87], v[12:13]
	s_andn2_b64 s[40:41], s[2:3], exec
	s_andn2_b64 s[36:37], s[36:37], exec
	s_or_b64 s[34:35], s[34:35], exec
	s_waitcnt vmcnt(0) lgkmcnt(0)
	v_cmp_le_u64_e64 s[2:3], v[84:85], v[86:87]
	v_cmp_lt_u64_e64 s[0:1], v[84:85], v[86:87]
	s_and_b64 s[2:3], s[2:3], s[38:39]
	s_or_b64 s[42:43], s[0:1], s[2:3]
	s_and_b64 s[0:1], s[42:43], exec
	v_cmp_eq_u64_e64 s[4:5], v[84:85], v[86:87]
	s_or_b64 s[2:3], s[40:41], s[0:1]
	s_and_saveexec_b64 s[40:41], s[4:5]
	s_cbranch_execz .LBB1616_570
; %bb.572:                              ;   in Loop: Header=BB1616_571 Depth=1
	v_lshl_add_u64 v[16:17], v[16:17], 0, -1
	v_cmp_eq_u64_e64 s[0:1], 0, v[16:17]
	s_andn2_b64 s[4:5], s[36:37], exec
	s_and_b64 s[36:37], s[42:43], exec
	s_or_b64 s[36:37], s[4:5], s[36:37]
	s_andn2_b64 s[4:5], s[34:35], exec
	s_and_b64 s[0:1], s[0:1], exec
	v_lshl_add_u64 v[12:13], v[12:13], 0, 8
	v_lshl_add_u64 v[14:15], v[14:15], 0, 8
	s_andn2_b64 s[2:3], s[2:3], exec
	s_or_b64 s[34:35], s[4:5], s[0:1]
                                        ; implicit-def: $sgpr38_sgpr39
	s_branch .LBB1616_570
.LBB1616_573:
	s_or_b64 exec, exec, s[28:29]
	s_xor_b64 s[0:1], s[30:31], -1
	s_orn2_b64 s[0:1], s[0:1], exec
.LBB1616_574:
	s_or_b64 exec, exec, s[26:27]
	s_and_b64 s[2:3], s[0:1], exec
.LBB1616_575:
	s_or_b64 exec, exec, s[20:21]
	s_orn2_b64 s[20:21], s[2:3], exec
.LBB1616_576:
	s_or_b64 exec, exec, s[24:25]
	v_cndmask_b32_e64 v12, v18, v19, s[20:21]
	v_cndmask_b32_e64 v13, v97, v96, s[20:21]
	v_add_u32_e32 v16, 1, v12
	v_add_u32_e32 v12, -1, v13
	v_min_u32_e32 v12, v16, v12
	v_mov_b32_e32 v13, 0
	v_lshl_add_u64 v[14:15], v[12:13], 3, v[54:55]
	flat_load_dwordx2 v[14:15], v[14:15]
	v_cndmask_b32_e64 v87, v16, v18, s[20:21]
	s_mov_b64 s[24:25], -1
	v_cndmask_b32_e64 v98, v19, v16, s[20:21]
	v_cmp_lt_u32_e64 s[0:1], v87, v97
	s_mov_b64 s[26:27], -1
	s_waitcnt vmcnt(0) lgkmcnt(0)
	v_cndmask_b32_e64 v83, v15, v71, s[20:21]
	v_cndmask_b32_e64 v84, v14, v80, s[20:21]
	;; [unrolled: 1-line block ×4, first 2 shown]
	s_and_saveexec_b64 s[28:29], s[0:1]
	s_cbranch_execz .LBB1616_586
; %bb.577:
	v_cmp_lt_u32_e64 s[0:1], v98, v96
	s_mov_b64 s[2:3], 0
	s_and_saveexec_b64 s[26:27], s[0:1]
	s_cbranch_execz .LBB1616_585
; %bb.578:
	s_mov_b64 s[0:1], -1
	s_and_saveexec_b64 s[30:31], vcc
	s_cbranch_execz .LBB1616_584
; %bb.579:
	v_mul_lo_u32 v12, v85, v6
	v_mul_lo_u32 v16, v86, v7
	v_mad_u64_u32 v[14:15], s[0:1], v86, v6, 0
	v_add3_u32 v15, v15, v16, v12
	v_mul_lo_u32 v12, v83, v6
	v_mul_lo_u32 v18, v84, v7
	v_mad_u64_u32 v[16:17], s[0:1], v84, v6, 0
	v_add3_u32 v17, v17, v18, v12
	v_lshl_add_u64 v[14:15], v[14:15], 3, v[8:9]
	v_lshl_add_u64 v[16:17], v[16:17], 3, v[8:9]
	s_mov_b64 s[34:35], 0
	v_mov_b64_e32 v[18:19], v[6:7]
                                        ; implicit-def: $sgpr36_sgpr37
                                        ; implicit-def: $sgpr38_sgpr39
                                        ; implicit-def: $sgpr2_sgpr3
                                        ; implicit-def: $sgpr40_sgpr41
                                        ; implicit-def: $sgpr42_sgpr43
	s_branch .LBB1616_581
.LBB1616_580:                           ;   in Loop: Header=BB1616_581 Depth=1
	s_or_b64 exec, exec, s[44:45]
	s_and_b64 s[0:1], exec, s[38:39]
	s_or_b64 s[34:35], s[0:1], s[34:35]
	s_andn2_b64 s[0:1], s[42:43], exec
	s_and_b64 s[4:5], s[40:41], exec
	s_or_b64 s[42:43], s[0:1], s[4:5]
	s_andn2_b64 s[0:1], s[36:37], exec
	s_and_b64 s[4:5], s[2:3], exec
	s_or_b64 s[36:37], s[0:1], s[4:5]
	s_andn2_b64 exec, exec, s[34:35]
	s_cbranch_execz .LBB1616_583
.LBB1616_581:                           ; =>This Inner Loop Header: Depth=1
	flat_load_dwordx2 v[100:101], v[16:17]
	flat_load_dwordx2 v[102:103], v[14:15]
	s_andn2_b64 s[44:45], s[2:3], exec
	s_andn2_b64 s[40:41], s[40:41], exec
	s_or_b64 s[38:39], s[38:39], exec
	s_waitcnt vmcnt(0) lgkmcnt(0)
	v_cmp_le_u64_e64 s[2:3], v[100:101], v[102:103]
	v_cmp_lt_u64_e64 s[0:1], v[100:101], v[102:103]
	s_and_b64 s[2:3], s[2:3], s[42:43]
	s_or_b64 s[46:47], s[0:1], s[2:3]
	s_and_b64 s[0:1], s[46:47], exec
	v_cmp_eq_u64_e64 s[4:5], v[100:101], v[102:103]
	s_or_b64 s[2:3], s[44:45], s[0:1]
	s_and_saveexec_b64 s[44:45], s[4:5]
	s_cbranch_execz .LBB1616_580
; %bb.582:                              ;   in Loop: Header=BB1616_581 Depth=1
	v_lshl_add_u64 v[18:19], v[18:19], 0, -1
	v_cmp_eq_u64_e64 s[0:1], 0, v[18:19]
	s_andn2_b64 s[4:5], s[40:41], exec
	s_and_b64 s[40:41], s[46:47], exec
	s_or_b64 s[40:41], s[4:5], s[40:41]
	s_andn2_b64 s[4:5], s[38:39], exec
	s_and_b64 s[0:1], s[0:1], exec
	v_lshl_add_u64 v[14:15], v[14:15], 0, 8
	v_lshl_add_u64 v[16:17], v[16:17], 0, 8
	s_andn2_b64 s[2:3], s[2:3], exec
	s_or_b64 s[38:39], s[4:5], s[0:1]
                                        ; implicit-def: $sgpr42_sgpr43
	s_branch .LBB1616_580
.LBB1616_583:
	s_or_b64 exec, exec, s[34:35]
	s_xor_b64 s[0:1], s[36:37], -1
	s_orn2_b64 s[0:1], s[0:1], exec
.LBB1616_584:
	s_or_b64 exec, exec, s[30:31]
	s_and_b64 s[2:3], s[0:1], exec
.LBB1616_585:
	s_or_b64 exec, exec, s[26:27]
	s_orn2_b64 s[26:27], s[2:3], exec
.LBB1616_586:
	s_or_b64 exec, exec, s[28:29]
	v_cndmask_b32_e64 v12, v87, v98, s[26:27]
	v_cndmask_b32_e64 v14, v97, v96, s[26:27]
	v_add_u32_e32 v15, 1, v12
	v_add_u32_e32 v12, -1, v14
	v_min_u32_e32 v12, v15, v12
	v_lshl_add_u64 v[12:13], v[12:13], 3, v[54:55]
	flat_load_dwordx2 v[12:13], v[12:13]
	v_cndmask_b32_e64 v100, v15, v87, s[26:27]
	v_cndmask_b32_e64 v87, v98, v15, s[26:27]
	v_cmp_lt_u32_e64 s[0:1], v100, v97
	s_waitcnt vmcnt(0) lgkmcnt(0)
	v_cndmask_b32_e64 v98, v13, v83, s[26:27]
	v_cndmask_b32_e64 v99, v12, v84, s[26:27]
	;; [unrolled: 1-line block ×4, first 2 shown]
	s_and_saveexec_b64 s[28:29], s[0:1]
	s_cbranch_execz .LBB1616_596
; %bb.587:
	v_cmp_lt_u32_e64 s[0:1], v87, v96
	s_mov_b64 s[2:3], 0
	s_and_saveexec_b64 s[24:25], s[0:1]
	s_cbranch_execz .LBB1616_595
; %bb.588:
	s_mov_b64 s[0:1], -1
	s_and_saveexec_b64 s[30:31], vcc
	s_cbranch_execz .LBB1616_594
; %bb.589:
	v_mul_lo_u32 v14, v101, v6
	v_mul_lo_u32 v15, v102, v7
	v_mad_u64_u32 v[12:13], s[0:1], v102, v6, 0
	v_add3_u32 v13, v13, v15, v14
	v_mul_lo_u32 v16, v98, v6
	v_mul_lo_u32 v17, v99, v7
	v_mad_u64_u32 v[14:15], s[0:1], v99, v6, 0
	v_add3_u32 v15, v15, v17, v16
	v_lshl_add_u64 v[12:13], v[12:13], 3, v[8:9]
	v_lshl_add_u64 v[14:15], v[14:15], 3, v[8:9]
	s_mov_b64 s[34:35], 0
	v_mov_b64_e32 v[16:17], v[6:7]
                                        ; implicit-def: $sgpr36_sgpr37
                                        ; implicit-def: $sgpr38_sgpr39
                                        ; implicit-def: $sgpr2_sgpr3
                                        ; implicit-def: $sgpr40_sgpr41
                                        ; implicit-def: $sgpr42_sgpr43
	s_branch .LBB1616_591
.LBB1616_590:                           ;   in Loop: Header=BB1616_591 Depth=1
	s_or_b64 exec, exec, s[44:45]
	s_and_b64 s[0:1], exec, s[38:39]
	s_or_b64 s[34:35], s[0:1], s[34:35]
	s_andn2_b64 s[0:1], s[42:43], exec
	s_and_b64 s[4:5], s[40:41], exec
	s_or_b64 s[42:43], s[0:1], s[4:5]
	s_andn2_b64 s[0:1], s[36:37], exec
	s_and_b64 s[4:5], s[2:3], exec
	s_or_b64 s[36:37], s[0:1], s[4:5]
	s_andn2_b64 exec, exec, s[34:35]
	s_cbranch_execz .LBB1616_593
.LBB1616_591:                           ; =>This Inner Loop Header: Depth=1
	flat_load_dwordx2 v[18:19], v[14:15]
	flat_load_dwordx2 v[112:113], v[12:13]
	s_andn2_b64 s[44:45], s[2:3], exec
	s_andn2_b64 s[40:41], s[40:41], exec
	s_or_b64 s[38:39], s[38:39], exec
	s_waitcnt vmcnt(0) lgkmcnt(0)
	v_cmp_le_u64_e64 s[2:3], v[18:19], v[112:113]
	v_cmp_lt_u64_e64 s[0:1], v[18:19], v[112:113]
	s_and_b64 s[2:3], s[2:3], s[42:43]
	s_or_b64 s[46:47], s[0:1], s[2:3]
	s_and_b64 s[0:1], s[46:47], exec
	v_cmp_eq_u64_e64 s[4:5], v[18:19], v[112:113]
	s_or_b64 s[2:3], s[44:45], s[0:1]
	s_and_saveexec_b64 s[44:45], s[4:5]
	s_cbranch_execz .LBB1616_590
; %bb.592:                              ;   in Loop: Header=BB1616_591 Depth=1
	v_lshl_add_u64 v[16:17], v[16:17], 0, -1
	v_cmp_eq_u64_e64 s[0:1], 0, v[16:17]
	s_andn2_b64 s[4:5], s[40:41], exec
	s_and_b64 s[40:41], s[46:47], exec
	s_or_b64 s[40:41], s[4:5], s[40:41]
	s_andn2_b64 s[4:5], s[38:39], exec
	s_and_b64 s[0:1], s[0:1], exec
	v_lshl_add_u64 v[12:13], v[12:13], 0, 8
	v_lshl_add_u64 v[14:15], v[14:15], 0, 8
	s_andn2_b64 s[2:3], s[2:3], exec
	s_or_b64 s[38:39], s[4:5], s[0:1]
                                        ; implicit-def: $sgpr42_sgpr43
	s_branch .LBB1616_590
.LBB1616_593:
	s_or_b64 exec, exec, s[34:35]
	s_xor_b64 s[0:1], s[36:37], -1
	s_orn2_b64 s[0:1], s[0:1], exec
.LBB1616_594:
	s_or_b64 exec, exec, s[30:31]
	s_and_b64 s[2:3], s[0:1], exec
.LBB1616_595:
	s_or_b64 exec, exec, s[24:25]
	s_orn2_b64 s[24:25], s[2:3], exec
.LBB1616_596:
	s_or_b64 exec, exec, s[28:29]
	v_cndmask_b32_e64 v12, v100, v87, s[24:25]
	v_cndmask_b32_e64 v13, v97, v96, s[24:25]
	v_add_u32_e32 v103, 1, v12
	v_add_u32_e32 v12, -1, v13
	v_min_u32_e32 v12, v103, v12
	v_mov_b32_e32 v13, 0
	v_lshl_add_u64 v[12:13], v[12:13], 3, v[54:55]
	flat_load_dwordx2 v[54:55], v[12:13]
	v_cndmask_b32_e64 v17, v23, v65, s[16:17]
	v_cndmask_b32_e64 v23, v20, v22, s[18:19]
	;; [unrolled: 1-line block ×15, first 2 shown]
	v_cmp_lt_u32_e64 s[0:1], v31, v97
	s_waitcnt vmcnt(0) lgkmcnt(0)
	v_cndmask_b32_e64 v3, v101, v55, s[24:25]
	v_cndmask_b32_e64 v2, v102, v54, s[24:25]
	s_and_saveexec_b64 s[14:15], s[0:1]
	s_cbranch_execz .LBB1616_606
; %bb.597:
	v_cndmask_b32_e64 v31, v87, v103, s[24:25]
	v_cndmask_b32_e64 v55, v55, v98, s[24:25]
	;; [unrolled: 1-line block ×3, first 2 shown]
	v_cmp_lt_u32_e64 s[0:1], v31, v96
	s_and_saveexec_b64 s[16:17], s[0:1]
	s_cbranch_execz .LBB1616_605
; %bb.598:
	s_and_saveexec_b64 s[18:19], vcc
	s_cbranch_execz .LBB1616_604
; %bb.599:
	v_mul_lo_u32 v31, v3, v6
	v_mul_lo_u32 v66, v2, v7
	v_mad_u64_u32 v[64:65], s[0:1], v2, v6, 0
	v_add3_u32 v65, v65, v66, v31
	v_mul_lo_u32 v31, v55, v6
	v_mul_lo_u32 v68, v54, v7
	v_mad_u64_u32 v[66:67], s[0:1], v54, v6, 0
	v_add3_u32 v67, v67, v68, v31
	v_lshl_add_u64 v[64:65], v[64:65], 3, v[8:9]
	v_lshl_add_u64 v[66:67], v[66:67], 3, v[8:9]
	s_mov_b64 s[20:21], 0
	v_mov_b64_e32 v[68:69], v[6:7]
                                        ; implicit-def: $sgpr22_sgpr23
                                        ; implicit-def: $sgpr24_sgpr25
                                        ; implicit-def: $sgpr2_sgpr3
                                        ; implicit-def: $sgpr26_sgpr27
                                        ; implicit-def: $sgpr28_sgpr29
	s_branch .LBB1616_601
.LBB1616_600:                           ;   in Loop: Header=BB1616_601 Depth=1
	s_or_b64 exec, exec, s[30:31]
	s_and_b64 s[0:1], exec, s[24:25]
	s_or_b64 s[20:21], s[0:1], s[20:21]
	s_andn2_b64 s[0:1], s[28:29], exec
	s_and_b64 s[4:5], s[26:27], exec
	s_or_b64 s[28:29], s[0:1], s[4:5]
	s_andn2_b64 s[0:1], s[22:23], exec
	s_and_b64 s[4:5], s[2:3], exec
	s_or_b64 s[22:23], s[0:1], s[4:5]
	s_andn2_b64 exec, exec, s[20:21]
	s_cbranch_execz .LBB1616_603
.LBB1616_601:                           ; =>This Inner Loop Header: Depth=1
	flat_load_dwordx2 v[70:71], v[66:67]
	flat_load_dwordx2 v[80:81], v[64:65]
	s_andn2_b64 s[30:31], s[2:3], exec
	s_andn2_b64 s[26:27], s[26:27], exec
	s_or_b64 s[24:25], s[24:25], exec
	s_waitcnt vmcnt(0) lgkmcnt(0)
	v_cmp_le_u64_e64 s[2:3], v[70:71], v[80:81]
	v_cmp_lt_u64_e64 s[0:1], v[70:71], v[80:81]
	s_and_b64 s[2:3], s[2:3], s[28:29]
	s_or_b64 s[34:35], s[0:1], s[2:3]
	s_and_b64 s[0:1], s[34:35], exec
	v_cmp_eq_u64_e64 s[4:5], v[70:71], v[80:81]
	s_or_b64 s[2:3], s[30:31], s[0:1]
	s_and_saveexec_b64 s[30:31], s[4:5]
	s_cbranch_execz .LBB1616_600
; %bb.602:                              ;   in Loop: Header=BB1616_601 Depth=1
	v_lshl_add_u64 v[68:69], v[68:69], 0, -1
	v_cmp_eq_u64_e64 s[0:1], 0, v[68:69]
	s_andn2_b64 s[4:5], s[26:27], exec
	s_and_b64 s[26:27], s[34:35], exec
	s_or_b64 s[26:27], s[4:5], s[26:27]
	s_andn2_b64 s[4:5], s[24:25], exec
	s_and_b64 s[0:1], s[0:1], exec
	v_lshl_add_u64 v[64:65], v[64:65], 0, 8
	v_lshl_add_u64 v[66:67], v[66:67], 0, 8
	s_andn2_b64 s[2:3], s[2:3], exec
	s_or_b64 s[24:25], s[4:5], s[0:1]
                                        ; implicit-def: $sgpr28_sgpr29
	s_branch .LBB1616_600
.LBB1616_603:
	s_or_b64 exec, exec, s[20:21]
	v_cndmask_b32_e64 v3, v3, v55, s[22:23]
	v_cndmask_b32_e64 v2, v2, v54, s[22:23]
.LBB1616_604:
	s_or_b64 exec, exec, s[18:19]
	v_mov_b64_e32 v[54:55], v[2:3]
.LBB1616_605:
	s_or_b64 exec, exec, s[16:17]
	v_mov_b64_e32 v[2:3], v[54:55]
.LBB1616_606:
	s_or_b64 exec, exec, s[14:15]
.LBB1616_607:
	s_or_b64 exec, exec, s[10:11]
	v_lshlrev_b32_e32 v54, 3, v30
	v_mov_b32_e32 v55, 0
	v_lshl_add_u64 v[64:65], v[10:11], 0, v[54:55]
	v_lshlrev_b64 v[66:67], 3, v[6:7]
	s_movk_i32 s50, 0x80
	; wave barrier
	s_waitcnt lgkmcnt(0)
	s_barrier
.LBB1616_608:                           ; =>This Loop Header: Depth=1
                                        ;     Child Loop BB1616_612 Depth 2
                                        ;       Child Loop BB1616_615 Depth 3
                                        ;     Child Loop BB1616_627 Depth 2
                                        ;     Child Loop BB1616_636 Depth 2
	;; [unrolled: 1-line block ×8, first 2 shown]
	s_lshl_b32 s51, s50, 1
	s_sub_i32 s1, 0, s51
	v_and_b32_e32 v97, s1, v30
	v_add_u32_e32 v31, s50, v97
	v_min_u32_e32 v31, 0x800, v31
	s_add_i32 s0, s51, -1
	v_add_u32_e32 v54, s50, v31
	v_min_u32_e32 v96, 0x800, v54
	v_and_b32_e32 v54, s0, v30
	v_min_u32_e32 v98, 0x800, v54
	v_sub_u32_e32 v54, v31, v97
	v_sub_u32_e32 v68, v96, v31
	v_sub_u32_e64 v99, v98, v68 clamp
	v_min_u32_e32 v100, v98, v54
	v_cmp_lt_u32_e64 s[0:1], v99, v100
	flat_store_dwordx4 v[64:65], v[20:23]
	flat_store_dwordx4 v[64:65], v[16:19] offset:16
	flat_store_dwordx4 v[64:65], v[12:15] offset:32
	;; [unrolled: 1-line block ×3, first 2 shown]
	s_waitcnt lgkmcnt(0)
	s_barrier
	s_and_saveexec_b64 s[10:11], s[0:1]
	s_cbranch_execz .LBB1616_618
; %bb.609:                              ;   in Loop: Header=BB1616_608 Depth=1
	v_lshlrev_b32_e32 v54, 3, v97
	v_lshl_add_u64 v[68:69], v[10:11], 0, v[54:55]
	v_lshlrev_b32_e32 v54, 3, v31
	v_lshl_add_u64 v[70:71], v[10:11], 0, v[54:55]
	s_mov_b64 s[14:15], 0
	s_branch .LBB1616_612
.LBB1616_610:                           ;   in Loop: Header=BB1616_612 Depth=2
	s_or_b64 exec, exec, s[18:19]
	s_and_b64 s[0:1], s[20:21], exec
.LBB1616_611:                           ;   in Loop: Header=BB1616_612 Depth=2
	s_or_b64 exec, exec, s[16:17]
	v_add_u32_e32 v54, 1, v80
	v_cndmask_b32_e64 v100, v100, v80, s[0:1]
	v_cndmask_b32_e64 v99, v54, v99, s[0:1]
	v_cmp_ge_u32_e64 s[0:1], v99, v100
	s_or_b64 s[14:15], s[0:1], s[14:15]
	s_andn2_b64 exec, exec, s[14:15]
	s_cbranch_execz .LBB1616_617
.LBB1616_612:                           ;   Parent Loop BB1616_608 Depth=1
                                        ; =>  This Loop Header: Depth=2
                                        ;       Child Loop BB1616_615 Depth 3
	v_add_u32_e32 v54, v100, v99
	v_lshrrev_b32_e32 v80, 1, v54
	s_mov_b64 s[0:1], 0
	s_and_saveexec_b64 s[16:17], vcc
	s_cbranch_execz .LBB1616_611
; %bb.613:                              ;   in Loop: Header=BB1616_612 Depth=2
	v_mov_b32_e32 v81, v55
	v_xad_u32 v54, v80, -1, v98
	v_lshl_add_u64 v[82:83], v[80:81], 3, v[68:69]
	v_lshl_add_u64 v[84:85], v[54:55], 3, v[70:71]
	flat_load_dwordx2 v[82:83], v[82:83]
	s_mov_b64 s[18:19], 0
	flat_load_dwordx2 v[84:85], v[84:85]
                                        ; implicit-def: $sgpr20_sgpr21
                                        ; implicit-def: $sgpr22_sgpr23
                                        ; implicit-def: $sgpr24_sgpr25
                                        ; implicit-def: $sgpr2_sgpr3
                                        ; implicit-def: $sgpr26_sgpr27
	s_waitcnt vmcnt(0) lgkmcnt(0)
	v_mul_lo_u32 v54, v66, v83
	v_mul_lo_u32 v81, v67, v82
	v_mad_u64_u32 v[82:83], s[0:1], v66, v82, v[8:9]
	v_mul_lo_u32 v86, v66, v85
	v_mul_lo_u32 v87, v67, v84
	v_mad_u64_u32 v[84:85], s[0:1], v66, v84, v[8:9]
	v_add3_u32 v83, v81, v83, v54
	v_add3_u32 v85, v87, v85, v86
	v_mov_b64_e32 v[86:87], v[6:7]
	s_branch .LBB1616_615
.LBB1616_614:                           ;   in Loop: Header=BB1616_615 Depth=3
	s_or_b64 exec, exec, s[28:29]
	s_and_b64 s[0:1], exec, s[22:23]
	s_or_b64 s[18:19], s[0:1], s[18:19]
	s_andn2_b64 s[0:1], s[26:27], exec
	s_and_b64 s[4:5], s[24:25], exec
	s_or_b64 s[26:27], s[0:1], s[4:5]
	s_andn2_b64 s[0:1], s[20:21], exec
	s_and_b64 s[4:5], s[2:3], exec
	s_or_b64 s[20:21], s[0:1], s[4:5]
	s_andn2_b64 exec, exec, s[18:19]
	s_cbranch_execz .LBB1616_610
.LBB1616_615:                           ;   Parent Loop BB1616_608 Depth=1
                                        ;     Parent Loop BB1616_612 Depth=2
                                        ; =>    This Inner Loop Header: Depth=3
	flat_load_dwordx2 v[102:103], v[84:85]
	flat_load_dwordx2 v[112:113], v[82:83]
	s_andn2_b64 s[28:29], s[2:3], exec
	s_andn2_b64 s[24:25], s[24:25], exec
	s_or_b64 s[22:23], s[22:23], exec
	s_waitcnt vmcnt(0) lgkmcnt(0)
	v_cmp_le_u64_e64 s[2:3], v[102:103], v[112:113]
	v_cmp_lt_u64_e64 s[0:1], v[102:103], v[112:113]
	s_and_b64 s[2:3], s[2:3], s[26:27]
	s_or_b64 s[30:31], s[0:1], s[2:3]
	s_and_b64 s[0:1], s[30:31], exec
	v_cmp_eq_u64_e64 s[4:5], v[102:103], v[112:113]
	s_or_b64 s[2:3], s[28:29], s[0:1]
	s_and_saveexec_b64 s[28:29], s[4:5]
	s_cbranch_execz .LBB1616_614
; %bb.616:                              ;   in Loop: Header=BB1616_615 Depth=3
	v_lshl_add_u64 v[86:87], v[86:87], 0, -1
	v_cmp_eq_u64_e64 s[0:1], 0, v[86:87]
	s_andn2_b64 s[4:5], s[24:25], exec
	s_and_b64 s[24:25], s[30:31], exec
	s_or_b64 s[24:25], s[4:5], s[24:25]
	s_andn2_b64 s[4:5], s[22:23], exec
	s_and_b64 s[0:1], s[0:1], exec
	v_lshl_add_u64 v[82:83], v[82:83], 0, 8
	v_lshl_add_u64 v[84:85], v[84:85], 0, 8
	s_andn2_b64 s[2:3], s[2:3], exec
	s_or_b64 s[22:23], s[4:5], s[0:1]
                                        ; implicit-def: $sgpr26_sgpr27
	s_branch .LBB1616_614
.LBB1616_617:                           ;   in Loop: Header=BB1616_608 Depth=1
	s_or_b64 exec, exec, s[14:15]
.LBB1616_618:                           ;   in Loop: Header=BB1616_608 Depth=1
	s_or_b64 exec, exec, s[10:11]
	v_sub_u32_e32 v54, v98, v99
	v_add_u32_e32 v68, v99, v97
	v_add_u32_e32 v70, v54, v31
	v_cmp_le_u32_e64 s[0:1], v68, v31
	v_cmp_le_u32_e64 s[2:3], v70, v96
	s_or_b64 s[0:1], s[0:1], s[2:3]
	s_and_saveexec_b64 s[10:11], s[0:1]
	s_cbranch_execz .LBB1616_702
; %bb.619:                              ;   in Loop: Header=BB1616_608 Depth=1
	v_cmp_ge_u32_e64 s[0:1], v68, v31
	v_cmp_lt_u32_e64 s[2:3], v68, v31
                                        ; implicit-def: $vgpr0_vgpr1
	s_and_saveexec_b64 s[4:5], s[2:3]
	s_cbranch_execz .LBB1616_621
; %bb.620:                              ;   in Loop: Header=BB1616_608 Depth=1
	v_mov_b32_e32 v69, v55
	v_lshl_add_u64 v[0:1], v[68:69], 3, v[10:11]
	flat_load_dwordx2 v[0:1], v[0:1]
.LBB1616_621:                           ;   in Loop: Header=BB1616_608 Depth=1
	s_or_b64 exec, exec, s[4:5]
	v_cmp_ge_u32_e64 s[14:15], v70, v96
	v_cmp_lt_u32_e64 s[2:3], v70, v96
                                        ; implicit-def: $vgpr20_vgpr21
	s_and_saveexec_b64 s[4:5], s[2:3]
	s_cbranch_execz .LBB1616_623
; %bb.622:                              ;   in Loop: Header=BB1616_608 Depth=1
	v_mov_b32_e32 v71, v55
	v_lshl_add_u64 v[2:3], v[70:71], 3, v[10:11]
	flat_load_dwordx2 v[20:21], v[2:3]
.LBB1616_623:                           ;   in Loop: Header=BB1616_608 Depth=1
	s_or_b64 exec, exec, s[4:5]
	s_or_b64 s[0:1], s[0:1], s[14:15]
	s_xor_b64 s[0:1], s[0:1], -1
	s_and_saveexec_b64 s[16:17], s[0:1]
	s_cbranch_execz .LBB1616_631
; %bb.624:                              ;   in Loop: Header=BB1616_608 Depth=1
	s_mov_b64 s[0:1], 0
	s_and_saveexec_b64 s[18:19], vcc
	s_cbranch_execz .LBB1616_630
; %bb.625:                              ;   in Loop: Header=BB1616_608 Depth=1
	s_waitcnt vmcnt(0) lgkmcnt(0)
	v_mad_u64_u32 v[2:3], s[0:1], v66, v0, v[8:9]
	v_mul_lo_u32 v12, v66, v1
	v_mul_lo_u32 v13, v67, v0
	v_add3_u32 v3, v13, v3, v12
	v_mad_u64_u32 v[12:13], s[0:1], v66, v20, v[8:9]
	v_mul_lo_u32 v14, v66, v21
	v_mul_lo_u32 v15, v67, v20
	v_add3_u32 v13, v15, v13, v14
	s_mov_b64 s[20:21], 0
	v_mov_b64_e32 v[14:15], v[6:7]
                                        ; implicit-def: $sgpr22_sgpr23
                                        ; implicit-def: $sgpr24_sgpr25
                                        ; implicit-def: $sgpr26_sgpr27
                                        ; implicit-def: $sgpr2_sgpr3
                                        ; implicit-def: $sgpr28_sgpr29
	s_branch .LBB1616_627
.LBB1616_626:                           ;   in Loop: Header=BB1616_627 Depth=2
	s_or_b64 exec, exec, s[30:31]
	s_and_b64 s[0:1], exec, s[24:25]
	s_or_b64 s[20:21], s[0:1], s[20:21]
	s_andn2_b64 s[0:1], s[28:29], exec
	s_and_b64 s[4:5], s[26:27], exec
	s_or_b64 s[28:29], s[0:1], s[4:5]
	s_andn2_b64 s[0:1], s[22:23], exec
	s_and_b64 s[4:5], s[2:3], exec
	s_or_b64 s[22:23], s[0:1], s[4:5]
	s_andn2_b64 exec, exec, s[20:21]
	s_cbranch_execz .LBB1616_629
.LBB1616_627:                           ;   Parent Loop BB1616_608 Depth=1
                                        ; =>  This Inner Loop Header: Depth=2
	flat_load_dwordx2 v[16:17], v[12:13]
	flat_load_dwordx2 v[18:19], v[2:3]
	s_andn2_b64 s[30:31], s[2:3], exec
	s_andn2_b64 s[26:27], s[26:27], exec
	s_or_b64 s[24:25], s[24:25], exec
	s_waitcnt vmcnt(0) lgkmcnt(0)
	v_cmp_le_u64_e64 s[2:3], v[16:17], v[18:19]
	v_cmp_lt_u64_e64 s[0:1], v[16:17], v[18:19]
	s_and_b64 s[2:3], s[2:3], s[28:29]
	s_or_b64 s[34:35], s[0:1], s[2:3]
	s_and_b64 s[0:1], s[34:35], exec
	v_cmp_eq_u64_e64 s[4:5], v[16:17], v[18:19]
	s_or_b64 s[2:3], s[30:31], s[0:1]
	s_and_saveexec_b64 s[30:31], s[4:5]
	s_cbranch_execz .LBB1616_626
; %bb.628:                              ;   in Loop: Header=BB1616_627 Depth=2
	v_lshl_add_u64 v[14:15], v[14:15], 0, -1
	v_cmp_eq_u64_e64 s[0:1], 0, v[14:15]
	s_andn2_b64 s[4:5], s[26:27], exec
	s_and_b64 s[26:27], s[34:35], exec
	s_or_b64 s[26:27], s[4:5], s[26:27]
	s_andn2_b64 s[4:5], s[24:25], exec
	s_and_b64 s[0:1], s[0:1], exec
	v_lshl_add_u64 v[2:3], v[2:3], 0, 8
	v_lshl_add_u64 v[12:13], v[12:13], 0, 8
	s_andn2_b64 s[2:3], s[2:3], exec
	s_or_b64 s[24:25], s[4:5], s[0:1]
                                        ; implicit-def: $sgpr28_sgpr29
	s_branch .LBB1616_626
.LBB1616_629:                           ;   in Loop: Header=BB1616_608 Depth=1
	s_or_b64 exec, exec, s[20:21]
	s_and_b64 s[0:1], s[22:23], exec
.LBB1616_630:                           ;   in Loop: Header=BB1616_608 Depth=1
	s_or_b64 exec, exec, s[18:19]
	s_xor_b64 s[0:1], s[0:1], -1
	s_andn2_b64 s[2:3], s[14:15], exec
	s_and_b64 s[0:1], s[0:1], exec
	s_or_b64 s[14:15], s[2:3], s[0:1]
.LBB1616_631:                           ;   in Loop: Header=BB1616_608 Depth=1
	s_or_b64 exec, exec, s[16:17]
	v_cndmask_b32_e64 v2, v70, v68, s[14:15]
	v_cndmask_b32_e64 v3, v96, v31, s[14:15]
	v_add_u32_e32 v12, 1, v2
	v_add_u32_e32 v2, -1, v3
	v_min_u32_e32 v54, v12, v2
	v_lshl_add_u64 v[2:3], v[54:55], 3, v[10:11]
	flat_load_dwordx2 v[2:3], v[2:3]
	v_cndmask_b32_e64 v16, v12, v70, s[14:15]
	s_mov_b64 s[16:17], -1
	v_cndmask_b32_e64 v17, v68, v12, s[14:15]
	v_cmp_lt_u32_e64 s[0:1], v16, v96
	s_mov_b64 s[18:19], -1
	s_waitcnt vmcnt(0) lgkmcnt(0)
	v_cndmask_b32_e64 v22, v3, v21, s[14:15]
	v_cndmask_b32_e64 v68, v2, v20, s[14:15]
	;; [unrolled: 1-line block ×4, first 2 shown]
	s_and_saveexec_b64 s[20:21], s[0:1]
	s_cbranch_execz .LBB1616_641
; %bb.632:                              ;   in Loop: Header=BB1616_608 Depth=1
	v_cmp_lt_u32_e64 s[0:1], v17, v31
	s_mov_b64 s[2:3], 0
	s_and_saveexec_b64 s[18:19], s[0:1]
	s_cbranch_execz .LBB1616_640
; %bb.633:                              ;   in Loop: Header=BB1616_608 Depth=1
	s_mov_b64 s[0:1], 0
	s_and_saveexec_b64 s[22:23], vcc
	s_cbranch_execz .LBB1616_639
; %bb.634:                              ;   in Loop: Header=BB1616_608 Depth=1
	v_mad_u64_u32 v[2:3], s[0:1], v66, v69, v[8:9]
	v_mul_lo_u32 v12, v66, v23
	v_mul_lo_u32 v13, v67, v69
	v_add3_u32 v3, v13, v3, v12
	v_mad_u64_u32 v[12:13], s[0:1], v66, v68, v[8:9]
	v_mul_lo_u32 v14, v66, v22
	v_mul_lo_u32 v15, v67, v68
	v_add3_u32 v13, v15, v13, v14
	s_mov_b64 s[24:25], 0
	v_mov_b64_e32 v[14:15], v[6:7]
                                        ; implicit-def: $sgpr26_sgpr27
                                        ; implicit-def: $sgpr28_sgpr29
                                        ; implicit-def: $sgpr30_sgpr31
                                        ; implicit-def: $sgpr2_sgpr3
                                        ; implicit-def: $sgpr34_sgpr35
	s_branch .LBB1616_636
.LBB1616_635:                           ;   in Loop: Header=BB1616_636 Depth=2
	s_or_b64 exec, exec, s[36:37]
	s_and_b64 s[0:1], exec, s[28:29]
	s_or_b64 s[24:25], s[0:1], s[24:25]
	s_andn2_b64 s[0:1], s[34:35], exec
	s_and_b64 s[4:5], s[30:31], exec
	s_or_b64 s[34:35], s[0:1], s[4:5]
	s_andn2_b64 s[0:1], s[26:27], exec
	s_and_b64 s[4:5], s[2:3], exec
	s_or_b64 s[26:27], s[0:1], s[4:5]
	s_andn2_b64 exec, exec, s[24:25]
	s_cbranch_execz .LBB1616_638
.LBB1616_636:                           ;   Parent Loop BB1616_608 Depth=1
                                        ; =>  This Inner Loop Header: Depth=2
	flat_load_dwordx2 v[18:19], v[12:13]
	flat_load_dwordx2 v[70:71], v[2:3]
	s_andn2_b64 s[36:37], s[2:3], exec
	s_andn2_b64 s[30:31], s[30:31], exec
	s_or_b64 s[28:29], s[28:29], exec
	s_waitcnt vmcnt(0) lgkmcnt(0)
	v_cmp_le_u64_e64 s[2:3], v[18:19], v[70:71]
	v_cmp_lt_u64_e64 s[0:1], v[18:19], v[70:71]
	s_and_b64 s[2:3], s[2:3], s[34:35]
	s_or_b64 s[38:39], s[0:1], s[2:3]
	s_and_b64 s[0:1], s[38:39], exec
	v_cmp_eq_u64_e64 s[4:5], v[18:19], v[70:71]
	s_or_b64 s[2:3], s[36:37], s[0:1]
	s_and_saveexec_b64 s[36:37], s[4:5]
	s_cbranch_execz .LBB1616_635
; %bb.637:                              ;   in Loop: Header=BB1616_636 Depth=2
	v_lshl_add_u64 v[14:15], v[14:15], 0, -1
	v_cmp_eq_u64_e64 s[0:1], 0, v[14:15]
	s_andn2_b64 s[4:5], s[30:31], exec
	s_and_b64 s[30:31], s[38:39], exec
	s_or_b64 s[30:31], s[4:5], s[30:31]
	s_andn2_b64 s[4:5], s[28:29], exec
	s_and_b64 s[0:1], s[0:1], exec
	v_lshl_add_u64 v[2:3], v[2:3], 0, 8
	v_lshl_add_u64 v[12:13], v[12:13], 0, 8
	s_andn2_b64 s[2:3], s[2:3], exec
	s_or_b64 s[28:29], s[4:5], s[0:1]
                                        ; implicit-def: $sgpr34_sgpr35
	s_branch .LBB1616_635
.LBB1616_638:                           ;   in Loop: Header=BB1616_608 Depth=1
	s_or_b64 exec, exec, s[24:25]
	s_and_b64 s[0:1], s[26:27], exec
.LBB1616_639:                           ;   in Loop: Header=BB1616_608 Depth=1
	s_or_b64 exec, exec, s[22:23]
	s_xor_b64 s[0:1], s[0:1], -1
	s_and_b64 s[2:3], s[0:1], exec
.LBB1616_640:                           ;   in Loop: Header=BB1616_608 Depth=1
	s_or_b64 exec, exec, s[18:19]
	s_orn2_b64 s[18:19], s[2:3], exec
.LBB1616_641:                           ;   in Loop: Header=BB1616_608 Depth=1
	s_or_b64 exec, exec, s[20:21]
	v_cndmask_b32_e64 v2, v16, v17, s[18:19]
	v_cndmask_b32_e64 v3, v96, v31, s[18:19]
	v_add_u32_e32 v12, 1, v2
	v_add_u32_e32 v2, -1, v3
	v_min_u32_e32 v54, v12, v2
	v_lshl_add_u64 v[2:3], v[54:55], 3, v[10:11]
	flat_load_dwordx2 v[2:3], v[2:3]
	v_cndmask_b32_e64 v16, v12, v16, s[18:19]
	v_cndmask_b32_e64 v17, v17, v12, s[18:19]
	v_cmp_lt_u32_e64 s[0:1], v16, v96
	s_waitcnt vmcnt(0) lgkmcnt(0)
	v_cndmask_b32_e64 v70, v3, v22, s[18:19]
	v_cndmask_b32_e64 v71, v2, v68, s[18:19]
	;; [unrolled: 1-line block ×4, first 2 shown]
	s_and_saveexec_b64 s[20:21], s[0:1]
	s_cbranch_execz .LBB1616_651
; %bb.642:                              ;   in Loop: Header=BB1616_608 Depth=1
	v_cmp_lt_u32_e64 s[0:1], v17, v31
	s_mov_b64 s[2:3], 0
	s_and_saveexec_b64 s[16:17], s[0:1]
	s_cbranch_execz .LBB1616_650
; %bb.643:                              ;   in Loop: Header=BB1616_608 Depth=1
	s_mov_b64 s[0:1], 0
	s_and_saveexec_b64 s[22:23], vcc
	s_cbranch_execz .LBB1616_649
; %bb.644:                              ;   in Loop: Header=BB1616_608 Depth=1
	v_mad_u64_u32 v[2:3], s[0:1], v66, v81, v[8:9]
	v_mul_lo_u32 v12, v66, v80
	v_mul_lo_u32 v13, v67, v81
	v_add3_u32 v3, v13, v3, v12
	v_mad_u64_u32 v[12:13], s[0:1], v66, v71, v[8:9]
	v_mul_lo_u32 v14, v66, v70
	v_mul_lo_u32 v15, v67, v71
	v_add3_u32 v13, v15, v13, v14
	s_mov_b64 s[24:25], 0
	v_mov_b64_e32 v[14:15], v[6:7]
                                        ; implicit-def: $sgpr26_sgpr27
                                        ; implicit-def: $sgpr28_sgpr29
                                        ; implicit-def: $sgpr30_sgpr31
                                        ; implicit-def: $sgpr2_sgpr3
                                        ; implicit-def: $sgpr34_sgpr35
	s_branch .LBB1616_646
.LBB1616_645:                           ;   in Loop: Header=BB1616_646 Depth=2
	s_or_b64 exec, exec, s[36:37]
	s_and_b64 s[0:1], exec, s[28:29]
	s_or_b64 s[24:25], s[0:1], s[24:25]
	s_andn2_b64 s[0:1], s[34:35], exec
	s_and_b64 s[4:5], s[30:31], exec
	s_or_b64 s[34:35], s[0:1], s[4:5]
	s_andn2_b64 s[0:1], s[26:27], exec
	s_and_b64 s[4:5], s[2:3], exec
	s_or_b64 s[26:27], s[0:1], s[4:5]
	s_andn2_b64 exec, exec, s[24:25]
	s_cbranch_execz .LBB1616_648
.LBB1616_646:                           ;   Parent Loop BB1616_608 Depth=1
                                        ; =>  This Inner Loop Header: Depth=2
	flat_load_dwordx2 v[18:19], v[12:13]
	flat_load_dwordx2 v[82:83], v[2:3]
	s_andn2_b64 s[36:37], s[2:3], exec
	s_andn2_b64 s[30:31], s[30:31], exec
	s_or_b64 s[28:29], s[28:29], exec
	s_waitcnt vmcnt(0) lgkmcnt(0)
	v_cmp_le_u64_e64 s[2:3], v[18:19], v[82:83]
	v_cmp_lt_u64_e64 s[0:1], v[18:19], v[82:83]
	s_and_b64 s[2:3], s[2:3], s[34:35]
	s_or_b64 s[38:39], s[0:1], s[2:3]
	s_and_b64 s[0:1], s[38:39], exec
	v_cmp_eq_u64_e64 s[4:5], v[18:19], v[82:83]
	s_or_b64 s[2:3], s[36:37], s[0:1]
	s_and_saveexec_b64 s[36:37], s[4:5]
	s_cbranch_execz .LBB1616_645
; %bb.647:                              ;   in Loop: Header=BB1616_646 Depth=2
	v_lshl_add_u64 v[14:15], v[14:15], 0, -1
	v_cmp_eq_u64_e64 s[0:1], 0, v[14:15]
	s_andn2_b64 s[4:5], s[30:31], exec
	s_and_b64 s[30:31], s[38:39], exec
	s_or_b64 s[30:31], s[4:5], s[30:31]
	s_andn2_b64 s[4:5], s[28:29], exec
	s_and_b64 s[0:1], s[0:1], exec
	v_lshl_add_u64 v[2:3], v[2:3], 0, 8
	v_lshl_add_u64 v[12:13], v[12:13], 0, 8
	s_andn2_b64 s[2:3], s[2:3], exec
	s_or_b64 s[28:29], s[4:5], s[0:1]
                                        ; implicit-def: $sgpr34_sgpr35
	s_branch .LBB1616_645
.LBB1616_648:                           ;   in Loop: Header=BB1616_608 Depth=1
	s_or_b64 exec, exec, s[24:25]
	s_and_b64 s[0:1], s[26:27], exec
.LBB1616_649:                           ;   in Loop: Header=BB1616_608 Depth=1
	s_or_b64 exec, exec, s[22:23]
	s_xor_b64 s[0:1], s[0:1], -1
	s_and_b64 s[2:3], s[0:1], exec
.LBB1616_650:                           ;   in Loop: Header=BB1616_608 Depth=1
	s_or_b64 exec, exec, s[16:17]
	s_orn2_b64 s[16:17], s[2:3], exec
.LBB1616_651:                           ;   in Loop: Header=BB1616_608 Depth=1
	s_or_b64 exec, exec, s[20:21]
	v_cndmask_b32_e64 v2, v16, v17, s[16:17]
	v_cndmask_b32_e64 v3, v96, v31, s[16:17]
	v_add_u32_e32 v12, 1, v2
	v_add_u32_e32 v2, -1, v3
	v_min_u32_e32 v54, v12, v2
	v_lshl_add_u64 v[2:3], v[54:55], 3, v[10:11]
	flat_load_dwordx2 v[2:3], v[2:3]
	v_cndmask_b32_e64 v16, v12, v16, s[16:17]
	s_mov_b64 s[20:21], -1
	v_cndmask_b32_e64 v17, v17, v12, s[16:17]
	v_cmp_lt_u32_e64 s[0:1], v16, v96
	s_mov_b64 s[22:23], -1
	s_waitcnt vmcnt(0) lgkmcnt(0)
	v_cndmask_b32_e64 v82, v3, v70, s[16:17]
	v_cndmask_b32_e64 v83, v2, v71, s[16:17]
	;; [unrolled: 1-line block ×4, first 2 shown]
	s_and_saveexec_b64 s[24:25], s[0:1]
	s_cbranch_execz .LBB1616_661
; %bb.652:                              ;   in Loop: Header=BB1616_608 Depth=1
	v_cmp_lt_u32_e64 s[0:1], v17, v31
	s_mov_b64 s[2:3], 0
	s_and_saveexec_b64 s[22:23], s[0:1]
	s_cbranch_execz .LBB1616_660
; %bb.653:                              ;   in Loop: Header=BB1616_608 Depth=1
	s_mov_b64 s[0:1], -1
	s_and_saveexec_b64 s[26:27], vcc
	s_cbranch_execz .LBB1616_659
; %bb.654:                              ;   in Loop: Header=BB1616_608 Depth=1
	v_mad_u64_u32 v[2:3], s[0:1], v66, v85, v[8:9]
	v_mul_lo_u32 v12, v66, v84
	v_mul_lo_u32 v13, v67, v85
	v_add3_u32 v3, v13, v3, v12
	v_mad_u64_u32 v[12:13], s[0:1], v66, v83, v[8:9]
	v_mul_lo_u32 v14, v66, v82
	v_mul_lo_u32 v15, v67, v83
	v_add3_u32 v13, v15, v13, v14
	s_mov_b64 s[28:29], 0
	v_mov_b64_e32 v[14:15], v[6:7]
                                        ; implicit-def: $sgpr30_sgpr31
                                        ; implicit-def: $sgpr34_sgpr35
                                        ; implicit-def: $sgpr2_sgpr3
                                        ; implicit-def: $sgpr36_sgpr37
                                        ; implicit-def: $sgpr38_sgpr39
	s_branch .LBB1616_656
.LBB1616_655:                           ;   in Loop: Header=BB1616_656 Depth=2
	s_or_b64 exec, exec, s[40:41]
	s_and_b64 s[0:1], exec, s[34:35]
	s_or_b64 s[28:29], s[0:1], s[28:29]
	s_andn2_b64 s[0:1], s[38:39], exec
	s_and_b64 s[4:5], s[36:37], exec
	s_or_b64 s[38:39], s[0:1], s[4:5]
	s_andn2_b64 s[0:1], s[30:31], exec
	s_and_b64 s[4:5], s[2:3], exec
	s_or_b64 s[30:31], s[0:1], s[4:5]
	s_andn2_b64 exec, exec, s[28:29]
	s_cbranch_execz .LBB1616_658
.LBB1616_656:                           ;   Parent Loop BB1616_608 Depth=1
                                        ; =>  This Inner Loop Header: Depth=2
	flat_load_dwordx2 v[18:19], v[12:13]
	flat_load_dwordx2 v[86:87], v[2:3]
	s_andn2_b64 s[40:41], s[2:3], exec
	s_andn2_b64 s[36:37], s[36:37], exec
	s_or_b64 s[34:35], s[34:35], exec
	s_waitcnt vmcnt(0) lgkmcnt(0)
	v_cmp_le_u64_e64 s[2:3], v[18:19], v[86:87]
	v_cmp_lt_u64_e64 s[0:1], v[18:19], v[86:87]
	s_and_b64 s[2:3], s[2:3], s[38:39]
	s_or_b64 s[42:43], s[0:1], s[2:3]
	s_and_b64 s[0:1], s[42:43], exec
	v_cmp_eq_u64_e64 s[4:5], v[18:19], v[86:87]
	s_or_b64 s[2:3], s[40:41], s[0:1]
	s_and_saveexec_b64 s[40:41], s[4:5]
	s_cbranch_execz .LBB1616_655
; %bb.657:                              ;   in Loop: Header=BB1616_656 Depth=2
	v_lshl_add_u64 v[14:15], v[14:15], 0, -1
	v_cmp_eq_u64_e64 s[0:1], 0, v[14:15]
	s_andn2_b64 s[4:5], s[36:37], exec
	s_and_b64 s[36:37], s[42:43], exec
	s_or_b64 s[36:37], s[4:5], s[36:37]
	s_andn2_b64 s[4:5], s[34:35], exec
	s_and_b64 s[0:1], s[0:1], exec
	v_lshl_add_u64 v[2:3], v[2:3], 0, 8
	v_lshl_add_u64 v[12:13], v[12:13], 0, 8
	s_andn2_b64 s[2:3], s[2:3], exec
	s_or_b64 s[34:35], s[4:5], s[0:1]
                                        ; implicit-def: $sgpr38_sgpr39
	s_branch .LBB1616_655
.LBB1616_658:                           ;   in Loop: Header=BB1616_608 Depth=1
	s_or_b64 exec, exec, s[28:29]
	s_xor_b64 s[0:1], s[30:31], -1
	s_orn2_b64 s[0:1], s[0:1], exec
.LBB1616_659:                           ;   in Loop: Header=BB1616_608 Depth=1
	s_or_b64 exec, exec, s[26:27]
	s_and_b64 s[2:3], s[0:1], exec
.LBB1616_660:                           ;   in Loop: Header=BB1616_608 Depth=1
	s_or_b64 exec, exec, s[22:23]
	s_orn2_b64 s[22:23], s[2:3], exec
.LBB1616_661:                           ;   in Loop: Header=BB1616_608 Depth=1
	s_or_b64 exec, exec, s[24:25]
	v_cndmask_b32_e64 v2, v16, v17, s[22:23]
	v_cndmask_b32_e64 v3, v96, v31, s[22:23]
	v_add_u32_e32 v12, 1, v2
	v_add_u32_e32 v2, -1, v3
	v_min_u32_e32 v54, v12, v2
	v_lshl_add_u64 v[2:3], v[54:55], 3, v[10:11]
	flat_load_dwordx2 v[2:3], v[2:3]
	v_cndmask_b32_e64 v16, v12, v16, s[22:23]
	v_cndmask_b32_e64 v17, v17, v12, s[22:23]
	v_cmp_lt_u32_e64 s[0:1], v16, v96
	s_waitcnt vmcnt(0) lgkmcnt(0)
	v_cndmask_b32_e64 v86, v3, v82, s[22:23]
	v_cndmask_b32_e64 v87, v2, v83, s[22:23]
	;; [unrolled: 1-line block ×4, first 2 shown]
	s_and_saveexec_b64 s[24:25], s[0:1]
	s_cbranch_execz .LBB1616_671
; %bb.662:                              ;   in Loop: Header=BB1616_608 Depth=1
	v_cmp_lt_u32_e64 s[0:1], v17, v31
	s_mov_b64 s[2:3], 0
	s_and_saveexec_b64 s[20:21], s[0:1]
	s_cbranch_execz .LBB1616_670
; %bb.663:                              ;   in Loop: Header=BB1616_608 Depth=1
	s_mov_b64 s[0:1], -1
	s_and_saveexec_b64 s[26:27], vcc
	s_cbranch_execz .LBB1616_669
; %bb.664:                              ;   in Loop: Header=BB1616_608 Depth=1
	v_mad_u64_u32 v[2:3], s[0:1], v66, v98, v[8:9]
	v_mul_lo_u32 v12, v66, v97
	v_mul_lo_u32 v13, v67, v98
	v_add3_u32 v3, v13, v3, v12
	v_mad_u64_u32 v[12:13], s[0:1], v66, v87, v[8:9]
	v_mul_lo_u32 v14, v66, v86
	v_mul_lo_u32 v15, v67, v87
	v_add3_u32 v13, v15, v13, v14
	s_mov_b64 s[28:29], 0
	v_mov_b64_e32 v[14:15], v[6:7]
                                        ; implicit-def: $sgpr30_sgpr31
                                        ; implicit-def: $sgpr34_sgpr35
                                        ; implicit-def: $sgpr2_sgpr3
                                        ; implicit-def: $sgpr36_sgpr37
                                        ; implicit-def: $sgpr38_sgpr39
	s_branch .LBB1616_666
.LBB1616_665:                           ;   in Loop: Header=BB1616_666 Depth=2
	s_or_b64 exec, exec, s[40:41]
	s_and_b64 s[0:1], exec, s[34:35]
	s_or_b64 s[28:29], s[0:1], s[28:29]
	s_andn2_b64 s[0:1], s[38:39], exec
	s_and_b64 s[4:5], s[36:37], exec
	s_or_b64 s[38:39], s[0:1], s[4:5]
	s_andn2_b64 s[0:1], s[30:31], exec
	s_and_b64 s[4:5], s[2:3], exec
	s_or_b64 s[30:31], s[0:1], s[4:5]
	s_andn2_b64 exec, exec, s[28:29]
	s_cbranch_execz .LBB1616_668
.LBB1616_666:                           ;   Parent Loop BB1616_608 Depth=1
                                        ; =>  This Inner Loop Header: Depth=2
	flat_load_dwordx2 v[18:19], v[12:13]
	flat_load_dwordx2 v[100:101], v[2:3]
	s_andn2_b64 s[40:41], s[2:3], exec
	s_andn2_b64 s[36:37], s[36:37], exec
	s_or_b64 s[34:35], s[34:35], exec
	s_waitcnt vmcnt(0) lgkmcnt(0)
	v_cmp_le_u64_e64 s[2:3], v[18:19], v[100:101]
	v_cmp_lt_u64_e64 s[0:1], v[18:19], v[100:101]
	s_and_b64 s[2:3], s[2:3], s[38:39]
	s_or_b64 s[42:43], s[0:1], s[2:3]
	s_and_b64 s[0:1], s[42:43], exec
	v_cmp_eq_u64_e64 s[4:5], v[18:19], v[100:101]
	s_or_b64 s[2:3], s[40:41], s[0:1]
	s_and_saveexec_b64 s[40:41], s[4:5]
	s_cbranch_execz .LBB1616_665
; %bb.667:                              ;   in Loop: Header=BB1616_666 Depth=2
	v_lshl_add_u64 v[14:15], v[14:15], 0, -1
	v_cmp_eq_u64_e64 s[0:1], 0, v[14:15]
	s_andn2_b64 s[4:5], s[36:37], exec
	s_and_b64 s[36:37], s[42:43], exec
	s_or_b64 s[36:37], s[4:5], s[36:37]
	s_andn2_b64 s[4:5], s[34:35], exec
	s_and_b64 s[0:1], s[0:1], exec
	v_lshl_add_u64 v[2:3], v[2:3], 0, 8
	v_lshl_add_u64 v[12:13], v[12:13], 0, 8
	s_andn2_b64 s[2:3], s[2:3], exec
	s_or_b64 s[34:35], s[4:5], s[0:1]
                                        ; implicit-def: $sgpr38_sgpr39
	s_branch .LBB1616_665
.LBB1616_668:                           ;   in Loop: Header=BB1616_608 Depth=1
	s_or_b64 exec, exec, s[28:29]
	s_xor_b64 s[0:1], s[30:31], -1
	s_orn2_b64 s[0:1], s[0:1], exec
.LBB1616_669:                           ;   in Loop: Header=BB1616_608 Depth=1
	s_or_b64 exec, exec, s[26:27]
	s_and_b64 s[2:3], s[0:1], exec
.LBB1616_670:                           ;   in Loop: Header=BB1616_608 Depth=1
	s_or_b64 exec, exec, s[20:21]
	s_orn2_b64 s[20:21], s[2:3], exec
.LBB1616_671:                           ;   in Loop: Header=BB1616_608 Depth=1
	s_or_b64 exec, exec, s[24:25]
	v_cndmask_b32_e64 v2, v16, v17, s[20:21]
	v_cndmask_b32_e64 v3, v96, v31, s[20:21]
	v_add_u32_e32 v12, 1, v2
	v_add_u32_e32 v2, -1, v3
	v_min_u32_e32 v54, v12, v2
	v_lshl_add_u64 v[2:3], v[54:55], 3, v[10:11]
	flat_load_dwordx2 v[2:3], v[2:3]
	v_cndmask_b32_e64 v16, v12, v16, s[20:21]
	s_mov_b64 s[24:25], -1
	v_cndmask_b32_e64 v17, v17, v12, s[20:21]
	v_cmp_lt_u32_e64 s[0:1], v16, v96
	s_mov_b64 s[26:27], -1
	s_waitcnt vmcnt(0) lgkmcnt(0)
	v_cndmask_b32_e64 v99, v3, v86, s[20:21]
	v_cndmask_b32_e64 v100, v2, v87, s[20:21]
	;; [unrolled: 1-line block ×4, first 2 shown]
	s_and_saveexec_b64 s[28:29], s[0:1]
	s_cbranch_execz .LBB1616_681
; %bb.672:                              ;   in Loop: Header=BB1616_608 Depth=1
	v_cmp_lt_u32_e64 s[0:1], v17, v31
	s_mov_b64 s[2:3], 0
	s_and_saveexec_b64 s[26:27], s[0:1]
	s_cbranch_execz .LBB1616_680
; %bb.673:                              ;   in Loop: Header=BB1616_608 Depth=1
	s_mov_b64 s[0:1], -1
	s_and_saveexec_b64 s[30:31], vcc
	s_cbranch_execz .LBB1616_679
; %bb.674:                              ;   in Loop: Header=BB1616_608 Depth=1
	v_mad_u64_u32 v[2:3], s[0:1], v66, v102, v[8:9]
	v_mul_lo_u32 v12, v66, v101
	v_mul_lo_u32 v13, v67, v102
	v_add3_u32 v3, v13, v3, v12
	v_mad_u64_u32 v[12:13], s[0:1], v66, v100, v[8:9]
	v_mul_lo_u32 v14, v66, v99
	v_mul_lo_u32 v15, v67, v100
	v_add3_u32 v13, v15, v13, v14
	s_mov_b64 s[34:35], 0
	v_mov_b64_e32 v[14:15], v[6:7]
                                        ; implicit-def: $sgpr36_sgpr37
                                        ; implicit-def: $sgpr38_sgpr39
                                        ; implicit-def: $sgpr2_sgpr3
                                        ; implicit-def: $sgpr40_sgpr41
                                        ; implicit-def: $sgpr42_sgpr43
	s_branch .LBB1616_676
.LBB1616_675:                           ;   in Loop: Header=BB1616_676 Depth=2
	s_or_b64 exec, exec, s[44:45]
	s_and_b64 s[0:1], exec, s[38:39]
	s_or_b64 s[34:35], s[0:1], s[34:35]
	s_andn2_b64 s[0:1], s[42:43], exec
	s_and_b64 s[4:5], s[40:41], exec
	s_or_b64 s[42:43], s[0:1], s[4:5]
	s_andn2_b64 s[0:1], s[36:37], exec
	s_and_b64 s[4:5], s[2:3], exec
	s_or_b64 s[36:37], s[0:1], s[4:5]
	s_andn2_b64 exec, exec, s[34:35]
	s_cbranch_execz .LBB1616_678
.LBB1616_676:                           ;   Parent Loop BB1616_608 Depth=1
                                        ; =>  This Inner Loop Header: Depth=2
	flat_load_dwordx2 v[18:19], v[12:13]
	flat_load_dwordx2 v[112:113], v[2:3]
	s_andn2_b64 s[44:45], s[2:3], exec
	s_andn2_b64 s[40:41], s[40:41], exec
	s_or_b64 s[38:39], s[38:39], exec
	s_waitcnt vmcnt(0) lgkmcnt(0)
	v_cmp_le_u64_e64 s[2:3], v[18:19], v[112:113]
	v_cmp_lt_u64_e64 s[0:1], v[18:19], v[112:113]
	s_and_b64 s[2:3], s[2:3], s[42:43]
	s_or_b64 s[46:47], s[0:1], s[2:3]
	s_and_b64 s[0:1], s[46:47], exec
	v_cmp_eq_u64_e64 s[4:5], v[18:19], v[112:113]
	s_or_b64 s[2:3], s[44:45], s[0:1]
	s_and_saveexec_b64 s[44:45], s[4:5]
	s_cbranch_execz .LBB1616_675
; %bb.677:                              ;   in Loop: Header=BB1616_676 Depth=2
	v_lshl_add_u64 v[14:15], v[14:15], 0, -1
	v_cmp_eq_u64_e64 s[0:1], 0, v[14:15]
	s_andn2_b64 s[4:5], s[40:41], exec
	s_and_b64 s[40:41], s[46:47], exec
	s_or_b64 s[40:41], s[4:5], s[40:41]
	s_andn2_b64 s[4:5], s[38:39], exec
	s_and_b64 s[0:1], s[0:1], exec
	v_lshl_add_u64 v[2:3], v[2:3], 0, 8
	v_lshl_add_u64 v[12:13], v[12:13], 0, 8
	s_andn2_b64 s[2:3], s[2:3], exec
	s_or_b64 s[38:39], s[4:5], s[0:1]
                                        ; implicit-def: $sgpr42_sgpr43
	s_branch .LBB1616_675
.LBB1616_678:                           ;   in Loop: Header=BB1616_608 Depth=1
	s_or_b64 exec, exec, s[34:35]
	s_xor_b64 s[0:1], s[36:37], -1
	s_orn2_b64 s[0:1], s[0:1], exec
.LBB1616_679:                           ;   in Loop: Header=BB1616_608 Depth=1
	s_or_b64 exec, exec, s[30:31]
	s_and_b64 s[2:3], s[0:1], exec
.LBB1616_680:                           ;   in Loop: Header=BB1616_608 Depth=1
	s_or_b64 exec, exec, s[26:27]
	s_orn2_b64 s[26:27], s[2:3], exec
.LBB1616_681:                           ;   in Loop: Header=BB1616_608 Depth=1
	s_or_b64 exec, exec, s[28:29]
	v_cndmask_b32_e64 v2, v16, v17, s[26:27]
	v_cndmask_b32_e64 v3, v96, v31, s[26:27]
	v_add_u32_e32 v12, 1, v2
	v_add_u32_e32 v2, -1, v3
	v_min_u32_e32 v54, v12, v2
	v_lshl_add_u64 v[2:3], v[54:55], 3, v[10:11]
	flat_load_dwordx2 v[2:3], v[2:3]
	v_cndmask_b32_e64 v18, v12, v16, s[26:27]
	v_cndmask_b32_e64 v16, v17, v12, s[26:27]
	v_cmp_lt_u32_e64 s[0:1], v18, v96
	s_waitcnt vmcnt(0) lgkmcnt(0)
	v_cndmask_b32_e64 v103, v3, v99, s[26:27]
	v_cndmask_b32_e64 v112, v2, v100, s[26:27]
	;; [unrolled: 1-line block ×4, first 2 shown]
	s_and_saveexec_b64 s[28:29], s[0:1]
	s_cbranch_execz .LBB1616_691
; %bb.682:                              ;   in Loop: Header=BB1616_608 Depth=1
	v_cmp_lt_u32_e64 s[0:1], v16, v31
	s_mov_b64 s[2:3], 0
	s_and_saveexec_b64 s[24:25], s[0:1]
	s_cbranch_execz .LBB1616_690
; %bb.683:                              ;   in Loop: Header=BB1616_608 Depth=1
	s_mov_b64 s[0:1], -1
	s_and_saveexec_b64 s[30:31], vcc
	s_cbranch_execz .LBB1616_689
; %bb.684:                              ;   in Loop: Header=BB1616_608 Depth=1
	v_mad_u64_u32 v[2:3], s[0:1], v66, v114, v[8:9]
	v_mul_lo_u32 v12, v66, v113
	v_mul_lo_u32 v13, v67, v114
	v_add3_u32 v3, v13, v3, v12
	v_mad_u64_u32 v[12:13], s[0:1], v66, v112, v[8:9]
	v_mul_lo_u32 v14, v66, v103
	v_mul_lo_u32 v15, v67, v112
	v_add3_u32 v13, v15, v13, v14
	s_mov_b64 s[34:35], 0
	v_mov_b64_e32 v[14:15], v[6:7]
                                        ; implicit-def: $sgpr36_sgpr37
                                        ; implicit-def: $sgpr38_sgpr39
                                        ; implicit-def: $sgpr2_sgpr3
                                        ; implicit-def: $sgpr40_sgpr41
                                        ; implicit-def: $sgpr42_sgpr43
	s_branch .LBB1616_686
.LBB1616_685:                           ;   in Loop: Header=BB1616_686 Depth=2
	s_or_b64 exec, exec, s[44:45]
	s_and_b64 s[0:1], exec, s[38:39]
	s_or_b64 s[34:35], s[0:1], s[34:35]
	s_andn2_b64 s[0:1], s[42:43], exec
	s_and_b64 s[4:5], s[40:41], exec
	s_or_b64 s[42:43], s[0:1], s[4:5]
	s_andn2_b64 s[0:1], s[36:37], exec
	s_and_b64 s[4:5], s[2:3], exec
	s_or_b64 s[36:37], s[0:1], s[4:5]
	s_andn2_b64 exec, exec, s[34:35]
	s_cbranch_execz .LBB1616_688
.LBB1616_686:                           ;   Parent Loop BB1616_608 Depth=1
                                        ; =>  This Inner Loop Header: Depth=2
	flat_load_dwordx2 v[116:117], v[12:13]
	flat_load_dwordx2 v[118:119], v[2:3]
	s_andn2_b64 s[44:45], s[2:3], exec
	s_andn2_b64 s[40:41], s[40:41], exec
	s_or_b64 s[38:39], s[38:39], exec
	s_waitcnt vmcnt(0) lgkmcnt(0)
	v_cmp_le_u64_e64 s[2:3], v[116:117], v[118:119]
	v_cmp_lt_u64_e64 s[0:1], v[116:117], v[118:119]
	s_and_b64 s[2:3], s[2:3], s[42:43]
	s_or_b64 s[46:47], s[0:1], s[2:3]
	s_and_b64 s[0:1], s[46:47], exec
	v_cmp_eq_u64_e64 s[4:5], v[116:117], v[118:119]
	s_or_b64 s[2:3], s[44:45], s[0:1]
	s_and_saveexec_b64 s[44:45], s[4:5]
	s_cbranch_execz .LBB1616_685
; %bb.687:                              ;   in Loop: Header=BB1616_686 Depth=2
	v_lshl_add_u64 v[14:15], v[14:15], 0, -1
	v_cmp_eq_u64_e64 s[0:1], 0, v[14:15]
	s_andn2_b64 s[4:5], s[40:41], exec
	s_and_b64 s[40:41], s[46:47], exec
	s_or_b64 s[40:41], s[4:5], s[40:41]
	s_andn2_b64 s[4:5], s[38:39], exec
	s_and_b64 s[0:1], s[0:1], exec
	v_lshl_add_u64 v[2:3], v[2:3], 0, 8
	v_lshl_add_u64 v[12:13], v[12:13], 0, 8
	s_andn2_b64 s[2:3], s[2:3], exec
	s_or_b64 s[38:39], s[4:5], s[0:1]
                                        ; implicit-def: $sgpr42_sgpr43
	s_branch .LBB1616_685
.LBB1616_688:                           ;   in Loop: Header=BB1616_608 Depth=1
	s_or_b64 exec, exec, s[34:35]
	s_xor_b64 s[0:1], s[36:37], -1
	s_orn2_b64 s[0:1], s[0:1], exec
.LBB1616_689:                           ;   in Loop: Header=BB1616_608 Depth=1
	s_or_b64 exec, exec, s[30:31]
	s_and_b64 s[2:3], s[0:1], exec
.LBB1616_690:                           ;   in Loop: Header=BB1616_608 Depth=1
	s_or_b64 exec, exec, s[24:25]
	s_orn2_b64 s[24:25], s[2:3], exec
.LBB1616_691:                           ;   in Loop: Header=BB1616_608 Depth=1
	s_or_b64 exec, exec, s[28:29]
	v_cndmask_b32_e64 v2, v18, v16, s[24:25]
	v_cndmask_b32_e64 v3, v96, v31, s[24:25]
	v_add_u32_e32 v14, 1, v2
	v_add_u32_e32 v2, -1, v3
	v_min_u32_e32 v54, v14, v2
	v_lshl_add_u64 v[2:3], v[54:55], 3, v[10:11]
	flat_load_dwordx2 v[12:13], v[2:3]
	v_cndmask_b32_e64 v15, v14, v18, s[24:25]
	v_cmp_lt_u32_e64 s[0:1], v15, v96
	s_waitcnt vmcnt(0) lgkmcnt(0)
	v_cndmask_b32_e64 v3, v113, v13, s[24:25]
	v_cndmask_b32_e64 v2, v114, v12, s[24:25]
	s_and_saveexec_b64 s[28:29], s[0:1]
	s_cbranch_execz .LBB1616_701
; %bb.692:                              ;   in Loop: Header=BB1616_608 Depth=1
	v_cndmask_b32_e64 v14, v16, v14, s[24:25]
	v_cndmask_b32_e64 v13, v13, v103, s[24:25]
	;; [unrolled: 1-line block ×3, first 2 shown]
	v_cmp_lt_u32_e64 s[0:1], v14, v31
	s_and_saveexec_b64 s[30:31], s[0:1]
	s_cbranch_execz .LBB1616_700
; %bb.693:                              ;   in Loop: Header=BB1616_608 Depth=1
	s_and_saveexec_b64 s[34:35], vcc
	s_cbranch_execz .LBB1616_699
; %bb.694:                              ;   in Loop: Header=BB1616_608 Depth=1
	v_mad_u64_u32 v[14:15], s[0:1], v66, v2, v[8:9]
	v_mul_lo_u32 v16, v66, v3
	v_mul_lo_u32 v17, v67, v2
	v_add3_u32 v15, v17, v15, v16
	v_mad_u64_u32 v[16:17], s[0:1], v66, v12, v[8:9]
	v_mul_lo_u32 v18, v66, v13
	v_mul_lo_u32 v19, v67, v12
	v_add3_u32 v17, v19, v17, v18
	s_mov_b64 s[36:37], 0
	v_mov_b64_e32 v[18:19], v[6:7]
                                        ; implicit-def: $sgpr38_sgpr39
                                        ; implicit-def: $sgpr40_sgpr41
                                        ; implicit-def: $sgpr2_sgpr3
                                        ; implicit-def: $sgpr42_sgpr43
                                        ; implicit-def: $sgpr44_sgpr45
	s_branch .LBB1616_696
.LBB1616_695:                           ;   in Loop: Header=BB1616_696 Depth=2
	s_or_b64 exec, exec, s[46:47]
	s_and_b64 s[0:1], exec, s[40:41]
	s_or_b64 s[36:37], s[0:1], s[36:37]
	s_andn2_b64 s[0:1], s[44:45], exec
	s_and_b64 s[4:5], s[42:43], exec
	s_or_b64 s[44:45], s[0:1], s[4:5]
	s_andn2_b64 s[0:1], s[38:39], exec
	s_and_b64 s[4:5], s[2:3], exec
	s_or_b64 s[38:39], s[0:1], s[4:5]
	s_andn2_b64 exec, exec, s[36:37]
	s_cbranch_execz .LBB1616_698
.LBB1616_696:                           ;   Parent Loop BB1616_608 Depth=1
                                        ; =>  This Inner Loop Header: Depth=2
	flat_load_dwordx2 v[116:117], v[16:17]
	flat_load_dwordx2 v[118:119], v[14:15]
	s_andn2_b64 s[46:47], s[2:3], exec
	s_andn2_b64 s[42:43], s[42:43], exec
	s_or_b64 s[40:41], s[40:41], exec
	s_waitcnt vmcnt(0) lgkmcnt(0)
	v_cmp_le_u64_e64 s[2:3], v[116:117], v[118:119]
	v_cmp_lt_u64_e64 s[0:1], v[116:117], v[118:119]
	s_and_b64 s[2:3], s[2:3], s[44:45]
	s_or_b64 s[48:49], s[0:1], s[2:3]
	s_and_b64 s[0:1], s[48:49], exec
	v_cmp_eq_u64_e64 s[4:5], v[116:117], v[118:119]
	s_or_b64 s[2:3], s[46:47], s[0:1]
	s_and_saveexec_b64 s[46:47], s[4:5]
	s_cbranch_execz .LBB1616_695
; %bb.697:                              ;   in Loop: Header=BB1616_696 Depth=2
	v_lshl_add_u64 v[18:19], v[18:19], 0, -1
	v_cmp_eq_u64_e64 s[0:1], 0, v[18:19]
	s_andn2_b64 s[4:5], s[42:43], exec
	s_and_b64 s[42:43], s[48:49], exec
	s_or_b64 s[42:43], s[4:5], s[42:43]
	s_andn2_b64 s[4:5], s[40:41], exec
	s_and_b64 s[0:1], s[0:1], exec
	v_lshl_add_u64 v[14:15], v[14:15], 0, 8
	v_lshl_add_u64 v[16:17], v[16:17], 0, 8
	s_andn2_b64 s[2:3], s[2:3], exec
	s_or_b64 s[40:41], s[4:5], s[0:1]
                                        ; implicit-def: $sgpr44_sgpr45
	s_branch .LBB1616_695
.LBB1616_698:                           ;   in Loop: Header=BB1616_608 Depth=1
	s_or_b64 exec, exec, s[36:37]
	v_cndmask_b32_e64 v3, v3, v13, s[38:39]
	v_cndmask_b32_e64 v2, v2, v12, s[38:39]
.LBB1616_699:                           ;   in Loop: Header=BB1616_608 Depth=1
	s_or_b64 exec, exec, s[34:35]
	v_mov_b64_e32 v[12:13], v[2:3]
.LBB1616_700:                           ;   in Loop: Header=BB1616_608 Depth=1
	s_or_b64 exec, exec, s[30:31]
	v_mov_b64_e32 v[2:3], v[12:13]
.LBB1616_701:                           ;   in Loop: Header=BB1616_608 Depth=1
	s_or_b64 exec, exec, s[28:29]
	v_cndmask_b32_e64 v15, v99, v101, s[26:27]
	v_cndmask_b32_e64 v14, v100, v102, s[26:27]
	;; [unrolled: 1-line block ×14, first 2 shown]
.LBB1616_702:                           ;   in Loop: Header=BB1616_608 Depth=1
	s_or_b64 exec, exec, s[10:11]
	s_cmpk_lt_u32 s50, 0x400
	s_barrier
	s_cbranch_scc0 .LBB1616_704
; %bb.703:                              ;   in Loop: Header=BB1616_608 Depth=1
	s_mov_b32 s50, s51
	s_branch .LBB1616_608
.LBB1616_704:
	s_barrier
	flat_store_dwordx4 v[52:53], v[20:23]
	flat_store_dwordx4 v[52:53], v[16:19] offset:16
	flat_store_dwordx4 v[52:53], v[12:15] offset:32
	;; [unrolled: 1-line block ×3, first 2 shown]
	s_waitcnt lgkmcnt(0)
	s_barrier
	flat_load_dwordx2 v[0:1], v[24:25]
	flat_load_dwordx2 v[2:3], v[26:27] offset:2048
	flat_load_dwordx2 v[6:7], v[34:35]
	flat_load_dwordx2 v[8:9], v[32:33]
	;; [unrolled: 1-line block ×6, first 2 shown]
	v_mov_b32_e32 v31, 0
	s_movk_i32 s0, 0x1000
	v_lshl_add_u64 v[18:19], v[4:5], 0, v[30:31]
	v_add_co_u32_e32 v20, vcc, s0, v18
	s_mov_b64 s[38:39], exec
	s_nop 0
	v_addc_co_u32_e32 v21, vcc, 0, v19, vcc
	v_add_co_u32_e32 v22, vcc, 0x2000, v18
                                        ; implicit-def: $vgpr64
                                        ; implicit-def: $vgpr65
                                        ; implicit-def: $vgpr30
                                        ; implicit-def: $vgpr32
	s_nop 1
	v_addc_co_u32_e32 v23, vcc, 0, v19, vcc
	v_add_co_u32_e32 v24, vcc, 0x3000, v18
	s_nop 1
	v_addc_co_u32_e32 v25, vcc, 0, v19, vcc
	s_waitcnt vmcnt(0) lgkmcnt(0)
	flat_store_dwordx2 v[18:19], v[0:1]
	flat_store_dwordx2 v[18:19], v[2:3] offset:2048
	flat_store_dwordx2 v[20:21], v[6:7]
	flat_store_dwordx2 v[20:21], v[8:9] offset:2048
	;; [unrolled: 2-line block ×3, first 2 shown]
	flat_store_dwordx2 v[24:25], v[16:17]
                                        ; implicit-def: $vgpr0
                                        ; implicit-def: $vgpr6_vgpr7
                                        ; implicit-def: $vgpr2_vgpr3
                                        ; implicit-def: $vgpr8_vgpr9
                                        ; implicit-def: $vgpr10_vgpr11
                                        ; implicit-def: $vgpr1
	s_andn2_saveexec_b64 s[40:41], s[6:7]
	s_cbranch_execz .LBB1616_2
.LBB1616_705:
	v_cmp_lt_u32_e32 vcc, v28, v0
                                        ; implicit-def: $vgpr12_vgpr13
	s_and_saveexec_b64 s[0:1], vcc
	s_cbranch_execz .LBB1616_707
; %bb.706:
	v_mov_b32_e32 v31, 0
	v_lshl_add_u64 v[12:13], v[2:3], 0, v[30:31]
	flat_load_dwordx2 v[12:13], v[12:13]
.LBB1616_707:
	s_or_b64 exec, exec, s[0:1]
	v_add_u32_e32 v33, 0x100, v28
	v_cmp_lt_u32_e64 s[0:1], v33, v0
                                        ; implicit-def: $vgpr14_vgpr15
	s_and_saveexec_b64 s[2:3], s[0:1]
	s_cbranch_execz .LBB1616_709
; %bb.708:
	v_mov_b32_e32 v31, 0
	v_lshl_add_u64 v[14:15], v[2:3], 0, v[30:31]
	flat_load_dwordx2 v[14:15], v[14:15] offset:2048
.LBB1616_709:
	s_or_b64 exec, exec, s[2:3]
	v_add_u32_e32 v31, 0x200, v28
	v_cmp_lt_u32_e64 s[2:3], v31, v0
                                        ; implicit-def: $vgpr16_vgpr17
	s_and_saveexec_b64 s[4:5], s[2:3]
	s_cbranch_execz .LBB1616_711
; %bb.710:
	v_lshlrev_b32_e32 v16, 3, v31
	v_mov_b32_e32 v17, 0
	v_lshl_add_u64 v[16:17], v[2:3], 0, v[16:17]
	flat_load_dwordx2 v[16:17], v[16:17]
.LBB1616_711:
	s_or_b64 exec, exec, s[4:5]
	v_add_u32_e32 v36, 0x300, v28
	v_cmp_lt_u32_e64 s[4:5], v36, v0
                                        ; implicit-def: $vgpr18_vgpr19
	s_and_saveexec_b64 s[6:7], s[4:5]
	s_cbranch_execz .LBB1616_713
; %bb.712:
	v_lshlrev_b32_e32 v18, 3, v36
	v_mov_b32_e32 v19, 0
	v_lshl_add_u64 v[18:19], v[2:3], 0, v[18:19]
	flat_load_dwordx2 v[18:19], v[18:19]
.LBB1616_713:
	s_or_b64 exec, exec, s[6:7]
	v_or_b32_e32 v38, 0x400, v28
	v_cmp_lt_u32_e64 s[6:7], v38, v0
                                        ; implicit-def: $vgpr20_vgpr21
	s_and_saveexec_b64 s[10:11], s[6:7]
	s_cbranch_execz .LBB1616_715
; %bb.714:
	v_lshlrev_b32_e32 v20, 3, v38
	v_mov_b32_e32 v21, 0
	v_lshl_add_u64 v[20:21], v[2:3], 0, v[20:21]
	flat_load_dwordx2 v[20:21], v[20:21]
.LBB1616_715:
	s_or_b64 exec, exec, s[10:11]
	v_add_u32_e32 v48, 0x500, v28
	v_cmp_lt_u32_e64 s[30:31], v48, v0
                                        ; implicit-def: $vgpr22_vgpr23
	s_and_saveexec_b64 s[10:11], s[30:31]
	s_cbranch_execz .LBB1616_717
; %bb.716:
	v_lshlrev_b32_e32 v22, 3, v48
	v_mov_b32_e32 v23, 0
	v_lshl_add_u64 v[22:23], v[2:3], 0, v[22:23]
	flat_load_dwordx2 v[22:23], v[22:23]
.LBB1616_717:
	s_or_b64 exec, exec, s[10:11]
	v_add_u32_e32 v50, 0x600, v28
	v_cmp_lt_u32_e64 s[10:11], v50, v0
                                        ; implicit-def: $vgpr24_vgpr25
	s_and_saveexec_b64 s[14:15], s[10:11]
	s_cbranch_execz .LBB1616_719
; %bb.718:
	v_lshlrev_b32_e32 v24, 3, v50
	v_mov_b32_e32 v25, 0
	v_lshl_add_u64 v[24:25], v[2:3], 0, v[24:25]
	flat_load_dwordx2 v[24:25], v[24:25]
.LBB1616_719:
	s_or_b64 exec, exec, s[14:15]
	v_add_u32_e32 v52, 0x700, v28
	v_cmp_lt_u32_e64 s[14:15], v52, v0
                                        ; implicit-def: $vgpr26_vgpr27
	s_and_saveexec_b64 s[16:17], s[14:15]
	s_cbranch_execz .LBB1616_721
; %bb.720:
	v_lshlrev_b32_e32 v26, 3, v52
	v_mov_b32_e32 v27, 0
	v_lshl_add_u64 v[2:3], v[2:3], 0, v[26:27]
	flat_load_dwordx2 v[26:27], v[2:3]
.LBB1616_721:
	s_or_b64 exec, exec, s[16:17]
	v_mov_b32_e32 v29, 0
	v_add_lshl_u32 v2, v32, v28, 3
	v_mov_b32_e32 v3, v29
	v_lshl_add_u64 v[2:3], v[10:11], 0, v[2:3]
	s_waitcnt vmcnt(0) lgkmcnt(0)
	flat_store_dwordx2 v[2:3], v[12:13]
	v_lshrrev_b32_e32 v12, 5, v33
	v_add_lshl_u32 v12, v12, v28, 3
	v_mov_b32_e32 v13, v29
	v_lshl_add_u64 v[32:33], v[10:11], 0, v[12:13]
	v_lshrrev_b32_e32 v12, 5, v31
	v_add_lshl_u32 v12, v12, v31, 3
	v_lshl_add_u64 v[34:35], v[10:11], 0, v[12:13]
	v_lshrrev_b32_e32 v12, 5, v36
	v_add_lshl_u32 v12, v12, v36, 3
	;; [unrolled: 3-line block ×6, first 2 shown]
	v_lshl_add_u64 v[52:53], v[10:11], 0, v[12:13]
	v_add_lshl_u32 v12, v1, v30, 3
	v_lshl_add_u64 v[54:55], v[10:11], 0, v[12:13]
	flat_store_dwordx2 v[32:33], v[14:15] offset:2048
	flat_store_dwordx2 v[34:35], v[16:17]
	flat_store_dwordx2 v[36:37], v[18:19]
	;; [unrolled: 1-line block ×6, first 2 shown]
	s_waitcnt lgkmcnt(0)
	s_barrier
	flat_load_dwordx4 v[24:27], v[54:55]
	flat_load_dwordx4 v[20:23], v[54:55] offset:16
	flat_load_dwordx4 v[16:19], v[54:55] offset:32
	;; [unrolled: 1-line block ×3, first 2 shown]
	s_waitcnt lgkmcnt(0)
	s_barrier
	s_load_dwordx2 s[16:17], s[8:9], 0x0
	s_waitcnt lgkmcnt(0)
	s_cmp_lt_u32 s12, s16
	s_cselect_b32 s16, 12, 18
	s_cmp_lt_u32 s13, s17
	s_cselect_b32 s12, 14, 20
	s_add_u32 s12, s8, s12
	s_addc_u32 s13, s9, 0
	s_add_u32 s8, s8, s16
	s_addc_u32 s9, s9, 0
	global_load_ushort v1, v29, s[12:13]
	global_load_ushort v31, v29, s[8:9]
	v_cmp_lt_i64_e64 s[8:9], 0, v[6:7]
	s_waitcnt vmcnt(0)
	v_mad_u32_u24 v1, v65, v1, v64
	v_mul_lo_u32 v1, v1, v31
	v_add_lshl_u32 v1, v1, v28, 3
	v_sub_u32_e64 v31, v0, v1 clamp
	v_cmp_lt_u32_e64 s[16:17], 1, v31
	s_and_saveexec_b64 s[22:23], s[16:17]
	s_cbranch_execnz .LBB1616_725
; %bb.722:
	s_or_b64 exec, exec, s[22:23]
	v_cmp_lt_u32_e64 s[18:19], 3, v31
	s_and_saveexec_b64 s[24:25], s[18:19]
	s_cbranch_execnz .LBB1616_734
.LBB1616_723:
	s_or_b64 exec, exec, s[24:25]
	v_cmp_lt_u32_e64 s[20:21], 5, v31
	s_and_saveexec_b64 s[26:27], s[20:21]
	s_cbranch_execnz .LBB1616_743
.LBB1616_724:
	s_or_b64 exec, exec, s[26:27]
	v_cmp_lt_u32_e64 s[22:23], 7, v31
	s_and_saveexec_b64 s[28:29], s[22:23]
	s_cbranch_execnz .LBB1616_752
	s_branch .LBB1616_761
.LBB1616_725:
	s_and_saveexec_b64 s[24:25], s[8:9]
	s_cbranch_execz .LBB1616_733
; %bb.726:
	v_mul_lo_u32 v66, v25, v6
	v_mul_lo_u32 v67, v24, v7
	v_mad_u64_u32 v[64:65], s[12:13], v24, v6, 0
	v_add3_u32 v65, v65, v67, v66
	v_mul_lo_u32 v68, v27, v6
	v_mul_lo_u32 v69, v26, v7
	v_mad_u64_u32 v[66:67], s[12:13], v26, v6, 0
	v_add3_u32 v67, v67, v69, v68
	v_lshl_add_u64 v[64:65], v[64:65], 3, v[8:9]
	v_lshl_add_u64 v[66:67], v[66:67], 3, v[8:9]
	s_mov_b64 s[28:29], 0
	v_mov_b64_e32 v[68:69], v[6:7]
                                        ; implicit-def: $sgpr26_sgpr27
                                        ; implicit-def: $sgpr34_sgpr35
                                        ; implicit-def: $sgpr42_sgpr43
                                        ; implicit-def: $sgpr36_sgpr37
                                        ; implicit-def: $sgpr44_sgpr45
                                        ; implicit-def: $sgpr46_sgpr47
	s_branch .LBB1616_728
.LBB1616_727:                           ;   in Loop: Header=BB1616_728 Depth=1
	s_or_b64 exec, exec, s[48:49]
	s_and_b64 s[12:13], exec, s[42:43]
	s_or_b64 s[28:29], s[12:13], s[28:29]
	s_andn2_b64 s[12:13], s[46:47], exec
	s_and_b64 s[20:21], s[44:45], exec
	s_or_b64 s[46:47], s[12:13], s[20:21]
	s_andn2_b64 s[12:13], s[34:35], exec
	s_and_b64 s[20:21], s[36:37], exec
	s_or_b64 s[34:35], s[12:13], s[20:21]
	s_andn2_b64 s[12:13], s[26:27], exec
	s_and_b64 s[18:19], s[18:19], exec
	s_or_b64 s[26:27], s[12:13], s[18:19]
	s_andn2_b64 exec, exec, s[28:29]
	s_cbranch_execz .LBB1616_730
.LBB1616_728:                           ; =>This Inner Loop Header: Depth=1
	flat_load_dwordx2 v[70:71], v[66:67]
	flat_load_dwordx2 v[80:81], v[64:65]
	s_andn2_b64 s[44:45], s[44:45], exec
	s_or_b64 s[36:37], s[36:37], exec
	s_or_b64 s[42:43], s[42:43], exec
	s_waitcnt vmcnt(0) lgkmcnt(0)
	v_cmp_le_u64_e64 s[18:19], v[70:71], v[80:81]
	v_cmp_lt_u64_e64 s[12:13], v[70:71], v[80:81]
	s_and_b64 s[18:19], s[18:19], s[46:47]
	v_cmp_eq_u64_e64 s[20:21], v[70:71], v[80:81]
	s_or_b64 s[18:19], s[12:13], s[18:19]
	s_and_saveexec_b64 s[48:49], s[20:21]
	s_cbranch_execz .LBB1616_727
; %bb.729:                              ;   in Loop: Header=BB1616_728 Depth=1
	v_lshl_add_u64 v[68:69], v[68:69], 0, -1
	v_cmp_eq_u64_e64 s[12:13], 0, v[68:69]
	s_andn2_b64 s[20:21], s[44:45], exec
	s_and_b64 s[44:45], s[18:19], exec
	s_or_b64 s[44:45], s[20:21], s[44:45]
	s_andn2_b64 s[20:21], s[42:43], exec
	s_and_b64 s[12:13], s[12:13], exec
	v_lshl_add_u64 v[64:65], v[64:65], 0, 8
	v_lshl_add_u64 v[66:67], v[66:67], 0, 8
	s_andn2_b64 s[36:37], s[36:37], exec
	s_or_b64 s[42:43], s[20:21], s[12:13]
                                        ; implicit-def: $sgpr46_sgpr47
	s_branch .LBB1616_727
.LBB1616_730:
	s_or_b64 exec, exec, s[28:29]
	s_and_saveexec_b64 s[12:13], s[34:35]
	s_xor_b64 s[12:13], exec, s[12:13]
; %bb.731:
	v_cndmask_b32_e64 v65, v27, v25, s[26:27]
	v_cndmask_b32_e64 v64, v26, v24, s[26:27]
	;; [unrolled: 1-line block ×4, first 2 shown]
	v_mov_b64_e32 v[26:27], v[64:65]
; %bb.732:
	s_or_b64 exec, exec, s[12:13]
.LBB1616_733:
	s_or_b64 exec, exec, s[24:25]
	s_or_b64 exec, exec, s[22:23]
	v_cmp_lt_u32_e64 s[18:19], 3, v31
	s_and_saveexec_b64 s[24:25], s[18:19]
	s_cbranch_execz .LBB1616_723
.LBB1616_734:
	s_and_saveexec_b64 s[26:27], s[8:9]
	s_cbranch_execz .LBB1616_742
; %bb.735:
	v_mul_lo_u32 v66, v21, v6
	v_mul_lo_u32 v67, v20, v7
	v_mad_u64_u32 v[64:65], s[12:13], v20, v6, 0
	v_add3_u32 v65, v65, v67, v66
	v_mul_lo_u32 v68, v23, v6
	v_mul_lo_u32 v69, v22, v7
	v_mad_u64_u32 v[66:67], s[12:13], v22, v6, 0
	v_add3_u32 v67, v67, v69, v68
	v_lshl_add_u64 v[64:65], v[64:65], 3, v[8:9]
	v_lshl_add_u64 v[66:67], v[66:67], 3, v[8:9]
	s_mov_b64 s[34:35], 0
	v_mov_b64_e32 v[68:69], v[6:7]
                                        ; implicit-def: $sgpr28_sgpr29
                                        ; implicit-def: $sgpr36_sgpr37
                                        ; implicit-def: $sgpr44_sgpr45
                                        ; implicit-def: $sgpr42_sgpr43
                                        ; implicit-def: $sgpr46_sgpr47
                                        ; implicit-def: $sgpr48_sgpr49
	s_branch .LBB1616_737
.LBB1616_736:                           ;   in Loop: Header=BB1616_737 Depth=1
	s_or_b64 exec, exec, s[50:51]
	s_and_b64 s[12:13], exec, s[44:45]
	s_or_b64 s[34:35], s[12:13], s[34:35]
	s_andn2_b64 s[12:13], s[48:49], exec
	s_and_b64 s[22:23], s[46:47], exec
	s_or_b64 s[48:49], s[12:13], s[22:23]
	s_andn2_b64 s[12:13], s[36:37], exec
	s_and_b64 s[22:23], s[42:43], exec
	s_or_b64 s[36:37], s[12:13], s[22:23]
	s_andn2_b64 s[12:13], s[28:29], exec
	s_and_b64 s[20:21], s[20:21], exec
	s_or_b64 s[28:29], s[12:13], s[20:21]
	s_andn2_b64 exec, exec, s[34:35]
	s_cbranch_execz .LBB1616_739
.LBB1616_737:                           ; =>This Inner Loop Header: Depth=1
	flat_load_dwordx2 v[70:71], v[66:67]
	flat_load_dwordx2 v[80:81], v[64:65]
	s_andn2_b64 s[46:47], s[46:47], exec
	s_or_b64 s[42:43], s[42:43], exec
	s_or_b64 s[44:45], s[44:45], exec
	s_waitcnt vmcnt(0) lgkmcnt(0)
	v_cmp_le_u64_e64 s[20:21], v[70:71], v[80:81]
	v_cmp_lt_u64_e64 s[12:13], v[70:71], v[80:81]
	s_and_b64 s[20:21], s[20:21], s[48:49]
	v_cmp_eq_u64_e64 s[22:23], v[70:71], v[80:81]
	s_or_b64 s[20:21], s[12:13], s[20:21]
	s_and_saveexec_b64 s[50:51], s[22:23]
	s_cbranch_execz .LBB1616_736
; %bb.738:                              ;   in Loop: Header=BB1616_737 Depth=1
	v_lshl_add_u64 v[68:69], v[68:69], 0, -1
	v_cmp_eq_u64_e64 s[12:13], 0, v[68:69]
	s_andn2_b64 s[22:23], s[46:47], exec
	s_and_b64 s[46:47], s[20:21], exec
	s_or_b64 s[46:47], s[22:23], s[46:47]
	s_andn2_b64 s[22:23], s[44:45], exec
	s_and_b64 s[12:13], s[12:13], exec
	v_lshl_add_u64 v[64:65], v[64:65], 0, 8
	v_lshl_add_u64 v[66:67], v[66:67], 0, 8
	s_andn2_b64 s[42:43], s[42:43], exec
	s_or_b64 s[44:45], s[22:23], s[12:13]
                                        ; implicit-def: $sgpr48_sgpr49
	s_branch .LBB1616_736
.LBB1616_739:
	s_or_b64 exec, exec, s[34:35]
	s_and_saveexec_b64 s[12:13], s[36:37]
	s_xor_b64 s[12:13], exec, s[12:13]
; %bb.740:
	v_cndmask_b32_e64 v65, v21, v23, s[28:29]
	v_cndmask_b32_e64 v64, v20, v22, s[28:29]
	;; [unrolled: 1-line block ×4, first 2 shown]
	v_mov_b64_e32 v[20:21], v[64:65]
; %bb.741:
	s_or_b64 exec, exec, s[12:13]
.LBB1616_742:
	s_or_b64 exec, exec, s[26:27]
	s_or_b64 exec, exec, s[24:25]
	v_cmp_lt_u32_e64 s[20:21], 5, v31
	s_and_saveexec_b64 s[26:27], s[20:21]
	s_cbranch_execz .LBB1616_724
.LBB1616_743:
	s_and_saveexec_b64 s[28:29], s[8:9]
	s_cbranch_execz .LBB1616_751
; %bb.744:
	v_mul_lo_u32 v66, v17, v6
	v_mul_lo_u32 v67, v16, v7
	v_mad_u64_u32 v[64:65], s[12:13], v16, v6, 0
	v_add3_u32 v65, v65, v67, v66
	v_mul_lo_u32 v68, v19, v6
	v_mul_lo_u32 v69, v18, v7
	v_mad_u64_u32 v[66:67], s[12:13], v18, v6, 0
	v_add3_u32 v67, v67, v69, v68
	v_lshl_add_u64 v[64:65], v[64:65], 3, v[8:9]
	v_lshl_add_u64 v[66:67], v[66:67], 3, v[8:9]
	s_mov_b64 s[36:37], 0
	v_mov_b64_e32 v[68:69], v[6:7]
                                        ; implicit-def: $sgpr34_sgpr35
                                        ; implicit-def: $sgpr42_sgpr43
                                        ; implicit-def: $sgpr46_sgpr47
                                        ; implicit-def: $sgpr44_sgpr45
                                        ; implicit-def: $sgpr48_sgpr49
                                        ; implicit-def: $sgpr50_sgpr51
	s_branch .LBB1616_746
.LBB1616_745:                           ;   in Loop: Header=BB1616_746 Depth=1
	s_or_b64 exec, exec, s[52:53]
	s_and_b64 s[12:13], exec, s[46:47]
	s_or_b64 s[36:37], s[12:13], s[36:37]
	s_andn2_b64 s[12:13], s[50:51], exec
	s_and_b64 s[24:25], s[48:49], exec
	s_or_b64 s[50:51], s[12:13], s[24:25]
	s_andn2_b64 s[12:13], s[42:43], exec
	s_and_b64 s[24:25], s[44:45], exec
	s_or_b64 s[42:43], s[12:13], s[24:25]
	s_andn2_b64 s[12:13], s[34:35], exec
	s_and_b64 s[22:23], s[22:23], exec
	s_or_b64 s[34:35], s[12:13], s[22:23]
	s_andn2_b64 exec, exec, s[36:37]
	s_cbranch_execz .LBB1616_748
.LBB1616_746:                           ; =>This Inner Loop Header: Depth=1
	flat_load_dwordx2 v[70:71], v[66:67]
	flat_load_dwordx2 v[80:81], v[64:65]
	s_andn2_b64 s[48:49], s[48:49], exec
	s_or_b64 s[44:45], s[44:45], exec
	s_or_b64 s[46:47], s[46:47], exec
	s_waitcnt vmcnt(0) lgkmcnt(0)
	v_cmp_le_u64_e64 s[22:23], v[70:71], v[80:81]
	v_cmp_lt_u64_e64 s[12:13], v[70:71], v[80:81]
	s_and_b64 s[22:23], s[22:23], s[50:51]
	v_cmp_eq_u64_e64 s[24:25], v[70:71], v[80:81]
	s_or_b64 s[22:23], s[12:13], s[22:23]
	s_and_saveexec_b64 s[52:53], s[24:25]
	s_cbranch_execz .LBB1616_745
; %bb.747:                              ;   in Loop: Header=BB1616_746 Depth=1
	v_lshl_add_u64 v[68:69], v[68:69], 0, -1
	v_cmp_eq_u64_e64 s[12:13], 0, v[68:69]
	s_andn2_b64 s[24:25], s[48:49], exec
	s_and_b64 s[48:49], s[22:23], exec
	s_or_b64 s[48:49], s[24:25], s[48:49]
	s_andn2_b64 s[24:25], s[46:47], exec
	s_and_b64 s[12:13], s[12:13], exec
	v_lshl_add_u64 v[64:65], v[64:65], 0, 8
	v_lshl_add_u64 v[66:67], v[66:67], 0, 8
	s_andn2_b64 s[44:45], s[44:45], exec
	s_or_b64 s[46:47], s[24:25], s[12:13]
                                        ; implicit-def: $sgpr50_sgpr51
	s_branch .LBB1616_745
.LBB1616_748:
	s_or_b64 exec, exec, s[36:37]
	s_and_saveexec_b64 s[12:13], s[42:43]
	s_xor_b64 s[12:13], exec, s[12:13]
; %bb.749:
	v_cndmask_b32_e64 v65, v17, v19, s[34:35]
	v_cndmask_b32_e64 v64, v16, v18, s[34:35]
	;; [unrolled: 1-line block ×4, first 2 shown]
	v_mov_b64_e32 v[16:17], v[64:65]
; %bb.750:
	s_or_b64 exec, exec, s[12:13]
.LBB1616_751:
	s_or_b64 exec, exec, s[28:29]
	s_or_b64 exec, exec, s[26:27]
	v_cmp_lt_u32_e64 s[22:23], 7, v31
	s_and_saveexec_b64 s[28:29], s[22:23]
	s_cbranch_execz .LBB1616_761
.LBB1616_752:
	s_and_saveexec_b64 s[34:35], s[8:9]
	s_cbranch_execz .LBB1616_760
; %bb.753:
	v_mul_lo_u32 v66, v13, v6
	v_mul_lo_u32 v67, v12, v7
	v_mad_u64_u32 v[64:65], s[12:13], v12, v6, 0
	v_add3_u32 v65, v65, v67, v66
	v_mul_lo_u32 v68, v15, v6
	v_mul_lo_u32 v69, v14, v7
	v_mad_u64_u32 v[66:67], s[12:13], v14, v6, 0
	v_add3_u32 v67, v67, v69, v68
	v_lshl_add_u64 v[64:65], v[64:65], 3, v[8:9]
	v_lshl_add_u64 v[66:67], v[66:67], 3, v[8:9]
	s_mov_b64 s[42:43], 0
	v_mov_b64_e32 v[68:69], v[6:7]
                                        ; implicit-def: $sgpr36_sgpr37
                                        ; implicit-def: $sgpr44_sgpr45
                                        ; implicit-def: $sgpr48_sgpr49
                                        ; implicit-def: $sgpr46_sgpr47
                                        ; implicit-def: $sgpr50_sgpr51
                                        ; implicit-def: $sgpr52_sgpr53
	s_branch .LBB1616_755
.LBB1616_754:                           ;   in Loop: Header=BB1616_755 Depth=1
	s_or_b64 exec, exec, s[54:55]
	s_and_b64 s[12:13], exec, s[48:49]
	s_or_b64 s[42:43], s[12:13], s[42:43]
	s_andn2_b64 s[12:13], s[52:53], exec
	s_and_b64 s[26:27], s[50:51], exec
	s_or_b64 s[52:53], s[12:13], s[26:27]
	s_andn2_b64 s[12:13], s[44:45], exec
	s_and_b64 s[26:27], s[46:47], exec
	;; [unrolled: 3-line block ×3, first 2 shown]
	s_or_b64 s[36:37], s[12:13], s[24:25]
	s_andn2_b64 exec, exec, s[42:43]
	s_cbranch_execz .LBB1616_757
.LBB1616_755:                           ; =>This Inner Loop Header: Depth=1
	flat_load_dwordx2 v[70:71], v[66:67]
	flat_load_dwordx2 v[80:81], v[64:65]
	s_andn2_b64 s[50:51], s[50:51], exec
	s_or_b64 s[46:47], s[46:47], exec
	s_or_b64 s[48:49], s[48:49], exec
	s_waitcnt vmcnt(0) lgkmcnt(0)
	v_cmp_le_u64_e64 s[24:25], v[70:71], v[80:81]
	v_cmp_lt_u64_e64 s[12:13], v[70:71], v[80:81]
	s_and_b64 s[24:25], s[24:25], s[52:53]
	v_cmp_eq_u64_e64 s[26:27], v[70:71], v[80:81]
	s_or_b64 s[24:25], s[12:13], s[24:25]
	s_and_saveexec_b64 s[54:55], s[26:27]
	s_cbranch_execz .LBB1616_754
; %bb.756:                              ;   in Loop: Header=BB1616_755 Depth=1
	v_lshl_add_u64 v[68:69], v[68:69], 0, -1
	v_cmp_eq_u64_e64 s[12:13], 0, v[68:69]
	s_andn2_b64 s[26:27], s[50:51], exec
	s_and_b64 s[50:51], s[24:25], exec
	s_or_b64 s[50:51], s[26:27], s[50:51]
	s_andn2_b64 s[26:27], s[48:49], exec
	s_and_b64 s[12:13], s[12:13], exec
	v_lshl_add_u64 v[64:65], v[64:65], 0, 8
	v_lshl_add_u64 v[66:67], v[66:67], 0, 8
	s_andn2_b64 s[46:47], s[46:47], exec
	s_or_b64 s[48:49], s[26:27], s[12:13]
                                        ; implicit-def: $sgpr52_sgpr53
	s_branch .LBB1616_754
.LBB1616_757:
	s_or_b64 exec, exec, s[42:43]
	s_and_saveexec_b64 s[12:13], s[44:45]
	s_xor_b64 s[12:13], exec, s[12:13]
; %bb.758:
	v_cndmask_b32_e64 v65, v13, v15, s[36:37]
	v_cndmask_b32_e64 v64, v12, v14, s[36:37]
	;; [unrolled: 1-line block ×4, first 2 shown]
	v_mov_b64_e32 v[12:13], v[64:65]
; %bb.759:
	s_or_b64 exec, exec, s[12:13]
.LBB1616_760:
	s_or_b64 exec, exec, s[34:35]
.LBB1616_761:
	s_or_b64 exec, exec, s[28:29]
	v_cmp_lt_u32_e64 s[24:25], 2, v31
	s_and_saveexec_b64 s[12:13], s[24:25]
	s_xor_b64 s[34:35], exec, s[12:13]
	s_cbranch_execnz .LBB1616_785
; %bb.762:
	s_or_b64 exec, exec, s[34:35]
	v_cmp_lt_u32_e64 s[26:27], 4, v31
	s_and_saveexec_b64 s[36:37], s[26:27]
	s_cbranch_execnz .LBB1616_794
.LBB1616_763:
	s_or_b64 exec, exec, s[36:37]
	v_cmp_lt_u32_e64 s[28:29], 6, v31
	s_and_saveexec_b64 s[42:43], s[28:29]
	s_cbranch_execnz .LBB1616_803
.LBB1616_764:
	s_or_b64 exec, exec, s[42:43]
	s_and_saveexec_b64 s[42:43], s[16:17]
	s_cbranch_execnz .LBB1616_812
.LBB1616_765:
	s_or_b64 exec, exec, s[42:43]
	s_and_saveexec_b64 s[42:43], s[18:19]
	s_cbranch_execnz .LBB1616_821
.LBB1616_766:
	s_or_b64 exec, exec, s[42:43]
	s_and_saveexec_b64 s[42:43], s[20:21]
	s_cbranch_execnz .LBB1616_830
.LBB1616_767:
	s_or_b64 exec, exec, s[42:43]
	s_and_saveexec_b64 s[42:43], s[22:23]
	s_cbranch_execnz .LBB1616_839
.LBB1616_768:
	s_or_b64 exec, exec, s[42:43]
	s_and_saveexec_b64 s[42:43], s[24:25]
	s_cbranch_execnz .LBB1616_848
.LBB1616_769:
	s_or_b64 exec, exec, s[42:43]
	s_and_saveexec_b64 s[42:43], s[26:27]
	s_cbranch_execnz .LBB1616_857
.LBB1616_770:
	s_or_b64 exec, exec, s[42:43]
	s_and_saveexec_b64 s[42:43], s[28:29]
	s_cbranch_execnz .LBB1616_866
.LBB1616_771:
	s_or_b64 exec, exec, s[42:43]
	s_and_saveexec_b64 s[42:43], s[16:17]
	s_cbranch_execnz .LBB1616_875
.LBB1616_772:
	s_or_b64 exec, exec, s[42:43]
	s_and_saveexec_b64 s[42:43], s[18:19]
	s_cbranch_execnz .LBB1616_884
.LBB1616_773:
	s_or_b64 exec, exec, s[42:43]
	s_and_saveexec_b64 s[42:43], s[20:21]
	s_cbranch_execnz .LBB1616_893
.LBB1616_774:
	s_or_b64 exec, exec, s[42:43]
	s_and_saveexec_b64 s[42:43], s[22:23]
	s_cbranch_execnz .LBB1616_902
.LBB1616_775:
	s_or_b64 exec, exec, s[42:43]
	s_and_saveexec_b64 s[42:43], s[24:25]
	s_cbranch_execnz .LBB1616_911
.LBB1616_776:
	s_or_b64 exec, exec, s[42:43]
	s_and_saveexec_b64 s[42:43], s[26:27]
	s_cbranch_execnz .LBB1616_920
.LBB1616_777:
	s_or_b64 exec, exec, s[42:43]
	s_and_saveexec_b64 s[42:43], s[28:29]
	s_cbranch_execnz .LBB1616_929
.LBB1616_778:
	s_or_b64 exec, exec, s[42:43]
	s_and_saveexec_b64 s[36:37], s[16:17]
	s_cbranch_execnz .LBB1616_938
.LBB1616_779:
	s_or_b64 exec, exec, s[36:37]
	s_and_saveexec_b64 s[34:35], s[18:19]
	s_cbranch_execnz .LBB1616_947
.LBB1616_780:
	s_or_b64 exec, exec, s[34:35]
	s_and_saveexec_b64 s[34:35], s[20:21]
	s_cbranch_execnz .LBB1616_956
.LBB1616_781:
	s_or_b64 exec, exec, s[34:35]
	s_and_saveexec_b64 s[20:21], s[22:23]
	s_cbranch_execnz .LBB1616_965
.LBB1616_782:
	s_or_b64 exec, exec, s[20:21]
	s_and_saveexec_b64 s[20:21], s[24:25]
	s_cbranch_execnz .LBB1616_974
.LBB1616_783:
	s_or_b64 exec, exec, s[20:21]
	s_and_saveexec_b64 s[20:21], s[26:27]
	s_cbranch_execnz .LBB1616_983
.LBB1616_784:
	s_or_b64 exec, exec, s[20:21]
	s_and_saveexec_b64 s[20:21], s[28:29]
	s_cbranch_execnz .LBB1616_992
	s_branch .LBB1616_1001
.LBB1616_785:
	s_and_saveexec_b64 s[36:37], s[8:9]
	s_cbranch_execz .LBB1616_793
; %bb.786:
	v_mul_lo_u32 v66, v27, v6
	v_mul_lo_u32 v67, v26, v7
	v_mad_u64_u32 v[64:65], s[12:13], v26, v6, 0
	v_add3_u32 v65, v65, v67, v66
	v_mul_lo_u32 v68, v21, v6
	v_mul_lo_u32 v69, v20, v7
	v_mad_u64_u32 v[66:67], s[12:13], v20, v6, 0
	v_add3_u32 v67, v67, v69, v68
	v_lshl_add_u64 v[64:65], v[64:65], 3, v[8:9]
	v_lshl_add_u64 v[66:67], v[66:67], 3, v[8:9]
	s_mov_b64 s[44:45], 0
	v_mov_b64_e32 v[68:69], v[6:7]
                                        ; implicit-def: $sgpr42_sgpr43
                                        ; implicit-def: $sgpr46_sgpr47
                                        ; implicit-def: $sgpr50_sgpr51
                                        ; implicit-def: $sgpr48_sgpr49
                                        ; implicit-def: $sgpr52_sgpr53
                                        ; implicit-def: $sgpr54_sgpr55
	s_branch .LBB1616_788
.LBB1616_787:                           ;   in Loop: Header=BB1616_788 Depth=1
	s_or_b64 exec, exec, s[56:57]
	s_and_b64 s[12:13], exec, s[50:51]
	s_or_b64 s[44:45], s[12:13], s[44:45]
	s_andn2_b64 s[12:13], s[54:55], exec
	s_and_b64 s[28:29], s[52:53], exec
	s_or_b64 s[54:55], s[12:13], s[28:29]
	s_andn2_b64 s[12:13], s[46:47], exec
	s_and_b64 s[28:29], s[48:49], exec
	;; [unrolled: 3-line block ×3, first 2 shown]
	s_or_b64 s[42:43], s[12:13], s[26:27]
	s_andn2_b64 exec, exec, s[44:45]
	s_cbranch_execz .LBB1616_790
.LBB1616_788:                           ; =>This Inner Loop Header: Depth=1
	flat_load_dwordx2 v[70:71], v[66:67]
	flat_load_dwordx2 v[80:81], v[64:65]
	s_andn2_b64 s[52:53], s[52:53], exec
	s_or_b64 s[48:49], s[48:49], exec
	s_or_b64 s[50:51], s[50:51], exec
	s_waitcnt vmcnt(0) lgkmcnt(0)
	v_cmp_le_u64_e64 s[26:27], v[70:71], v[80:81]
	v_cmp_lt_u64_e64 s[12:13], v[70:71], v[80:81]
	s_and_b64 s[26:27], s[26:27], s[54:55]
	v_cmp_eq_u64_e64 s[28:29], v[70:71], v[80:81]
	s_or_b64 s[26:27], s[12:13], s[26:27]
	s_and_saveexec_b64 s[56:57], s[28:29]
	s_cbranch_execz .LBB1616_787
; %bb.789:                              ;   in Loop: Header=BB1616_788 Depth=1
	v_lshl_add_u64 v[68:69], v[68:69], 0, -1
	v_cmp_eq_u64_e64 s[12:13], 0, v[68:69]
	s_andn2_b64 s[28:29], s[52:53], exec
	s_and_b64 s[52:53], s[26:27], exec
	s_or_b64 s[52:53], s[28:29], s[52:53]
	s_andn2_b64 s[28:29], s[50:51], exec
	s_and_b64 s[12:13], s[12:13], exec
	v_lshl_add_u64 v[64:65], v[64:65], 0, 8
	v_lshl_add_u64 v[66:67], v[66:67], 0, 8
	s_andn2_b64 s[48:49], s[48:49], exec
	s_or_b64 s[50:51], s[28:29], s[12:13]
                                        ; implicit-def: $sgpr54_sgpr55
	s_branch .LBB1616_787
.LBB1616_790:
	s_or_b64 exec, exec, s[44:45]
	s_and_saveexec_b64 s[12:13], s[46:47]
	s_xor_b64 s[12:13], exec, s[12:13]
; %bb.791:
	v_cndmask_b32_e64 v65, v27, v21, s[42:43]
	v_cndmask_b32_e64 v64, v26, v20, s[42:43]
	v_cndmask_b32_e64 v21, v21, v27, s[42:43]
	v_cndmask_b32_e64 v20, v20, v26, s[42:43]
	v_mov_b64_e32 v[26:27], v[64:65]
; %bb.792:
	s_or_b64 exec, exec, s[12:13]
.LBB1616_793:
	s_or_b64 exec, exec, s[36:37]
	s_or_b64 exec, exec, s[34:35]
	v_cmp_lt_u32_e64 s[26:27], 4, v31
	s_and_saveexec_b64 s[36:37], s[26:27]
	s_cbranch_execz .LBB1616_763
.LBB1616_794:
	s_and_saveexec_b64 s[42:43], s[8:9]
	s_cbranch_execz .LBB1616_802
; %bb.795:
	v_mul_lo_u32 v66, v23, v6
	v_mul_lo_u32 v67, v22, v7
	v_mad_u64_u32 v[64:65], s[12:13], v22, v6, 0
	v_add3_u32 v65, v65, v67, v66
	v_mul_lo_u32 v68, v17, v6
	v_mul_lo_u32 v69, v16, v7
	v_mad_u64_u32 v[66:67], s[12:13], v16, v6, 0
	v_add3_u32 v67, v67, v69, v68
	v_lshl_add_u64 v[64:65], v[64:65], 3, v[8:9]
	v_lshl_add_u64 v[66:67], v[66:67], 3, v[8:9]
	s_mov_b64 s[46:47], 0
	v_mov_b64_e32 v[68:69], v[6:7]
                                        ; implicit-def: $sgpr44_sgpr45
                                        ; implicit-def: $sgpr48_sgpr49
                                        ; implicit-def: $sgpr52_sgpr53
                                        ; implicit-def: $sgpr50_sgpr51
                                        ; implicit-def: $sgpr54_sgpr55
                                        ; implicit-def: $sgpr56_sgpr57
	s_branch .LBB1616_797
.LBB1616_796:                           ;   in Loop: Header=BB1616_797 Depth=1
	s_or_b64 exec, exec, s[58:59]
	s_and_b64 s[12:13], exec, s[52:53]
	s_or_b64 s[46:47], s[12:13], s[46:47]
	s_andn2_b64 s[12:13], s[56:57], exec
	s_and_b64 s[34:35], s[54:55], exec
	s_or_b64 s[56:57], s[12:13], s[34:35]
	s_andn2_b64 s[12:13], s[48:49], exec
	s_and_b64 s[34:35], s[50:51], exec
	;; [unrolled: 3-line block ×3, first 2 shown]
	s_or_b64 s[44:45], s[12:13], s[28:29]
	s_andn2_b64 exec, exec, s[46:47]
	s_cbranch_execz .LBB1616_799
.LBB1616_797:                           ; =>This Inner Loop Header: Depth=1
	flat_load_dwordx2 v[70:71], v[66:67]
	flat_load_dwordx2 v[80:81], v[64:65]
	s_andn2_b64 s[54:55], s[54:55], exec
	s_or_b64 s[50:51], s[50:51], exec
	s_or_b64 s[52:53], s[52:53], exec
	s_waitcnt vmcnt(0) lgkmcnt(0)
	v_cmp_le_u64_e64 s[28:29], v[70:71], v[80:81]
	v_cmp_lt_u64_e64 s[12:13], v[70:71], v[80:81]
	s_and_b64 s[28:29], s[28:29], s[56:57]
	v_cmp_eq_u64_e64 s[34:35], v[70:71], v[80:81]
	s_or_b64 s[28:29], s[12:13], s[28:29]
	s_and_saveexec_b64 s[58:59], s[34:35]
	s_cbranch_execz .LBB1616_796
; %bb.798:                              ;   in Loop: Header=BB1616_797 Depth=1
	v_lshl_add_u64 v[68:69], v[68:69], 0, -1
	v_cmp_eq_u64_e64 s[12:13], 0, v[68:69]
	s_andn2_b64 s[34:35], s[54:55], exec
	s_and_b64 s[54:55], s[28:29], exec
	s_or_b64 s[54:55], s[34:35], s[54:55]
	s_andn2_b64 s[34:35], s[52:53], exec
	s_and_b64 s[12:13], s[12:13], exec
	v_lshl_add_u64 v[64:65], v[64:65], 0, 8
	v_lshl_add_u64 v[66:67], v[66:67], 0, 8
	s_andn2_b64 s[50:51], s[50:51], exec
	s_or_b64 s[52:53], s[34:35], s[12:13]
                                        ; implicit-def: $sgpr56_sgpr57
	s_branch .LBB1616_796
.LBB1616_799:
	s_or_b64 exec, exec, s[46:47]
	s_and_saveexec_b64 s[12:13], s[48:49]
	s_xor_b64 s[12:13], exec, s[12:13]
; %bb.800:
	v_cndmask_b32_e64 v65, v23, v17, s[44:45]
	v_cndmask_b32_e64 v64, v22, v16, s[44:45]
	;; [unrolled: 1-line block ×4, first 2 shown]
	v_mov_b64_e32 v[22:23], v[64:65]
; %bb.801:
	s_or_b64 exec, exec, s[12:13]
.LBB1616_802:
	s_or_b64 exec, exec, s[42:43]
	s_or_b64 exec, exec, s[36:37]
	v_cmp_lt_u32_e64 s[28:29], 6, v31
	s_and_saveexec_b64 s[42:43], s[28:29]
	s_cbranch_execz .LBB1616_764
.LBB1616_803:
	s_and_saveexec_b64 s[44:45], s[8:9]
	s_cbranch_execz .LBB1616_811
; %bb.804:
	v_mul_lo_u32 v31, v19, v6
	v_mul_lo_u32 v66, v18, v7
	v_mad_u64_u32 v[64:65], s[12:13], v18, v6, 0
	v_add3_u32 v65, v65, v66, v31
	v_mul_lo_u32 v31, v13, v6
	v_mul_lo_u32 v68, v12, v7
	v_mad_u64_u32 v[66:67], s[12:13], v12, v6, 0
	v_add3_u32 v67, v67, v68, v31
	v_lshl_add_u64 v[64:65], v[64:65], 3, v[8:9]
	v_lshl_add_u64 v[66:67], v[66:67], 3, v[8:9]
	s_mov_b64 s[48:49], 0
	v_mov_b64_e32 v[68:69], v[6:7]
                                        ; implicit-def: $sgpr46_sgpr47
                                        ; implicit-def: $sgpr50_sgpr51
                                        ; implicit-def: $sgpr54_sgpr55
                                        ; implicit-def: $sgpr52_sgpr53
                                        ; implicit-def: $sgpr56_sgpr57
                                        ; implicit-def: $sgpr58_sgpr59
	s_branch .LBB1616_806
.LBB1616_805:                           ;   in Loop: Header=BB1616_806 Depth=1
	s_or_b64 exec, exec, s[60:61]
	s_and_b64 s[12:13], exec, s[54:55]
	s_or_b64 s[48:49], s[12:13], s[48:49]
	s_andn2_b64 s[12:13], s[58:59], exec
	s_and_b64 s[36:37], s[56:57], exec
	s_or_b64 s[58:59], s[12:13], s[36:37]
	s_andn2_b64 s[12:13], s[50:51], exec
	s_and_b64 s[36:37], s[52:53], exec
	;; [unrolled: 3-line block ×3, first 2 shown]
	s_or_b64 s[46:47], s[12:13], s[34:35]
	s_andn2_b64 exec, exec, s[48:49]
	s_cbranch_execz .LBB1616_808
.LBB1616_806:                           ; =>This Inner Loop Header: Depth=1
	flat_load_dwordx2 v[70:71], v[66:67]
	flat_load_dwordx2 v[80:81], v[64:65]
	s_andn2_b64 s[56:57], s[56:57], exec
	s_or_b64 s[52:53], s[52:53], exec
	s_or_b64 s[54:55], s[54:55], exec
	s_waitcnt vmcnt(0) lgkmcnt(0)
	v_cmp_le_u64_e64 s[34:35], v[70:71], v[80:81]
	v_cmp_lt_u64_e64 s[12:13], v[70:71], v[80:81]
	s_and_b64 s[34:35], s[34:35], s[58:59]
	v_cmp_eq_u64_e64 s[36:37], v[70:71], v[80:81]
	s_or_b64 s[34:35], s[12:13], s[34:35]
	s_and_saveexec_b64 s[60:61], s[36:37]
	s_cbranch_execz .LBB1616_805
; %bb.807:                              ;   in Loop: Header=BB1616_806 Depth=1
	v_lshl_add_u64 v[68:69], v[68:69], 0, -1
	v_cmp_eq_u64_e64 s[12:13], 0, v[68:69]
	s_andn2_b64 s[36:37], s[56:57], exec
	s_and_b64 s[56:57], s[34:35], exec
	s_or_b64 s[56:57], s[36:37], s[56:57]
	s_andn2_b64 s[36:37], s[54:55], exec
	s_and_b64 s[12:13], s[12:13], exec
	v_lshl_add_u64 v[64:65], v[64:65], 0, 8
	v_lshl_add_u64 v[66:67], v[66:67], 0, 8
	s_andn2_b64 s[52:53], s[52:53], exec
	s_or_b64 s[54:55], s[36:37], s[12:13]
                                        ; implicit-def: $sgpr58_sgpr59
	s_branch .LBB1616_805
.LBB1616_808:
	s_or_b64 exec, exec, s[48:49]
	s_and_saveexec_b64 s[12:13], s[50:51]
	s_xor_b64 s[12:13], exec, s[12:13]
; %bb.809:
	v_cndmask_b32_e64 v65, v19, v13, s[46:47]
	v_cndmask_b32_e64 v64, v18, v12, s[46:47]
	;; [unrolled: 1-line block ×4, first 2 shown]
	v_mov_b64_e32 v[18:19], v[64:65]
; %bb.810:
	s_or_b64 exec, exec, s[12:13]
.LBB1616_811:
	s_or_b64 exec, exec, s[44:45]
	s_or_b64 exec, exec, s[42:43]
	s_and_saveexec_b64 s[42:43], s[16:17]
	s_cbranch_execz .LBB1616_765
.LBB1616_812:
	s_and_saveexec_b64 s[44:45], s[8:9]
	s_cbranch_execz .LBB1616_820
; %bb.813:
	v_mul_lo_u32 v31, v25, v6
	v_mul_lo_u32 v66, v24, v7
	v_mad_u64_u32 v[64:65], s[12:13], v24, v6, 0
	v_add3_u32 v65, v65, v66, v31
	v_mul_lo_u32 v31, v27, v6
	v_mul_lo_u32 v68, v26, v7
	v_mad_u64_u32 v[66:67], s[12:13], v26, v6, 0
	v_add3_u32 v67, v67, v68, v31
	v_lshl_add_u64 v[64:65], v[64:65], 3, v[8:9]
	v_lshl_add_u64 v[66:67], v[66:67], 3, v[8:9]
	s_mov_b64 s[48:49], 0
	v_mov_b64_e32 v[68:69], v[6:7]
                                        ; implicit-def: $sgpr46_sgpr47
                                        ; implicit-def: $sgpr50_sgpr51
                                        ; implicit-def: $sgpr54_sgpr55
                                        ; implicit-def: $sgpr52_sgpr53
                                        ; implicit-def: $sgpr56_sgpr57
                                        ; implicit-def: $sgpr58_sgpr59
	s_branch .LBB1616_815
.LBB1616_814:                           ;   in Loop: Header=BB1616_815 Depth=1
	s_or_b64 exec, exec, s[60:61]
	s_and_b64 s[12:13], exec, s[54:55]
	s_or_b64 s[48:49], s[12:13], s[48:49]
	s_andn2_b64 s[12:13], s[58:59], exec
	s_and_b64 s[36:37], s[56:57], exec
	s_or_b64 s[58:59], s[12:13], s[36:37]
	s_andn2_b64 s[12:13], s[50:51], exec
	s_and_b64 s[36:37], s[52:53], exec
	;; [unrolled: 3-line block ×3, first 2 shown]
	s_or_b64 s[46:47], s[12:13], s[34:35]
	s_andn2_b64 exec, exec, s[48:49]
	s_cbranch_execz .LBB1616_817
.LBB1616_815:                           ; =>This Inner Loop Header: Depth=1
	flat_load_dwordx2 v[70:71], v[66:67]
	flat_load_dwordx2 v[80:81], v[64:65]
	s_andn2_b64 s[56:57], s[56:57], exec
	s_or_b64 s[52:53], s[52:53], exec
	s_or_b64 s[54:55], s[54:55], exec
	s_waitcnt vmcnt(0) lgkmcnt(0)
	v_cmp_le_u64_e64 s[34:35], v[70:71], v[80:81]
	v_cmp_lt_u64_e64 s[12:13], v[70:71], v[80:81]
	s_and_b64 s[34:35], s[34:35], s[58:59]
	v_cmp_eq_u64_e64 s[36:37], v[70:71], v[80:81]
	s_or_b64 s[34:35], s[12:13], s[34:35]
	s_and_saveexec_b64 s[60:61], s[36:37]
	s_cbranch_execz .LBB1616_814
; %bb.816:                              ;   in Loop: Header=BB1616_815 Depth=1
	v_lshl_add_u64 v[68:69], v[68:69], 0, -1
	v_cmp_eq_u64_e64 s[12:13], 0, v[68:69]
	s_andn2_b64 s[36:37], s[56:57], exec
	s_and_b64 s[56:57], s[34:35], exec
	s_or_b64 s[56:57], s[36:37], s[56:57]
	s_andn2_b64 s[36:37], s[54:55], exec
	s_and_b64 s[12:13], s[12:13], exec
	v_lshl_add_u64 v[64:65], v[64:65], 0, 8
	v_lshl_add_u64 v[66:67], v[66:67], 0, 8
	s_andn2_b64 s[52:53], s[52:53], exec
	s_or_b64 s[54:55], s[36:37], s[12:13]
                                        ; implicit-def: $sgpr58_sgpr59
	s_branch .LBB1616_814
.LBB1616_817:
	s_or_b64 exec, exec, s[48:49]
	s_and_saveexec_b64 s[12:13], s[50:51]
	s_xor_b64 s[12:13], exec, s[12:13]
; %bb.818:
	v_cndmask_b32_e64 v65, v27, v25, s[46:47]
	v_cndmask_b32_e64 v64, v26, v24, s[46:47]
	;; [unrolled: 1-line block ×4, first 2 shown]
	v_mov_b64_e32 v[26:27], v[64:65]
; %bb.819:
	s_or_b64 exec, exec, s[12:13]
.LBB1616_820:
	s_or_b64 exec, exec, s[44:45]
	s_or_b64 exec, exec, s[42:43]
	s_and_saveexec_b64 s[42:43], s[18:19]
	s_cbranch_execz .LBB1616_766
.LBB1616_821:
	s_and_saveexec_b64 s[44:45], s[8:9]
	s_cbranch_execz .LBB1616_829
; %bb.822:
	v_mul_lo_u32 v31, v21, v6
	v_mul_lo_u32 v66, v20, v7
	v_mad_u64_u32 v[64:65], s[12:13], v20, v6, 0
	v_add3_u32 v65, v65, v66, v31
	v_mul_lo_u32 v31, v23, v6
	v_mul_lo_u32 v68, v22, v7
	v_mad_u64_u32 v[66:67], s[12:13], v22, v6, 0
	v_add3_u32 v67, v67, v68, v31
	v_lshl_add_u64 v[64:65], v[64:65], 3, v[8:9]
	v_lshl_add_u64 v[66:67], v[66:67], 3, v[8:9]
	s_mov_b64 s[48:49], 0
	v_mov_b64_e32 v[68:69], v[6:7]
                                        ; implicit-def: $sgpr46_sgpr47
                                        ; implicit-def: $sgpr50_sgpr51
                                        ; implicit-def: $sgpr54_sgpr55
                                        ; implicit-def: $sgpr52_sgpr53
                                        ; implicit-def: $sgpr56_sgpr57
                                        ; implicit-def: $sgpr58_sgpr59
	s_branch .LBB1616_824
.LBB1616_823:                           ;   in Loop: Header=BB1616_824 Depth=1
	s_or_b64 exec, exec, s[60:61]
	s_and_b64 s[12:13], exec, s[54:55]
	s_or_b64 s[48:49], s[12:13], s[48:49]
	s_andn2_b64 s[12:13], s[58:59], exec
	s_and_b64 s[36:37], s[56:57], exec
	s_or_b64 s[58:59], s[12:13], s[36:37]
	s_andn2_b64 s[12:13], s[50:51], exec
	s_and_b64 s[36:37], s[52:53], exec
	;; [unrolled: 3-line block ×3, first 2 shown]
	s_or_b64 s[46:47], s[12:13], s[34:35]
	s_andn2_b64 exec, exec, s[48:49]
	s_cbranch_execz .LBB1616_826
.LBB1616_824:                           ; =>This Inner Loop Header: Depth=1
	flat_load_dwordx2 v[70:71], v[66:67]
	flat_load_dwordx2 v[80:81], v[64:65]
	s_andn2_b64 s[56:57], s[56:57], exec
	s_or_b64 s[52:53], s[52:53], exec
	s_or_b64 s[54:55], s[54:55], exec
	s_waitcnt vmcnt(0) lgkmcnt(0)
	v_cmp_le_u64_e64 s[34:35], v[70:71], v[80:81]
	v_cmp_lt_u64_e64 s[12:13], v[70:71], v[80:81]
	s_and_b64 s[34:35], s[34:35], s[58:59]
	v_cmp_eq_u64_e64 s[36:37], v[70:71], v[80:81]
	s_or_b64 s[34:35], s[12:13], s[34:35]
	s_and_saveexec_b64 s[60:61], s[36:37]
	s_cbranch_execz .LBB1616_823
; %bb.825:                              ;   in Loop: Header=BB1616_824 Depth=1
	v_lshl_add_u64 v[68:69], v[68:69], 0, -1
	v_cmp_eq_u64_e64 s[12:13], 0, v[68:69]
	s_andn2_b64 s[36:37], s[56:57], exec
	s_and_b64 s[56:57], s[34:35], exec
	s_or_b64 s[56:57], s[36:37], s[56:57]
	s_andn2_b64 s[36:37], s[54:55], exec
	s_and_b64 s[12:13], s[12:13], exec
	v_lshl_add_u64 v[64:65], v[64:65], 0, 8
	v_lshl_add_u64 v[66:67], v[66:67], 0, 8
	s_andn2_b64 s[52:53], s[52:53], exec
	s_or_b64 s[54:55], s[36:37], s[12:13]
                                        ; implicit-def: $sgpr58_sgpr59
	s_branch .LBB1616_823
.LBB1616_826:
	s_or_b64 exec, exec, s[48:49]
	s_and_saveexec_b64 s[12:13], s[50:51]
	s_xor_b64 s[12:13], exec, s[12:13]
; %bb.827:
	v_cndmask_b32_e64 v65, v21, v23, s[46:47]
	v_cndmask_b32_e64 v64, v20, v22, s[46:47]
	;; [unrolled: 1-line block ×4, first 2 shown]
	v_mov_b64_e32 v[20:21], v[64:65]
; %bb.828:
	s_or_b64 exec, exec, s[12:13]
.LBB1616_829:
	s_or_b64 exec, exec, s[44:45]
	s_or_b64 exec, exec, s[42:43]
	s_and_saveexec_b64 s[42:43], s[20:21]
	s_cbranch_execz .LBB1616_767
.LBB1616_830:
	s_and_saveexec_b64 s[44:45], s[8:9]
	s_cbranch_execz .LBB1616_838
; %bb.831:
	v_mul_lo_u32 v31, v17, v6
	v_mul_lo_u32 v66, v16, v7
	v_mad_u64_u32 v[64:65], s[12:13], v16, v6, 0
	v_add3_u32 v65, v65, v66, v31
	v_mul_lo_u32 v31, v19, v6
	v_mul_lo_u32 v68, v18, v7
	v_mad_u64_u32 v[66:67], s[12:13], v18, v6, 0
	v_add3_u32 v67, v67, v68, v31
	v_lshl_add_u64 v[64:65], v[64:65], 3, v[8:9]
	v_lshl_add_u64 v[66:67], v[66:67], 3, v[8:9]
	s_mov_b64 s[48:49], 0
	v_mov_b64_e32 v[68:69], v[6:7]
                                        ; implicit-def: $sgpr46_sgpr47
                                        ; implicit-def: $sgpr50_sgpr51
                                        ; implicit-def: $sgpr54_sgpr55
                                        ; implicit-def: $sgpr52_sgpr53
                                        ; implicit-def: $sgpr56_sgpr57
                                        ; implicit-def: $sgpr58_sgpr59
	s_branch .LBB1616_833
.LBB1616_832:                           ;   in Loop: Header=BB1616_833 Depth=1
	s_or_b64 exec, exec, s[60:61]
	s_and_b64 s[12:13], exec, s[54:55]
	s_or_b64 s[48:49], s[12:13], s[48:49]
	s_andn2_b64 s[12:13], s[58:59], exec
	s_and_b64 s[36:37], s[56:57], exec
	s_or_b64 s[58:59], s[12:13], s[36:37]
	s_andn2_b64 s[12:13], s[50:51], exec
	s_and_b64 s[36:37], s[52:53], exec
	;; [unrolled: 3-line block ×3, first 2 shown]
	s_or_b64 s[46:47], s[12:13], s[34:35]
	s_andn2_b64 exec, exec, s[48:49]
	s_cbranch_execz .LBB1616_835
.LBB1616_833:                           ; =>This Inner Loop Header: Depth=1
	flat_load_dwordx2 v[70:71], v[66:67]
	flat_load_dwordx2 v[80:81], v[64:65]
	s_andn2_b64 s[56:57], s[56:57], exec
	s_or_b64 s[52:53], s[52:53], exec
	s_or_b64 s[54:55], s[54:55], exec
	s_waitcnt vmcnt(0) lgkmcnt(0)
	v_cmp_le_u64_e64 s[34:35], v[70:71], v[80:81]
	v_cmp_lt_u64_e64 s[12:13], v[70:71], v[80:81]
	s_and_b64 s[34:35], s[34:35], s[58:59]
	v_cmp_eq_u64_e64 s[36:37], v[70:71], v[80:81]
	s_or_b64 s[34:35], s[12:13], s[34:35]
	s_and_saveexec_b64 s[60:61], s[36:37]
	s_cbranch_execz .LBB1616_832
; %bb.834:                              ;   in Loop: Header=BB1616_833 Depth=1
	v_lshl_add_u64 v[68:69], v[68:69], 0, -1
	v_cmp_eq_u64_e64 s[12:13], 0, v[68:69]
	s_andn2_b64 s[36:37], s[56:57], exec
	s_and_b64 s[56:57], s[34:35], exec
	s_or_b64 s[56:57], s[36:37], s[56:57]
	s_andn2_b64 s[36:37], s[54:55], exec
	s_and_b64 s[12:13], s[12:13], exec
	v_lshl_add_u64 v[64:65], v[64:65], 0, 8
	v_lshl_add_u64 v[66:67], v[66:67], 0, 8
	s_andn2_b64 s[52:53], s[52:53], exec
	s_or_b64 s[54:55], s[36:37], s[12:13]
                                        ; implicit-def: $sgpr58_sgpr59
	s_branch .LBB1616_832
.LBB1616_835:
	s_or_b64 exec, exec, s[48:49]
	s_and_saveexec_b64 s[12:13], s[50:51]
	s_xor_b64 s[12:13], exec, s[12:13]
; %bb.836:
	v_cndmask_b32_e64 v65, v17, v19, s[46:47]
	v_cndmask_b32_e64 v64, v16, v18, s[46:47]
	;; [unrolled: 1-line block ×4, first 2 shown]
	v_mov_b64_e32 v[16:17], v[64:65]
; %bb.837:
	s_or_b64 exec, exec, s[12:13]
.LBB1616_838:
	s_or_b64 exec, exec, s[44:45]
	s_or_b64 exec, exec, s[42:43]
	s_and_saveexec_b64 s[42:43], s[22:23]
	s_cbranch_execz .LBB1616_768
.LBB1616_839:
	s_and_saveexec_b64 s[44:45], s[8:9]
	s_cbranch_execz .LBB1616_847
; %bb.840:
	v_mul_lo_u32 v31, v13, v6
	v_mul_lo_u32 v66, v12, v7
	v_mad_u64_u32 v[64:65], s[12:13], v12, v6, 0
	v_add3_u32 v65, v65, v66, v31
	v_mul_lo_u32 v31, v15, v6
	v_mul_lo_u32 v68, v14, v7
	v_mad_u64_u32 v[66:67], s[12:13], v14, v6, 0
	v_add3_u32 v67, v67, v68, v31
	v_lshl_add_u64 v[64:65], v[64:65], 3, v[8:9]
	v_lshl_add_u64 v[66:67], v[66:67], 3, v[8:9]
	s_mov_b64 s[48:49], 0
	v_mov_b64_e32 v[68:69], v[6:7]
                                        ; implicit-def: $sgpr46_sgpr47
                                        ; implicit-def: $sgpr50_sgpr51
                                        ; implicit-def: $sgpr54_sgpr55
                                        ; implicit-def: $sgpr52_sgpr53
                                        ; implicit-def: $sgpr56_sgpr57
                                        ; implicit-def: $sgpr58_sgpr59
	s_branch .LBB1616_842
.LBB1616_841:                           ;   in Loop: Header=BB1616_842 Depth=1
	s_or_b64 exec, exec, s[60:61]
	s_and_b64 s[12:13], exec, s[54:55]
	s_or_b64 s[48:49], s[12:13], s[48:49]
	s_andn2_b64 s[12:13], s[58:59], exec
	s_and_b64 s[36:37], s[56:57], exec
	s_or_b64 s[58:59], s[12:13], s[36:37]
	s_andn2_b64 s[12:13], s[50:51], exec
	s_and_b64 s[36:37], s[52:53], exec
	;; [unrolled: 3-line block ×3, first 2 shown]
	s_or_b64 s[46:47], s[12:13], s[34:35]
	s_andn2_b64 exec, exec, s[48:49]
	s_cbranch_execz .LBB1616_844
.LBB1616_842:                           ; =>This Inner Loop Header: Depth=1
	flat_load_dwordx2 v[70:71], v[66:67]
	flat_load_dwordx2 v[80:81], v[64:65]
	s_andn2_b64 s[56:57], s[56:57], exec
	s_or_b64 s[52:53], s[52:53], exec
	s_or_b64 s[54:55], s[54:55], exec
	s_waitcnt vmcnt(0) lgkmcnt(0)
	v_cmp_le_u64_e64 s[34:35], v[70:71], v[80:81]
	v_cmp_lt_u64_e64 s[12:13], v[70:71], v[80:81]
	s_and_b64 s[34:35], s[34:35], s[58:59]
	v_cmp_eq_u64_e64 s[36:37], v[70:71], v[80:81]
	s_or_b64 s[34:35], s[12:13], s[34:35]
	s_and_saveexec_b64 s[60:61], s[36:37]
	s_cbranch_execz .LBB1616_841
; %bb.843:                              ;   in Loop: Header=BB1616_842 Depth=1
	v_lshl_add_u64 v[68:69], v[68:69], 0, -1
	v_cmp_eq_u64_e64 s[12:13], 0, v[68:69]
	s_andn2_b64 s[36:37], s[56:57], exec
	s_and_b64 s[56:57], s[34:35], exec
	s_or_b64 s[56:57], s[36:37], s[56:57]
	s_andn2_b64 s[36:37], s[54:55], exec
	s_and_b64 s[12:13], s[12:13], exec
	v_lshl_add_u64 v[64:65], v[64:65], 0, 8
	v_lshl_add_u64 v[66:67], v[66:67], 0, 8
	s_andn2_b64 s[52:53], s[52:53], exec
	s_or_b64 s[54:55], s[36:37], s[12:13]
                                        ; implicit-def: $sgpr58_sgpr59
	s_branch .LBB1616_841
.LBB1616_844:
	s_or_b64 exec, exec, s[48:49]
	s_and_saveexec_b64 s[12:13], s[50:51]
	s_xor_b64 s[12:13], exec, s[12:13]
; %bb.845:
	v_cndmask_b32_e64 v65, v13, v15, s[46:47]
	v_cndmask_b32_e64 v64, v12, v14, s[46:47]
	;; [unrolled: 1-line block ×4, first 2 shown]
	v_mov_b64_e32 v[12:13], v[64:65]
; %bb.846:
	s_or_b64 exec, exec, s[12:13]
.LBB1616_847:
	s_or_b64 exec, exec, s[44:45]
	s_or_b64 exec, exec, s[42:43]
	s_and_saveexec_b64 s[42:43], s[24:25]
	s_cbranch_execz .LBB1616_769
.LBB1616_848:
	s_and_saveexec_b64 s[44:45], s[8:9]
	s_cbranch_execz .LBB1616_856
; %bb.849:
	v_mul_lo_u32 v31, v27, v6
	v_mul_lo_u32 v66, v26, v7
	v_mad_u64_u32 v[64:65], s[12:13], v26, v6, 0
	v_add3_u32 v65, v65, v66, v31
	v_mul_lo_u32 v31, v21, v6
	v_mul_lo_u32 v68, v20, v7
	v_mad_u64_u32 v[66:67], s[12:13], v20, v6, 0
	v_add3_u32 v67, v67, v68, v31
	v_lshl_add_u64 v[64:65], v[64:65], 3, v[8:9]
	v_lshl_add_u64 v[66:67], v[66:67], 3, v[8:9]
	s_mov_b64 s[48:49], 0
	v_mov_b64_e32 v[68:69], v[6:7]
                                        ; implicit-def: $sgpr46_sgpr47
                                        ; implicit-def: $sgpr50_sgpr51
                                        ; implicit-def: $sgpr54_sgpr55
                                        ; implicit-def: $sgpr52_sgpr53
                                        ; implicit-def: $sgpr56_sgpr57
                                        ; implicit-def: $sgpr58_sgpr59
	s_branch .LBB1616_851
.LBB1616_850:                           ;   in Loop: Header=BB1616_851 Depth=1
	s_or_b64 exec, exec, s[60:61]
	s_and_b64 s[12:13], exec, s[54:55]
	s_or_b64 s[48:49], s[12:13], s[48:49]
	s_andn2_b64 s[12:13], s[58:59], exec
	s_and_b64 s[36:37], s[56:57], exec
	s_or_b64 s[58:59], s[12:13], s[36:37]
	s_andn2_b64 s[12:13], s[50:51], exec
	s_and_b64 s[36:37], s[52:53], exec
	;; [unrolled: 3-line block ×3, first 2 shown]
	s_or_b64 s[46:47], s[12:13], s[34:35]
	s_andn2_b64 exec, exec, s[48:49]
	s_cbranch_execz .LBB1616_853
.LBB1616_851:                           ; =>This Inner Loop Header: Depth=1
	flat_load_dwordx2 v[70:71], v[66:67]
	flat_load_dwordx2 v[80:81], v[64:65]
	s_andn2_b64 s[56:57], s[56:57], exec
	s_or_b64 s[52:53], s[52:53], exec
	s_or_b64 s[54:55], s[54:55], exec
	s_waitcnt vmcnt(0) lgkmcnt(0)
	v_cmp_le_u64_e64 s[34:35], v[70:71], v[80:81]
	v_cmp_lt_u64_e64 s[12:13], v[70:71], v[80:81]
	s_and_b64 s[34:35], s[34:35], s[58:59]
	v_cmp_eq_u64_e64 s[36:37], v[70:71], v[80:81]
	s_or_b64 s[34:35], s[12:13], s[34:35]
	s_and_saveexec_b64 s[60:61], s[36:37]
	s_cbranch_execz .LBB1616_850
; %bb.852:                              ;   in Loop: Header=BB1616_851 Depth=1
	v_lshl_add_u64 v[68:69], v[68:69], 0, -1
	v_cmp_eq_u64_e64 s[12:13], 0, v[68:69]
	s_andn2_b64 s[36:37], s[56:57], exec
	s_and_b64 s[56:57], s[34:35], exec
	s_or_b64 s[56:57], s[36:37], s[56:57]
	s_andn2_b64 s[36:37], s[54:55], exec
	s_and_b64 s[12:13], s[12:13], exec
	v_lshl_add_u64 v[64:65], v[64:65], 0, 8
	v_lshl_add_u64 v[66:67], v[66:67], 0, 8
	s_andn2_b64 s[52:53], s[52:53], exec
	s_or_b64 s[54:55], s[36:37], s[12:13]
                                        ; implicit-def: $sgpr58_sgpr59
	s_branch .LBB1616_850
.LBB1616_853:
	s_or_b64 exec, exec, s[48:49]
	s_and_saveexec_b64 s[12:13], s[50:51]
	s_xor_b64 s[12:13], exec, s[12:13]
; %bb.854:
	v_cndmask_b32_e64 v65, v27, v21, s[46:47]
	v_cndmask_b32_e64 v64, v26, v20, s[46:47]
	;; [unrolled: 1-line block ×4, first 2 shown]
	v_mov_b64_e32 v[26:27], v[64:65]
; %bb.855:
	s_or_b64 exec, exec, s[12:13]
.LBB1616_856:
	s_or_b64 exec, exec, s[44:45]
	s_or_b64 exec, exec, s[42:43]
	s_and_saveexec_b64 s[42:43], s[26:27]
	s_cbranch_execz .LBB1616_770
.LBB1616_857:
	s_and_saveexec_b64 s[44:45], s[8:9]
	s_cbranch_execz .LBB1616_865
; %bb.858:
	v_mul_lo_u32 v31, v23, v6
	v_mul_lo_u32 v66, v22, v7
	v_mad_u64_u32 v[64:65], s[12:13], v22, v6, 0
	v_add3_u32 v65, v65, v66, v31
	v_mul_lo_u32 v31, v17, v6
	v_mul_lo_u32 v68, v16, v7
	v_mad_u64_u32 v[66:67], s[12:13], v16, v6, 0
	v_add3_u32 v67, v67, v68, v31
	v_lshl_add_u64 v[64:65], v[64:65], 3, v[8:9]
	v_lshl_add_u64 v[66:67], v[66:67], 3, v[8:9]
	s_mov_b64 s[48:49], 0
	v_mov_b64_e32 v[68:69], v[6:7]
                                        ; implicit-def: $sgpr46_sgpr47
                                        ; implicit-def: $sgpr50_sgpr51
                                        ; implicit-def: $sgpr54_sgpr55
                                        ; implicit-def: $sgpr52_sgpr53
                                        ; implicit-def: $sgpr56_sgpr57
                                        ; implicit-def: $sgpr58_sgpr59
	s_branch .LBB1616_860
.LBB1616_859:                           ;   in Loop: Header=BB1616_860 Depth=1
	s_or_b64 exec, exec, s[60:61]
	s_and_b64 s[12:13], exec, s[54:55]
	s_or_b64 s[48:49], s[12:13], s[48:49]
	s_andn2_b64 s[12:13], s[58:59], exec
	s_and_b64 s[36:37], s[56:57], exec
	s_or_b64 s[58:59], s[12:13], s[36:37]
	s_andn2_b64 s[12:13], s[50:51], exec
	s_and_b64 s[36:37], s[52:53], exec
	;; [unrolled: 3-line block ×3, first 2 shown]
	s_or_b64 s[46:47], s[12:13], s[34:35]
	s_andn2_b64 exec, exec, s[48:49]
	s_cbranch_execz .LBB1616_862
.LBB1616_860:                           ; =>This Inner Loop Header: Depth=1
	flat_load_dwordx2 v[70:71], v[66:67]
	flat_load_dwordx2 v[80:81], v[64:65]
	s_andn2_b64 s[56:57], s[56:57], exec
	s_or_b64 s[52:53], s[52:53], exec
	s_or_b64 s[54:55], s[54:55], exec
	s_waitcnt vmcnt(0) lgkmcnt(0)
	v_cmp_le_u64_e64 s[34:35], v[70:71], v[80:81]
	v_cmp_lt_u64_e64 s[12:13], v[70:71], v[80:81]
	s_and_b64 s[34:35], s[34:35], s[58:59]
	v_cmp_eq_u64_e64 s[36:37], v[70:71], v[80:81]
	s_or_b64 s[34:35], s[12:13], s[34:35]
	s_and_saveexec_b64 s[60:61], s[36:37]
	s_cbranch_execz .LBB1616_859
; %bb.861:                              ;   in Loop: Header=BB1616_860 Depth=1
	v_lshl_add_u64 v[68:69], v[68:69], 0, -1
	v_cmp_eq_u64_e64 s[12:13], 0, v[68:69]
	s_andn2_b64 s[36:37], s[56:57], exec
	s_and_b64 s[56:57], s[34:35], exec
	s_or_b64 s[56:57], s[36:37], s[56:57]
	s_andn2_b64 s[36:37], s[54:55], exec
	s_and_b64 s[12:13], s[12:13], exec
	v_lshl_add_u64 v[64:65], v[64:65], 0, 8
	v_lshl_add_u64 v[66:67], v[66:67], 0, 8
	s_andn2_b64 s[52:53], s[52:53], exec
	s_or_b64 s[54:55], s[36:37], s[12:13]
                                        ; implicit-def: $sgpr58_sgpr59
	s_branch .LBB1616_859
.LBB1616_862:
	s_or_b64 exec, exec, s[48:49]
	s_and_saveexec_b64 s[12:13], s[50:51]
	s_xor_b64 s[12:13], exec, s[12:13]
; %bb.863:
	v_cndmask_b32_e64 v65, v23, v17, s[46:47]
	v_cndmask_b32_e64 v64, v22, v16, s[46:47]
	;; [unrolled: 1-line block ×4, first 2 shown]
	v_mov_b64_e32 v[22:23], v[64:65]
; %bb.864:
	s_or_b64 exec, exec, s[12:13]
.LBB1616_865:
	s_or_b64 exec, exec, s[44:45]
	s_or_b64 exec, exec, s[42:43]
	s_and_saveexec_b64 s[42:43], s[28:29]
	s_cbranch_execz .LBB1616_771
.LBB1616_866:
	s_and_saveexec_b64 s[44:45], s[8:9]
	s_cbranch_execz .LBB1616_874
; %bb.867:
	v_mul_lo_u32 v31, v19, v6
	v_mul_lo_u32 v66, v18, v7
	v_mad_u64_u32 v[64:65], s[12:13], v18, v6, 0
	v_add3_u32 v65, v65, v66, v31
	v_mul_lo_u32 v31, v13, v6
	v_mul_lo_u32 v68, v12, v7
	v_mad_u64_u32 v[66:67], s[12:13], v12, v6, 0
	v_add3_u32 v67, v67, v68, v31
	v_lshl_add_u64 v[64:65], v[64:65], 3, v[8:9]
	v_lshl_add_u64 v[66:67], v[66:67], 3, v[8:9]
	s_mov_b64 s[48:49], 0
	v_mov_b64_e32 v[68:69], v[6:7]
                                        ; implicit-def: $sgpr46_sgpr47
                                        ; implicit-def: $sgpr50_sgpr51
                                        ; implicit-def: $sgpr54_sgpr55
                                        ; implicit-def: $sgpr52_sgpr53
                                        ; implicit-def: $sgpr56_sgpr57
                                        ; implicit-def: $sgpr58_sgpr59
	s_branch .LBB1616_869
.LBB1616_868:                           ;   in Loop: Header=BB1616_869 Depth=1
	s_or_b64 exec, exec, s[60:61]
	s_and_b64 s[12:13], exec, s[54:55]
	s_or_b64 s[48:49], s[12:13], s[48:49]
	s_andn2_b64 s[12:13], s[58:59], exec
	s_and_b64 s[36:37], s[56:57], exec
	s_or_b64 s[58:59], s[12:13], s[36:37]
	s_andn2_b64 s[12:13], s[50:51], exec
	s_and_b64 s[36:37], s[52:53], exec
	;; [unrolled: 3-line block ×3, first 2 shown]
	s_or_b64 s[46:47], s[12:13], s[34:35]
	s_andn2_b64 exec, exec, s[48:49]
	s_cbranch_execz .LBB1616_871
.LBB1616_869:                           ; =>This Inner Loop Header: Depth=1
	flat_load_dwordx2 v[70:71], v[66:67]
	flat_load_dwordx2 v[80:81], v[64:65]
	s_andn2_b64 s[56:57], s[56:57], exec
	s_or_b64 s[52:53], s[52:53], exec
	s_or_b64 s[54:55], s[54:55], exec
	s_waitcnt vmcnt(0) lgkmcnt(0)
	v_cmp_le_u64_e64 s[34:35], v[70:71], v[80:81]
	v_cmp_lt_u64_e64 s[12:13], v[70:71], v[80:81]
	s_and_b64 s[34:35], s[34:35], s[58:59]
	v_cmp_eq_u64_e64 s[36:37], v[70:71], v[80:81]
	s_or_b64 s[34:35], s[12:13], s[34:35]
	s_and_saveexec_b64 s[60:61], s[36:37]
	s_cbranch_execz .LBB1616_868
; %bb.870:                              ;   in Loop: Header=BB1616_869 Depth=1
	v_lshl_add_u64 v[68:69], v[68:69], 0, -1
	v_cmp_eq_u64_e64 s[12:13], 0, v[68:69]
	s_andn2_b64 s[36:37], s[56:57], exec
	s_and_b64 s[56:57], s[34:35], exec
	s_or_b64 s[56:57], s[36:37], s[56:57]
	s_andn2_b64 s[36:37], s[54:55], exec
	s_and_b64 s[12:13], s[12:13], exec
	v_lshl_add_u64 v[64:65], v[64:65], 0, 8
	v_lshl_add_u64 v[66:67], v[66:67], 0, 8
	s_andn2_b64 s[52:53], s[52:53], exec
	s_or_b64 s[54:55], s[36:37], s[12:13]
                                        ; implicit-def: $sgpr58_sgpr59
	s_branch .LBB1616_868
.LBB1616_871:
	s_or_b64 exec, exec, s[48:49]
	s_and_saveexec_b64 s[12:13], s[50:51]
	s_xor_b64 s[12:13], exec, s[12:13]
; %bb.872:
	v_cndmask_b32_e64 v65, v19, v13, s[46:47]
	v_cndmask_b32_e64 v64, v18, v12, s[46:47]
	;; [unrolled: 1-line block ×4, first 2 shown]
	v_mov_b64_e32 v[18:19], v[64:65]
; %bb.873:
	s_or_b64 exec, exec, s[12:13]
.LBB1616_874:
	s_or_b64 exec, exec, s[44:45]
	s_or_b64 exec, exec, s[42:43]
	s_and_saveexec_b64 s[42:43], s[16:17]
	s_cbranch_execz .LBB1616_772
.LBB1616_875:
	s_and_saveexec_b64 s[44:45], s[8:9]
	s_cbranch_execz .LBB1616_883
; %bb.876:
	v_mul_lo_u32 v31, v25, v6
	v_mul_lo_u32 v66, v24, v7
	v_mad_u64_u32 v[64:65], s[12:13], v24, v6, 0
	v_add3_u32 v65, v65, v66, v31
	v_mul_lo_u32 v31, v27, v6
	v_mul_lo_u32 v68, v26, v7
	v_mad_u64_u32 v[66:67], s[12:13], v26, v6, 0
	v_add3_u32 v67, v67, v68, v31
	v_lshl_add_u64 v[64:65], v[64:65], 3, v[8:9]
	v_lshl_add_u64 v[66:67], v[66:67], 3, v[8:9]
	s_mov_b64 s[48:49], 0
	v_mov_b64_e32 v[68:69], v[6:7]
                                        ; implicit-def: $sgpr46_sgpr47
                                        ; implicit-def: $sgpr50_sgpr51
                                        ; implicit-def: $sgpr54_sgpr55
                                        ; implicit-def: $sgpr52_sgpr53
                                        ; implicit-def: $sgpr56_sgpr57
                                        ; implicit-def: $sgpr58_sgpr59
	s_branch .LBB1616_878
.LBB1616_877:                           ;   in Loop: Header=BB1616_878 Depth=1
	s_or_b64 exec, exec, s[60:61]
	s_and_b64 s[12:13], exec, s[54:55]
	s_or_b64 s[48:49], s[12:13], s[48:49]
	s_andn2_b64 s[12:13], s[58:59], exec
	s_and_b64 s[36:37], s[56:57], exec
	s_or_b64 s[58:59], s[12:13], s[36:37]
	s_andn2_b64 s[12:13], s[50:51], exec
	s_and_b64 s[36:37], s[52:53], exec
	;; [unrolled: 3-line block ×3, first 2 shown]
	s_or_b64 s[46:47], s[12:13], s[34:35]
	s_andn2_b64 exec, exec, s[48:49]
	s_cbranch_execz .LBB1616_880
.LBB1616_878:                           ; =>This Inner Loop Header: Depth=1
	flat_load_dwordx2 v[70:71], v[66:67]
	flat_load_dwordx2 v[80:81], v[64:65]
	s_andn2_b64 s[56:57], s[56:57], exec
	s_or_b64 s[52:53], s[52:53], exec
	s_or_b64 s[54:55], s[54:55], exec
	s_waitcnt vmcnt(0) lgkmcnt(0)
	v_cmp_le_u64_e64 s[34:35], v[70:71], v[80:81]
	v_cmp_lt_u64_e64 s[12:13], v[70:71], v[80:81]
	s_and_b64 s[34:35], s[34:35], s[58:59]
	v_cmp_eq_u64_e64 s[36:37], v[70:71], v[80:81]
	s_or_b64 s[34:35], s[12:13], s[34:35]
	s_and_saveexec_b64 s[60:61], s[36:37]
	s_cbranch_execz .LBB1616_877
; %bb.879:                              ;   in Loop: Header=BB1616_878 Depth=1
	v_lshl_add_u64 v[68:69], v[68:69], 0, -1
	v_cmp_eq_u64_e64 s[12:13], 0, v[68:69]
	s_andn2_b64 s[36:37], s[56:57], exec
	s_and_b64 s[56:57], s[34:35], exec
	s_or_b64 s[56:57], s[36:37], s[56:57]
	s_andn2_b64 s[36:37], s[54:55], exec
	s_and_b64 s[12:13], s[12:13], exec
	v_lshl_add_u64 v[64:65], v[64:65], 0, 8
	v_lshl_add_u64 v[66:67], v[66:67], 0, 8
	s_andn2_b64 s[52:53], s[52:53], exec
	s_or_b64 s[54:55], s[36:37], s[12:13]
                                        ; implicit-def: $sgpr58_sgpr59
	s_branch .LBB1616_877
.LBB1616_880:
	s_or_b64 exec, exec, s[48:49]
	s_and_saveexec_b64 s[12:13], s[50:51]
	s_xor_b64 s[12:13], exec, s[12:13]
; %bb.881:
	v_cndmask_b32_e64 v65, v27, v25, s[46:47]
	v_cndmask_b32_e64 v64, v26, v24, s[46:47]
	;; [unrolled: 1-line block ×4, first 2 shown]
	v_mov_b64_e32 v[26:27], v[64:65]
; %bb.882:
	s_or_b64 exec, exec, s[12:13]
.LBB1616_883:
	s_or_b64 exec, exec, s[44:45]
	s_or_b64 exec, exec, s[42:43]
	s_and_saveexec_b64 s[42:43], s[18:19]
	s_cbranch_execz .LBB1616_773
.LBB1616_884:
	s_and_saveexec_b64 s[44:45], s[8:9]
	s_cbranch_execz .LBB1616_892
; %bb.885:
	v_mul_lo_u32 v31, v21, v6
	v_mul_lo_u32 v66, v20, v7
	v_mad_u64_u32 v[64:65], s[12:13], v20, v6, 0
	v_add3_u32 v65, v65, v66, v31
	v_mul_lo_u32 v31, v23, v6
	v_mul_lo_u32 v68, v22, v7
	v_mad_u64_u32 v[66:67], s[12:13], v22, v6, 0
	v_add3_u32 v67, v67, v68, v31
	v_lshl_add_u64 v[64:65], v[64:65], 3, v[8:9]
	v_lshl_add_u64 v[66:67], v[66:67], 3, v[8:9]
	s_mov_b64 s[48:49], 0
	v_mov_b64_e32 v[68:69], v[6:7]
                                        ; implicit-def: $sgpr46_sgpr47
                                        ; implicit-def: $sgpr50_sgpr51
                                        ; implicit-def: $sgpr54_sgpr55
                                        ; implicit-def: $sgpr52_sgpr53
                                        ; implicit-def: $sgpr56_sgpr57
                                        ; implicit-def: $sgpr58_sgpr59
	s_branch .LBB1616_887
.LBB1616_886:                           ;   in Loop: Header=BB1616_887 Depth=1
	s_or_b64 exec, exec, s[60:61]
	s_and_b64 s[12:13], exec, s[54:55]
	s_or_b64 s[48:49], s[12:13], s[48:49]
	s_andn2_b64 s[12:13], s[58:59], exec
	s_and_b64 s[36:37], s[56:57], exec
	s_or_b64 s[58:59], s[12:13], s[36:37]
	s_andn2_b64 s[12:13], s[50:51], exec
	s_and_b64 s[36:37], s[52:53], exec
	;; [unrolled: 3-line block ×3, first 2 shown]
	s_or_b64 s[46:47], s[12:13], s[34:35]
	s_andn2_b64 exec, exec, s[48:49]
	s_cbranch_execz .LBB1616_889
.LBB1616_887:                           ; =>This Inner Loop Header: Depth=1
	flat_load_dwordx2 v[70:71], v[66:67]
	flat_load_dwordx2 v[80:81], v[64:65]
	s_andn2_b64 s[56:57], s[56:57], exec
	s_or_b64 s[52:53], s[52:53], exec
	s_or_b64 s[54:55], s[54:55], exec
	s_waitcnt vmcnt(0) lgkmcnt(0)
	v_cmp_le_u64_e64 s[34:35], v[70:71], v[80:81]
	v_cmp_lt_u64_e64 s[12:13], v[70:71], v[80:81]
	s_and_b64 s[34:35], s[34:35], s[58:59]
	v_cmp_eq_u64_e64 s[36:37], v[70:71], v[80:81]
	s_or_b64 s[34:35], s[12:13], s[34:35]
	s_and_saveexec_b64 s[60:61], s[36:37]
	s_cbranch_execz .LBB1616_886
; %bb.888:                              ;   in Loop: Header=BB1616_887 Depth=1
	v_lshl_add_u64 v[68:69], v[68:69], 0, -1
	v_cmp_eq_u64_e64 s[12:13], 0, v[68:69]
	s_andn2_b64 s[36:37], s[56:57], exec
	s_and_b64 s[56:57], s[34:35], exec
	s_or_b64 s[56:57], s[36:37], s[56:57]
	s_andn2_b64 s[36:37], s[54:55], exec
	s_and_b64 s[12:13], s[12:13], exec
	v_lshl_add_u64 v[64:65], v[64:65], 0, 8
	v_lshl_add_u64 v[66:67], v[66:67], 0, 8
	s_andn2_b64 s[52:53], s[52:53], exec
	s_or_b64 s[54:55], s[36:37], s[12:13]
                                        ; implicit-def: $sgpr58_sgpr59
	s_branch .LBB1616_886
.LBB1616_889:
	s_or_b64 exec, exec, s[48:49]
	s_and_saveexec_b64 s[12:13], s[50:51]
	s_xor_b64 s[12:13], exec, s[12:13]
; %bb.890:
	v_cndmask_b32_e64 v65, v21, v23, s[46:47]
	v_cndmask_b32_e64 v64, v20, v22, s[46:47]
	;; [unrolled: 1-line block ×4, first 2 shown]
	v_mov_b64_e32 v[20:21], v[64:65]
; %bb.891:
	s_or_b64 exec, exec, s[12:13]
.LBB1616_892:
	s_or_b64 exec, exec, s[44:45]
	s_or_b64 exec, exec, s[42:43]
	s_and_saveexec_b64 s[42:43], s[20:21]
	s_cbranch_execz .LBB1616_774
.LBB1616_893:
	s_and_saveexec_b64 s[44:45], s[8:9]
	s_cbranch_execz .LBB1616_901
; %bb.894:
	v_mul_lo_u32 v31, v17, v6
	v_mul_lo_u32 v66, v16, v7
	v_mad_u64_u32 v[64:65], s[12:13], v16, v6, 0
	v_add3_u32 v65, v65, v66, v31
	v_mul_lo_u32 v31, v19, v6
	v_mul_lo_u32 v68, v18, v7
	v_mad_u64_u32 v[66:67], s[12:13], v18, v6, 0
	v_add3_u32 v67, v67, v68, v31
	v_lshl_add_u64 v[64:65], v[64:65], 3, v[8:9]
	v_lshl_add_u64 v[66:67], v[66:67], 3, v[8:9]
	s_mov_b64 s[48:49], 0
	v_mov_b64_e32 v[68:69], v[6:7]
                                        ; implicit-def: $sgpr46_sgpr47
                                        ; implicit-def: $sgpr50_sgpr51
                                        ; implicit-def: $sgpr54_sgpr55
                                        ; implicit-def: $sgpr52_sgpr53
                                        ; implicit-def: $sgpr56_sgpr57
                                        ; implicit-def: $sgpr58_sgpr59
	s_branch .LBB1616_896
.LBB1616_895:                           ;   in Loop: Header=BB1616_896 Depth=1
	s_or_b64 exec, exec, s[60:61]
	s_and_b64 s[12:13], exec, s[54:55]
	s_or_b64 s[48:49], s[12:13], s[48:49]
	s_andn2_b64 s[12:13], s[58:59], exec
	s_and_b64 s[36:37], s[56:57], exec
	s_or_b64 s[58:59], s[12:13], s[36:37]
	s_andn2_b64 s[12:13], s[50:51], exec
	s_and_b64 s[36:37], s[52:53], exec
	;; [unrolled: 3-line block ×3, first 2 shown]
	s_or_b64 s[46:47], s[12:13], s[34:35]
	s_andn2_b64 exec, exec, s[48:49]
	s_cbranch_execz .LBB1616_898
.LBB1616_896:                           ; =>This Inner Loop Header: Depth=1
	flat_load_dwordx2 v[70:71], v[66:67]
	flat_load_dwordx2 v[80:81], v[64:65]
	s_andn2_b64 s[56:57], s[56:57], exec
	s_or_b64 s[52:53], s[52:53], exec
	s_or_b64 s[54:55], s[54:55], exec
	s_waitcnt vmcnt(0) lgkmcnt(0)
	v_cmp_le_u64_e64 s[34:35], v[70:71], v[80:81]
	v_cmp_lt_u64_e64 s[12:13], v[70:71], v[80:81]
	s_and_b64 s[34:35], s[34:35], s[58:59]
	v_cmp_eq_u64_e64 s[36:37], v[70:71], v[80:81]
	s_or_b64 s[34:35], s[12:13], s[34:35]
	s_and_saveexec_b64 s[60:61], s[36:37]
	s_cbranch_execz .LBB1616_895
; %bb.897:                              ;   in Loop: Header=BB1616_896 Depth=1
	v_lshl_add_u64 v[68:69], v[68:69], 0, -1
	v_cmp_eq_u64_e64 s[12:13], 0, v[68:69]
	s_andn2_b64 s[36:37], s[56:57], exec
	s_and_b64 s[56:57], s[34:35], exec
	s_or_b64 s[56:57], s[36:37], s[56:57]
	s_andn2_b64 s[36:37], s[54:55], exec
	s_and_b64 s[12:13], s[12:13], exec
	v_lshl_add_u64 v[64:65], v[64:65], 0, 8
	v_lshl_add_u64 v[66:67], v[66:67], 0, 8
	s_andn2_b64 s[52:53], s[52:53], exec
	s_or_b64 s[54:55], s[36:37], s[12:13]
                                        ; implicit-def: $sgpr58_sgpr59
	s_branch .LBB1616_895
.LBB1616_898:
	s_or_b64 exec, exec, s[48:49]
	s_and_saveexec_b64 s[12:13], s[50:51]
	s_xor_b64 s[12:13], exec, s[12:13]
; %bb.899:
	v_cndmask_b32_e64 v65, v17, v19, s[46:47]
	v_cndmask_b32_e64 v64, v16, v18, s[46:47]
	v_cndmask_b32_e64 v19, v19, v17, s[46:47]
	v_cndmask_b32_e64 v18, v18, v16, s[46:47]
	v_mov_b64_e32 v[16:17], v[64:65]
; %bb.900:
	s_or_b64 exec, exec, s[12:13]
.LBB1616_901:
	s_or_b64 exec, exec, s[44:45]
	s_or_b64 exec, exec, s[42:43]
	s_and_saveexec_b64 s[42:43], s[22:23]
	s_cbranch_execz .LBB1616_775
.LBB1616_902:
	s_and_saveexec_b64 s[44:45], s[8:9]
	s_cbranch_execz .LBB1616_910
; %bb.903:
	v_mul_lo_u32 v31, v13, v6
	v_mul_lo_u32 v66, v12, v7
	v_mad_u64_u32 v[64:65], s[12:13], v12, v6, 0
	v_add3_u32 v65, v65, v66, v31
	v_mul_lo_u32 v31, v15, v6
	v_mul_lo_u32 v68, v14, v7
	v_mad_u64_u32 v[66:67], s[12:13], v14, v6, 0
	v_add3_u32 v67, v67, v68, v31
	v_lshl_add_u64 v[64:65], v[64:65], 3, v[8:9]
	v_lshl_add_u64 v[66:67], v[66:67], 3, v[8:9]
	s_mov_b64 s[48:49], 0
	v_mov_b64_e32 v[68:69], v[6:7]
                                        ; implicit-def: $sgpr46_sgpr47
                                        ; implicit-def: $sgpr50_sgpr51
                                        ; implicit-def: $sgpr54_sgpr55
                                        ; implicit-def: $sgpr52_sgpr53
                                        ; implicit-def: $sgpr56_sgpr57
                                        ; implicit-def: $sgpr58_sgpr59
	s_branch .LBB1616_905
.LBB1616_904:                           ;   in Loop: Header=BB1616_905 Depth=1
	s_or_b64 exec, exec, s[60:61]
	s_and_b64 s[12:13], exec, s[54:55]
	s_or_b64 s[48:49], s[12:13], s[48:49]
	s_andn2_b64 s[12:13], s[58:59], exec
	s_and_b64 s[36:37], s[56:57], exec
	s_or_b64 s[58:59], s[12:13], s[36:37]
	s_andn2_b64 s[12:13], s[50:51], exec
	s_and_b64 s[36:37], s[52:53], exec
	;; [unrolled: 3-line block ×3, first 2 shown]
	s_or_b64 s[46:47], s[12:13], s[34:35]
	s_andn2_b64 exec, exec, s[48:49]
	s_cbranch_execz .LBB1616_907
.LBB1616_905:                           ; =>This Inner Loop Header: Depth=1
	flat_load_dwordx2 v[70:71], v[66:67]
	flat_load_dwordx2 v[80:81], v[64:65]
	s_andn2_b64 s[56:57], s[56:57], exec
	s_or_b64 s[52:53], s[52:53], exec
	s_or_b64 s[54:55], s[54:55], exec
	s_waitcnt vmcnt(0) lgkmcnt(0)
	v_cmp_le_u64_e64 s[34:35], v[70:71], v[80:81]
	v_cmp_lt_u64_e64 s[12:13], v[70:71], v[80:81]
	s_and_b64 s[34:35], s[34:35], s[58:59]
	v_cmp_eq_u64_e64 s[36:37], v[70:71], v[80:81]
	s_or_b64 s[34:35], s[12:13], s[34:35]
	s_and_saveexec_b64 s[60:61], s[36:37]
	s_cbranch_execz .LBB1616_904
; %bb.906:                              ;   in Loop: Header=BB1616_905 Depth=1
	v_lshl_add_u64 v[68:69], v[68:69], 0, -1
	v_cmp_eq_u64_e64 s[12:13], 0, v[68:69]
	s_andn2_b64 s[36:37], s[56:57], exec
	s_and_b64 s[56:57], s[34:35], exec
	s_or_b64 s[56:57], s[36:37], s[56:57]
	s_andn2_b64 s[36:37], s[54:55], exec
	s_and_b64 s[12:13], s[12:13], exec
	v_lshl_add_u64 v[64:65], v[64:65], 0, 8
	v_lshl_add_u64 v[66:67], v[66:67], 0, 8
	s_andn2_b64 s[52:53], s[52:53], exec
	s_or_b64 s[54:55], s[36:37], s[12:13]
                                        ; implicit-def: $sgpr58_sgpr59
	s_branch .LBB1616_904
.LBB1616_907:
	s_or_b64 exec, exec, s[48:49]
	s_and_saveexec_b64 s[12:13], s[50:51]
	s_xor_b64 s[12:13], exec, s[12:13]
; %bb.908:
	v_cndmask_b32_e64 v65, v13, v15, s[46:47]
	v_cndmask_b32_e64 v64, v12, v14, s[46:47]
	v_cndmask_b32_e64 v15, v15, v13, s[46:47]
	v_cndmask_b32_e64 v14, v14, v12, s[46:47]
	v_mov_b64_e32 v[12:13], v[64:65]
; %bb.909:
	s_or_b64 exec, exec, s[12:13]
.LBB1616_910:
	s_or_b64 exec, exec, s[44:45]
	s_or_b64 exec, exec, s[42:43]
	s_and_saveexec_b64 s[42:43], s[24:25]
	s_cbranch_execz .LBB1616_776
.LBB1616_911:
	s_and_saveexec_b64 s[44:45], s[8:9]
	s_cbranch_execz .LBB1616_919
; %bb.912:
	v_mul_lo_u32 v31, v27, v6
	v_mul_lo_u32 v66, v26, v7
	v_mad_u64_u32 v[64:65], s[12:13], v26, v6, 0
	v_add3_u32 v65, v65, v66, v31
	v_mul_lo_u32 v31, v21, v6
	v_mul_lo_u32 v68, v20, v7
	v_mad_u64_u32 v[66:67], s[12:13], v20, v6, 0
	v_add3_u32 v67, v67, v68, v31
	v_lshl_add_u64 v[64:65], v[64:65], 3, v[8:9]
	v_lshl_add_u64 v[66:67], v[66:67], 3, v[8:9]
	s_mov_b64 s[48:49], 0
	v_mov_b64_e32 v[68:69], v[6:7]
                                        ; implicit-def: $sgpr46_sgpr47
                                        ; implicit-def: $sgpr50_sgpr51
                                        ; implicit-def: $sgpr54_sgpr55
                                        ; implicit-def: $sgpr52_sgpr53
                                        ; implicit-def: $sgpr56_sgpr57
                                        ; implicit-def: $sgpr58_sgpr59
	s_branch .LBB1616_914
.LBB1616_913:                           ;   in Loop: Header=BB1616_914 Depth=1
	s_or_b64 exec, exec, s[60:61]
	s_and_b64 s[12:13], exec, s[54:55]
	s_or_b64 s[48:49], s[12:13], s[48:49]
	s_andn2_b64 s[12:13], s[58:59], exec
	s_and_b64 s[36:37], s[56:57], exec
	s_or_b64 s[58:59], s[12:13], s[36:37]
	s_andn2_b64 s[12:13], s[50:51], exec
	s_and_b64 s[36:37], s[52:53], exec
	;; [unrolled: 3-line block ×3, first 2 shown]
	s_or_b64 s[46:47], s[12:13], s[34:35]
	s_andn2_b64 exec, exec, s[48:49]
	s_cbranch_execz .LBB1616_916
.LBB1616_914:                           ; =>This Inner Loop Header: Depth=1
	flat_load_dwordx2 v[70:71], v[66:67]
	flat_load_dwordx2 v[80:81], v[64:65]
	s_andn2_b64 s[56:57], s[56:57], exec
	s_or_b64 s[52:53], s[52:53], exec
	s_or_b64 s[54:55], s[54:55], exec
	s_waitcnt vmcnt(0) lgkmcnt(0)
	v_cmp_le_u64_e64 s[34:35], v[70:71], v[80:81]
	v_cmp_lt_u64_e64 s[12:13], v[70:71], v[80:81]
	s_and_b64 s[34:35], s[34:35], s[58:59]
	v_cmp_eq_u64_e64 s[36:37], v[70:71], v[80:81]
	s_or_b64 s[34:35], s[12:13], s[34:35]
	s_and_saveexec_b64 s[60:61], s[36:37]
	s_cbranch_execz .LBB1616_913
; %bb.915:                              ;   in Loop: Header=BB1616_914 Depth=1
	v_lshl_add_u64 v[68:69], v[68:69], 0, -1
	v_cmp_eq_u64_e64 s[12:13], 0, v[68:69]
	s_andn2_b64 s[36:37], s[56:57], exec
	s_and_b64 s[56:57], s[34:35], exec
	s_or_b64 s[56:57], s[36:37], s[56:57]
	s_andn2_b64 s[36:37], s[54:55], exec
	s_and_b64 s[12:13], s[12:13], exec
	v_lshl_add_u64 v[64:65], v[64:65], 0, 8
	v_lshl_add_u64 v[66:67], v[66:67], 0, 8
	s_andn2_b64 s[52:53], s[52:53], exec
	s_or_b64 s[54:55], s[36:37], s[12:13]
                                        ; implicit-def: $sgpr58_sgpr59
	s_branch .LBB1616_913
.LBB1616_916:
	s_or_b64 exec, exec, s[48:49]
	s_and_saveexec_b64 s[12:13], s[50:51]
	s_xor_b64 s[12:13], exec, s[12:13]
; %bb.917:
	v_cndmask_b32_e64 v65, v27, v21, s[46:47]
	v_cndmask_b32_e64 v64, v26, v20, s[46:47]
	;; [unrolled: 1-line block ×4, first 2 shown]
	v_mov_b64_e32 v[26:27], v[64:65]
; %bb.918:
	s_or_b64 exec, exec, s[12:13]
.LBB1616_919:
	s_or_b64 exec, exec, s[44:45]
	s_or_b64 exec, exec, s[42:43]
	s_and_saveexec_b64 s[42:43], s[26:27]
	s_cbranch_execz .LBB1616_777
.LBB1616_920:
	s_and_saveexec_b64 s[44:45], s[8:9]
	s_cbranch_execz .LBB1616_928
; %bb.921:
	v_mul_lo_u32 v31, v23, v6
	v_mul_lo_u32 v66, v22, v7
	v_mad_u64_u32 v[64:65], s[12:13], v22, v6, 0
	v_add3_u32 v65, v65, v66, v31
	v_mul_lo_u32 v31, v17, v6
	v_mul_lo_u32 v68, v16, v7
	v_mad_u64_u32 v[66:67], s[12:13], v16, v6, 0
	v_add3_u32 v67, v67, v68, v31
	v_lshl_add_u64 v[64:65], v[64:65], 3, v[8:9]
	v_lshl_add_u64 v[66:67], v[66:67], 3, v[8:9]
	s_mov_b64 s[48:49], 0
	v_mov_b64_e32 v[68:69], v[6:7]
                                        ; implicit-def: $sgpr46_sgpr47
                                        ; implicit-def: $sgpr50_sgpr51
                                        ; implicit-def: $sgpr54_sgpr55
                                        ; implicit-def: $sgpr52_sgpr53
                                        ; implicit-def: $sgpr56_sgpr57
                                        ; implicit-def: $sgpr58_sgpr59
	s_branch .LBB1616_923
.LBB1616_922:                           ;   in Loop: Header=BB1616_923 Depth=1
	s_or_b64 exec, exec, s[60:61]
	s_and_b64 s[12:13], exec, s[54:55]
	s_or_b64 s[48:49], s[12:13], s[48:49]
	s_andn2_b64 s[12:13], s[58:59], exec
	s_and_b64 s[36:37], s[56:57], exec
	s_or_b64 s[58:59], s[12:13], s[36:37]
	s_andn2_b64 s[12:13], s[50:51], exec
	s_and_b64 s[36:37], s[52:53], exec
	;; [unrolled: 3-line block ×3, first 2 shown]
	s_or_b64 s[46:47], s[12:13], s[34:35]
	s_andn2_b64 exec, exec, s[48:49]
	s_cbranch_execz .LBB1616_925
.LBB1616_923:                           ; =>This Inner Loop Header: Depth=1
	flat_load_dwordx2 v[70:71], v[66:67]
	flat_load_dwordx2 v[80:81], v[64:65]
	s_andn2_b64 s[56:57], s[56:57], exec
	s_or_b64 s[52:53], s[52:53], exec
	s_or_b64 s[54:55], s[54:55], exec
	s_waitcnt vmcnt(0) lgkmcnt(0)
	v_cmp_le_u64_e64 s[34:35], v[70:71], v[80:81]
	v_cmp_lt_u64_e64 s[12:13], v[70:71], v[80:81]
	s_and_b64 s[34:35], s[34:35], s[58:59]
	v_cmp_eq_u64_e64 s[36:37], v[70:71], v[80:81]
	s_or_b64 s[34:35], s[12:13], s[34:35]
	s_and_saveexec_b64 s[60:61], s[36:37]
	s_cbranch_execz .LBB1616_922
; %bb.924:                              ;   in Loop: Header=BB1616_923 Depth=1
	v_lshl_add_u64 v[68:69], v[68:69], 0, -1
	v_cmp_eq_u64_e64 s[12:13], 0, v[68:69]
	s_andn2_b64 s[36:37], s[56:57], exec
	s_and_b64 s[56:57], s[34:35], exec
	s_or_b64 s[56:57], s[36:37], s[56:57]
	s_andn2_b64 s[36:37], s[54:55], exec
	s_and_b64 s[12:13], s[12:13], exec
	v_lshl_add_u64 v[64:65], v[64:65], 0, 8
	v_lshl_add_u64 v[66:67], v[66:67], 0, 8
	s_andn2_b64 s[52:53], s[52:53], exec
	s_or_b64 s[54:55], s[36:37], s[12:13]
                                        ; implicit-def: $sgpr58_sgpr59
	s_branch .LBB1616_922
.LBB1616_925:
	s_or_b64 exec, exec, s[48:49]
	s_and_saveexec_b64 s[12:13], s[50:51]
	s_xor_b64 s[12:13], exec, s[12:13]
; %bb.926:
	v_cndmask_b32_e64 v65, v23, v17, s[46:47]
	v_cndmask_b32_e64 v64, v22, v16, s[46:47]
	v_cndmask_b32_e64 v17, v17, v23, s[46:47]
	v_cndmask_b32_e64 v16, v16, v22, s[46:47]
	v_mov_b64_e32 v[22:23], v[64:65]
; %bb.927:
	s_or_b64 exec, exec, s[12:13]
.LBB1616_928:
	s_or_b64 exec, exec, s[44:45]
	s_or_b64 exec, exec, s[42:43]
	s_and_saveexec_b64 s[42:43], s[28:29]
	s_cbranch_execz .LBB1616_778
.LBB1616_929:
	s_and_saveexec_b64 s[44:45], s[8:9]
	s_cbranch_execz .LBB1616_937
; %bb.930:
	v_mul_lo_u32 v31, v19, v6
	v_mul_lo_u32 v66, v18, v7
	v_mad_u64_u32 v[64:65], s[12:13], v18, v6, 0
	v_add3_u32 v65, v65, v66, v31
	v_mul_lo_u32 v31, v13, v6
	v_mul_lo_u32 v68, v12, v7
	v_mad_u64_u32 v[66:67], s[12:13], v12, v6, 0
	v_add3_u32 v67, v67, v68, v31
	v_lshl_add_u64 v[64:65], v[64:65], 3, v[8:9]
	v_lshl_add_u64 v[66:67], v[66:67], 3, v[8:9]
	s_mov_b64 s[48:49], 0
	v_mov_b64_e32 v[68:69], v[6:7]
                                        ; implicit-def: $sgpr46_sgpr47
                                        ; implicit-def: $sgpr50_sgpr51
                                        ; implicit-def: $sgpr54_sgpr55
                                        ; implicit-def: $sgpr52_sgpr53
                                        ; implicit-def: $sgpr56_sgpr57
                                        ; implicit-def: $sgpr58_sgpr59
	s_branch .LBB1616_932
.LBB1616_931:                           ;   in Loop: Header=BB1616_932 Depth=1
	s_or_b64 exec, exec, s[60:61]
	s_and_b64 s[12:13], exec, s[54:55]
	s_or_b64 s[48:49], s[12:13], s[48:49]
	s_andn2_b64 s[12:13], s[58:59], exec
	s_and_b64 s[36:37], s[56:57], exec
	s_or_b64 s[58:59], s[12:13], s[36:37]
	s_andn2_b64 s[12:13], s[50:51], exec
	s_and_b64 s[36:37], s[52:53], exec
	;; [unrolled: 3-line block ×3, first 2 shown]
	s_or_b64 s[46:47], s[12:13], s[34:35]
	s_andn2_b64 exec, exec, s[48:49]
	s_cbranch_execz .LBB1616_934
.LBB1616_932:                           ; =>This Inner Loop Header: Depth=1
	flat_load_dwordx2 v[70:71], v[66:67]
	flat_load_dwordx2 v[80:81], v[64:65]
	s_andn2_b64 s[56:57], s[56:57], exec
	s_or_b64 s[52:53], s[52:53], exec
	s_or_b64 s[54:55], s[54:55], exec
	s_waitcnt vmcnt(0) lgkmcnt(0)
	v_cmp_le_u64_e64 s[34:35], v[70:71], v[80:81]
	v_cmp_lt_u64_e64 s[12:13], v[70:71], v[80:81]
	s_and_b64 s[34:35], s[34:35], s[58:59]
	v_cmp_eq_u64_e64 s[36:37], v[70:71], v[80:81]
	s_or_b64 s[34:35], s[12:13], s[34:35]
	s_and_saveexec_b64 s[60:61], s[36:37]
	s_cbranch_execz .LBB1616_931
; %bb.933:                              ;   in Loop: Header=BB1616_932 Depth=1
	v_lshl_add_u64 v[68:69], v[68:69], 0, -1
	v_cmp_eq_u64_e64 s[12:13], 0, v[68:69]
	s_andn2_b64 s[36:37], s[56:57], exec
	s_and_b64 s[56:57], s[34:35], exec
	s_or_b64 s[56:57], s[36:37], s[56:57]
	s_andn2_b64 s[36:37], s[54:55], exec
	s_and_b64 s[12:13], s[12:13], exec
	v_lshl_add_u64 v[64:65], v[64:65], 0, 8
	v_lshl_add_u64 v[66:67], v[66:67], 0, 8
	s_andn2_b64 s[52:53], s[52:53], exec
	s_or_b64 s[54:55], s[36:37], s[12:13]
                                        ; implicit-def: $sgpr58_sgpr59
	s_branch .LBB1616_931
.LBB1616_934:
	s_or_b64 exec, exec, s[48:49]
	s_and_saveexec_b64 s[12:13], s[50:51]
	s_xor_b64 s[12:13], exec, s[12:13]
; %bb.935:
	v_cndmask_b32_e64 v65, v19, v13, s[46:47]
	v_cndmask_b32_e64 v64, v18, v12, s[46:47]
	;; [unrolled: 1-line block ×4, first 2 shown]
	v_mov_b64_e32 v[18:19], v[64:65]
; %bb.936:
	s_or_b64 exec, exec, s[12:13]
.LBB1616_937:
	s_or_b64 exec, exec, s[44:45]
	s_or_b64 exec, exec, s[42:43]
	s_and_saveexec_b64 s[36:37], s[16:17]
	s_cbranch_execz .LBB1616_779
.LBB1616_938:
	s_and_saveexec_b64 s[42:43], s[8:9]
	s_cbranch_execz .LBB1616_946
; %bb.939:
	v_mul_lo_u32 v31, v25, v6
	v_mul_lo_u32 v66, v24, v7
	v_mad_u64_u32 v[64:65], s[12:13], v24, v6, 0
	v_add3_u32 v65, v65, v66, v31
	v_mul_lo_u32 v31, v27, v6
	v_mul_lo_u32 v68, v26, v7
	v_mad_u64_u32 v[66:67], s[12:13], v26, v6, 0
	v_add3_u32 v67, v67, v68, v31
	v_lshl_add_u64 v[64:65], v[64:65], 3, v[8:9]
	v_lshl_add_u64 v[66:67], v[66:67], 3, v[8:9]
	s_mov_b64 s[46:47], 0
	v_mov_b64_e32 v[68:69], v[6:7]
                                        ; implicit-def: $sgpr44_sgpr45
                                        ; implicit-def: $sgpr48_sgpr49
                                        ; implicit-def: $sgpr52_sgpr53
                                        ; implicit-def: $sgpr50_sgpr51
                                        ; implicit-def: $sgpr54_sgpr55
                                        ; implicit-def: $sgpr56_sgpr57
	s_branch .LBB1616_941
.LBB1616_940:                           ;   in Loop: Header=BB1616_941 Depth=1
	s_or_b64 exec, exec, s[58:59]
	s_and_b64 s[12:13], exec, s[52:53]
	s_or_b64 s[46:47], s[12:13], s[46:47]
	s_andn2_b64 s[12:13], s[56:57], exec
	s_and_b64 s[34:35], s[54:55], exec
	s_or_b64 s[56:57], s[12:13], s[34:35]
	s_andn2_b64 s[12:13], s[48:49], exec
	s_and_b64 s[34:35], s[50:51], exec
	;; [unrolled: 3-line block ×3, first 2 shown]
	s_or_b64 s[44:45], s[12:13], s[16:17]
	s_andn2_b64 exec, exec, s[46:47]
	s_cbranch_execz .LBB1616_943
.LBB1616_941:                           ; =>This Inner Loop Header: Depth=1
	flat_load_dwordx2 v[70:71], v[66:67]
	flat_load_dwordx2 v[80:81], v[64:65]
	s_andn2_b64 s[54:55], s[54:55], exec
	s_or_b64 s[50:51], s[50:51], exec
	s_or_b64 s[52:53], s[52:53], exec
	s_waitcnt vmcnt(0) lgkmcnt(0)
	v_cmp_le_u64_e64 s[16:17], v[70:71], v[80:81]
	v_cmp_lt_u64_e64 s[12:13], v[70:71], v[80:81]
	s_and_b64 s[16:17], s[16:17], s[56:57]
	v_cmp_eq_u64_e64 s[34:35], v[70:71], v[80:81]
	s_or_b64 s[16:17], s[12:13], s[16:17]
	s_and_saveexec_b64 s[58:59], s[34:35]
	s_cbranch_execz .LBB1616_940
; %bb.942:                              ;   in Loop: Header=BB1616_941 Depth=1
	v_lshl_add_u64 v[68:69], v[68:69], 0, -1
	v_cmp_eq_u64_e64 s[12:13], 0, v[68:69]
	s_andn2_b64 s[34:35], s[54:55], exec
	s_and_b64 s[54:55], s[16:17], exec
	s_or_b64 s[54:55], s[34:35], s[54:55]
	s_andn2_b64 s[34:35], s[52:53], exec
	s_and_b64 s[12:13], s[12:13], exec
	v_lshl_add_u64 v[64:65], v[64:65], 0, 8
	v_lshl_add_u64 v[66:67], v[66:67], 0, 8
	s_andn2_b64 s[50:51], s[50:51], exec
	s_or_b64 s[52:53], s[34:35], s[12:13]
                                        ; implicit-def: $sgpr56_sgpr57
	s_branch .LBB1616_940
.LBB1616_943:
	s_or_b64 exec, exec, s[46:47]
	s_and_saveexec_b64 s[12:13], s[48:49]
	s_xor_b64 s[12:13], exec, s[12:13]
; %bb.944:
	v_cndmask_b32_e64 v65, v27, v25, s[44:45]
	v_cndmask_b32_e64 v64, v26, v24, s[44:45]
	v_cndmask_b32_e64 v25, v25, v27, s[44:45]
	v_cndmask_b32_e64 v24, v24, v26, s[44:45]
	v_mov_b64_e32 v[26:27], v[64:65]
; %bb.945:
	s_or_b64 exec, exec, s[12:13]
.LBB1616_946:
	s_or_b64 exec, exec, s[42:43]
	s_or_b64 exec, exec, s[36:37]
	s_and_saveexec_b64 s[34:35], s[18:19]
	s_cbranch_execz .LBB1616_780
.LBB1616_947:
	s_and_saveexec_b64 s[36:37], s[8:9]
	s_cbranch_execz .LBB1616_955
; %bb.948:
	v_mul_lo_u32 v31, v21, v6
	v_mul_lo_u32 v66, v20, v7
	v_mad_u64_u32 v[64:65], s[12:13], v20, v6, 0
	v_add3_u32 v65, v65, v66, v31
	v_mul_lo_u32 v31, v23, v6
	v_mul_lo_u32 v68, v22, v7
	v_mad_u64_u32 v[66:67], s[12:13], v22, v6, 0
	v_add3_u32 v67, v67, v68, v31
	v_lshl_add_u64 v[64:65], v[64:65], 3, v[8:9]
	v_lshl_add_u64 v[66:67], v[66:67], 3, v[8:9]
	s_mov_b64 s[44:45], 0
	v_mov_b64_e32 v[68:69], v[6:7]
                                        ; implicit-def: $sgpr42_sgpr43
                                        ; implicit-def: $sgpr46_sgpr47
                                        ; implicit-def: $sgpr50_sgpr51
                                        ; implicit-def: $sgpr48_sgpr49
                                        ; implicit-def: $sgpr52_sgpr53
                                        ; implicit-def: $sgpr54_sgpr55
	s_branch .LBB1616_950
.LBB1616_949:                           ;   in Loop: Header=BB1616_950 Depth=1
	s_or_b64 exec, exec, s[56:57]
	s_and_b64 s[12:13], exec, s[50:51]
	s_or_b64 s[44:45], s[12:13], s[44:45]
	s_andn2_b64 s[12:13], s[54:55], exec
	s_and_b64 s[18:19], s[52:53], exec
	s_or_b64 s[54:55], s[12:13], s[18:19]
	s_andn2_b64 s[12:13], s[46:47], exec
	s_and_b64 s[18:19], s[48:49], exec
	;; [unrolled: 3-line block ×3, first 2 shown]
	s_or_b64 s[42:43], s[12:13], s[16:17]
	s_andn2_b64 exec, exec, s[44:45]
	s_cbranch_execz .LBB1616_952
.LBB1616_950:                           ; =>This Inner Loop Header: Depth=1
	flat_load_dwordx2 v[70:71], v[66:67]
	flat_load_dwordx2 v[80:81], v[64:65]
	s_andn2_b64 s[52:53], s[52:53], exec
	s_or_b64 s[48:49], s[48:49], exec
	s_or_b64 s[50:51], s[50:51], exec
	s_waitcnt vmcnt(0) lgkmcnt(0)
	v_cmp_le_u64_e64 s[16:17], v[70:71], v[80:81]
	v_cmp_lt_u64_e64 s[12:13], v[70:71], v[80:81]
	s_and_b64 s[16:17], s[16:17], s[54:55]
	v_cmp_eq_u64_e64 s[18:19], v[70:71], v[80:81]
	s_or_b64 s[16:17], s[12:13], s[16:17]
	s_and_saveexec_b64 s[56:57], s[18:19]
	s_cbranch_execz .LBB1616_949
; %bb.951:                              ;   in Loop: Header=BB1616_950 Depth=1
	v_lshl_add_u64 v[68:69], v[68:69], 0, -1
	v_cmp_eq_u64_e64 s[12:13], 0, v[68:69]
	s_andn2_b64 s[18:19], s[52:53], exec
	s_and_b64 s[52:53], s[16:17], exec
	s_or_b64 s[52:53], s[18:19], s[52:53]
	s_andn2_b64 s[18:19], s[50:51], exec
	s_and_b64 s[12:13], s[12:13], exec
	v_lshl_add_u64 v[64:65], v[64:65], 0, 8
	v_lshl_add_u64 v[66:67], v[66:67], 0, 8
	s_andn2_b64 s[48:49], s[48:49], exec
	s_or_b64 s[50:51], s[18:19], s[12:13]
                                        ; implicit-def: $sgpr54_sgpr55
	s_branch .LBB1616_949
.LBB1616_952:
	s_or_b64 exec, exec, s[44:45]
	s_and_saveexec_b64 s[12:13], s[46:47]
	s_xor_b64 s[12:13], exec, s[12:13]
; %bb.953:
	v_cndmask_b32_e64 v65, v21, v23, s[42:43]
	v_cndmask_b32_e64 v64, v20, v22, s[42:43]
	;; [unrolled: 1-line block ×4, first 2 shown]
	v_mov_b64_e32 v[20:21], v[64:65]
; %bb.954:
	s_or_b64 exec, exec, s[12:13]
.LBB1616_955:
	s_or_b64 exec, exec, s[36:37]
	s_or_b64 exec, exec, s[34:35]
	s_and_saveexec_b64 s[34:35], s[20:21]
	s_cbranch_execz .LBB1616_781
.LBB1616_956:
	s_and_saveexec_b64 s[20:21], s[8:9]
	s_cbranch_execz .LBB1616_964
; %bb.957:
	v_mul_lo_u32 v31, v17, v6
	v_mul_lo_u32 v66, v16, v7
	v_mad_u64_u32 v[64:65], s[12:13], v16, v6, 0
	v_add3_u32 v65, v65, v66, v31
	v_mul_lo_u32 v31, v19, v6
	v_mul_lo_u32 v68, v18, v7
	v_mad_u64_u32 v[66:67], s[12:13], v18, v6, 0
	v_add3_u32 v67, v67, v68, v31
	v_lshl_add_u64 v[64:65], v[64:65], 3, v[8:9]
	v_lshl_add_u64 v[66:67], v[66:67], 3, v[8:9]
	s_mov_b64 s[42:43], 0
	v_mov_b64_e32 v[68:69], v[6:7]
                                        ; implicit-def: $sgpr36_sgpr37
                                        ; implicit-def: $sgpr44_sgpr45
                                        ; implicit-def: $sgpr48_sgpr49
                                        ; implicit-def: $sgpr46_sgpr47
                                        ; implicit-def: $sgpr50_sgpr51
                                        ; implicit-def: $sgpr52_sgpr53
	s_branch .LBB1616_959
.LBB1616_958:                           ;   in Loop: Header=BB1616_959 Depth=1
	s_or_b64 exec, exec, s[54:55]
	s_and_b64 s[12:13], exec, s[48:49]
	s_or_b64 s[42:43], s[12:13], s[42:43]
	s_andn2_b64 s[12:13], s[52:53], exec
	s_and_b64 s[18:19], s[50:51], exec
	s_or_b64 s[52:53], s[12:13], s[18:19]
	s_andn2_b64 s[12:13], s[44:45], exec
	s_and_b64 s[18:19], s[46:47], exec
	;; [unrolled: 3-line block ×3, first 2 shown]
	s_or_b64 s[36:37], s[12:13], s[16:17]
	s_andn2_b64 exec, exec, s[42:43]
	s_cbranch_execz .LBB1616_961
.LBB1616_959:                           ; =>This Inner Loop Header: Depth=1
	flat_load_dwordx2 v[70:71], v[66:67]
	flat_load_dwordx2 v[80:81], v[64:65]
	s_andn2_b64 s[50:51], s[50:51], exec
	s_or_b64 s[46:47], s[46:47], exec
	s_or_b64 s[48:49], s[48:49], exec
	s_waitcnt vmcnt(0) lgkmcnt(0)
	v_cmp_le_u64_e64 s[16:17], v[70:71], v[80:81]
	v_cmp_lt_u64_e64 s[12:13], v[70:71], v[80:81]
	s_and_b64 s[16:17], s[16:17], s[52:53]
	v_cmp_eq_u64_e64 s[18:19], v[70:71], v[80:81]
	s_or_b64 s[16:17], s[12:13], s[16:17]
	s_and_saveexec_b64 s[54:55], s[18:19]
	s_cbranch_execz .LBB1616_958
; %bb.960:                              ;   in Loop: Header=BB1616_959 Depth=1
	v_lshl_add_u64 v[68:69], v[68:69], 0, -1
	v_cmp_eq_u64_e64 s[12:13], 0, v[68:69]
	s_andn2_b64 s[18:19], s[50:51], exec
	s_and_b64 s[50:51], s[16:17], exec
	s_or_b64 s[50:51], s[18:19], s[50:51]
	s_andn2_b64 s[18:19], s[48:49], exec
	s_and_b64 s[12:13], s[12:13], exec
	v_lshl_add_u64 v[64:65], v[64:65], 0, 8
	v_lshl_add_u64 v[66:67], v[66:67], 0, 8
	s_andn2_b64 s[46:47], s[46:47], exec
	s_or_b64 s[48:49], s[18:19], s[12:13]
                                        ; implicit-def: $sgpr52_sgpr53
	s_branch .LBB1616_958
.LBB1616_961:
	s_or_b64 exec, exec, s[42:43]
	s_and_saveexec_b64 s[12:13], s[44:45]
	s_xor_b64 s[12:13], exec, s[12:13]
; %bb.962:
	v_cndmask_b32_e64 v65, v17, v19, s[36:37]
	v_cndmask_b32_e64 v64, v16, v18, s[36:37]
	;; [unrolled: 1-line block ×4, first 2 shown]
	v_mov_b64_e32 v[16:17], v[64:65]
; %bb.963:
	s_or_b64 exec, exec, s[12:13]
.LBB1616_964:
	s_or_b64 exec, exec, s[20:21]
	s_or_b64 exec, exec, s[34:35]
	s_and_saveexec_b64 s[20:21], s[22:23]
	s_cbranch_execz .LBB1616_782
.LBB1616_965:
	s_and_saveexec_b64 s[22:23], s[8:9]
	s_cbranch_execz .LBB1616_973
; %bb.966:
	v_mul_lo_u32 v31, v13, v6
	v_mul_lo_u32 v66, v12, v7
	v_mad_u64_u32 v[64:65], s[12:13], v12, v6, 0
	v_add3_u32 v65, v65, v66, v31
	v_mul_lo_u32 v31, v15, v6
	v_mul_lo_u32 v68, v14, v7
	v_mad_u64_u32 v[66:67], s[12:13], v14, v6, 0
	v_add3_u32 v67, v67, v68, v31
	v_lshl_add_u64 v[64:65], v[64:65], 3, v[8:9]
	v_lshl_add_u64 v[66:67], v[66:67], 3, v[8:9]
	s_mov_b64 s[36:37], 0
	v_mov_b64_e32 v[68:69], v[6:7]
                                        ; implicit-def: $sgpr34_sgpr35
                                        ; implicit-def: $sgpr42_sgpr43
                                        ; implicit-def: $sgpr46_sgpr47
                                        ; implicit-def: $sgpr44_sgpr45
                                        ; implicit-def: $sgpr48_sgpr49
                                        ; implicit-def: $sgpr50_sgpr51
	s_branch .LBB1616_968
.LBB1616_967:                           ;   in Loop: Header=BB1616_968 Depth=1
	s_or_b64 exec, exec, s[52:53]
	s_and_b64 s[12:13], exec, s[46:47]
	s_or_b64 s[36:37], s[12:13], s[36:37]
	s_andn2_b64 s[12:13], s[50:51], exec
	s_and_b64 s[18:19], s[48:49], exec
	s_or_b64 s[50:51], s[12:13], s[18:19]
	s_andn2_b64 s[12:13], s[42:43], exec
	s_and_b64 s[18:19], s[44:45], exec
	s_or_b64 s[42:43], s[12:13], s[18:19]
	s_andn2_b64 s[12:13], s[34:35], exec
	s_and_b64 s[16:17], s[16:17], exec
	s_or_b64 s[34:35], s[12:13], s[16:17]
	s_andn2_b64 exec, exec, s[36:37]
	s_cbranch_execz .LBB1616_970
.LBB1616_968:                           ; =>This Inner Loop Header: Depth=1
	flat_load_dwordx2 v[70:71], v[66:67]
	flat_load_dwordx2 v[80:81], v[64:65]
	s_andn2_b64 s[48:49], s[48:49], exec
	s_or_b64 s[44:45], s[44:45], exec
	s_or_b64 s[46:47], s[46:47], exec
	s_waitcnt vmcnt(0) lgkmcnt(0)
	v_cmp_le_u64_e64 s[16:17], v[70:71], v[80:81]
	v_cmp_lt_u64_e64 s[12:13], v[70:71], v[80:81]
	s_and_b64 s[16:17], s[16:17], s[50:51]
	v_cmp_eq_u64_e64 s[18:19], v[70:71], v[80:81]
	s_or_b64 s[16:17], s[12:13], s[16:17]
	s_and_saveexec_b64 s[52:53], s[18:19]
	s_cbranch_execz .LBB1616_967
; %bb.969:                              ;   in Loop: Header=BB1616_968 Depth=1
	v_lshl_add_u64 v[68:69], v[68:69], 0, -1
	v_cmp_eq_u64_e64 s[12:13], 0, v[68:69]
	s_andn2_b64 s[18:19], s[48:49], exec
	s_and_b64 s[48:49], s[16:17], exec
	s_or_b64 s[48:49], s[18:19], s[48:49]
	s_andn2_b64 s[18:19], s[46:47], exec
	s_and_b64 s[12:13], s[12:13], exec
	v_lshl_add_u64 v[64:65], v[64:65], 0, 8
	v_lshl_add_u64 v[66:67], v[66:67], 0, 8
	s_andn2_b64 s[44:45], s[44:45], exec
	s_or_b64 s[46:47], s[18:19], s[12:13]
                                        ; implicit-def: $sgpr50_sgpr51
	s_branch .LBB1616_967
.LBB1616_970:
	s_or_b64 exec, exec, s[36:37]
	s_and_saveexec_b64 s[12:13], s[42:43]
	s_xor_b64 s[12:13], exec, s[12:13]
; %bb.971:
	v_cndmask_b32_e64 v65, v13, v15, s[34:35]
	v_cndmask_b32_e64 v64, v12, v14, s[34:35]
	;; [unrolled: 1-line block ×4, first 2 shown]
	v_mov_b64_e32 v[12:13], v[64:65]
; %bb.972:
	s_or_b64 exec, exec, s[12:13]
.LBB1616_973:
	s_or_b64 exec, exec, s[22:23]
	s_or_b64 exec, exec, s[20:21]
	s_and_saveexec_b64 s[20:21], s[24:25]
	s_cbranch_execz .LBB1616_783
.LBB1616_974:
	s_and_saveexec_b64 s[22:23], s[8:9]
	s_cbranch_execz .LBB1616_982
; %bb.975:
	v_mul_lo_u32 v31, v27, v6
	v_mul_lo_u32 v66, v26, v7
	v_mad_u64_u32 v[64:65], s[12:13], v26, v6, 0
	v_add3_u32 v65, v65, v66, v31
	v_mul_lo_u32 v31, v21, v6
	v_mul_lo_u32 v68, v20, v7
	v_mad_u64_u32 v[66:67], s[12:13], v20, v6, 0
	v_add3_u32 v67, v67, v68, v31
	v_lshl_add_u64 v[64:65], v[64:65], 3, v[8:9]
	v_lshl_add_u64 v[66:67], v[66:67], 3, v[8:9]
	s_mov_b64 s[34:35], 0
	v_mov_b64_e32 v[68:69], v[6:7]
                                        ; implicit-def: $sgpr24_sgpr25
                                        ; implicit-def: $sgpr36_sgpr37
                                        ; implicit-def: $sgpr44_sgpr45
                                        ; implicit-def: $sgpr42_sgpr43
                                        ; implicit-def: $sgpr46_sgpr47
                                        ; implicit-def: $sgpr48_sgpr49
	s_branch .LBB1616_977
.LBB1616_976:                           ;   in Loop: Header=BB1616_977 Depth=1
	s_or_b64 exec, exec, s[50:51]
	s_and_b64 s[12:13], exec, s[44:45]
	s_or_b64 s[34:35], s[12:13], s[34:35]
	s_andn2_b64 s[12:13], s[48:49], exec
	s_and_b64 s[18:19], s[46:47], exec
	s_or_b64 s[48:49], s[12:13], s[18:19]
	s_andn2_b64 s[12:13], s[36:37], exec
	s_and_b64 s[18:19], s[42:43], exec
	;; [unrolled: 3-line block ×3, first 2 shown]
	s_or_b64 s[24:25], s[12:13], s[16:17]
	s_andn2_b64 exec, exec, s[34:35]
	s_cbranch_execz .LBB1616_979
.LBB1616_977:                           ; =>This Inner Loop Header: Depth=1
	flat_load_dwordx2 v[70:71], v[66:67]
	flat_load_dwordx2 v[80:81], v[64:65]
	s_andn2_b64 s[46:47], s[46:47], exec
	s_or_b64 s[42:43], s[42:43], exec
	s_or_b64 s[44:45], s[44:45], exec
	s_waitcnt vmcnt(0) lgkmcnt(0)
	v_cmp_le_u64_e64 s[16:17], v[70:71], v[80:81]
	v_cmp_lt_u64_e64 s[12:13], v[70:71], v[80:81]
	s_and_b64 s[16:17], s[16:17], s[48:49]
	v_cmp_eq_u64_e64 s[18:19], v[70:71], v[80:81]
	s_or_b64 s[16:17], s[12:13], s[16:17]
	s_and_saveexec_b64 s[50:51], s[18:19]
	s_cbranch_execz .LBB1616_976
; %bb.978:                              ;   in Loop: Header=BB1616_977 Depth=1
	v_lshl_add_u64 v[68:69], v[68:69], 0, -1
	v_cmp_eq_u64_e64 s[12:13], 0, v[68:69]
	s_andn2_b64 s[18:19], s[46:47], exec
	s_and_b64 s[46:47], s[16:17], exec
	s_or_b64 s[46:47], s[18:19], s[46:47]
	s_andn2_b64 s[18:19], s[44:45], exec
	s_and_b64 s[12:13], s[12:13], exec
	v_lshl_add_u64 v[64:65], v[64:65], 0, 8
	v_lshl_add_u64 v[66:67], v[66:67], 0, 8
	s_andn2_b64 s[42:43], s[42:43], exec
	s_or_b64 s[44:45], s[18:19], s[12:13]
                                        ; implicit-def: $sgpr48_sgpr49
	s_branch .LBB1616_976
.LBB1616_979:
	s_or_b64 exec, exec, s[34:35]
	s_and_saveexec_b64 s[12:13], s[36:37]
	s_xor_b64 s[12:13], exec, s[12:13]
; %bb.980:
	v_cndmask_b32_e64 v65, v27, v21, s[24:25]
	v_cndmask_b32_e64 v64, v26, v20, s[24:25]
	;; [unrolled: 1-line block ×4, first 2 shown]
	v_mov_b64_e32 v[26:27], v[64:65]
; %bb.981:
	s_or_b64 exec, exec, s[12:13]
.LBB1616_982:
	s_or_b64 exec, exec, s[22:23]
	s_or_b64 exec, exec, s[20:21]
	s_and_saveexec_b64 s[20:21], s[26:27]
	s_cbranch_execz .LBB1616_784
.LBB1616_983:
	s_and_saveexec_b64 s[22:23], s[8:9]
	s_cbranch_execz .LBB1616_991
; %bb.984:
	v_mul_lo_u32 v31, v23, v6
	v_mul_lo_u32 v66, v22, v7
	v_mad_u64_u32 v[64:65], s[12:13], v22, v6, 0
	v_add3_u32 v65, v65, v66, v31
	v_mul_lo_u32 v31, v17, v6
	v_mul_lo_u32 v68, v16, v7
	v_mad_u64_u32 v[66:67], s[12:13], v16, v6, 0
	v_add3_u32 v67, v67, v68, v31
	v_lshl_add_u64 v[64:65], v[64:65], 3, v[8:9]
	v_lshl_add_u64 v[66:67], v[66:67], 3, v[8:9]
	s_mov_b64 s[26:27], 0
	v_mov_b64_e32 v[68:69], v[6:7]
                                        ; implicit-def: $sgpr24_sgpr25
                                        ; implicit-def: $sgpr34_sgpr35
                                        ; implicit-def: $sgpr42_sgpr43
                                        ; implicit-def: $sgpr36_sgpr37
                                        ; implicit-def: $sgpr44_sgpr45
                                        ; implicit-def: $sgpr46_sgpr47
	s_branch .LBB1616_986
.LBB1616_985:                           ;   in Loop: Header=BB1616_986 Depth=1
	s_or_b64 exec, exec, s[48:49]
	s_and_b64 s[12:13], exec, s[42:43]
	s_or_b64 s[26:27], s[12:13], s[26:27]
	s_andn2_b64 s[12:13], s[46:47], exec
	s_and_b64 s[18:19], s[44:45], exec
	s_or_b64 s[46:47], s[12:13], s[18:19]
	s_andn2_b64 s[12:13], s[34:35], exec
	s_and_b64 s[18:19], s[36:37], exec
	;; [unrolled: 3-line block ×3, first 2 shown]
	s_or_b64 s[24:25], s[12:13], s[16:17]
	s_andn2_b64 exec, exec, s[26:27]
	s_cbranch_execz .LBB1616_988
.LBB1616_986:                           ; =>This Inner Loop Header: Depth=1
	flat_load_dwordx2 v[70:71], v[66:67]
	flat_load_dwordx2 v[80:81], v[64:65]
	s_andn2_b64 s[44:45], s[44:45], exec
	s_or_b64 s[36:37], s[36:37], exec
	s_or_b64 s[42:43], s[42:43], exec
	s_waitcnt vmcnt(0) lgkmcnt(0)
	v_cmp_le_u64_e64 s[16:17], v[70:71], v[80:81]
	v_cmp_lt_u64_e64 s[12:13], v[70:71], v[80:81]
	s_and_b64 s[16:17], s[16:17], s[46:47]
	v_cmp_eq_u64_e64 s[18:19], v[70:71], v[80:81]
	s_or_b64 s[16:17], s[12:13], s[16:17]
	s_and_saveexec_b64 s[48:49], s[18:19]
	s_cbranch_execz .LBB1616_985
; %bb.987:                              ;   in Loop: Header=BB1616_986 Depth=1
	v_lshl_add_u64 v[68:69], v[68:69], 0, -1
	v_cmp_eq_u64_e64 s[12:13], 0, v[68:69]
	s_andn2_b64 s[18:19], s[44:45], exec
	s_and_b64 s[44:45], s[16:17], exec
	s_or_b64 s[44:45], s[18:19], s[44:45]
	s_andn2_b64 s[18:19], s[42:43], exec
	s_and_b64 s[12:13], s[12:13], exec
	v_lshl_add_u64 v[64:65], v[64:65], 0, 8
	v_lshl_add_u64 v[66:67], v[66:67], 0, 8
	s_andn2_b64 s[36:37], s[36:37], exec
	s_or_b64 s[42:43], s[18:19], s[12:13]
                                        ; implicit-def: $sgpr46_sgpr47
	s_branch .LBB1616_985
.LBB1616_988:
	s_or_b64 exec, exec, s[26:27]
	s_and_saveexec_b64 s[12:13], s[34:35]
	s_xor_b64 s[12:13], exec, s[12:13]
; %bb.989:
	v_cndmask_b32_e64 v65, v23, v17, s[24:25]
	v_cndmask_b32_e64 v64, v22, v16, s[24:25]
	;; [unrolled: 1-line block ×4, first 2 shown]
	v_mov_b64_e32 v[22:23], v[64:65]
; %bb.990:
	s_or_b64 exec, exec, s[12:13]
.LBB1616_991:
	s_or_b64 exec, exec, s[22:23]
	s_or_b64 exec, exec, s[20:21]
	s_and_saveexec_b64 s[20:21], s[28:29]
	s_cbranch_execz .LBB1616_1001
.LBB1616_992:
	s_and_saveexec_b64 s[22:23], s[8:9]
	s_cbranch_execz .LBB1616_1000
; %bb.993:
	v_mul_lo_u32 v31, v19, v6
	v_mul_lo_u32 v66, v18, v7
	v_mad_u64_u32 v[64:65], s[12:13], v18, v6, 0
	v_add3_u32 v65, v65, v66, v31
	v_mul_lo_u32 v31, v13, v6
	v_mul_lo_u32 v68, v12, v7
	v_mad_u64_u32 v[66:67], s[12:13], v12, v6, 0
	v_add3_u32 v67, v67, v68, v31
	v_lshl_add_u64 v[64:65], v[64:65], 3, v[8:9]
	v_lshl_add_u64 v[66:67], v[66:67], 3, v[8:9]
	s_mov_b64 s[26:27], 0
	v_mov_b64_e32 v[68:69], v[6:7]
                                        ; implicit-def: $sgpr24_sgpr25
                                        ; implicit-def: $sgpr28_sgpr29
                                        ; implicit-def: $sgpr36_sgpr37
                                        ; implicit-def: $sgpr34_sgpr35
                                        ; implicit-def: $sgpr42_sgpr43
                                        ; implicit-def: $sgpr44_sgpr45
	s_branch .LBB1616_995
.LBB1616_994:                           ;   in Loop: Header=BB1616_995 Depth=1
	s_or_b64 exec, exec, s[46:47]
	s_and_b64 s[12:13], exec, s[36:37]
	s_or_b64 s[26:27], s[12:13], s[26:27]
	s_andn2_b64 s[12:13], s[44:45], exec
	s_and_b64 s[18:19], s[42:43], exec
	s_or_b64 s[44:45], s[12:13], s[18:19]
	s_andn2_b64 s[12:13], s[28:29], exec
	s_and_b64 s[18:19], s[34:35], exec
	;; [unrolled: 3-line block ×3, first 2 shown]
	s_or_b64 s[24:25], s[12:13], s[16:17]
	s_andn2_b64 exec, exec, s[26:27]
	s_cbranch_execz .LBB1616_997
.LBB1616_995:                           ; =>This Inner Loop Header: Depth=1
	flat_load_dwordx2 v[70:71], v[66:67]
	flat_load_dwordx2 v[80:81], v[64:65]
	s_andn2_b64 s[42:43], s[42:43], exec
	s_or_b64 s[34:35], s[34:35], exec
	s_or_b64 s[36:37], s[36:37], exec
	s_waitcnt vmcnt(0) lgkmcnt(0)
	v_cmp_le_u64_e64 s[16:17], v[70:71], v[80:81]
	v_cmp_lt_u64_e64 s[12:13], v[70:71], v[80:81]
	s_and_b64 s[16:17], s[16:17], s[44:45]
	v_cmp_eq_u64_e64 s[18:19], v[70:71], v[80:81]
	s_or_b64 s[16:17], s[12:13], s[16:17]
	s_and_saveexec_b64 s[46:47], s[18:19]
	s_cbranch_execz .LBB1616_994
; %bb.996:                              ;   in Loop: Header=BB1616_995 Depth=1
	v_lshl_add_u64 v[68:69], v[68:69], 0, -1
	v_cmp_eq_u64_e64 s[12:13], 0, v[68:69]
	s_andn2_b64 s[18:19], s[42:43], exec
	s_and_b64 s[42:43], s[16:17], exec
	s_or_b64 s[42:43], s[18:19], s[42:43]
	s_andn2_b64 s[18:19], s[36:37], exec
	s_and_b64 s[12:13], s[12:13], exec
	v_lshl_add_u64 v[64:65], v[64:65], 0, 8
	v_lshl_add_u64 v[66:67], v[66:67], 0, 8
	s_andn2_b64 s[34:35], s[34:35], exec
	s_or_b64 s[36:37], s[18:19], s[12:13]
                                        ; implicit-def: $sgpr44_sgpr45
	s_branch .LBB1616_994
.LBB1616_997:
	s_or_b64 exec, exec, s[26:27]
	s_and_saveexec_b64 s[12:13], s[28:29]
	s_xor_b64 s[12:13], exec, s[12:13]
; %bb.998:
	v_cndmask_b32_e64 v65, v19, v13, s[24:25]
	v_cndmask_b32_e64 v64, v18, v12, s[24:25]
	;; [unrolled: 1-line block ×4, first 2 shown]
	v_mov_b64_e32 v[18:19], v[64:65]
; %bb.999:
	s_or_b64 exec, exec, s[12:13]
.LBB1616_1000:
	s_or_b64 exec, exec, s[22:23]
.LBB1616_1001:
	s_or_b64 exec, exec, s[20:21]
	v_mbcnt_lo_u32_b32 v31, -1, 0
	v_mbcnt_hi_u32_b32 v64, -1, v31
	v_and_b32_e32 v70, 0xfffffe00, v1
	v_mov_b32_e32 v71, 0
	v_lshlrev_b32_e32 v31, 3, v64
	v_sub_u32_e64 v1, v0, v70 clamp
	v_lshl_add_u64 v[66:67], v[70:71], 3, v[10:11]
	v_lshlrev_b32_e32 v70, 6, v64
	v_or_b32_e32 v64, 8, v31
	v_min_u32_e32 v100, v1, v64
	v_add_u32_e32 v64, 8, v100
	v_and_b32_e32 v102, 0x3f0, v31
	v_min_u32_e32 v101, v1, v64
	v_and_b32_e32 v64, 8, v31
	v_min_u32_e32 v103, v1, v64
	v_sub_u32_e32 v64, v100, v102
	v_sub_u32_e32 v65, v101, v100
	v_sub_u32_e64 v112, v103, v65 clamp
	v_min_u32_e32 v113, v103, v64
	v_lshl_add_u64 v[68:69], v[66:67], 0, v[70:71]
	v_cmp_lt_u32_e64 s[12:13], v112, v113
	v_lshlrev_b64 v[64:65], 3, v[6:7]
	flat_store_dwordx4 v[68:69], v[24:27]
	flat_store_dwordx4 v[68:69], v[20:23] offset:16
	flat_store_dwordx4 v[68:69], v[16:19] offset:32
	flat_store_dwordx4 v[68:69], v[12:15] offset:48
	; wave barrier
	s_and_saveexec_b64 s[20:21], s[12:13]
	s_cbranch_execz .LBB1616_1011
; %bb.1002:
	v_lshlrev_b32_e32 v70, 3, v102
	v_lshl_add_u64 v[80:81], v[66:67], 0, v[70:71]
	v_lshlrev_b32_e32 v70, 3, v100
	v_lshl_add_u64 v[82:83], v[66:67], 0, v[70:71]
	s_mov_b64 s[22:23], 0
	s_branch .LBB1616_1005
.LBB1616_1003:                          ;   in Loop: Header=BB1616_1005 Depth=1
	s_or_b64 exec, exec, s[26:27]
	s_and_b64 s[12:13], s[28:29], exec
.LBB1616_1004:                          ;   in Loop: Header=BB1616_1005 Depth=1
	s_or_b64 exec, exec, s[24:25]
	v_add_u32_e32 v70, 1, v84
	v_cndmask_b32_e64 v113, v113, v84, s[12:13]
	v_cndmask_b32_e64 v112, v70, v112, s[12:13]
	v_cmp_ge_u32_e64 s[12:13], v112, v113
	s_or_b64 s[22:23], s[12:13], s[22:23]
	s_andn2_b64 exec, exec, s[22:23]
	s_cbranch_execz .LBB1616_1010
.LBB1616_1005:                          ; =>This Loop Header: Depth=1
                                        ;     Child Loop BB1616_1008 Depth 2
	v_add_u32_e32 v70, v113, v112
	v_lshrrev_b32_e32 v84, 1, v70
	s_mov_b64 s[12:13], 0
	s_and_saveexec_b64 s[24:25], s[8:9]
	s_cbranch_execz .LBB1616_1004
; %bb.1006:                             ;   in Loop: Header=BB1616_1005 Depth=1
	v_mov_b32_e32 v85, v71
	v_xad_u32 v70, v84, -1, v103
	v_lshl_add_u64 v[86:87], v[84:85], 3, v[80:81]
	v_lshl_add_u64 v[96:97], v[70:71], 3, v[82:83]
	flat_load_dwordx2 v[86:87], v[86:87]
	s_mov_b64 s[26:27], 0
	flat_load_dwordx2 v[96:97], v[96:97]
                                        ; implicit-def: $sgpr28_sgpr29
                                        ; implicit-def: $sgpr34_sgpr35
                                        ; implicit-def: $sgpr36_sgpr37
                                        ; implicit-def: $sgpr16_sgpr17
                                        ; implicit-def: $sgpr42_sgpr43
	s_waitcnt vmcnt(0) lgkmcnt(0)
	v_mul_lo_u32 v70, v64, v87
	v_mul_lo_u32 v85, v65, v86
	v_mad_u64_u32 v[86:87], s[12:13], v64, v86, v[8:9]
	v_mul_lo_u32 v98, v64, v97
	v_mul_lo_u32 v99, v65, v96
	v_mad_u64_u32 v[96:97], s[12:13], v64, v96, v[8:9]
	v_add3_u32 v87, v85, v87, v70
	v_add3_u32 v97, v99, v97, v98
	v_mov_b64_e32 v[98:99], v[6:7]
	s_branch .LBB1616_1008
.LBB1616_1007:                          ;   in Loop: Header=BB1616_1008 Depth=2
	s_or_b64 exec, exec, s[44:45]
	s_and_b64 s[12:13], exec, s[34:35]
	s_or_b64 s[26:27], s[12:13], s[26:27]
	s_andn2_b64 s[12:13], s[42:43], exec
	s_and_b64 s[18:19], s[36:37], exec
	s_or_b64 s[42:43], s[12:13], s[18:19]
	s_andn2_b64 s[12:13], s[28:29], exec
	s_and_b64 s[18:19], s[16:17], exec
	s_or_b64 s[28:29], s[12:13], s[18:19]
	s_andn2_b64 exec, exec, s[26:27]
	s_cbranch_execz .LBB1616_1003
.LBB1616_1008:                          ;   Parent Loop BB1616_1005 Depth=1
                                        ; =>  This Inner Loop Header: Depth=2
	flat_load_dwordx2 v[114:115], v[96:97]
	flat_load_dwordx2 v[116:117], v[86:87]
	s_andn2_b64 s[44:45], s[16:17], exec
	s_andn2_b64 s[36:37], s[36:37], exec
	s_or_b64 s[34:35], s[34:35], exec
	s_waitcnt vmcnt(0) lgkmcnt(0)
	v_cmp_le_u64_e64 s[16:17], v[114:115], v[116:117]
	v_cmp_lt_u64_e64 s[12:13], v[114:115], v[116:117]
	s_and_b64 s[16:17], s[16:17], s[42:43]
	s_or_b64 s[46:47], s[12:13], s[16:17]
	s_and_b64 s[12:13], s[46:47], exec
	v_cmp_eq_u64_e64 s[18:19], v[114:115], v[116:117]
	s_or_b64 s[16:17], s[44:45], s[12:13]
	s_and_saveexec_b64 s[44:45], s[18:19]
	s_cbranch_execz .LBB1616_1007
; %bb.1009:                             ;   in Loop: Header=BB1616_1008 Depth=2
	v_lshl_add_u64 v[98:99], v[98:99], 0, -1
	v_cmp_eq_u64_e64 s[12:13], 0, v[98:99]
	s_andn2_b64 s[18:19], s[36:37], exec
	s_and_b64 s[36:37], s[46:47], exec
	s_or_b64 s[36:37], s[18:19], s[36:37]
	s_andn2_b64 s[18:19], s[34:35], exec
	s_and_b64 s[12:13], s[12:13], exec
	v_lshl_add_u64 v[86:87], v[86:87], 0, 8
	v_lshl_add_u64 v[96:97], v[96:97], 0, 8
	s_andn2_b64 s[16:17], s[16:17], exec
	s_or_b64 s[34:35], s[18:19], s[12:13]
                                        ; implicit-def: $sgpr42_sgpr43
	s_branch .LBB1616_1007
.LBB1616_1010:
	s_or_b64 exec, exec, s[22:23]
.LBB1616_1011:
	s_or_b64 exec, exec, s[20:21]
	v_add_u32_e32 v71, v100, v103
	v_add_u32_e32 v70, v112, v102
	v_sub_u32_e32 v80, v71, v112
	v_cmp_le_u32_e64 s[12:13], v70, v100
	v_cmp_le_u32_e64 s[16:17], v80, v101
	s_or_b64 s[12:13], s[12:13], s[16:17]
	s_and_saveexec_b64 s[20:21], s[12:13]
	s_cbranch_execz .LBB1616_1095
; %bb.1012:
	v_cmp_ge_u32_e64 s[16:17], v70, v100
	v_cmp_lt_u32_e64 s[12:13], v70, v100
                                        ; implicit-def: $vgpr12_vgpr13
	s_and_saveexec_b64 s[18:19], s[12:13]
	s_cbranch_execz .LBB1616_1014
; %bb.1013:
	v_mov_b32_e32 v71, 0
	v_lshl_add_u64 v[12:13], v[70:71], 3, v[66:67]
	flat_load_dwordx2 v[12:13], v[12:13]
.LBB1616_1014:
	s_or_b64 exec, exec, s[18:19]
	v_cmp_ge_u32_e64 s[22:23], v80, v101
	v_cmp_lt_u32_e64 s[12:13], v80, v101
                                        ; implicit-def: $vgpr14_vgpr15
	s_and_saveexec_b64 s[18:19], s[12:13]
	s_cbranch_execz .LBB1616_1016
; %bb.1015:
	v_mov_b32_e32 v81, 0
	v_lshl_add_u64 v[14:15], v[80:81], 3, v[66:67]
	flat_load_dwordx2 v[14:15], v[14:15]
.LBB1616_1016:
	s_or_b64 exec, exec, s[18:19]
	s_or_b64 s[12:13], s[16:17], s[22:23]
	s_xor_b64 s[12:13], s[12:13], -1
	s_and_saveexec_b64 s[24:25], s[12:13]
	s_cbranch_execz .LBB1616_1024
; %bb.1017:
	s_mov_b64 s[12:13], 0
	s_and_saveexec_b64 s[26:27], s[8:9]
	s_cbranch_execz .LBB1616_1023
; %bb.1018:
	s_waitcnt vmcnt(0) lgkmcnt(0)
	v_mul_lo_u32 v18, v13, v6
	v_mul_lo_u32 v19, v12, v7
	v_mad_u64_u32 v[16:17], s[12:13], v12, v6, 0
	v_add3_u32 v17, v17, v19, v18
	v_mul_lo_u32 v20, v15, v6
	v_mul_lo_u32 v21, v14, v7
	v_mad_u64_u32 v[18:19], s[12:13], v14, v6, 0
	v_add3_u32 v19, v19, v21, v20
	v_lshl_add_u64 v[16:17], v[16:17], 3, v[8:9]
	v_lshl_add_u64 v[18:19], v[18:19], 3, v[8:9]
	s_mov_b64 s[28:29], 0
	v_mov_b64_e32 v[20:21], v[6:7]
                                        ; implicit-def: $sgpr34_sgpr35
                                        ; implicit-def: $sgpr36_sgpr37
                                        ; implicit-def: $sgpr42_sgpr43
                                        ; implicit-def: $sgpr16_sgpr17
                                        ; implicit-def: $sgpr44_sgpr45
	s_branch .LBB1616_1020
.LBB1616_1019:                          ;   in Loop: Header=BB1616_1020 Depth=1
	s_or_b64 exec, exec, s[46:47]
	s_and_b64 s[12:13], exec, s[36:37]
	s_or_b64 s[28:29], s[12:13], s[28:29]
	s_andn2_b64 s[12:13], s[44:45], exec
	s_and_b64 s[18:19], s[42:43], exec
	s_or_b64 s[44:45], s[12:13], s[18:19]
	s_andn2_b64 s[12:13], s[34:35], exec
	s_and_b64 s[18:19], s[16:17], exec
	s_or_b64 s[34:35], s[12:13], s[18:19]
	s_andn2_b64 exec, exec, s[28:29]
	s_cbranch_execz .LBB1616_1022
.LBB1616_1020:                          ; =>This Inner Loop Header: Depth=1
	flat_load_dwordx2 v[22:23], v[18:19]
	flat_load_dwordx2 v[24:25], v[16:17]
	s_andn2_b64 s[46:47], s[16:17], exec
	s_andn2_b64 s[42:43], s[42:43], exec
	s_or_b64 s[36:37], s[36:37], exec
	s_waitcnt vmcnt(0) lgkmcnt(0)
	v_cmp_le_u64_e64 s[16:17], v[22:23], v[24:25]
	v_cmp_lt_u64_e64 s[12:13], v[22:23], v[24:25]
	s_and_b64 s[16:17], s[16:17], s[44:45]
	s_or_b64 s[48:49], s[12:13], s[16:17]
	s_and_b64 s[12:13], s[48:49], exec
	v_cmp_eq_u64_e64 s[18:19], v[22:23], v[24:25]
	s_or_b64 s[16:17], s[46:47], s[12:13]
	s_and_saveexec_b64 s[46:47], s[18:19]
	s_cbranch_execz .LBB1616_1019
; %bb.1021:                             ;   in Loop: Header=BB1616_1020 Depth=1
	v_lshl_add_u64 v[20:21], v[20:21], 0, -1
	v_cmp_eq_u64_e64 s[12:13], 0, v[20:21]
	s_andn2_b64 s[18:19], s[42:43], exec
	s_and_b64 s[42:43], s[48:49], exec
	s_or_b64 s[42:43], s[18:19], s[42:43]
	s_andn2_b64 s[18:19], s[36:37], exec
	s_and_b64 s[12:13], s[12:13], exec
	v_lshl_add_u64 v[16:17], v[16:17], 0, 8
	v_lshl_add_u64 v[18:19], v[18:19], 0, 8
	s_andn2_b64 s[16:17], s[16:17], exec
	s_or_b64 s[36:37], s[18:19], s[12:13]
                                        ; implicit-def: $sgpr44_sgpr45
	s_branch .LBB1616_1019
.LBB1616_1022:
	s_or_b64 exec, exec, s[28:29]
	s_and_b64 s[12:13], s[34:35], exec
.LBB1616_1023:
	s_or_b64 exec, exec, s[26:27]
	s_xor_b64 s[12:13], s[12:13], -1
	s_andn2_b64 s[16:17], s[22:23], exec
	s_and_b64 s[12:13], s[12:13], exec
	s_or_b64 s[22:23], s[16:17], s[12:13]
.LBB1616_1024:
	s_or_b64 exec, exec, s[24:25]
	v_cndmask_b32_e64 v16, v80, v70, s[22:23]
	v_cndmask_b32_e64 v17, v101, v100, s[22:23]
	v_add_u32_e32 v20, 1, v16
	v_add_u32_e32 v16, -1, v17
	v_min_u32_e32 v16, v20, v16
	v_mov_b32_e32 v17, 0
	v_lshl_add_u64 v[18:19], v[16:17], 3, v[66:67]
	flat_load_dwordx2 v[18:19], v[18:19]
	v_cndmask_b32_e64 v27, v20, v80, s[22:23]
	s_mov_b64 s[24:25], -1
	v_cndmask_b32_e64 v70, v70, v20, s[22:23]
	v_cmp_lt_u32_e64 s[12:13], v27, v101
	s_mov_b64 s[26:27], -1
	s_waitcnt vmcnt(0) lgkmcnt(0)
	v_cndmask_b32_e64 v24, v19, v15, s[22:23]
	v_cndmask_b32_e64 v25, v18, v14, s[22:23]
	;; [unrolled: 1-line block ×4, first 2 shown]
	s_and_saveexec_b64 s[28:29], s[12:13]
	s_cbranch_execz .LBB1616_1034
; %bb.1025:
	v_cmp_lt_u32_e64 s[12:13], v70, v100
	s_mov_b64 s[16:17], 0
	s_and_saveexec_b64 s[26:27], s[12:13]
	s_cbranch_execz .LBB1616_1033
; %bb.1026:
	s_mov_b64 s[12:13], 0
	s_and_saveexec_b64 s[34:35], s[8:9]
	s_cbranch_execz .LBB1616_1032
; %bb.1027:
	v_mul_lo_u32 v16, v26, v6
	v_mul_lo_u32 v20, v80, v7
	v_mad_u64_u32 v[18:19], s[12:13], v80, v6, 0
	v_add3_u32 v19, v19, v20, v16
	v_mul_lo_u32 v16, v24, v6
	v_mul_lo_u32 v22, v25, v7
	v_mad_u64_u32 v[20:21], s[12:13], v25, v6, 0
	v_add3_u32 v21, v21, v22, v16
	v_lshl_add_u64 v[18:19], v[18:19], 3, v[8:9]
	v_lshl_add_u64 v[20:21], v[20:21], 3, v[8:9]
	s_mov_b64 s[36:37], 0
	v_mov_b64_e32 v[22:23], v[6:7]
                                        ; implicit-def: $sgpr42_sgpr43
                                        ; implicit-def: $sgpr44_sgpr45
                                        ; implicit-def: $sgpr46_sgpr47
                                        ; implicit-def: $sgpr16_sgpr17
                                        ; implicit-def: $sgpr48_sgpr49
	s_branch .LBB1616_1029
.LBB1616_1028:                          ;   in Loop: Header=BB1616_1029 Depth=1
	s_or_b64 exec, exec, s[50:51]
	s_and_b64 s[12:13], exec, s[44:45]
	s_or_b64 s[36:37], s[12:13], s[36:37]
	s_andn2_b64 s[12:13], s[48:49], exec
	s_and_b64 s[18:19], s[46:47], exec
	s_or_b64 s[48:49], s[12:13], s[18:19]
	s_andn2_b64 s[12:13], s[42:43], exec
	s_and_b64 s[18:19], s[16:17], exec
	s_or_b64 s[42:43], s[12:13], s[18:19]
	s_andn2_b64 exec, exec, s[36:37]
	s_cbranch_execz .LBB1616_1031
.LBB1616_1029:                          ; =>This Inner Loop Header: Depth=1
	flat_load_dwordx2 v[82:83], v[20:21]
	flat_load_dwordx2 v[84:85], v[18:19]
	s_andn2_b64 s[50:51], s[16:17], exec
	s_andn2_b64 s[46:47], s[46:47], exec
	s_or_b64 s[44:45], s[44:45], exec
	s_waitcnt vmcnt(0) lgkmcnt(0)
	v_cmp_le_u64_e64 s[16:17], v[82:83], v[84:85]
	v_cmp_lt_u64_e64 s[12:13], v[82:83], v[84:85]
	s_and_b64 s[16:17], s[16:17], s[48:49]
	s_or_b64 s[52:53], s[12:13], s[16:17]
	s_and_b64 s[12:13], s[52:53], exec
	v_cmp_eq_u64_e64 s[18:19], v[82:83], v[84:85]
	s_or_b64 s[16:17], s[50:51], s[12:13]
	s_and_saveexec_b64 s[50:51], s[18:19]
	s_cbranch_execz .LBB1616_1028
; %bb.1030:                             ;   in Loop: Header=BB1616_1029 Depth=1
	v_lshl_add_u64 v[22:23], v[22:23], 0, -1
	v_cmp_eq_u64_e64 s[12:13], 0, v[22:23]
	s_andn2_b64 s[18:19], s[46:47], exec
	s_and_b64 s[46:47], s[52:53], exec
	s_or_b64 s[46:47], s[18:19], s[46:47]
	s_andn2_b64 s[18:19], s[44:45], exec
	s_and_b64 s[12:13], s[12:13], exec
	v_lshl_add_u64 v[18:19], v[18:19], 0, 8
	v_lshl_add_u64 v[20:21], v[20:21], 0, 8
	s_andn2_b64 s[16:17], s[16:17], exec
	s_or_b64 s[44:45], s[18:19], s[12:13]
                                        ; implicit-def: $sgpr48_sgpr49
	s_branch .LBB1616_1028
.LBB1616_1031:
	s_or_b64 exec, exec, s[36:37]
	s_and_b64 s[12:13], s[42:43], exec
.LBB1616_1032:
	s_or_b64 exec, exec, s[34:35]
	s_xor_b64 s[12:13], s[12:13], -1
	s_and_b64 s[16:17], s[12:13], exec
.LBB1616_1033:
	s_or_b64 exec, exec, s[26:27]
	s_orn2_b64 s[26:27], s[16:17], exec
.LBB1616_1034:
	s_or_b64 exec, exec, s[28:29]
	v_cndmask_b32_e64 v16, v27, v70, s[26:27]
	v_cndmask_b32_e64 v18, v101, v100, s[26:27]
	v_add_u32_e32 v19, 1, v16
	v_add_u32_e32 v16, -1, v18
	v_min_u32_e32 v16, v19, v16
	v_lshl_add_u64 v[16:17], v[16:17], 3, v[66:67]
	flat_load_dwordx2 v[16:17], v[16:17]
	v_cndmask_b32_e64 v22, v19, v27, s[26:27]
	v_cndmask_b32_e64 v23, v70, v19, s[26:27]
	v_cmp_lt_u32_e64 s[12:13], v22, v101
	s_waitcnt vmcnt(0) lgkmcnt(0)
	v_cndmask_b32_e64 v27, v17, v24, s[26:27]
	v_cndmask_b32_e64 v81, v16, v25, s[26:27]
	;; [unrolled: 1-line block ×4, first 2 shown]
	s_and_saveexec_b64 s[28:29], s[12:13]
	s_cbranch_execz .LBB1616_1044
; %bb.1035:
	v_cmp_lt_u32_e64 s[12:13], v23, v100
	s_mov_b64 s[16:17], 0
	s_and_saveexec_b64 s[24:25], s[12:13]
	s_cbranch_execz .LBB1616_1043
; %bb.1036:
	s_mov_b64 s[12:13], 0
	s_and_saveexec_b64 s[34:35], s[8:9]
	s_cbranch_execz .LBB1616_1042
; %bb.1037:
	v_mul_lo_u32 v18, v82, v6
	v_mul_lo_u32 v19, v83, v7
	v_mad_u64_u32 v[16:17], s[12:13], v83, v6, 0
	v_add3_u32 v17, v17, v19, v18
	v_mul_lo_u32 v20, v27, v6
	v_mul_lo_u32 v21, v81, v7
	v_mad_u64_u32 v[18:19], s[12:13], v81, v6, 0
	v_add3_u32 v19, v19, v21, v20
	v_lshl_add_u64 v[16:17], v[16:17], 3, v[8:9]
	v_lshl_add_u64 v[18:19], v[18:19], 3, v[8:9]
	s_mov_b64 s[36:37], 0
	v_mov_b64_e32 v[20:21], v[6:7]
                                        ; implicit-def: $sgpr42_sgpr43
                                        ; implicit-def: $sgpr44_sgpr45
                                        ; implicit-def: $sgpr46_sgpr47
                                        ; implicit-def: $sgpr16_sgpr17
                                        ; implicit-def: $sgpr48_sgpr49
	s_branch .LBB1616_1039
.LBB1616_1038:                          ;   in Loop: Header=BB1616_1039 Depth=1
	s_or_b64 exec, exec, s[50:51]
	s_and_b64 s[12:13], exec, s[44:45]
	s_or_b64 s[36:37], s[12:13], s[36:37]
	s_andn2_b64 s[12:13], s[48:49], exec
	s_and_b64 s[18:19], s[46:47], exec
	s_or_b64 s[48:49], s[12:13], s[18:19]
	s_andn2_b64 s[12:13], s[42:43], exec
	s_and_b64 s[18:19], s[16:17], exec
	s_or_b64 s[42:43], s[12:13], s[18:19]
	s_andn2_b64 exec, exec, s[36:37]
	s_cbranch_execz .LBB1616_1041
.LBB1616_1039:                          ; =>This Inner Loop Header: Depth=1
	flat_load_dwordx2 v[70:71], v[18:19]
	flat_load_dwordx2 v[84:85], v[16:17]
	s_andn2_b64 s[50:51], s[16:17], exec
	s_andn2_b64 s[46:47], s[46:47], exec
	s_or_b64 s[44:45], s[44:45], exec
	s_waitcnt vmcnt(0) lgkmcnt(0)
	v_cmp_le_u64_e64 s[16:17], v[70:71], v[84:85]
	v_cmp_lt_u64_e64 s[12:13], v[70:71], v[84:85]
	s_and_b64 s[16:17], s[16:17], s[48:49]
	s_or_b64 s[52:53], s[12:13], s[16:17]
	s_and_b64 s[12:13], s[52:53], exec
	v_cmp_eq_u64_e64 s[18:19], v[70:71], v[84:85]
	s_or_b64 s[16:17], s[50:51], s[12:13]
	s_and_saveexec_b64 s[50:51], s[18:19]
	s_cbranch_execz .LBB1616_1038
; %bb.1040:                             ;   in Loop: Header=BB1616_1039 Depth=1
	v_lshl_add_u64 v[20:21], v[20:21], 0, -1
	v_cmp_eq_u64_e64 s[12:13], 0, v[20:21]
	s_andn2_b64 s[18:19], s[46:47], exec
	s_and_b64 s[46:47], s[52:53], exec
	s_or_b64 s[46:47], s[18:19], s[46:47]
	s_andn2_b64 s[18:19], s[44:45], exec
	s_and_b64 s[12:13], s[12:13], exec
	v_lshl_add_u64 v[16:17], v[16:17], 0, 8
	v_lshl_add_u64 v[18:19], v[18:19], 0, 8
	s_andn2_b64 s[16:17], s[16:17], exec
	s_or_b64 s[44:45], s[18:19], s[12:13]
                                        ; implicit-def: $sgpr48_sgpr49
	s_branch .LBB1616_1038
.LBB1616_1041:
	s_or_b64 exec, exec, s[36:37]
	s_and_b64 s[12:13], s[42:43], exec
.LBB1616_1042:
	s_or_b64 exec, exec, s[34:35]
	s_xor_b64 s[12:13], s[12:13], -1
	s_and_b64 s[16:17], s[12:13], exec
.LBB1616_1043:
	s_or_b64 exec, exec, s[24:25]
	s_orn2_b64 s[24:25], s[16:17], exec
.LBB1616_1044:
	s_or_b64 exec, exec, s[28:29]
	v_cndmask_b32_e64 v16, v22, v23, s[24:25]
	v_cndmask_b32_e64 v17, v101, v100, s[24:25]
	v_add_u32_e32 v20, 1, v16
	v_add_u32_e32 v16, -1, v17
	v_min_u32_e32 v16, v20, v16
	v_mov_b32_e32 v17, 0
	v_lshl_add_u64 v[18:19], v[16:17], 3, v[66:67]
	flat_load_dwordx2 v[18:19], v[18:19]
	v_cndmask_b32_e64 v70, v20, v22, s[24:25]
	s_mov_b64 s[28:29], -1
	v_cndmask_b32_e64 v71, v23, v20, s[24:25]
	v_cmp_lt_u32_e64 s[12:13], v70, v101
	s_mov_b64 s[34:35], -1
	s_waitcnt vmcnt(0) lgkmcnt(0)
	v_cndmask_b32_e64 v84, v19, v27, s[24:25]
	v_cndmask_b32_e64 v85, v18, v81, s[24:25]
	;; [unrolled: 1-line block ×4, first 2 shown]
	s_and_saveexec_b64 s[36:37], s[12:13]
	s_cbranch_execz .LBB1616_1054
; %bb.1045:
	v_cmp_lt_u32_e64 s[12:13], v71, v100
	s_mov_b64 s[16:17], 0
	s_and_saveexec_b64 s[34:35], s[12:13]
	s_cbranch_execz .LBB1616_1053
; %bb.1046:
	s_mov_b64 s[12:13], -1
	s_and_saveexec_b64 s[42:43], s[8:9]
	s_cbranch_execz .LBB1616_1052
; %bb.1047:
	v_mul_lo_u32 v16, v86, v6
	v_mul_lo_u32 v20, v87, v7
	v_mad_u64_u32 v[18:19], s[12:13], v87, v6, 0
	v_add3_u32 v19, v19, v20, v16
	v_mul_lo_u32 v16, v84, v6
	v_mul_lo_u32 v22, v85, v7
	v_mad_u64_u32 v[20:21], s[12:13], v85, v6, 0
	v_add3_u32 v21, v21, v22, v16
	v_lshl_add_u64 v[18:19], v[18:19], 3, v[8:9]
	v_lshl_add_u64 v[20:21], v[20:21], 3, v[8:9]
	s_mov_b64 s[44:45], 0
	v_mov_b64_e32 v[22:23], v[6:7]
                                        ; implicit-def: $sgpr46_sgpr47
                                        ; implicit-def: $sgpr48_sgpr49
                                        ; implicit-def: $sgpr16_sgpr17
                                        ; implicit-def: $sgpr50_sgpr51
                                        ; implicit-def: $sgpr52_sgpr53
	s_branch .LBB1616_1049
.LBB1616_1048:                          ;   in Loop: Header=BB1616_1049 Depth=1
	s_or_b64 exec, exec, s[54:55]
	s_and_b64 s[12:13], exec, s[48:49]
	s_or_b64 s[44:45], s[12:13], s[44:45]
	s_andn2_b64 s[12:13], s[52:53], exec
	s_and_b64 s[18:19], s[50:51], exec
	s_or_b64 s[52:53], s[12:13], s[18:19]
	s_andn2_b64 s[12:13], s[46:47], exec
	s_and_b64 s[18:19], s[16:17], exec
	s_or_b64 s[46:47], s[12:13], s[18:19]
	s_andn2_b64 exec, exec, s[44:45]
	s_cbranch_execz .LBB1616_1051
.LBB1616_1049:                          ; =>This Inner Loop Header: Depth=1
	flat_load_dwordx2 v[96:97], v[20:21]
	flat_load_dwordx2 v[98:99], v[18:19]
	s_andn2_b64 s[54:55], s[16:17], exec
	s_andn2_b64 s[50:51], s[50:51], exec
	s_or_b64 s[48:49], s[48:49], exec
	s_waitcnt vmcnt(0) lgkmcnt(0)
	v_cmp_le_u64_e64 s[16:17], v[96:97], v[98:99]
	v_cmp_lt_u64_e64 s[12:13], v[96:97], v[98:99]
	s_and_b64 s[16:17], s[16:17], s[52:53]
	s_or_b64 s[56:57], s[12:13], s[16:17]
	s_and_b64 s[12:13], s[56:57], exec
	v_cmp_eq_u64_e64 s[18:19], v[96:97], v[98:99]
	s_or_b64 s[16:17], s[54:55], s[12:13]
	s_and_saveexec_b64 s[54:55], s[18:19]
	s_cbranch_execz .LBB1616_1048
; %bb.1050:                             ;   in Loop: Header=BB1616_1049 Depth=1
	v_lshl_add_u64 v[22:23], v[22:23], 0, -1
	v_cmp_eq_u64_e64 s[12:13], 0, v[22:23]
	s_andn2_b64 s[18:19], s[50:51], exec
	s_and_b64 s[50:51], s[56:57], exec
	s_or_b64 s[50:51], s[18:19], s[50:51]
	s_andn2_b64 s[18:19], s[48:49], exec
	s_and_b64 s[12:13], s[12:13], exec
	v_lshl_add_u64 v[18:19], v[18:19], 0, 8
	v_lshl_add_u64 v[20:21], v[20:21], 0, 8
	s_andn2_b64 s[16:17], s[16:17], exec
	s_or_b64 s[48:49], s[18:19], s[12:13]
                                        ; implicit-def: $sgpr52_sgpr53
	s_branch .LBB1616_1048
.LBB1616_1051:
	s_or_b64 exec, exec, s[44:45]
	s_xor_b64 s[12:13], s[46:47], -1
	s_orn2_b64 s[12:13], s[12:13], exec
.LBB1616_1052:
	s_or_b64 exec, exec, s[42:43]
	s_and_b64 s[16:17], s[12:13], exec
.LBB1616_1053:
	s_or_b64 exec, exec, s[34:35]
	s_orn2_b64 s[34:35], s[16:17], exec
.LBB1616_1054:
	s_or_b64 exec, exec, s[36:37]
	v_cndmask_b32_e64 v16, v70, v71, s[34:35]
	v_cndmask_b32_e64 v18, v101, v100, s[34:35]
	v_add_u32_e32 v19, 1, v16
	v_add_u32_e32 v16, -1, v18
	v_min_u32_e32 v16, v19, v16
	v_lshl_add_u64 v[16:17], v[16:17], 3, v[66:67]
	flat_load_dwordx2 v[16:17], v[16:17]
	v_cndmask_b32_e64 v22, v19, v70, s[34:35]
	v_cndmask_b32_e64 v23, v71, v19, s[34:35]
	v_cmp_lt_u32_e64 s[12:13], v22, v101
	s_waitcnt vmcnt(0) lgkmcnt(0)
	v_cndmask_b32_e64 v96, v17, v84, s[34:35]
	v_cndmask_b32_e64 v97, v16, v85, s[34:35]
	;; [unrolled: 1-line block ×4, first 2 shown]
	s_and_saveexec_b64 s[36:37], s[12:13]
	s_cbranch_execz .LBB1616_1064
; %bb.1055:
	v_cmp_lt_u32_e64 s[12:13], v23, v100
	s_mov_b64 s[16:17], 0
	s_and_saveexec_b64 s[28:29], s[12:13]
	s_cbranch_execz .LBB1616_1063
; %bb.1056:
	s_mov_b64 s[12:13], -1
	s_and_saveexec_b64 s[42:43], s[8:9]
	s_cbranch_execz .LBB1616_1062
; %bb.1057:
	v_mul_lo_u32 v18, v98, v6
	v_mul_lo_u32 v19, v99, v7
	v_mad_u64_u32 v[16:17], s[12:13], v99, v6, 0
	v_add3_u32 v17, v17, v19, v18
	v_mul_lo_u32 v20, v96, v6
	v_mul_lo_u32 v21, v97, v7
	v_mad_u64_u32 v[18:19], s[12:13], v97, v6, 0
	v_add3_u32 v19, v19, v21, v20
	v_lshl_add_u64 v[16:17], v[16:17], 3, v[8:9]
	v_lshl_add_u64 v[18:19], v[18:19], 3, v[8:9]
	s_mov_b64 s[44:45], 0
	v_mov_b64_e32 v[20:21], v[6:7]
                                        ; implicit-def: $sgpr46_sgpr47
                                        ; implicit-def: $sgpr48_sgpr49
                                        ; implicit-def: $sgpr16_sgpr17
                                        ; implicit-def: $sgpr50_sgpr51
                                        ; implicit-def: $sgpr52_sgpr53
	s_branch .LBB1616_1059
.LBB1616_1058:                          ;   in Loop: Header=BB1616_1059 Depth=1
	s_or_b64 exec, exec, s[54:55]
	s_and_b64 s[12:13], exec, s[48:49]
	s_or_b64 s[44:45], s[12:13], s[44:45]
	s_andn2_b64 s[12:13], s[52:53], exec
	s_and_b64 s[18:19], s[50:51], exec
	s_or_b64 s[52:53], s[12:13], s[18:19]
	s_andn2_b64 s[12:13], s[46:47], exec
	s_and_b64 s[18:19], s[16:17], exec
	s_or_b64 s[46:47], s[12:13], s[18:19]
	s_andn2_b64 exec, exec, s[44:45]
	s_cbranch_execz .LBB1616_1061
.LBB1616_1059:                          ; =>This Inner Loop Header: Depth=1
	flat_load_dwordx2 v[70:71], v[18:19]
	flat_load_dwordx2 v[102:103], v[16:17]
	s_andn2_b64 s[54:55], s[16:17], exec
	s_andn2_b64 s[50:51], s[50:51], exec
	s_or_b64 s[48:49], s[48:49], exec
	s_waitcnt vmcnt(0) lgkmcnt(0)
	v_cmp_le_u64_e64 s[16:17], v[70:71], v[102:103]
	v_cmp_lt_u64_e64 s[12:13], v[70:71], v[102:103]
	s_and_b64 s[16:17], s[16:17], s[52:53]
	s_or_b64 s[56:57], s[12:13], s[16:17]
	s_and_b64 s[12:13], s[56:57], exec
	v_cmp_eq_u64_e64 s[18:19], v[70:71], v[102:103]
	s_or_b64 s[16:17], s[54:55], s[12:13]
	s_and_saveexec_b64 s[54:55], s[18:19]
	s_cbranch_execz .LBB1616_1058
; %bb.1060:                             ;   in Loop: Header=BB1616_1059 Depth=1
	v_lshl_add_u64 v[20:21], v[20:21], 0, -1
	v_cmp_eq_u64_e64 s[12:13], 0, v[20:21]
	s_andn2_b64 s[18:19], s[50:51], exec
	s_and_b64 s[50:51], s[56:57], exec
	s_or_b64 s[50:51], s[18:19], s[50:51]
	s_andn2_b64 s[18:19], s[48:49], exec
	s_and_b64 s[12:13], s[12:13], exec
	v_lshl_add_u64 v[16:17], v[16:17], 0, 8
	v_lshl_add_u64 v[18:19], v[18:19], 0, 8
	s_andn2_b64 s[16:17], s[16:17], exec
	s_or_b64 s[48:49], s[18:19], s[12:13]
                                        ; implicit-def: $sgpr52_sgpr53
	s_branch .LBB1616_1058
.LBB1616_1061:
	s_or_b64 exec, exec, s[44:45]
	s_xor_b64 s[12:13], s[46:47], -1
	s_orn2_b64 s[12:13], s[12:13], exec
.LBB1616_1062:
	s_or_b64 exec, exec, s[42:43]
	s_and_b64 s[16:17], s[12:13], exec
.LBB1616_1063:
	s_or_b64 exec, exec, s[28:29]
	s_orn2_b64 s[28:29], s[16:17], exec
.LBB1616_1064:
	s_or_b64 exec, exec, s[36:37]
	v_cndmask_b32_e64 v16, v22, v23, s[28:29]
	v_cndmask_b32_e64 v17, v101, v100, s[28:29]
	v_add_u32_e32 v20, 1, v16
	v_add_u32_e32 v16, -1, v17
	v_min_u32_e32 v16, v20, v16
	v_mov_b32_e32 v17, 0
	v_lshl_add_u64 v[18:19], v[16:17], 3, v[66:67]
	flat_load_dwordx2 v[18:19], v[18:19]
	v_cndmask_b32_e64 v70, v20, v22, s[28:29]
	s_mov_b64 s[36:37], -1
	v_cndmask_b32_e64 v71, v23, v20, s[28:29]
	v_cmp_lt_u32_e64 s[12:13], v70, v101
	s_mov_b64 s[42:43], -1
	s_waitcnt vmcnt(0) lgkmcnt(0)
	v_cndmask_b32_e64 v102, v19, v96, s[28:29]
	v_cndmask_b32_e64 v103, v18, v97, s[28:29]
	;; [unrolled: 1-line block ×4, first 2 shown]
	s_and_saveexec_b64 s[44:45], s[12:13]
	s_cbranch_execz .LBB1616_1074
; %bb.1065:
	v_cmp_lt_u32_e64 s[12:13], v71, v100
	s_mov_b64 s[16:17], 0
	s_and_saveexec_b64 s[42:43], s[12:13]
	s_cbranch_execz .LBB1616_1073
; %bb.1066:
	s_mov_b64 s[12:13], -1
	s_and_saveexec_b64 s[46:47], s[8:9]
	s_cbranch_execz .LBB1616_1072
; %bb.1067:
	v_mul_lo_u32 v16, v112, v6
	v_mul_lo_u32 v20, v113, v7
	v_mad_u64_u32 v[18:19], s[12:13], v113, v6, 0
	v_add3_u32 v19, v19, v20, v16
	v_mul_lo_u32 v16, v102, v6
	v_mul_lo_u32 v22, v103, v7
	v_mad_u64_u32 v[20:21], s[12:13], v103, v6, 0
	v_add3_u32 v21, v21, v22, v16
	v_lshl_add_u64 v[18:19], v[18:19], 3, v[8:9]
	v_lshl_add_u64 v[20:21], v[20:21], 3, v[8:9]
	s_mov_b64 s[48:49], 0
	v_mov_b64_e32 v[22:23], v[6:7]
                                        ; implicit-def: $sgpr50_sgpr51
                                        ; implicit-def: $sgpr52_sgpr53
                                        ; implicit-def: $sgpr16_sgpr17
                                        ; implicit-def: $sgpr54_sgpr55
                                        ; implicit-def: $sgpr56_sgpr57
	s_branch .LBB1616_1069
.LBB1616_1068:                          ;   in Loop: Header=BB1616_1069 Depth=1
	s_or_b64 exec, exec, s[58:59]
	s_and_b64 s[12:13], exec, s[52:53]
	s_or_b64 s[48:49], s[12:13], s[48:49]
	s_andn2_b64 s[12:13], s[56:57], exec
	s_and_b64 s[18:19], s[54:55], exec
	s_or_b64 s[56:57], s[12:13], s[18:19]
	s_andn2_b64 s[12:13], s[50:51], exec
	s_and_b64 s[18:19], s[16:17], exec
	s_or_b64 s[50:51], s[12:13], s[18:19]
	s_andn2_b64 exec, exec, s[48:49]
	s_cbranch_execz .LBB1616_1071
.LBB1616_1069:                          ; =>This Inner Loop Header: Depth=1
	flat_load_dwordx2 v[114:115], v[20:21]
	flat_load_dwordx2 v[116:117], v[18:19]
	s_andn2_b64 s[58:59], s[16:17], exec
	s_andn2_b64 s[54:55], s[54:55], exec
	s_or_b64 s[52:53], s[52:53], exec
	s_waitcnt vmcnt(0) lgkmcnt(0)
	v_cmp_le_u64_e64 s[16:17], v[114:115], v[116:117]
	v_cmp_lt_u64_e64 s[12:13], v[114:115], v[116:117]
	s_and_b64 s[16:17], s[16:17], s[56:57]
	s_or_b64 s[60:61], s[12:13], s[16:17]
	s_and_b64 s[12:13], s[60:61], exec
	v_cmp_eq_u64_e64 s[18:19], v[114:115], v[116:117]
	s_or_b64 s[16:17], s[58:59], s[12:13]
	s_and_saveexec_b64 s[58:59], s[18:19]
	s_cbranch_execz .LBB1616_1068
; %bb.1070:                             ;   in Loop: Header=BB1616_1069 Depth=1
	v_lshl_add_u64 v[22:23], v[22:23], 0, -1
	v_cmp_eq_u64_e64 s[12:13], 0, v[22:23]
	s_andn2_b64 s[18:19], s[54:55], exec
	s_and_b64 s[54:55], s[60:61], exec
	s_or_b64 s[54:55], s[18:19], s[54:55]
	s_andn2_b64 s[18:19], s[52:53], exec
	s_and_b64 s[12:13], s[12:13], exec
	v_lshl_add_u64 v[18:19], v[18:19], 0, 8
	v_lshl_add_u64 v[20:21], v[20:21], 0, 8
	s_andn2_b64 s[16:17], s[16:17], exec
	s_or_b64 s[52:53], s[18:19], s[12:13]
                                        ; implicit-def: $sgpr56_sgpr57
	s_branch .LBB1616_1068
.LBB1616_1071:
	s_or_b64 exec, exec, s[48:49]
	s_xor_b64 s[12:13], s[50:51], -1
	s_orn2_b64 s[12:13], s[12:13], exec
.LBB1616_1072:
	s_or_b64 exec, exec, s[46:47]
	s_and_b64 s[16:17], s[12:13], exec
.LBB1616_1073:
	s_or_b64 exec, exec, s[42:43]
	s_orn2_b64 s[42:43], s[16:17], exec
.LBB1616_1074:
	s_or_b64 exec, exec, s[44:45]
	v_cndmask_b32_e64 v16, v70, v71, s[42:43]
	v_cndmask_b32_e64 v18, v101, v100, s[42:43]
	v_add_u32_e32 v19, 1, v16
	v_add_u32_e32 v16, -1, v18
	v_min_u32_e32 v16, v19, v16
	v_lshl_add_u64 v[16:17], v[16:17], 3, v[66:67]
	flat_load_dwordx2 v[16:17], v[16:17]
	v_cndmask_b32_e64 v117, v19, v70, s[42:43]
	v_cndmask_b32_e64 v114, v71, v19, s[42:43]
	v_cmp_lt_u32_e64 s[12:13], v117, v101
	s_waitcnt vmcnt(0) lgkmcnt(0)
	v_cndmask_b32_e64 v115, v17, v102, s[42:43]
	v_cndmask_b32_e64 v116, v16, v103, s[42:43]
	;; [unrolled: 1-line block ×4, first 2 shown]
	s_and_saveexec_b64 s[44:45], s[12:13]
	s_cbranch_execz .LBB1616_1084
; %bb.1075:
	v_cmp_lt_u32_e64 s[12:13], v114, v100
	s_mov_b64 s[16:17], 0
	s_and_saveexec_b64 s[36:37], s[12:13]
	s_cbranch_execz .LBB1616_1083
; %bb.1076:
	s_mov_b64 s[12:13], -1
	s_and_saveexec_b64 s[46:47], s[8:9]
	s_cbranch_execz .LBB1616_1082
; %bb.1077:
	v_mul_lo_u32 v18, v118, v6
	v_mul_lo_u32 v19, v119, v7
	v_mad_u64_u32 v[16:17], s[12:13], v119, v6, 0
	v_add3_u32 v17, v17, v19, v18
	v_mul_lo_u32 v20, v115, v6
	v_mul_lo_u32 v21, v116, v7
	v_mad_u64_u32 v[18:19], s[12:13], v116, v6, 0
	v_add3_u32 v19, v19, v21, v20
	v_lshl_add_u64 v[16:17], v[16:17], 3, v[8:9]
	v_lshl_add_u64 v[18:19], v[18:19], 3, v[8:9]
	s_mov_b64 s[48:49], 0
	v_mov_b64_e32 v[20:21], v[6:7]
                                        ; implicit-def: $sgpr50_sgpr51
                                        ; implicit-def: $sgpr52_sgpr53
                                        ; implicit-def: $sgpr16_sgpr17
                                        ; implicit-def: $sgpr54_sgpr55
                                        ; implicit-def: $sgpr56_sgpr57
	s_branch .LBB1616_1079
.LBB1616_1078:                          ;   in Loop: Header=BB1616_1079 Depth=1
	s_or_b64 exec, exec, s[58:59]
	s_and_b64 s[12:13], exec, s[52:53]
	s_or_b64 s[48:49], s[12:13], s[48:49]
	s_andn2_b64 s[12:13], s[56:57], exec
	s_and_b64 s[18:19], s[54:55], exec
	s_or_b64 s[56:57], s[12:13], s[18:19]
	s_andn2_b64 s[12:13], s[50:51], exec
	s_and_b64 s[18:19], s[16:17], exec
	s_or_b64 s[50:51], s[12:13], s[18:19]
	s_andn2_b64 exec, exec, s[48:49]
	s_cbranch_execz .LBB1616_1081
.LBB1616_1079:                          ; =>This Inner Loop Header: Depth=1
	flat_load_dwordx2 v[22:23], v[18:19]
	flat_load_dwordx2 v[70:71], v[16:17]
	s_andn2_b64 s[58:59], s[16:17], exec
	s_andn2_b64 s[54:55], s[54:55], exec
	s_or_b64 s[52:53], s[52:53], exec
	s_waitcnt vmcnt(0) lgkmcnt(0)
	v_cmp_le_u64_e64 s[16:17], v[22:23], v[70:71]
	v_cmp_lt_u64_e64 s[12:13], v[22:23], v[70:71]
	s_and_b64 s[16:17], s[16:17], s[56:57]
	s_or_b64 s[60:61], s[12:13], s[16:17]
	s_and_b64 s[12:13], s[60:61], exec
	v_cmp_eq_u64_e64 s[18:19], v[22:23], v[70:71]
	s_or_b64 s[16:17], s[58:59], s[12:13]
	s_and_saveexec_b64 s[58:59], s[18:19]
	s_cbranch_execz .LBB1616_1078
; %bb.1080:                             ;   in Loop: Header=BB1616_1079 Depth=1
	v_lshl_add_u64 v[20:21], v[20:21], 0, -1
	v_cmp_eq_u64_e64 s[12:13], 0, v[20:21]
	s_andn2_b64 s[18:19], s[54:55], exec
	s_and_b64 s[54:55], s[60:61], exec
	s_or_b64 s[54:55], s[18:19], s[54:55]
	s_andn2_b64 s[18:19], s[52:53], exec
	s_and_b64 s[12:13], s[12:13], exec
	v_lshl_add_u64 v[16:17], v[16:17], 0, 8
	v_lshl_add_u64 v[18:19], v[18:19], 0, 8
	s_andn2_b64 s[16:17], s[16:17], exec
	s_or_b64 s[52:53], s[18:19], s[12:13]
                                        ; implicit-def: $sgpr56_sgpr57
	s_branch .LBB1616_1078
.LBB1616_1081:
	s_or_b64 exec, exec, s[48:49]
	s_xor_b64 s[12:13], s[50:51], -1
	s_orn2_b64 s[12:13], s[12:13], exec
.LBB1616_1082:
	s_or_b64 exec, exec, s[46:47]
	s_and_b64 s[16:17], s[12:13], exec
.LBB1616_1083:
	s_or_b64 exec, exec, s[36:37]
	s_orn2_b64 s[36:37], s[16:17], exec
.LBB1616_1084:
	s_or_b64 exec, exec, s[44:45]
	v_cndmask_b32_e64 v16, v117, v114, s[36:37]
	v_cndmask_b32_e64 v17, v101, v100, s[36:37]
	v_add_u32_e32 v128, 1, v16
	v_add_u32_e32 v16, -1, v17
	v_min_u32_e32 v16, v128, v16
	v_mov_b32_e32 v17, 0
	v_lshl_add_u64 v[16:17], v[16:17], 3, v[66:67]
	flat_load_dwordx2 v[70:71], v[16:17]
	v_cndmask_b32_e64 v21, v27, v82, s[24:25]
	v_cndmask_b32_e64 v27, v24, v26, s[26:27]
	;; [unrolled: 1-line block ×15, first 2 shown]
	v_cmp_lt_u32_e64 s[12:13], v80, v101
	s_waitcnt vmcnt(0) lgkmcnt(0)
	v_cndmask_b32_e64 v15, v118, v71, s[36:37]
	v_cndmask_b32_e64 v14, v119, v70, s[36:37]
	s_and_saveexec_b64 s[22:23], s[12:13]
	s_cbranch_execz .LBB1616_1094
; %bb.1085:
	v_cndmask_b32_e64 v80, v114, v128, s[36:37]
	v_cndmask_b32_e64 v71, v71, v115, s[36:37]
	;; [unrolled: 1-line block ×3, first 2 shown]
	v_cmp_lt_u32_e64 s[12:13], v80, v100
	s_and_saveexec_b64 s[24:25], s[12:13]
	s_cbranch_execz .LBB1616_1093
; %bb.1086:
	s_and_saveexec_b64 s[26:27], s[8:9]
	s_cbranch_execz .LBB1616_1092
; %bb.1087:
	v_mul_lo_u32 v82, v15, v6
	v_mul_lo_u32 v83, v14, v7
	v_mad_u64_u32 v[80:81], s[12:13], v14, v6, 0
	v_add3_u32 v81, v81, v83, v82
	v_mul_lo_u32 v84, v71, v6
	v_mul_lo_u32 v85, v70, v7
	v_mad_u64_u32 v[82:83], s[12:13], v70, v6, 0
	v_add3_u32 v83, v83, v85, v84
	v_lshl_add_u64 v[80:81], v[80:81], 3, v[8:9]
	v_lshl_add_u64 v[82:83], v[82:83], 3, v[8:9]
	s_mov_b64 s[28:29], 0
	v_mov_b64_e32 v[84:85], v[6:7]
                                        ; implicit-def: $sgpr34_sgpr35
                                        ; implicit-def: $sgpr36_sgpr37
                                        ; implicit-def: $sgpr16_sgpr17
                                        ; implicit-def: $sgpr42_sgpr43
                                        ; implicit-def: $sgpr44_sgpr45
	s_branch .LBB1616_1089
.LBB1616_1088:                          ;   in Loop: Header=BB1616_1089 Depth=1
	s_or_b64 exec, exec, s[46:47]
	s_and_b64 s[12:13], exec, s[36:37]
	s_or_b64 s[28:29], s[12:13], s[28:29]
	s_andn2_b64 s[12:13], s[44:45], exec
	s_and_b64 s[18:19], s[42:43], exec
	s_or_b64 s[44:45], s[12:13], s[18:19]
	s_andn2_b64 s[12:13], s[34:35], exec
	s_and_b64 s[18:19], s[16:17], exec
	s_or_b64 s[34:35], s[12:13], s[18:19]
	s_andn2_b64 exec, exec, s[28:29]
	s_cbranch_execz .LBB1616_1091
.LBB1616_1089:                          ; =>This Inner Loop Header: Depth=1
	flat_load_dwordx2 v[86:87], v[82:83]
	flat_load_dwordx2 v[96:97], v[80:81]
	s_andn2_b64 s[46:47], s[16:17], exec
	s_andn2_b64 s[42:43], s[42:43], exec
	s_or_b64 s[36:37], s[36:37], exec
	s_waitcnt vmcnt(0) lgkmcnt(0)
	v_cmp_le_u64_e64 s[16:17], v[86:87], v[96:97]
	v_cmp_lt_u64_e64 s[12:13], v[86:87], v[96:97]
	s_and_b64 s[16:17], s[16:17], s[44:45]
	s_or_b64 s[48:49], s[12:13], s[16:17]
	s_and_b64 s[12:13], s[48:49], exec
	v_cmp_eq_u64_e64 s[18:19], v[86:87], v[96:97]
	s_or_b64 s[16:17], s[46:47], s[12:13]
	s_and_saveexec_b64 s[46:47], s[18:19]
	s_cbranch_execz .LBB1616_1088
; %bb.1090:                             ;   in Loop: Header=BB1616_1089 Depth=1
	v_lshl_add_u64 v[84:85], v[84:85], 0, -1
	v_cmp_eq_u64_e64 s[12:13], 0, v[84:85]
	s_andn2_b64 s[18:19], s[42:43], exec
	s_and_b64 s[42:43], s[48:49], exec
	s_or_b64 s[42:43], s[18:19], s[42:43]
	s_andn2_b64 s[18:19], s[36:37], exec
	s_and_b64 s[12:13], s[12:13], exec
	v_lshl_add_u64 v[80:81], v[80:81], 0, 8
	v_lshl_add_u64 v[82:83], v[82:83], 0, 8
	s_andn2_b64 s[16:17], s[16:17], exec
	s_or_b64 s[36:37], s[18:19], s[12:13]
                                        ; implicit-def: $sgpr44_sgpr45
	s_branch .LBB1616_1088
.LBB1616_1091:
	s_or_b64 exec, exec, s[28:29]
	v_cndmask_b32_e64 v15, v15, v71, s[34:35]
	v_cndmask_b32_e64 v14, v14, v70, s[34:35]
.LBB1616_1092:
	s_or_b64 exec, exec, s[26:27]
	v_mov_b64_e32 v[70:71], v[14:15]
.LBB1616_1093:
	s_or_b64 exec, exec, s[24:25]
	v_mov_b64_e32 v[14:15], v[70:71]
.LBB1616_1094:
	s_or_b64 exec, exec, s[22:23]
.LBB1616_1095:
	s_or_b64 exec, exec, s[20:21]
	v_and_b32_e32 v102, 0x3e0, v31
	v_or_b32_e32 v70, 16, v102
	v_min_u32_e32 v100, v1, v70
	v_add_u32_e32 v70, 16, v100
	v_min_u32_e32 v101, v1, v70
	v_and_b32_e32 v70, 24, v31
	v_min_u32_e32 v103, v1, v70
	v_sub_u32_e32 v70, v100, v102
	v_sub_u32_e32 v71, v101, v100
	v_sub_u32_e64 v112, v103, v71 clamp
	v_min_u32_e32 v113, v103, v70
	v_cmp_lt_u32_e64 s[12:13], v112, v113
	; wave barrier
	flat_store_dwordx4 v[68:69], v[24:27]
	flat_store_dwordx4 v[68:69], v[20:23] offset:16
	flat_store_dwordx4 v[68:69], v[16:19] offset:32
	;; [unrolled: 1-line block ×3, first 2 shown]
	; wave barrier
	s_and_saveexec_b64 s[20:21], s[12:13]
	s_cbranch_execz .LBB1616_1105
; %bb.1096:
	v_lshlrev_b32_e32 v70, 3, v102
	v_mov_b32_e32 v71, 0
	v_lshl_add_u64 v[80:81], v[66:67], 0, v[70:71]
	v_lshlrev_b32_e32 v70, 3, v100
	v_lshl_add_u64 v[82:83], v[66:67], 0, v[70:71]
	s_mov_b64 s[22:23], 0
	s_branch .LBB1616_1099
.LBB1616_1097:                          ;   in Loop: Header=BB1616_1099 Depth=1
	s_or_b64 exec, exec, s[26:27]
	s_and_b64 s[12:13], s[28:29], exec
.LBB1616_1098:                          ;   in Loop: Header=BB1616_1099 Depth=1
	s_or_b64 exec, exec, s[24:25]
	v_add_u32_e32 v70, 1, v84
	v_cndmask_b32_e64 v113, v113, v84, s[12:13]
	v_cndmask_b32_e64 v112, v70, v112, s[12:13]
	v_cmp_ge_u32_e64 s[12:13], v112, v113
	s_or_b64 s[22:23], s[12:13], s[22:23]
	s_andn2_b64 exec, exec, s[22:23]
	s_cbranch_execz .LBB1616_1104
.LBB1616_1099:                          ; =>This Loop Header: Depth=1
                                        ;     Child Loop BB1616_1102 Depth 2
	v_add_u32_e32 v70, v113, v112
	v_lshrrev_b32_e32 v84, 1, v70
	s_mov_b64 s[12:13], 0
	s_and_saveexec_b64 s[24:25], s[8:9]
	s_cbranch_execz .LBB1616_1098
; %bb.1100:                             ;   in Loop: Header=BB1616_1099 Depth=1
	v_mov_b32_e32 v85, v71
	v_xad_u32 v70, v84, -1, v103
	v_lshl_add_u64 v[86:87], v[84:85], 3, v[80:81]
	v_lshl_add_u64 v[96:97], v[70:71], 3, v[82:83]
	flat_load_dwordx2 v[86:87], v[86:87]
	s_mov_b64 s[26:27], 0
	flat_load_dwordx2 v[96:97], v[96:97]
                                        ; implicit-def: $sgpr28_sgpr29
                                        ; implicit-def: $sgpr34_sgpr35
                                        ; implicit-def: $sgpr36_sgpr37
                                        ; implicit-def: $sgpr16_sgpr17
                                        ; implicit-def: $sgpr42_sgpr43
	s_waitcnt vmcnt(0) lgkmcnt(0)
	v_mul_lo_u32 v70, v64, v87
	v_mul_lo_u32 v85, v65, v86
	v_mad_u64_u32 v[86:87], s[12:13], v64, v86, v[8:9]
	v_mul_lo_u32 v98, v64, v97
	v_mul_lo_u32 v99, v65, v96
	v_mad_u64_u32 v[96:97], s[12:13], v64, v96, v[8:9]
	v_add3_u32 v87, v85, v87, v70
	v_add3_u32 v97, v99, v97, v98
	v_mov_b64_e32 v[98:99], v[6:7]
	s_branch .LBB1616_1102
.LBB1616_1101:                          ;   in Loop: Header=BB1616_1102 Depth=2
	s_or_b64 exec, exec, s[44:45]
	s_and_b64 s[12:13], exec, s[34:35]
	s_or_b64 s[26:27], s[12:13], s[26:27]
	s_andn2_b64 s[12:13], s[42:43], exec
	s_and_b64 s[18:19], s[36:37], exec
	s_or_b64 s[42:43], s[12:13], s[18:19]
	s_andn2_b64 s[12:13], s[28:29], exec
	s_and_b64 s[18:19], s[16:17], exec
	s_or_b64 s[28:29], s[12:13], s[18:19]
	s_andn2_b64 exec, exec, s[26:27]
	s_cbranch_execz .LBB1616_1097
.LBB1616_1102:                          ;   Parent Loop BB1616_1099 Depth=1
                                        ; =>  This Inner Loop Header: Depth=2
	flat_load_dwordx2 v[114:115], v[96:97]
	flat_load_dwordx2 v[116:117], v[86:87]
	s_andn2_b64 s[44:45], s[16:17], exec
	s_andn2_b64 s[36:37], s[36:37], exec
	s_or_b64 s[34:35], s[34:35], exec
	s_waitcnt vmcnt(0) lgkmcnt(0)
	v_cmp_le_u64_e64 s[16:17], v[114:115], v[116:117]
	v_cmp_lt_u64_e64 s[12:13], v[114:115], v[116:117]
	s_and_b64 s[16:17], s[16:17], s[42:43]
	s_or_b64 s[46:47], s[12:13], s[16:17]
	s_and_b64 s[12:13], s[46:47], exec
	v_cmp_eq_u64_e64 s[18:19], v[114:115], v[116:117]
	s_or_b64 s[16:17], s[44:45], s[12:13]
	s_and_saveexec_b64 s[44:45], s[18:19]
	s_cbranch_execz .LBB1616_1101
; %bb.1103:                             ;   in Loop: Header=BB1616_1102 Depth=2
	v_lshl_add_u64 v[98:99], v[98:99], 0, -1
	v_cmp_eq_u64_e64 s[12:13], 0, v[98:99]
	s_andn2_b64 s[18:19], s[36:37], exec
	s_and_b64 s[36:37], s[46:47], exec
	s_or_b64 s[36:37], s[18:19], s[36:37]
	s_andn2_b64 s[18:19], s[34:35], exec
	s_and_b64 s[12:13], s[12:13], exec
	v_lshl_add_u64 v[86:87], v[86:87], 0, 8
	v_lshl_add_u64 v[96:97], v[96:97], 0, 8
	s_andn2_b64 s[16:17], s[16:17], exec
	s_or_b64 s[34:35], s[18:19], s[12:13]
                                        ; implicit-def: $sgpr42_sgpr43
	s_branch .LBB1616_1101
.LBB1616_1104:
	s_or_b64 exec, exec, s[22:23]
.LBB1616_1105:
	s_or_b64 exec, exec, s[20:21]
	v_add_u32_e32 v71, v100, v103
	v_add_u32_e32 v70, v112, v102
	v_sub_u32_e32 v80, v71, v112
	v_cmp_le_u32_e64 s[12:13], v70, v100
	v_cmp_le_u32_e64 s[16:17], v80, v101
	s_or_b64 s[12:13], s[12:13], s[16:17]
	s_and_saveexec_b64 s[20:21], s[12:13]
	s_cbranch_execz .LBB1616_1189
; %bb.1106:
	v_cmp_ge_u32_e64 s[16:17], v70, v100
	v_cmp_lt_u32_e64 s[12:13], v70, v100
                                        ; implicit-def: $vgpr12_vgpr13
	s_and_saveexec_b64 s[18:19], s[12:13]
	s_cbranch_execz .LBB1616_1108
; %bb.1107:
	v_mov_b32_e32 v71, 0
	v_lshl_add_u64 v[12:13], v[70:71], 3, v[66:67]
	flat_load_dwordx2 v[12:13], v[12:13]
.LBB1616_1108:
	s_or_b64 exec, exec, s[18:19]
	v_cmp_ge_u32_e64 s[22:23], v80, v101
	v_cmp_lt_u32_e64 s[12:13], v80, v101
                                        ; implicit-def: $vgpr14_vgpr15
	s_and_saveexec_b64 s[18:19], s[12:13]
	s_cbranch_execz .LBB1616_1110
; %bb.1109:
	v_mov_b32_e32 v81, 0
	v_lshl_add_u64 v[14:15], v[80:81], 3, v[66:67]
	flat_load_dwordx2 v[14:15], v[14:15]
.LBB1616_1110:
	s_or_b64 exec, exec, s[18:19]
	s_or_b64 s[12:13], s[16:17], s[22:23]
	s_xor_b64 s[12:13], s[12:13], -1
	s_and_saveexec_b64 s[24:25], s[12:13]
	s_cbranch_execz .LBB1616_1118
; %bb.1111:
	s_mov_b64 s[12:13], 0
	s_and_saveexec_b64 s[26:27], s[8:9]
	s_cbranch_execz .LBB1616_1117
; %bb.1112:
	s_waitcnt vmcnt(0) lgkmcnt(0)
	v_mul_lo_u32 v18, v13, v6
	v_mul_lo_u32 v19, v12, v7
	v_mad_u64_u32 v[16:17], s[12:13], v12, v6, 0
	v_add3_u32 v17, v17, v19, v18
	v_mul_lo_u32 v20, v15, v6
	v_mul_lo_u32 v21, v14, v7
	v_mad_u64_u32 v[18:19], s[12:13], v14, v6, 0
	v_add3_u32 v19, v19, v21, v20
	v_lshl_add_u64 v[16:17], v[16:17], 3, v[8:9]
	v_lshl_add_u64 v[18:19], v[18:19], 3, v[8:9]
	s_mov_b64 s[28:29], 0
	v_mov_b64_e32 v[20:21], v[6:7]
                                        ; implicit-def: $sgpr34_sgpr35
                                        ; implicit-def: $sgpr36_sgpr37
                                        ; implicit-def: $sgpr42_sgpr43
                                        ; implicit-def: $sgpr16_sgpr17
                                        ; implicit-def: $sgpr44_sgpr45
	s_branch .LBB1616_1114
.LBB1616_1113:                          ;   in Loop: Header=BB1616_1114 Depth=1
	s_or_b64 exec, exec, s[46:47]
	s_and_b64 s[12:13], exec, s[36:37]
	s_or_b64 s[28:29], s[12:13], s[28:29]
	s_andn2_b64 s[12:13], s[44:45], exec
	s_and_b64 s[18:19], s[42:43], exec
	s_or_b64 s[44:45], s[12:13], s[18:19]
	s_andn2_b64 s[12:13], s[34:35], exec
	s_and_b64 s[18:19], s[16:17], exec
	s_or_b64 s[34:35], s[12:13], s[18:19]
	s_andn2_b64 exec, exec, s[28:29]
	s_cbranch_execz .LBB1616_1116
.LBB1616_1114:                          ; =>This Inner Loop Header: Depth=1
	flat_load_dwordx2 v[22:23], v[18:19]
	flat_load_dwordx2 v[24:25], v[16:17]
	s_andn2_b64 s[46:47], s[16:17], exec
	s_andn2_b64 s[42:43], s[42:43], exec
	s_or_b64 s[36:37], s[36:37], exec
	s_waitcnt vmcnt(0) lgkmcnt(0)
	v_cmp_le_u64_e64 s[16:17], v[22:23], v[24:25]
	v_cmp_lt_u64_e64 s[12:13], v[22:23], v[24:25]
	s_and_b64 s[16:17], s[16:17], s[44:45]
	s_or_b64 s[48:49], s[12:13], s[16:17]
	s_and_b64 s[12:13], s[48:49], exec
	v_cmp_eq_u64_e64 s[18:19], v[22:23], v[24:25]
	s_or_b64 s[16:17], s[46:47], s[12:13]
	s_and_saveexec_b64 s[46:47], s[18:19]
	s_cbranch_execz .LBB1616_1113
; %bb.1115:                             ;   in Loop: Header=BB1616_1114 Depth=1
	v_lshl_add_u64 v[20:21], v[20:21], 0, -1
	v_cmp_eq_u64_e64 s[12:13], 0, v[20:21]
	s_andn2_b64 s[18:19], s[42:43], exec
	s_and_b64 s[42:43], s[48:49], exec
	s_or_b64 s[42:43], s[18:19], s[42:43]
	s_andn2_b64 s[18:19], s[36:37], exec
	s_and_b64 s[12:13], s[12:13], exec
	v_lshl_add_u64 v[16:17], v[16:17], 0, 8
	v_lshl_add_u64 v[18:19], v[18:19], 0, 8
	s_andn2_b64 s[16:17], s[16:17], exec
	s_or_b64 s[36:37], s[18:19], s[12:13]
                                        ; implicit-def: $sgpr44_sgpr45
	s_branch .LBB1616_1113
.LBB1616_1116:
	s_or_b64 exec, exec, s[28:29]
	s_and_b64 s[12:13], s[34:35], exec
.LBB1616_1117:
	s_or_b64 exec, exec, s[26:27]
	s_xor_b64 s[12:13], s[12:13], -1
	s_andn2_b64 s[16:17], s[22:23], exec
	s_and_b64 s[12:13], s[12:13], exec
	s_or_b64 s[22:23], s[16:17], s[12:13]
.LBB1616_1118:
	s_or_b64 exec, exec, s[24:25]
	v_cndmask_b32_e64 v16, v80, v70, s[22:23]
	v_cndmask_b32_e64 v17, v101, v100, s[22:23]
	v_add_u32_e32 v20, 1, v16
	v_add_u32_e32 v16, -1, v17
	v_min_u32_e32 v16, v20, v16
	v_mov_b32_e32 v17, 0
	v_lshl_add_u64 v[18:19], v[16:17], 3, v[66:67]
	flat_load_dwordx2 v[18:19], v[18:19]
	v_cndmask_b32_e64 v27, v20, v80, s[22:23]
	s_mov_b64 s[24:25], -1
	v_cndmask_b32_e64 v70, v70, v20, s[22:23]
	v_cmp_lt_u32_e64 s[12:13], v27, v101
	s_mov_b64 s[26:27], -1
	s_waitcnt vmcnt(0) lgkmcnt(0)
	v_cndmask_b32_e64 v24, v19, v15, s[22:23]
	v_cndmask_b32_e64 v25, v18, v14, s[22:23]
	;; [unrolled: 1-line block ×4, first 2 shown]
	s_and_saveexec_b64 s[28:29], s[12:13]
	s_cbranch_execz .LBB1616_1128
; %bb.1119:
	v_cmp_lt_u32_e64 s[12:13], v70, v100
	s_mov_b64 s[16:17], 0
	s_and_saveexec_b64 s[26:27], s[12:13]
	s_cbranch_execz .LBB1616_1127
; %bb.1120:
	s_mov_b64 s[12:13], 0
	s_and_saveexec_b64 s[34:35], s[8:9]
	s_cbranch_execz .LBB1616_1126
; %bb.1121:
	v_mul_lo_u32 v16, v26, v6
	v_mul_lo_u32 v20, v80, v7
	v_mad_u64_u32 v[18:19], s[12:13], v80, v6, 0
	v_add3_u32 v19, v19, v20, v16
	v_mul_lo_u32 v16, v24, v6
	v_mul_lo_u32 v22, v25, v7
	v_mad_u64_u32 v[20:21], s[12:13], v25, v6, 0
	v_add3_u32 v21, v21, v22, v16
	v_lshl_add_u64 v[18:19], v[18:19], 3, v[8:9]
	v_lshl_add_u64 v[20:21], v[20:21], 3, v[8:9]
	s_mov_b64 s[36:37], 0
	v_mov_b64_e32 v[22:23], v[6:7]
                                        ; implicit-def: $sgpr42_sgpr43
                                        ; implicit-def: $sgpr44_sgpr45
                                        ; implicit-def: $sgpr46_sgpr47
                                        ; implicit-def: $sgpr16_sgpr17
                                        ; implicit-def: $sgpr48_sgpr49
	s_branch .LBB1616_1123
.LBB1616_1122:                          ;   in Loop: Header=BB1616_1123 Depth=1
	s_or_b64 exec, exec, s[50:51]
	s_and_b64 s[12:13], exec, s[44:45]
	s_or_b64 s[36:37], s[12:13], s[36:37]
	s_andn2_b64 s[12:13], s[48:49], exec
	s_and_b64 s[18:19], s[46:47], exec
	s_or_b64 s[48:49], s[12:13], s[18:19]
	s_andn2_b64 s[12:13], s[42:43], exec
	s_and_b64 s[18:19], s[16:17], exec
	s_or_b64 s[42:43], s[12:13], s[18:19]
	s_andn2_b64 exec, exec, s[36:37]
	s_cbranch_execz .LBB1616_1125
.LBB1616_1123:                          ; =>This Inner Loop Header: Depth=1
	flat_load_dwordx2 v[82:83], v[20:21]
	flat_load_dwordx2 v[84:85], v[18:19]
	s_andn2_b64 s[50:51], s[16:17], exec
	s_andn2_b64 s[46:47], s[46:47], exec
	s_or_b64 s[44:45], s[44:45], exec
	s_waitcnt vmcnt(0) lgkmcnt(0)
	v_cmp_le_u64_e64 s[16:17], v[82:83], v[84:85]
	v_cmp_lt_u64_e64 s[12:13], v[82:83], v[84:85]
	s_and_b64 s[16:17], s[16:17], s[48:49]
	s_or_b64 s[52:53], s[12:13], s[16:17]
	s_and_b64 s[12:13], s[52:53], exec
	v_cmp_eq_u64_e64 s[18:19], v[82:83], v[84:85]
	s_or_b64 s[16:17], s[50:51], s[12:13]
	s_and_saveexec_b64 s[50:51], s[18:19]
	s_cbranch_execz .LBB1616_1122
; %bb.1124:                             ;   in Loop: Header=BB1616_1123 Depth=1
	v_lshl_add_u64 v[22:23], v[22:23], 0, -1
	v_cmp_eq_u64_e64 s[12:13], 0, v[22:23]
	s_andn2_b64 s[18:19], s[46:47], exec
	s_and_b64 s[46:47], s[52:53], exec
	s_or_b64 s[46:47], s[18:19], s[46:47]
	s_andn2_b64 s[18:19], s[44:45], exec
	s_and_b64 s[12:13], s[12:13], exec
	v_lshl_add_u64 v[18:19], v[18:19], 0, 8
	v_lshl_add_u64 v[20:21], v[20:21], 0, 8
	s_andn2_b64 s[16:17], s[16:17], exec
	s_or_b64 s[44:45], s[18:19], s[12:13]
                                        ; implicit-def: $sgpr48_sgpr49
	s_branch .LBB1616_1122
.LBB1616_1125:
	s_or_b64 exec, exec, s[36:37]
	s_and_b64 s[12:13], s[42:43], exec
.LBB1616_1126:
	s_or_b64 exec, exec, s[34:35]
	s_xor_b64 s[12:13], s[12:13], -1
	s_and_b64 s[16:17], s[12:13], exec
.LBB1616_1127:
	s_or_b64 exec, exec, s[26:27]
	s_orn2_b64 s[26:27], s[16:17], exec
.LBB1616_1128:
	s_or_b64 exec, exec, s[28:29]
	v_cndmask_b32_e64 v16, v27, v70, s[26:27]
	v_cndmask_b32_e64 v18, v101, v100, s[26:27]
	v_add_u32_e32 v19, 1, v16
	v_add_u32_e32 v16, -1, v18
	v_min_u32_e32 v16, v19, v16
	v_lshl_add_u64 v[16:17], v[16:17], 3, v[66:67]
	flat_load_dwordx2 v[16:17], v[16:17]
	v_cndmask_b32_e64 v22, v19, v27, s[26:27]
	v_cndmask_b32_e64 v23, v70, v19, s[26:27]
	v_cmp_lt_u32_e64 s[12:13], v22, v101
	s_waitcnt vmcnt(0) lgkmcnt(0)
	v_cndmask_b32_e64 v27, v17, v24, s[26:27]
	v_cndmask_b32_e64 v81, v16, v25, s[26:27]
	;; [unrolled: 1-line block ×4, first 2 shown]
	s_and_saveexec_b64 s[28:29], s[12:13]
	s_cbranch_execz .LBB1616_1138
; %bb.1129:
	v_cmp_lt_u32_e64 s[12:13], v23, v100
	s_mov_b64 s[16:17], 0
	s_and_saveexec_b64 s[24:25], s[12:13]
	s_cbranch_execz .LBB1616_1137
; %bb.1130:
	s_mov_b64 s[12:13], 0
	s_and_saveexec_b64 s[34:35], s[8:9]
	s_cbranch_execz .LBB1616_1136
; %bb.1131:
	v_mul_lo_u32 v18, v82, v6
	v_mul_lo_u32 v19, v83, v7
	v_mad_u64_u32 v[16:17], s[12:13], v83, v6, 0
	v_add3_u32 v17, v17, v19, v18
	v_mul_lo_u32 v20, v27, v6
	v_mul_lo_u32 v21, v81, v7
	v_mad_u64_u32 v[18:19], s[12:13], v81, v6, 0
	v_add3_u32 v19, v19, v21, v20
	v_lshl_add_u64 v[16:17], v[16:17], 3, v[8:9]
	v_lshl_add_u64 v[18:19], v[18:19], 3, v[8:9]
	s_mov_b64 s[36:37], 0
	v_mov_b64_e32 v[20:21], v[6:7]
                                        ; implicit-def: $sgpr42_sgpr43
                                        ; implicit-def: $sgpr44_sgpr45
                                        ; implicit-def: $sgpr46_sgpr47
                                        ; implicit-def: $sgpr16_sgpr17
                                        ; implicit-def: $sgpr48_sgpr49
	s_branch .LBB1616_1133
.LBB1616_1132:                          ;   in Loop: Header=BB1616_1133 Depth=1
	s_or_b64 exec, exec, s[50:51]
	s_and_b64 s[12:13], exec, s[44:45]
	s_or_b64 s[36:37], s[12:13], s[36:37]
	s_andn2_b64 s[12:13], s[48:49], exec
	s_and_b64 s[18:19], s[46:47], exec
	s_or_b64 s[48:49], s[12:13], s[18:19]
	s_andn2_b64 s[12:13], s[42:43], exec
	s_and_b64 s[18:19], s[16:17], exec
	s_or_b64 s[42:43], s[12:13], s[18:19]
	s_andn2_b64 exec, exec, s[36:37]
	s_cbranch_execz .LBB1616_1135
.LBB1616_1133:                          ; =>This Inner Loop Header: Depth=1
	flat_load_dwordx2 v[70:71], v[18:19]
	flat_load_dwordx2 v[84:85], v[16:17]
	s_andn2_b64 s[50:51], s[16:17], exec
	s_andn2_b64 s[46:47], s[46:47], exec
	s_or_b64 s[44:45], s[44:45], exec
	s_waitcnt vmcnt(0) lgkmcnt(0)
	v_cmp_le_u64_e64 s[16:17], v[70:71], v[84:85]
	v_cmp_lt_u64_e64 s[12:13], v[70:71], v[84:85]
	s_and_b64 s[16:17], s[16:17], s[48:49]
	s_or_b64 s[52:53], s[12:13], s[16:17]
	s_and_b64 s[12:13], s[52:53], exec
	v_cmp_eq_u64_e64 s[18:19], v[70:71], v[84:85]
	s_or_b64 s[16:17], s[50:51], s[12:13]
	s_and_saveexec_b64 s[50:51], s[18:19]
	s_cbranch_execz .LBB1616_1132
; %bb.1134:                             ;   in Loop: Header=BB1616_1133 Depth=1
	v_lshl_add_u64 v[20:21], v[20:21], 0, -1
	v_cmp_eq_u64_e64 s[12:13], 0, v[20:21]
	s_andn2_b64 s[18:19], s[46:47], exec
	s_and_b64 s[46:47], s[52:53], exec
	s_or_b64 s[46:47], s[18:19], s[46:47]
	s_andn2_b64 s[18:19], s[44:45], exec
	s_and_b64 s[12:13], s[12:13], exec
	v_lshl_add_u64 v[16:17], v[16:17], 0, 8
	v_lshl_add_u64 v[18:19], v[18:19], 0, 8
	s_andn2_b64 s[16:17], s[16:17], exec
	s_or_b64 s[44:45], s[18:19], s[12:13]
                                        ; implicit-def: $sgpr48_sgpr49
	s_branch .LBB1616_1132
.LBB1616_1135:
	s_or_b64 exec, exec, s[36:37]
	s_and_b64 s[12:13], s[42:43], exec
.LBB1616_1136:
	s_or_b64 exec, exec, s[34:35]
	s_xor_b64 s[12:13], s[12:13], -1
	s_and_b64 s[16:17], s[12:13], exec
.LBB1616_1137:
	s_or_b64 exec, exec, s[24:25]
	s_orn2_b64 s[24:25], s[16:17], exec
.LBB1616_1138:
	s_or_b64 exec, exec, s[28:29]
	v_cndmask_b32_e64 v16, v22, v23, s[24:25]
	v_cndmask_b32_e64 v17, v101, v100, s[24:25]
	v_add_u32_e32 v20, 1, v16
	v_add_u32_e32 v16, -1, v17
	v_min_u32_e32 v16, v20, v16
	v_mov_b32_e32 v17, 0
	v_lshl_add_u64 v[18:19], v[16:17], 3, v[66:67]
	flat_load_dwordx2 v[18:19], v[18:19]
	v_cndmask_b32_e64 v70, v20, v22, s[24:25]
	s_mov_b64 s[28:29], -1
	v_cndmask_b32_e64 v71, v23, v20, s[24:25]
	v_cmp_lt_u32_e64 s[12:13], v70, v101
	s_mov_b64 s[34:35], -1
	s_waitcnt vmcnt(0) lgkmcnt(0)
	v_cndmask_b32_e64 v84, v19, v27, s[24:25]
	v_cndmask_b32_e64 v85, v18, v81, s[24:25]
	;; [unrolled: 1-line block ×4, first 2 shown]
	s_and_saveexec_b64 s[36:37], s[12:13]
	s_cbranch_execz .LBB1616_1148
; %bb.1139:
	v_cmp_lt_u32_e64 s[12:13], v71, v100
	s_mov_b64 s[16:17], 0
	s_and_saveexec_b64 s[34:35], s[12:13]
	s_cbranch_execz .LBB1616_1147
; %bb.1140:
	s_mov_b64 s[12:13], -1
	s_and_saveexec_b64 s[42:43], s[8:9]
	s_cbranch_execz .LBB1616_1146
; %bb.1141:
	v_mul_lo_u32 v16, v86, v6
	v_mul_lo_u32 v20, v87, v7
	v_mad_u64_u32 v[18:19], s[12:13], v87, v6, 0
	v_add3_u32 v19, v19, v20, v16
	v_mul_lo_u32 v16, v84, v6
	v_mul_lo_u32 v22, v85, v7
	v_mad_u64_u32 v[20:21], s[12:13], v85, v6, 0
	v_add3_u32 v21, v21, v22, v16
	v_lshl_add_u64 v[18:19], v[18:19], 3, v[8:9]
	v_lshl_add_u64 v[20:21], v[20:21], 3, v[8:9]
	s_mov_b64 s[44:45], 0
	v_mov_b64_e32 v[22:23], v[6:7]
                                        ; implicit-def: $sgpr46_sgpr47
                                        ; implicit-def: $sgpr48_sgpr49
                                        ; implicit-def: $sgpr16_sgpr17
                                        ; implicit-def: $sgpr50_sgpr51
                                        ; implicit-def: $sgpr52_sgpr53
	s_branch .LBB1616_1143
.LBB1616_1142:                          ;   in Loop: Header=BB1616_1143 Depth=1
	s_or_b64 exec, exec, s[54:55]
	s_and_b64 s[12:13], exec, s[48:49]
	s_or_b64 s[44:45], s[12:13], s[44:45]
	s_andn2_b64 s[12:13], s[52:53], exec
	s_and_b64 s[18:19], s[50:51], exec
	s_or_b64 s[52:53], s[12:13], s[18:19]
	s_andn2_b64 s[12:13], s[46:47], exec
	s_and_b64 s[18:19], s[16:17], exec
	s_or_b64 s[46:47], s[12:13], s[18:19]
	s_andn2_b64 exec, exec, s[44:45]
	s_cbranch_execz .LBB1616_1145
.LBB1616_1143:                          ; =>This Inner Loop Header: Depth=1
	flat_load_dwordx2 v[96:97], v[20:21]
	flat_load_dwordx2 v[98:99], v[18:19]
	s_andn2_b64 s[54:55], s[16:17], exec
	s_andn2_b64 s[50:51], s[50:51], exec
	s_or_b64 s[48:49], s[48:49], exec
	s_waitcnt vmcnt(0) lgkmcnt(0)
	v_cmp_le_u64_e64 s[16:17], v[96:97], v[98:99]
	v_cmp_lt_u64_e64 s[12:13], v[96:97], v[98:99]
	s_and_b64 s[16:17], s[16:17], s[52:53]
	s_or_b64 s[56:57], s[12:13], s[16:17]
	s_and_b64 s[12:13], s[56:57], exec
	v_cmp_eq_u64_e64 s[18:19], v[96:97], v[98:99]
	s_or_b64 s[16:17], s[54:55], s[12:13]
	s_and_saveexec_b64 s[54:55], s[18:19]
	s_cbranch_execz .LBB1616_1142
; %bb.1144:                             ;   in Loop: Header=BB1616_1143 Depth=1
	v_lshl_add_u64 v[22:23], v[22:23], 0, -1
	v_cmp_eq_u64_e64 s[12:13], 0, v[22:23]
	s_andn2_b64 s[18:19], s[50:51], exec
	s_and_b64 s[50:51], s[56:57], exec
	s_or_b64 s[50:51], s[18:19], s[50:51]
	s_andn2_b64 s[18:19], s[48:49], exec
	s_and_b64 s[12:13], s[12:13], exec
	v_lshl_add_u64 v[18:19], v[18:19], 0, 8
	v_lshl_add_u64 v[20:21], v[20:21], 0, 8
	s_andn2_b64 s[16:17], s[16:17], exec
	s_or_b64 s[48:49], s[18:19], s[12:13]
                                        ; implicit-def: $sgpr52_sgpr53
	s_branch .LBB1616_1142
.LBB1616_1145:
	s_or_b64 exec, exec, s[44:45]
	s_xor_b64 s[12:13], s[46:47], -1
	s_orn2_b64 s[12:13], s[12:13], exec
.LBB1616_1146:
	s_or_b64 exec, exec, s[42:43]
	s_and_b64 s[16:17], s[12:13], exec
.LBB1616_1147:
	s_or_b64 exec, exec, s[34:35]
	s_orn2_b64 s[34:35], s[16:17], exec
.LBB1616_1148:
	s_or_b64 exec, exec, s[36:37]
	v_cndmask_b32_e64 v16, v70, v71, s[34:35]
	v_cndmask_b32_e64 v18, v101, v100, s[34:35]
	v_add_u32_e32 v19, 1, v16
	v_add_u32_e32 v16, -1, v18
	v_min_u32_e32 v16, v19, v16
	v_lshl_add_u64 v[16:17], v[16:17], 3, v[66:67]
	flat_load_dwordx2 v[16:17], v[16:17]
	v_cndmask_b32_e64 v22, v19, v70, s[34:35]
	v_cndmask_b32_e64 v23, v71, v19, s[34:35]
	v_cmp_lt_u32_e64 s[12:13], v22, v101
	s_waitcnt vmcnt(0) lgkmcnt(0)
	v_cndmask_b32_e64 v96, v17, v84, s[34:35]
	v_cndmask_b32_e64 v97, v16, v85, s[34:35]
	;; [unrolled: 1-line block ×4, first 2 shown]
	s_and_saveexec_b64 s[36:37], s[12:13]
	s_cbranch_execz .LBB1616_1158
; %bb.1149:
	v_cmp_lt_u32_e64 s[12:13], v23, v100
	s_mov_b64 s[16:17], 0
	s_and_saveexec_b64 s[28:29], s[12:13]
	s_cbranch_execz .LBB1616_1157
; %bb.1150:
	s_mov_b64 s[12:13], -1
	s_and_saveexec_b64 s[42:43], s[8:9]
	s_cbranch_execz .LBB1616_1156
; %bb.1151:
	v_mul_lo_u32 v18, v98, v6
	v_mul_lo_u32 v19, v99, v7
	v_mad_u64_u32 v[16:17], s[12:13], v99, v6, 0
	v_add3_u32 v17, v17, v19, v18
	v_mul_lo_u32 v20, v96, v6
	v_mul_lo_u32 v21, v97, v7
	v_mad_u64_u32 v[18:19], s[12:13], v97, v6, 0
	v_add3_u32 v19, v19, v21, v20
	v_lshl_add_u64 v[16:17], v[16:17], 3, v[8:9]
	v_lshl_add_u64 v[18:19], v[18:19], 3, v[8:9]
	s_mov_b64 s[44:45], 0
	v_mov_b64_e32 v[20:21], v[6:7]
                                        ; implicit-def: $sgpr46_sgpr47
                                        ; implicit-def: $sgpr48_sgpr49
                                        ; implicit-def: $sgpr16_sgpr17
                                        ; implicit-def: $sgpr50_sgpr51
                                        ; implicit-def: $sgpr52_sgpr53
	s_branch .LBB1616_1153
.LBB1616_1152:                          ;   in Loop: Header=BB1616_1153 Depth=1
	s_or_b64 exec, exec, s[54:55]
	s_and_b64 s[12:13], exec, s[48:49]
	s_or_b64 s[44:45], s[12:13], s[44:45]
	s_andn2_b64 s[12:13], s[52:53], exec
	s_and_b64 s[18:19], s[50:51], exec
	s_or_b64 s[52:53], s[12:13], s[18:19]
	s_andn2_b64 s[12:13], s[46:47], exec
	s_and_b64 s[18:19], s[16:17], exec
	s_or_b64 s[46:47], s[12:13], s[18:19]
	s_andn2_b64 exec, exec, s[44:45]
	s_cbranch_execz .LBB1616_1155
.LBB1616_1153:                          ; =>This Inner Loop Header: Depth=1
	flat_load_dwordx2 v[70:71], v[18:19]
	flat_load_dwordx2 v[102:103], v[16:17]
	s_andn2_b64 s[54:55], s[16:17], exec
	s_andn2_b64 s[50:51], s[50:51], exec
	s_or_b64 s[48:49], s[48:49], exec
	s_waitcnt vmcnt(0) lgkmcnt(0)
	v_cmp_le_u64_e64 s[16:17], v[70:71], v[102:103]
	v_cmp_lt_u64_e64 s[12:13], v[70:71], v[102:103]
	s_and_b64 s[16:17], s[16:17], s[52:53]
	s_or_b64 s[56:57], s[12:13], s[16:17]
	s_and_b64 s[12:13], s[56:57], exec
	v_cmp_eq_u64_e64 s[18:19], v[70:71], v[102:103]
	s_or_b64 s[16:17], s[54:55], s[12:13]
	s_and_saveexec_b64 s[54:55], s[18:19]
	s_cbranch_execz .LBB1616_1152
; %bb.1154:                             ;   in Loop: Header=BB1616_1153 Depth=1
	v_lshl_add_u64 v[20:21], v[20:21], 0, -1
	v_cmp_eq_u64_e64 s[12:13], 0, v[20:21]
	s_andn2_b64 s[18:19], s[50:51], exec
	s_and_b64 s[50:51], s[56:57], exec
	s_or_b64 s[50:51], s[18:19], s[50:51]
	s_andn2_b64 s[18:19], s[48:49], exec
	s_and_b64 s[12:13], s[12:13], exec
	v_lshl_add_u64 v[16:17], v[16:17], 0, 8
	v_lshl_add_u64 v[18:19], v[18:19], 0, 8
	s_andn2_b64 s[16:17], s[16:17], exec
	s_or_b64 s[48:49], s[18:19], s[12:13]
                                        ; implicit-def: $sgpr52_sgpr53
	s_branch .LBB1616_1152
.LBB1616_1155:
	s_or_b64 exec, exec, s[44:45]
	s_xor_b64 s[12:13], s[46:47], -1
	s_orn2_b64 s[12:13], s[12:13], exec
.LBB1616_1156:
	s_or_b64 exec, exec, s[42:43]
	s_and_b64 s[16:17], s[12:13], exec
.LBB1616_1157:
	s_or_b64 exec, exec, s[28:29]
	s_orn2_b64 s[28:29], s[16:17], exec
.LBB1616_1158:
	s_or_b64 exec, exec, s[36:37]
	v_cndmask_b32_e64 v16, v22, v23, s[28:29]
	v_cndmask_b32_e64 v17, v101, v100, s[28:29]
	v_add_u32_e32 v20, 1, v16
	v_add_u32_e32 v16, -1, v17
	v_min_u32_e32 v16, v20, v16
	v_mov_b32_e32 v17, 0
	v_lshl_add_u64 v[18:19], v[16:17], 3, v[66:67]
	flat_load_dwordx2 v[18:19], v[18:19]
	v_cndmask_b32_e64 v70, v20, v22, s[28:29]
	s_mov_b64 s[36:37], -1
	v_cndmask_b32_e64 v71, v23, v20, s[28:29]
	v_cmp_lt_u32_e64 s[12:13], v70, v101
	s_mov_b64 s[42:43], -1
	s_waitcnt vmcnt(0) lgkmcnt(0)
	v_cndmask_b32_e64 v102, v19, v96, s[28:29]
	v_cndmask_b32_e64 v103, v18, v97, s[28:29]
	;; [unrolled: 1-line block ×4, first 2 shown]
	s_and_saveexec_b64 s[44:45], s[12:13]
	s_cbranch_execz .LBB1616_1168
; %bb.1159:
	v_cmp_lt_u32_e64 s[12:13], v71, v100
	s_mov_b64 s[16:17], 0
	s_and_saveexec_b64 s[42:43], s[12:13]
	s_cbranch_execz .LBB1616_1167
; %bb.1160:
	s_mov_b64 s[12:13], -1
	s_and_saveexec_b64 s[46:47], s[8:9]
	s_cbranch_execz .LBB1616_1166
; %bb.1161:
	v_mul_lo_u32 v16, v112, v6
	v_mul_lo_u32 v20, v113, v7
	v_mad_u64_u32 v[18:19], s[12:13], v113, v6, 0
	v_add3_u32 v19, v19, v20, v16
	v_mul_lo_u32 v16, v102, v6
	v_mul_lo_u32 v22, v103, v7
	v_mad_u64_u32 v[20:21], s[12:13], v103, v6, 0
	v_add3_u32 v21, v21, v22, v16
	v_lshl_add_u64 v[18:19], v[18:19], 3, v[8:9]
	v_lshl_add_u64 v[20:21], v[20:21], 3, v[8:9]
	s_mov_b64 s[48:49], 0
	v_mov_b64_e32 v[22:23], v[6:7]
                                        ; implicit-def: $sgpr50_sgpr51
                                        ; implicit-def: $sgpr52_sgpr53
                                        ; implicit-def: $sgpr16_sgpr17
                                        ; implicit-def: $sgpr54_sgpr55
                                        ; implicit-def: $sgpr56_sgpr57
	s_branch .LBB1616_1163
.LBB1616_1162:                          ;   in Loop: Header=BB1616_1163 Depth=1
	s_or_b64 exec, exec, s[58:59]
	s_and_b64 s[12:13], exec, s[52:53]
	s_or_b64 s[48:49], s[12:13], s[48:49]
	s_andn2_b64 s[12:13], s[56:57], exec
	s_and_b64 s[18:19], s[54:55], exec
	s_or_b64 s[56:57], s[12:13], s[18:19]
	s_andn2_b64 s[12:13], s[50:51], exec
	s_and_b64 s[18:19], s[16:17], exec
	s_or_b64 s[50:51], s[12:13], s[18:19]
	s_andn2_b64 exec, exec, s[48:49]
	s_cbranch_execz .LBB1616_1165
.LBB1616_1163:                          ; =>This Inner Loop Header: Depth=1
	flat_load_dwordx2 v[114:115], v[20:21]
	flat_load_dwordx2 v[116:117], v[18:19]
	s_andn2_b64 s[58:59], s[16:17], exec
	s_andn2_b64 s[54:55], s[54:55], exec
	s_or_b64 s[52:53], s[52:53], exec
	s_waitcnt vmcnt(0) lgkmcnt(0)
	v_cmp_le_u64_e64 s[16:17], v[114:115], v[116:117]
	v_cmp_lt_u64_e64 s[12:13], v[114:115], v[116:117]
	s_and_b64 s[16:17], s[16:17], s[56:57]
	s_or_b64 s[60:61], s[12:13], s[16:17]
	s_and_b64 s[12:13], s[60:61], exec
	v_cmp_eq_u64_e64 s[18:19], v[114:115], v[116:117]
	s_or_b64 s[16:17], s[58:59], s[12:13]
	s_and_saveexec_b64 s[58:59], s[18:19]
	s_cbranch_execz .LBB1616_1162
; %bb.1164:                             ;   in Loop: Header=BB1616_1163 Depth=1
	v_lshl_add_u64 v[22:23], v[22:23], 0, -1
	v_cmp_eq_u64_e64 s[12:13], 0, v[22:23]
	s_andn2_b64 s[18:19], s[54:55], exec
	s_and_b64 s[54:55], s[60:61], exec
	s_or_b64 s[54:55], s[18:19], s[54:55]
	s_andn2_b64 s[18:19], s[52:53], exec
	s_and_b64 s[12:13], s[12:13], exec
	v_lshl_add_u64 v[18:19], v[18:19], 0, 8
	v_lshl_add_u64 v[20:21], v[20:21], 0, 8
	s_andn2_b64 s[16:17], s[16:17], exec
	s_or_b64 s[52:53], s[18:19], s[12:13]
                                        ; implicit-def: $sgpr56_sgpr57
	s_branch .LBB1616_1162
.LBB1616_1165:
	s_or_b64 exec, exec, s[48:49]
	s_xor_b64 s[12:13], s[50:51], -1
	s_orn2_b64 s[12:13], s[12:13], exec
.LBB1616_1166:
	s_or_b64 exec, exec, s[46:47]
	s_and_b64 s[16:17], s[12:13], exec
.LBB1616_1167:
	s_or_b64 exec, exec, s[42:43]
	s_orn2_b64 s[42:43], s[16:17], exec
.LBB1616_1168:
	s_or_b64 exec, exec, s[44:45]
	v_cndmask_b32_e64 v16, v70, v71, s[42:43]
	v_cndmask_b32_e64 v18, v101, v100, s[42:43]
	v_add_u32_e32 v19, 1, v16
	v_add_u32_e32 v16, -1, v18
	v_min_u32_e32 v16, v19, v16
	v_lshl_add_u64 v[16:17], v[16:17], 3, v[66:67]
	flat_load_dwordx2 v[16:17], v[16:17]
	v_cndmask_b32_e64 v117, v19, v70, s[42:43]
	v_cndmask_b32_e64 v114, v71, v19, s[42:43]
	v_cmp_lt_u32_e64 s[12:13], v117, v101
	s_waitcnt vmcnt(0) lgkmcnt(0)
	v_cndmask_b32_e64 v115, v17, v102, s[42:43]
	v_cndmask_b32_e64 v116, v16, v103, s[42:43]
	;; [unrolled: 1-line block ×4, first 2 shown]
	s_and_saveexec_b64 s[44:45], s[12:13]
	s_cbranch_execz .LBB1616_1178
; %bb.1169:
	v_cmp_lt_u32_e64 s[12:13], v114, v100
	s_mov_b64 s[16:17], 0
	s_and_saveexec_b64 s[36:37], s[12:13]
	s_cbranch_execz .LBB1616_1177
; %bb.1170:
	s_mov_b64 s[12:13], -1
	s_and_saveexec_b64 s[46:47], s[8:9]
	s_cbranch_execz .LBB1616_1176
; %bb.1171:
	v_mul_lo_u32 v18, v118, v6
	v_mul_lo_u32 v19, v119, v7
	v_mad_u64_u32 v[16:17], s[12:13], v119, v6, 0
	v_add3_u32 v17, v17, v19, v18
	v_mul_lo_u32 v20, v115, v6
	v_mul_lo_u32 v21, v116, v7
	v_mad_u64_u32 v[18:19], s[12:13], v116, v6, 0
	v_add3_u32 v19, v19, v21, v20
	v_lshl_add_u64 v[16:17], v[16:17], 3, v[8:9]
	v_lshl_add_u64 v[18:19], v[18:19], 3, v[8:9]
	s_mov_b64 s[48:49], 0
	v_mov_b64_e32 v[20:21], v[6:7]
                                        ; implicit-def: $sgpr50_sgpr51
                                        ; implicit-def: $sgpr52_sgpr53
                                        ; implicit-def: $sgpr16_sgpr17
                                        ; implicit-def: $sgpr54_sgpr55
                                        ; implicit-def: $sgpr56_sgpr57
	s_branch .LBB1616_1173
.LBB1616_1172:                          ;   in Loop: Header=BB1616_1173 Depth=1
	s_or_b64 exec, exec, s[58:59]
	s_and_b64 s[12:13], exec, s[52:53]
	s_or_b64 s[48:49], s[12:13], s[48:49]
	s_andn2_b64 s[12:13], s[56:57], exec
	s_and_b64 s[18:19], s[54:55], exec
	s_or_b64 s[56:57], s[12:13], s[18:19]
	s_andn2_b64 s[12:13], s[50:51], exec
	s_and_b64 s[18:19], s[16:17], exec
	s_or_b64 s[50:51], s[12:13], s[18:19]
	s_andn2_b64 exec, exec, s[48:49]
	s_cbranch_execz .LBB1616_1175
.LBB1616_1173:                          ; =>This Inner Loop Header: Depth=1
	flat_load_dwordx2 v[22:23], v[18:19]
	flat_load_dwordx2 v[70:71], v[16:17]
	s_andn2_b64 s[58:59], s[16:17], exec
	s_andn2_b64 s[54:55], s[54:55], exec
	s_or_b64 s[52:53], s[52:53], exec
	s_waitcnt vmcnt(0) lgkmcnt(0)
	v_cmp_le_u64_e64 s[16:17], v[22:23], v[70:71]
	v_cmp_lt_u64_e64 s[12:13], v[22:23], v[70:71]
	s_and_b64 s[16:17], s[16:17], s[56:57]
	s_or_b64 s[60:61], s[12:13], s[16:17]
	s_and_b64 s[12:13], s[60:61], exec
	v_cmp_eq_u64_e64 s[18:19], v[22:23], v[70:71]
	s_or_b64 s[16:17], s[58:59], s[12:13]
	s_and_saveexec_b64 s[58:59], s[18:19]
	s_cbranch_execz .LBB1616_1172
; %bb.1174:                             ;   in Loop: Header=BB1616_1173 Depth=1
	v_lshl_add_u64 v[20:21], v[20:21], 0, -1
	v_cmp_eq_u64_e64 s[12:13], 0, v[20:21]
	s_andn2_b64 s[18:19], s[54:55], exec
	s_and_b64 s[54:55], s[60:61], exec
	s_or_b64 s[54:55], s[18:19], s[54:55]
	s_andn2_b64 s[18:19], s[52:53], exec
	s_and_b64 s[12:13], s[12:13], exec
	v_lshl_add_u64 v[16:17], v[16:17], 0, 8
	v_lshl_add_u64 v[18:19], v[18:19], 0, 8
	s_andn2_b64 s[16:17], s[16:17], exec
	s_or_b64 s[52:53], s[18:19], s[12:13]
                                        ; implicit-def: $sgpr56_sgpr57
	s_branch .LBB1616_1172
.LBB1616_1175:
	s_or_b64 exec, exec, s[48:49]
	s_xor_b64 s[12:13], s[50:51], -1
	s_orn2_b64 s[12:13], s[12:13], exec
.LBB1616_1176:
	s_or_b64 exec, exec, s[46:47]
	s_and_b64 s[16:17], s[12:13], exec
.LBB1616_1177:
	s_or_b64 exec, exec, s[36:37]
	s_orn2_b64 s[36:37], s[16:17], exec
.LBB1616_1178:
	s_or_b64 exec, exec, s[44:45]
	v_cndmask_b32_e64 v16, v117, v114, s[36:37]
	v_cndmask_b32_e64 v17, v101, v100, s[36:37]
	v_add_u32_e32 v128, 1, v16
	v_add_u32_e32 v16, -1, v17
	v_min_u32_e32 v16, v128, v16
	v_mov_b32_e32 v17, 0
	v_lshl_add_u64 v[16:17], v[16:17], 3, v[66:67]
	flat_load_dwordx2 v[70:71], v[16:17]
	v_cndmask_b32_e64 v21, v27, v82, s[24:25]
	v_cndmask_b32_e64 v27, v24, v26, s[26:27]
	v_cndmask_b32_e64 v26, v25, v80, s[26:27]
	v_cndmask_b32_e64 v80, v128, v117, s[36:37]
	v_cndmask_b32_e64 v19, v102, v112, s[42:43]
	v_cndmask_b32_e64 v18, v103, v113, s[42:43]
	v_cndmask_b32_e64 v17, v96, v98, s[28:29]
	v_cndmask_b32_e64 v16, v97, v99, s[28:29]
	v_cndmask_b32_e64 v23, v84, v86, s[34:35]
	v_cndmask_b32_e64 v22, v85, v87, s[34:35]
	v_cndmask_b32_e64 v20, v81, v83, s[24:25]
	v_cndmask_b32_e64 v25, v15, v13, s[22:23]
	v_cndmask_b32_e64 v24, v14, v12, s[22:23]
	v_cndmask_b32_e64 v13, v115, v118, s[36:37]
	v_cndmask_b32_e64 v12, v116, v119, s[36:37]
	v_cmp_lt_u32_e64 s[12:13], v80, v101
	s_waitcnt vmcnt(0) lgkmcnt(0)
	v_cndmask_b32_e64 v15, v118, v71, s[36:37]
	v_cndmask_b32_e64 v14, v119, v70, s[36:37]
	s_and_saveexec_b64 s[22:23], s[12:13]
	s_cbranch_execz .LBB1616_1188
; %bb.1179:
	v_cndmask_b32_e64 v80, v114, v128, s[36:37]
	v_cndmask_b32_e64 v71, v71, v115, s[36:37]
	;; [unrolled: 1-line block ×3, first 2 shown]
	v_cmp_lt_u32_e64 s[12:13], v80, v100
	s_and_saveexec_b64 s[24:25], s[12:13]
	s_cbranch_execz .LBB1616_1187
; %bb.1180:
	s_and_saveexec_b64 s[26:27], s[8:9]
	s_cbranch_execz .LBB1616_1186
; %bb.1181:
	v_mul_lo_u32 v82, v15, v6
	v_mul_lo_u32 v83, v14, v7
	v_mad_u64_u32 v[80:81], s[12:13], v14, v6, 0
	v_add3_u32 v81, v81, v83, v82
	v_mul_lo_u32 v84, v71, v6
	v_mul_lo_u32 v85, v70, v7
	v_mad_u64_u32 v[82:83], s[12:13], v70, v6, 0
	v_add3_u32 v83, v83, v85, v84
	v_lshl_add_u64 v[80:81], v[80:81], 3, v[8:9]
	v_lshl_add_u64 v[82:83], v[82:83], 3, v[8:9]
	s_mov_b64 s[28:29], 0
	v_mov_b64_e32 v[84:85], v[6:7]
                                        ; implicit-def: $sgpr34_sgpr35
                                        ; implicit-def: $sgpr36_sgpr37
                                        ; implicit-def: $sgpr16_sgpr17
                                        ; implicit-def: $sgpr42_sgpr43
                                        ; implicit-def: $sgpr44_sgpr45
	s_branch .LBB1616_1183
.LBB1616_1182:                          ;   in Loop: Header=BB1616_1183 Depth=1
	s_or_b64 exec, exec, s[46:47]
	s_and_b64 s[12:13], exec, s[36:37]
	s_or_b64 s[28:29], s[12:13], s[28:29]
	s_andn2_b64 s[12:13], s[44:45], exec
	s_and_b64 s[18:19], s[42:43], exec
	s_or_b64 s[44:45], s[12:13], s[18:19]
	s_andn2_b64 s[12:13], s[34:35], exec
	s_and_b64 s[18:19], s[16:17], exec
	s_or_b64 s[34:35], s[12:13], s[18:19]
	s_andn2_b64 exec, exec, s[28:29]
	s_cbranch_execz .LBB1616_1185
.LBB1616_1183:                          ; =>This Inner Loop Header: Depth=1
	flat_load_dwordx2 v[86:87], v[82:83]
	flat_load_dwordx2 v[96:97], v[80:81]
	s_andn2_b64 s[46:47], s[16:17], exec
	s_andn2_b64 s[42:43], s[42:43], exec
	s_or_b64 s[36:37], s[36:37], exec
	s_waitcnt vmcnt(0) lgkmcnt(0)
	v_cmp_le_u64_e64 s[16:17], v[86:87], v[96:97]
	v_cmp_lt_u64_e64 s[12:13], v[86:87], v[96:97]
	s_and_b64 s[16:17], s[16:17], s[44:45]
	s_or_b64 s[48:49], s[12:13], s[16:17]
	s_and_b64 s[12:13], s[48:49], exec
	v_cmp_eq_u64_e64 s[18:19], v[86:87], v[96:97]
	s_or_b64 s[16:17], s[46:47], s[12:13]
	s_and_saveexec_b64 s[46:47], s[18:19]
	s_cbranch_execz .LBB1616_1182
; %bb.1184:                             ;   in Loop: Header=BB1616_1183 Depth=1
	v_lshl_add_u64 v[84:85], v[84:85], 0, -1
	v_cmp_eq_u64_e64 s[12:13], 0, v[84:85]
	s_andn2_b64 s[18:19], s[42:43], exec
	s_and_b64 s[42:43], s[48:49], exec
	s_or_b64 s[42:43], s[18:19], s[42:43]
	s_andn2_b64 s[18:19], s[36:37], exec
	s_and_b64 s[12:13], s[12:13], exec
	v_lshl_add_u64 v[80:81], v[80:81], 0, 8
	v_lshl_add_u64 v[82:83], v[82:83], 0, 8
	s_andn2_b64 s[16:17], s[16:17], exec
	s_or_b64 s[36:37], s[18:19], s[12:13]
                                        ; implicit-def: $sgpr44_sgpr45
	s_branch .LBB1616_1182
.LBB1616_1185:
	s_or_b64 exec, exec, s[28:29]
	v_cndmask_b32_e64 v15, v15, v71, s[34:35]
	v_cndmask_b32_e64 v14, v14, v70, s[34:35]
.LBB1616_1186:
	s_or_b64 exec, exec, s[26:27]
	v_mov_b64_e32 v[70:71], v[14:15]
.LBB1616_1187:
	s_or_b64 exec, exec, s[24:25]
	v_mov_b64_e32 v[14:15], v[70:71]
.LBB1616_1188:
	s_or_b64 exec, exec, s[22:23]
.LBB1616_1189:
	s_or_b64 exec, exec, s[20:21]
	v_and_b32_e32 v102, 0x3c0, v31
	v_or_b32_e32 v70, 32, v102
	v_min_u32_e32 v100, v1, v70
	v_add_u32_e32 v70, 32, v100
	v_min_u32_e32 v101, v1, v70
	v_and_b32_e32 v70, 56, v31
	v_min_u32_e32 v103, v1, v70
	v_sub_u32_e32 v70, v100, v102
	v_sub_u32_e32 v71, v101, v100
	v_sub_u32_e64 v112, v103, v71 clamp
	v_min_u32_e32 v113, v103, v70
	v_cmp_lt_u32_e64 s[12:13], v112, v113
	; wave barrier
	flat_store_dwordx4 v[68:69], v[24:27]
	flat_store_dwordx4 v[68:69], v[20:23] offset:16
	flat_store_dwordx4 v[68:69], v[16:19] offset:32
	;; [unrolled: 1-line block ×3, first 2 shown]
	; wave barrier
	s_and_saveexec_b64 s[20:21], s[12:13]
	s_cbranch_execz .LBB1616_1199
; %bb.1190:
	v_lshlrev_b32_e32 v70, 3, v102
	v_mov_b32_e32 v71, 0
	v_lshl_add_u64 v[80:81], v[66:67], 0, v[70:71]
	v_lshlrev_b32_e32 v70, 3, v100
	v_lshl_add_u64 v[82:83], v[66:67], 0, v[70:71]
	s_mov_b64 s[22:23], 0
	s_branch .LBB1616_1193
.LBB1616_1191:                          ;   in Loop: Header=BB1616_1193 Depth=1
	s_or_b64 exec, exec, s[26:27]
	s_and_b64 s[12:13], s[28:29], exec
.LBB1616_1192:                          ;   in Loop: Header=BB1616_1193 Depth=1
	s_or_b64 exec, exec, s[24:25]
	v_add_u32_e32 v70, 1, v84
	v_cndmask_b32_e64 v113, v113, v84, s[12:13]
	v_cndmask_b32_e64 v112, v70, v112, s[12:13]
	v_cmp_ge_u32_e64 s[12:13], v112, v113
	s_or_b64 s[22:23], s[12:13], s[22:23]
	s_andn2_b64 exec, exec, s[22:23]
	s_cbranch_execz .LBB1616_1198
.LBB1616_1193:                          ; =>This Loop Header: Depth=1
                                        ;     Child Loop BB1616_1196 Depth 2
	v_add_u32_e32 v70, v113, v112
	v_lshrrev_b32_e32 v84, 1, v70
	s_mov_b64 s[12:13], 0
	s_and_saveexec_b64 s[24:25], s[8:9]
	s_cbranch_execz .LBB1616_1192
; %bb.1194:                             ;   in Loop: Header=BB1616_1193 Depth=1
	v_mov_b32_e32 v85, v71
	v_xad_u32 v70, v84, -1, v103
	v_lshl_add_u64 v[86:87], v[84:85], 3, v[80:81]
	v_lshl_add_u64 v[96:97], v[70:71], 3, v[82:83]
	flat_load_dwordx2 v[86:87], v[86:87]
	s_mov_b64 s[26:27], 0
	flat_load_dwordx2 v[96:97], v[96:97]
                                        ; implicit-def: $sgpr28_sgpr29
                                        ; implicit-def: $sgpr34_sgpr35
                                        ; implicit-def: $sgpr36_sgpr37
                                        ; implicit-def: $sgpr16_sgpr17
                                        ; implicit-def: $sgpr42_sgpr43
	s_waitcnt vmcnt(0) lgkmcnt(0)
	v_mul_lo_u32 v70, v64, v87
	v_mul_lo_u32 v85, v65, v86
	v_mad_u64_u32 v[86:87], s[12:13], v64, v86, v[8:9]
	v_mul_lo_u32 v98, v64, v97
	v_mul_lo_u32 v99, v65, v96
	v_mad_u64_u32 v[96:97], s[12:13], v64, v96, v[8:9]
	v_add3_u32 v87, v85, v87, v70
	v_add3_u32 v97, v99, v97, v98
	v_mov_b64_e32 v[98:99], v[6:7]
	s_branch .LBB1616_1196
.LBB1616_1195:                          ;   in Loop: Header=BB1616_1196 Depth=2
	s_or_b64 exec, exec, s[44:45]
	s_and_b64 s[12:13], exec, s[34:35]
	s_or_b64 s[26:27], s[12:13], s[26:27]
	s_andn2_b64 s[12:13], s[42:43], exec
	s_and_b64 s[18:19], s[36:37], exec
	s_or_b64 s[42:43], s[12:13], s[18:19]
	s_andn2_b64 s[12:13], s[28:29], exec
	s_and_b64 s[18:19], s[16:17], exec
	s_or_b64 s[28:29], s[12:13], s[18:19]
	s_andn2_b64 exec, exec, s[26:27]
	s_cbranch_execz .LBB1616_1191
.LBB1616_1196:                          ;   Parent Loop BB1616_1193 Depth=1
                                        ; =>  This Inner Loop Header: Depth=2
	flat_load_dwordx2 v[114:115], v[96:97]
	flat_load_dwordx2 v[116:117], v[86:87]
	s_andn2_b64 s[44:45], s[16:17], exec
	s_andn2_b64 s[36:37], s[36:37], exec
	s_or_b64 s[34:35], s[34:35], exec
	s_waitcnt vmcnt(0) lgkmcnt(0)
	v_cmp_le_u64_e64 s[16:17], v[114:115], v[116:117]
	v_cmp_lt_u64_e64 s[12:13], v[114:115], v[116:117]
	s_and_b64 s[16:17], s[16:17], s[42:43]
	s_or_b64 s[46:47], s[12:13], s[16:17]
	s_and_b64 s[12:13], s[46:47], exec
	v_cmp_eq_u64_e64 s[18:19], v[114:115], v[116:117]
	s_or_b64 s[16:17], s[44:45], s[12:13]
	s_and_saveexec_b64 s[44:45], s[18:19]
	s_cbranch_execz .LBB1616_1195
; %bb.1197:                             ;   in Loop: Header=BB1616_1196 Depth=2
	v_lshl_add_u64 v[98:99], v[98:99], 0, -1
	v_cmp_eq_u64_e64 s[12:13], 0, v[98:99]
	s_andn2_b64 s[18:19], s[36:37], exec
	s_and_b64 s[36:37], s[46:47], exec
	s_or_b64 s[36:37], s[18:19], s[36:37]
	s_andn2_b64 s[18:19], s[34:35], exec
	s_and_b64 s[12:13], s[12:13], exec
	v_lshl_add_u64 v[86:87], v[86:87], 0, 8
	v_lshl_add_u64 v[96:97], v[96:97], 0, 8
	s_andn2_b64 s[16:17], s[16:17], exec
	s_or_b64 s[34:35], s[18:19], s[12:13]
                                        ; implicit-def: $sgpr42_sgpr43
	s_branch .LBB1616_1195
.LBB1616_1198:
	s_or_b64 exec, exec, s[22:23]
.LBB1616_1199:
	s_or_b64 exec, exec, s[20:21]
	v_add_u32_e32 v71, v100, v103
	v_add_u32_e32 v70, v112, v102
	v_sub_u32_e32 v80, v71, v112
	v_cmp_le_u32_e64 s[12:13], v70, v100
	v_cmp_le_u32_e64 s[16:17], v80, v101
	s_or_b64 s[12:13], s[12:13], s[16:17]
	s_and_saveexec_b64 s[20:21], s[12:13]
	s_cbranch_execz .LBB1616_1283
; %bb.1200:
	v_cmp_ge_u32_e64 s[16:17], v70, v100
	v_cmp_lt_u32_e64 s[12:13], v70, v100
                                        ; implicit-def: $vgpr12_vgpr13
	s_and_saveexec_b64 s[18:19], s[12:13]
	s_cbranch_execz .LBB1616_1202
; %bb.1201:
	v_mov_b32_e32 v71, 0
	v_lshl_add_u64 v[12:13], v[70:71], 3, v[66:67]
	flat_load_dwordx2 v[12:13], v[12:13]
.LBB1616_1202:
	s_or_b64 exec, exec, s[18:19]
	v_cmp_ge_u32_e64 s[22:23], v80, v101
	v_cmp_lt_u32_e64 s[12:13], v80, v101
                                        ; implicit-def: $vgpr14_vgpr15
	s_and_saveexec_b64 s[18:19], s[12:13]
	s_cbranch_execz .LBB1616_1204
; %bb.1203:
	v_mov_b32_e32 v81, 0
	v_lshl_add_u64 v[14:15], v[80:81], 3, v[66:67]
	flat_load_dwordx2 v[14:15], v[14:15]
.LBB1616_1204:
	s_or_b64 exec, exec, s[18:19]
	s_or_b64 s[12:13], s[16:17], s[22:23]
	s_xor_b64 s[12:13], s[12:13], -1
	s_and_saveexec_b64 s[24:25], s[12:13]
	s_cbranch_execz .LBB1616_1212
; %bb.1205:
	s_mov_b64 s[12:13], 0
	s_and_saveexec_b64 s[26:27], s[8:9]
	s_cbranch_execz .LBB1616_1211
; %bb.1206:
	s_waitcnt vmcnt(0) lgkmcnt(0)
	v_mul_lo_u32 v18, v13, v6
	v_mul_lo_u32 v19, v12, v7
	v_mad_u64_u32 v[16:17], s[12:13], v12, v6, 0
	v_add3_u32 v17, v17, v19, v18
	v_mul_lo_u32 v20, v15, v6
	v_mul_lo_u32 v21, v14, v7
	v_mad_u64_u32 v[18:19], s[12:13], v14, v6, 0
	v_add3_u32 v19, v19, v21, v20
	v_lshl_add_u64 v[16:17], v[16:17], 3, v[8:9]
	v_lshl_add_u64 v[18:19], v[18:19], 3, v[8:9]
	s_mov_b64 s[28:29], 0
	v_mov_b64_e32 v[20:21], v[6:7]
                                        ; implicit-def: $sgpr34_sgpr35
                                        ; implicit-def: $sgpr36_sgpr37
                                        ; implicit-def: $sgpr42_sgpr43
                                        ; implicit-def: $sgpr16_sgpr17
                                        ; implicit-def: $sgpr44_sgpr45
	s_branch .LBB1616_1208
.LBB1616_1207:                          ;   in Loop: Header=BB1616_1208 Depth=1
	s_or_b64 exec, exec, s[46:47]
	s_and_b64 s[12:13], exec, s[36:37]
	s_or_b64 s[28:29], s[12:13], s[28:29]
	s_andn2_b64 s[12:13], s[44:45], exec
	s_and_b64 s[18:19], s[42:43], exec
	s_or_b64 s[44:45], s[12:13], s[18:19]
	s_andn2_b64 s[12:13], s[34:35], exec
	s_and_b64 s[18:19], s[16:17], exec
	s_or_b64 s[34:35], s[12:13], s[18:19]
	s_andn2_b64 exec, exec, s[28:29]
	s_cbranch_execz .LBB1616_1210
.LBB1616_1208:                          ; =>This Inner Loop Header: Depth=1
	flat_load_dwordx2 v[22:23], v[18:19]
	flat_load_dwordx2 v[24:25], v[16:17]
	s_andn2_b64 s[46:47], s[16:17], exec
	s_andn2_b64 s[42:43], s[42:43], exec
	s_or_b64 s[36:37], s[36:37], exec
	s_waitcnt vmcnt(0) lgkmcnt(0)
	v_cmp_le_u64_e64 s[16:17], v[22:23], v[24:25]
	v_cmp_lt_u64_e64 s[12:13], v[22:23], v[24:25]
	s_and_b64 s[16:17], s[16:17], s[44:45]
	s_or_b64 s[48:49], s[12:13], s[16:17]
	s_and_b64 s[12:13], s[48:49], exec
	v_cmp_eq_u64_e64 s[18:19], v[22:23], v[24:25]
	s_or_b64 s[16:17], s[46:47], s[12:13]
	s_and_saveexec_b64 s[46:47], s[18:19]
	s_cbranch_execz .LBB1616_1207
; %bb.1209:                             ;   in Loop: Header=BB1616_1208 Depth=1
	v_lshl_add_u64 v[20:21], v[20:21], 0, -1
	v_cmp_eq_u64_e64 s[12:13], 0, v[20:21]
	s_andn2_b64 s[18:19], s[42:43], exec
	s_and_b64 s[42:43], s[48:49], exec
	s_or_b64 s[42:43], s[18:19], s[42:43]
	s_andn2_b64 s[18:19], s[36:37], exec
	s_and_b64 s[12:13], s[12:13], exec
	v_lshl_add_u64 v[16:17], v[16:17], 0, 8
	v_lshl_add_u64 v[18:19], v[18:19], 0, 8
	s_andn2_b64 s[16:17], s[16:17], exec
	s_or_b64 s[36:37], s[18:19], s[12:13]
                                        ; implicit-def: $sgpr44_sgpr45
	s_branch .LBB1616_1207
.LBB1616_1210:
	s_or_b64 exec, exec, s[28:29]
	s_and_b64 s[12:13], s[34:35], exec
.LBB1616_1211:
	s_or_b64 exec, exec, s[26:27]
	s_xor_b64 s[12:13], s[12:13], -1
	s_andn2_b64 s[16:17], s[22:23], exec
	s_and_b64 s[12:13], s[12:13], exec
	s_or_b64 s[22:23], s[16:17], s[12:13]
.LBB1616_1212:
	s_or_b64 exec, exec, s[24:25]
	v_cndmask_b32_e64 v16, v80, v70, s[22:23]
	v_cndmask_b32_e64 v17, v101, v100, s[22:23]
	v_add_u32_e32 v20, 1, v16
	v_add_u32_e32 v16, -1, v17
	v_min_u32_e32 v16, v20, v16
	v_mov_b32_e32 v17, 0
	v_lshl_add_u64 v[18:19], v[16:17], 3, v[66:67]
	flat_load_dwordx2 v[18:19], v[18:19]
	v_cndmask_b32_e64 v27, v20, v80, s[22:23]
	s_mov_b64 s[24:25], -1
	v_cndmask_b32_e64 v70, v70, v20, s[22:23]
	v_cmp_lt_u32_e64 s[12:13], v27, v101
	s_mov_b64 s[26:27], -1
	s_waitcnt vmcnt(0) lgkmcnt(0)
	v_cndmask_b32_e64 v24, v19, v15, s[22:23]
	v_cndmask_b32_e64 v25, v18, v14, s[22:23]
	;; [unrolled: 1-line block ×4, first 2 shown]
	s_and_saveexec_b64 s[28:29], s[12:13]
	s_cbranch_execz .LBB1616_1222
; %bb.1213:
	v_cmp_lt_u32_e64 s[12:13], v70, v100
	s_mov_b64 s[16:17], 0
	s_and_saveexec_b64 s[26:27], s[12:13]
	s_cbranch_execz .LBB1616_1221
; %bb.1214:
	s_mov_b64 s[12:13], 0
	s_and_saveexec_b64 s[34:35], s[8:9]
	s_cbranch_execz .LBB1616_1220
; %bb.1215:
	v_mul_lo_u32 v16, v26, v6
	v_mul_lo_u32 v20, v80, v7
	v_mad_u64_u32 v[18:19], s[12:13], v80, v6, 0
	v_add3_u32 v19, v19, v20, v16
	v_mul_lo_u32 v16, v24, v6
	v_mul_lo_u32 v22, v25, v7
	v_mad_u64_u32 v[20:21], s[12:13], v25, v6, 0
	v_add3_u32 v21, v21, v22, v16
	v_lshl_add_u64 v[18:19], v[18:19], 3, v[8:9]
	v_lshl_add_u64 v[20:21], v[20:21], 3, v[8:9]
	s_mov_b64 s[36:37], 0
	v_mov_b64_e32 v[22:23], v[6:7]
                                        ; implicit-def: $sgpr42_sgpr43
                                        ; implicit-def: $sgpr44_sgpr45
                                        ; implicit-def: $sgpr46_sgpr47
                                        ; implicit-def: $sgpr16_sgpr17
                                        ; implicit-def: $sgpr48_sgpr49
	s_branch .LBB1616_1217
.LBB1616_1216:                          ;   in Loop: Header=BB1616_1217 Depth=1
	s_or_b64 exec, exec, s[50:51]
	s_and_b64 s[12:13], exec, s[44:45]
	s_or_b64 s[36:37], s[12:13], s[36:37]
	s_andn2_b64 s[12:13], s[48:49], exec
	s_and_b64 s[18:19], s[46:47], exec
	s_or_b64 s[48:49], s[12:13], s[18:19]
	s_andn2_b64 s[12:13], s[42:43], exec
	s_and_b64 s[18:19], s[16:17], exec
	s_or_b64 s[42:43], s[12:13], s[18:19]
	s_andn2_b64 exec, exec, s[36:37]
	s_cbranch_execz .LBB1616_1219
.LBB1616_1217:                          ; =>This Inner Loop Header: Depth=1
	flat_load_dwordx2 v[82:83], v[20:21]
	flat_load_dwordx2 v[84:85], v[18:19]
	s_andn2_b64 s[50:51], s[16:17], exec
	s_andn2_b64 s[46:47], s[46:47], exec
	s_or_b64 s[44:45], s[44:45], exec
	s_waitcnt vmcnt(0) lgkmcnt(0)
	v_cmp_le_u64_e64 s[16:17], v[82:83], v[84:85]
	v_cmp_lt_u64_e64 s[12:13], v[82:83], v[84:85]
	s_and_b64 s[16:17], s[16:17], s[48:49]
	s_or_b64 s[52:53], s[12:13], s[16:17]
	s_and_b64 s[12:13], s[52:53], exec
	v_cmp_eq_u64_e64 s[18:19], v[82:83], v[84:85]
	s_or_b64 s[16:17], s[50:51], s[12:13]
	s_and_saveexec_b64 s[50:51], s[18:19]
	s_cbranch_execz .LBB1616_1216
; %bb.1218:                             ;   in Loop: Header=BB1616_1217 Depth=1
	v_lshl_add_u64 v[22:23], v[22:23], 0, -1
	v_cmp_eq_u64_e64 s[12:13], 0, v[22:23]
	s_andn2_b64 s[18:19], s[46:47], exec
	s_and_b64 s[46:47], s[52:53], exec
	s_or_b64 s[46:47], s[18:19], s[46:47]
	s_andn2_b64 s[18:19], s[44:45], exec
	s_and_b64 s[12:13], s[12:13], exec
	v_lshl_add_u64 v[18:19], v[18:19], 0, 8
	v_lshl_add_u64 v[20:21], v[20:21], 0, 8
	s_andn2_b64 s[16:17], s[16:17], exec
	s_or_b64 s[44:45], s[18:19], s[12:13]
                                        ; implicit-def: $sgpr48_sgpr49
	s_branch .LBB1616_1216
.LBB1616_1219:
	s_or_b64 exec, exec, s[36:37]
	s_and_b64 s[12:13], s[42:43], exec
.LBB1616_1220:
	s_or_b64 exec, exec, s[34:35]
	s_xor_b64 s[12:13], s[12:13], -1
	s_and_b64 s[16:17], s[12:13], exec
.LBB1616_1221:
	s_or_b64 exec, exec, s[26:27]
	s_orn2_b64 s[26:27], s[16:17], exec
.LBB1616_1222:
	s_or_b64 exec, exec, s[28:29]
	v_cndmask_b32_e64 v16, v27, v70, s[26:27]
	v_cndmask_b32_e64 v18, v101, v100, s[26:27]
	v_add_u32_e32 v19, 1, v16
	v_add_u32_e32 v16, -1, v18
	v_min_u32_e32 v16, v19, v16
	v_lshl_add_u64 v[16:17], v[16:17], 3, v[66:67]
	flat_load_dwordx2 v[16:17], v[16:17]
	v_cndmask_b32_e64 v22, v19, v27, s[26:27]
	v_cndmask_b32_e64 v23, v70, v19, s[26:27]
	v_cmp_lt_u32_e64 s[12:13], v22, v101
	s_waitcnt vmcnt(0) lgkmcnt(0)
	v_cndmask_b32_e64 v27, v17, v24, s[26:27]
	v_cndmask_b32_e64 v81, v16, v25, s[26:27]
	;; [unrolled: 1-line block ×4, first 2 shown]
	s_and_saveexec_b64 s[28:29], s[12:13]
	s_cbranch_execz .LBB1616_1232
; %bb.1223:
	v_cmp_lt_u32_e64 s[12:13], v23, v100
	s_mov_b64 s[16:17], 0
	s_and_saveexec_b64 s[24:25], s[12:13]
	s_cbranch_execz .LBB1616_1231
; %bb.1224:
	s_mov_b64 s[12:13], 0
	s_and_saveexec_b64 s[34:35], s[8:9]
	s_cbranch_execz .LBB1616_1230
; %bb.1225:
	v_mul_lo_u32 v18, v82, v6
	v_mul_lo_u32 v19, v83, v7
	v_mad_u64_u32 v[16:17], s[12:13], v83, v6, 0
	v_add3_u32 v17, v17, v19, v18
	v_mul_lo_u32 v20, v27, v6
	v_mul_lo_u32 v21, v81, v7
	v_mad_u64_u32 v[18:19], s[12:13], v81, v6, 0
	v_add3_u32 v19, v19, v21, v20
	v_lshl_add_u64 v[16:17], v[16:17], 3, v[8:9]
	v_lshl_add_u64 v[18:19], v[18:19], 3, v[8:9]
	s_mov_b64 s[36:37], 0
	v_mov_b64_e32 v[20:21], v[6:7]
                                        ; implicit-def: $sgpr42_sgpr43
                                        ; implicit-def: $sgpr44_sgpr45
                                        ; implicit-def: $sgpr46_sgpr47
                                        ; implicit-def: $sgpr16_sgpr17
                                        ; implicit-def: $sgpr48_sgpr49
	s_branch .LBB1616_1227
.LBB1616_1226:                          ;   in Loop: Header=BB1616_1227 Depth=1
	s_or_b64 exec, exec, s[50:51]
	s_and_b64 s[12:13], exec, s[44:45]
	s_or_b64 s[36:37], s[12:13], s[36:37]
	s_andn2_b64 s[12:13], s[48:49], exec
	s_and_b64 s[18:19], s[46:47], exec
	s_or_b64 s[48:49], s[12:13], s[18:19]
	s_andn2_b64 s[12:13], s[42:43], exec
	s_and_b64 s[18:19], s[16:17], exec
	s_or_b64 s[42:43], s[12:13], s[18:19]
	s_andn2_b64 exec, exec, s[36:37]
	s_cbranch_execz .LBB1616_1229
.LBB1616_1227:                          ; =>This Inner Loop Header: Depth=1
	flat_load_dwordx2 v[70:71], v[18:19]
	flat_load_dwordx2 v[84:85], v[16:17]
	s_andn2_b64 s[50:51], s[16:17], exec
	s_andn2_b64 s[46:47], s[46:47], exec
	s_or_b64 s[44:45], s[44:45], exec
	s_waitcnt vmcnt(0) lgkmcnt(0)
	v_cmp_le_u64_e64 s[16:17], v[70:71], v[84:85]
	v_cmp_lt_u64_e64 s[12:13], v[70:71], v[84:85]
	s_and_b64 s[16:17], s[16:17], s[48:49]
	s_or_b64 s[52:53], s[12:13], s[16:17]
	s_and_b64 s[12:13], s[52:53], exec
	v_cmp_eq_u64_e64 s[18:19], v[70:71], v[84:85]
	s_or_b64 s[16:17], s[50:51], s[12:13]
	s_and_saveexec_b64 s[50:51], s[18:19]
	s_cbranch_execz .LBB1616_1226
; %bb.1228:                             ;   in Loop: Header=BB1616_1227 Depth=1
	v_lshl_add_u64 v[20:21], v[20:21], 0, -1
	v_cmp_eq_u64_e64 s[12:13], 0, v[20:21]
	s_andn2_b64 s[18:19], s[46:47], exec
	s_and_b64 s[46:47], s[52:53], exec
	s_or_b64 s[46:47], s[18:19], s[46:47]
	s_andn2_b64 s[18:19], s[44:45], exec
	s_and_b64 s[12:13], s[12:13], exec
	v_lshl_add_u64 v[16:17], v[16:17], 0, 8
	v_lshl_add_u64 v[18:19], v[18:19], 0, 8
	s_andn2_b64 s[16:17], s[16:17], exec
	s_or_b64 s[44:45], s[18:19], s[12:13]
                                        ; implicit-def: $sgpr48_sgpr49
	s_branch .LBB1616_1226
.LBB1616_1229:
	s_or_b64 exec, exec, s[36:37]
	s_and_b64 s[12:13], s[42:43], exec
.LBB1616_1230:
	s_or_b64 exec, exec, s[34:35]
	s_xor_b64 s[12:13], s[12:13], -1
	s_and_b64 s[16:17], s[12:13], exec
.LBB1616_1231:
	s_or_b64 exec, exec, s[24:25]
	s_orn2_b64 s[24:25], s[16:17], exec
.LBB1616_1232:
	s_or_b64 exec, exec, s[28:29]
	v_cndmask_b32_e64 v16, v22, v23, s[24:25]
	v_cndmask_b32_e64 v17, v101, v100, s[24:25]
	v_add_u32_e32 v20, 1, v16
	v_add_u32_e32 v16, -1, v17
	v_min_u32_e32 v16, v20, v16
	v_mov_b32_e32 v17, 0
	v_lshl_add_u64 v[18:19], v[16:17], 3, v[66:67]
	flat_load_dwordx2 v[18:19], v[18:19]
	v_cndmask_b32_e64 v70, v20, v22, s[24:25]
	s_mov_b64 s[28:29], -1
	v_cndmask_b32_e64 v71, v23, v20, s[24:25]
	v_cmp_lt_u32_e64 s[12:13], v70, v101
	s_mov_b64 s[34:35], -1
	s_waitcnt vmcnt(0) lgkmcnt(0)
	v_cndmask_b32_e64 v84, v19, v27, s[24:25]
	v_cndmask_b32_e64 v85, v18, v81, s[24:25]
	;; [unrolled: 1-line block ×4, first 2 shown]
	s_and_saveexec_b64 s[36:37], s[12:13]
	s_cbranch_execz .LBB1616_1242
; %bb.1233:
	v_cmp_lt_u32_e64 s[12:13], v71, v100
	s_mov_b64 s[16:17], 0
	s_and_saveexec_b64 s[34:35], s[12:13]
	s_cbranch_execz .LBB1616_1241
; %bb.1234:
	s_mov_b64 s[12:13], -1
	s_and_saveexec_b64 s[42:43], s[8:9]
	s_cbranch_execz .LBB1616_1240
; %bb.1235:
	v_mul_lo_u32 v16, v86, v6
	v_mul_lo_u32 v20, v87, v7
	v_mad_u64_u32 v[18:19], s[12:13], v87, v6, 0
	v_add3_u32 v19, v19, v20, v16
	v_mul_lo_u32 v16, v84, v6
	v_mul_lo_u32 v22, v85, v7
	v_mad_u64_u32 v[20:21], s[12:13], v85, v6, 0
	v_add3_u32 v21, v21, v22, v16
	v_lshl_add_u64 v[18:19], v[18:19], 3, v[8:9]
	v_lshl_add_u64 v[20:21], v[20:21], 3, v[8:9]
	s_mov_b64 s[44:45], 0
	v_mov_b64_e32 v[22:23], v[6:7]
                                        ; implicit-def: $sgpr46_sgpr47
                                        ; implicit-def: $sgpr48_sgpr49
                                        ; implicit-def: $sgpr16_sgpr17
                                        ; implicit-def: $sgpr50_sgpr51
                                        ; implicit-def: $sgpr52_sgpr53
	s_branch .LBB1616_1237
.LBB1616_1236:                          ;   in Loop: Header=BB1616_1237 Depth=1
	s_or_b64 exec, exec, s[54:55]
	s_and_b64 s[12:13], exec, s[48:49]
	s_or_b64 s[44:45], s[12:13], s[44:45]
	s_andn2_b64 s[12:13], s[52:53], exec
	s_and_b64 s[18:19], s[50:51], exec
	s_or_b64 s[52:53], s[12:13], s[18:19]
	s_andn2_b64 s[12:13], s[46:47], exec
	s_and_b64 s[18:19], s[16:17], exec
	s_or_b64 s[46:47], s[12:13], s[18:19]
	s_andn2_b64 exec, exec, s[44:45]
	s_cbranch_execz .LBB1616_1239
.LBB1616_1237:                          ; =>This Inner Loop Header: Depth=1
	flat_load_dwordx2 v[96:97], v[20:21]
	flat_load_dwordx2 v[98:99], v[18:19]
	s_andn2_b64 s[54:55], s[16:17], exec
	s_andn2_b64 s[50:51], s[50:51], exec
	s_or_b64 s[48:49], s[48:49], exec
	s_waitcnt vmcnt(0) lgkmcnt(0)
	v_cmp_le_u64_e64 s[16:17], v[96:97], v[98:99]
	v_cmp_lt_u64_e64 s[12:13], v[96:97], v[98:99]
	s_and_b64 s[16:17], s[16:17], s[52:53]
	s_or_b64 s[56:57], s[12:13], s[16:17]
	s_and_b64 s[12:13], s[56:57], exec
	v_cmp_eq_u64_e64 s[18:19], v[96:97], v[98:99]
	s_or_b64 s[16:17], s[54:55], s[12:13]
	s_and_saveexec_b64 s[54:55], s[18:19]
	s_cbranch_execz .LBB1616_1236
; %bb.1238:                             ;   in Loop: Header=BB1616_1237 Depth=1
	v_lshl_add_u64 v[22:23], v[22:23], 0, -1
	v_cmp_eq_u64_e64 s[12:13], 0, v[22:23]
	s_andn2_b64 s[18:19], s[50:51], exec
	s_and_b64 s[50:51], s[56:57], exec
	s_or_b64 s[50:51], s[18:19], s[50:51]
	s_andn2_b64 s[18:19], s[48:49], exec
	s_and_b64 s[12:13], s[12:13], exec
	v_lshl_add_u64 v[18:19], v[18:19], 0, 8
	v_lshl_add_u64 v[20:21], v[20:21], 0, 8
	s_andn2_b64 s[16:17], s[16:17], exec
	s_or_b64 s[48:49], s[18:19], s[12:13]
                                        ; implicit-def: $sgpr52_sgpr53
	s_branch .LBB1616_1236
.LBB1616_1239:
	s_or_b64 exec, exec, s[44:45]
	s_xor_b64 s[12:13], s[46:47], -1
	s_orn2_b64 s[12:13], s[12:13], exec
.LBB1616_1240:
	s_or_b64 exec, exec, s[42:43]
	s_and_b64 s[16:17], s[12:13], exec
.LBB1616_1241:
	s_or_b64 exec, exec, s[34:35]
	s_orn2_b64 s[34:35], s[16:17], exec
.LBB1616_1242:
	s_or_b64 exec, exec, s[36:37]
	v_cndmask_b32_e64 v16, v70, v71, s[34:35]
	v_cndmask_b32_e64 v18, v101, v100, s[34:35]
	v_add_u32_e32 v19, 1, v16
	v_add_u32_e32 v16, -1, v18
	v_min_u32_e32 v16, v19, v16
	v_lshl_add_u64 v[16:17], v[16:17], 3, v[66:67]
	flat_load_dwordx2 v[16:17], v[16:17]
	v_cndmask_b32_e64 v22, v19, v70, s[34:35]
	v_cndmask_b32_e64 v23, v71, v19, s[34:35]
	v_cmp_lt_u32_e64 s[12:13], v22, v101
	s_waitcnt vmcnt(0) lgkmcnt(0)
	v_cndmask_b32_e64 v96, v17, v84, s[34:35]
	v_cndmask_b32_e64 v97, v16, v85, s[34:35]
	;; [unrolled: 1-line block ×4, first 2 shown]
	s_and_saveexec_b64 s[36:37], s[12:13]
	s_cbranch_execz .LBB1616_1252
; %bb.1243:
	v_cmp_lt_u32_e64 s[12:13], v23, v100
	s_mov_b64 s[16:17], 0
	s_and_saveexec_b64 s[28:29], s[12:13]
	s_cbranch_execz .LBB1616_1251
; %bb.1244:
	s_mov_b64 s[12:13], -1
	s_and_saveexec_b64 s[42:43], s[8:9]
	s_cbranch_execz .LBB1616_1250
; %bb.1245:
	v_mul_lo_u32 v18, v98, v6
	v_mul_lo_u32 v19, v99, v7
	v_mad_u64_u32 v[16:17], s[12:13], v99, v6, 0
	v_add3_u32 v17, v17, v19, v18
	v_mul_lo_u32 v20, v96, v6
	v_mul_lo_u32 v21, v97, v7
	v_mad_u64_u32 v[18:19], s[12:13], v97, v6, 0
	v_add3_u32 v19, v19, v21, v20
	v_lshl_add_u64 v[16:17], v[16:17], 3, v[8:9]
	v_lshl_add_u64 v[18:19], v[18:19], 3, v[8:9]
	s_mov_b64 s[44:45], 0
	v_mov_b64_e32 v[20:21], v[6:7]
                                        ; implicit-def: $sgpr46_sgpr47
                                        ; implicit-def: $sgpr48_sgpr49
                                        ; implicit-def: $sgpr16_sgpr17
                                        ; implicit-def: $sgpr50_sgpr51
                                        ; implicit-def: $sgpr52_sgpr53
	s_branch .LBB1616_1247
.LBB1616_1246:                          ;   in Loop: Header=BB1616_1247 Depth=1
	s_or_b64 exec, exec, s[54:55]
	s_and_b64 s[12:13], exec, s[48:49]
	s_or_b64 s[44:45], s[12:13], s[44:45]
	s_andn2_b64 s[12:13], s[52:53], exec
	s_and_b64 s[18:19], s[50:51], exec
	s_or_b64 s[52:53], s[12:13], s[18:19]
	s_andn2_b64 s[12:13], s[46:47], exec
	s_and_b64 s[18:19], s[16:17], exec
	s_or_b64 s[46:47], s[12:13], s[18:19]
	s_andn2_b64 exec, exec, s[44:45]
	s_cbranch_execz .LBB1616_1249
.LBB1616_1247:                          ; =>This Inner Loop Header: Depth=1
	flat_load_dwordx2 v[70:71], v[18:19]
	flat_load_dwordx2 v[102:103], v[16:17]
	s_andn2_b64 s[54:55], s[16:17], exec
	s_andn2_b64 s[50:51], s[50:51], exec
	s_or_b64 s[48:49], s[48:49], exec
	s_waitcnt vmcnt(0) lgkmcnt(0)
	v_cmp_le_u64_e64 s[16:17], v[70:71], v[102:103]
	v_cmp_lt_u64_e64 s[12:13], v[70:71], v[102:103]
	s_and_b64 s[16:17], s[16:17], s[52:53]
	s_or_b64 s[56:57], s[12:13], s[16:17]
	s_and_b64 s[12:13], s[56:57], exec
	v_cmp_eq_u64_e64 s[18:19], v[70:71], v[102:103]
	s_or_b64 s[16:17], s[54:55], s[12:13]
	s_and_saveexec_b64 s[54:55], s[18:19]
	s_cbranch_execz .LBB1616_1246
; %bb.1248:                             ;   in Loop: Header=BB1616_1247 Depth=1
	v_lshl_add_u64 v[20:21], v[20:21], 0, -1
	v_cmp_eq_u64_e64 s[12:13], 0, v[20:21]
	s_andn2_b64 s[18:19], s[50:51], exec
	s_and_b64 s[50:51], s[56:57], exec
	s_or_b64 s[50:51], s[18:19], s[50:51]
	s_andn2_b64 s[18:19], s[48:49], exec
	s_and_b64 s[12:13], s[12:13], exec
	v_lshl_add_u64 v[16:17], v[16:17], 0, 8
	v_lshl_add_u64 v[18:19], v[18:19], 0, 8
	s_andn2_b64 s[16:17], s[16:17], exec
	s_or_b64 s[48:49], s[18:19], s[12:13]
                                        ; implicit-def: $sgpr52_sgpr53
	s_branch .LBB1616_1246
.LBB1616_1249:
	s_or_b64 exec, exec, s[44:45]
	s_xor_b64 s[12:13], s[46:47], -1
	s_orn2_b64 s[12:13], s[12:13], exec
.LBB1616_1250:
	s_or_b64 exec, exec, s[42:43]
	s_and_b64 s[16:17], s[12:13], exec
.LBB1616_1251:
	s_or_b64 exec, exec, s[28:29]
	s_orn2_b64 s[28:29], s[16:17], exec
.LBB1616_1252:
	s_or_b64 exec, exec, s[36:37]
	v_cndmask_b32_e64 v16, v22, v23, s[28:29]
	v_cndmask_b32_e64 v17, v101, v100, s[28:29]
	v_add_u32_e32 v20, 1, v16
	v_add_u32_e32 v16, -1, v17
	v_min_u32_e32 v16, v20, v16
	v_mov_b32_e32 v17, 0
	v_lshl_add_u64 v[18:19], v[16:17], 3, v[66:67]
	flat_load_dwordx2 v[18:19], v[18:19]
	v_cndmask_b32_e64 v70, v20, v22, s[28:29]
	s_mov_b64 s[36:37], -1
	v_cndmask_b32_e64 v71, v23, v20, s[28:29]
	v_cmp_lt_u32_e64 s[12:13], v70, v101
	s_mov_b64 s[42:43], -1
	s_waitcnt vmcnt(0) lgkmcnt(0)
	v_cndmask_b32_e64 v102, v19, v96, s[28:29]
	v_cndmask_b32_e64 v103, v18, v97, s[28:29]
	;; [unrolled: 1-line block ×4, first 2 shown]
	s_and_saveexec_b64 s[44:45], s[12:13]
	s_cbranch_execz .LBB1616_1262
; %bb.1253:
	v_cmp_lt_u32_e64 s[12:13], v71, v100
	s_mov_b64 s[16:17], 0
	s_and_saveexec_b64 s[42:43], s[12:13]
	s_cbranch_execz .LBB1616_1261
; %bb.1254:
	s_mov_b64 s[12:13], -1
	s_and_saveexec_b64 s[46:47], s[8:9]
	s_cbranch_execz .LBB1616_1260
; %bb.1255:
	v_mul_lo_u32 v16, v112, v6
	v_mul_lo_u32 v20, v113, v7
	v_mad_u64_u32 v[18:19], s[12:13], v113, v6, 0
	v_add3_u32 v19, v19, v20, v16
	v_mul_lo_u32 v16, v102, v6
	v_mul_lo_u32 v22, v103, v7
	v_mad_u64_u32 v[20:21], s[12:13], v103, v6, 0
	v_add3_u32 v21, v21, v22, v16
	v_lshl_add_u64 v[18:19], v[18:19], 3, v[8:9]
	v_lshl_add_u64 v[20:21], v[20:21], 3, v[8:9]
	s_mov_b64 s[48:49], 0
	v_mov_b64_e32 v[22:23], v[6:7]
                                        ; implicit-def: $sgpr50_sgpr51
                                        ; implicit-def: $sgpr52_sgpr53
                                        ; implicit-def: $sgpr16_sgpr17
                                        ; implicit-def: $sgpr54_sgpr55
                                        ; implicit-def: $sgpr56_sgpr57
	s_branch .LBB1616_1257
.LBB1616_1256:                          ;   in Loop: Header=BB1616_1257 Depth=1
	s_or_b64 exec, exec, s[58:59]
	s_and_b64 s[12:13], exec, s[52:53]
	s_or_b64 s[48:49], s[12:13], s[48:49]
	s_andn2_b64 s[12:13], s[56:57], exec
	s_and_b64 s[18:19], s[54:55], exec
	s_or_b64 s[56:57], s[12:13], s[18:19]
	s_andn2_b64 s[12:13], s[50:51], exec
	s_and_b64 s[18:19], s[16:17], exec
	s_or_b64 s[50:51], s[12:13], s[18:19]
	s_andn2_b64 exec, exec, s[48:49]
	s_cbranch_execz .LBB1616_1259
.LBB1616_1257:                          ; =>This Inner Loop Header: Depth=1
	flat_load_dwordx2 v[114:115], v[20:21]
	flat_load_dwordx2 v[116:117], v[18:19]
	s_andn2_b64 s[58:59], s[16:17], exec
	s_andn2_b64 s[54:55], s[54:55], exec
	s_or_b64 s[52:53], s[52:53], exec
	s_waitcnt vmcnt(0) lgkmcnt(0)
	v_cmp_le_u64_e64 s[16:17], v[114:115], v[116:117]
	v_cmp_lt_u64_e64 s[12:13], v[114:115], v[116:117]
	s_and_b64 s[16:17], s[16:17], s[56:57]
	s_or_b64 s[60:61], s[12:13], s[16:17]
	s_and_b64 s[12:13], s[60:61], exec
	v_cmp_eq_u64_e64 s[18:19], v[114:115], v[116:117]
	s_or_b64 s[16:17], s[58:59], s[12:13]
	s_and_saveexec_b64 s[58:59], s[18:19]
	s_cbranch_execz .LBB1616_1256
; %bb.1258:                             ;   in Loop: Header=BB1616_1257 Depth=1
	v_lshl_add_u64 v[22:23], v[22:23], 0, -1
	v_cmp_eq_u64_e64 s[12:13], 0, v[22:23]
	s_andn2_b64 s[18:19], s[54:55], exec
	s_and_b64 s[54:55], s[60:61], exec
	s_or_b64 s[54:55], s[18:19], s[54:55]
	s_andn2_b64 s[18:19], s[52:53], exec
	s_and_b64 s[12:13], s[12:13], exec
	v_lshl_add_u64 v[18:19], v[18:19], 0, 8
	v_lshl_add_u64 v[20:21], v[20:21], 0, 8
	s_andn2_b64 s[16:17], s[16:17], exec
	s_or_b64 s[52:53], s[18:19], s[12:13]
                                        ; implicit-def: $sgpr56_sgpr57
	s_branch .LBB1616_1256
.LBB1616_1259:
	s_or_b64 exec, exec, s[48:49]
	s_xor_b64 s[12:13], s[50:51], -1
	s_orn2_b64 s[12:13], s[12:13], exec
.LBB1616_1260:
	s_or_b64 exec, exec, s[46:47]
	s_and_b64 s[16:17], s[12:13], exec
.LBB1616_1261:
	s_or_b64 exec, exec, s[42:43]
	s_orn2_b64 s[42:43], s[16:17], exec
.LBB1616_1262:
	s_or_b64 exec, exec, s[44:45]
	v_cndmask_b32_e64 v16, v70, v71, s[42:43]
	v_cndmask_b32_e64 v18, v101, v100, s[42:43]
	v_add_u32_e32 v19, 1, v16
	v_add_u32_e32 v16, -1, v18
	v_min_u32_e32 v16, v19, v16
	v_lshl_add_u64 v[16:17], v[16:17], 3, v[66:67]
	flat_load_dwordx2 v[16:17], v[16:17]
	v_cndmask_b32_e64 v117, v19, v70, s[42:43]
	v_cndmask_b32_e64 v114, v71, v19, s[42:43]
	v_cmp_lt_u32_e64 s[12:13], v117, v101
	s_waitcnt vmcnt(0) lgkmcnt(0)
	v_cndmask_b32_e64 v115, v17, v102, s[42:43]
	v_cndmask_b32_e64 v116, v16, v103, s[42:43]
	;; [unrolled: 1-line block ×4, first 2 shown]
	s_and_saveexec_b64 s[44:45], s[12:13]
	s_cbranch_execz .LBB1616_1272
; %bb.1263:
	v_cmp_lt_u32_e64 s[12:13], v114, v100
	s_mov_b64 s[16:17], 0
	s_and_saveexec_b64 s[36:37], s[12:13]
	s_cbranch_execz .LBB1616_1271
; %bb.1264:
	s_mov_b64 s[12:13], -1
	s_and_saveexec_b64 s[46:47], s[8:9]
	s_cbranch_execz .LBB1616_1270
; %bb.1265:
	v_mul_lo_u32 v18, v118, v6
	v_mul_lo_u32 v19, v119, v7
	v_mad_u64_u32 v[16:17], s[12:13], v119, v6, 0
	v_add3_u32 v17, v17, v19, v18
	v_mul_lo_u32 v20, v115, v6
	v_mul_lo_u32 v21, v116, v7
	v_mad_u64_u32 v[18:19], s[12:13], v116, v6, 0
	v_add3_u32 v19, v19, v21, v20
	v_lshl_add_u64 v[16:17], v[16:17], 3, v[8:9]
	v_lshl_add_u64 v[18:19], v[18:19], 3, v[8:9]
	s_mov_b64 s[48:49], 0
	v_mov_b64_e32 v[20:21], v[6:7]
                                        ; implicit-def: $sgpr50_sgpr51
                                        ; implicit-def: $sgpr52_sgpr53
                                        ; implicit-def: $sgpr16_sgpr17
                                        ; implicit-def: $sgpr54_sgpr55
                                        ; implicit-def: $sgpr56_sgpr57
	s_branch .LBB1616_1267
.LBB1616_1266:                          ;   in Loop: Header=BB1616_1267 Depth=1
	s_or_b64 exec, exec, s[58:59]
	s_and_b64 s[12:13], exec, s[52:53]
	s_or_b64 s[48:49], s[12:13], s[48:49]
	s_andn2_b64 s[12:13], s[56:57], exec
	s_and_b64 s[18:19], s[54:55], exec
	s_or_b64 s[56:57], s[12:13], s[18:19]
	s_andn2_b64 s[12:13], s[50:51], exec
	s_and_b64 s[18:19], s[16:17], exec
	s_or_b64 s[50:51], s[12:13], s[18:19]
	s_andn2_b64 exec, exec, s[48:49]
	s_cbranch_execz .LBB1616_1269
.LBB1616_1267:                          ; =>This Inner Loop Header: Depth=1
	flat_load_dwordx2 v[22:23], v[18:19]
	flat_load_dwordx2 v[70:71], v[16:17]
	s_andn2_b64 s[58:59], s[16:17], exec
	s_andn2_b64 s[54:55], s[54:55], exec
	s_or_b64 s[52:53], s[52:53], exec
	s_waitcnt vmcnt(0) lgkmcnt(0)
	v_cmp_le_u64_e64 s[16:17], v[22:23], v[70:71]
	v_cmp_lt_u64_e64 s[12:13], v[22:23], v[70:71]
	s_and_b64 s[16:17], s[16:17], s[56:57]
	s_or_b64 s[60:61], s[12:13], s[16:17]
	s_and_b64 s[12:13], s[60:61], exec
	v_cmp_eq_u64_e64 s[18:19], v[22:23], v[70:71]
	s_or_b64 s[16:17], s[58:59], s[12:13]
	s_and_saveexec_b64 s[58:59], s[18:19]
	s_cbranch_execz .LBB1616_1266
; %bb.1268:                             ;   in Loop: Header=BB1616_1267 Depth=1
	v_lshl_add_u64 v[20:21], v[20:21], 0, -1
	v_cmp_eq_u64_e64 s[12:13], 0, v[20:21]
	s_andn2_b64 s[18:19], s[54:55], exec
	s_and_b64 s[54:55], s[60:61], exec
	s_or_b64 s[54:55], s[18:19], s[54:55]
	s_andn2_b64 s[18:19], s[52:53], exec
	s_and_b64 s[12:13], s[12:13], exec
	v_lshl_add_u64 v[16:17], v[16:17], 0, 8
	v_lshl_add_u64 v[18:19], v[18:19], 0, 8
	s_andn2_b64 s[16:17], s[16:17], exec
	s_or_b64 s[52:53], s[18:19], s[12:13]
                                        ; implicit-def: $sgpr56_sgpr57
	s_branch .LBB1616_1266
.LBB1616_1269:
	s_or_b64 exec, exec, s[48:49]
	s_xor_b64 s[12:13], s[50:51], -1
	s_orn2_b64 s[12:13], s[12:13], exec
.LBB1616_1270:
	s_or_b64 exec, exec, s[46:47]
	s_and_b64 s[16:17], s[12:13], exec
.LBB1616_1271:
	s_or_b64 exec, exec, s[36:37]
	s_orn2_b64 s[36:37], s[16:17], exec
.LBB1616_1272:
	s_or_b64 exec, exec, s[44:45]
	v_cndmask_b32_e64 v16, v117, v114, s[36:37]
	v_cndmask_b32_e64 v17, v101, v100, s[36:37]
	v_add_u32_e32 v128, 1, v16
	v_add_u32_e32 v16, -1, v17
	v_min_u32_e32 v16, v128, v16
	v_mov_b32_e32 v17, 0
	v_lshl_add_u64 v[16:17], v[16:17], 3, v[66:67]
	flat_load_dwordx2 v[70:71], v[16:17]
	v_cndmask_b32_e64 v21, v27, v82, s[24:25]
	v_cndmask_b32_e64 v27, v24, v26, s[26:27]
	;; [unrolled: 1-line block ×15, first 2 shown]
	v_cmp_lt_u32_e64 s[12:13], v80, v101
	s_waitcnt vmcnt(0) lgkmcnt(0)
	v_cndmask_b32_e64 v15, v118, v71, s[36:37]
	v_cndmask_b32_e64 v14, v119, v70, s[36:37]
	s_and_saveexec_b64 s[22:23], s[12:13]
	s_cbranch_execz .LBB1616_1282
; %bb.1273:
	v_cndmask_b32_e64 v80, v114, v128, s[36:37]
	v_cndmask_b32_e64 v71, v71, v115, s[36:37]
	;; [unrolled: 1-line block ×3, first 2 shown]
	v_cmp_lt_u32_e64 s[12:13], v80, v100
	s_and_saveexec_b64 s[24:25], s[12:13]
	s_cbranch_execz .LBB1616_1281
; %bb.1274:
	s_and_saveexec_b64 s[26:27], s[8:9]
	s_cbranch_execz .LBB1616_1280
; %bb.1275:
	v_mul_lo_u32 v82, v15, v6
	v_mul_lo_u32 v83, v14, v7
	v_mad_u64_u32 v[80:81], s[12:13], v14, v6, 0
	v_add3_u32 v81, v81, v83, v82
	v_mul_lo_u32 v84, v71, v6
	v_mul_lo_u32 v85, v70, v7
	v_mad_u64_u32 v[82:83], s[12:13], v70, v6, 0
	v_add3_u32 v83, v83, v85, v84
	v_lshl_add_u64 v[80:81], v[80:81], 3, v[8:9]
	v_lshl_add_u64 v[82:83], v[82:83], 3, v[8:9]
	s_mov_b64 s[28:29], 0
	v_mov_b64_e32 v[84:85], v[6:7]
                                        ; implicit-def: $sgpr34_sgpr35
                                        ; implicit-def: $sgpr36_sgpr37
                                        ; implicit-def: $sgpr16_sgpr17
                                        ; implicit-def: $sgpr42_sgpr43
                                        ; implicit-def: $sgpr44_sgpr45
	s_branch .LBB1616_1277
.LBB1616_1276:                          ;   in Loop: Header=BB1616_1277 Depth=1
	s_or_b64 exec, exec, s[46:47]
	s_and_b64 s[12:13], exec, s[36:37]
	s_or_b64 s[28:29], s[12:13], s[28:29]
	s_andn2_b64 s[12:13], s[44:45], exec
	s_and_b64 s[18:19], s[42:43], exec
	s_or_b64 s[44:45], s[12:13], s[18:19]
	s_andn2_b64 s[12:13], s[34:35], exec
	s_and_b64 s[18:19], s[16:17], exec
	s_or_b64 s[34:35], s[12:13], s[18:19]
	s_andn2_b64 exec, exec, s[28:29]
	s_cbranch_execz .LBB1616_1279
.LBB1616_1277:                          ; =>This Inner Loop Header: Depth=1
	flat_load_dwordx2 v[86:87], v[82:83]
	flat_load_dwordx2 v[96:97], v[80:81]
	s_andn2_b64 s[46:47], s[16:17], exec
	s_andn2_b64 s[42:43], s[42:43], exec
	s_or_b64 s[36:37], s[36:37], exec
	s_waitcnt vmcnt(0) lgkmcnt(0)
	v_cmp_le_u64_e64 s[16:17], v[86:87], v[96:97]
	v_cmp_lt_u64_e64 s[12:13], v[86:87], v[96:97]
	s_and_b64 s[16:17], s[16:17], s[44:45]
	s_or_b64 s[48:49], s[12:13], s[16:17]
	s_and_b64 s[12:13], s[48:49], exec
	v_cmp_eq_u64_e64 s[18:19], v[86:87], v[96:97]
	s_or_b64 s[16:17], s[46:47], s[12:13]
	s_and_saveexec_b64 s[46:47], s[18:19]
	s_cbranch_execz .LBB1616_1276
; %bb.1278:                             ;   in Loop: Header=BB1616_1277 Depth=1
	v_lshl_add_u64 v[84:85], v[84:85], 0, -1
	v_cmp_eq_u64_e64 s[12:13], 0, v[84:85]
	s_andn2_b64 s[18:19], s[42:43], exec
	s_and_b64 s[42:43], s[48:49], exec
	s_or_b64 s[42:43], s[18:19], s[42:43]
	s_andn2_b64 s[18:19], s[36:37], exec
	s_and_b64 s[12:13], s[12:13], exec
	v_lshl_add_u64 v[80:81], v[80:81], 0, 8
	v_lshl_add_u64 v[82:83], v[82:83], 0, 8
	s_andn2_b64 s[16:17], s[16:17], exec
	s_or_b64 s[36:37], s[18:19], s[12:13]
                                        ; implicit-def: $sgpr44_sgpr45
	s_branch .LBB1616_1276
.LBB1616_1279:
	s_or_b64 exec, exec, s[28:29]
	v_cndmask_b32_e64 v15, v15, v71, s[34:35]
	v_cndmask_b32_e64 v14, v14, v70, s[34:35]
.LBB1616_1280:
	s_or_b64 exec, exec, s[26:27]
	v_mov_b64_e32 v[70:71], v[14:15]
.LBB1616_1281:
	s_or_b64 exec, exec, s[24:25]
	v_mov_b64_e32 v[14:15], v[70:71]
.LBB1616_1282:
	s_or_b64 exec, exec, s[22:23]
.LBB1616_1283:
	s_or_b64 exec, exec, s[20:21]
	v_and_b32_e32 v100, 0x380, v31
	; wave barrier
	flat_store_dwordx4 v[68:69], v[24:27]
	flat_store_dwordx4 v[68:69], v[20:23] offset:16
	flat_store_dwordx4 v[68:69], v[16:19] offset:32
	;; [unrolled: 1-line block ×3, first 2 shown]
	v_or_b32_e32 v68, 64, v100
	v_min_u32_e32 v98, v1, v68
	v_add_u32_e32 v68, 64, v98
	v_min_u32_e32 v99, v1, v68
	v_and_b32_e32 v31, 0x78, v31
	v_min_u32_e32 v1, v1, v31
	v_sub_u32_e32 v68, v98, v100
	v_sub_u32_e32 v31, v99, v98
	v_sub_u32_e64 v31, v1, v31 clamp
	v_min_u32_e32 v101, v1, v68
	v_cmp_lt_u32_e64 s[12:13], v31, v101
	; wave barrier
	s_and_saveexec_b64 s[20:21], s[12:13]
	s_cbranch_execz .LBB1616_1293
; %bb.1284:
	v_lshlrev_b32_e32 v68, 3, v100
	v_mov_b32_e32 v69, 0
	v_lshl_add_u64 v[70:71], v[66:67], 0, v[68:69]
	v_lshlrev_b32_e32 v68, 3, v98
	v_lshl_add_u64 v[80:81], v[66:67], 0, v[68:69]
	s_mov_b64 s[22:23], 0
	s_branch .LBB1616_1287
.LBB1616_1285:                          ;   in Loop: Header=BB1616_1287 Depth=1
	s_or_b64 exec, exec, s[26:27]
	s_and_b64 s[12:13], s[28:29], exec
.LBB1616_1286:                          ;   in Loop: Header=BB1616_1287 Depth=1
	s_or_b64 exec, exec, s[24:25]
	v_add_u32_e32 v68, 1, v82
	v_cndmask_b32_e64 v101, v101, v82, s[12:13]
	v_cndmask_b32_e64 v31, v68, v31, s[12:13]
	v_cmp_ge_u32_e64 s[12:13], v31, v101
	s_or_b64 s[22:23], s[12:13], s[22:23]
	s_andn2_b64 exec, exec, s[22:23]
	s_cbranch_execz .LBB1616_1292
.LBB1616_1287:                          ; =>This Loop Header: Depth=1
                                        ;     Child Loop BB1616_1290 Depth 2
	v_add_u32_e32 v68, v101, v31
	v_lshrrev_b32_e32 v82, 1, v68
	s_mov_b64 s[12:13], 0
	s_and_saveexec_b64 s[24:25], s[8:9]
	s_cbranch_execz .LBB1616_1286
; %bb.1288:                             ;   in Loop: Header=BB1616_1287 Depth=1
	v_mov_b32_e32 v83, v69
	v_xad_u32 v68, v82, -1, v1
	v_lshl_add_u64 v[84:85], v[82:83], 3, v[70:71]
	v_lshl_add_u64 v[86:87], v[68:69], 3, v[80:81]
	flat_load_dwordx2 v[84:85], v[84:85]
	s_mov_b64 s[26:27], 0
	flat_load_dwordx2 v[86:87], v[86:87]
                                        ; implicit-def: $sgpr28_sgpr29
                                        ; implicit-def: $sgpr34_sgpr35
                                        ; implicit-def: $sgpr36_sgpr37
                                        ; implicit-def: $sgpr16_sgpr17
                                        ; implicit-def: $sgpr42_sgpr43
	s_waitcnt vmcnt(0) lgkmcnt(0)
	v_mul_lo_u32 v68, v64, v85
	v_mul_lo_u32 v83, v65, v84
	v_mad_u64_u32 v[84:85], s[12:13], v64, v84, v[8:9]
	v_mul_lo_u32 v96, v64, v87
	v_mul_lo_u32 v97, v65, v86
	v_mad_u64_u32 v[86:87], s[12:13], v64, v86, v[8:9]
	v_add3_u32 v85, v83, v85, v68
	v_add3_u32 v87, v97, v87, v96
	v_mov_b64_e32 v[96:97], v[6:7]
	s_branch .LBB1616_1290
.LBB1616_1289:                          ;   in Loop: Header=BB1616_1290 Depth=2
	s_or_b64 exec, exec, s[44:45]
	s_and_b64 s[12:13], exec, s[34:35]
	s_or_b64 s[26:27], s[12:13], s[26:27]
	s_andn2_b64 s[12:13], s[42:43], exec
	s_and_b64 s[18:19], s[36:37], exec
	s_or_b64 s[42:43], s[12:13], s[18:19]
	s_andn2_b64 s[12:13], s[28:29], exec
	s_and_b64 s[18:19], s[16:17], exec
	s_or_b64 s[28:29], s[12:13], s[18:19]
	s_andn2_b64 exec, exec, s[26:27]
	s_cbranch_execz .LBB1616_1285
.LBB1616_1290:                          ;   Parent Loop BB1616_1287 Depth=1
                                        ; =>  This Inner Loop Header: Depth=2
	flat_load_dwordx2 v[102:103], v[86:87]
	flat_load_dwordx2 v[112:113], v[84:85]
	s_andn2_b64 s[44:45], s[16:17], exec
	s_andn2_b64 s[36:37], s[36:37], exec
	s_or_b64 s[34:35], s[34:35], exec
	s_waitcnt vmcnt(0) lgkmcnt(0)
	v_cmp_le_u64_e64 s[16:17], v[102:103], v[112:113]
	v_cmp_lt_u64_e64 s[12:13], v[102:103], v[112:113]
	s_and_b64 s[16:17], s[16:17], s[42:43]
	s_or_b64 s[46:47], s[12:13], s[16:17]
	s_and_b64 s[12:13], s[46:47], exec
	v_cmp_eq_u64_e64 s[18:19], v[102:103], v[112:113]
	s_or_b64 s[16:17], s[44:45], s[12:13]
	s_and_saveexec_b64 s[44:45], s[18:19]
	s_cbranch_execz .LBB1616_1289
; %bb.1291:                             ;   in Loop: Header=BB1616_1290 Depth=2
	v_lshl_add_u64 v[96:97], v[96:97], 0, -1
	v_cmp_eq_u64_e64 s[12:13], 0, v[96:97]
	s_andn2_b64 s[18:19], s[36:37], exec
	s_and_b64 s[36:37], s[46:47], exec
	s_or_b64 s[36:37], s[18:19], s[36:37]
	s_andn2_b64 s[18:19], s[34:35], exec
	s_and_b64 s[12:13], s[12:13], exec
	v_lshl_add_u64 v[84:85], v[84:85], 0, 8
	v_lshl_add_u64 v[86:87], v[86:87], 0, 8
	s_andn2_b64 s[16:17], s[16:17], exec
	s_or_b64 s[34:35], s[18:19], s[12:13]
                                        ; implicit-def: $sgpr42_sgpr43
	s_branch .LBB1616_1289
.LBB1616_1292:
	s_or_b64 exec, exec, s[22:23]
.LBB1616_1293:
	s_or_b64 exec, exec, s[20:21]
	v_add_u32_e32 v1, v98, v1
	v_add_u32_e32 v68, v31, v100
	v_sub_u32_e32 v70, v1, v31
	v_cmp_le_u32_e64 s[12:13], v68, v98
	v_cmp_le_u32_e64 s[16:17], v70, v99
	s_or_b64 s[12:13], s[12:13], s[16:17]
	s_and_saveexec_b64 s[20:21], s[12:13]
	s_cbranch_execz .LBB1616_1377
; %bb.1294:
	v_cmp_ge_u32_e64 s[16:17], v68, v98
	v_cmp_lt_u32_e64 s[12:13], v68, v98
                                        ; implicit-def: $vgpr12_vgpr13
	s_and_saveexec_b64 s[18:19], s[12:13]
	s_cbranch_execz .LBB1616_1296
; %bb.1295:
	v_mov_b32_e32 v69, 0
	v_lshl_add_u64 v[12:13], v[68:69], 3, v[66:67]
	flat_load_dwordx2 v[12:13], v[12:13]
.LBB1616_1296:
	s_or_b64 exec, exec, s[18:19]
	v_cmp_ge_u32_e64 s[22:23], v70, v99
	v_cmp_lt_u32_e64 s[12:13], v70, v99
                                        ; implicit-def: $vgpr14_vgpr15
	s_and_saveexec_b64 s[18:19], s[12:13]
	s_cbranch_execz .LBB1616_1298
; %bb.1297:
	v_mov_b32_e32 v71, 0
	v_lshl_add_u64 v[14:15], v[70:71], 3, v[66:67]
	flat_load_dwordx2 v[14:15], v[14:15]
.LBB1616_1298:
	s_or_b64 exec, exec, s[18:19]
	s_or_b64 s[12:13], s[16:17], s[22:23]
	s_xor_b64 s[12:13], s[12:13], -1
	s_and_saveexec_b64 s[24:25], s[12:13]
	s_cbranch_execz .LBB1616_1306
; %bb.1299:
	s_mov_b64 s[12:13], 0
	s_and_saveexec_b64 s[26:27], s[8:9]
	s_cbranch_execz .LBB1616_1305
; %bb.1300:
	s_waitcnt vmcnt(0) lgkmcnt(0)
	v_mul_lo_u32 v1, v13, v6
	v_mul_lo_u32 v18, v12, v7
	v_mad_u64_u32 v[16:17], s[12:13], v12, v6, 0
	v_add3_u32 v17, v17, v18, v1
	v_mul_lo_u32 v1, v15, v6
	v_mul_lo_u32 v20, v14, v7
	v_mad_u64_u32 v[18:19], s[12:13], v14, v6, 0
	v_add3_u32 v19, v19, v20, v1
	v_lshl_add_u64 v[16:17], v[16:17], 3, v[8:9]
	v_lshl_add_u64 v[18:19], v[18:19], 3, v[8:9]
	s_mov_b64 s[28:29], 0
	v_mov_b64_e32 v[20:21], v[6:7]
                                        ; implicit-def: $sgpr34_sgpr35
                                        ; implicit-def: $sgpr36_sgpr37
                                        ; implicit-def: $sgpr42_sgpr43
                                        ; implicit-def: $sgpr16_sgpr17
                                        ; implicit-def: $sgpr44_sgpr45
	s_branch .LBB1616_1302
.LBB1616_1301:                          ;   in Loop: Header=BB1616_1302 Depth=1
	s_or_b64 exec, exec, s[46:47]
	s_and_b64 s[12:13], exec, s[36:37]
	s_or_b64 s[28:29], s[12:13], s[28:29]
	s_andn2_b64 s[12:13], s[44:45], exec
	s_and_b64 s[18:19], s[42:43], exec
	s_or_b64 s[44:45], s[12:13], s[18:19]
	s_andn2_b64 s[12:13], s[34:35], exec
	s_and_b64 s[18:19], s[16:17], exec
	s_or_b64 s[34:35], s[12:13], s[18:19]
	s_andn2_b64 exec, exec, s[28:29]
	s_cbranch_execz .LBB1616_1304
.LBB1616_1302:                          ; =>This Inner Loop Header: Depth=1
	flat_load_dwordx2 v[22:23], v[18:19]
	flat_load_dwordx2 v[24:25], v[16:17]
	s_andn2_b64 s[46:47], s[16:17], exec
	s_andn2_b64 s[42:43], s[42:43], exec
	s_or_b64 s[36:37], s[36:37], exec
	s_waitcnt vmcnt(0) lgkmcnt(0)
	v_cmp_le_u64_e64 s[16:17], v[22:23], v[24:25]
	v_cmp_lt_u64_e64 s[12:13], v[22:23], v[24:25]
	s_and_b64 s[16:17], s[16:17], s[44:45]
	s_or_b64 s[48:49], s[12:13], s[16:17]
	s_and_b64 s[12:13], s[48:49], exec
	v_cmp_eq_u64_e64 s[18:19], v[22:23], v[24:25]
	s_or_b64 s[16:17], s[46:47], s[12:13]
	s_and_saveexec_b64 s[46:47], s[18:19]
	s_cbranch_execz .LBB1616_1301
; %bb.1303:                             ;   in Loop: Header=BB1616_1302 Depth=1
	v_lshl_add_u64 v[20:21], v[20:21], 0, -1
	v_cmp_eq_u64_e64 s[12:13], 0, v[20:21]
	s_andn2_b64 s[18:19], s[42:43], exec
	s_and_b64 s[42:43], s[48:49], exec
	s_or_b64 s[42:43], s[18:19], s[42:43]
	s_andn2_b64 s[18:19], s[36:37], exec
	s_and_b64 s[12:13], s[12:13], exec
	v_lshl_add_u64 v[16:17], v[16:17], 0, 8
	v_lshl_add_u64 v[18:19], v[18:19], 0, 8
	s_andn2_b64 s[16:17], s[16:17], exec
	s_or_b64 s[36:37], s[18:19], s[12:13]
                                        ; implicit-def: $sgpr44_sgpr45
	s_branch .LBB1616_1301
.LBB1616_1304:
	s_or_b64 exec, exec, s[28:29]
	s_and_b64 s[12:13], s[34:35], exec
.LBB1616_1305:
	s_or_b64 exec, exec, s[26:27]
	s_xor_b64 s[12:13], s[12:13], -1
	s_andn2_b64 s[16:17], s[22:23], exec
	s_and_b64 s[12:13], s[12:13], exec
	s_or_b64 s[22:23], s[16:17], s[12:13]
.LBB1616_1306:
	s_or_b64 exec, exec, s[24:25]
	v_cndmask_b32_e64 v1, v70, v68, s[22:23]
	v_cndmask_b32_e64 v16, v99, v98, s[22:23]
	v_add_u32_e32 v1, 1, v1
	v_add_u32_e32 v16, -1, v16
	v_min_u32_e32 v16, v1, v16
	v_mov_b32_e32 v17, 0
	v_lshl_add_u64 v[18:19], v[16:17], 3, v[66:67]
	flat_load_dwordx2 v[18:19], v[18:19]
	v_cndmask_b32_e64 v27, v1, v70, s[22:23]
	s_mov_b64 s[24:25], -1
	v_cndmask_b32_e64 v31, v68, v1, s[22:23]
	v_cmp_lt_u32_e64 s[12:13], v27, v99
	s_mov_b64 s[26:27], -1
	s_waitcnt vmcnt(0) lgkmcnt(0)
	v_cndmask_b32_e64 v1, v19, v15, s[22:23]
	v_cndmask_b32_e64 v24, v18, v14, s[22:23]
	;; [unrolled: 1-line block ×4, first 2 shown]
	s_and_saveexec_b64 s[28:29], s[12:13]
	s_cbranch_execz .LBB1616_1316
; %bb.1307:
	v_cmp_lt_u32_e64 s[12:13], v31, v98
	s_mov_b64 s[16:17], 0
	s_and_saveexec_b64 s[26:27], s[12:13]
	s_cbranch_execz .LBB1616_1315
; %bb.1308:
	s_mov_b64 s[12:13], 0
	s_and_saveexec_b64 s[34:35], s[8:9]
	s_cbranch_execz .LBB1616_1314
; %bb.1309:
	v_mul_lo_u32 v16, v25, v6
	v_mul_lo_u32 v20, v26, v7
	v_mad_u64_u32 v[18:19], s[12:13], v26, v6, 0
	v_add3_u32 v19, v19, v20, v16
	v_mul_lo_u32 v16, v1, v6
	v_mul_lo_u32 v22, v24, v7
	v_mad_u64_u32 v[20:21], s[12:13], v24, v6, 0
	v_add3_u32 v21, v21, v22, v16
	v_lshl_add_u64 v[18:19], v[18:19], 3, v[8:9]
	v_lshl_add_u64 v[20:21], v[20:21], 3, v[8:9]
	s_mov_b64 s[36:37], 0
	v_mov_b64_e32 v[22:23], v[6:7]
                                        ; implicit-def: $sgpr42_sgpr43
                                        ; implicit-def: $sgpr44_sgpr45
                                        ; implicit-def: $sgpr46_sgpr47
                                        ; implicit-def: $sgpr16_sgpr17
                                        ; implicit-def: $sgpr48_sgpr49
	s_branch .LBB1616_1311
.LBB1616_1310:                          ;   in Loop: Header=BB1616_1311 Depth=1
	s_or_b64 exec, exec, s[50:51]
	s_and_b64 s[12:13], exec, s[44:45]
	s_or_b64 s[36:37], s[12:13], s[36:37]
	s_andn2_b64 s[12:13], s[48:49], exec
	s_and_b64 s[18:19], s[46:47], exec
	s_or_b64 s[48:49], s[12:13], s[18:19]
	s_andn2_b64 s[12:13], s[42:43], exec
	s_and_b64 s[18:19], s[16:17], exec
	s_or_b64 s[42:43], s[12:13], s[18:19]
	s_andn2_b64 exec, exec, s[36:37]
	s_cbranch_execz .LBB1616_1313
.LBB1616_1311:                          ; =>This Inner Loop Header: Depth=1
	flat_load_dwordx2 v[68:69], v[20:21]
	flat_load_dwordx2 v[70:71], v[18:19]
	s_andn2_b64 s[50:51], s[16:17], exec
	s_andn2_b64 s[46:47], s[46:47], exec
	s_or_b64 s[44:45], s[44:45], exec
	s_waitcnt vmcnt(0) lgkmcnt(0)
	v_cmp_le_u64_e64 s[16:17], v[68:69], v[70:71]
	v_cmp_lt_u64_e64 s[12:13], v[68:69], v[70:71]
	s_and_b64 s[16:17], s[16:17], s[48:49]
	s_or_b64 s[52:53], s[12:13], s[16:17]
	s_and_b64 s[12:13], s[52:53], exec
	v_cmp_eq_u64_e64 s[18:19], v[68:69], v[70:71]
	s_or_b64 s[16:17], s[50:51], s[12:13]
	s_and_saveexec_b64 s[50:51], s[18:19]
	s_cbranch_execz .LBB1616_1310
; %bb.1312:                             ;   in Loop: Header=BB1616_1311 Depth=1
	v_lshl_add_u64 v[22:23], v[22:23], 0, -1
	v_cmp_eq_u64_e64 s[12:13], 0, v[22:23]
	s_andn2_b64 s[18:19], s[46:47], exec
	s_and_b64 s[46:47], s[52:53], exec
	s_or_b64 s[46:47], s[18:19], s[46:47]
	s_andn2_b64 s[18:19], s[44:45], exec
	s_and_b64 s[12:13], s[12:13], exec
	v_lshl_add_u64 v[18:19], v[18:19], 0, 8
	v_lshl_add_u64 v[20:21], v[20:21], 0, 8
	s_andn2_b64 s[16:17], s[16:17], exec
	s_or_b64 s[44:45], s[18:19], s[12:13]
                                        ; implicit-def: $sgpr48_sgpr49
	s_branch .LBB1616_1310
.LBB1616_1313:
	s_or_b64 exec, exec, s[36:37]
	s_and_b64 s[12:13], s[42:43], exec
.LBB1616_1314:
	s_or_b64 exec, exec, s[34:35]
	s_xor_b64 s[12:13], s[12:13], -1
	s_and_b64 s[16:17], s[12:13], exec
.LBB1616_1315:
	s_or_b64 exec, exec, s[26:27]
	s_orn2_b64 s[26:27], s[16:17], exec
.LBB1616_1316:
	s_or_b64 exec, exec, s[28:29]
	v_cndmask_b32_e64 v16, v27, v31, s[26:27]
	v_cndmask_b32_e64 v18, v99, v98, s[26:27]
	v_add_u32_e32 v19, 1, v16
	v_add_u32_e32 v16, -1, v18
	v_min_u32_e32 v16, v19, v16
	v_lshl_add_u64 v[16:17], v[16:17], 3, v[66:67]
	flat_load_dwordx2 v[16:17], v[16:17]
	v_cndmask_b32_e64 v22, v19, v27, s[26:27]
	v_cndmask_b32_e64 v23, v31, v19, s[26:27]
	v_cmp_lt_u32_e64 s[12:13], v22, v99
	s_waitcnt vmcnt(0) lgkmcnt(0)
	v_cndmask_b32_e64 v27, v17, v1, s[26:27]
	v_cndmask_b32_e64 v31, v16, v24, s[26:27]
	;; [unrolled: 1-line block ×4, first 2 shown]
	s_and_saveexec_b64 s[28:29], s[12:13]
	s_cbranch_execz .LBB1616_1326
; %bb.1317:
	v_cmp_lt_u32_e64 s[12:13], v23, v98
	s_mov_b64 s[16:17], 0
	s_and_saveexec_b64 s[24:25], s[12:13]
	s_cbranch_execz .LBB1616_1325
; %bb.1318:
	s_mov_b64 s[12:13], 0
	s_and_saveexec_b64 s[34:35], s[8:9]
	s_cbranch_execz .LBB1616_1324
; %bb.1319:
	v_mul_lo_u32 v18, v68, v6
	v_mul_lo_u32 v19, v69, v7
	v_mad_u64_u32 v[16:17], s[12:13], v69, v6, 0
	v_add3_u32 v17, v17, v19, v18
	v_mul_lo_u32 v20, v27, v6
	v_mul_lo_u32 v21, v31, v7
	v_mad_u64_u32 v[18:19], s[12:13], v31, v6, 0
	v_add3_u32 v19, v19, v21, v20
	v_lshl_add_u64 v[16:17], v[16:17], 3, v[8:9]
	v_lshl_add_u64 v[18:19], v[18:19], 3, v[8:9]
	s_mov_b64 s[36:37], 0
	v_mov_b64_e32 v[20:21], v[6:7]
                                        ; implicit-def: $sgpr42_sgpr43
                                        ; implicit-def: $sgpr44_sgpr45
                                        ; implicit-def: $sgpr46_sgpr47
                                        ; implicit-def: $sgpr16_sgpr17
                                        ; implicit-def: $sgpr48_sgpr49
	s_branch .LBB1616_1321
.LBB1616_1320:                          ;   in Loop: Header=BB1616_1321 Depth=1
	s_or_b64 exec, exec, s[50:51]
	s_and_b64 s[12:13], exec, s[44:45]
	s_or_b64 s[36:37], s[12:13], s[36:37]
	s_andn2_b64 s[12:13], s[48:49], exec
	s_and_b64 s[18:19], s[46:47], exec
	s_or_b64 s[48:49], s[12:13], s[18:19]
	s_andn2_b64 s[12:13], s[42:43], exec
	s_and_b64 s[18:19], s[16:17], exec
	s_or_b64 s[42:43], s[12:13], s[18:19]
	s_andn2_b64 exec, exec, s[36:37]
	s_cbranch_execz .LBB1616_1323
.LBB1616_1321:                          ; =>This Inner Loop Header: Depth=1
	flat_load_dwordx2 v[70:71], v[18:19]
	flat_load_dwordx2 v[80:81], v[16:17]
	s_andn2_b64 s[50:51], s[16:17], exec
	s_andn2_b64 s[46:47], s[46:47], exec
	s_or_b64 s[44:45], s[44:45], exec
	s_waitcnt vmcnt(0) lgkmcnt(0)
	v_cmp_le_u64_e64 s[16:17], v[70:71], v[80:81]
	v_cmp_lt_u64_e64 s[12:13], v[70:71], v[80:81]
	s_and_b64 s[16:17], s[16:17], s[48:49]
	s_or_b64 s[52:53], s[12:13], s[16:17]
	s_and_b64 s[12:13], s[52:53], exec
	v_cmp_eq_u64_e64 s[18:19], v[70:71], v[80:81]
	s_or_b64 s[16:17], s[50:51], s[12:13]
	s_and_saveexec_b64 s[50:51], s[18:19]
	s_cbranch_execz .LBB1616_1320
; %bb.1322:                             ;   in Loop: Header=BB1616_1321 Depth=1
	v_lshl_add_u64 v[20:21], v[20:21], 0, -1
	v_cmp_eq_u64_e64 s[12:13], 0, v[20:21]
	s_andn2_b64 s[18:19], s[46:47], exec
	s_and_b64 s[46:47], s[52:53], exec
	s_or_b64 s[46:47], s[18:19], s[46:47]
	s_andn2_b64 s[18:19], s[44:45], exec
	s_and_b64 s[12:13], s[12:13], exec
	v_lshl_add_u64 v[16:17], v[16:17], 0, 8
	v_lshl_add_u64 v[18:19], v[18:19], 0, 8
	s_andn2_b64 s[16:17], s[16:17], exec
	s_or_b64 s[44:45], s[18:19], s[12:13]
                                        ; implicit-def: $sgpr48_sgpr49
	s_branch .LBB1616_1320
.LBB1616_1323:
	s_or_b64 exec, exec, s[36:37]
	s_and_b64 s[12:13], s[42:43], exec
.LBB1616_1324:
	s_or_b64 exec, exec, s[34:35]
	s_xor_b64 s[12:13], s[12:13], -1
	s_and_b64 s[16:17], s[12:13], exec
.LBB1616_1325:
	s_or_b64 exec, exec, s[24:25]
	s_orn2_b64 s[24:25], s[16:17], exec
.LBB1616_1326:
	s_or_b64 exec, exec, s[28:29]
	v_cndmask_b32_e64 v16, v22, v23, s[24:25]
	v_cndmask_b32_e64 v17, v99, v98, s[24:25]
	v_add_u32_e32 v20, 1, v16
	v_add_u32_e32 v16, -1, v17
	v_min_u32_e32 v16, v20, v16
	v_mov_b32_e32 v17, 0
	v_lshl_add_u64 v[18:19], v[16:17], 3, v[66:67]
	flat_load_dwordx2 v[18:19], v[18:19]
	v_cndmask_b32_e64 v82, v20, v22, s[24:25]
	s_mov_b64 s[28:29], -1
	v_cndmask_b32_e64 v83, v23, v20, s[24:25]
	v_cmp_lt_u32_e64 s[12:13], v82, v99
	s_mov_b64 s[34:35], -1
	s_waitcnt vmcnt(0) lgkmcnt(0)
	v_cndmask_b32_e64 v70, v19, v27, s[24:25]
	v_cndmask_b32_e64 v71, v18, v31, s[24:25]
	;; [unrolled: 1-line block ×4, first 2 shown]
	s_and_saveexec_b64 s[36:37], s[12:13]
	s_cbranch_execz .LBB1616_1336
; %bb.1327:
	v_cmp_lt_u32_e64 s[12:13], v83, v98
	s_mov_b64 s[16:17], 0
	s_and_saveexec_b64 s[34:35], s[12:13]
	s_cbranch_execz .LBB1616_1335
; %bb.1328:
	s_mov_b64 s[12:13], -1
	s_and_saveexec_b64 s[42:43], s[8:9]
	s_cbranch_execz .LBB1616_1334
; %bb.1329:
	v_mul_lo_u32 v16, v80, v6
	v_mul_lo_u32 v20, v81, v7
	v_mad_u64_u32 v[18:19], s[12:13], v81, v6, 0
	v_add3_u32 v19, v19, v20, v16
	v_mul_lo_u32 v16, v70, v6
	v_mul_lo_u32 v22, v71, v7
	v_mad_u64_u32 v[20:21], s[12:13], v71, v6, 0
	v_add3_u32 v21, v21, v22, v16
	v_lshl_add_u64 v[18:19], v[18:19], 3, v[8:9]
	v_lshl_add_u64 v[20:21], v[20:21], 3, v[8:9]
	s_mov_b64 s[44:45], 0
	v_mov_b64_e32 v[22:23], v[6:7]
                                        ; implicit-def: $sgpr46_sgpr47
                                        ; implicit-def: $sgpr48_sgpr49
                                        ; implicit-def: $sgpr16_sgpr17
                                        ; implicit-def: $sgpr50_sgpr51
                                        ; implicit-def: $sgpr52_sgpr53
	s_branch .LBB1616_1331
.LBB1616_1330:                          ;   in Loop: Header=BB1616_1331 Depth=1
	s_or_b64 exec, exec, s[54:55]
	s_and_b64 s[12:13], exec, s[48:49]
	s_or_b64 s[44:45], s[12:13], s[44:45]
	s_andn2_b64 s[12:13], s[52:53], exec
	s_and_b64 s[18:19], s[50:51], exec
	s_or_b64 s[52:53], s[12:13], s[18:19]
	s_andn2_b64 s[12:13], s[46:47], exec
	s_and_b64 s[18:19], s[16:17], exec
	s_or_b64 s[46:47], s[12:13], s[18:19]
	s_andn2_b64 exec, exec, s[44:45]
	s_cbranch_execz .LBB1616_1333
.LBB1616_1331:                          ; =>This Inner Loop Header: Depth=1
	flat_load_dwordx2 v[84:85], v[20:21]
	flat_load_dwordx2 v[86:87], v[18:19]
	s_andn2_b64 s[54:55], s[16:17], exec
	s_andn2_b64 s[50:51], s[50:51], exec
	s_or_b64 s[48:49], s[48:49], exec
	s_waitcnt vmcnt(0) lgkmcnt(0)
	v_cmp_le_u64_e64 s[16:17], v[84:85], v[86:87]
	v_cmp_lt_u64_e64 s[12:13], v[84:85], v[86:87]
	s_and_b64 s[16:17], s[16:17], s[52:53]
	s_or_b64 s[56:57], s[12:13], s[16:17]
	s_and_b64 s[12:13], s[56:57], exec
	v_cmp_eq_u64_e64 s[18:19], v[84:85], v[86:87]
	s_or_b64 s[16:17], s[54:55], s[12:13]
	s_and_saveexec_b64 s[54:55], s[18:19]
	s_cbranch_execz .LBB1616_1330
; %bb.1332:                             ;   in Loop: Header=BB1616_1331 Depth=1
	v_lshl_add_u64 v[22:23], v[22:23], 0, -1
	v_cmp_eq_u64_e64 s[12:13], 0, v[22:23]
	s_andn2_b64 s[18:19], s[50:51], exec
	s_and_b64 s[50:51], s[56:57], exec
	s_or_b64 s[50:51], s[18:19], s[50:51]
	s_andn2_b64 s[18:19], s[48:49], exec
	s_and_b64 s[12:13], s[12:13], exec
	v_lshl_add_u64 v[18:19], v[18:19], 0, 8
	v_lshl_add_u64 v[20:21], v[20:21], 0, 8
	s_andn2_b64 s[16:17], s[16:17], exec
	s_or_b64 s[48:49], s[18:19], s[12:13]
                                        ; implicit-def: $sgpr52_sgpr53
	s_branch .LBB1616_1330
.LBB1616_1333:
	s_or_b64 exec, exec, s[44:45]
	s_xor_b64 s[12:13], s[46:47], -1
	s_orn2_b64 s[12:13], s[12:13], exec
.LBB1616_1334:
	s_or_b64 exec, exec, s[42:43]
	s_and_b64 s[16:17], s[12:13], exec
.LBB1616_1335:
	s_or_b64 exec, exec, s[34:35]
	s_orn2_b64 s[34:35], s[16:17], exec
.LBB1616_1336:
	s_or_b64 exec, exec, s[36:37]
	v_cndmask_b32_e64 v16, v82, v83, s[34:35]
	v_cndmask_b32_e64 v18, v99, v98, s[34:35]
	v_add_u32_e32 v19, 1, v16
	v_add_u32_e32 v16, -1, v18
	v_min_u32_e32 v16, v19, v16
	v_lshl_add_u64 v[16:17], v[16:17], 3, v[66:67]
	flat_load_dwordx2 v[16:17], v[16:17]
	v_cndmask_b32_e64 v22, v19, v82, s[34:35]
	v_cndmask_b32_e64 v23, v83, v19, s[34:35]
	v_cmp_lt_u32_e64 s[12:13], v22, v99
	s_waitcnt vmcnt(0) lgkmcnt(0)
	v_cndmask_b32_e64 v82, v17, v70, s[34:35]
	v_cndmask_b32_e64 v83, v16, v71, s[34:35]
	;; [unrolled: 1-line block ×4, first 2 shown]
	s_and_saveexec_b64 s[36:37], s[12:13]
	s_cbranch_execz .LBB1616_1346
; %bb.1337:
	v_cmp_lt_u32_e64 s[12:13], v23, v98
	s_mov_b64 s[16:17], 0
	s_and_saveexec_b64 s[28:29], s[12:13]
	s_cbranch_execz .LBB1616_1345
; %bb.1338:
	s_mov_b64 s[12:13], -1
	s_and_saveexec_b64 s[42:43], s[8:9]
	s_cbranch_execz .LBB1616_1344
; %bb.1339:
	v_mul_lo_u32 v18, v84, v6
	v_mul_lo_u32 v19, v85, v7
	v_mad_u64_u32 v[16:17], s[12:13], v85, v6, 0
	v_add3_u32 v17, v17, v19, v18
	v_mul_lo_u32 v20, v82, v6
	v_mul_lo_u32 v21, v83, v7
	v_mad_u64_u32 v[18:19], s[12:13], v83, v6, 0
	v_add3_u32 v19, v19, v21, v20
	v_lshl_add_u64 v[16:17], v[16:17], 3, v[8:9]
	v_lshl_add_u64 v[18:19], v[18:19], 3, v[8:9]
	s_mov_b64 s[44:45], 0
	v_mov_b64_e32 v[20:21], v[6:7]
                                        ; implicit-def: $sgpr46_sgpr47
                                        ; implicit-def: $sgpr48_sgpr49
                                        ; implicit-def: $sgpr16_sgpr17
                                        ; implicit-def: $sgpr50_sgpr51
                                        ; implicit-def: $sgpr52_sgpr53
	s_branch .LBB1616_1341
.LBB1616_1340:                          ;   in Loop: Header=BB1616_1341 Depth=1
	s_or_b64 exec, exec, s[54:55]
	s_and_b64 s[12:13], exec, s[48:49]
	s_or_b64 s[44:45], s[12:13], s[44:45]
	s_andn2_b64 s[12:13], s[52:53], exec
	s_and_b64 s[18:19], s[50:51], exec
	s_or_b64 s[52:53], s[12:13], s[18:19]
	s_andn2_b64 s[12:13], s[46:47], exec
	s_and_b64 s[18:19], s[16:17], exec
	s_or_b64 s[46:47], s[12:13], s[18:19]
	s_andn2_b64 exec, exec, s[44:45]
	s_cbranch_execz .LBB1616_1343
.LBB1616_1341:                          ; =>This Inner Loop Header: Depth=1
	flat_load_dwordx2 v[86:87], v[18:19]
	flat_load_dwordx2 v[96:97], v[16:17]
	s_andn2_b64 s[54:55], s[16:17], exec
	s_andn2_b64 s[50:51], s[50:51], exec
	s_or_b64 s[48:49], s[48:49], exec
	s_waitcnt vmcnt(0) lgkmcnt(0)
	v_cmp_le_u64_e64 s[16:17], v[86:87], v[96:97]
	v_cmp_lt_u64_e64 s[12:13], v[86:87], v[96:97]
	s_and_b64 s[16:17], s[16:17], s[52:53]
	s_or_b64 s[56:57], s[12:13], s[16:17]
	s_and_b64 s[12:13], s[56:57], exec
	v_cmp_eq_u64_e64 s[18:19], v[86:87], v[96:97]
	s_or_b64 s[16:17], s[54:55], s[12:13]
	s_and_saveexec_b64 s[54:55], s[18:19]
	s_cbranch_execz .LBB1616_1340
; %bb.1342:                             ;   in Loop: Header=BB1616_1341 Depth=1
	v_lshl_add_u64 v[20:21], v[20:21], 0, -1
	v_cmp_eq_u64_e64 s[12:13], 0, v[20:21]
	s_andn2_b64 s[18:19], s[50:51], exec
	s_and_b64 s[50:51], s[56:57], exec
	s_or_b64 s[50:51], s[18:19], s[50:51]
	s_andn2_b64 s[18:19], s[48:49], exec
	s_and_b64 s[12:13], s[12:13], exec
	v_lshl_add_u64 v[16:17], v[16:17], 0, 8
	v_lshl_add_u64 v[18:19], v[18:19], 0, 8
	s_andn2_b64 s[16:17], s[16:17], exec
	s_or_b64 s[48:49], s[18:19], s[12:13]
                                        ; implicit-def: $sgpr52_sgpr53
	s_branch .LBB1616_1340
.LBB1616_1343:
	s_or_b64 exec, exec, s[44:45]
	s_xor_b64 s[12:13], s[46:47], -1
	s_orn2_b64 s[12:13], s[12:13], exec
.LBB1616_1344:
	s_or_b64 exec, exec, s[42:43]
	s_and_b64 s[16:17], s[12:13], exec
.LBB1616_1345:
	s_or_b64 exec, exec, s[28:29]
	s_orn2_b64 s[28:29], s[16:17], exec
.LBB1616_1346:
	s_or_b64 exec, exec, s[36:37]
	v_cndmask_b32_e64 v16, v22, v23, s[28:29]
	v_cndmask_b32_e64 v17, v99, v98, s[28:29]
	v_add_u32_e32 v20, 1, v16
	v_add_u32_e32 v16, -1, v17
	v_min_u32_e32 v16, v20, v16
	v_mov_b32_e32 v17, 0
	v_lshl_add_u64 v[18:19], v[16:17], 3, v[66:67]
	flat_load_dwordx2 v[18:19], v[18:19]
	v_cndmask_b32_e64 v100, v20, v22, s[28:29]
	s_mov_b64 s[36:37], -1
	v_cndmask_b32_e64 v101, v23, v20, s[28:29]
	v_cmp_lt_u32_e64 s[12:13], v100, v99
	s_mov_b64 s[42:43], -1
	s_waitcnt vmcnt(0) lgkmcnt(0)
	v_cndmask_b32_e64 v86, v19, v82, s[28:29]
	v_cndmask_b32_e64 v87, v18, v83, s[28:29]
	;; [unrolled: 1-line block ×4, first 2 shown]
	s_and_saveexec_b64 s[44:45], s[12:13]
	s_cbranch_execz .LBB1616_1356
; %bb.1347:
	v_cmp_lt_u32_e64 s[12:13], v101, v98
	s_mov_b64 s[16:17], 0
	s_and_saveexec_b64 s[42:43], s[12:13]
	s_cbranch_execz .LBB1616_1355
; %bb.1348:
	s_mov_b64 s[12:13], -1
	s_and_saveexec_b64 s[46:47], s[8:9]
	s_cbranch_execz .LBB1616_1354
; %bb.1349:
	v_mul_lo_u32 v16, v96, v6
	v_mul_lo_u32 v20, v97, v7
	v_mad_u64_u32 v[18:19], s[12:13], v97, v6, 0
	v_add3_u32 v19, v19, v20, v16
	v_mul_lo_u32 v16, v86, v6
	v_mul_lo_u32 v22, v87, v7
	v_mad_u64_u32 v[20:21], s[12:13], v87, v6, 0
	v_add3_u32 v21, v21, v22, v16
	v_lshl_add_u64 v[18:19], v[18:19], 3, v[8:9]
	v_lshl_add_u64 v[20:21], v[20:21], 3, v[8:9]
	s_mov_b64 s[48:49], 0
	v_mov_b64_e32 v[22:23], v[6:7]
                                        ; implicit-def: $sgpr50_sgpr51
                                        ; implicit-def: $sgpr52_sgpr53
                                        ; implicit-def: $sgpr16_sgpr17
                                        ; implicit-def: $sgpr54_sgpr55
                                        ; implicit-def: $sgpr56_sgpr57
	s_branch .LBB1616_1351
.LBB1616_1350:                          ;   in Loop: Header=BB1616_1351 Depth=1
	s_or_b64 exec, exec, s[58:59]
	s_and_b64 s[12:13], exec, s[52:53]
	s_or_b64 s[48:49], s[12:13], s[48:49]
	s_andn2_b64 s[12:13], s[56:57], exec
	s_and_b64 s[18:19], s[54:55], exec
	s_or_b64 s[56:57], s[12:13], s[18:19]
	s_andn2_b64 s[12:13], s[50:51], exec
	s_and_b64 s[18:19], s[16:17], exec
	s_or_b64 s[50:51], s[12:13], s[18:19]
	s_andn2_b64 exec, exec, s[48:49]
	s_cbranch_execz .LBB1616_1353
.LBB1616_1351:                          ; =>This Inner Loop Header: Depth=1
	flat_load_dwordx2 v[102:103], v[20:21]
	flat_load_dwordx2 v[112:113], v[18:19]
	s_andn2_b64 s[58:59], s[16:17], exec
	s_andn2_b64 s[54:55], s[54:55], exec
	s_or_b64 s[52:53], s[52:53], exec
	s_waitcnt vmcnt(0) lgkmcnt(0)
	v_cmp_le_u64_e64 s[16:17], v[102:103], v[112:113]
	v_cmp_lt_u64_e64 s[12:13], v[102:103], v[112:113]
	s_and_b64 s[16:17], s[16:17], s[56:57]
	s_or_b64 s[60:61], s[12:13], s[16:17]
	s_and_b64 s[12:13], s[60:61], exec
	v_cmp_eq_u64_e64 s[18:19], v[102:103], v[112:113]
	s_or_b64 s[16:17], s[58:59], s[12:13]
	s_and_saveexec_b64 s[58:59], s[18:19]
	s_cbranch_execz .LBB1616_1350
; %bb.1352:                             ;   in Loop: Header=BB1616_1351 Depth=1
	v_lshl_add_u64 v[22:23], v[22:23], 0, -1
	v_cmp_eq_u64_e64 s[12:13], 0, v[22:23]
	s_andn2_b64 s[18:19], s[54:55], exec
	s_and_b64 s[54:55], s[60:61], exec
	s_or_b64 s[54:55], s[18:19], s[54:55]
	s_andn2_b64 s[18:19], s[52:53], exec
	s_and_b64 s[12:13], s[12:13], exec
	v_lshl_add_u64 v[18:19], v[18:19], 0, 8
	v_lshl_add_u64 v[20:21], v[20:21], 0, 8
	s_andn2_b64 s[16:17], s[16:17], exec
	s_or_b64 s[52:53], s[18:19], s[12:13]
                                        ; implicit-def: $sgpr56_sgpr57
	s_branch .LBB1616_1350
.LBB1616_1353:
	s_or_b64 exec, exec, s[48:49]
	s_xor_b64 s[12:13], s[50:51], -1
	s_orn2_b64 s[12:13], s[12:13], exec
.LBB1616_1354:
	s_or_b64 exec, exec, s[46:47]
	s_and_b64 s[16:17], s[12:13], exec
.LBB1616_1355:
	s_or_b64 exec, exec, s[42:43]
	s_orn2_b64 s[42:43], s[16:17], exec
.LBB1616_1356:
	s_or_b64 exec, exec, s[44:45]
	v_cndmask_b32_e64 v16, v100, v101, s[42:43]
	v_cndmask_b32_e64 v18, v99, v98, s[42:43]
	v_add_u32_e32 v19, 1, v16
	v_add_u32_e32 v16, -1, v18
	v_min_u32_e32 v16, v19, v16
	v_lshl_add_u64 v[16:17], v[16:17], 3, v[66:67]
	flat_load_dwordx2 v[16:17], v[16:17]
	v_cndmask_b32_e64 v103, v19, v100, s[42:43]
	v_cndmask_b32_e64 v100, v101, v19, s[42:43]
	v_cmp_lt_u32_e64 s[12:13], v103, v99
	s_waitcnt vmcnt(0) lgkmcnt(0)
	v_cndmask_b32_e64 v101, v17, v86, s[42:43]
	v_cndmask_b32_e64 v102, v16, v87, s[42:43]
	;; [unrolled: 1-line block ×4, first 2 shown]
	s_and_saveexec_b64 s[44:45], s[12:13]
	s_cbranch_execz .LBB1616_1366
; %bb.1357:
	v_cmp_lt_u32_e64 s[12:13], v100, v98
	s_mov_b64 s[16:17], 0
	s_and_saveexec_b64 s[36:37], s[12:13]
	s_cbranch_execz .LBB1616_1365
; %bb.1358:
	s_mov_b64 s[12:13], -1
	s_and_saveexec_b64 s[46:47], s[8:9]
	s_cbranch_execz .LBB1616_1364
; %bb.1359:
	v_mul_lo_u32 v18, v112, v6
	v_mul_lo_u32 v19, v113, v7
	v_mad_u64_u32 v[16:17], s[12:13], v113, v6, 0
	v_add3_u32 v17, v17, v19, v18
	v_mul_lo_u32 v20, v101, v6
	v_mul_lo_u32 v21, v102, v7
	v_mad_u64_u32 v[18:19], s[12:13], v102, v6, 0
	v_add3_u32 v19, v19, v21, v20
	v_lshl_add_u64 v[16:17], v[16:17], 3, v[8:9]
	v_lshl_add_u64 v[18:19], v[18:19], 3, v[8:9]
	s_mov_b64 s[48:49], 0
	v_mov_b64_e32 v[20:21], v[6:7]
                                        ; implicit-def: $sgpr50_sgpr51
                                        ; implicit-def: $sgpr52_sgpr53
                                        ; implicit-def: $sgpr16_sgpr17
                                        ; implicit-def: $sgpr54_sgpr55
                                        ; implicit-def: $sgpr56_sgpr57
	s_branch .LBB1616_1361
.LBB1616_1360:                          ;   in Loop: Header=BB1616_1361 Depth=1
	s_or_b64 exec, exec, s[58:59]
	s_and_b64 s[12:13], exec, s[52:53]
	s_or_b64 s[48:49], s[12:13], s[48:49]
	s_andn2_b64 s[12:13], s[56:57], exec
	s_and_b64 s[18:19], s[54:55], exec
	s_or_b64 s[56:57], s[12:13], s[18:19]
	s_andn2_b64 s[12:13], s[50:51], exec
	s_and_b64 s[18:19], s[16:17], exec
	s_or_b64 s[50:51], s[12:13], s[18:19]
	s_andn2_b64 exec, exec, s[48:49]
	s_cbranch_execz .LBB1616_1363
.LBB1616_1361:                          ; =>This Inner Loop Header: Depth=1
	flat_load_dwordx2 v[22:23], v[18:19]
	flat_load_dwordx2 v[114:115], v[16:17]
	s_andn2_b64 s[58:59], s[16:17], exec
	s_andn2_b64 s[54:55], s[54:55], exec
	s_or_b64 s[52:53], s[52:53], exec
	s_waitcnt vmcnt(0) lgkmcnt(0)
	v_cmp_le_u64_e64 s[16:17], v[22:23], v[114:115]
	v_cmp_lt_u64_e64 s[12:13], v[22:23], v[114:115]
	s_and_b64 s[16:17], s[16:17], s[56:57]
	s_or_b64 s[60:61], s[12:13], s[16:17]
	s_and_b64 s[12:13], s[60:61], exec
	v_cmp_eq_u64_e64 s[18:19], v[22:23], v[114:115]
	s_or_b64 s[16:17], s[58:59], s[12:13]
	s_and_saveexec_b64 s[58:59], s[18:19]
	s_cbranch_execz .LBB1616_1360
; %bb.1362:                             ;   in Loop: Header=BB1616_1361 Depth=1
	v_lshl_add_u64 v[20:21], v[20:21], 0, -1
	v_cmp_eq_u64_e64 s[12:13], 0, v[20:21]
	s_andn2_b64 s[18:19], s[54:55], exec
	s_and_b64 s[54:55], s[60:61], exec
	s_or_b64 s[54:55], s[18:19], s[54:55]
	s_andn2_b64 s[18:19], s[52:53], exec
	s_and_b64 s[12:13], s[12:13], exec
	v_lshl_add_u64 v[16:17], v[16:17], 0, 8
	v_lshl_add_u64 v[18:19], v[18:19], 0, 8
	s_andn2_b64 s[16:17], s[16:17], exec
	s_or_b64 s[52:53], s[18:19], s[12:13]
                                        ; implicit-def: $sgpr56_sgpr57
	s_branch .LBB1616_1360
.LBB1616_1363:
	s_or_b64 exec, exec, s[48:49]
	s_xor_b64 s[12:13], s[50:51], -1
	s_orn2_b64 s[12:13], s[12:13], exec
.LBB1616_1364:
	s_or_b64 exec, exec, s[46:47]
	s_and_b64 s[16:17], s[12:13], exec
.LBB1616_1365:
	s_or_b64 exec, exec, s[36:37]
	s_orn2_b64 s[36:37], s[16:17], exec
.LBB1616_1366:
	s_or_b64 exec, exec, s[44:45]
	v_cndmask_b32_e64 v16, v103, v100, s[36:37]
	v_cndmask_b32_e64 v17, v99, v98, s[36:37]
	v_add_u32_e32 v114, 1, v16
	v_add_u32_e32 v16, -1, v17
	v_min_u32_e32 v16, v114, v16
	v_mov_b32_e32 v17, 0
	v_lshl_add_u64 v[16:17], v[16:17], 3, v[66:67]
	flat_load_dwordx2 v[66:67], v[16:17]
	v_cndmask_b32_e64 v21, v27, v68, s[24:25]
	v_cndmask_b32_e64 v27, v1, v25, s[26:27]
	;; [unrolled: 1-line block ×15, first 2 shown]
	v_cmp_lt_u32_e64 s[12:13], v1, v99
	s_waitcnt vmcnt(0) lgkmcnt(0)
	v_cndmask_b32_e64 v15, v112, v67, s[36:37]
	v_cndmask_b32_e64 v14, v113, v66, s[36:37]
	s_and_saveexec_b64 s[22:23], s[12:13]
	s_cbranch_execz .LBB1616_1376
; %bb.1367:
	v_cndmask_b32_e64 v1, v100, v114, s[36:37]
	v_cndmask_b32_e64 v67, v67, v101, s[36:37]
	;; [unrolled: 1-line block ×3, first 2 shown]
	v_cmp_lt_u32_e64 s[12:13], v1, v98
	s_and_saveexec_b64 s[24:25], s[12:13]
	s_cbranch_execz .LBB1616_1375
; %bb.1368:
	s_and_saveexec_b64 s[26:27], s[8:9]
	s_cbranch_execz .LBB1616_1374
; %bb.1369:
	v_mul_lo_u32 v1, v15, v6
	v_mul_lo_u32 v31, v14, v7
	v_mad_u64_u32 v[68:69], s[12:13], v14, v6, 0
	v_add3_u32 v69, v69, v31, v1
	v_mul_lo_u32 v1, v67, v6
	v_mul_lo_u32 v31, v66, v7
	v_mad_u64_u32 v[70:71], s[12:13], v66, v6, 0
	v_add3_u32 v71, v71, v31, v1
	v_lshl_add_u64 v[68:69], v[68:69], 3, v[8:9]
	v_lshl_add_u64 v[70:71], v[70:71], 3, v[8:9]
	s_mov_b64 s[28:29], 0
	v_mov_b64_e32 v[80:81], v[6:7]
                                        ; implicit-def: $sgpr34_sgpr35
                                        ; implicit-def: $sgpr36_sgpr37
                                        ; implicit-def: $sgpr16_sgpr17
                                        ; implicit-def: $sgpr42_sgpr43
                                        ; implicit-def: $sgpr44_sgpr45
	s_branch .LBB1616_1371
.LBB1616_1370:                          ;   in Loop: Header=BB1616_1371 Depth=1
	s_or_b64 exec, exec, s[46:47]
	s_and_b64 s[12:13], exec, s[36:37]
	s_or_b64 s[28:29], s[12:13], s[28:29]
	s_andn2_b64 s[12:13], s[44:45], exec
	s_and_b64 s[18:19], s[42:43], exec
	s_or_b64 s[44:45], s[12:13], s[18:19]
	s_andn2_b64 s[12:13], s[34:35], exec
	s_and_b64 s[18:19], s[16:17], exec
	s_or_b64 s[34:35], s[12:13], s[18:19]
	s_andn2_b64 exec, exec, s[28:29]
	s_cbranch_execz .LBB1616_1373
.LBB1616_1371:                          ; =>This Inner Loop Header: Depth=1
	flat_load_dwordx2 v[82:83], v[70:71]
	flat_load_dwordx2 v[84:85], v[68:69]
	s_andn2_b64 s[46:47], s[16:17], exec
	s_andn2_b64 s[42:43], s[42:43], exec
	s_or_b64 s[36:37], s[36:37], exec
	s_waitcnt vmcnt(0) lgkmcnt(0)
	v_cmp_le_u64_e64 s[16:17], v[82:83], v[84:85]
	v_cmp_lt_u64_e64 s[12:13], v[82:83], v[84:85]
	s_and_b64 s[16:17], s[16:17], s[44:45]
	s_or_b64 s[48:49], s[12:13], s[16:17]
	s_and_b64 s[12:13], s[48:49], exec
	v_cmp_eq_u64_e64 s[18:19], v[82:83], v[84:85]
	s_or_b64 s[16:17], s[46:47], s[12:13]
	s_and_saveexec_b64 s[46:47], s[18:19]
	s_cbranch_execz .LBB1616_1370
; %bb.1372:                             ;   in Loop: Header=BB1616_1371 Depth=1
	v_lshl_add_u64 v[80:81], v[80:81], 0, -1
	v_cmp_eq_u64_e64 s[12:13], 0, v[80:81]
	s_andn2_b64 s[18:19], s[42:43], exec
	s_and_b64 s[42:43], s[48:49], exec
	s_or_b64 s[42:43], s[18:19], s[42:43]
	s_andn2_b64 s[18:19], s[36:37], exec
	s_and_b64 s[12:13], s[12:13], exec
	v_lshl_add_u64 v[68:69], v[68:69], 0, 8
	v_lshl_add_u64 v[70:71], v[70:71], 0, 8
	s_andn2_b64 s[16:17], s[16:17], exec
	s_or_b64 s[36:37], s[18:19], s[12:13]
                                        ; implicit-def: $sgpr44_sgpr45
	s_branch .LBB1616_1370
.LBB1616_1373:
	s_or_b64 exec, exec, s[28:29]
	v_cndmask_b32_e64 v15, v15, v67, s[34:35]
	v_cndmask_b32_e64 v14, v14, v66, s[34:35]
.LBB1616_1374:
	s_or_b64 exec, exec, s[26:27]
	v_mov_b64_e32 v[66:67], v[14:15]
.LBB1616_1375:
	s_or_b64 exec, exec, s[24:25]
	v_mov_b64_e32 v[14:15], v[66:67]
.LBB1616_1376:
	s_or_b64 exec, exec, s[22:23]
.LBB1616_1377:
	s_or_b64 exec, exec, s[20:21]
	s_movk_i32 s68, 0x80
	v_cmp_lt_u32_e64 s[12:13], s68, v0
	; wave barrier
	s_waitcnt lgkmcnt(0)
	s_barrier
	s_and_saveexec_b64 s[20:21], s[12:13]
	s_cbranch_execz .LBB1616_1475
; %bb.1378:
	v_lshlrev_b32_e32 v66, 3, v30
	v_mov_b32_e32 v67, 0
	v_lshl_add_u64 v[68:69], v[10:11], 0, v[66:67]
	s_mov_b64 s[22:23], 0
	s_branch .LBB1616_1384
.LBB1616_1379:                          ;   in Loop: Header=BB1616_1384 Depth=1
	s_or_b64 exec, exec, s[54:55]
	v_cndmask_b32_e64 v15, v15, v17, s[56:57]
	v_cndmask_b32_e64 v14, v14, v16, s[56:57]
.LBB1616_1380:                          ;   in Loop: Header=BB1616_1384 Depth=1
	s_or_b64 exec, exec, s[52:53]
	v_mov_b64_e32 v[16:17], v[14:15]
.LBB1616_1381:                          ;   in Loop: Header=BB1616_1384 Depth=1
	s_or_b64 exec, exec, s[50:51]
	v_mov_b64_e32 v[14:15], v[16:17]
.LBB1616_1382:                          ;   in Loop: Header=BB1616_1384 Depth=1
	s_or_b64 exec, exec, s[48:49]
	v_cndmask_b32_e64 v19, v100, v102, s[46:47]
	v_cndmask_b32_e64 v18, v101, v103, s[46:47]
	v_cndmask_b32_e64 v17, v96, v98, s[36:37]
	v_cndmask_b32_e64 v16, v97, v99, s[36:37]
	v_cndmask_b32_e64 v23, v84, v86, s[42:43]
	v_cndmask_b32_e64 v22, v85, v87, s[42:43]
	v_cndmask_b32_e64 v21, v80, v82, s[28:29]
	v_cndmask_b32_e64 v20, v81, v83, s[28:29]
	v_cndmask_b32_e64 v27, v26, v27, s[34:35]
	v_cndmask_b32_e64 v26, v31, v71, s[34:35]
	v_cndmask_b32_e64 v25, v25, v13, s[26:27]
	v_cndmask_b32_e64 v24, v24, v12, s[26:27]
	v_cndmask_b32_e64 v13, v112, v114, s[44:45]
	v_cndmask_b32_e64 v12, v113, v115, s[44:45]
.LBB1616_1383:                          ;   in Loop: Header=BB1616_1384 Depth=1
	s_or_b64 exec, exec, s[24:25]
	v_cmp_ge_u32_e64 s[12:13], s68, v0
	s_or_b64 s[22:23], s[12:13], s[22:23]
	s_barrier
	s_andn2_b64 exec, exec, s[22:23]
	s_cbranch_execz .LBB1616_1474
.LBB1616_1384:                          ; =>This Loop Header: Depth=1
                                        ;     Child Loop BB1616_1388 Depth 2
                                        ;       Child Loop BB1616_1391 Depth 3
                                        ;     Child Loop BB1616_1403 Depth 2
                                        ;     Child Loop BB1616_1412 Depth 2
                                        ;     Child Loop BB1616_1422 Depth 2
                                        ;     Child Loop BB1616_1432 Depth 2
                                        ;     Child Loop BB1616_1442 Depth 2
                                        ;     Child Loop BB1616_1452 Depth 2
                                        ;     Child Loop BB1616_1462 Depth 2
                                        ;     Child Loop BB1616_1472 Depth 2
	s_mov_b32 s12, s68
	s_lshl_b32 s68, s68, 1
	s_sub_i32 s16, 0, s68
	v_and_b32_e32 v31, s16, v30
	v_add_u32_e32 v1, s12, v31
	v_min_u32_e32 v70, v1, v0
	s_add_i32 s13, s68, -1
	v_add_u32_e32 v1, s12, v70
	v_min_u32_e32 v1, v1, v0
	v_and_b32_e32 v66, s13, v30
	v_min_u32_e32 v100, v66, v0
	v_sub_u32_e32 v66, v70, v31
	v_sub_u32_e32 v71, v1, v70
	v_sub_u32_e64 v101, v100, v71 clamp
	v_min_u32_e32 v102, v100, v66
	v_cmp_lt_u32_e64 s[12:13], v101, v102
	flat_store_dwordx4 v[68:69], v[24:27]
	flat_store_dwordx4 v[68:69], v[20:23] offset:16
	flat_store_dwordx4 v[68:69], v[16:19] offset:32
	;; [unrolled: 1-line block ×3, first 2 shown]
	s_waitcnt lgkmcnt(0)
	s_barrier
	s_and_saveexec_b64 s[24:25], s[12:13]
	s_cbranch_execz .LBB1616_1394
; %bb.1385:                             ;   in Loop: Header=BB1616_1384 Depth=1
	v_lshlrev_b32_e32 v66, 3, v31
	v_mov_b32_e32 v71, v67
	v_lshl_add_u64 v[80:81], v[10:11], 0, v[66:67]
	v_lshl_add_u64 v[82:83], v[70:71], 3, v[10:11]
	s_mov_b64 s[26:27], 0
	s_branch .LBB1616_1388
.LBB1616_1386:                          ;   in Loop: Header=BB1616_1388 Depth=2
	s_or_b64 exec, exec, s[34:35]
	s_and_b64 s[12:13], s[36:37], exec
.LBB1616_1387:                          ;   in Loop: Header=BB1616_1388 Depth=2
	s_or_b64 exec, exec, s[28:29]
	v_add_u32_e32 v66, 1, v84
	v_cndmask_b32_e64 v102, v102, v84, s[12:13]
	v_cndmask_b32_e64 v101, v66, v101, s[12:13]
	v_cmp_ge_u32_e64 s[12:13], v101, v102
	s_or_b64 s[26:27], s[12:13], s[26:27]
	s_andn2_b64 exec, exec, s[26:27]
	s_cbranch_execz .LBB1616_1393
.LBB1616_1388:                          ;   Parent Loop BB1616_1384 Depth=1
                                        ; =>  This Loop Header: Depth=2
                                        ;       Child Loop BB1616_1391 Depth 3
	v_add_u32_e32 v66, v102, v101
	v_lshrrev_b32_e32 v84, 1, v66
	s_mov_b64 s[12:13], 0
	s_and_saveexec_b64 s[28:29], s[8:9]
	s_cbranch_execz .LBB1616_1387
; %bb.1389:                             ;   in Loop: Header=BB1616_1388 Depth=2
	v_mov_b32_e32 v85, v67
	v_xad_u32 v66, v84, -1, v100
	v_lshl_add_u64 v[86:87], v[84:85], 3, v[80:81]
	v_lshl_add_u64 v[96:97], v[66:67], 3, v[82:83]
	flat_load_dwordx2 v[86:87], v[86:87]
	s_mov_b64 s[34:35], 0
	flat_load_dwordx2 v[96:97], v[96:97]
                                        ; implicit-def: $sgpr36_sgpr37
                                        ; implicit-def: $sgpr42_sgpr43
                                        ; implicit-def: $sgpr44_sgpr45
                                        ; implicit-def: $sgpr16_sgpr17
                                        ; implicit-def: $sgpr46_sgpr47
	s_waitcnt vmcnt(0) lgkmcnt(0)
	v_mul_lo_u32 v66, v64, v87
	v_mul_lo_u32 v71, v65, v86
	v_mad_u64_u32 v[86:87], s[12:13], v64, v86, v[8:9]
	v_mul_lo_u32 v85, v64, v97
	v_mul_lo_u32 v98, v65, v96
	v_mad_u64_u32 v[96:97], s[12:13], v64, v96, v[8:9]
	v_add3_u32 v87, v71, v87, v66
	v_add3_u32 v97, v98, v97, v85
	v_mov_b64_e32 v[98:99], v[6:7]
	s_branch .LBB1616_1391
.LBB1616_1390:                          ;   in Loop: Header=BB1616_1391 Depth=3
	s_or_b64 exec, exec, s[48:49]
	s_and_b64 s[12:13], exec, s[42:43]
	s_or_b64 s[34:35], s[12:13], s[34:35]
	s_andn2_b64 s[12:13], s[46:47], exec
	s_and_b64 s[18:19], s[44:45], exec
	s_or_b64 s[46:47], s[12:13], s[18:19]
	s_andn2_b64 s[12:13], s[36:37], exec
	s_and_b64 s[18:19], s[16:17], exec
	s_or_b64 s[36:37], s[12:13], s[18:19]
	s_andn2_b64 exec, exec, s[34:35]
	s_cbranch_execz .LBB1616_1386
.LBB1616_1391:                          ;   Parent Loop BB1616_1384 Depth=1
                                        ;     Parent Loop BB1616_1388 Depth=2
                                        ; =>    This Inner Loop Header: Depth=3
	flat_load_dwordx2 v[112:113], v[96:97]
	flat_load_dwordx2 v[114:115], v[86:87]
	s_andn2_b64 s[48:49], s[16:17], exec
	s_andn2_b64 s[44:45], s[44:45], exec
	s_or_b64 s[42:43], s[42:43], exec
	s_waitcnt vmcnt(0) lgkmcnt(0)
	v_cmp_le_u64_e64 s[16:17], v[112:113], v[114:115]
	v_cmp_lt_u64_e64 s[12:13], v[112:113], v[114:115]
	s_and_b64 s[16:17], s[16:17], s[46:47]
	s_or_b64 s[50:51], s[12:13], s[16:17]
	s_and_b64 s[12:13], s[50:51], exec
	v_cmp_eq_u64_e64 s[18:19], v[112:113], v[114:115]
	s_or_b64 s[16:17], s[48:49], s[12:13]
	s_and_saveexec_b64 s[48:49], s[18:19]
	s_cbranch_execz .LBB1616_1390
; %bb.1392:                             ;   in Loop: Header=BB1616_1391 Depth=3
	v_lshl_add_u64 v[98:99], v[98:99], 0, -1
	v_cmp_eq_u64_e64 s[12:13], 0, v[98:99]
	s_andn2_b64 s[18:19], s[44:45], exec
	s_and_b64 s[44:45], s[50:51], exec
	s_or_b64 s[44:45], s[18:19], s[44:45]
	s_andn2_b64 s[18:19], s[42:43], exec
	s_and_b64 s[12:13], s[12:13], exec
	v_lshl_add_u64 v[86:87], v[86:87], 0, 8
	v_lshl_add_u64 v[96:97], v[96:97], 0, 8
	s_andn2_b64 s[16:17], s[16:17], exec
	s_or_b64 s[42:43], s[18:19], s[12:13]
                                        ; implicit-def: $sgpr46_sgpr47
	s_branch .LBB1616_1390
.LBB1616_1393:                          ;   in Loop: Header=BB1616_1384 Depth=1
	s_or_b64 exec, exec, s[26:27]
.LBB1616_1394:                          ;   in Loop: Header=BB1616_1384 Depth=1
	s_or_b64 exec, exec, s[24:25]
	v_sub_u32_e32 v66, v100, v101
	v_add_u32_e32 v80, v101, v31
	v_add_u32_e32 v82, v66, v70
	v_cmp_le_u32_e64 s[12:13], v80, v70
	v_cmp_le_u32_e64 s[16:17], v82, v1
	s_or_b64 s[12:13], s[12:13], s[16:17]
	s_and_saveexec_b64 s[24:25], s[12:13]
	s_cbranch_execz .LBB1616_1383
; %bb.1395:                             ;   in Loop: Header=BB1616_1384 Depth=1
	v_cmp_ge_u32_e64 s[16:17], v80, v70
	v_cmp_lt_u32_e64 s[12:13], v80, v70
                                        ; implicit-def: $vgpr12_vgpr13
	s_and_saveexec_b64 s[18:19], s[12:13]
	s_cbranch_execz .LBB1616_1397
; %bb.1396:                             ;   in Loop: Header=BB1616_1384 Depth=1
	v_mov_b32_e32 v81, v67
	v_lshl_add_u64 v[12:13], v[80:81], 3, v[10:11]
	flat_load_dwordx2 v[12:13], v[12:13]
.LBB1616_1397:                          ;   in Loop: Header=BB1616_1384 Depth=1
	s_or_b64 exec, exec, s[18:19]
	v_cmp_ge_u32_e64 s[26:27], v82, v1
	v_cmp_lt_u32_e64 s[12:13], v82, v1
                                        ; implicit-def: $vgpr24_vgpr25
	s_and_saveexec_b64 s[18:19], s[12:13]
	s_cbranch_execz .LBB1616_1399
; %bb.1398:                             ;   in Loop: Header=BB1616_1384 Depth=1
	v_mov_b32_e32 v83, v67
	v_lshl_add_u64 v[14:15], v[82:83], 3, v[10:11]
	flat_load_dwordx2 v[24:25], v[14:15]
.LBB1616_1399:                          ;   in Loop: Header=BB1616_1384 Depth=1
	s_or_b64 exec, exec, s[18:19]
	s_or_b64 s[12:13], s[16:17], s[26:27]
	s_xor_b64 s[12:13], s[12:13], -1
	s_and_saveexec_b64 s[28:29], s[12:13]
	s_cbranch_execz .LBB1616_1407
; %bb.1400:                             ;   in Loop: Header=BB1616_1384 Depth=1
	s_mov_b64 s[12:13], 0
	s_and_saveexec_b64 s[34:35], s[8:9]
	s_cbranch_execz .LBB1616_1406
; %bb.1401:                             ;   in Loop: Header=BB1616_1384 Depth=1
	s_waitcnt vmcnt(0) lgkmcnt(0)
	v_mad_u64_u32 v[14:15], s[12:13], v64, v12, v[8:9]
	v_mul_lo_u32 v16, v64, v13
	v_mul_lo_u32 v17, v65, v12
	v_add3_u32 v15, v17, v15, v16
	v_mad_u64_u32 v[16:17], s[12:13], v64, v24, v[8:9]
	v_mul_lo_u32 v18, v64, v25
	v_mul_lo_u32 v19, v65, v24
	v_add3_u32 v17, v19, v17, v18
	s_mov_b64 s[36:37], 0
	v_mov_b64_e32 v[18:19], v[6:7]
                                        ; implicit-def: $sgpr42_sgpr43
                                        ; implicit-def: $sgpr44_sgpr45
                                        ; implicit-def: $sgpr46_sgpr47
                                        ; implicit-def: $sgpr16_sgpr17
                                        ; implicit-def: $sgpr48_sgpr49
	s_branch .LBB1616_1403
.LBB1616_1402:                          ;   in Loop: Header=BB1616_1403 Depth=2
	s_or_b64 exec, exec, s[50:51]
	s_and_b64 s[12:13], exec, s[44:45]
	s_or_b64 s[36:37], s[12:13], s[36:37]
	s_andn2_b64 s[12:13], s[48:49], exec
	s_and_b64 s[18:19], s[46:47], exec
	s_or_b64 s[48:49], s[12:13], s[18:19]
	s_andn2_b64 s[12:13], s[42:43], exec
	s_and_b64 s[18:19], s[16:17], exec
	s_or_b64 s[42:43], s[12:13], s[18:19]
	s_andn2_b64 exec, exec, s[36:37]
	s_cbranch_execz .LBB1616_1405
.LBB1616_1403:                          ;   Parent Loop BB1616_1384 Depth=1
                                        ; =>  This Inner Loop Header: Depth=2
	flat_load_dwordx2 v[20:21], v[16:17]
	flat_load_dwordx2 v[22:23], v[14:15]
	s_andn2_b64 s[50:51], s[16:17], exec
	s_andn2_b64 s[46:47], s[46:47], exec
	s_or_b64 s[44:45], s[44:45], exec
	s_waitcnt vmcnt(0) lgkmcnt(0)
	v_cmp_le_u64_e64 s[16:17], v[20:21], v[22:23]
	v_cmp_lt_u64_e64 s[12:13], v[20:21], v[22:23]
	s_and_b64 s[16:17], s[16:17], s[48:49]
	s_or_b64 s[52:53], s[12:13], s[16:17]
	s_and_b64 s[12:13], s[52:53], exec
	v_cmp_eq_u64_e64 s[18:19], v[20:21], v[22:23]
	s_or_b64 s[16:17], s[50:51], s[12:13]
	s_and_saveexec_b64 s[50:51], s[18:19]
	s_cbranch_execz .LBB1616_1402
; %bb.1404:                             ;   in Loop: Header=BB1616_1403 Depth=2
	v_lshl_add_u64 v[18:19], v[18:19], 0, -1
	v_cmp_eq_u64_e64 s[12:13], 0, v[18:19]
	s_andn2_b64 s[18:19], s[46:47], exec
	s_and_b64 s[46:47], s[52:53], exec
	s_or_b64 s[46:47], s[18:19], s[46:47]
	s_andn2_b64 s[18:19], s[44:45], exec
	s_and_b64 s[12:13], s[12:13], exec
	v_lshl_add_u64 v[14:15], v[14:15], 0, 8
	v_lshl_add_u64 v[16:17], v[16:17], 0, 8
	s_andn2_b64 s[16:17], s[16:17], exec
	s_or_b64 s[44:45], s[18:19], s[12:13]
                                        ; implicit-def: $sgpr48_sgpr49
	s_branch .LBB1616_1402
.LBB1616_1405:                          ;   in Loop: Header=BB1616_1384 Depth=1
	s_or_b64 exec, exec, s[36:37]
	s_and_b64 s[12:13], s[42:43], exec
.LBB1616_1406:                          ;   in Loop: Header=BB1616_1384 Depth=1
	s_or_b64 exec, exec, s[34:35]
	s_xor_b64 s[12:13], s[12:13], -1
	s_andn2_b64 s[16:17], s[26:27], exec
	s_and_b64 s[12:13], s[12:13], exec
	s_or_b64 s[26:27], s[16:17], s[12:13]
.LBB1616_1407:                          ;   in Loop: Header=BB1616_1384 Depth=1
	s_or_b64 exec, exec, s[28:29]
	v_cndmask_b32_e64 v14, v82, v80, s[26:27]
	v_cndmask_b32_e64 v15, v1, v70, s[26:27]
	v_add_u32_e32 v16, 1, v14
	v_add_u32_e32 v14, -1, v15
	v_min_u32_e32 v66, v16, v14
	v_lshl_add_u64 v[14:15], v[66:67], 3, v[10:11]
	flat_load_dwordx2 v[14:15], v[14:15]
	v_cndmask_b32_e64 v20, v16, v82, s[26:27]
	s_mov_b64 s[28:29], -1
	v_cndmask_b32_e64 v21, v80, v16, s[26:27]
	v_cmp_lt_u32_e64 s[12:13], v20, v1
	s_mov_b64 s[34:35], -1
	s_waitcnt vmcnt(0) lgkmcnt(0)
	v_cndmask_b32_e64 v26, v15, v25, s[26:27]
	v_cndmask_b32_e64 v31, v14, v24, s[26:27]
	;; [unrolled: 1-line block ×4, first 2 shown]
	s_and_saveexec_b64 s[36:37], s[12:13]
	s_cbranch_execz .LBB1616_1417
; %bb.1408:                             ;   in Loop: Header=BB1616_1384 Depth=1
	v_cmp_lt_u32_e64 s[12:13], v21, v70
	s_mov_b64 s[16:17], 0
	s_and_saveexec_b64 s[34:35], s[12:13]
	s_cbranch_execz .LBB1616_1416
; %bb.1409:                             ;   in Loop: Header=BB1616_1384 Depth=1
	s_mov_b64 s[12:13], 0
	s_and_saveexec_b64 s[42:43], s[8:9]
	s_cbranch_execz .LBB1616_1415
; %bb.1410:                             ;   in Loop: Header=BB1616_1384 Depth=1
	v_mad_u64_u32 v[14:15], s[12:13], v64, v71, v[8:9]
	v_mul_lo_u32 v16, v64, v27
	v_mul_lo_u32 v17, v65, v71
	v_add3_u32 v15, v17, v15, v16
	v_mad_u64_u32 v[16:17], s[12:13], v64, v31, v[8:9]
	v_mul_lo_u32 v18, v64, v26
	v_mul_lo_u32 v19, v65, v31
	v_add3_u32 v17, v19, v17, v18
	s_mov_b64 s[44:45], 0
	v_mov_b64_e32 v[18:19], v[6:7]
                                        ; implicit-def: $sgpr46_sgpr47
                                        ; implicit-def: $sgpr48_sgpr49
                                        ; implicit-def: $sgpr50_sgpr51
                                        ; implicit-def: $sgpr16_sgpr17
                                        ; implicit-def: $sgpr52_sgpr53
	s_branch .LBB1616_1412
.LBB1616_1411:                          ;   in Loop: Header=BB1616_1412 Depth=2
	s_or_b64 exec, exec, s[54:55]
	s_and_b64 s[12:13], exec, s[48:49]
	s_or_b64 s[44:45], s[12:13], s[44:45]
	s_andn2_b64 s[12:13], s[52:53], exec
	s_and_b64 s[18:19], s[50:51], exec
	s_or_b64 s[52:53], s[12:13], s[18:19]
	s_andn2_b64 s[12:13], s[46:47], exec
	s_and_b64 s[18:19], s[16:17], exec
	s_or_b64 s[46:47], s[12:13], s[18:19]
	s_andn2_b64 exec, exec, s[44:45]
	s_cbranch_execz .LBB1616_1414
.LBB1616_1412:                          ;   Parent Loop BB1616_1384 Depth=1
                                        ; =>  This Inner Loop Header: Depth=2
	flat_load_dwordx2 v[22:23], v[16:17]
	flat_load_dwordx2 v[80:81], v[14:15]
	s_andn2_b64 s[54:55], s[16:17], exec
	s_andn2_b64 s[50:51], s[50:51], exec
	s_or_b64 s[48:49], s[48:49], exec
	s_waitcnt vmcnt(0) lgkmcnt(0)
	v_cmp_le_u64_e64 s[16:17], v[22:23], v[80:81]
	v_cmp_lt_u64_e64 s[12:13], v[22:23], v[80:81]
	s_and_b64 s[16:17], s[16:17], s[52:53]
	s_or_b64 s[56:57], s[12:13], s[16:17]
	s_and_b64 s[12:13], s[56:57], exec
	v_cmp_eq_u64_e64 s[18:19], v[22:23], v[80:81]
	s_or_b64 s[16:17], s[54:55], s[12:13]
	s_and_saveexec_b64 s[54:55], s[18:19]
	s_cbranch_execz .LBB1616_1411
; %bb.1413:                             ;   in Loop: Header=BB1616_1412 Depth=2
	v_lshl_add_u64 v[18:19], v[18:19], 0, -1
	v_cmp_eq_u64_e64 s[12:13], 0, v[18:19]
	s_andn2_b64 s[18:19], s[50:51], exec
	s_and_b64 s[50:51], s[56:57], exec
	s_or_b64 s[50:51], s[18:19], s[50:51]
	s_andn2_b64 s[18:19], s[48:49], exec
	s_and_b64 s[12:13], s[12:13], exec
	v_lshl_add_u64 v[14:15], v[14:15], 0, 8
	v_lshl_add_u64 v[16:17], v[16:17], 0, 8
	s_andn2_b64 s[16:17], s[16:17], exec
	s_or_b64 s[48:49], s[18:19], s[12:13]
                                        ; implicit-def: $sgpr52_sgpr53
	s_branch .LBB1616_1411
.LBB1616_1414:                          ;   in Loop: Header=BB1616_1384 Depth=1
	s_or_b64 exec, exec, s[44:45]
	s_and_b64 s[12:13], s[46:47], exec
.LBB1616_1415:                          ;   in Loop: Header=BB1616_1384 Depth=1
	s_or_b64 exec, exec, s[42:43]
	s_xor_b64 s[12:13], s[12:13], -1
	s_and_b64 s[16:17], s[12:13], exec
.LBB1616_1416:                          ;   in Loop: Header=BB1616_1384 Depth=1
	s_or_b64 exec, exec, s[34:35]
	s_orn2_b64 s[34:35], s[16:17], exec
.LBB1616_1417:                          ;   in Loop: Header=BB1616_1384 Depth=1
	s_or_b64 exec, exec, s[36:37]
	v_cndmask_b32_e64 v14, v20, v21, s[34:35]
	v_cndmask_b32_e64 v15, v1, v70, s[34:35]
	v_add_u32_e32 v16, 1, v14
	v_add_u32_e32 v14, -1, v15
	v_min_u32_e32 v66, v16, v14
	v_lshl_add_u64 v[14:15], v[66:67], 3, v[10:11]
	flat_load_dwordx2 v[14:15], v[14:15]
	v_cndmask_b32_e64 v20, v16, v20, s[34:35]
	v_cndmask_b32_e64 v21, v21, v16, s[34:35]
	v_cmp_lt_u32_e64 s[12:13], v20, v1
	s_waitcnt vmcnt(0) lgkmcnt(0)
	v_cndmask_b32_e64 v80, v15, v26, s[34:35]
	v_cndmask_b32_e64 v81, v14, v31, s[34:35]
	;; [unrolled: 1-line block ×4, first 2 shown]
	s_and_saveexec_b64 s[36:37], s[12:13]
	s_cbranch_execz .LBB1616_1427
; %bb.1418:                             ;   in Loop: Header=BB1616_1384 Depth=1
	v_cmp_lt_u32_e64 s[12:13], v21, v70
	s_mov_b64 s[16:17], 0
	s_and_saveexec_b64 s[28:29], s[12:13]
	s_cbranch_execz .LBB1616_1426
; %bb.1419:                             ;   in Loop: Header=BB1616_1384 Depth=1
	s_mov_b64 s[12:13], 0
	s_and_saveexec_b64 s[42:43], s[8:9]
	s_cbranch_execz .LBB1616_1425
; %bb.1420:                             ;   in Loop: Header=BB1616_1384 Depth=1
	v_mad_u64_u32 v[14:15], s[12:13], v64, v83, v[8:9]
	v_mul_lo_u32 v16, v64, v82
	v_mul_lo_u32 v17, v65, v83
	v_add3_u32 v15, v17, v15, v16
	v_mad_u64_u32 v[16:17], s[12:13], v64, v81, v[8:9]
	v_mul_lo_u32 v18, v64, v80
	v_mul_lo_u32 v19, v65, v81
	v_add3_u32 v17, v19, v17, v18
	s_mov_b64 s[44:45], 0
	v_mov_b64_e32 v[18:19], v[6:7]
                                        ; implicit-def: $sgpr46_sgpr47
                                        ; implicit-def: $sgpr48_sgpr49
                                        ; implicit-def: $sgpr50_sgpr51
                                        ; implicit-def: $sgpr16_sgpr17
                                        ; implicit-def: $sgpr52_sgpr53
	s_branch .LBB1616_1422
.LBB1616_1421:                          ;   in Loop: Header=BB1616_1422 Depth=2
	s_or_b64 exec, exec, s[54:55]
	s_and_b64 s[12:13], exec, s[48:49]
	s_or_b64 s[44:45], s[12:13], s[44:45]
	s_andn2_b64 s[12:13], s[52:53], exec
	s_and_b64 s[18:19], s[50:51], exec
	s_or_b64 s[52:53], s[12:13], s[18:19]
	s_andn2_b64 s[12:13], s[46:47], exec
	s_and_b64 s[18:19], s[16:17], exec
	s_or_b64 s[46:47], s[12:13], s[18:19]
	s_andn2_b64 exec, exec, s[44:45]
	s_cbranch_execz .LBB1616_1424
.LBB1616_1422:                          ;   Parent Loop BB1616_1384 Depth=1
                                        ; =>  This Inner Loop Header: Depth=2
	flat_load_dwordx2 v[22:23], v[16:17]
	flat_load_dwordx2 v[84:85], v[14:15]
	s_andn2_b64 s[54:55], s[16:17], exec
	s_andn2_b64 s[50:51], s[50:51], exec
	s_or_b64 s[48:49], s[48:49], exec
	s_waitcnt vmcnt(0) lgkmcnt(0)
	v_cmp_le_u64_e64 s[16:17], v[22:23], v[84:85]
	v_cmp_lt_u64_e64 s[12:13], v[22:23], v[84:85]
	s_and_b64 s[16:17], s[16:17], s[52:53]
	s_or_b64 s[56:57], s[12:13], s[16:17]
	s_and_b64 s[12:13], s[56:57], exec
	v_cmp_eq_u64_e64 s[18:19], v[22:23], v[84:85]
	s_or_b64 s[16:17], s[54:55], s[12:13]
	s_and_saveexec_b64 s[54:55], s[18:19]
	s_cbranch_execz .LBB1616_1421
; %bb.1423:                             ;   in Loop: Header=BB1616_1422 Depth=2
	v_lshl_add_u64 v[18:19], v[18:19], 0, -1
	v_cmp_eq_u64_e64 s[12:13], 0, v[18:19]
	s_andn2_b64 s[18:19], s[50:51], exec
	s_and_b64 s[50:51], s[56:57], exec
	s_or_b64 s[50:51], s[18:19], s[50:51]
	s_andn2_b64 s[18:19], s[48:49], exec
	s_and_b64 s[12:13], s[12:13], exec
	v_lshl_add_u64 v[14:15], v[14:15], 0, 8
	v_lshl_add_u64 v[16:17], v[16:17], 0, 8
	s_andn2_b64 s[16:17], s[16:17], exec
	s_or_b64 s[48:49], s[18:19], s[12:13]
                                        ; implicit-def: $sgpr52_sgpr53
	s_branch .LBB1616_1421
.LBB1616_1424:                          ;   in Loop: Header=BB1616_1384 Depth=1
	s_or_b64 exec, exec, s[44:45]
	s_and_b64 s[12:13], s[46:47], exec
.LBB1616_1425:                          ;   in Loop: Header=BB1616_1384 Depth=1
	s_or_b64 exec, exec, s[42:43]
	s_xor_b64 s[12:13], s[12:13], -1
	s_and_b64 s[16:17], s[12:13], exec
.LBB1616_1426:                          ;   in Loop: Header=BB1616_1384 Depth=1
	s_or_b64 exec, exec, s[28:29]
	s_orn2_b64 s[28:29], s[16:17], exec
.LBB1616_1427:                          ;   in Loop: Header=BB1616_1384 Depth=1
	s_or_b64 exec, exec, s[36:37]
	v_cndmask_b32_e64 v14, v20, v21, s[28:29]
	v_cndmask_b32_e64 v15, v1, v70, s[28:29]
	v_add_u32_e32 v16, 1, v14
	v_add_u32_e32 v14, -1, v15
	v_min_u32_e32 v66, v16, v14
	v_lshl_add_u64 v[14:15], v[66:67], 3, v[10:11]
	flat_load_dwordx2 v[14:15], v[14:15]
	v_cndmask_b32_e64 v20, v16, v20, s[28:29]
	s_mov_b64 s[36:37], -1
	v_cndmask_b32_e64 v21, v21, v16, s[28:29]
	v_cmp_lt_u32_e64 s[12:13], v20, v1
	s_mov_b64 s[42:43], -1
	s_waitcnt vmcnt(0) lgkmcnt(0)
	v_cndmask_b32_e64 v84, v15, v80, s[28:29]
	v_cndmask_b32_e64 v85, v14, v81, s[28:29]
	;; [unrolled: 1-line block ×4, first 2 shown]
	s_and_saveexec_b64 s[44:45], s[12:13]
	s_cbranch_execz .LBB1616_1437
; %bb.1428:                             ;   in Loop: Header=BB1616_1384 Depth=1
	v_cmp_lt_u32_e64 s[12:13], v21, v70
	s_mov_b64 s[16:17], 0
	s_and_saveexec_b64 s[42:43], s[12:13]
	s_cbranch_execz .LBB1616_1436
; %bb.1429:                             ;   in Loop: Header=BB1616_1384 Depth=1
	s_mov_b64 s[12:13], -1
	s_and_saveexec_b64 s[46:47], s[8:9]
	s_cbranch_execz .LBB1616_1435
; %bb.1430:                             ;   in Loop: Header=BB1616_1384 Depth=1
	v_mad_u64_u32 v[14:15], s[12:13], v64, v87, v[8:9]
	v_mul_lo_u32 v16, v64, v86
	v_mul_lo_u32 v17, v65, v87
	v_add3_u32 v15, v17, v15, v16
	v_mad_u64_u32 v[16:17], s[12:13], v64, v85, v[8:9]
	v_mul_lo_u32 v18, v64, v84
	v_mul_lo_u32 v19, v65, v85
	v_add3_u32 v17, v19, v17, v18
	s_mov_b64 s[48:49], 0
	v_mov_b64_e32 v[18:19], v[6:7]
                                        ; implicit-def: $sgpr50_sgpr51
                                        ; implicit-def: $sgpr52_sgpr53
                                        ; implicit-def: $sgpr16_sgpr17
                                        ; implicit-def: $sgpr54_sgpr55
                                        ; implicit-def: $sgpr56_sgpr57
	s_branch .LBB1616_1432
.LBB1616_1431:                          ;   in Loop: Header=BB1616_1432 Depth=2
	s_or_b64 exec, exec, s[58:59]
	s_and_b64 s[12:13], exec, s[52:53]
	s_or_b64 s[48:49], s[12:13], s[48:49]
	s_andn2_b64 s[12:13], s[56:57], exec
	s_and_b64 s[18:19], s[54:55], exec
	s_or_b64 s[56:57], s[12:13], s[18:19]
	s_andn2_b64 s[12:13], s[50:51], exec
	s_and_b64 s[18:19], s[16:17], exec
	s_or_b64 s[50:51], s[12:13], s[18:19]
	s_andn2_b64 exec, exec, s[48:49]
	s_cbranch_execz .LBB1616_1434
.LBB1616_1432:                          ;   Parent Loop BB1616_1384 Depth=1
                                        ; =>  This Inner Loop Header: Depth=2
	flat_load_dwordx2 v[22:23], v[16:17]
	flat_load_dwordx2 v[96:97], v[14:15]
	s_andn2_b64 s[58:59], s[16:17], exec
	s_andn2_b64 s[54:55], s[54:55], exec
	s_or_b64 s[52:53], s[52:53], exec
	s_waitcnt vmcnt(0) lgkmcnt(0)
	v_cmp_le_u64_e64 s[16:17], v[22:23], v[96:97]
	v_cmp_lt_u64_e64 s[12:13], v[22:23], v[96:97]
	s_and_b64 s[16:17], s[16:17], s[56:57]
	s_or_b64 s[60:61], s[12:13], s[16:17]
	s_and_b64 s[12:13], s[60:61], exec
	v_cmp_eq_u64_e64 s[18:19], v[22:23], v[96:97]
	s_or_b64 s[16:17], s[58:59], s[12:13]
	s_and_saveexec_b64 s[58:59], s[18:19]
	s_cbranch_execz .LBB1616_1431
; %bb.1433:                             ;   in Loop: Header=BB1616_1432 Depth=2
	v_lshl_add_u64 v[18:19], v[18:19], 0, -1
	v_cmp_eq_u64_e64 s[12:13], 0, v[18:19]
	s_andn2_b64 s[18:19], s[54:55], exec
	s_and_b64 s[54:55], s[60:61], exec
	s_or_b64 s[54:55], s[18:19], s[54:55]
	s_andn2_b64 s[18:19], s[52:53], exec
	s_and_b64 s[12:13], s[12:13], exec
	v_lshl_add_u64 v[14:15], v[14:15], 0, 8
	v_lshl_add_u64 v[16:17], v[16:17], 0, 8
	s_andn2_b64 s[16:17], s[16:17], exec
	s_or_b64 s[52:53], s[18:19], s[12:13]
                                        ; implicit-def: $sgpr56_sgpr57
	s_branch .LBB1616_1431
.LBB1616_1434:                          ;   in Loop: Header=BB1616_1384 Depth=1
	s_or_b64 exec, exec, s[48:49]
	s_xor_b64 s[12:13], s[50:51], -1
	s_orn2_b64 s[12:13], s[12:13], exec
.LBB1616_1435:                          ;   in Loop: Header=BB1616_1384 Depth=1
	s_or_b64 exec, exec, s[46:47]
	s_and_b64 s[16:17], s[12:13], exec
.LBB1616_1436:                          ;   in Loop: Header=BB1616_1384 Depth=1
	s_or_b64 exec, exec, s[42:43]
	s_orn2_b64 s[42:43], s[16:17], exec
.LBB1616_1437:                          ;   in Loop: Header=BB1616_1384 Depth=1
	s_or_b64 exec, exec, s[44:45]
	v_cndmask_b32_e64 v14, v20, v21, s[42:43]
	v_cndmask_b32_e64 v15, v1, v70, s[42:43]
	v_add_u32_e32 v16, 1, v14
	v_add_u32_e32 v14, -1, v15
	v_min_u32_e32 v66, v16, v14
	v_lshl_add_u64 v[14:15], v[66:67], 3, v[10:11]
	flat_load_dwordx2 v[14:15], v[14:15]
	v_cndmask_b32_e64 v20, v16, v20, s[42:43]
	v_cndmask_b32_e64 v21, v21, v16, s[42:43]
	v_cmp_lt_u32_e64 s[12:13], v20, v1
	s_waitcnt vmcnt(0) lgkmcnt(0)
	v_cndmask_b32_e64 v96, v15, v84, s[42:43]
	v_cndmask_b32_e64 v97, v14, v85, s[42:43]
	;; [unrolled: 1-line block ×4, first 2 shown]
	s_and_saveexec_b64 s[44:45], s[12:13]
	s_cbranch_execz .LBB1616_1447
; %bb.1438:                             ;   in Loop: Header=BB1616_1384 Depth=1
	v_cmp_lt_u32_e64 s[12:13], v21, v70
	s_mov_b64 s[16:17], 0
	s_and_saveexec_b64 s[36:37], s[12:13]
	s_cbranch_execz .LBB1616_1446
; %bb.1439:                             ;   in Loop: Header=BB1616_1384 Depth=1
	s_mov_b64 s[12:13], -1
	s_and_saveexec_b64 s[46:47], s[8:9]
	s_cbranch_execz .LBB1616_1445
; %bb.1440:                             ;   in Loop: Header=BB1616_1384 Depth=1
	v_mad_u64_u32 v[14:15], s[12:13], v64, v99, v[8:9]
	v_mul_lo_u32 v16, v64, v98
	v_mul_lo_u32 v17, v65, v99
	v_add3_u32 v15, v17, v15, v16
	v_mad_u64_u32 v[16:17], s[12:13], v64, v97, v[8:9]
	v_mul_lo_u32 v18, v64, v96
	v_mul_lo_u32 v19, v65, v97
	v_add3_u32 v17, v19, v17, v18
	s_mov_b64 s[48:49], 0
	v_mov_b64_e32 v[18:19], v[6:7]
                                        ; implicit-def: $sgpr50_sgpr51
                                        ; implicit-def: $sgpr52_sgpr53
                                        ; implicit-def: $sgpr16_sgpr17
                                        ; implicit-def: $sgpr54_sgpr55
                                        ; implicit-def: $sgpr56_sgpr57
	s_branch .LBB1616_1442
.LBB1616_1441:                          ;   in Loop: Header=BB1616_1442 Depth=2
	s_or_b64 exec, exec, s[58:59]
	s_and_b64 s[12:13], exec, s[52:53]
	s_or_b64 s[48:49], s[12:13], s[48:49]
	s_andn2_b64 s[12:13], s[56:57], exec
	s_and_b64 s[18:19], s[54:55], exec
	s_or_b64 s[56:57], s[12:13], s[18:19]
	s_andn2_b64 s[12:13], s[50:51], exec
	s_and_b64 s[18:19], s[16:17], exec
	s_or_b64 s[50:51], s[12:13], s[18:19]
	s_andn2_b64 exec, exec, s[48:49]
	s_cbranch_execz .LBB1616_1444
.LBB1616_1442:                          ;   Parent Loop BB1616_1384 Depth=1
                                        ; =>  This Inner Loop Header: Depth=2
	flat_load_dwordx2 v[22:23], v[16:17]
	flat_load_dwordx2 v[100:101], v[14:15]
	s_andn2_b64 s[58:59], s[16:17], exec
	s_andn2_b64 s[54:55], s[54:55], exec
	s_or_b64 s[52:53], s[52:53], exec
	s_waitcnt vmcnt(0) lgkmcnt(0)
	v_cmp_le_u64_e64 s[16:17], v[22:23], v[100:101]
	v_cmp_lt_u64_e64 s[12:13], v[22:23], v[100:101]
	s_and_b64 s[16:17], s[16:17], s[56:57]
	s_or_b64 s[60:61], s[12:13], s[16:17]
	s_and_b64 s[12:13], s[60:61], exec
	v_cmp_eq_u64_e64 s[18:19], v[22:23], v[100:101]
	s_or_b64 s[16:17], s[58:59], s[12:13]
	s_and_saveexec_b64 s[58:59], s[18:19]
	s_cbranch_execz .LBB1616_1441
; %bb.1443:                             ;   in Loop: Header=BB1616_1442 Depth=2
	v_lshl_add_u64 v[18:19], v[18:19], 0, -1
	v_cmp_eq_u64_e64 s[12:13], 0, v[18:19]
	s_andn2_b64 s[18:19], s[54:55], exec
	s_and_b64 s[54:55], s[60:61], exec
	s_or_b64 s[54:55], s[18:19], s[54:55]
	s_andn2_b64 s[18:19], s[52:53], exec
	s_and_b64 s[12:13], s[12:13], exec
	v_lshl_add_u64 v[14:15], v[14:15], 0, 8
	v_lshl_add_u64 v[16:17], v[16:17], 0, 8
	s_andn2_b64 s[16:17], s[16:17], exec
	s_or_b64 s[52:53], s[18:19], s[12:13]
                                        ; implicit-def: $sgpr56_sgpr57
	s_branch .LBB1616_1441
.LBB1616_1444:                          ;   in Loop: Header=BB1616_1384 Depth=1
	s_or_b64 exec, exec, s[48:49]
	s_xor_b64 s[12:13], s[50:51], -1
	s_orn2_b64 s[12:13], s[12:13], exec
.LBB1616_1445:                          ;   in Loop: Header=BB1616_1384 Depth=1
	s_or_b64 exec, exec, s[46:47]
	s_and_b64 s[16:17], s[12:13], exec
.LBB1616_1446:                          ;   in Loop: Header=BB1616_1384 Depth=1
	s_or_b64 exec, exec, s[36:37]
	s_orn2_b64 s[36:37], s[16:17], exec
.LBB1616_1447:                          ;   in Loop: Header=BB1616_1384 Depth=1
	s_or_b64 exec, exec, s[44:45]
	v_cndmask_b32_e64 v14, v20, v21, s[36:37]
	v_cndmask_b32_e64 v15, v1, v70, s[36:37]
	v_add_u32_e32 v16, 1, v14
	v_add_u32_e32 v14, -1, v15
	v_min_u32_e32 v66, v16, v14
	v_lshl_add_u64 v[14:15], v[66:67], 3, v[10:11]
	flat_load_dwordx2 v[14:15], v[14:15]
	v_cndmask_b32_e64 v20, v16, v20, s[36:37]
	s_mov_b64 s[44:45], -1
	v_cndmask_b32_e64 v21, v21, v16, s[36:37]
	v_cmp_lt_u32_e64 s[12:13], v20, v1
	s_mov_b64 s[46:47], -1
	s_waitcnt vmcnt(0) lgkmcnt(0)
	v_cndmask_b32_e64 v100, v15, v96, s[36:37]
	v_cndmask_b32_e64 v101, v14, v97, s[36:37]
	;; [unrolled: 1-line block ×4, first 2 shown]
	s_and_saveexec_b64 s[48:49], s[12:13]
	s_cbranch_execz .LBB1616_1457
; %bb.1448:                             ;   in Loop: Header=BB1616_1384 Depth=1
	v_cmp_lt_u32_e64 s[12:13], v21, v70
	s_mov_b64 s[16:17], 0
	s_and_saveexec_b64 s[46:47], s[12:13]
	s_cbranch_execz .LBB1616_1456
; %bb.1449:                             ;   in Loop: Header=BB1616_1384 Depth=1
	s_mov_b64 s[12:13], -1
	s_and_saveexec_b64 s[50:51], s[8:9]
	s_cbranch_execz .LBB1616_1455
; %bb.1450:                             ;   in Loop: Header=BB1616_1384 Depth=1
	v_mad_u64_u32 v[14:15], s[12:13], v64, v103, v[8:9]
	v_mul_lo_u32 v16, v64, v102
	v_mul_lo_u32 v17, v65, v103
	v_add3_u32 v15, v17, v15, v16
	v_mad_u64_u32 v[16:17], s[12:13], v64, v101, v[8:9]
	v_mul_lo_u32 v18, v64, v100
	v_mul_lo_u32 v19, v65, v101
	v_add3_u32 v17, v19, v17, v18
	s_mov_b64 s[52:53], 0
	v_mov_b64_e32 v[18:19], v[6:7]
                                        ; implicit-def: $sgpr54_sgpr55
                                        ; implicit-def: $sgpr56_sgpr57
                                        ; implicit-def: $sgpr16_sgpr17
                                        ; implicit-def: $sgpr58_sgpr59
                                        ; implicit-def: $sgpr60_sgpr61
	s_branch .LBB1616_1452
.LBB1616_1451:                          ;   in Loop: Header=BB1616_1452 Depth=2
	s_or_b64 exec, exec, s[62:63]
	s_and_b64 s[12:13], exec, s[56:57]
	s_or_b64 s[52:53], s[12:13], s[52:53]
	s_andn2_b64 s[12:13], s[60:61], exec
	s_and_b64 s[18:19], s[58:59], exec
	s_or_b64 s[60:61], s[12:13], s[18:19]
	s_andn2_b64 s[12:13], s[54:55], exec
	s_and_b64 s[18:19], s[16:17], exec
	s_or_b64 s[54:55], s[12:13], s[18:19]
	s_andn2_b64 exec, exec, s[52:53]
	s_cbranch_execz .LBB1616_1454
.LBB1616_1452:                          ;   Parent Loop BB1616_1384 Depth=1
                                        ; =>  This Inner Loop Header: Depth=2
	flat_load_dwordx2 v[22:23], v[16:17]
	flat_load_dwordx2 v[112:113], v[14:15]
	s_andn2_b64 s[62:63], s[16:17], exec
	s_andn2_b64 s[58:59], s[58:59], exec
	s_or_b64 s[56:57], s[56:57], exec
	s_waitcnt vmcnt(0) lgkmcnt(0)
	v_cmp_le_u64_e64 s[16:17], v[22:23], v[112:113]
	v_cmp_lt_u64_e64 s[12:13], v[22:23], v[112:113]
	s_and_b64 s[16:17], s[16:17], s[60:61]
	s_or_b64 s[64:65], s[12:13], s[16:17]
	s_and_b64 s[12:13], s[64:65], exec
	v_cmp_eq_u64_e64 s[18:19], v[22:23], v[112:113]
	s_or_b64 s[16:17], s[62:63], s[12:13]
	s_and_saveexec_b64 s[62:63], s[18:19]
	s_cbranch_execz .LBB1616_1451
; %bb.1453:                             ;   in Loop: Header=BB1616_1452 Depth=2
	v_lshl_add_u64 v[18:19], v[18:19], 0, -1
	v_cmp_eq_u64_e64 s[12:13], 0, v[18:19]
	s_andn2_b64 s[18:19], s[58:59], exec
	s_and_b64 s[58:59], s[64:65], exec
	s_or_b64 s[58:59], s[18:19], s[58:59]
	s_andn2_b64 s[18:19], s[56:57], exec
	s_and_b64 s[12:13], s[12:13], exec
	v_lshl_add_u64 v[14:15], v[14:15], 0, 8
	v_lshl_add_u64 v[16:17], v[16:17], 0, 8
	s_andn2_b64 s[16:17], s[16:17], exec
	s_or_b64 s[56:57], s[18:19], s[12:13]
                                        ; implicit-def: $sgpr60_sgpr61
	s_branch .LBB1616_1451
.LBB1616_1454:                          ;   in Loop: Header=BB1616_1384 Depth=1
	s_or_b64 exec, exec, s[52:53]
	s_xor_b64 s[12:13], s[54:55], -1
	s_orn2_b64 s[12:13], s[12:13], exec
.LBB1616_1455:                          ;   in Loop: Header=BB1616_1384 Depth=1
	s_or_b64 exec, exec, s[50:51]
	s_and_b64 s[16:17], s[12:13], exec
.LBB1616_1456:                          ;   in Loop: Header=BB1616_1384 Depth=1
	s_or_b64 exec, exec, s[46:47]
	s_orn2_b64 s[46:47], s[16:17], exec
.LBB1616_1457:                          ;   in Loop: Header=BB1616_1384 Depth=1
	s_or_b64 exec, exec, s[48:49]
	v_cndmask_b32_e64 v14, v20, v21, s[46:47]
	v_cndmask_b32_e64 v15, v1, v70, s[46:47]
	v_add_u32_e32 v16, 1, v14
	v_add_u32_e32 v14, -1, v15
	v_min_u32_e32 v66, v16, v14
	v_lshl_add_u64 v[14:15], v[66:67], 3, v[10:11]
	flat_load_dwordx2 v[14:15], v[14:15]
	v_cndmask_b32_e64 v22, v16, v20, s[46:47]
	v_cndmask_b32_e64 v20, v21, v16, s[46:47]
	v_cmp_lt_u32_e64 s[12:13], v22, v1
	s_waitcnt vmcnt(0) lgkmcnt(0)
	v_cndmask_b32_e64 v112, v15, v100, s[46:47]
	v_cndmask_b32_e64 v113, v14, v101, s[46:47]
	v_cndmask_b32_e64 v114, v102, v15, s[46:47]
	v_cndmask_b32_e64 v115, v103, v14, s[46:47]
	s_and_saveexec_b64 s[48:49], s[12:13]
	s_cbranch_execz .LBB1616_1467
; %bb.1458:                             ;   in Loop: Header=BB1616_1384 Depth=1
	v_cmp_lt_u32_e64 s[12:13], v20, v70
	s_mov_b64 s[16:17], 0
	s_and_saveexec_b64 s[44:45], s[12:13]
	s_cbranch_execz .LBB1616_1466
; %bb.1459:                             ;   in Loop: Header=BB1616_1384 Depth=1
	s_mov_b64 s[12:13], -1
	s_and_saveexec_b64 s[50:51], s[8:9]
	s_cbranch_execz .LBB1616_1465
; %bb.1460:                             ;   in Loop: Header=BB1616_1384 Depth=1
	v_mad_u64_u32 v[14:15], s[12:13], v64, v115, v[8:9]
	v_mul_lo_u32 v16, v64, v114
	v_mul_lo_u32 v17, v65, v115
	v_add3_u32 v15, v17, v15, v16
	v_mad_u64_u32 v[16:17], s[12:13], v64, v113, v[8:9]
	v_mul_lo_u32 v18, v64, v112
	v_mul_lo_u32 v19, v65, v113
	v_add3_u32 v17, v19, v17, v18
	s_mov_b64 s[52:53], 0
	v_mov_b64_e32 v[18:19], v[6:7]
                                        ; implicit-def: $sgpr54_sgpr55
                                        ; implicit-def: $sgpr56_sgpr57
                                        ; implicit-def: $sgpr16_sgpr17
                                        ; implicit-def: $sgpr58_sgpr59
                                        ; implicit-def: $sgpr60_sgpr61
	s_branch .LBB1616_1462
.LBB1616_1461:                          ;   in Loop: Header=BB1616_1462 Depth=2
	s_or_b64 exec, exec, s[62:63]
	s_and_b64 s[12:13], exec, s[56:57]
	s_or_b64 s[52:53], s[12:13], s[52:53]
	s_andn2_b64 s[12:13], s[60:61], exec
	s_and_b64 s[18:19], s[58:59], exec
	s_or_b64 s[60:61], s[12:13], s[18:19]
	s_andn2_b64 s[12:13], s[54:55], exec
	s_and_b64 s[18:19], s[16:17], exec
	s_or_b64 s[54:55], s[12:13], s[18:19]
	s_andn2_b64 exec, exec, s[52:53]
	s_cbranch_execz .LBB1616_1464
.LBB1616_1462:                          ;   Parent Loop BB1616_1384 Depth=1
                                        ; =>  This Inner Loop Header: Depth=2
	flat_load_dwordx2 v[116:117], v[16:17]
	flat_load_dwordx2 v[118:119], v[14:15]
	s_andn2_b64 s[62:63], s[16:17], exec
	s_andn2_b64 s[58:59], s[58:59], exec
	s_or_b64 s[56:57], s[56:57], exec
	s_waitcnt vmcnt(0) lgkmcnt(0)
	v_cmp_le_u64_e64 s[16:17], v[116:117], v[118:119]
	v_cmp_lt_u64_e64 s[12:13], v[116:117], v[118:119]
	s_and_b64 s[16:17], s[16:17], s[60:61]
	s_or_b64 s[64:65], s[12:13], s[16:17]
	s_and_b64 s[12:13], s[64:65], exec
	v_cmp_eq_u64_e64 s[18:19], v[116:117], v[118:119]
	s_or_b64 s[16:17], s[62:63], s[12:13]
	s_and_saveexec_b64 s[62:63], s[18:19]
	s_cbranch_execz .LBB1616_1461
; %bb.1463:                             ;   in Loop: Header=BB1616_1462 Depth=2
	v_lshl_add_u64 v[18:19], v[18:19], 0, -1
	v_cmp_eq_u64_e64 s[12:13], 0, v[18:19]
	s_andn2_b64 s[18:19], s[58:59], exec
	s_and_b64 s[58:59], s[64:65], exec
	s_or_b64 s[58:59], s[18:19], s[58:59]
	s_andn2_b64 s[18:19], s[56:57], exec
	s_and_b64 s[12:13], s[12:13], exec
	v_lshl_add_u64 v[14:15], v[14:15], 0, 8
	v_lshl_add_u64 v[16:17], v[16:17], 0, 8
	s_andn2_b64 s[16:17], s[16:17], exec
	s_or_b64 s[56:57], s[18:19], s[12:13]
                                        ; implicit-def: $sgpr60_sgpr61
	s_branch .LBB1616_1461
.LBB1616_1464:                          ;   in Loop: Header=BB1616_1384 Depth=1
	s_or_b64 exec, exec, s[52:53]
	s_xor_b64 s[12:13], s[54:55], -1
	s_orn2_b64 s[12:13], s[12:13], exec
.LBB1616_1465:                          ;   in Loop: Header=BB1616_1384 Depth=1
	s_or_b64 exec, exec, s[50:51]
	s_and_b64 s[16:17], s[12:13], exec
.LBB1616_1466:                          ;   in Loop: Header=BB1616_1384 Depth=1
	s_or_b64 exec, exec, s[44:45]
	s_orn2_b64 s[44:45], s[16:17], exec
.LBB1616_1467:                          ;   in Loop: Header=BB1616_1384 Depth=1
	s_or_b64 exec, exec, s[48:49]
	v_cndmask_b32_e64 v14, v22, v20, s[44:45]
	v_cndmask_b32_e64 v15, v1, v70, s[44:45]
	v_add_u32_e32 v18, 1, v14
	v_add_u32_e32 v14, -1, v15
	v_min_u32_e32 v66, v18, v14
	v_lshl_add_u64 v[14:15], v[66:67], 3, v[10:11]
	flat_load_dwordx2 v[16:17], v[14:15]
	v_cndmask_b32_e64 v19, v18, v22, s[44:45]
	v_cmp_lt_u32_e64 s[12:13], v19, v1
	s_waitcnt vmcnt(0) lgkmcnt(0)
	v_cndmask_b32_e64 v15, v114, v17, s[44:45]
	v_cndmask_b32_e64 v14, v115, v16, s[44:45]
	s_and_saveexec_b64 s[48:49], s[12:13]
	s_cbranch_execz .LBB1616_1382
; %bb.1468:                             ;   in Loop: Header=BB1616_1384 Depth=1
	v_cndmask_b32_e64 v1, v20, v18, s[44:45]
	v_cndmask_b32_e64 v17, v17, v112, s[44:45]
	;; [unrolled: 1-line block ×3, first 2 shown]
	v_cmp_lt_u32_e64 s[12:13], v1, v70
	s_and_saveexec_b64 s[50:51], s[12:13]
	s_cbranch_execz .LBB1616_1381
; %bb.1469:                             ;   in Loop: Header=BB1616_1384 Depth=1
	s_and_saveexec_b64 s[52:53], s[8:9]
	s_cbranch_execz .LBB1616_1380
; %bb.1470:                             ;   in Loop: Header=BB1616_1384 Depth=1
	v_mad_u64_u32 v[18:19], s[12:13], v64, v14, v[8:9]
	v_mul_lo_u32 v1, v64, v15
	v_mul_lo_u32 v20, v65, v14
	v_add3_u32 v19, v20, v19, v1
	v_mad_u64_u32 v[20:21], s[12:13], v64, v16, v[8:9]
	v_mul_lo_u32 v1, v64, v17
	v_mul_lo_u32 v22, v65, v16
	v_add3_u32 v21, v22, v21, v1
	s_mov_b64 s[54:55], 0
	v_mov_b64_e32 v[22:23], v[6:7]
                                        ; implicit-def: $sgpr56_sgpr57
                                        ; implicit-def: $sgpr58_sgpr59
                                        ; implicit-def: $sgpr16_sgpr17
                                        ; implicit-def: $sgpr60_sgpr61
                                        ; implicit-def: $sgpr62_sgpr63
	s_branch .LBB1616_1472
.LBB1616_1471:                          ;   in Loop: Header=BB1616_1472 Depth=2
	s_or_b64 exec, exec, s[64:65]
	s_and_b64 s[12:13], exec, s[58:59]
	s_or_b64 s[54:55], s[12:13], s[54:55]
	s_andn2_b64 s[12:13], s[62:63], exec
	s_and_b64 s[18:19], s[60:61], exec
	s_or_b64 s[62:63], s[12:13], s[18:19]
	s_andn2_b64 s[12:13], s[56:57], exec
	s_and_b64 s[18:19], s[16:17], exec
	s_or_b64 s[56:57], s[12:13], s[18:19]
	s_andn2_b64 exec, exec, s[54:55]
	s_cbranch_execz .LBB1616_1379
.LBB1616_1472:                          ;   Parent Loop BB1616_1384 Depth=1
                                        ; =>  This Inner Loop Header: Depth=2
	flat_load_dwordx2 v[116:117], v[20:21]
	flat_load_dwordx2 v[118:119], v[18:19]
	s_andn2_b64 s[64:65], s[16:17], exec
	s_andn2_b64 s[60:61], s[60:61], exec
	s_or_b64 s[58:59], s[58:59], exec
	s_waitcnt vmcnt(0) lgkmcnt(0)
	v_cmp_le_u64_e64 s[16:17], v[116:117], v[118:119]
	v_cmp_lt_u64_e64 s[12:13], v[116:117], v[118:119]
	s_and_b64 s[16:17], s[16:17], s[62:63]
	s_or_b64 s[66:67], s[12:13], s[16:17]
	s_and_b64 s[12:13], s[66:67], exec
	v_cmp_eq_u64_e64 s[18:19], v[116:117], v[118:119]
	s_or_b64 s[16:17], s[64:65], s[12:13]
	s_and_saveexec_b64 s[64:65], s[18:19]
	s_cbranch_execz .LBB1616_1471
; %bb.1473:                             ;   in Loop: Header=BB1616_1472 Depth=2
	v_lshl_add_u64 v[22:23], v[22:23], 0, -1
	v_cmp_eq_u64_e64 s[12:13], 0, v[22:23]
	s_andn2_b64 s[18:19], s[60:61], exec
	s_and_b64 s[60:61], s[66:67], exec
	s_or_b64 s[60:61], s[18:19], s[60:61]
	s_andn2_b64 s[18:19], s[58:59], exec
	s_and_b64 s[12:13], s[12:13], exec
	v_lshl_add_u64 v[18:19], v[18:19], 0, 8
	v_lshl_add_u64 v[20:21], v[20:21], 0, 8
	s_andn2_b64 s[16:17], s[16:17], exec
	s_or_b64 s[58:59], s[18:19], s[12:13]
                                        ; implicit-def: $sgpr62_sgpr63
	s_branch .LBB1616_1471
.LBB1616_1474:
	s_or_b64 exec, exec, s[22:23]
.LBB1616_1475:
	s_or_b64 exec, exec, s[20:21]
	s_barrier
	flat_store_dwordx4 v[54:55], v[24:27]
	flat_store_dwordx4 v[54:55], v[20:23] offset:16
	flat_store_dwordx4 v[54:55], v[16:19] offset:32
	flat_store_dwordx4 v[54:55], v[12:15] offset:48
	s_waitcnt lgkmcnt(0)
	s_barrier
	flat_load_dwordx2 v[18:19], v[32:33] offset:2048
	flat_load_dwordx2 v[16:17], v[34:35]
	flat_load_dwordx2 v[14:15], v[36:37]
	;; [unrolled: 1-line block ×6, first 2 shown]
	v_mov_b32_e32 v31, 0
	v_lshl_add_u64 v[8:9], v[4:5], 0, v[30:31]
	s_and_saveexec_b64 s[8:9], vcc
	s_cbranch_execnz .LBB1616_1484
; %bb.1476:
	s_or_b64 exec, exec, s[8:9]
	s_and_saveexec_b64 s[8:9], s[0:1]
	s_cbranch_execnz .LBB1616_1485
.LBB1616_1477:
	s_or_b64 exec, exec, s[8:9]
	s_and_saveexec_b64 s[0:1], s[2:3]
	s_cbranch_execnz .LBB1616_1486
.LBB1616_1478:
	s_or_b64 exec, exec, s[0:1]
	s_and_saveexec_b64 s[0:1], s[4:5]
	s_cbranch_execnz .LBB1616_1487
.LBB1616_1479:
	s_or_b64 exec, exec, s[0:1]
	s_and_saveexec_b64 s[0:1], s[6:7]
	s_cbranch_execnz .LBB1616_1488
.LBB1616_1480:
	s_or_b64 exec, exec, s[0:1]
	s_and_saveexec_b64 s[0:1], s[30:31]
	s_cbranch_execnz .LBB1616_1489
.LBB1616_1481:
	s_or_b64 exec, exec, s[0:1]
	s_and_saveexec_b64 s[0:1], s[10:11]
	s_cbranch_execz .LBB1616_1483
.LBB1616_1482:
	v_add_co_u32_e32 v2, vcc, 0x3000, v8
	s_nop 1
	v_addc_co_u32_e32 v3, vcc, 0, v9, vcc
	s_waitcnt vmcnt(0) lgkmcnt(0)
	flat_store_dwordx2 v[2:3], v[0:1]
.LBB1616_1483:
	s_or_b64 exec, exec, s[0:1]
	s_andn2_b64 s[0:1], s[38:39], exec
	s_and_b64 s[2:3], s[14:15], exec
	s_or_b64 s[38:39], s[0:1], s[2:3]
	s_or_b64 exec, exec, s[40:41]
	s_and_saveexec_b64 s[0:1], s[38:39]
	s_cbranch_execnz .LBB1616_3
	s_branch .LBB1616_4
.LBB1616_1484:
	flat_load_dwordx2 v[2:3], v[2:3]
	s_waitcnt vmcnt(0) lgkmcnt(0)
	flat_store_dwordx2 v[8:9], v[2:3]
	s_or_b64 exec, exec, s[8:9]
	s_and_saveexec_b64 s[8:9], s[0:1]
	s_cbranch_execz .LBB1616_1477
.LBB1616_1485:
	s_waitcnt vmcnt(0) lgkmcnt(0)
	flat_store_dwordx2 v[8:9], v[18:19] offset:2048
	s_or_b64 exec, exec, s[8:9]
	s_and_saveexec_b64 s[0:1], s[2:3]
	s_cbranch_execz .LBB1616_1478
.LBB1616_1486:
	v_add_co_u32_e32 v2, vcc, 0x1000, v8
	s_nop 1
	v_addc_co_u32_e32 v3, vcc, 0, v9, vcc
	s_waitcnt vmcnt(0) lgkmcnt(0)
	flat_store_dwordx2 v[2:3], v[16:17]
	s_or_b64 exec, exec, s[0:1]
	s_and_saveexec_b64 s[0:1], s[4:5]
	s_cbranch_execz .LBB1616_1479
.LBB1616_1487:
	v_add_co_u32_e32 v2, vcc, 0x1000, v8
	s_nop 1
	v_addc_co_u32_e32 v3, vcc, 0, v9, vcc
	s_waitcnt vmcnt(0) lgkmcnt(0)
	flat_store_dwordx2 v[2:3], v[14:15] offset:2048
	s_or_b64 exec, exec, s[0:1]
	s_and_saveexec_b64 s[0:1], s[6:7]
	s_cbranch_execz .LBB1616_1480
.LBB1616_1488:
	v_add_co_u32_e32 v2, vcc, 0x2000, v8
	s_nop 1
	v_addc_co_u32_e32 v3, vcc, 0, v9, vcc
	s_waitcnt vmcnt(0) lgkmcnt(0)
	flat_store_dwordx2 v[2:3], v[10:11]
	s_or_b64 exec, exec, s[0:1]
	s_and_saveexec_b64 s[0:1], s[30:31]
	s_cbranch_execz .LBB1616_1481
.LBB1616_1489:
	v_add_co_u32_e32 v2, vcc, 0x2000, v8
	s_nop 1
	v_addc_co_u32_e32 v3, vcc, 0, v9, vcc
	s_waitcnt vmcnt(0) lgkmcnt(0)
	flat_store_dwordx2 v[2:3], v[6:7] offset:2048
	s_or_b64 exec, exec, s[0:1]
	s_and_saveexec_b64 s[0:1], s[10:11]
	s_cbranch_execnz .LBB1616_1482
	s_branch .LBB1616_1483
.Lfunc_end1616:
	.size	_ZN7rocprim17ROCPRIM_400000_NS6detail15block_sort_implIlNS0_10empty_typeELj256ELj8ELNS0_4arch9wavefront6targetE1EvE4sortIPlS9_PS3_SA_ZN2at6native12_GLOBAL__N_124unique_dim_cuda_templateImEESt5tupleIJNSB_6TensorESG_SG_EERKSG_lbbbEUlllE_EEvjbT_T0_T1_T2_T3_RNS7_12storage_typeE, .Lfunc_end1616-_ZN7rocprim17ROCPRIM_400000_NS6detail15block_sort_implIlNS0_10empty_typeELj256ELj8ELNS0_4arch9wavefront6targetE1EvE4sortIPlS9_PS3_SA_ZN2at6native12_GLOBAL__N_124unique_dim_cuda_templateImEESt5tupleIJNSB_6TensorESG_SG_EERKSG_lbbbEUlllE_EEvjbT_T0_T1_T2_T3_RNS7_12storage_typeE
                                        ; -- End function
	.section	.AMDGPU.csdata,"",@progbits
; Function info:
; codeLenInByte = 67096
; NumSgprs: 75
; NumVgprs: 129
; NumAgprs: 0
; TotalNumVgprs: 129
; ScratchSize: 8
; MemoryBound: 1
	.section	.text._ZN7rocprim17ROCPRIM_400000_NS6detail17trampoline_kernelINS0_14default_configENS1_37merge_sort_block_sort_config_selectorIlNS0_10empty_typeEEEZNS1_21merge_sort_block_sortIS3_PlS8_PS5_S9_ZN2at6native12_GLOBAL__N_124unique_dim_cuda_templateImEESt5tupleIJNSA_6TensorESF_SF_EERKSF_lbbbEUlllE_EE10hipError_tT0_T1_T2_T3_mRjT4_P12ihipStream_tbNS1_7vsmem_tEEUlT_E_NS1_11comp_targetILNS1_3genE5ELNS1_11target_archE942ELNS1_3gpuE9ELNS1_3repE0EEENS1_30default_config_static_selectorELNS0_4arch9wavefront6targetE1EEEvSM_,"axG",@progbits,_ZN7rocprim17ROCPRIM_400000_NS6detail17trampoline_kernelINS0_14default_configENS1_37merge_sort_block_sort_config_selectorIlNS0_10empty_typeEEEZNS1_21merge_sort_block_sortIS3_PlS8_PS5_S9_ZN2at6native12_GLOBAL__N_124unique_dim_cuda_templateImEESt5tupleIJNSA_6TensorESF_SF_EERKSF_lbbbEUlllE_EE10hipError_tT0_T1_T2_T3_mRjT4_P12ihipStream_tbNS1_7vsmem_tEEUlT_E_NS1_11comp_targetILNS1_3genE5ELNS1_11target_archE942ELNS1_3gpuE9ELNS1_3repE0EEENS1_30default_config_static_selectorELNS0_4arch9wavefront6targetE1EEEvSM_,comdat
	.globl	_ZN7rocprim17ROCPRIM_400000_NS6detail17trampoline_kernelINS0_14default_configENS1_37merge_sort_block_sort_config_selectorIlNS0_10empty_typeEEEZNS1_21merge_sort_block_sortIS3_PlS8_PS5_S9_ZN2at6native12_GLOBAL__N_124unique_dim_cuda_templateImEESt5tupleIJNSA_6TensorESF_SF_EERKSF_lbbbEUlllE_EE10hipError_tT0_T1_T2_T3_mRjT4_P12ihipStream_tbNS1_7vsmem_tEEUlT_E_NS1_11comp_targetILNS1_3genE5ELNS1_11target_archE942ELNS1_3gpuE9ELNS1_3repE0EEENS1_30default_config_static_selectorELNS0_4arch9wavefront6targetE1EEEvSM_ ; -- Begin function _ZN7rocprim17ROCPRIM_400000_NS6detail17trampoline_kernelINS0_14default_configENS1_37merge_sort_block_sort_config_selectorIlNS0_10empty_typeEEEZNS1_21merge_sort_block_sortIS3_PlS8_PS5_S9_ZN2at6native12_GLOBAL__N_124unique_dim_cuda_templateImEESt5tupleIJNSA_6TensorESF_SF_EERKSF_lbbbEUlllE_EE10hipError_tT0_T1_T2_T3_mRjT4_P12ihipStream_tbNS1_7vsmem_tEEUlT_E_NS1_11comp_targetILNS1_3genE5ELNS1_11target_archE942ELNS1_3gpuE9ELNS1_3repE0EEENS1_30default_config_static_selectorELNS0_4arch9wavefront6targetE1EEEvSM_
	.p2align	8
	.type	_ZN7rocprim17ROCPRIM_400000_NS6detail17trampoline_kernelINS0_14default_configENS1_37merge_sort_block_sort_config_selectorIlNS0_10empty_typeEEEZNS1_21merge_sort_block_sortIS3_PlS8_PS5_S9_ZN2at6native12_GLOBAL__N_124unique_dim_cuda_templateImEESt5tupleIJNSA_6TensorESF_SF_EERKSF_lbbbEUlllE_EE10hipError_tT0_T1_T2_T3_mRjT4_P12ihipStream_tbNS1_7vsmem_tEEUlT_E_NS1_11comp_targetILNS1_3genE5ELNS1_11target_archE942ELNS1_3gpuE9ELNS1_3repE0EEENS1_30default_config_static_selectorELNS0_4arch9wavefront6targetE1EEEvSM_,@function
_ZN7rocprim17ROCPRIM_400000_NS6detail17trampoline_kernelINS0_14default_configENS1_37merge_sort_block_sort_config_selectorIlNS0_10empty_typeEEEZNS1_21merge_sort_block_sortIS3_PlS8_PS5_S9_ZN2at6native12_GLOBAL__N_124unique_dim_cuda_templateImEESt5tupleIJNSA_6TensorESF_SF_EERKSF_lbbbEUlllE_EE10hipError_tT0_T1_T2_T3_mRjT4_P12ihipStream_tbNS1_7vsmem_tEEUlT_E_NS1_11comp_targetILNS1_3genE5ELNS1_11target_archE942ELNS1_3gpuE9ELNS1_3repE0EEENS1_30default_config_static_selectorELNS0_4arch9wavefront6targetE1EEEvSM_: ; @_ZN7rocprim17ROCPRIM_400000_NS6detail17trampoline_kernelINS0_14default_configENS1_37merge_sort_block_sort_config_selectorIlNS0_10empty_typeEEEZNS1_21merge_sort_block_sortIS3_PlS8_PS5_S9_ZN2at6native12_GLOBAL__N_124unique_dim_cuda_templateImEESt5tupleIJNSA_6TensorESF_SF_EERKSF_lbbbEUlllE_EE10hipError_tT0_T1_T2_T3_mRjT4_P12ihipStream_tbNS1_7vsmem_tEEUlT_E_NS1_11comp_targetILNS1_3genE5ELNS1_11target_archE942ELNS1_3gpuE9ELNS1_3repE0EEENS1_30default_config_static_selectorELNS0_4arch9wavefront6targetE1EEEvSM_
; %bb.0:
	s_load_dwordx2 s[6:7], s[0:1], 0x48
	s_load_dword s5, s[0:1], 0x0
	s_mov_b32 s32, 0
	s_waitcnt lgkmcnt(0)
	s_mul_i32 s4, s7, s4
	s_add_i32 s4, s4, s3
	s_mul_i32 s4, s4, s6
	s_add_i32 s4, s4, s2
	s_cmp_ge_u32 s4, s5
	s_cbranch_scc1 .LBB1617_2
; %bb.1:
	s_load_dwordx4 s[8:11], s[0:1], 0x18
	s_load_dwordx2 s[6:7], s[0:1], 0x8
	s_load_dwordx4 s[16:19], s[0:1], 0x38
	s_mov_b32 s5, 0
	s_lshl_b64 s[12:13], s[4:5], 14
	s_waitcnt lgkmcnt(0)
	s_add_u32 s10, s10, s12
	s_addc_u32 s11, s11, s13
	s_add_u32 s14, s8, s12
	s_addc_u32 s15, s9, s13
	s_lshr_b64 s[8:9], s[6:7], 11
	s_cmp_eq_u64 s[8:9], s[4:5]
	s_cselect_b64 s[8:9], -1, 0
	s_lshl_b32 s4, s4, 11
	s_sub_i32 s6, s6, s4
	v_cndmask_b32_e64 v1, 0, 1, s[8:9]
	s_add_u32 s8, s0, 0x48
	s_addc_u32 s9, s1, 0
	s_mov_b64 s[0:1], src_shared_base
	s_mov_b32 s12, s2
	s_mov_b32 s13, s3
	v_mov_b32_e32 v31, v0
	v_mov_b32_e32 v0, s6
	;; [unrolled: 1-line block ×12, first 2 shown]
	s_getpc_b64 s[4:5]
	s_add_u32 s4, s4, _ZN7rocprim17ROCPRIM_400000_NS6detail15block_sort_implIlNS0_10empty_typeELj256ELj8ELNS0_4arch9wavefront6targetE1EvE4sortIPlS9_PS3_SA_ZN2at6native12_GLOBAL__N_124unique_dim_cuda_templateImEESt5tupleIJNSB_6TensorESG_SG_EERKSG_lbbbEUlllE_EEvjbT_T0_T1_T2_T3_RNS7_12storage_typeE@rel32@lo+4
	s_addc_u32 s5, s5, _ZN7rocprim17ROCPRIM_400000_NS6detail15block_sort_implIlNS0_10empty_typeELj256ELj8ELNS0_4arch9wavefront6targetE1EvE4sortIPlS9_PS3_SA_ZN2at6native12_GLOBAL__N_124unique_dim_cuda_templateImEESt5tupleIJNSB_6TensorESG_SG_EERKSG_lbbbEUlllE_EEvjbT_T0_T1_T2_T3_RNS7_12storage_typeE@rel32@hi+12
	s_swappc_b64 s[30:31], s[4:5]
.LBB1617_2:
	s_endpgm
	.section	.rodata,"a",@progbits
	.p2align	6, 0x0
	.amdhsa_kernel _ZN7rocprim17ROCPRIM_400000_NS6detail17trampoline_kernelINS0_14default_configENS1_37merge_sort_block_sort_config_selectorIlNS0_10empty_typeEEEZNS1_21merge_sort_block_sortIS3_PlS8_PS5_S9_ZN2at6native12_GLOBAL__N_124unique_dim_cuda_templateImEESt5tupleIJNSA_6TensorESF_SF_EERKSF_lbbbEUlllE_EE10hipError_tT0_T1_T2_T3_mRjT4_P12ihipStream_tbNS1_7vsmem_tEEUlT_E_NS1_11comp_targetILNS1_3genE5ELNS1_11target_archE942ELNS1_3gpuE9ELNS1_3repE0EEENS1_30default_config_static_selectorELNS0_4arch9wavefront6targetE1EEEvSM_
		.amdhsa_group_segment_fixed_size 16896
		.amdhsa_private_segment_fixed_size 8
		.amdhsa_kernarg_size 328
		.amdhsa_user_sgpr_count 2
		.amdhsa_user_sgpr_dispatch_ptr 0
		.amdhsa_user_sgpr_queue_ptr 0
		.amdhsa_user_sgpr_kernarg_segment_ptr 1
		.amdhsa_user_sgpr_dispatch_id 0
		.amdhsa_user_sgpr_kernarg_preload_length 0
		.amdhsa_user_sgpr_kernarg_preload_offset 0
		.amdhsa_user_sgpr_private_segment_size 0
		.amdhsa_uses_dynamic_stack 0
		.amdhsa_enable_private_segment 1
		.amdhsa_system_sgpr_workgroup_id_x 1
		.amdhsa_system_sgpr_workgroup_id_y 1
		.amdhsa_system_sgpr_workgroup_id_z 1
		.amdhsa_system_sgpr_workgroup_info 0
		.amdhsa_system_vgpr_workitem_id 2
		.amdhsa_next_free_vgpr 129
		.amdhsa_next_free_sgpr 69
		.amdhsa_accum_offset 132
		.amdhsa_reserve_vcc 1
		.amdhsa_float_round_mode_32 0
		.amdhsa_float_round_mode_16_64 0
		.amdhsa_float_denorm_mode_32 3
		.amdhsa_float_denorm_mode_16_64 3
		.amdhsa_dx10_clamp 1
		.amdhsa_ieee_mode 1
		.amdhsa_fp16_overflow 0
		.amdhsa_tg_split 0
		.amdhsa_exception_fp_ieee_invalid_op 0
		.amdhsa_exception_fp_denorm_src 0
		.amdhsa_exception_fp_ieee_div_zero 0
		.amdhsa_exception_fp_ieee_overflow 0
		.amdhsa_exception_fp_ieee_underflow 0
		.amdhsa_exception_fp_ieee_inexact 0
		.amdhsa_exception_int_div_zero 0
	.end_amdhsa_kernel
	.section	.text._ZN7rocprim17ROCPRIM_400000_NS6detail17trampoline_kernelINS0_14default_configENS1_37merge_sort_block_sort_config_selectorIlNS0_10empty_typeEEEZNS1_21merge_sort_block_sortIS3_PlS8_PS5_S9_ZN2at6native12_GLOBAL__N_124unique_dim_cuda_templateImEESt5tupleIJNSA_6TensorESF_SF_EERKSF_lbbbEUlllE_EE10hipError_tT0_T1_T2_T3_mRjT4_P12ihipStream_tbNS1_7vsmem_tEEUlT_E_NS1_11comp_targetILNS1_3genE5ELNS1_11target_archE942ELNS1_3gpuE9ELNS1_3repE0EEENS1_30default_config_static_selectorELNS0_4arch9wavefront6targetE1EEEvSM_,"axG",@progbits,_ZN7rocprim17ROCPRIM_400000_NS6detail17trampoline_kernelINS0_14default_configENS1_37merge_sort_block_sort_config_selectorIlNS0_10empty_typeEEEZNS1_21merge_sort_block_sortIS3_PlS8_PS5_S9_ZN2at6native12_GLOBAL__N_124unique_dim_cuda_templateImEESt5tupleIJNSA_6TensorESF_SF_EERKSF_lbbbEUlllE_EE10hipError_tT0_T1_T2_T3_mRjT4_P12ihipStream_tbNS1_7vsmem_tEEUlT_E_NS1_11comp_targetILNS1_3genE5ELNS1_11target_archE942ELNS1_3gpuE9ELNS1_3repE0EEENS1_30default_config_static_selectorELNS0_4arch9wavefront6targetE1EEEvSM_,comdat
.Lfunc_end1617:
	.size	_ZN7rocprim17ROCPRIM_400000_NS6detail17trampoline_kernelINS0_14default_configENS1_37merge_sort_block_sort_config_selectorIlNS0_10empty_typeEEEZNS1_21merge_sort_block_sortIS3_PlS8_PS5_S9_ZN2at6native12_GLOBAL__N_124unique_dim_cuda_templateImEESt5tupleIJNSA_6TensorESF_SF_EERKSF_lbbbEUlllE_EE10hipError_tT0_T1_T2_T3_mRjT4_P12ihipStream_tbNS1_7vsmem_tEEUlT_E_NS1_11comp_targetILNS1_3genE5ELNS1_11target_archE942ELNS1_3gpuE9ELNS1_3repE0EEENS1_30default_config_static_selectorELNS0_4arch9wavefront6targetE1EEEvSM_, .Lfunc_end1617-_ZN7rocprim17ROCPRIM_400000_NS6detail17trampoline_kernelINS0_14default_configENS1_37merge_sort_block_sort_config_selectorIlNS0_10empty_typeEEEZNS1_21merge_sort_block_sortIS3_PlS8_PS5_S9_ZN2at6native12_GLOBAL__N_124unique_dim_cuda_templateImEESt5tupleIJNSA_6TensorESF_SF_EERKSF_lbbbEUlllE_EE10hipError_tT0_T1_T2_T3_mRjT4_P12ihipStream_tbNS1_7vsmem_tEEUlT_E_NS1_11comp_targetILNS1_3genE5ELNS1_11target_archE942ELNS1_3gpuE9ELNS1_3repE0EEENS1_30default_config_static_selectorELNS0_4arch9wavefront6targetE1EEEvSM_
                                        ; -- End function
	.section	.AMDGPU.csdata,"",@progbits
; Kernel info:
; codeLenInByte = 228
; NumSgprs: 75
; NumVgprs: 129
; NumAgprs: 0
; TotalNumVgprs: 129
; ScratchSize: 8
; MemoryBound: 0
; FloatMode: 240
; IeeeMode: 1
; LDSByteSize: 16896 bytes/workgroup (compile time only)
; SGPRBlocks: 9
; VGPRBlocks: 16
; NumSGPRsForWavesPerEU: 75
; NumVGPRsForWavesPerEU: 129
; AccumOffset: 132
; Occupancy: 3
; WaveLimiterHint : 1
; COMPUTE_PGM_RSRC2:SCRATCH_EN: 1
; COMPUTE_PGM_RSRC2:USER_SGPR: 2
; COMPUTE_PGM_RSRC2:TRAP_HANDLER: 0
; COMPUTE_PGM_RSRC2:TGID_X_EN: 1
; COMPUTE_PGM_RSRC2:TGID_Y_EN: 1
; COMPUTE_PGM_RSRC2:TGID_Z_EN: 1
; COMPUTE_PGM_RSRC2:TIDIG_COMP_CNT: 2
; COMPUTE_PGM_RSRC3_GFX90A:ACCUM_OFFSET: 32
; COMPUTE_PGM_RSRC3_GFX90A:TG_SPLIT: 0
	.section	.text._ZN7rocprim17ROCPRIM_400000_NS6detail17trampoline_kernelINS0_14default_configENS1_37merge_sort_block_sort_config_selectorIlNS0_10empty_typeEEEZNS1_21merge_sort_block_sortIS3_PlS8_PS5_S9_ZN2at6native12_GLOBAL__N_124unique_dim_cuda_templateImEESt5tupleIJNSA_6TensorESF_SF_EERKSF_lbbbEUlllE_EE10hipError_tT0_T1_T2_T3_mRjT4_P12ihipStream_tbNS1_7vsmem_tEEUlT_E_NS1_11comp_targetILNS1_3genE4ELNS1_11target_archE910ELNS1_3gpuE8ELNS1_3repE0EEENS1_30default_config_static_selectorELNS0_4arch9wavefront6targetE1EEEvSM_,"axG",@progbits,_ZN7rocprim17ROCPRIM_400000_NS6detail17trampoline_kernelINS0_14default_configENS1_37merge_sort_block_sort_config_selectorIlNS0_10empty_typeEEEZNS1_21merge_sort_block_sortIS3_PlS8_PS5_S9_ZN2at6native12_GLOBAL__N_124unique_dim_cuda_templateImEESt5tupleIJNSA_6TensorESF_SF_EERKSF_lbbbEUlllE_EE10hipError_tT0_T1_T2_T3_mRjT4_P12ihipStream_tbNS1_7vsmem_tEEUlT_E_NS1_11comp_targetILNS1_3genE4ELNS1_11target_archE910ELNS1_3gpuE8ELNS1_3repE0EEENS1_30default_config_static_selectorELNS0_4arch9wavefront6targetE1EEEvSM_,comdat
	.globl	_ZN7rocprim17ROCPRIM_400000_NS6detail17trampoline_kernelINS0_14default_configENS1_37merge_sort_block_sort_config_selectorIlNS0_10empty_typeEEEZNS1_21merge_sort_block_sortIS3_PlS8_PS5_S9_ZN2at6native12_GLOBAL__N_124unique_dim_cuda_templateImEESt5tupleIJNSA_6TensorESF_SF_EERKSF_lbbbEUlllE_EE10hipError_tT0_T1_T2_T3_mRjT4_P12ihipStream_tbNS1_7vsmem_tEEUlT_E_NS1_11comp_targetILNS1_3genE4ELNS1_11target_archE910ELNS1_3gpuE8ELNS1_3repE0EEENS1_30default_config_static_selectorELNS0_4arch9wavefront6targetE1EEEvSM_ ; -- Begin function _ZN7rocprim17ROCPRIM_400000_NS6detail17trampoline_kernelINS0_14default_configENS1_37merge_sort_block_sort_config_selectorIlNS0_10empty_typeEEEZNS1_21merge_sort_block_sortIS3_PlS8_PS5_S9_ZN2at6native12_GLOBAL__N_124unique_dim_cuda_templateImEESt5tupleIJNSA_6TensorESF_SF_EERKSF_lbbbEUlllE_EE10hipError_tT0_T1_T2_T3_mRjT4_P12ihipStream_tbNS1_7vsmem_tEEUlT_E_NS1_11comp_targetILNS1_3genE4ELNS1_11target_archE910ELNS1_3gpuE8ELNS1_3repE0EEENS1_30default_config_static_selectorELNS0_4arch9wavefront6targetE1EEEvSM_
	.p2align	8
	.type	_ZN7rocprim17ROCPRIM_400000_NS6detail17trampoline_kernelINS0_14default_configENS1_37merge_sort_block_sort_config_selectorIlNS0_10empty_typeEEEZNS1_21merge_sort_block_sortIS3_PlS8_PS5_S9_ZN2at6native12_GLOBAL__N_124unique_dim_cuda_templateImEESt5tupleIJNSA_6TensorESF_SF_EERKSF_lbbbEUlllE_EE10hipError_tT0_T1_T2_T3_mRjT4_P12ihipStream_tbNS1_7vsmem_tEEUlT_E_NS1_11comp_targetILNS1_3genE4ELNS1_11target_archE910ELNS1_3gpuE8ELNS1_3repE0EEENS1_30default_config_static_selectorELNS0_4arch9wavefront6targetE1EEEvSM_,@function
_ZN7rocprim17ROCPRIM_400000_NS6detail17trampoline_kernelINS0_14default_configENS1_37merge_sort_block_sort_config_selectorIlNS0_10empty_typeEEEZNS1_21merge_sort_block_sortIS3_PlS8_PS5_S9_ZN2at6native12_GLOBAL__N_124unique_dim_cuda_templateImEESt5tupleIJNSA_6TensorESF_SF_EERKSF_lbbbEUlllE_EE10hipError_tT0_T1_T2_T3_mRjT4_P12ihipStream_tbNS1_7vsmem_tEEUlT_E_NS1_11comp_targetILNS1_3genE4ELNS1_11target_archE910ELNS1_3gpuE8ELNS1_3repE0EEENS1_30default_config_static_selectorELNS0_4arch9wavefront6targetE1EEEvSM_: ; @_ZN7rocprim17ROCPRIM_400000_NS6detail17trampoline_kernelINS0_14default_configENS1_37merge_sort_block_sort_config_selectorIlNS0_10empty_typeEEEZNS1_21merge_sort_block_sortIS3_PlS8_PS5_S9_ZN2at6native12_GLOBAL__N_124unique_dim_cuda_templateImEESt5tupleIJNSA_6TensorESF_SF_EERKSF_lbbbEUlllE_EE10hipError_tT0_T1_T2_T3_mRjT4_P12ihipStream_tbNS1_7vsmem_tEEUlT_E_NS1_11comp_targetILNS1_3genE4ELNS1_11target_archE910ELNS1_3gpuE8ELNS1_3repE0EEENS1_30default_config_static_selectorELNS0_4arch9wavefront6targetE1EEEvSM_
; %bb.0:
	.section	.rodata,"a",@progbits
	.p2align	6, 0x0
	.amdhsa_kernel _ZN7rocprim17ROCPRIM_400000_NS6detail17trampoline_kernelINS0_14default_configENS1_37merge_sort_block_sort_config_selectorIlNS0_10empty_typeEEEZNS1_21merge_sort_block_sortIS3_PlS8_PS5_S9_ZN2at6native12_GLOBAL__N_124unique_dim_cuda_templateImEESt5tupleIJNSA_6TensorESF_SF_EERKSF_lbbbEUlllE_EE10hipError_tT0_T1_T2_T3_mRjT4_P12ihipStream_tbNS1_7vsmem_tEEUlT_E_NS1_11comp_targetILNS1_3genE4ELNS1_11target_archE910ELNS1_3gpuE8ELNS1_3repE0EEENS1_30default_config_static_selectorELNS0_4arch9wavefront6targetE1EEEvSM_
		.amdhsa_group_segment_fixed_size 0
		.amdhsa_private_segment_fixed_size 0
		.amdhsa_kernarg_size 72
		.amdhsa_user_sgpr_count 2
		.amdhsa_user_sgpr_dispatch_ptr 0
		.amdhsa_user_sgpr_queue_ptr 0
		.amdhsa_user_sgpr_kernarg_segment_ptr 1
		.amdhsa_user_sgpr_dispatch_id 0
		.amdhsa_user_sgpr_kernarg_preload_length 0
		.amdhsa_user_sgpr_kernarg_preload_offset 0
		.amdhsa_user_sgpr_private_segment_size 0
		.amdhsa_uses_dynamic_stack 0
		.amdhsa_enable_private_segment 0
		.amdhsa_system_sgpr_workgroup_id_x 1
		.amdhsa_system_sgpr_workgroup_id_y 0
		.amdhsa_system_sgpr_workgroup_id_z 0
		.amdhsa_system_sgpr_workgroup_info 0
		.amdhsa_system_vgpr_workitem_id 0
		.amdhsa_next_free_vgpr 1
		.amdhsa_next_free_sgpr 0
		.amdhsa_accum_offset 4
		.amdhsa_reserve_vcc 0
		.amdhsa_float_round_mode_32 0
		.amdhsa_float_round_mode_16_64 0
		.amdhsa_float_denorm_mode_32 3
		.amdhsa_float_denorm_mode_16_64 3
		.amdhsa_dx10_clamp 1
		.amdhsa_ieee_mode 1
		.amdhsa_fp16_overflow 0
		.amdhsa_tg_split 0
		.amdhsa_exception_fp_ieee_invalid_op 0
		.amdhsa_exception_fp_denorm_src 0
		.amdhsa_exception_fp_ieee_div_zero 0
		.amdhsa_exception_fp_ieee_overflow 0
		.amdhsa_exception_fp_ieee_underflow 0
		.amdhsa_exception_fp_ieee_inexact 0
		.amdhsa_exception_int_div_zero 0
	.end_amdhsa_kernel
	.section	.text._ZN7rocprim17ROCPRIM_400000_NS6detail17trampoline_kernelINS0_14default_configENS1_37merge_sort_block_sort_config_selectorIlNS0_10empty_typeEEEZNS1_21merge_sort_block_sortIS3_PlS8_PS5_S9_ZN2at6native12_GLOBAL__N_124unique_dim_cuda_templateImEESt5tupleIJNSA_6TensorESF_SF_EERKSF_lbbbEUlllE_EE10hipError_tT0_T1_T2_T3_mRjT4_P12ihipStream_tbNS1_7vsmem_tEEUlT_E_NS1_11comp_targetILNS1_3genE4ELNS1_11target_archE910ELNS1_3gpuE8ELNS1_3repE0EEENS1_30default_config_static_selectorELNS0_4arch9wavefront6targetE1EEEvSM_,"axG",@progbits,_ZN7rocprim17ROCPRIM_400000_NS6detail17trampoline_kernelINS0_14default_configENS1_37merge_sort_block_sort_config_selectorIlNS0_10empty_typeEEEZNS1_21merge_sort_block_sortIS3_PlS8_PS5_S9_ZN2at6native12_GLOBAL__N_124unique_dim_cuda_templateImEESt5tupleIJNSA_6TensorESF_SF_EERKSF_lbbbEUlllE_EE10hipError_tT0_T1_T2_T3_mRjT4_P12ihipStream_tbNS1_7vsmem_tEEUlT_E_NS1_11comp_targetILNS1_3genE4ELNS1_11target_archE910ELNS1_3gpuE8ELNS1_3repE0EEENS1_30default_config_static_selectorELNS0_4arch9wavefront6targetE1EEEvSM_,comdat
.Lfunc_end1618:
	.size	_ZN7rocprim17ROCPRIM_400000_NS6detail17trampoline_kernelINS0_14default_configENS1_37merge_sort_block_sort_config_selectorIlNS0_10empty_typeEEEZNS1_21merge_sort_block_sortIS3_PlS8_PS5_S9_ZN2at6native12_GLOBAL__N_124unique_dim_cuda_templateImEESt5tupleIJNSA_6TensorESF_SF_EERKSF_lbbbEUlllE_EE10hipError_tT0_T1_T2_T3_mRjT4_P12ihipStream_tbNS1_7vsmem_tEEUlT_E_NS1_11comp_targetILNS1_3genE4ELNS1_11target_archE910ELNS1_3gpuE8ELNS1_3repE0EEENS1_30default_config_static_selectorELNS0_4arch9wavefront6targetE1EEEvSM_, .Lfunc_end1618-_ZN7rocprim17ROCPRIM_400000_NS6detail17trampoline_kernelINS0_14default_configENS1_37merge_sort_block_sort_config_selectorIlNS0_10empty_typeEEEZNS1_21merge_sort_block_sortIS3_PlS8_PS5_S9_ZN2at6native12_GLOBAL__N_124unique_dim_cuda_templateImEESt5tupleIJNSA_6TensorESF_SF_EERKSF_lbbbEUlllE_EE10hipError_tT0_T1_T2_T3_mRjT4_P12ihipStream_tbNS1_7vsmem_tEEUlT_E_NS1_11comp_targetILNS1_3genE4ELNS1_11target_archE910ELNS1_3gpuE8ELNS1_3repE0EEENS1_30default_config_static_selectorELNS0_4arch9wavefront6targetE1EEEvSM_
                                        ; -- End function
	.section	.AMDGPU.csdata,"",@progbits
; Kernel info:
; codeLenInByte = 0
; NumSgprs: 6
; NumVgprs: 0
; NumAgprs: 0
; TotalNumVgprs: 0
; ScratchSize: 0
; MemoryBound: 0
; FloatMode: 240
; IeeeMode: 1
; LDSByteSize: 0 bytes/workgroup (compile time only)
; SGPRBlocks: 0
; VGPRBlocks: 0
; NumSGPRsForWavesPerEU: 6
; NumVGPRsForWavesPerEU: 1
; AccumOffset: 4
; Occupancy: 8
; WaveLimiterHint : 0
; COMPUTE_PGM_RSRC2:SCRATCH_EN: 0
; COMPUTE_PGM_RSRC2:USER_SGPR: 2
; COMPUTE_PGM_RSRC2:TRAP_HANDLER: 0
; COMPUTE_PGM_RSRC2:TGID_X_EN: 1
; COMPUTE_PGM_RSRC2:TGID_Y_EN: 0
; COMPUTE_PGM_RSRC2:TGID_Z_EN: 0
; COMPUTE_PGM_RSRC2:TIDIG_COMP_CNT: 0
; COMPUTE_PGM_RSRC3_GFX90A:ACCUM_OFFSET: 0
; COMPUTE_PGM_RSRC3_GFX90A:TG_SPLIT: 0
	.section	.text._ZN7rocprim17ROCPRIM_400000_NS6detail17trampoline_kernelINS0_14default_configENS1_37merge_sort_block_sort_config_selectorIlNS0_10empty_typeEEEZNS1_21merge_sort_block_sortIS3_PlS8_PS5_S9_ZN2at6native12_GLOBAL__N_124unique_dim_cuda_templateImEESt5tupleIJNSA_6TensorESF_SF_EERKSF_lbbbEUlllE_EE10hipError_tT0_T1_T2_T3_mRjT4_P12ihipStream_tbNS1_7vsmem_tEEUlT_E_NS1_11comp_targetILNS1_3genE3ELNS1_11target_archE908ELNS1_3gpuE7ELNS1_3repE0EEENS1_30default_config_static_selectorELNS0_4arch9wavefront6targetE1EEEvSM_,"axG",@progbits,_ZN7rocprim17ROCPRIM_400000_NS6detail17trampoline_kernelINS0_14default_configENS1_37merge_sort_block_sort_config_selectorIlNS0_10empty_typeEEEZNS1_21merge_sort_block_sortIS3_PlS8_PS5_S9_ZN2at6native12_GLOBAL__N_124unique_dim_cuda_templateImEESt5tupleIJNSA_6TensorESF_SF_EERKSF_lbbbEUlllE_EE10hipError_tT0_T1_T2_T3_mRjT4_P12ihipStream_tbNS1_7vsmem_tEEUlT_E_NS1_11comp_targetILNS1_3genE3ELNS1_11target_archE908ELNS1_3gpuE7ELNS1_3repE0EEENS1_30default_config_static_selectorELNS0_4arch9wavefront6targetE1EEEvSM_,comdat
	.globl	_ZN7rocprim17ROCPRIM_400000_NS6detail17trampoline_kernelINS0_14default_configENS1_37merge_sort_block_sort_config_selectorIlNS0_10empty_typeEEEZNS1_21merge_sort_block_sortIS3_PlS8_PS5_S9_ZN2at6native12_GLOBAL__N_124unique_dim_cuda_templateImEESt5tupleIJNSA_6TensorESF_SF_EERKSF_lbbbEUlllE_EE10hipError_tT0_T1_T2_T3_mRjT4_P12ihipStream_tbNS1_7vsmem_tEEUlT_E_NS1_11comp_targetILNS1_3genE3ELNS1_11target_archE908ELNS1_3gpuE7ELNS1_3repE0EEENS1_30default_config_static_selectorELNS0_4arch9wavefront6targetE1EEEvSM_ ; -- Begin function _ZN7rocprim17ROCPRIM_400000_NS6detail17trampoline_kernelINS0_14default_configENS1_37merge_sort_block_sort_config_selectorIlNS0_10empty_typeEEEZNS1_21merge_sort_block_sortIS3_PlS8_PS5_S9_ZN2at6native12_GLOBAL__N_124unique_dim_cuda_templateImEESt5tupleIJNSA_6TensorESF_SF_EERKSF_lbbbEUlllE_EE10hipError_tT0_T1_T2_T3_mRjT4_P12ihipStream_tbNS1_7vsmem_tEEUlT_E_NS1_11comp_targetILNS1_3genE3ELNS1_11target_archE908ELNS1_3gpuE7ELNS1_3repE0EEENS1_30default_config_static_selectorELNS0_4arch9wavefront6targetE1EEEvSM_
	.p2align	8
	.type	_ZN7rocprim17ROCPRIM_400000_NS6detail17trampoline_kernelINS0_14default_configENS1_37merge_sort_block_sort_config_selectorIlNS0_10empty_typeEEEZNS1_21merge_sort_block_sortIS3_PlS8_PS5_S9_ZN2at6native12_GLOBAL__N_124unique_dim_cuda_templateImEESt5tupleIJNSA_6TensorESF_SF_EERKSF_lbbbEUlllE_EE10hipError_tT0_T1_T2_T3_mRjT4_P12ihipStream_tbNS1_7vsmem_tEEUlT_E_NS1_11comp_targetILNS1_3genE3ELNS1_11target_archE908ELNS1_3gpuE7ELNS1_3repE0EEENS1_30default_config_static_selectorELNS0_4arch9wavefront6targetE1EEEvSM_,@function
_ZN7rocprim17ROCPRIM_400000_NS6detail17trampoline_kernelINS0_14default_configENS1_37merge_sort_block_sort_config_selectorIlNS0_10empty_typeEEEZNS1_21merge_sort_block_sortIS3_PlS8_PS5_S9_ZN2at6native12_GLOBAL__N_124unique_dim_cuda_templateImEESt5tupleIJNSA_6TensorESF_SF_EERKSF_lbbbEUlllE_EE10hipError_tT0_T1_T2_T3_mRjT4_P12ihipStream_tbNS1_7vsmem_tEEUlT_E_NS1_11comp_targetILNS1_3genE3ELNS1_11target_archE908ELNS1_3gpuE7ELNS1_3repE0EEENS1_30default_config_static_selectorELNS0_4arch9wavefront6targetE1EEEvSM_: ; @_ZN7rocprim17ROCPRIM_400000_NS6detail17trampoline_kernelINS0_14default_configENS1_37merge_sort_block_sort_config_selectorIlNS0_10empty_typeEEEZNS1_21merge_sort_block_sortIS3_PlS8_PS5_S9_ZN2at6native12_GLOBAL__N_124unique_dim_cuda_templateImEESt5tupleIJNSA_6TensorESF_SF_EERKSF_lbbbEUlllE_EE10hipError_tT0_T1_T2_T3_mRjT4_P12ihipStream_tbNS1_7vsmem_tEEUlT_E_NS1_11comp_targetILNS1_3genE3ELNS1_11target_archE908ELNS1_3gpuE7ELNS1_3repE0EEENS1_30default_config_static_selectorELNS0_4arch9wavefront6targetE1EEEvSM_
; %bb.0:
	.section	.rodata,"a",@progbits
	.p2align	6, 0x0
	.amdhsa_kernel _ZN7rocprim17ROCPRIM_400000_NS6detail17trampoline_kernelINS0_14default_configENS1_37merge_sort_block_sort_config_selectorIlNS0_10empty_typeEEEZNS1_21merge_sort_block_sortIS3_PlS8_PS5_S9_ZN2at6native12_GLOBAL__N_124unique_dim_cuda_templateImEESt5tupleIJNSA_6TensorESF_SF_EERKSF_lbbbEUlllE_EE10hipError_tT0_T1_T2_T3_mRjT4_P12ihipStream_tbNS1_7vsmem_tEEUlT_E_NS1_11comp_targetILNS1_3genE3ELNS1_11target_archE908ELNS1_3gpuE7ELNS1_3repE0EEENS1_30default_config_static_selectorELNS0_4arch9wavefront6targetE1EEEvSM_
		.amdhsa_group_segment_fixed_size 0
		.amdhsa_private_segment_fixed_size 0
		.amdhsa_kernarg_size 72
		.amdhsa_user_sgpr_count 2
		.amdhsa_user_sgpr_dispatch_ptr 0
		.amdhsa_user_sgpr_queue_ptr 0
		.amdhsa_user_sgpr_kernarg_segment_ptr 1
		.amdhsa_user_sgpr_dispatch_id 0
		.amdhsa_user_sgpr_kernarg_preload_length 0
		.amdhsa_user_sgpr_kernarg_preload_offset 0
		.amdhsa_user_sgpr_private_segment_size 0
		.amdhsa_uses_dynamic_stack 0
		.amdhsa_enable_private_segment 0
		.amdhsa_system_sgpr_workgroup_id_x 1
		.amdhsa_system_sgpr_workgroup_id_y 0
		.amdhsa_system_sgpr_workgroup_id_z 0
		.amdhsa_system_sgpr_workgroup_info 0
		.amdhsa_system_vgpr_workitem_id 0
		.amdhsa_next_free_vgpr 1
		.amdhsa_next_free_sgpr 0
		.amdhsa_accum_offset 4
		.amdhsa_reserve_vcc 0
		.amdhsa_float_round_mode_32 0
		.amdhsa_float_round_mode_16_64 0
		.amdhsa_float_denorm_mode_32 3
		.amdhsa_float_denorm_mode_16_64 3
		.amdhsa_dx10_clamp 1
		.amdhsa_ieee_mode 1
		.amdhsa_fp16_overflow 0
		.amdhsa_tg_split 0
		.amdhsa_exception_fp_ieee_invalid_op 0
		.amdhsa_exception_fp_denorm_src 0
		.amdhsa_exception_fp_ieee_div_zero 0
		.amdhsa_exception_fp_ieee_overflow 0
		.amdhsa_exception_fp_ieee_underflow 0
		.amdhsa_exception_fp_ieee_inexact 0
		.amdhsa_exception_int_div_zero 0
	.end_amdhsa_kernel
	.section	.text._ZN7rocprim17ROCPRIM_400000_NS6detail17trampoline_kernelINS0_14default_configENS1_37merge_sort_block_sort_config_selectorIlNS0_10empty_typeEEEZNS1_21merge_sort_block_sortIS3_PlS8_PS5_S9_ZN2at6native12_GLOBAL__N_124unique_dim_cuda_templateImEESt5tupleIJNSA_6TensorESF_SF_EERKSF_lbbbEUlllE_EE10hipError_tT0_T1_T2_T3_mRjT4_P12ihipStream_tbNS1_7vsmem_tEEUlT_E_NS1_11comp_targetILNS1_3genE3ELNS1_11target_archE908ELNS1_3gpuE7ELNS1_3repE0EEENS1_30default_config_static_selectorELNS0_4arch9wavefront6targetE1EEEvSM_,"axG",@progbits,_ZN7rocprim17ROCPRIM_400000_NS6detail17trampoline_kernelINS0_14default_configENS1_37merge_sort_block_sort_config_selectorIlNS0_10empty_typeEEEZNS1_21merge_sort_block_sortIS3_PlS8_PS5_S9_ZN2at6native12_GLOBAL__N_124unique_dim_cuda_templateImEESt5tupleIJNSA_6TensorESF_SF_EERKSF_lbbbEUlllE_EE10hipError_tT0_T1_T2_T3_mRjT4_P12ihipStream_tbNS1_7vsmem_tEEUlT_E_NS1_11comp_targetILNS1_3genE3ELNS1_11target_archE908ELNS1_3gpuE7ELNS1_3repE0EEENS1_30default_config_static_selectorELNS0_4arch9wavefront6targetE1EEEvSM_,comdat
.Lfunc_end1619:
	.size	_ZN7rocprim17ROCPRIM_400000_NS6detail17trampoline_kernelINS0_14default_configENS1_37merge_sort_block_sort_config_selectorIlNS0_10empty_typeEEEZNS1_21merge_sort_block_sortIS3_PlS8_PS5_S9_ZN2at6native12_GLOBAL__N_124unique_dim_cuda_templateImEESt5tupleIJNSA_6TensorESF_SF_EERKSF_lbbbEUlllE_EE10hipError_tT0_T1_T2_T3_mRjT4_P12ihipStream_tbNS1_7vsmem_tEEUlT_E_NS1_11comp_targetILNS1_3genE3ELNS1_11target_archE908ELNS1_3gpuE7ELNS1_3repE0EEENS1_30default_config_static_selectorELNS0_4arch9wavefront6targetE1EEEvSM_, .Lfunc_end1619-_ZN7rocprim17ROCPRIM_400000_NS6detail17trampoline_kernelINS0_14default_configENS1_37merge_sort_block_sort_config_selectorIlNS0_10empty_typeEEEZNS1_21merge_sort_block_sortIS3_PlS8_PS5_S9_ZN2at6native12_GLOBAL__N_124unique_dim_cuda_templateImEESt5tupleIJNSA_6TensorESF_SF_EERKSF_lbbbEUlllE_EE10hipError_tT0_T1_T2_T3_mRjT4_P12ihipStream_tbNS1_7vsmem_tEEUlT_E_NS1_11comp_targetILNS1_3genE3ELNS1_11target_archE908ELNS1_3gpuE7ELNS1_3repE0EEENS1_30default_config_static_selectorELNS0_4arch9wavefront6targetE1EEEvSM_
                                        ; -- End function
	.section	.AMDGPU.csdata,"",@progbits
; Kernel info:
; codeLenInByte = 0
; NumSgprs: 6
; NumVgprs: 0
; NumAgprs: 0
; TotalNumVgprs: 0
; ScratchSize: 0
; MemoryBound: 0
; FloatMode: 240
; IeeeMode: 1
; LDSByteSize: 0 bytes/workgroup (compile time only)
; SGPRBlocks: 0
; VGPRBlocks: 0
; NumSGPRsForWavesPerEU: 6
; NumVGPRsForWavesPerEU: 1
; AccumOffset: 4
; Occupancy: 8
; WaveLimiterHint : 0
; COMPUTE_PGM_RSRC2:SCRATCH_EN: 0
; COMPUTE_PGM_RSRC2:USER_SGPR: 2
; COMPUTE_PGM_RSRC2:TRAP_HANDLER: 0
; COMPUTE_PGM_RSRC2:TGID_X_EN: 1
; COMPUTE_PGM_RSRC2:TGID_Y_EN: 0
; COMPUTE_PGM_RSRC2:TGID_Z_EN: 0
; COMPUTE_PGM_RSRC2:TIDIG_COMP_CNT: 0
; COMPUTE_PGM_RSRC3_GFX90A:ACCUM_OFFSET: 0
; COMPUTE_PGM_RSRC3_GFX90A:TG_SPLIT: 0
	.section	.text._ZN7rocprim17ROCPRIM_400000_NS6detail17trampoline_kernelINS0_14default_configENS1_37merge_sort_block_sort_config_selectorIlNS0_10empty_typeEEEZNS1_21merge_sort_block_sortIS3_PlS8_PS5_S9_ZN2at6native12_GLOBAL__N_124unique_dim_cuda_templateImEESt5tupleIJNSA_6TensorESF_SF_EERKSF_lbbbEUlllE_EE10hipError_tT0_T1_T2_T3_mRjT4_P12ihipStream_tbNS1_7vsmem_tEEUlT_E_NS1_11comp_targetILNS1_3genE2ELNS1_11target_archE906ELNS1_3gpuE6ELNS1_3repE0EEENS1_30default_config_static_selectorELNS0_4arch9wavefront6targetE1EEEvSM_,"axG",@progbits,_ZN7rocprim17ROCPRIM_400000_NS6detail17trampoline_kernelINS0_14default_configENS1_37merge_sort_block_sort_config_selectorIlNS0_10empty_typeEEEZNS1_21merge_sort_block_sortIS3_PlS8_PS5_S9_ZN2at6native12_GLOBAL__N_124unique_dim_cuda_templateImEESt5tupleIJNSA_6TensorESF_SF_EERKSF_lbbbEUlllE_EE10hipError_tT0_T1_T2_T3_mRjT4_P12ihipStream_tbNS1_7vsmem_tEEUlT_E_NS1_11comp_targetILNS1_3genE2ELNS1_11target_archE906ELNS1_3gpuE6ELNS1_3repE0EEENS1_30default_config_static_selectorELNS0_4arch9wavefront6targetE1EEEvSM_,comdat
	.globl	_ZN7rocprim17ROCPRIM_400000_NS6detail17trampoline_kernelINS0_14default_configENS1_37merge_sort_block_sort_config_selectorIlNS0_10empty_typeEEEZNS1_21merge_sort_block_sortIS3_PlS8_PS5_S9_ZN2at6native12_GLOBAL__N_124unique_dim_cuda_templateImEESt5tupleIJNSA_6TensorESF_SF_EERKSF_lbbbEUlllE_EE10hipError_tT0_T1_T2_T3_mRjT4_P12ihipStream_tbNS1_7vsmem_tEEUlT_E_NS1_11comp_targetILNS1_3genE2ELNS1_11target_archE906ELNS1_3gpuE6ELNS1_3repE0EEENS1_30default_config_static_selectorELNS0_4arch9wavefront6targetE1EEEvSM_ ; -- Begin function _ZN7rocprim17ROCPRIM_400000_NS6detail17trampoline_kernelINS0_14default_configENS1_37merge_sort_block_sort_config_selectorIlNS0_10empty_typeEEEZNS1_21merge_sort_block_sortIS3_PlS8_PS5_S9_ZN2at6native12_GLOBAL__N_124unique_dim_cuda_templateImEESt5tupleIJNSA_6TensorESF_SF_EERKSF_lbbbEUlllE_EE10hipError_tT0_T1_T2_T3_mRjT4_P12ihipStream_tbNS1_7vsmem_tEEUlT_E_NS1_11comp_targetILNS1_3genE2ELNS1_11target_archE906ELNS1_3gpuE6ELNS1_3repE0EEENS1_30default_config_static_selectorELNS0_4arch9wavefront6targetE1EEEvSM_
	.p2align	8
	.type	_ZN7rocprim17ROCPRIM_400000_NS6detail17trampoline_kernelINS0_14default_configENS1_37merge_sort_block_sort_config_selectorIlNS0_10empty_typeEEEZNS1_21merge_sort_block_sortIS3_PlS8_PS5_S9_ZN2at6native12_GLOBAL__N_124unique_dim_cuda_templateImEESt5tupleIJNSA_6TensorESF_SF_EERKSF_lbbbEUlllE_EE10hipError_tT0_T1_T2_T3_mRjT4_P12ihipStream_tbNS1_7vsmem_tEEUlT_E_NS1_11comp_targetILNS1_3genE2ELNS1_11target_archE906ELNS1_3gpuE6ELNS1_3repE0EEENS1_30default_config_static_selectorELNS0_4arch9wavefront6targetE1EEEvSM_,@function
_ZN7rocprim17ROCPRIM_400000_NS6detail17trampoline_kernelINS0_14default_configENS1_37merge_sort_block_sort_config_selectorIlNS0_10empty_typeEEEZNS1_21merge_sort_block_sortIS3_PlS8_PS5_S9_ZN2at6native12_GLOBAL__N_124unique_dim_cuda_templateImEESt5tupleIJNSA_6TensorESF_SF_EERKSF_lbbbEUlllE_EE10hipError_tT0_T1_T2_T3_mRjT4_P12ihipStream_tbNS1_7vsmem_tEEUlT_E_NS1_11comp_targetILNS1_3genE2ELNS1_11target_archE906ELNS1_3gpuE6ELNS1_3repE0EEENS1_30default_config_static_selectorELNS0_4arch9wavefront6targetE1EEEvSM_: ; @_ZN7rocprim17ROCPRIM_400000_NS6detail17trampoline_kernelINS0_14default_configENS1_37merge_sort_block_sort_config_selectorIlNS0_10empty_typeEEEZNS1_21merge_sort_block_sortIS3_PlS8_PS5_S9_ZN2at6native12_GLOBAL__N_124unique_dim_cuda_templateImEESt5tupleIJNSA_6TensorESF_SF_EERKSF_lbbbEUlllE_EE10hipError_tT0_T1_T2_T3_mRjT4_P12ihipStream_tbNS1_7vsmem_tEEUlT_E_NS1_11comp_targetILNS1_3genE2ELNS1_11target_archE906ELNS1_3gpuE6ELNS1_3repE0EEENS1_30default_config_static_selectorELNS0_4arch9wavefront6targetE1EEEvSM_
; %bb.0:
	.section	.rodata,"a",@progbits
	.p2align	6, 0x0
	.amdhsa_kernel _ZN7rocprim17ROCPRIM_400000_NS6detail17trampoline_kernelINS0_14default_configENS1_37merge_sort_block_sort_config_selectorIlNS0_10empty_typeEEEZNS1_21merge_sort_block_sortIS3_PlS8_PS5_S9_ZN2at6native12_GLOBAL__N_124unique_dim_cuda_templateImEESt5tupleIJNSA_6TensorESF_SF_EERKSF_lbbbEUlllE_EE10hipError_tT0_T1_T2_T3_mRjT4_P12ihipStream_tbNS1_7vsmem_tEEUlT_E_NS1_11comp_targetILNS1_3genE2ELNS1_11target_archE906ELNS1_3gpuE6ELNS1_3repE0EEENS1_30default_config_static_selectorELNS0_4arch9wavefront6targetE1EEEvSM_
		.amdhsa_group_segment_fixed_size 0
		.amdhsa_private_segment_fixed_size 0
		.amdhsa_kernarg_size 72
		.amdhsa_user_sgpr_count 2
		.amdhsa_user_sgpr_dispatch_ptr 0
		.amdhsa_user_sgpr_queue_ptr 0
		.amdhsa_user_sgpr_kernarg_segment_ptr 1
		.amdhsa_user_sgpr_dispatch_id 0
		.amdhsa_user_sgpr_kernarg_preload_length 0
		.amdhsa_user_sgpr_kernarg_preload_offset 0
		.amdhsa_user_sgpr_private_segment_size 0
		.amdhsa_uses_dynamic_stack 0
		.amdhsa_enable_private_segment 0
		.amdhsa_system_sgpr_workgroup_id_x 1
		.amdhsa_system_sgpr_workgroup_id_y 0
		.amdhsa_system_sgpr_workgroup_id_z 0
		.amdhsa_system_sgpr_workgroup_info 0
		.amdhsa_system_vgpr_workitem_id 0
		.amdhsa_next_free_vgpr 1
		.amdhsa_next_free_sgpr 0
		.amdhsa_accum_offset 4
		.amdhsa_reserve_vcc 0
		.amdhsa_float_round_mode_32 0
		.amdhsa_float_round_mode_16_64 0
		.amdhsa_float_denorm_mode_32 3
		.amdhsa_float_denorm_mode_16_64 3
		.amdhsa_dx10_clamp 1
		.amdhsa_ieee_mode 1
		.amdhsa_fp16_overflow 0
		.amdhsa_tg_split 0
		.amdhsa_exception_fp_ieee_invalid_op 0
		.amdhsa_exception_fp_denorm_src 0
		.amdhsa_exception_fp_ieee_div_zero 0
		.amdhsa_exception_fp_ieee_overflow 0
		.amdhsa_exception_fp_ieee_underflow 0
		.amdhsa_exception_fp_ieee_inexact 0
		.amdhsa_exception_int_div_zero 0
	.end_amdhsa_kernel
	.section	.text._ZN7rocprim17ROCPRIM_400000_NS6detail17trampoline_kernelINS0_14default_configENS1_37merge_sort_block_sort_config_selectorIlNS0_10empty_typeEEEZNS1_21merge_sort_block_sortIS3_PlS8_PS5_S9_ZN2at6native12_GLOBAL__N_124unique_dim_cuda_templateImEESt5tupleIJNSA_6TensorESF_SF_EERKSF_lbbbEUlllE_EE10hipError_tT0_T1_T2_T3_mRjT4_P12ihipStream_tbNS1_7vsmem_tEEUlT_E_NS1_11comp_targetILNS1_3genE2ELNS1_11target_archE906ELNS1_3gpuE6ELNS1_3repE0EEENS1_30default_config_static_selectorELNS0_4arch9wavefront6targetE1EEEvSM_,"axG",@progbits,_ZN7rocprim17ROCPRIM_400000_NS6detail17trampoline_kernelINS0_14default_configENS1_37merge_sort_block_sort_config_selectorIlNS0_10empty_typeEEEZNS1_21merge_sort_block_sortIS3_PlS8_PS5_S9_ZN2at6native12_GLOBAL__N_124unique_dim_cuda_templateImEESt5tupleIJNSA_6TensorESF_SF_EERKSF_lbbbEUlllE_EE10hipError_tT0_T1_T2_T3_mRjT4_P12ihipStream_tbNS1_7vsmem_tEEUlT_E_NS1_11comp_targetILNS1_3genE2ELNS1_11target_archE906ELNS1_3gpuE6ELNS1_3repE0EEENS1_30default_config_static_selectorELNS0_4arch9wavefront6targetE1EEEvSM_,comdat
.Lfunc_end1620:
	.size	_ZN7rocprim17ROCPRIM_400000_NS6detail17trampoline_kernelINS0_14default_configENS1_37merge_sort_block_sort_config_selectorIlNS0_10empty_typeEEEZNS1_21merge_sort_block_sortIS3_PlS8_PS5_S9_ZN2at6native12_GLOBAL__N_124unique_dim_cuda_templateImEESt5tupleIJNSA_6TensorESF_SF_EERKSF_lbbbEUlllE_EE10hipError_tT0_T1_T2_T3_mRjT4_P12ihipStream_tbNS1_7vsmem_tEEUlT_E_NS1_11comp_targetILNS1_3genE2ELNS1_11target_archE906ELNS1_3gpuE6ELNS1_3repE0EEENS1_30default_config_static_selectorELNS0_4arch9wavefront6targetE1EEEvSM_, .Lfunc_end1620-_ZN7rocprim17ROCPRIM_400000_NS6detail17trampoline_kernelINS0_14default_configENS1_37merge_sort_block_sort_config_selectorIlNS0_10empty_typeEEEZNS1_21merge_sort_block_sortIS3_PlS8_PS5_S9_ZN2at6native12_GLOBAL__N_124unique_dim_cuda_templateImEESt5tupleIJNSA_6TensorESF_SF_EERKSF_lbbbEUlllE_EE10hipError_tT0_T1_T2_T3_mRjT4_P12ihipStream_tbNS1_7vsmem_tEEUlT_E_NS1_11comp_targetILNS1_3genE2ELNS1_11target_archE906ELNS1_3gpuE6ELNS1_3repE0EEENS1_30default_config_static_selectorELNS0_4arch9wavefront6targetE1EEEvSM_
                                        ; -- End function
	.section	.AMDGPU.csdata,"",@progbits
; Kernel info:
; codeLenInByte = 0
; NumSgprs: 6
; NumVgprs: 0
; NumAgprs: 0
; TotalNumVgprs: 0
; ScratchSize: 0
; MemoryBound: 0
; FloatMode: 240
; IeeeMode: 1
; LDSByteSize: 0 bytes/workgroup (compile time only)
; SGPRBlocks: 0
; VGPRBlocks: 0
; NumSGPRsForWavesPerEU: 6
; NumVGPRsForWavesPerEU: 1
; AccumOffset: 4
; Occupancy: 8
; WaveLimiterHint : 0
; COMPUTE_PGM_RSRC2:SCRATCH_EN: 0
; COMPUTE_PGM_RSRC2:USER_SGPR: 2
; COMPUTE_PGM_RSRC2:TRAP_HANDLER: 0
; COMPUTE_PGM_RSRC2:TGID_X_EN: 1
; COMPUTE_PGM_RSRC2:TGID_Y_EN: 0
; COMPUTE_PGM_RSRC2:TGID_Z_EN: 0
; COMPUTE_PGM_RSRC2:TIDIG_COMP_CNT: 0
; COMPUTE_PGM_RSRC3_GFX90A:ACCUM_OFFSET: 0
; COMPUTE_PGM_RSRC3_GFX90A:TG_SPLIT: 0
	.section	.text._ZN7rocprim17ROCPRIM_400000_NS6detail17trampoline_kernelINS0_14default_configENS1_37merge_sort_block_sort_config_selectorIlNS0_10empty_typeEEEZNS1_21merge_sort_block_sortIS3_PlS8_PS5_S9_ZN2at6native12_GLOBAL__N_124unique_dim_cuda_templateImEESt5tupleIJNSA_6TensorESF_SF_EERKSF_lbbbEUlllE_EE10hipError_tT0_T1_T2_T3_mRjT4_P12ihipStream_tbNS1_7vsmem_tEEUlT_E_NS1_11comp_targetILNS1_3genE10ELNS1_11target_archE1201ELNS1_3gpuE5ELNS1_3repE0EEENS1_30default_config_static_selectorELNS0_4arch9wavefront6targetE1EEEvSM_,"axG",@progbits,_ZN7rocprim17ROCPRIM_400000_NS6detail17trampoline_kernelINS0_14default_configENS1_37merge_sort_block_sort_config_selectorIlNS0_10empty_typeEEEZNS1_21merge_sort_block_sortIS3_PlS8_PS5_S9_ZN2at6native12_GLOBAL__N_124unique_dim_cuda_templateImEESt5tupleIJNSA_6TensorESF_SF_EERKSF_lbbbEUlllE_EE10hipError_tT0_T1_T2_T3_mRjT4_P12ihipStream_tbNS1_7vsmem_tEEUlT_E_NS1_11comp_targetILNS1_3genE10ELNS1_11target_archE1201ELNS1_3gpuE5ELNS1_3repE0EEENS1_30default_config_static_selectorELNS0_4arch9wavefront6targetE1EEEvSM_,comdat
	.globl	_ZN7rocprim17ROCPRIM_400000_NS6detail17trampoline_kernelINS0_14default_configENS1_37merge_sort_block_sort_config_selectorIlNS0_10empty_typeEEEZNS1_21merge_sort_block_sortIS3_PlS8_PS5_S9_ZN2at6native12_GLOBAL__N_124unique_dim_cuda_templateImEESt5tupleIJNSA_6TensorESF_SF_EERKSF_lbbbEUlllE_EE10hipError_tT0_T1_T2_T3_mRjT4_P12ihipStream_tbNS1_7vsmem_tEEUlT_E_NS1_11comp_targetILNS1_3genE10ELNS1_11target_archE1201ELNS1_3gpuE5ELNS1_3repE0EEENS1_30default_config_static_selectorELNS0_4arch9wavefront6targetE1EEEvSM_ ; -- Begin function _ZN7rocprim17ROCPRIM_400000_NS6detail17trampoline_kernelINS0_14default_configENS1_37merge_sort_block_sort_config_selectorIlNS0_10empty_typeEEEZNS1_21merge_sort_block_sortIS3_PlS8_PS5_S9_ZN2at6native12_GLOBAL__N_124unique_dim_cuda_templateImEESt5tupleIJNSA_6TensorESF_SF_EERKSF_lbbbEUlllE_EE10hipError_tT0_T1_T2_T3_mRjT4_P12ihipStream_tbNS1_7vsmem_tEEUlT_E_NS1_11comp_targetILNS1_3genE10ELNS1_11target_archE1201ELNS1_3gpuE5ELNS1_3repE0EEENS1_30default_config_static_selectorELNS0_4arch9wavefront6targetE1EEEvSM_
	.p2align	8
	.type	_ZN7rocprim17ROCPRIM_400000_NS6detail17trampoline_kernelINS0_14default_configENS1_37merge_sort_block_sort_config_selectorIlNS0_10empty_typeEEEZNS1_21merge_sort_block_sortIS3_PlS8_PS5_S9_ZN2at6native12_GLOBAL__N_124unique_dim_cuda_templateImEESt5tupleIJNSA_6TensorESF_SF_EERKSF_lbbbEUlllE_EE10hipError_tT0_T1_T2_T3_mRjT4_P12ihipStream_tbNS1_7vsmem_tEEUlT_E_NS1_11comp_targetILNS1_3genE10ELNS1_11target_archE1201ELNS1_3gpuE5ELNS1_3repE0EEENS1_30default_config_static_selectorELNS0_4arch9wavefront6targetE1EEEvSM_,@function
_ZN7rocprim17ROCPRIM_400000_NS6detail17trampoline_kernelINS0_14default_configENS1_37merge_sort_block_sort_config_selectorIlNS0_10empty_typeEEEZNS1_21merge_sort_block_sortIS3_PlS8_PS5_S9_ZN2at6native12_GLOBAL__N_124unique_dim_cuda_templateImEESt5tupleIJNSA_6TensorESF_SF_EERKSF_lbbbEUlllE_EE10hipError_tT0_T1_T2_T3_mRjT4_P12ihipStream_tbNS1_7vsmem_tEEUlT_E_NS1_11comp_targetILNS1_3genE10ELNS1_11target_archE1201ELNS1_3gpuE5ELNS1_3repE0EEENS1_30default_config_static_selectorELNS0_4arch9wavefront6targetE1EEEvSM_: ; @_ZN7rocprim17ROCPRIM_400000_NS6detail17trampoline_kernelINS0_14default_configENS1_37merge_sort_block_sort_config_selectorIlNS0_10empty_typeEEEZNS1_21merge_sort_block_sortIS3_PlS8_PS5_S9_ZN2at6native12_GLOBAL__N_124unique_dim_cuda_templateImEESt5tupleIJNSA_6TensorESF_SF_EERKSF_lbbbEUlllE_EE10hipError_tT0_T1_T2_T3_mRjT4_P12ihipStream_tbNS1_7vsmem_tEEUlT_E_NS1_11comp_targetILNS1_3genE10ELNS1_11target_archE1201ELNS1_3gpuE5ELNS1_3repE0EEENS1_30default_config_static_selectorELNS0_4arch9wavefront6targetE1EEEvSM_
; %bb.0:
	.section	.rodata,"a",@progbits
	.p2align	6, 0x0
	.amdhsa_kernel _ZN7rocprim17ROCPRIM_400000_NS6detail17trampoline_kernelINS0_14default_configENS1_37merge_sort_block_sort_config_selectorIlNS0_10empty_typeEEEZNS1_21merge_sort_block_sortIS3_PlS8_PS5_S9_ZN2at6native12_GLOBAL__N_124unique_dim_cuda_templateImEESt5tupleIJNSA_6TensorESF_SF_EERKSF_lbbbEUlllE_EE10hipError_tT0_T1_T2_T3_mRjT4_P12ihipStream_tbNS1_7vsmem_tEEUlT_E_NS1_11comp_targetILNS1_3genE10ELNS1_11target_archE1201ELNS1_3gpuE5ELNS1_3repE0EEENS1_30default_config_static_selectorELNS0_4arch9wavefront6targetE1EEEvSM_
		.amdhsa_group_segment_fixed_size 0
		.amdhsa_private_segment_fixed_size 0
		.amdhsa_kernarg_size 72
		.amdhsa_user_sgpr_count 2
		.amdhsa_user_sgpr_dispatch_ptr 0
		.amdhsa_user_sgpr_queue_ptr 0
		.amdhsa_user_sgpr_kernarg_segment_ptr 1
		.amdhsa_user_sgpr_dispatch_id 0
		.amdhsa_user_sgpr_kernarg_preload_length 0
		.amdhsa_user_sgpr_kernarg_preload_offset 0
		.amdhsa_user_sgpr_private_segment_size 0
		.amdhsa_uses_dynamic_stack 0
		.amdhsa_enable_private_segment 0
		.amdhsa_system_sgpr_workgroup_id_x 1
		.amdhsa_system_sgpr_workgroup_id_y 0
		.amdhsa_system_sgpr_workgroup_id_z 0
		.amdhsa_system_sgpr_workgroup_info 0
		.amdhsa_system_vgpr_workitem_id 0
		.amdhsa_next_free_vgpr 1
		.amdhsa_next_free_sgpr 0
		.amdhsa_accum_offset 4
		.amdhsa_reserve_vcc 0
		.amdhsa_float_round_mode_32 0
		.amdhsa_float_round_mode_16_64 0
		.amdhsa_float_denorm_mode_32 3
		.amdhsa_float_denorm_mode_16_64 3
		.amdhsa_dx10_clamp 1
		.amdhsa_ieee_mode 1
		.amdhsa_fp16_overflow 0
		.amdhsa_tg_split 0
		.amdhsa_exception_fp_ieee_invalid_op 0
		.amdhsa_exception_fp_denorm_src 0
		.amdhsa_exception_fp_ieee_div_zero 0
		.amdhsa_exception_fp_ieee_overflow 0
		.amdhsa_exception_fp_ieee_underflow 0
		.amdhsa_exception_fp_ieee_inexact 0
		.amdhsa_exception_int_div_zero 0
	.end_amdhsa_kernel
	.section	.text._ZN7rocprim17ROCPRIM_400000_NS6detail17trampoline_kernelINS0_14default_configENS1_37merge_sort_block_sort_config_selectorIlNS0_10empty_typeEEEZNS1_21merge_sort_block_sortIS3_PlS8_PS5_S9_ZN2at6native12_GLOBAL__N_124unique_dim_cuda_templateImEESt5tupleIJNSA_6TensorESF_SF_EERKSF_lbbbEUlllE_EE10hipError_tT0_T1_T2_T3_mRjT4_P12ihipStream_tbNS1_7vsmem_tEEUlT_E_NS1_11comp_targetILNS1_3genE10ELNS1_11target_archE1201ELNS1_3gpuE5ELNS1_3repE0EEENS1_30default_config_static_selectorELNS0_4arch9wavefront6targetE1EEEvSM_,"axG",@progbits,_ZN7rocprim17ROCPRIM_400000_NS6detail17trampoline_kernelINS0_14default_configENS1_37merge_sort_block_sort_config_selectorIlNS0_10empty_typeEEEZNS1_21merge_sort_block_sortIS3_PlS8_PS5_S9_ZN2at6native12_GLOBAL__N_124unique_dim_cuda_templateImEESt5tupleIJNSA_6TensorESF_SF_EERKSF_lbbbEUlllE_EE10hipError_tT0_T1_T2_T3_mRjT4_P12ihipStream_tbNS1_7vsmem_tEEUlT_E_NS1_11comp_targetILNS1_3genE10ELNS1_11target_archE1201ELNS1_3gpuE5ELNS1_3repE0EEENS1_30default_config_static_selectorELNS0_4arch9wavefront6targetE1EEEvSM_,comdat
.Lfunc_end1621:
	.size	_ZN7rocprim17ROCPRIM_400000_NS6detail17trampoline_kernelINS0_14default_configENS1_37merge_sort_block_sort_config_selectorIlNS0_10empty_typeEEEZNS1_21merge_sort_block_sortIS3_PlS8_PS5_S9_ZN2at6native12_GLOBAL__N_124unique_dim_cuda_templateImEESt5tupleIJNSA_6TensorESF_SF_EERKSF_lbbbEUlllE_EE10hipError_tT0_T1_T2_T3_mRjT4_P12ihipStream_tbNS1_7vsmem_tEEUlT_E_NS1_11comp_targetILNS1_3genE10ELNS1_11target_archE1201ELNS1_3gpuE5ELNS1_3repE0EEENS1_30default_config_static_selectorELNS0_4arch9wavefront6targetE1EEEvSM_, .Lfunc_end1621-_ZN7rocprim17ROCPRIM_400000_NS6detail17trampoline_kernelINS0_14default_configENS1_37merge_sort_block_sort_config_selectorIlNS0_10empty_typeEEEZNS1_21merge_sort_block_sortIS3_PlS8_PS5_S9_ZN2at6native12_GLOBAL__N_124unique_dim_cuda_templateImEESt5tupleIJNSA_6TensorESF_SF_EERKSF_lbbbEUlllE_EE10hipError_tT0_T1_T2_T3_mRjT4_P12ihipStream_tbNS1_7vsmem_tEEUlT_E_NS1_11comp_targetILNS1_3genE10ELNS1_11target_archE1201ELNS1_3gpuE5ELNS1_3repE0EEENS1_30default_config_static_selectorELNS0_4arch9wavefront6targetE1EEEvSM_
                                        ; -- End function
	.section	.AMDGPU.csdata,"",@progbits
; Kernel info:
; codeLenInByte = 0
; NumSgprs: 6
; NumVgprs: 0
; NumAgprs: 0
; TotalNumVgprs: 0
; ScratchSize: 0
; MemoryBound: 0
; FloatMode: 240
; IeeeMode: 1
; LDSByteSize: 0 bytes/workgroup (compile time only)
; SGPRBlocks: 0
; VGPRBlocks: 0
; NumSGPRsForWavesPerEU: 6
; NumVGPRsForWavesPerEU: 1
; AccumOffset: 4
; Occupancy: 8
; WaveLimiterHint : 0
; COMPUTE_PGM_RSRC2:SCRATCH_EN: 0
; COMPUTE_PGM_RSRC2:USER_SGPR: 2
; COMPUTE_PGM_RSRC2:TRAP_HANDLER: 0
; COMPUTE_PGM_RSRC2:TGID_X_EN: 1
; COMPUTE_PGM_RSRC2:TGID_Y_EN: 0
; COMPUTE_PGM_RSRC2:TGID_Z_EN: 0
; COMPUTE_PGM_RSRC2:TIDIG_COMP_CNT: 0
; COMPUTE_PGM_RSRC3_GFX90A:ACCUM_OFFSET: 0
; COMPUTE_PGM_RSRC3_GFX90A:TG_SPLIT: 0
	.section	.text._ZN7rocprim17ROCPRIM_400000_NS6detail17trampoline_kernelINS0_14default_configENS1_37merge_sort_block_sort_config_selectorIlNS0_10empty_typeEEEZNS1_21merge_sort_block_sortIS3_PlS8_PS5_S9_ZN2at6native12_GLOBAL__N_124unique_dim_cuda_templateImEESt5tupleIJNSA_6TensorESF_SF_EERKSF_lbbbEUlllE_EE10hipError_tT0_T1_T2_T3_mRjT4_P12ihipStream_tbNS1_7vsmem_tEEUlT_E_NS1_11comp_targetILNS1_3genE10ELNS1_11target_archE1200ELNS1_3gpuE4ELNS1_3repE0EEENS1_30default_config_static_selectorELNS0_4arch9wavefront6targetE1EEEvSM_,"axG",@progbits,_ZN7rocprim17ROCPRIM_400000_NS6detail17trampoline_kernelINS0_14default_configENS1_37merge_sort_block_sort_config_selectorIlNS0_10empty_typeEEEZNS1_21merge_sort_block_sortIS3_PlS8_PS5_S9_ZN2at6native12_GLOBAL__N_124unique_dim_cuda_templateImEESt5tupleIJNSA_6TensorESF_SF_EERKSF_lbbbEUlllE_EE10hipError_tT0_T1_T2_T3_mRjT4_P12ihipStream_tbNS1_7vsmem_tEEUlT_E_NS1_11comp_targetILNS1_3genE10ELNS1_11target_archE1200ELNS1_3gpuE4ELNS1_3repE0EEENS1_30default_config_static_selectorELNS0_4arch9wavefront6targetE1EEEvSM_,comdat
	.globl	_ZN7rocprim17ROCPRIM_400000_NS6detail17trampoline_kernelINS0_14default_configENS1_37merge_sort_block_sort_config_selectorIlNS0_10empty_typeEEEZNS1_21merge_sort_block_sortIS3_PlS8_PS5_S9_ZN2at6native12_GLOBAL__N_124unique_dim_cuda_templateImEESt5tupleIJNSA_6TensorESF_SF_EERKSF_lbbbEUlllE_EE10hipError_tT0_T1_T2_T3_mRjT4_P12ihipStream_tbNS1_7vsmem_tEEUlT_E_NS1_11comp_targetILNS1_3genE10ELNS1_11target_archE1200ELNS1_3gpuE4ELNS1_3repE0EEENS1_30default_config_static_selectorELNS0_4arch9wavefront6targetE1EEEvSM_ ; -- Begin function _ZN7rocprim17ROCPRIM_400000_NS6detail17trampoline_kernelINS0_14default_configENS1_37merge_sort_block_sort_config_selectorIlNS0_10empty_typeEEEZNS1_21merge_sort_block_sortIS3_PlS8_PS5_S9_ZN2at6native12_GLOBAL__N_124unique_dim_cuda_templateImEESt5tupleIJNSA_6TensorESF_SF_EERKSF_lbbbEUlllE_EE10hipError_tT0_T1_T2_T3_mRjT4_P12ihipStream_tbNS1_7vsmem_tEEUlT_E_NS1_11comp_targetILNS1_3genE10ELNS1_11target_archE1200ELNS1_3gpuE4ELNS1_3repE0EEENS1_30default_config_static_selectorELNS0_4arch9wavefront6targetE1EEEvSM_
	.p2align	8
	.type	_ZN7rocprim17ROCPRIM_400000_NS6detail17trampoline_kernelINS0_14default_configENS1_37merge_sort_block_sort_config_selectorIlNS0_10empty_typeEEEZNS1_21merge_sort_block_sortIS3_PlS8_PS5_S9_ZN2at6native12_GLOBAL__N_124unique_dim_cuda_templateImEESt5tupleIJNSA_6TensorESF_SF_EERKSF_lbbbEUlllE_EE10hipError_tT0_T1_T2_T3_mRjT4_P12ihipStream_tbNS1_7vsmem_tEEUlT_E_NS1_11comp_targetILNS1_3genE10ELNS1_11target_archE1200ELNS1_3gpuE4ELNS1_3repE0EEENS1_30default_config_static_selectorELNS0_4arch9wavefront6targetE1EEEvSM_,@function
_ZN7rocprim17ROCPRIM_400000_NS6detail17trampoline_kernelINS0_14default_configENS1_37merge_sort_block_sort_config_selectorIlNS0_10empty_typeEEEZNS1_21merge_sort_block_sortIS3_PlS8_PS5_S9_ZN2at6native12_GLOBAL__N_124unique_dim_cuda_templateImEESt5tupleIJNSA_6TensorESF_SF_EERKSF_lbbbEUlllE_EE10hipError_tT0_T1_T2_T3_mRjT4_P12ihipStream_tbNS1_7vsmem_tEEUlT_E_NS1_11comp_targetILNS1_3genE10ELNS1_11target_archE1200ELNS1_3gpuE4ELNS1_3repE0EEENS1_30default_config_static_selectorELNS0_4arch9wavefront6targetE1EEEvSM_: ; @_ZN7rocprim17ROCPRIM_400000_NS6detail17trampoline_kernelINS0_14default_configENS1_37merge_sort_block_sort_config_selectorIlNS0_10empty_typeEEEZNS1_21merge_sort_block_sortIS3_PlS8_PS5_S9_ZN2at6native12_GLOBAL__N_124unique_dim_cuda_templateImEESt5tupleIJNSA_6TensorESF_SF_EERKSF_lbbbEUlllE_EE10hipError_tT0_T1_T2_T3_mRjT4_P12ihipStream_tbNS1_7vsmem_tEEUlT_E_NS1_11comp_targetILNS1_3genE10ELNS1_11target_archE1200ELNS1_3gpuE4ELNS1_3repE0EEENS1_30default_config_static_selectorELNS0_4arch9wavefront6targetE1EEEvSM_
; %bb.0:
	.section	.rodata,"a",@progbits
	.p2align	6, 0x0
	.amdhsa_kernel _ZN7rocprim17ROCPRIM_400000_NS6detail17trampoline_kernelINS0_14default_configENS1_37merge_sort_block_sort_config_selectorIlNS0_10empty_typeEEEZNS1_21merge_sort_block_sortIS3_PlS8_PS5_S9_ZN2at6native12_GLOBAL__N_124unique_dim_cuda_templateImEESt5tupleIJNSA_6TensorESF_SF_EERKSF_lbbbEUlllE_EE10hipError_tT0_T1_T2_T3_mRjT4_P12ihipStream_tbNS1_7vsmem_tEEUlT_E_NS1_11comp_targetILNS1_3genE10ELNS1_11target_archE1200ELNS1_3gpuE4ELNS1_3repE0EEENS1_30default_config_static_selectorELNS0_4arch9wavefront6targetE1EEEvSM_
		.amdhsa_group_segment_fixed_size 0
		.amdhsa_private_segment_fixed_size 0
		.amdhsa_kernarg_size 72
		.amdhsa_user_sgpr_count 2
		.amdhsa_user_sgpr_dispatch_ptr 0
		.amdhsa_user_sgpr_queue_ptr 0
		.amdhsa_user_sgpr_kernarg_segment_ptr 1
		.amdhsa_user_sgpr_dispatch_id 0
		.amdhsa_user_sgpr_kernarg_preload_length 0
		.amdhsa_user_sgpr_kernarg_preload_offset 0
		.amdhsa_user_sgpr_private_segment_size 0
		.amdhsa_uses_dynamic_stack 0
		.amdhsa_enable_private_segment 0
		.amdhsa_system_sgpr_workgroup_id_x 1
		.amdhsa_system_sgpr_workgroup_id_y 0
		.amdhsa_system_sgpr_workgroup_id_z 0
		.amdhsa_system_sgpr_workgroup_info 0
		.amdhsa_system_vgpr_workitem_id 0
		.amdhsa_next_free_vgpr 1
		.amdhsa_next_free_sgpr 0
		.amdhsa_accum_offset 4
		.amdhsa_reserve_vcc 0
		.amdhsa_float_round_mode_32 0
		.amdhsa_float_round_mode_16_64 0
		.amdhsa_float_denorm_mode_32 3
		.amdhsa_float_denorm_mode_16_64 3
		.amdhsa_dx10_clamp 1
		.amdhsa_ieee_mode 1
		.amdhsa_fp16_overflow 0
		.amdhsa_tg_split 0
		.amdhsa_exception_fp_ieee_invalid_op 0
		.amdhsa_exception_fp_denorm_src 0
		.amdhsa_exception_fp_ieee_div_zero 0
		.amdhsa_exception_fp_ieee_overflow 0
		.amdhsa_exception_fp_ieee_underflow 0
		.amdhsa_exception_fp_ieee_inexact 0
		.amdhsa_exception_int_div_zero 0
	.end_amdhsa_kernel
	.section	.text._ZN7rocprim17ROCPRIM_400000_NS6detail17trampoline_kernelINS0_14default_configENS1_37merge_sort_block_sort_config_selectorIlNS0_10empty_typeEEEZNS1_21merge_sort_block_sortIS3_PlS8_PS5_S9_ZN2at6native12_GLOBAL__N_124unique_dim_cuda_templateImEESt5tupleIJNSA_6TensorESF_SF_EERKSF_lbbbEUlllE_EE10hipError_tT0_T1_T2_T3_mRjT4_P12ihipStream_tbNS1_7vsmem_tEEUlT_E_NS1_11comp_targetILNS1_3genE10ELNS1_11target_archE1200ELNS1_3gpuE4ELNS1_3repE0EEENS1_30default_config_static_selectorELNS0_4arch9wavefront6targetE1EEEvSM_,"axG",@progbits,_ZN7rocprim17ROCPRIM_400000_NS6detail17trampoline_kernelINS0_14default_configENS1_37merge_sort_block_sort_config_selectorIlNS0_10empty_typeEEEZNS1_21merge_sort_block_sortIS3_PlS8_PS5_S9_ZN2at6native12_GLOBAL__N_124unique_dim_cuda_templateImEESt5tupleIJNSA_6TensorESF_SF_EERKSF_lbbbEUlllE_EE10hipError_tT0_T1_T2_T3_mRjT4_P12ihipStream_tbNS1_7vsmem_tEEUlT_E_NS1_11comp_targetILNS1_3genE10ELNS1_11target_archE1200ELNS1_3gpuE4ELNS1_3repE0EEENS1_30default_config_static_selectorELNS0_4arch9wavefront6targetE1EEEvSM_,comdat
.Lfunc_end1622:
	.size	_ZN7rocprim17ROCPRIM_400000_NS6detail17trampoline_kernelINS0_14default_configENS1_37merge_sort_block_sort_config_selectorIlNS0_10empty_typeEEEZNS1_21merge_sort_block_sortIS3_PlS8_PS5_S9_ZN2at6native12_GLOBAL__N_124unique_dim_cuda_templateImEESt5tupleIJNSA_6TensorESF_SF_EERKSF_lbbbEUlllE_EE10hipError_tT0_T1_T2_T3_mRjT4_P12ihipStream_tbNS1_7vsmem_tEEUlT_E_NS1_11comp_targetILNS1_3genE10ELNS1_11target_archE1200ELNS1_3gpuE4ELNS1_3repE0EEENS1_30default_config_static_selectorELNS0_4arch9wavefront6targetE1EEEvSM_, .Lfunc_end1622-_ZN7rocprim17ROCPRIM_400000_NS6detail17trampoline_kernelINS0_14default_configENS1_37merge_sort_block_sort_config_selectorIlNS0_10empty_typeEEEZNS1_21merge_sort_block_sortIS3_PlS8_PS5_S9_ZN2at6native12_GLOBAL__N_124unique_dim_cuda_templateImEESt5tupleIJNSA_6TensorESF_SF_EERKSF_lbbbEUlllE_EE10hipError_tT0_T1_T2_T3_mRjT4_P12ihipStream_tbNS1_7vsmem_tEEUlT_E_NS1_11comp_targetILNS1_3genE10ELNS1_11target_archE1200ELNS1_3gpuE4ELNS1_3repE0EEENS1_30default_config_static_selectorELNS0_4arch9wavefront6targetE1EEEvSM_
                                        ; -- End function
	.section	.AMDGPU.csdata,"",@progbits
; Kernel info:
; codeLenInByte = 0
; NumSgprs: 6
; NumVgprs: 0
; NumAgprs: 0
; TotalNumVgprs: 0
; ScratchSize: 0
; MemoryBound: 0
; FloatMode: 240
; IeeeMode: 1
; LDSByteSize: 0 bytes/workgroup (compile time only)
; SGPRBlocks: 0
; VGPRBlocks: 0
; NumSGPRsForWavesPerEU: 6
; NumVGPRsForWavesPerEU: 1
; AccumOffset: 4
; Occupancy: 8
; WaveLimiterHint : 0
; COMPUTE_PGM_RSRC2:SCRATCH_EN: 0
; COMPUTE_PGM_RSRC2:USER_SGPR: 2
; COMPUTE_PGM_RSRC2:TRAP_HANDLER: 0
; COMPUTE_PGM_RSRC2:TGID_X_EN: 1
; COMPUTE_PGM_RSRC2:TGID_Y_EN: 0
; COMPUTE_PGM_RSRC2:TGID_Z_EN: 0
; COMPUTE_PGM_RSRC2:TIDIG_COMP_CNT: 0
; COMPUTE_PGM_RSRC3_GFX90A:ACCUM_OFFSET: 0
; COMPUTE_PGM_RSRC3_GFX90A:TG_SPLIT: 0
	.section	.text._ZN7rocprim17ROCPRIM_400000_NS6detail17trampoline_kernelINS0_14default_configENS1_37merge_sort_block_sort_config_selectorIlNS0_10empty_typeEEEZNS1_21merge_sort_block_sortIS3_PlS8_PS5_S9_ZN2at6native12_GLOBAL__N_124unique_dim_cuda_templateImEESt5tupleIJNSA_6TensorESF_SF_EERKSF_lbbbEUlllE_EE10hipError_tT0_T1_T2_T3_mRjT4_P12ihipStream_tbNS1_7vsmem_tEEUlT_E_NS1_11comp_targetILNS1_3genE9ELNS1_11target_archE1100ELNS1_3gpuE3ELNS1_3repE0EEENS1_30default_config_static_selectorELNS0_4arch9wavefront6targetE1EEEvSM_,"axG",@progbits,_ZN7rocprim17ROCPRIM_400000_NS6detail17trampoline_kernelINS0_14default_configENS1_37merge_sort_block_sort_config_selectorIlNS0_10empty_typeEEEZNS1_21merge_sort_block_sortIS3_PlS8_PS5_S9_ZN2at6native12_GLOBAL__N_124unique_dim_cuda_templateImEESt5tupleIJNSA_6TensorESF_SF_EERKSF_lbbbEUlllE_EE10hipError_tT0_T1_T2_T3_mRjT4_P12ihipStream_tbNS1_7vsmem_tEEUlT_E_NS1_11comp_targetILNS1_3genE9ELNS1_11target_archE1100ELNS1_3gpuE3ELNS1_3repE0EEENS1_30default_config_static_selectorELNS0_4arch9wavefront6targetE1EEEvSM_,comdat
	.globl	_ZN7rocprim17ROCPRIM_400000_NS6detail17trampoline_kernelINS0_14default_configENS1_37merge_sort_block_sort_config_selectorIlNS0_10empty_typeEEEZNS1_21merge_sort_block_sortIS3_PlS8_PS5_S9_ZN2at6native12_GLOBAL__N_124unique_dim_cuda_templateImEESt5tupleIJNSA_6TensorESF_SF_EERKSF_lbbbEUlllE_EE10hipError_tT0_T1_T2_T3_mRjT4_P12ihipStream_tbNS1_7vsmem_tEEUlT_E_NS1_11comp_targetILNS1_3genE9ELNS1_11target_archE1100ELNS1_3gpuE3ELNS1_3repE0EEENS1_30default_config_static_selectorELNS0_4arch9wavefront6targetE1EEEvSM_ ; -- Begin function _ZN7rocprim17ROCPRIM_400000_NS6detail17trampoline_kernelINS0_14default_configENS1_37merge_sort_block_sort_config_selectorIlNS0_10empty_typeEEEZNS1_21merge_sort_block_sortIS3_PlS8_PS5_S9_ZN2at6native12_GLOBAL__N_124unique_dim_cuda_templateImEESt5tupleIJNSA_6TensorESF_SF_EERKSF_lbbbEUlllE_EE10hipError_tT0_T1_T2_T3_mRjT4_P12ihipStream_tbNS1_7vsmem_tEEUlT_E_NS1_11comp_targetILNS1_3genE9ELNS1_11target_archE1100ELNS1_3gpuE3ELNS1_3repE0EEENS1_30default_config_static_selectorELNS0_4arch9wavefront6targetE1EEEvSM_
	.p2align	8
	.type	_ZN7rocprim17ROCPRIM_400000_NS6detail17trampoline_kernelINS0_14default_configENS1_37merge_sort_block_sort_config_selectorIlNS0_10empty_typeEEEZNS1_21merge_sort_block_sortIS3_PlS8_PS5_S9_ZN2at6native12_GLOBAL__N_124unique_dim_cuda_templateImEESt5tupleIJNSA_6TensorESF_SF_EERKSF_lbbbEUlllE_EE10hipError_tT0_T1_T2_T3_mRjT4_P12ihipStream_tbNS1_7vsmem_tEEUlT_E_NS1_11comp_targetILNS1_3genE9ELNS1_11target_archE1100ELNS1_3gpuE3ELNS1_3repE0EEENS1_30default_config_static_selectorELNS0_4arch9wavefront6targetE1EEEvSM_,@function
_ZN7rocprim17ROCPRIM_400000_NS6detail17trampoline_kernelINS0_14default_configENS1_37merge_sort_block_sort_config_selectorIlNS0_10empty_typeEEEZNS1_21merge_sort_block_sortIS3_PlS8_PS5_S9_ZN2at6native12_GLOBAL__N_124unique_dim_cuda_templateImEESt5tupleIJNSA_6TensorESF_SF_EERKSF_lbbbEUlllE_EE10hipError_tT0_T1_T2_T3_mRjT4_P12ihipStream_tbNS1_7vsmem_tEEUlT_E_NS1_11comp_targetILNS1_3genE9ELNS1_11target_archE1100ELNS1_3gpuE3ELNS1_3repE0EEENS1_30default_config_static_selectorELNS0_4arch9wavefront6targetE1EEEvSM_: ; @_ZN7rocprim17ROCPRIM_400000_NS6detail17trampoline_kernelINS0_14default_configENS1_37merge_sort_block_sort_config_selectorIlNS0_10empty_typeEEEZNS1_21merge_sort_block_sortIS3_PlS8_PS5_S9_ZN2at6native12_GLOBAL__N_124unique_dim_cuda_templateImEESt5tupleIJNSA_6TensorESF_SF_EERKSF_lbbbEUlllE_EE10hipError_tT0_T1_T2_T3_mRjT4_P12ihipStream_tbNS1_7vsmem_tEEUlT_E_NS1_11comp_targetILNS1_3genE9ELNS1_11target_archE1100ELNS1_3gpuE3ELNS1_3repE0EEENS1_30default_config_static_selectorELNS0_4arch9wavefront6targetE1EEEvSM_
; %bb.0:
	.section	.rodata,"a",@progbits
	.p2align	6, 0x0
	.amdhsa_kernel _ZN7rocprim17ROCPRIM_400000_NS6detail17trampoline_kernelINS0_14default_configENS1_37merge_sort_block_sort_config_selectorIlNS0_10empty_typeEEEZNS1_21merge_sort_block_sortIS3_PlS8_PS5_S9_ZN2at6native12_GLOBAL__N_124unique_dim_cuda_templateImEESt5tupleIJNSA_6TensorESF_SF_EERKSF_lbbbEUlllE_EE10hipError_tT0_T1_T2_T3_mRjT4_P12ihipStream_tbNS1_7vsmem_tEEUlT_E_NS1_11comp_targetILNS1_3genE9ELNS1_11target_archE1100ELNS1_3gpuE3ELNS1_3repE0EEENS1_30default_config_static_selectorELNS0_4arch9wavefront6targetE1EEEvSM_
		.amdhsa_group_segment_fixed_size 0
		.amdhsa_private_segment_fixed_size 0
		.amdhsa_kernarg_size 72
		.amdhsa_user_sgpr_count 2
		.amdhsa_user_sgpr_dispatch_ptr 0
		.amdhsa_user_sgpr_queue_ptr 0
		.amdhsa_user_sgpr_kernarg_segment_ptr 1
		.amdhsa_user_sgpr_dispatch_id 0
		.amdhsa_user_sgpr_kernarg_preload_length 0
		.amdhsa_user_sgpr_kernarg_preload_offset 0
		.amdhsa_user_sgpr_private_segment_size 0
		.amdhsa_uses_dynamic_stack 0
		.amdhsa_enable_private_segment 0
		.amdhsa_system_sgpr_workgroup_id_x 1
		.amdhsa_system_sgpr_workgroup_id_y 0
		.amdhsa_system_sgpr_workgroup_id_z 0
		.amdhsa_system_sgpr_workgroup_info 0
		.amdhsa_system_vgpr_workitem_id 0
		.amdhsa_next_free_vgpr 1
		.amdhsa_next_free_sgpr 0
		.amdhsa_accum_offset 4
		.amdhsa_reserve_vcc 0
		.amdhsa_float_round_mode_32 0
		.amdhsa_float_round_mode_16_64 0
		.amdhsa_float_denorm_mode_32 3
		.amdhsa_float_denorm_mode_16_64 3
		.amdhsa_dx10_clamp 1
		.amdhsa_ieee_mode 1
		.amdhsa_fp16_overflow 0
		.amdhsa_tg_split 0
		.amdhsa_exception_fp_ieee_invalid_op 0
		.amdhsa_exception_fp_denorm_src 0
		.amdhsa_exception_fp_ieee_div_zero 0
		.amdhsa_exception_fp_ieee_overflow 0
		.amdhsa_exception_fp_ieee_underflow 0
		.amdhsa_exception_fp_ieee_inexact 0
		.amdhsa_exception_int_div_zero 0
	.end_amdhsa_kernel
	.section	.text._ZN7rocprim17ROCPRIM_400000_NS6detail17trampoline_kernelINS0_14default_configENS1_37merge_sort_block_sort_config_selectorIlNS0_10empty_typeEEEZNS1_21merge_sort_block_sortIS3_PlS8_PS5_S9_ZN2at6native12_GLOBAL__N_124unique_dim_cuda_templateImEESt5tupleIJNSA_6TensorESF_SF_EERKSF_lbbbEUlllE_EE10hipError_tT0_T1_T2_T3_mRjT4_P12ihipStream_tbNS1_7vsmem_tEEUlT_E_NS1_11comp_targetILNS1_3genE9ELNS1_11target_archE1100ELNS1_3gpuE3ELNS1_3repE0EEENS1_30default_config_static_selectorELNS0_4arch9wavefront6targetE1EEEvSM_,"axG",@progbits,_ZN7rocprim17ROCPRIM_400000_NS6detail17trampoline_kernelINS0_14default_configENS1_37merge_sort_block_sort_config_selectorIlNS0_10empty_typeEEEZNS1_21merge_sort_block_sortIS3_PlS8_PS5_S9_ZN2at6native12_GLOBAL__N_124unique_dim_cuda_templateImEESt5tupleIJNSA_6TensorESF_SF_EERKSF_lbbbEUlllE_EE10hipError_tT0_T1_T2_T3_mRjT4_P12ihipStream_tbNS1_7vsmem_tEEUlT_E_NS1_11comp_targetILNS1_3genE9ELNS1_11target_archE1100ELNS1_3gpuE3ELNS1_3repE0EEENS1_30default_config_static_selectorELNS0_4arch9wavefront6targetE1EEEvSM_,comdat
.Lfunc_end1623:
	.size	_ZN7rocprim17ROCPRIM_400000_NS6detail17trampoline_kernelINS0_14default_configENS1_37merge_sort_block_sort_config_selectorIlNS0_10empty_typeEEEZNS1_21merge_sort_block_sortIS3_PlS8_PS5_S9_ZN2at6native12_GLOBAL__N_124unique_dim_cuda_templateImEESt5tupleIJNSA_6TensorESF_SF_EERKSF_lbbbEUlllE_EE10hipError_tT0_T1_T2_T3_mRjT4_P12ihipStream_tbNS1_7vsmem_tEEUlT_E_NS1_11comp_targetILNS1_3genE9ELNS1_11target_archE1100ELNS1_3gpuE3ELNS1_3repE0EEENS1_30default_config_static_selectorELNS0_4arch9wavefront6targetE1EEEvSM_, .Lfunc_end1623-_ZN7rocprim17ROCPRIM_400000_NS6detail17trampoline_kernelINS0_14default_configENS1_37merge_sort_block_sort_config_selectorIlNS0_10empty_typeEEEZNS1_21merge_sort_block_sortIS3_PlS8_PS5_S9_ZN2at6native12_GLOBAL__N_124unique_dim_cuda_templateImEESt5tupleIJNSA_6TensorESF_SF_EERKSF_lbbbEUlllE_EE10hipError_tT0_T1_T2_T3_mRjT4_P12ihipStream_tbNS1_7vsmem_tEEUlT_E_NS1_11comp_targetILNS1_3genE9ELNS1_11target_archE1100ELNS1_3gpuE3ELNS1_3repE0EEENS1_30default_config_static_selectorELNS0_4arch9wavefront6targetE1EEEvSM_
                                        ; -- End function
	.section	.AMDGPU.csdata,"",@progbits
; Kernel info:
; codeLenInByte = 0
; NumSgprs: 6
; NumVgprs: 0
; NumAgprs: 0
; TotalNumVgprs: 0
; ScratchSize: 0
; MemoryBound: 0
; FloatMode: 240
; IeeeMode: 1
; LDSByteSize: 0 bytes/workgroup (compile time only)
; SGPRBlocks: 0
; VGPRBlocks: 0
; NumSGPRsForWavesPerEU: 6
; NumVGPRsForWavesPerEU: 1
; AccumOffset: 4
; Occupancy: 8
; WaveLimiterHint : 0
; COMPUTE_PGM_RSRC2:SCRATCH_EN: 0
; COMPUTE_PGM_RSRC2:USER_SGPR: 2
; COMPUTE_PGM_RSRC2:TRAP_HANDLER: 0
; COMPUTE_PGM_RSRC2:TGID_X_EN: 1
; COMPUTE_PGM_RSRC2:TGID_Y_EN: 0
; COMPUTE_PGM_RSRC2:TGID_Z_EN: 0
; COMPUTE_PGM_RSRC2:TIDIG_COMP_CNT: 0
; COMPUTE_PGM_RSRC3_GFX90A:ACCUM_OFFSET: 0
; COMPUTE_PGM_RSRC3_GFX90A:TG_SPLIT: 0
	.section	.text._ZN7rocprim17ROCPRIM_400000_NS6detail17trampoline_kernelINS0_14default_configENS1_37merge_sort_block_sort_config_selectorIlNS0_10empty_typeEEEZNS1_21merge_sort_block_sortIS3_PlS8_PS5_S9_ZN2at6native12_GLOBAL__N_124unique_dim_cuda_templateImEESt5tupleIJNSA_6TensorESF_SF_EERKSF_lbbbEUlllE_EE10hipError_tT0_T1_T2_T3_mRjT4_P12ihipStream_tbNS1_7vsmem_tEEUlT_E_NS1_11comp_targetILNS1_3genE8ELNS1_11target_archE1030ELNS1_3gpuE2ELNS1_3repE0EEENS1_30default_config_static_selectorELNS0_4arch9wavefront6targetE1EEEvSM_,"axG",@progbits,_ZN7rocprim17ROCPRIM_400000_NS6detail17trampoline_kernelINS0_14default_configENS1_37merge_sort_block_sort_config_selectorIlNS0_10empty_typeEEEZNS1_21merge_sort_block_sortIS3_PlS8_PS5_S9_ZN2at6native12_GLOBAL__N_124unique_dim_cuda_templateImEESt5tupleIJNSA_6TensorESF_SF_EERKSF_lbbbEUlllE_EE10hipError_tT0_T1_T2_T3_mRjT4_P12ihipStream_tbNS1_7vsmem_tEEUlT_E_NS1_11comp_targetILNS1_3genE8ELNS1_11target_archE1030ELNS1_3gpuE2ELNS1_3repE0EEENS1_30default_config_static_selectorELNS0_4arch9wavefront6targetE1EEEvSM_,comdat
	.globl	_ZN7rocprim17ROCPRIM_400000_NS6detail17trampoline_kernelINS0_14default_configENS1_37merge_sort_block_sort_config_selectorIlNS0_10empty_typeEEEZNS1_21merge_sort_block_sortIS3_PlS8_PS5_S9_ZN2at6native12_GLOBAL__N_124unique_dim_cuda_templateImEESt5tupleIJNSA_6TensorESF_SF_EERKSF_lbbbEUlllE_EE10hipError_tT0_T1_T2_T3_mRjT4_P12ihipStream_tbNS1_7vsmem_tEEUlT_E_NS1_11comp_targetILNS1_3genE8ELNS1_11target_archE1030ELNS1_3gpuE2ELNS1_3repE0EEENS1_30default_config_static_selectorELNS0_4arch9wavefront6targetE1EEEvSM_ ; -- Begin function _ZN7rocprim17ROCPRIM_400000_NS6detail17trampoline_kernelINS0_14default_configENS1_37merge_sort_block_sort_config_selectorIlNS0_10empty_typeEEEZNS1_21merge_sort_block_sortIS3_PlS8_PS5_S9_ZN2at6native12_GLOBAL__N_124unique_dim_cuda_templateImEESt5tupleIJNSA_6TensorESF_SF_EERKSF_lbbbEUlllE_EE10hipError_tT0_T1_T2_T3_mRjT4_P12ihipStream_tbNS1_7vsmem_tEEUlT_E_NS1_11comp_targetILNS1_3genE8ELNS1_11target_archE1030ELNS1_3gpuE2ELNS1_3repE0EEENS1_30default_config_static_selectorELNS0_4arch9wavefront6targetE1EEEvSM_
	.p2align	8
	.type	_ZN7rocprim17ROCPRIM_400000_NS6detail17trampoline_kernelINS0_14default_configENS1_37merge_sort_block_sort_config_selectorIlNS0_10empty_typeEEEZNS1_21merge_sort_block_sortIS3_PlS8_PS5_S9_ZN2at6native12_GLOBAL__N_124unique_dim_cuda_templateImEESt5tupleIJNSA_6TensorESF_SF_EERKSF_lbbbEUlllE_EE10hipError_tT0_T1_T2_T3_mRjT4_P12ihipStream_tbNS1_7vsmem_tEEUlT_E_NS1_11comp_targetILNS1_3genE8ELNS1_11target_archE1030ELNS1_3gpuE2ELNS1_3repE0EEENS1_30default_config_static_selectorELNS0_4arch9wavefront6targetE1EEEvSM_,@function
_ZN7rocprim17ROCPRIM_400000_NS6detail17trampoline_kernelINS0_14default_configENS1_37merge_sort_block_sort_config_selectorIlNS0_10empty_typeEEEZNS1_21merge_sort_block_sortIS3_PlS8_PS5_S9_ZN2at6native12_GLOBAL__N_124unique_dim_cuda_templateImEESt5tupleIJNSA_6TensorESF_SF_EERKSF_lbbbEUlllE_EE10hipError_tT0_T1_T2_T3_mRjT4_P12ihipStream_tbNS1_7vsmem_tEEUlT_E_NS1_11comp_targetILNS1_3genE8ELNS1_11target_archE1030ELNS1_3gpuE2ELNS1_3repE0EEENS1_30default_config_static_selectorELNS0_4arch9wavefront6targetE1EEEvSM_: ; @_ZN7rocprim17ROCPRIM_400000_NS6detail17trampoline_kernelINS0_14default_configENS1_37merge_sort_block_sort_config_selectorIlNS0_10empty_typeEEEZNS1_21merge_sort_block_sortIS3_PlS8_PS5_S9_ZN2at6native12_GLOBAL__N_124unique_dim_cuda_templateImEESt5tupleIJNSA_6TensorESF_SF_EERKSF_lbbbEUlllE_EE10hipError_tT0_T1_T2_T3_mRjT4_P12ihipStream_tbNS1_7vsmem_tEEUlT_E_NS1_11comp_targetILNS1_3genE8ELNS1_11target_archE1030ELNS1_3gpuE2ELNS1_3repE0EEENS1_30default_config_static_selectorELNS0_4arch9wavefront6targetE1EEEvSM_
; %bb.0:
	.section	.rodata,"a",@progbits
	.p2align	6, 0x0
	.amdhsa_kernel _ZN7rocprim17ROCPRIM_400000_NS6detail17trampoline_kernelINS0_14default_configENS1_37merge_sort_block_sort_config_selectorIlNS0_10empty_typeEEEZNS1_21merge_sort_block_sortIS3_PlS8_PS5_S9_ZN2at6native12_GLOBAL__N_124unique_dim_cuda_templateImEESt5tupleIJNSA_6TensorESF_SF_EERKSF_lbbbEUlllE_EE10hipError_tT0_T1_T2_T3_mRjT4_P12ihipStream_tbNS1_7vsmem_tEEUlT_E_NS1_11comp_targetILNS1_3genE8ELNS1_11target_archE1030ELNS1_3gpuE2ELNS1_3repE0EEENS1_30default_config_static_selectorELNS0_4arch9wavefront6targetE1EEEvSM_
		.amdhsa_group_segment_fixed_size 0
		.amdhsa_private_segment_fixed_size 0
		.amdhsa_kernarg_size 72
		.amdhsa_user_sgpr_count 2
		.amdhsa_user_sgpr_dispatch_ptr 0
		.amdhsa_user_sgpr_queue_ptr 0
		.amdhsa_user_sgpr_kernarg_segment_ptr 1
		.amdhsa_user_sgpr_dispatch_id 0
		.amdhsa_user_sgpr_kernarg_preload_length 0
		.amdhsa_user_sgpr_kernarg_preload_offset 0
		.amdhsa_user_sgpr_private_segment_size 0
		.amdhsa_uses_dynamic_stack 0
		.amdhsa_enable_private_segment 0
		.amdhsa_system_sgpr_workgroup_id_x 1
		.amdhsa_system_sgpr_workgroup_id_y 0
		.amdhsa_system_sgpr_workgroup_id_z 0
		.amdhsa_system_sgpr_workgroup_info 0
		.amdhsa_system_vgpr_workitem_id 0
		.amdhsa_next_free_vgpr 1
		.amdhsa_next_free_sgpr 0
		.amdhsa_accum_offset 4
		.amdhsa_reserve_vcc 0
		.amdhsa_float_round_mode_32 0
		.amdhsa_float_round_mode_16_64 0
		.amdhsa_float_denorm_mode_32 3
		.amdhsa_float_denorm_mode_16_64 3
		.amdhsa_dx10_clamp 1
		.amdhsa_ieee_mode 1
		.amdhsa_fp16_overflow 0
		.amdhsa_tg_split 0
		.amdhsa_exception_fp_ieee_invalid_op 0
		.amdhsa_exception_fp_denorm_src 0
		.amdhsa_exception_fp_ieee_div_zero 0
		.amdhsa_exception_fp_ieee_overflow 0
		.amdhsa_exception_fp_ieee_underflow 0
		.amdhsa_exception_fp_ieee_inexact 0
		.amdhsa_exception_int_div_zero 0
	.end_amdhsa_kernel
	.section	.text._ZN7rocprim17ROCPRIM_400000_NS6detail17trampoline_kernelINS0_14default_configENS1_37merge_sort_block_sort_config_selectorIlNS0_10empty_typeEEEZNS1_21merge_sort_block_sortIS3_PlS8_PS5_S9_ZN2at6native12_GLOBAL__N_124unique_dim_cuda_templateImEESt5tupleIJNSA_6TensorESF_SF_EERKSF_lbbbEUlllE_EE10hipError_tT0_T1_T2_T3_mRjT4_P12ihipStream_tbNS1_7vsmem_tEEUlT_E_NS1_11comp_targetILNS1_3genE8ELNS1_11target_archE1030ELNS1_3gpuE2ELNS1_3repE0EEENS1_30default_config_static_selectorELNS0_4arch9wavefront6targetE1EEEvSM_,"axG",@progbits,_ZN7rocprim17ROCPRIM_400000_NS6detail17trampoline_kernelINS0_14default_configENS1_37merge_sort_block_sort_config_selectorIlNS0_10empty_typeEEEZNS1_21merge_sort_block_sortIS3_PlS8_PS5_S9_ZN2at6native12_GLOBAL__N_124unique_dim_cuda_templateImEESt5tupleIJNSA_6TensorESF_SF_EERKSF_lbbbEUlllE_EE10hipError_tT0_T1_T2_T3_mRjT4_P12ihipStream_tbNS1_7vsmem_tEEUlT_E_NS1_11comp_targetILNS1_3genE8ELNS1_11target_archE1030ELNS1_3gpuE2ELNS1_3repE0EEENS1_30default_config_static_selectorELNS0_4arch9wavefront6targetE1EEEvSM_,comdat
.Lfunc_end1624:
	.size	_ZN7rocprim17ROCPRIM_400000_NS6detail17trampoline_kernelINS0_14default_configENS1_37merge_sort_block_sort_config_selectorIlNS0_10empty_typeEEEZNS1_21merge_sort_block_sortIS3_PlS8_PS5_S9_ZN2at6native12_GLOBAL__N_124unique_dim_cuda_templateImEESt5tupleIJNSA_6TensorESF_SF_EERKSF_lbbbEUlllE_EE10hipError_tT0_T1_T2_T3_mRjT4_P12ihipStream_tbNS1_7vsmem_tEEUlT_E_NS1_11comp_targetILNS1_3genE8ELNS1_11target_archE1030ELNS1_3gpuE2ELNS1_3repE0EEENS1_30default_config_static_selectorELNS0_4arch9wavefront6targetE1EEEvSM_, .Lfunc_end1624-_ZN7rocprim17ROCPRIM_400000_NS6detail17trampoline_kernelINS0_14default_configENS1_37merge_sort_block_sort_config_selectorIlNS0_10empty_typeEEEZNS1_21merge_sort_block_sortIS3_PlS8_PS5_S9_ZN2at6native12_GLOBAL__N_124unique_dim_cuda_templateImEESt5tupleIJNSA_6TensorESF_SF_EERKSF_lbbbEUlllE_EE10hipError_tT0_T1_T2_T3_mRjT4_P12ihipStream_tbNS1_7vsmem_tEEUlT_E_NS1_11comp_targetILNS1_3genE8ELNS1_11target_archE1030ELNS1_3gpuE2ELNS1_3repE0EEENS1_30default_config_static_selectorELNS0_4arch9wavefront6targetE1EEEvSM_
                                        ; -- End function
	.section	.AMDGPU.csdata,"",@progbits
; Kernel info:
; codeLenInByte = 0
; NumSgprs: 6
; NumVgprs: 0
; NumAgprs: 0
; TotalNumVgprs: 0
; ScratchSize: 0
; MemoryBound: 0
; FloatMode: 240
; IeeeMode: 1
; LDSByteSize: 0 bytes/workgroup (compile time only)
; SGPRBlocks: 0
; VGPRBlocks: 0
; NumSGPRsForWavesPerEU: 6
; NumVGPRsForWavesPerEU: 1
; AccumOffset: 4
; Occupancy: 8
; WaveLimiterHint : 0
; COMPUTE_PGM_RSRC2:SCRATCH_EN: 0
; COMPUTE_PGM_RSRC2:USER_SGPR: 2
; COMPUTE_PGM_RSRC2:TRAP_HANDLER: 0
; COMPUTE_PGM_RSRC2:TGID_X_EN: 1
; COMPUTE_PGM_RSRC2:TGID_Y_EN: 0
; COMPUTE_PGM_RSRC2:TGID_Z_EN: 0
; COMPUTE_PGM_RSRC2:TIDIG_COMP_CNT: 0
; COMPUTE_PGM_RSRC3_GFX90A:ACCUM_OFFSET: 0
; COMPUTE_PGM_RSRC3_GFX90A:TG_SPLIT: 0
	.section	.text._ZN7rocprim17ROCPRIM_400000_NS6detail17trampoline_kernelINS0_14default_configENS1_38merge_sort_block_merge_config_selectorIlNS0_10empty_typeEEEZZNS1_27merge_sort_block_merge_implIS3_PlPS5_mZN2at6native12_GLOBAL__N_124unique_dim_cuda_templateImEESt5tupleIJNSA_6TensorESF_SF_EERKSF_lbbbEUlllE_EE10hipError_tT0_T1_T2_jT3_P12ihipStream_tbPNSt15iterator_traitsISL_E10value_typeEPNSR_ISM_E10value_typeEPSN_NS1_7vsmem_tEENKUlT_SL_SM_SN_E_clIS8_S8_S9_S9_EESK_S10_SL_SM_SN_EUlS10_E_NS1_11comp_targetILNS1_3genE0ELNS1_11target_archE4294967295ELNS1_3gpuE0ELNS1_3repE0EEENS1_48merge_mergepath_partition_config_static_selectorELNS0_4arch9wavefront6targetE1EEEvSM_,"axG",@progbits,_ZN7rocprim17ROCPRIM_400000_NS6detail17trampoline_kernelINS0_14default_configENS1_38merge_sort_block_merge_config_selectorIlNS0_10empty_typeEEEZZNS1_27merge_sort_block_merge_implIS3_PlPS5_mZN2at6native12_GLOBAL__N_124unique_dim_cuda_templateImEESt5tupleIJNSA_6TensorESF_SF_EERKSF_lbbbEUlllE_EE10hipError_tT0_T1_T2_jT3_P12ihipStream_tbPNSt15iterator_traitsISL_E10value_typeEPNSR_ISM_E10value_typeEPSN_NS1_7vsmem_tEENKUlT_SL_SM_SN_E_clIS8_S8_S9_S9_EESK_S10_SL_SM_SN_EUlS10_E_NS1_11comp_targetILNS1_3genE0ELNS1_11target_archE4294967295ELNS1_3gpuE0ELNS1_3repE0EEENS1_48merge_mergepath_partition_config_static_selectorELNS0_4arch9wavefront6targetE1EEEvSM_,comdat
	.globl	_ZN7rocprim17ROCPRIM_400000_NS6detail17trampoline_kernelINS0_14default_configENS1_38merge_sort_block_merge_config_selectorIlNS0_10empty_typeEEEZZNS1_27merge_sort_block_merge_implIS3_PlPS5_mZN2at6native12_GLOBAL__N_124unique_dim_cuda_templateImEESt5tupleIJNSA_6TensorESF_SF_EERKSF_lbbbEUlllE_EE10hipError_tT0_T1_T2_jT3_P12ihipStream_tbPNSt15iterator_traitsISL_E10value_typeEPNSR_ISM_E10value_typeEPSN_NS1_7vsmem_tEENKUlT_SL_SM_SN_E_clIS8_S8_S9_S9_EESK_S10_SL_SM_SN_EUlS10_E_NS1_11comp_targetILNS1_3genE0ELNS1_11target_archE4294967295ELNS1_3gpuE0ELNS1_3repE0EEENS1_48merge_mergepath_partition_config_static_selectorELNS0_4arch9wavefront6targetE1EEEvSM_ ; -- Begin function _ZN7rocprim17ROCPRIM_400000_NS6detail17trampoline_kernelINS0_14default_configENS1_38merge_sort_block_merge_config_selectorIlNS0_10empty_typeEEEZZNS1_27merge_sort_block_merge_implIS3_PlPS5_mZN2at6native12_GLOBAL__N_124unique_dim_cuda_templateImEESt5tupleIJNSA_6TensorESF_SF_EERKSF_lbbbEUlllE_EE10hipError_tT0_T1_T2_jT3_P12ihipStream_tbPNSt15iterator_traitsISL_E10value_typeEPNSR_ISM_E10value_typeEPSN_NS1_7vsmem_tEENKUlT_SL_SM_SN_E_clIS8_S8_S9_S9_EESK_S10_SL_SM_SN_EUlS10_E_NS1_11comp_targetILNS1_3genE0ELNS1_11target_archE4294967295ELNS1_3gpuE0ELNS1_3repE0EEENS1_48merge_mergepath_partition_config_static_selectorELNS0_4arch9wavefront6targetE1EEEvSM_
	.p2align	8
	.type	_ZN7rocprim17ROCPRIM_400000_NS6detail17trampoline_kernelINS0_14default_configENS1_38merge_sort_block_merge_config_selectorIlNS0_10empty_typeEEEZZNS1_27merge_sort_block_merge_implIS3_PlPS5_mZN2at6native12_GLOBAL__N_124unique_dim_cuda_templateImEESt5tupleIJNSA_6TensorESF_SF_EERKSF_lbbbEUlllE_EE10hipError_tT0_T1_T2_jT3_P12ihipStream_tbPNSt15iterator_traitsISL_E10value_typeEPNSR_ISM_E10value_typeEPSN_NS1_7vsmem_tEENKUlT_SL_SM_SN_E_clIS8_S8_S9_S9_EESK_S10_SL_SM_SN_EUlS10_E_NS1_11comp_targetILNS1_3genE0ELNS1_11target_archE4294967295ELNS1_3gpuE0ELNS1_3repE0EEENS1_48merge_mergepath_partition_config_static_selectorELNS0_4arch9wavefront6targetE1EEEvSM_,@function
_ZN7rocprim17ROCPRIM_400000_NS6detail17trampoline_kernelINS0_14default_configENS1_38merge_sort_block_merge_config_selectorIlNS0_10empty_typeEEEZZNS1_27merge_sort_block_merge_implIS3_PlPS5_mZN2at6native12_GLOBAL__N_124unique_dim_cuda_templateImEESt5tupleIJNSA_6TensorESF_SF_EERKSF_lbbbEUlllE_EE10hipError_tT0_T1_T2_jT3_P12ihipStream_tbPNSt15iterator_traitsISL_E10value_typeEPNSR_ISM_E10value_typeEPSN_NS1_7vsmem_tEENKUlT_SL_SM_SN_E_clIS8_S8_S9_S9_EESK_S10_SL_SM_SN_EUlS10_E_NS1_11comp_targetILNS1_3genE0ELNS1_11target_archE4294967295ELNS1_3gpuE0ELNS1_3repE0EEENS1_48merge_mergepath_partition_config_static_selectorELNS0_4arch9wavefront6targetE1EEEvSM_: ; @_ZN7rocprim17ROCPRIM_400000_NS6detail17trampoline_kernelINS0_14default_configENS1_38merge_sort_block_merge_config_selectorIlNS0_10empty_typeEEEZZNS1_27merge_sort_block_merge_implIS3_PlPS5_mZN2at6native12_GLOBAL__N_124unique_dim_cuda_templateImEESt5tupleIJNSA_6TensorESF_SF_EERKSF_lbbbEUlllE_EE10hipError_tT0_T1_T2_jT3_P12ihipStream_tbPNSt15iterator_traitsISL_E10value_typeEPNSR_ISM_E10value_typeEPSN_NS1_7vsmem_tEENKUlT_SL_SM_SN_E_clIS8_S8_S9_S9_EESK_S10_SL_SM_SN_EUlS10_E_NS1_11comp_targetILNS1_3genE0ELNS1_11target_archE4294967295ELNS1_3gpuE0ELNS1_3repE0EEENS1_48merge_mergepath_partition_config_static_selectorELNS0_4arch9wavefront6targetE1EEEvSM_
; %bb.0:
	.section	.rodata,"a",@progbits
	.p2align	6, 0x0
	.amdhsa_kernel _ZN7rocprim17ROCPRIM_400000_NS6detail17trampoline_kernelINS0_14default_configENS1_38merge_sort_block_merge_config_selectorIlNS0_10empty_typeEEEZZNS1_27merge_sort_block_merge_implIS3_PlPS5_mZN2at6native12_GLOBAL__N_124unique_dim_cuda_templateImEESt5tupleIJNSA_6TensorESF_SF_EERKSF_lbbbEUlllE_EE10hipError_tT0_T1_T2_jT3_P12ihipStream_tbPNSt15iterator_traitsISL_E10value_typeEPNSR_ISM_E10value_typeEPSN_NS1_7vsmem_tEENKUlT_SL_SM_SN_E_clIS8_S8_S9_S9_EESK_S10_SL_SM_SN_EUlS10_E_NS1_11comp_targetILNS1_3genE0ELNS1_11target_archE4294967295ELNS1_3gpuE0ELNS1_3repE0EEENS1_48merge_mergepath_partition_config_static_selectorELNS0_4arch9wavefront6targetE1EEEvSM_
		.amdhsa_group_segment_fixed_size 0
		.amdhsa_private_segment_fixed_size 0
		.amdhsa_kernarg_size 56
		.amdhsa_user_sgpr_count 2
		.amdhsa_user_sgpr_dispatch_ptr 0
		.amdhsa_user_sgpr_queue_ptr 0
		.amdhsa_user_sgpr_kernarg_segment_ptr 1
		.amdhsa_user_sgpr_dispatch_id 0
		.amdhsa_user_sgpr_kernarg_preload_length 0
		.amdhsa_user_sgpr_kernarg_preload_offset 0
		.amdhsa_user_sgpr_private_segment_size 0
		.amdhsa_uses_dynamic_stack 0
		.amdhsa_enable_private_segment 0
		.amdhsa_system_sgpr_workgroup_id_x 1
		.amdhsa_system_sgpr_workgroup_id_y 0
		.amdhsa_system_sgpr_workgroup_id_z 0
		.amdhsa_system_sgpr_workgroup_info 0
		.amdhsa_system_vgpr_workitem_id 0
		.amdhsa_next_free_vgpr 1
		.amdhsa_next_free_sgpr 0
		.amdhsa_accum_offset 4
		.amdhsa_reserve_vcc 0
		.amdhsa_float_round_mode_32 0
		.amdhsa_float_round_mode_16_64 0
		.amdhsa_float_denorm_mode_32 3
		.amdhsa_float_denorm_mode_16_64 3
		.amdhsa_dx10_clamp 1
		.amdhsa_ieee_mode 1
		.amdhsa_fp16_overflow 0
		.amdhsa_tg_split 0
		.amdhsa_exception_fp_ieee_invalid_op 0
		.amdhsa_exception_fp_denorm_src 0
		.amdhsa_exception_fp_ieee_div_zero 0
		.amdhsa_exception_fp_ieee_overflow 0
		.amdhsa_exception_fp_ieee_underflow 0
		.amdhsa_exception_fp_ieee_inexact 0
		.amdhsa_exception_int_div_zero 0
	.end_amdhsa_kernel
	.section	.text._ZN7rocprim17ROCPRIM_400000_NS6detail17trampoline_kernelINS0_14default_configENS1_38merge_sort_block_merge_config_selectorIlNS0_10empty_typeEEEZZNS1_27merge_sort_block_merge_implIS3_PlPS5_mZN2at6native12_GLOBAL__N_124unique_dim_cuda_templateImEESt5tupleIJNSA_6TensorESF_SF_EERKSF_lbbbEUlllE_EE10hipError_tT0_T1_T2_jT3_P12ihipStream_tbPNSt15iterator_traitsISL_E10value_typeEPNSR_ISM_E10value_typeEPSN_NS1_7vsmem_tEENKUlT_SL_SM_SN_E_clIS8_S8_S9_S9_EESK_S10_SL_SM_SN_EUlS10_E_NS1_11comp_targetILNS1_3genE0ELNS1_11target_archE4294967295ELNS1_3gpuE0ELNS1_3repE0EEENS1_48merge_mergepath_partition_config_static_selectorELNS0_4arch9wavefront6targetE1EEEvSM_,"axG",@progbits,_ZN7rocprim17ROCPRIM_400000_NS6detail17trampoline_kernelINS0_14default_configENS1_38merge_sort_block_merge_config_selectorIlNS0_10empty_typeEEEZZNS1_27merge_sort_block_merge_implIS3_PlPS5_mZN2at6native12_GLOBAL__N_124unique_dim_cuda_templateImEESt5tupleIJNSA_6TensorESF_SF_EERKSF_lbbbEUlllE_EE10hipError_tT0_T1_T2_jT3_P12ihipStream_tbPNSt15iterator_traitsISL_E10value_typeEPNSR_ISM_E10value_typeEPSN_NS1_7vsmem_tEENKUlT_SL_SM_SN_E_clIS8_S8_S9_S9_EESK_S10_SL_SM_SN_EUlS10_E_NS1_11comp_targetILNS1_3genE0ELNS1_11target_archE4294967295ELNS1_3gpuE0ELNS1_3repE0EEENS1_48merge_mergepath_partition_config_static_selectorELNS0_4arch9wavefront6targetE1EEEvSM_,comdat
.Lfunc_end1625:
	.size	_ZN7rocprim17ROCPRIM_400000_NS6detail17trampoline_kernelINS0_14default_configENS1_38merge_sort_block_merge_config_selectorIlNS0_10empty_typeEEEZZNS1_27merge_sort_block_merge_implIS3_PlPS5_mZN2at6native12_GLOBAL__N_124unique_dim_cuda_templateImEESt5tupleIJNSA_6TensorESF_SF_EERKSF_lbbbEUlllE_EE10hipError_tT0_T1_T2_jT3_P12ihipStream_tbPNSt15iterator_traitsISL_E10value_typeEPNSR_ISM_E10value_typeEPSN_NS1_7vsmem_tEENKUlT_SL_SM_SN_E_clIS8_S8_S9_S9_EESK_S10_SL_SM_SN_EUlS10_E_NS1_11comp_targetILNS1_3genE0ELNS1_11target_archE4294967295ELNS1_3gpuE0ELNS1_3repE0EEENS1_48merge_mergepath_partition_config_static_selectorELNS0_4arch9wavefront6targetE1EEEvSM_, .Lfunc_end1625-_ZN7rocprim17ROCPRIM_400000_NS6detail17trampoline_kernelINS0_14default_configENS1_38merge_sort_block_merge_config_selectorIlNS0_10empty_typeEEEZZNS1_27merge_sort_block_merge_implIS3_PlPS5_mZN2at6native12_GLOBAL__N_124unique_dim_cuda_templateImEESt5tupleIJNSA_6TensorESF_SF_EERKSF_lbbbEUlllE_EE10hipError_tT0_T1_T2_jT3_P12ihipStream_tbPNSt15iterator_traitsISL_E10value_typeEPNSR_ISM_E10value_typeEPSN_NS1_7vsmem_tEENKUlT_SL_SM_SN_E_clIS8_S8_S9_S9_EESK_S10_SL_SM_SN_EUlS10_E_NS1_11comp_targetILNS1_3genE0ELNS1_11target_archE4294967295ELNS1_3gpuE0ELNS1_3repE0EEENS1_48merge_mergepath_partition_config_static_selectorELNS0_4arch9wavefront6targetE1EEEvSM_
                                        ; -- End function
	.section	.AMDGPU.csdata,"",@progbits
; Kernel info:
; codeLenInByte = 0
; NumSgprs: 6
; NumVgprs: 0
; NumAgprs: 0
; TotalNumVgprs: 0
; ScratchSize: 0
; MemoryBound: 0
; FloatMode: 240
; IeeeMode: 1
; LDSByteSize: 0 bytes/workgroup (compile time only)
; SGPRBlocks: 0
; VGPRBlocks: 0
; NumSGPRsForWavesPerEU: 6
; NumVGPRsForWavesPerEU: 1
; AccumOffset: 4
; Occupancy: 8
; WaveLimiterHint : 0
; COMPUTE_PGM_RSRC2:SCRATCH_EN: 0
; COMPUTE_PGM_RSRC2:USER_SGPR: 2
; COMPUTE_PGM_RSRC2:TRAP_HANDLER: 0
; COMPUTE_PGM_RSRC2:TGID_X_EN: 1
; COMPUTE_PGM_RSRC2:TGID_Y_EN: 0
; COMPUTE_PGM_RSRC2:TGID_Z_EN: 0
; COMPUTE_PGM_RSRC2:TIDIG_COMP_CNT: 0
; COMPUTE_PGM_RSRC3_GFX90A:ACCUM_OFFSET: 0
; COMPUTE_PGM_RSRC3_GFX90A:TG_SPLIT: 0
	.section	.text._ZN7rocprim17ROCPRIM_400000_NS6detail17trampoline_kernelINS0_14default_configENS1_38merge_sort_block_merge_config_selectorIlNS0_10empty_typeEEEZZNS1_27merge_sort_block_merge_implIS3_PlPS5_mZN2at6native12_GLOBAL__N_124unique_dim_cuda_templateImEESt5tupleIJNSA_6TensorESF_SF_EERKSF_lbbbEUlllE_EE10hipError_tT0_T1_T2_jT3_P12ihipStream_tbPNSt15iterator_traitsISL_E10value_typeEPNSR_ISM_E10value_typeEPSN_NS1_7vsmem_tEENKUlT_SL_SM_SN_E_clIS8_S8_S9_S9_EESK_S10_SL_SM_SN_EUlS10_E_NS1_11comp_targetILNS1_3genE10ELNS1_11target_archE1201ELNS1_3gpuE5ELNS1_3repE0EEENS1_48merge_mergepath_partition_config_static_selectorELNS0_4arch9wavefront6targetE1EEEvSM_,"axG",@progbits,_ZN7rocprim17ROCPRIM_400000_NS6detail17trampoline_kernelINS0_14default_configENS1_38merge_sort_block_merge_config_selectorIlNS0_10empty_typeEEEZZNS1_27merge_sort_block_merge_implIS3_PlPS5_mZN2at6native12_GLOBAL__N_124unique_dim_cuda_templateImEESt5tupleIJNSA_6TensorESF_SF_EERKSF_lbbbEUlllE_EE10hipError_tT0_T1_T2_jT3_P12ihipStream_tbPNSt15iterator_traitsISL_E10value_typeEPNSR_ISM_E10value_typeEPSN_NS1_7vsmem_tEENKUlT_SL_SM_SN_E_clIS8_S8_S9_S9_EESK_S10_SL_SM_SN_EUlS10_E_NS1_11comp_targetILNS1_3genE10ELNS1_11target_archE1201ELNS1_3gpuE5ELNS1_3repE0EEENS1_48merge_mergepath_partition_config_static_selectorELNS0_4arch9wavefront6targetE1EEEvSM_,comdat
	.globl	_ZN7rocprim17ROCPRIM_400000_NS6detail17trampoline_kernelINS0_14default_configENS1_38merge_sort_block_merge_config_selectorIlNS0_10empty_typeEEEZZNS1_27merge_sort_block_merge_implIS3_PlPS5_mZN2at6native12_GLOBAL__N_124unique_dim_cuda_templateImEESt5tupleIJNSA_6TensorESF_SF_EERKSF_lbbbEUlllE_EE10hipError_tT0_T1_T2_jT3_P12ihipStream_tbPNSt15iterator_traitsISL_E10value_typeEPNSR_ISM_E10value_typeEPSN_NS1_7vsmem_tEENKUlT_SL_SM_SN_E_clIS8_S8_S9_S9_EESK_S10_SL_SM_SN_EUlS10_E_NS1_11comp_targetILNS1_3genE10ELNS1_11target_archE1201ELNS1_3gpuE5ELNS1_3repE0EEENS1_48merge_mergepath_partition_config_static_selectorELNS0_4arch9wavefront6targetE1EEEvSM_ ; -- Begin function _ZN7rocprim17ROCPRIM_400000_NS6detail17trampoline_kernelINS0_14default_configENS1_38merge_sort_block_merge_config_selectorIlNS0_10empty_typeEEEZZNS1_27merge_sort_block_merge_implIS3_PlPS5_mZN2at6native12_GLOBAL__N_124unique_dim_cuda_templateImEESt5tupleIJNSA_6TensorESF_SF_EERKSF_lbbbEUlllE_EE10hipError_tT0_T1_T2_jT3_P12ihipStream_tbPNSt15iterator_traitsISL_E10value_typeEPNSR_ISM_E10value_typeEPSN_NS1_7vsmem_tEENKUlT_SL_SM_SN_E_clIS8_S8_S9_S9_EESK_S10_SL_SM_SN_EUlS10_E_NS1_11comp_targetILNS1_3genE10ELNS1_11target_archE1201ELNS1_3gpuE5ELNS1_3repE0EEENS1_48merge_mergepath_partition_config_static_selectorELNS0_4arch9wavefront6targetE1EEEvSM_
	.p2align	8
	.type	_ZN7rocprim17ROCPRIM_400000_NS6detail17trampoline_kernelINS0_14default_configENS1_38merge_sort_block_merge_config_selectorIlNS0_10empty_typeEEEZZNS1_27merge_sort_block_merge_implIS3_PlPS5_mZN2at6native12_GLOBAL__N_124unique_dim_cuda_templateImEESt5tupleIJNSA_6TensorESF_SF_EERKSF_lbbbEUlllE_EE10hipError_tT0_T1_T2_jT3_P12ihipStream_tbPNSt15iterator_traitsISL_E10value_typeEPNSR_ISM_E10value_typeEPSN_NS1_7vsmem_tEENKUlT_SL_SM_SN_E_clIS8_S8_S9_S9_EESK_S10_SL_SM_SN_EUlS10_E_NS1_11comp_targetILNS1_3genE10ELNS1_11target_archE1201ELNS1_3gpuE5ELNS1_3repE0EEENS1_48merge_mergepath_partition_config_static_selectorELNS0_4arch9wavefront6targetE1EEEvSM_,@function
_ZN7rocprim17ROCPRIM_400000_NS6detail17trampoline_kernelINS0_14default_configENS1_38merge_sort_block_merge_config_selectorIlNS0_10empty_typeEEEZZNS1_27merge_sort_block_merge_implIS3_PlPS5_mZN2at6native12_GLOBAL__N_124unique_dim_cuda_templateImEESt5tupleIJNSA_6TensorESF_SF_EERKSF_lbbbEUlllE_EE10hipError_tT0_T1_T2_jT3_P12ihipStream_tbPNSt15iterator_traitsISL_E10value_typeEPNSR_ISM_E10value_typeEPSN_NS1_7vsmem_tEENKUlT_SL_SM_SN_E_clIS8_S8_S9_S9_EESK_S10_SL_SM_SN_EUlS10_E_NS1_11comp_targetILNS1_3genE10ELNS1_11target_archE1201ELNS1_3gpuE5ELNS1_3repE0EEENS1_48merge_mergepath_partition_config_static_selectorELNS0_4arch9wavefront6targetE1EEEvSM_: ; @_ZN7rocprim17ROCPRIM_400000_NS6detail17trampoline_kernelINS0_14default_configENS1_38merge_sort_block_merge_config_selectorIlNS0_10empty_typeEEEZZNS1_27merge_sort_block_merge_implIS3_PlPS5_mZN2at6native12_GLOBAL__N_124unique_dim_cuda_templateImEESt5tupleIJNSA_6TensorESF_SF_EERKSF_lbbbEUlllE_EE10hipError_tT0_T1_T2_jT3_P12ihipStream_tbPNSt15iterator_traitsISL_E10value_typeEPNSR_ISM_E10value_typeEPSN_NS1_7vsmem_tEENKUlT_SL_SM_SN_E_clIS8_S8_S9_S9_EESK_S10_SL_SM_SN_EUlS10_E_NS1_11comp_targetILNS1_3genE10ELNS1_11target_archE1201ELNS1_3gpuE5ELNS1_3repE0EEENS1_48merge_mergepath_partition_config_static_selectorELNS0_4arch9wavefront6targetE1EEEvSM_
; %bb.0:
	.section	.rodata,"a",@progbits
	.p2align	6, 0x0
	.amdhsa_kernel _ZN7rocprim17ROCPRIM_400000_NS6detail17trampoline_kernelINS0_14default_configENS1_38merge_sort_block_merge_config_selectorIlNS0_10empty_typeEEEZZNS1_27merge_sort_block_merge_implIS3_PlPS5_mZN2at6native12_GLOBAL__N_124unique_dim_cuda_templateImEESt5tupleIJNSA_6TensorESF_SF_EERKSF_lbbbEUlllE_EE10hipError_tT0_T1_T2_jT3_P12ihipStream_tbPNSt15iterator_traitsISL_E10value_typeEPNSR_ISM_E10value_typeEPSN_NS1_7vsmem_tEENKUlT_SL_SM_SN_E_clIS8_S8_S9_S9_EESK_S10_SL_SM_SN_EUlS10_E_NS1_11comp_targetILNS1_3genE10ELNS1_11target_archE1201ELNS1_3gpuE5ELNS1_3repE0EEENS1_48merge_mergepath_partition_config_static_selectorELNS0_4arch9wavefront6targetE1EEEvSM_
		.amdhsa_group_segment_fixed_size 0
		.amdhsa_private_segment_fixed_size 0
		.amdhsa_kernarg_size 56
		.amdhsa_user_sgpr_count 2
		.amdhsa_user_sgpr_dispatch_ptr 0
		.amdhsa_user_sgpr_queue_ptr 0
		.amdhsa_user_sgpr_kernarg_segment_ptr 1
		.amdhsa_user_sgpr_dispatch_id 0
		.amdhsa_user_sgpr_kernarg_preload_length 0
		.amdhsa_user_sgpr_kernarg_preload_offset 0
		.amdhsa_user_sgpr_private_segment_size 0
		.amdhsa_uses_dynamic_stack 0
		.amdhsa_enable_private_segment 0
		.amdhsa_system_sgpr_workgroup_id_x 1
		.amdhsa_system_sgpr_workgroup_id_y 0
		.amdhsa_system_sgpr_workgroup_id_z 0
		.amdhsa_system_sgpr_workgroup_info 0
		.amdhsa_system_vgpr_workitem_id 0
		.amdhsa_next_free_vgpr 1
		.amdhsa_next_free_sgpr 0
		.amdhsa_accum_offset 4
		.amdhsa_reserve_vcc 0
		.amdhsa_float_round_mode_32 0
		.amdhsa_float_round_mode_16_64 0
		.amdhsa_float_denorm_mode_32 3
		.amdhsa_float_denorm_mode_16_64 3
		.amdhsa_dx10_clamp 1
		.amdhsa_ieee_mode 1
		.amdhsa_fp16_overflow 0
		.amdhsa_tg_split 0
		.amdhsa_exception_fp_ieee_invalid_op 0
		.amdhsa_exception_fp_denorm_src 0
		.amdhsa_exception_fp_ieee_div_zero 0
		.amdhsa_exception_fp_ieee_overflow 0
		.amdhsa_exception_fp_ieee_underflow 0
		.amdhsa_exception_fp_ieee_inexact 0
		.amdhsa_exception_int_div_zero 0
	.end_amdhsa_kernel
	.section	.text._ZN7rocprim17ROCPRIM_400000_NS6detail17trampoline_kernelINS0_14default_configENS1_38merge_sort_block_merge_config_selectorIlNS0_10empty_typeEEEZZNS1_27merge_sort_block_merge_implIS3_PlPS5_mZN2at6native12_GLOBAL__N_124unique_dim_cuda_templateImEESt5tupleIJNSA_6TensorESF_SF_EERKSF_lbbbEUlllE_EE10hipError_tT0_T1_T2_jT3_P12ihipStream_tbPNSt15iterator_traitsISL_E10value_typeEPNSR_ISM_E10value_typeEPSN_NS1_7vsmem_tEENKUlT_SL_SM_SN_E_clIS8_S8_S9_S9_EESK_S10_SL_SM_SN_EUlS10_E_NS1_11comp_targetILNS1_3genE10ELNS1_11target_archE1201ELNS1_3gpuE5ELNS1_3repE0EEENS1_48merge_mergepath_partition_config_static_selectorELNS0_4arch9wavefront6targetE1EEEvSM_,"axG",@progbits,_ZN7rocprim17ROCPRIM_400000_NS6detail17trampoline_kernelINS0_14default_configENS1_38merge_sort_block_merge_config_selectorIlNS0_10empty_typeEEEZZNS1_27merge_sort_block_merge_implIS3_PlPS5_mZN2at6native12_GLOBAL__N_124unique_dim_cuda_templateImEESt5tupleIJNSA_6TensorESF_SF_EERKSF_lbbbEUlllE_EE10hipError_tT0_T1_T2_jT3_P12ihipStream_tbPNSt15iterator_traitsISL_E10value_typeEPNSR_ISM_E10value_typeEPSN_NS1_7vsmem_tEENKUlT_SL_SM_SN_E_clIS8_S8_S9_S9_EESK_S10_SL_SM_SN_EUlS10_E_NS1_11comp_targetILNS1_3genE10ELNS1_11target_archE1201ELNS1_3gpuE5ELNS1_3repE0EEENS1_48merge_mergepath_partition_config_static_selectorELNS0_4arch9wavefront6targetE1EEEvSM_,comdat
.Lfunc_end1626:
	.size	_ZN7rocprim17ROCPRIM_400000_NS6detail17trampoline_kernelINS0_14default_configENS1_38merge_sort_block_merge_config_selectorIlNS0_10empty_typeEEEZZNS1_27merge_sort_block_merge_implIS3_PlPS5_mZN2at6native12_GLOBAL__N_124unique_dim_cuda_templateImEESt5tupleIJNSA_6TensorESF_SF_EERKSF_lbbbEUlllE_EE10hipError_tT0_T1_T2_jT3_P12ihipStream_tbPNSt15iterator_traitsISL_E10value_typeEPNSR_ISM_E10value_typeEPSN_NS1_7vsmem_tEENKUlT_SL_SM_SN_E_clIS8_S8_S9_S9_EESK_S10_SL_SM_SN_EUlS10_E_NS1_11comp_targetILNS1_3genE10ELNS1_11target_archE1201ELNS1_3gpuE5ELNS1_3repE0EEENS1_48merge_mergepath_partition_config_static_selectorELNS0_4arch9wavefront6targetE1EEEvSM_, .Lfunc_end1626-_ZN7rocprim17ROCPRIM_400000_NS6detail17trampoline_kernelINS0_14default_configENS1_38merge_sort_block_merge_config_selectorIlNS0_10empty_typeEEEZZNS1_27merge_sort_block_merge_implIS3_PlPS5_mZN2at6native12_GLOBAL__N_124unique_dim_cuda_templateImEESt5tupleIJNSA_6TensorESF_SF_EERKSF_lbbbEUlllE_EE10hipError_tT0_T1_T2_jT3_P12ihipStream_tbPNSt15iterator_traitsISL_E10value_typeEPNSR_ISM_E10value_typeEPSN_NS1_7vsmem_tEENKUlT_SL_SM_SN_E_clIS8_S8_S9_S9_EESK_S10_SL_SM_SN_EUlS10_E_NS1_11comp_targetILNS1_3genE10ELNS1_11target_archE1201ELNS1_3gpuE5ELNS1_3repE0EEENS1_48merge_mergepath_partition_config_static_selectorELNS0_4arch9wavefront6targetE1EEEvSM_
                                        ; -- End function
	.section	.AMDGPU.csdata,"",@progbits
; Kernel info:
; codeLenInByte = 0
; NumSgprs: 6
; NumVgprs: 0
; NumAgprs: 0
; TotalNumVgprs: 0
; ScratchSize: 0
; MemoryBound: 0
; FloatMode: 240
; IeeeMode: 1
; LDSByteSize: 0 bytes/workgroup (compile time only)
; SGPRBlocks: 0
; VGPRBlocks: 0
; NumSGPRsForWavesPerEU: 6
; NumVGPRsForWavesPerEU: 1
; AccumOffset: 4
; Occupancy: 8
; WaveLimiterHint : 0
; COMPUTE_PGM_RSRC2:SCRATCH_EN: 0
; COMPUTE_PGM_RSRC2:USER_SGPR: 2
; COMPUTE_PGM_RSRC2:TRAP_HANDLER: 0
; COMPUTE_PGM_RSRC2:TGID_X_EN: 1
; COMPUTE_PGM_RSRC2:TGID_Y_EN: 0
; COMPUTE_PGM_RSRC2:TGID_Z_EN: 0
; COMPUTE_PGM_RSRC2:TIDIG_COMP_CNT: 0
; COMPUTE_PGM_RSRC3_GFX90A:ACCUM_OFFSET: 0
; COMPUTE_PGM_RSRC3_GFX90A:TG_SPLIT: 0
	.section	.text._ZN7rocprim17ROCPRIM_400000_NS6detail17trampoline_kernelINS0_14default_configENS1_38merge_sort_block_merge_config_selectorIlNS0_10empty_typeEEEZZNS1_27merge_sort_block_merge_implIS3_PlPS5_mZN2at6native12_GLOBAL__N_124unique_dim_cuda_templateImEESt5tupleIJNSA_6TensorESF_SF_EERKSF_lbbbEUlllE_EE10hipError_tT0_T1_T2_jT3_P12ihipStream_tbPNSt15iterator_traitsISL_E10value_typeEPNSR_ISM_E10value_typeEPSN_NS1_7vsmem_tEENKUlT_SL_SM_SN_E_clIS8_S8_S9_S9_EESK_S10_SL_SM_SN_EUlS10_E_NS1_11comp_targetILNS1_3genE5ELNS1_11target_archE942ELNS1_3gpuE9ELNS1_3repE0EEENS1_48merge_mergepath_partition_config_static_selectorELNS0_4arch9wavefront6targetE1EEEvSM_,"axG",@progbits,_ZN7rocprim17ROCPRIM_400000_NS6detail17trampoline_kernelINS0_14default_configENS1_38merge_sort_block_merge_config_selectorIlNS0_10empty_typeEEEZZNS1_27merge_sort_block_merge_implIS3_PlPS5_mZN2at6native12_GLOBAL__N_124unique_dim_cuda_templateImEESt5tupleIJNSA_6TensorESF_SF_EERKSF_lbbbEUlllE_EE10hipError_tT0_T1_T2_jT3_P12ihipStream_tbPNSt15iterator_traitsISL_E10value_typeEPNSR_ISM_E10value_typeEPSN_NS1_7vsmem_tEENKUlT_SL_SM_SN_E_clIS8_S8_S9_S9_EESK_S10_SL_SM_SN_EUlS10_E_NS1_11comp_targetILNS1_3genE5ELNS1_11target_archE942ELNS1_3gpuE9ELNS1_3repE0EEENS1_48merge_mergepath_partition_config_static_selectorELNS0_4arch9wavefront6targetE1EEEvSM_,comdat
	.globl	_ZN7rocprim17ROCPRIM_400000_NS6detail17trampoline_kernelINS0_14default_configENS1_38merge_sort_block_merge_config_selectorIlNS0_10empty_typeEEEZZNS1_27merge_sort_block_merge_implIS3_PlPS5_mZN2at6native12_GLOBAL__N_124unique_dim_cuda_templateImEESt5tupleIJNSA_6TensorESF_SF_EERKSF_lbbbEUlllE_EE10hipError_tT0_T1_T2_jT3_P12ihipStream_tbPNSt15iterator_traitsISL_E10value_typeEPNSR_ISM_E10value_typeEPSN_NS1_7vsmem_tEENKUlT_SL_SM_SN_E_clIS8_S8_S9_S9_EESK_S10_SL_SM_SN_EUlS10_E_NS1_11comp_targetILNS1_3genE5ELNS1_11target_archE942ELNS1_3gpuE9ELNS1_3repE0EEENS1_48merge_mergepath_partition_config_static_selectorELNS0_4arch9wavefront6targetE1EEEvSM_ ; -- Begin function _ZN7rocprim17ROCPRIM_400000_NS6detail17trampoline_kernelINS0_14default_configENS1_38merge_sort_block_merge_config_selectorIlNS0_10empty_typeEEEZZNS1_27merge_sort_block_merge_implIS3_PlPS5_mZN2at6native12_GLOBAL__N_124unique_dim_cuda_templateImEESt5tupleIJNSA_6TensorESF_SF_EERKSF_lbbbEUlllE_EE10hipError_tT0_T1_T2_jT3_P12ihipStream_tbPNSt15iterator_traitsISL_E10value_typeEPNSR_ISM_E10value_typeEPSN_NS1_7vsmem_tEENKUlT_SL_SM_SN_E_clIS8_S8_S9_S9_EESK_S10_SL_SM_SN_EUlS10_E_NS1_11comp_targetILNS1_3genE5ELNS1_11target_archE942ELNS1_3gpuE9ELNS1_3repE0EEENS1_48merge_mergepath_partition_config_static_selectorELNS0_4arch9wavefront6targetE1EEEvSM_
	.p2align	8
	.type	_ZN7rocprim17ROCPRIM_400000_NS6detail17trampoline_kernelINS0_14default_configENS1_38merge_sort_block_merge_config_selectorIlNS0_10empty_typeEEEZZNS1_27merge_sort_block_merge_implIS3_PlPS5_mZN2at6native12_GLOBAL__N_124unique_dim_cuda_templateImEESt5tupleIJNSA_6TensorESF_SF_EERKSF_lbbbEUlllE_EE10hipError_tT0_T1_T2_jT3_P12ihipStream_tbPNSt15iterator_traitsISL_E10value_typeEPNSR_ISM_E10value_typeEPSN_NS1_7vsmem_tEENKUlT_SL_SM_SN_E_clIS8_S8_S9_S9_EESK_S10_SL_SM_SN_EUlS10_E_NS1_11comp_targetILNS1_3genE5ELNS1_11target_archE942ELNS1_3gpuE9ELNS1_3repE0EEENS1_48merge_mergepath_partition_config_static_selectorELNS0_4arch9wavefront6targetE1EEEvSM_,@function
_ZN7rocprim17ROCPRIM_400000_NS6detail17trampoline_kernelINS0_14default_configENS1_38merge_sort_block_merge_config_selectorIlNS0_10empty_typeEEEZZNS1_27merge_sort_block_merge_implIS3_PlPS5_mZN2at6native12_GLOBAL__N_124unique_dim_cuda_templateImEESt5tupleIJNSA_6TensorESF_SF_EERKSF_lbbbEUlllE_EE10hipError_tT0_T1_T2_jT3_P12ihipStream_tbPNSt15iterator_traitsISL_E10value_typeEPNSR_ISM_E10value_typeEPSN_NS1_7vsmem_tEENKUlT_SL_SM_SN_E_clIS8_S8_S9_S9_EESK_S10_SL_SM_SN_EUlS10_E_NS1_11comp_targetILNS1_3genE5ELNS1_11target_archE942ELNS1_3gpuE9ELNS1_3repE0EEENS1_48merge_mergepath_partition_config_static_selectorELNS0_4arch9wavefront6targetE1EEEvSM_: ; @_ZN7rocprim17ROCPRIM_400000_NS6detail17trampoline_kernelINS0_14default_configENS1_38merge_sort_block_merge_config_selectorIlNS0_10empty_typeEEEZZNS1_27merge_sort_block_merge_implIS3_PlPS5_mZN2at6native12_GLOBAL__N_124unique_dim_cuda_templateImEESt5tupleIJNSA_6TensorESF_SF_EERKSF_lbbbEUlllE_EE10hipError_tT0_T1_T2_jT3_P12ihipStream_tbPNSt15iterator_traitsISL_E10value_typeEPNSR_ISM_E10value_typeEPSN_NS1_7vsmem_tEENKUlT_SL_SM_SN_E_clIS8_S8_S9_S9_EESK_S10_SL_SM_SN_EUlS10_E_NS1_11comp_targetILNS1_3genE5ELNS1_11target_archE942ELNS1_3gpuE9ELNS1_3repE0EEENS1_48merge_mergepath_partition_config_static_selectorELNS0_4arch9wavefront6targetE1EEEvSM_
; %bb.0:
	s_load_dword s3, s[0:1], 0x0
	v_lshl_or_b32 v0, s2, 7, v0
	s_waitcnt lgkmcnt(0)
	v_cmp_gt_u32_e32 vcc, s3, v0
	s_and_saveexec_b64 s[2:3], vcc
	s_cbranch_execz .LBB1627_12
; %bb.1:
	s_load_dwordx4 s[12:15], s[0:1], 0x8
	s_load_dwordx8 s[4:11], s[0:1], 0x18
	v_mov_b32_e32 v5, 0
	v_mov_b32_e32 v7, v5
	s_waitcnt lgkmcnt(0)
	v_mov_b32_e32 v1, s12
	v_alignbit_b32 v1, s13, v1, 9
	v_and_b32_e32 v1, -2, v1
	v_add_u32_e32 v2, -1, v1
	v_sub_u32_e32 v1, 0, v1
	v_and_b32_e32 v4, v0, v1
	v_lshlrev_b64 v[8:9], 10, v[4:5]
	v_mov_b32_e32 v1, s15
	v_cmp_lt_u64_e32 vcc, s[14:15], v[8:9]
	v_mov_b32_e32 v4, s14
	v_and_b32_e32 v6, v2, v0
	v_cndmask_b32_e32 v3, v9, v1, vcc
	v_cndmask_b32_e32 v2, v8, v4, vcc
	v_lshl_add_u64 v[8:9], v[8:9], 0, s[12:13]
	v_cmp_lt_u64_e32 vcc, s[14:15], v[8:9]
	s_nop 1
	v_cndmask_b32_e32 v11, v9, v1, vcc
	v_cndmask_b32_e32 v10, v8, v4, vcc
	v_lshl_add_u64 v[8:9], v[10:11], 0, s[12:13]
	v_cmp_lt_u64_e32 vcc, s[14:15], v[8:9]
	s_nop 1
	v_cndmask_b32_e32 v14, v8, v4, vcc
	v_cndmask_b32_e32 v1, v9, v1, vcc
	v_sub_co_u32_e32 v8, vcc, v14, v2
	v_lshlrev_b64 v[4:5], 10, v[6:7]
	s_nop 0
	v_subb_co_u32_e32 v9, vcc, v1, v3, vcc
	v_cmp_lt_u64_e32 vcc, v[8:9], v[4:5]
	s_nop 1
	v_cndmask_b32_e32 v13, v5, v9, vcc
	v_cndmask_b32_e32 v12, v4, v8, vcc
	v_sub_co_u32_e32 v6, vcc, v10, v2
	s_nop 1
	v_subb_co_u32_e32 v7, vcc, v11, v3, vcc
	v_sub_co_u32_e32 v4, vcc, v10, v14
	s_nop 1
	v_subb_co_u32_e32 v5, vcc, v11, v1, vcc
	v_lshl_add_u64 v[4:5], v[12:13], 0, v[4:5]
	v_cmp_gt_u64_e32 vcc, v[4:5], v[12:13]
	s_nop 1
	v_cndmask_b32_e64 v5, v5, 0, vcc
	v_cndmask_b32_e64 v4, v4, 0, vcc
	v_cmp_lt_u64_e32 vcc, v[12:13], v[6:7]
	s_nop 1
	v_cndmask_b32_e32 v7, v7, v13, vcc
	v_cndmask_b32_e32 v6, v6, v12, vcc
	v_cmp_lt_u64_e32 vcc, v[4:5], v[6:7]
	s_and_saveexec_b64 s[12:13], vcc
	s_cbranch_execz .LBB1627_11
; %bb.2:
	v_cmp_gt_i64_e64 s[0:1], s[6:7], 0
	v_lshl_add_u64 v[10:11], v[10:11], 3, s[4:5]
	v_lshl_add_u64 v[8:9], v[2:3], 3, s[4:5]
	v_cndmask_b32_e64 v1, 0, 1, s[0:1]
	v_lshl_add_u64 v[10:11], v[12:13], 3, v[10:11]
	s_mov_b64 s[14:15], 0
	s_lshl_b64 s[16:17], s[6:7], 3
	v_cmp_ne_u32_e64 s[0:1], 1, v1
	s_branch .LBB1627_5
.LBB1627_3:                             ;   in Loop: Header=BB1627_5 Depth=1
	s_or_b64 exec, exec, s[20:21]
.LBB1627_4:                             ;   in Loop: Header=BB1627_5 Depth=1
	v_lshl_add_u64 v[14:15], v[12:13], 0, 1
	v_cndmask_b32_e64 v7, v7, v13, s[18:19]
	v_cndmask_b32_e64 v6, v6, v12, s[18:19]
	;; [unrolled: 1-line block ×4, first 2 shown]
	v_cmp_ge_u64_e32 vcc, v[4:5], v[6:7]
	s_or_b64 s[14:15], vcc, s[14:15]
	s_andn2_b64 exec, exec, s[14:15]
	s_cbranch_execz .LBB1627_10
.LBB1627_5:                             ; =>This Loop Header: Depth=1
                                        ;     Child Loop BB1627_8 Depth 2
	v_lshl_add_u64 v[12:13], v[6:7], 0, v[4:5]
	v_lshrrev_b64 v[12:13], 1, v[12:13]
	s_and_b64 vcc, exec, s[0:1]
	s_mov_b64 s[18:19], 0
	s_cbranch_vccnz .LBB1627_4
; %bb.6:                                ;   in Loop: Header=BB1627_5 Depth=1
	v_not_b32_e32 v15, v13
	v_not_b32_e32 v14, v12
	v_lshl_add_u64 v[14:15], v[14:15], 3, v[10:11]
	v_lshl_add_u64 v[16:17], v[12:13], 3, v[8:9]
	global_load_dwordx2 v[14:15], v[14:15], off
	v_mov_b64_e32 v[18:19], s[8:9]
	global_load_dwordx2 v[16:17], v[16:17], off
	s_mov_b64 s[20:21], 0
	s_mov_b64 s[26:27], s[6:7]
                                        ; implicit-def: $sgpr18_sgpr19
                                        ; implicit-def: $sgpr22_sgpr23
                                        ; implicit-def: $sgpr24_sgpr25
                                        ; implicit-def: $sgpr2_sgpr3
                                        ; implicit-def: $sgpr28_sgpr29
	s_waitcnt vmcnt(1)
	v_mul_lo_u32 v1, s16, v15
	v_mul_lo_u32 v20, s17, v14
	v_mad_u64_u32 v[14:15], s[4:5], s16, v14, v[18:19]
	s_waitcnt vmcnt(0)
	v_mul_lo_u32 v21, s16, v17
	v_mul_lo_u32 v22, s17, v16
	v_mad_u64_u32 v[16:17], s[4:5], s16, v16, v[18:19]
	v_add3_u32 v15, v20, v15, v1
	v_add3_u32 v17, v22, v17, v21
	s_branch .LBB1627_8
.LBB1627_7:                             ;   in Loop: Header=BB1627_8 Depth=2
	s_or_b64 exec, exec, s[30:31]
	s_and_b64 s[4:5], exec, s[22:23]
	s_or_b64 s[20:21], s[4:5], s[20:21]
	s_andn2_b64 s[4:5], s[28:29], exec
	s_and_b64 s[28:29], s[24:25], exec
	s_or_b64 s[28:29], s[4:5], s[28:29]
	s_andn2_b64 s[4:5], s[18:19], exec
	s_and_b64 s[18:19], s[2:3], exec
	s_or_b64 s[18:19], s[4:5], s[18:19]
	s_andn2_b64 exec, exec, s[20:21]
	s_cbranch_execz .LBB1627_3
.LBB1627_8:                             ;   Parent Loop BB1627_5 Depth=1
                                        ; =>  This Inner Loop Header: Depth=2
	global_load_dwordx2 v[18:19], v[14:15], off
	global_load_dwordx2 v[20:21], v[16:17], off
	s_andn2_b64 s[30:31], s[2:3], exec
	s_andn2_b64 s[24:25], s[24:25], exec
	s_or_b64 s[22:23], s[22:23], exec
	s_waitcnt vmcnt(0)
	v_cmp_le_u64_e64 s[2:3], v[18:19], v[20:21]
	v_cmp_lt_u64_e32 vcc, v[18:19], v[20:21]
	s_and_b64 s[2:3], s[2:3], s[28:29]
	s_or_b64 s[34:35], vcc, s[2:3]
	s_and_b64 s[2:3], s[34:35], exec
	v_cmp_eq_u64_e64 s[4:5], v[18:19], v[20:21]
	s_or_b64 s[2:3], s[30:31], s[2:3]
	s_and_saveexec_b64 s[30:31], s[4:5]
	s_cbranch_execz .LBB1627_7
; %bb.9:                                ;   in Loop: Header=BB1627_8 Depth=2
	s_add_u32 s26, s26, -1
	s_addc_u32 s27, s27, -1
	s_cmp_eq_u64 s[26:27], 0
	s_cselect_b64 s[4:5], -1, 0
	s_andn2_b64 s[24:25], s[24:25], exec
	s_and_b64 s[28:29], s[34:35], exec
	s_andn2_b64 s[22:23], s[22:23], exec
	s_and_b64 s[4:5], s[4:5], exec
	v_lshl_add_u64 v[14:15], v[14:15], 0, 8
	v_lshl_add_u64 v[16:17], v[16:17], 0, 8
	s_andn2_b64 s[2:3], s[2:3], exec
	s_or_b64 s[24:25], s[24:25], s[28:29]
	s_or_b64 s[22:23], s[22:23], s[4:5]
                                        ; implicit-def: $sgpr28_sgpr29
	s_branch .LBB1627_7
.LBB1627_10:
	s_or_b64 exec, exec, s[14:15]
.LBB1627_11:
	s_or_b64 exec, exec, s[12:13]
	v_mov_b32_e32 v6, s10
	v_mov_b32_e32 v7, s11
	;; [unrolled: 1-line block ×3, first 2 shown]
	v_lshl_add_u64 v[2:3], v[4:5], 0, v[2:3]
	v_lshl_add_u64 v[0:1], v[0:1], 3, v[6:7]
	global_store_dwordx2 v[0:1], v[2:3], off
.LBB1627_12:
	s_endpgm
	.section	.rodata,"a",@progbits
	.p2align	6, 0x0
	.amdhsa_kernel _ZN7rocprim17ROCPRIM_400000_NS6detail17trampoline_kernelINS0_14default_configENS1_38merge_sort_block_merge_config_selectorIlNS0_10empty_typeEEEZZNS1_27merge_sort_block_merge_implIS3_PlPS5_mZN2at6native12_GLOBAL__N_124unique_dim_cuda_templateImEESt5tupleIJNSA_6TensorESF_SF_EERKSF_lbbbEUlllE_EE10hipError_tT0_T1_T2_jT3_P12ihipStream_tbPNSt15iterator_traitsISL_E10value_typeEPNSR_ISM_E10value_typeEPSN_NS1_7vsmem_tEENKUlT_SL_SM_SN_E_clIS8_S8_S9_S9_EESK_S10_SL_SM_SN_EUlS10_E_NS1_11comp_targetILNS1_3genE5ELNS1_11target_archE942ELNS1_3gpuE9ELNS1_3repE0EEENS1_48merge_mergepath_partition_config_static_selectorELNS0_4arch9wavefront6targetE1EEEvSM_
		.amdhsa_group_segment_fixed_size 0
		.amdhsa_private_segment_fixed_size 0
		.amdhsa_kernarg_size 56
		.amdhsa_user_sgpr_count 2
		.amdhsa_user_sgpr_dispatch_ptr 0
		.amdhsa_user_sgpr_queue_ptr 0
		.amdhsa_user_sgpr_kernarg_segment_ptr 1
		.amdhsa_user_sgpr_dispatch_id 0
		.amdhsa_user_sgpr_kernarg_preload_length 0
		.amdhsa_user_sgpr_kernarg_preload_offset 0
		.amdhsa_user_sgpr_private_segment_size 0
		.amdhsa_uses_dynamic_stack 0
		.amdhsa_enable_private_segment 0
		.amdhsa_system_sgpr_workgroup_id_x 1
		.amdhsa_system_sgpr_workgroup_id_y 0
		.amdhsa_system_sgpr_workgroup_id_z 0
		.amdhsa_system_sgpr_workgroup_info 0
		.amdhsa_system_vgpr_workitem_id 0
		.amdhsa_next_free_vgpr 23
		.amdhsa_next_free_sgpr 36
		.amdhsa_accum_offset 24
		.amdhsa_reserve_vcc 1
		.amdhsa_float_round_mode_32 0
		.amdhsa_float_round_mode_16_64 0
		.amdhsa_float_denorm_mode_32 3
		.amdhsa_float_denorm_mode_16_64 3
		.amdhsa_dx10_clamp 1
		.amdhsa_ieee_mode 1
		.amdhsa_fp16_overflow 0
		.amdhsa_tg_split 0
		.amdhsa_exception_fp_ieee_invalid_op 0
		.amdhsa_exception_fp_denorm_src 0
		.amdhsa_exception_fp_ieee_div_zero 0
		.amdhsa_exception_fp_ieee_overflow 0
		.amdhsa_exception_fp_ieee_underflow 0
		.amdhsa_exception_fp_ieee_inexact 0
		.amdhsa_exception_int_div_zero 0
	.end_amdhsa_kernel
	.section	.text._ZN7rocprim17ROCPRIM_400000_NS6detail17trampoline_kernelINS0_14default_configENS1_38merge_sort_block_merge_config_selectorIlNS0_10empty_typeEEEZZNS1_27merge_sort_block_merge_implIS3_PlPS5_mZN2at6native12_GLOBAL__N_124unique_dim_cuda_templateImEESt5tupleIJNSA_6TensorESF_SF_EERKSF_lbbbEUlllE_EE10hipError_tT0_T1_T2_jT3_P12ihipStream_tbPNSt15iterator_traitsISL_E10value_typeEPNSR_ISM_E10value_typeEPSN_NS1_7vsmem_tEENKUlT_SL_SM_SN_E_clIS8_S8_S9_S9_EESK_S10_SL_SM_SN_EUlS10_E_NS1_11comp_targetILNS1_3genE5ELNS1_11target_archE942ELNS1_3gpuE9ELNS1_3repE0EEENS1_48merge_mergepath_partition_config_static_selectorELNS0_4arch9wavefront6targetE1EEEvSM_,"axG",@progbits,_ZN7rocprim17ROCPRIM_400000_NS6detail17trampoline_kernelINS0_14default_configENS1_38merge_sort_block_merge_config_selectorIlNS0_10empty_typeEEEZZNS1_27merge_sort_block_merge_implIS3_PlPS5_mZN2at6native12_GLOBAL__N_124unique_dim_cuda_templateImEESt5tupleIJNSA_6TensorESF_SF_EERKSF_lbbbEUlllE_EE10hipError_tT0_T1_T2_jT3_P12ihipStream_tbPNSt15iterator_traitsISL_E10value_typeEPNSR_ISM_E10value_typeEPSN_NS1_7vsmem_tEENKUlT_SL_SM_SN_E_clIS8_S8_S9_S9_EESK_S10_SL_SM_SN_EUlS10_E_NS1_11comp_targetILNS1_3genE5ELNS1_11target_archE942ELNS1_3gpuE9ELNS1_3repE0EEENS1_48merge_mergepath_partition_config_static_selectorELNS0_4arch9wavefront6targetE1EEEvSM_,comdat
.Lfunc_end1627:
	.size	_ZN7rocprim17ROCPRIM_400000_NS6detail17trampoline_kernelINS0_14default_configENS1_38merge_sort_block_merge_config_selectorIlNS0_10empty_typeEEEZZNS1_27merge_sort_block_merge_implIS3_PlPS5_mZN2at6native12_GLOBAL__N_124unique_dim_cuda_templateImEESt5tupleIJNSA_6TensorESF_SF_EERKSF_lbbbEUlllE_EE10hipError_tT0_T1_T2_jT3_P12ihipStream_tbPNSt15iterator_traitsISL_E10value_typeEPNSR_ISM_E10value_typeEPSN_NS1_7vsmem_tEENKUlT_SL_SM_SN_E_clIS8_S8_S9_S9_EESK_S10_SL_SM_SN_EUlS10_E_NS1_11comp_targetILNS1_3genE5ELNS1_11target_archE942ELNS1_3gpuE9ELNS1_3repE0EEENS1_48merge_mergepath_partition_config_static_selectorELNS0_4arch9wavefront6targetE1EEEvSM_, .Lfunc_end1627-_ZN7rocprim17ROCPRIM_400000_NS6detail17trampoline_kernelINS0_14default_configENS1_38merge_sort_block_merge_config_selectorIlNS0_10empty_typeEEEZZNS1_27merge_sort_block_merge_implIS3_PlPS5_mZN2at6native12_GLOBAL__N_124unique_dim_cuda_templateImEESt5tupleIJNSA_6TensorESF_SF_EERKSF_lbbbEUlllE_EE10hipError_tT0_T1_T2_jT3_P12ihipStream_tbPNSt15iterator_traitsISL_E10value_typeEPNSR_ISM_E10value_typeEPSN_NS1_7vsmem_tEENKUlT_SL_SM_SN_E_clIS8_S8_S9_S9_EESK_S10_SL_SM_SN_EUlS10_E_NS1_11comp_targetILNS1_3genE5ELNS1_11target_archE942ELNS1_3gpuE9ELNS1_3repE0EEENS1_48merge_mergepath_partition_config_static_selectorELNS0_4arch9wavefront6targetE1EEEvSM_
                                        ; -- End function
	.section	.AMDGPU.csdata,"",@progbits
; Kernel info:
; codeLenInByte = 796
; NumSgprs: 42
; NumVgprs: 23
; NumAgprs: 0
; TotalNumVgprs: 23
; ScratchSize: 0
; MemoryBound: 0
; FloatMode: 240
; IeeeMode: 1
; LDSByteSize: 0 bytes/workgroup (compile time only)
; SGPRBlocks: 5
; VGPRBlocks: 2
; NumSGPRsForWavesPerEU: 42
; NumVGPRsForWavesPerEU: 23
; AccumOffset: 24
; Occupancy: 8
; WaveLimiterHint : 0
; COMPUTE_PGM_RSRC2:SCRATCH_EN: 0
; COMPUTE_PGM_RSRC2:USER_SGPR: 2
; COMPUTE_PGM_RSRC2:TRAP_HANDLER: 0
; COMPUTE_PGM_RSRC2:TGID_X_EN: 1
; COMPUTE_PGM_RSRC2:TGID_Y_EN: 0
; COMPUTE_PGM_RSRC2:TGID_Z_EN: 0
; COMPUTE_PGM_RSRC2:TIDIG_COMP_CNT: 0
; COMPUTE_PGM_RSRC3_GFX90A:ACCUM_OFFSET: 5
; COMPUTE_PGM_RSRC3_GFX90A:TG_SPLIT: 0
	.section	.text._ZN7rocprim17ROCPRIM_400000_NS6detail17trampoline_kernelINS0_14default_configENS1_38merge_sort_block_merge_config_selectorIlNS0_10empty_typeEEEZZNS1_27merge_sort_block_merge_implIS3_PlPS5_mZN2at6native12_GLOBAL__N_124unique_dim_cuda_templateImEESt5tupleIJNSA_6TensorESF_SF_EERKSF_lbbbEUlllE_EE10hipError_tT0_T1_T2_jT3_P12ihipStream_tbPNSt15iterator_traitsISL_E10value_typeEPNSR_ISM_E10value_typeEPSN_NS1_7vsmem_tEENKUlT_SL_SM_SN_E_clIS8_S8_S9_S9_EESK_S10_SL_SM_SN_EUlS10_E_NS1_11comp_targetILNS1_3genE4ELNS1_11target_archE910ELNS1_3gpuE8ELNS1_3repE0EEENS1_48merge_mergepath_partition_config_static_selectorELNS0_4arch9wavefront6targetE1EEEvSM_,"axG",@progbits,_ZN7rocprim17ROCPRIM_400000_NS6detail17trampoline_kernelINS0_14default_configENS1_38merge_sort_block_merge_config_selectorIlNS0_10empty_typeEEEZZNS1_27merge_sort_block_merge_implIS3_PlPS5_mZN2at6native12_GLOBAL__N_124unique_dim_cuda_templateImEESt5tupleIJNSA_6TensorESF_SF_EERKSF_lbbbEUlllE_EE10hipError_tT0_T1_T2_jT3_P12ihipStream_tbPNSt15iterator_traitsISL_E10value_typeEPNSR_ISM_E10value_typeEPSN_NS1_7vsmem_tEENKUlT_SL_SM_SN_E_clIS8_S8_S9_S9_EESK_S10_SL_SM_SN_EUlS10_E_NS1_11comp_targetILNS1_3genE4ELNS1_11target_archE910ELNS1_3gpuE8ELNS1_3repE0EEENS1_48merge_mergepath_partition_config_static_selectorELNS0_4arch9wavefront6targetE1EEEvSM_,comdat
	.globl	_ZN7rocprim17ROCPRIM_400000_NS6detail17trampoline_kernelINS0_14default_configENS1_38merge_sort_block_merge_config_selectorIlNS0_10empty_typeEEEZZNS1_27merge_sort_block_merge_implIS3_PlPS5_mZN2at6native12_GLOBAL__N_124unique_dim_cuda_templateImEESt5tupleIJNSA_6TensorESF_SF_EERKSF_lbbbEUlllE_EE10hipError_tT0_T1_T2_jT3_P12ihipStream_tbPNSt15iterator_traitsISL_E10value_typeEPNSR_ISM_E10value_typeEPSN_NS1_7vsmem_tEENKUlT_SL_SM_SN_E_clIS8_S8_S9_S9_EESK_S10_SL_SM_SN_EUlS10_E_NS1_11comp_targetILNS1_3genE4ELNS1_11target_archE910ELNS1_3gpuE8ELNS1_3repE0EEENS1_48merge_mergepath_partition_config_static_selectorELNS0_4arch9wavefront6targetE1EEEvSM_ ; -- Begin function _ZN7rocprim17ROCPRIM_400000_NS6detail17trampoline_kernelINS0_14default_configENS1_38merge_sort_block_merge_config_selectorIlNS0_10empty_typeEEEZZNS1_27merge_sort_block_merge_implIS3_PlPS5_mZN2at6native12_GLOBAL__N_124unique_dim_cuda_templateImEESt5tupleIJNSA_6TensorESF_SF_EERKSF_lbbbEUlllE_EE10hipError_tT0_T1_T2_jT3_P12ihipStream_tbPNSt15iterator_traitsISL_E10value_typeEPNSR_ISM_E10value_typeEPSN_NS1_7vsmem_tEENKUlT_SL_SM_SN_E_clIS8_S8_S9_S9_EESK_S10_SL_SM_SN_EUlS10_E_NS1_11comp_targetILNS1_3genE4ELNS1_11target_archE910ELNS1_3gpuE8ELNS1_3repE0EEENS1_48merge_mergepath_partition_config_static_selectorELNS0_4arch9wavefront6targetE1EEEvSM_
	.p2align	8
	.type	_ZN7rocprim17ROCPRIM_400000_NS6detail17trampoline_kernelINS0_14default_configENS1_38merge_sort_block_merge_config_selectorIlNS0_10empty_typeEEEZZNS1_27merge_sort_block_merge_implIS3_PlPS5_mZN2at6native12_GLOBAL__N_124unique_dim_cuda_templateImEESt5tupleIJNSA_6TensorESF_SF_EERKSF_lbbbEUlllE_EE10hipError_tT0_T1_T2_jT3_P12ihipStream_tbPNSt15iterator_traitsISL_E10value_typeEPNSR_ISM_E10value_typeEPSN_NS1_7vsmem_tEENKUlT_SL_SM_SN_E_clIS8_S8_S9_S9_EESK_S10_SL_SM_SN_EUlS10_E_NS1_11comp_targetILNS1_3genE4ELNS1_11target_archE910ELNS1_3gpuE8ELNS1_3repE0EEENS1_48merge_mergepath_partition_config_static_selectorELNS0_4arch9wavefront6targetE1EEEvSM_,@function
_ZN7rocprim17ROCPRIM_400000_NS6detail17trampoline_kernelINS0_14default_configENS1_38merge_sort_block_merge_config_selectorIlNS0_10empty_typeEEEZZNS1_27merge_sort_block_merge_implIS3_PlPS5_mZN2at6native12_GLOBAL__N_124unique_dim_cuda_templateImEESt5tupleIJNSA_6TensorESF_SF_EERKSF_lbbbEUlllE_EE10hipError_tT0_T1_T2_jT3_P12ihipStream_tbPNSt15iterator_traitsISL_E10value_typeEPNSR_ISM_E10value_typeEPSN_NS1_7vsmem_tEENKUlT_SL_SM_SN_E_clIS8_S8_S9_S9_EESK_S10_SL_SM_SN_EUlS10_E_NS1_11comp_targetILNS1_3genE4ELNS1_11target_archE910ELNS1_3gpuE8ELNS1_3repE0EEENS1_48merge_mergepath_partition_config_static_selectorELNS0_4arch9wavefront6targetE1EEEvSM_: ; @_ZN7rocprim17ROCPRIM_400000_NS6detail17trampoline_kernelINS0_14default_configENS1_38merge_sort_block_merge_config_selectorIlNS0_10empty_typeEEEZZNS1_27merge_sort_block_merge_implIS3_PlPS5_mZN2at6native12_GLOBAL__N_124unique_dim_cuda_templateImEESt5tupleIJNSA_6TensorESF_SF_EERKSF_lbbbEUlllE_EE10hipError_tT0_T1_T2_jT3_P12ihipStream_tbPNSt15iterator_traitsISL_E10value_typeEPNSR_ISM_E10value_typeEPSN_NS1_7vsmem_tEENKUlT_SL_SM_SN_E_clIS8_S8_S9_S9_EESK_S10_SL_SM_SN_EUlS10_E_NS1_11comp_targetILNS1_3genE4ELNS1_11target_archE910ELNS1_3gpuE8ELNS1_3repE0EEENS1_48merge_mergepath_partition_config_static_selectorELNS0_4arch9wavefront6targetE1EEEvSM_
; %bb.0:
	.section	.rodata,"a",@progbits
	.p2align	6, 0x0
	.amdhsa_kernel _ZN7rocprim17ROCPRIM_400000_NS6detail17trampoline_kernelINS0_14default_configENS1_38merge_sort_block_merge_config_selectorIlNS0_10empty_typeEEEZZNS1_27merge_sort_block_merge_implIS3_PlPS5_mZN2at6native12_GLOBAL__N_124unique_dim_cuda_templateImEESt5tupleIJNSA_6TensorESF_SF_EERKSF_lbbbEUlllE_EE10hipError_tT0_T1_T2_jT3_P12ihipStream_tbPNSt15iterator_traitsISL_E10value_typeEPNSR_ISM_E10value_typeEPSN_NS1_7vsmem_tEENKUlT_SL_SM_SN_E_clIS8_S8_S9_S9_EESK_S10_SL_SM_SN_EUlS10_E_NS1_11comp_targetILNS1_3genE4ELNS1_11target_archE910ELNS1_3gpuE8ELNS1_3repE0EEENS1_48merge_mergepath_partition_config_static_selectorELNS0_4arch9wavefront6targetE1EEEvSM_
		.amdhsa_group_segment_fixed_size 0
		.amdhsa_private_segment_fixed_size 0
		.amdhsa_kernarg_size 56
		.amdhsa_user_sgpr_count 2
		.amdhsa_user_sgpr_dispatch_ptr 0
		.amdhsa_user_sgpr_queue_ptr 0
		.amdhsa_user_sgpr_kernarg_segment_ptr 1
		.amdhsa_user_sgpr_dispatch_id 0
		.amdhsa_user_sgpr_kernarg_preload_length 0
		.amdhsa_user_sgpr_kernarg_preload_offset 0
		.amdhsa_user_sgpr_private_segment_size 0
		.amdhsa_uses_dynamic_stack 0
		.amdhsa_enable_private_segment 0
		.amdhsa_system_sgpr_workgroup_id_x 1
		.amdhsa_system_sgpr_workgroup_id_y 0
		.amdhsa_system_sgpr_workgroup_id_z 0
		.amdhsa_system_sgpr_workgroup_info 0
		.amdhsa_system_vgpr_workitem_id 0
		.amdhsa_next_free_vgpr 1
		.amdhsa_next_free_sgpr 0
		.amdhsa_accum_offset 4
		.amdhsa_reserve_vcc 0
		.amdhsa_float_round_mode_32 0
		.amdhsa_float_round_mode_16_64 0
		.amdhsa_float_denorm_mode_32 3
		.amdhsa_float_denorm_mode_16_64 3
		.amdhsa_dx10_clamp 1
		.amdhsa_ieee_mode 1
		.amdhsa_fp16_overflow 0
		.amdhsa_tg_split 0
		.amdhsa_exception_fp_ieee_invalid_op 0
		.amdhsa_exception_fp_denorm_src 0
		.amdhsa_exception_fp_ieee_div_zero 0
		.amdhsa_exception_fp_ieee_overflow 0
		.amdhsa_exception_fp_ieee_underflow 0
		.amdhsa_exception_fp_ieee_inexact 0
		.amdhsa_exception_int_div_zero 0
	.end_amdhsa_kernel
	.section	.text._ZN7rocprim17ROCPRIM_400000_NS6detail17trampoline_kernelINS0_14default_configENS1_38merge_sort_block_merge_config_selectorIlNS0_10empty_typeEEEZZNS1_27merge_sort_block_merge_implIS3_PlPS5_mZN2at6native12_GLOBAL__N_124unique_dim_cuda_templateImEESt5tupleIJNSA_6TensorESF_SF_EERKSF_lbbbEUlllE_EE10hipError_tT0_T1_T2_jT3_P12ihipStream_tbPNSt15iterator_traitsISL_E10value_typeEPNSR_ISM_E10value_typeEPSN_NS1_7vsmem_tEENKUlT_SL_SM_SN_E_clIS8_S8_S9_S9_EESK_S10_SL_SM_SN_EUlS10_E_NS1_11comp_targetILNS1_3genE4ELNS1_11target_archE910ELNS1_3gpuE8ELNS1_3repE0EEENS1_48merge_mergepath_partition_config_static_selectorELNS0_4arch9wavefront6targetE1EEEvSM_,"axG",@progbits,_ZN7rocprim17ROCPRIM_400000_NS6detail17trampoline_kernelINS0_14default_configENS1_38merge_sort_block_merge_config_selectorIlNS0_10empty_typeEEEZZNS1_27merge_sort_block_merge_implIS3_PlPS5_mZN2at6native12_GLOBAL__N_124unique_dim_cuda_templateImEESt5tupleIJNSA_6TensorESF_SF_EERKSF_lbbbEUlllE_EE10hipError_tT0_T1_T2_jT3_P12ihipStream_tbPNSt15iterator_traitsISL_E10value_typeEPNSR_ISM_E10value_typeEPSN_NS1_7vsmem_tEENKUlT_SL_SM_SN_E_clIS8_S8_S9_S9_EESK_S10_SL_SM_SN_EUlS10_E_NS1_11comp_targetILNS1_3genE4ELNS1_11target_archE910ELNS1_3gpuE8ELNS1_3repE0EEENS1_48merge_mergepath_partition_config_static_selectorELNS0_4arch9wavefront6targetE1EEEvSM_,comdat
.Lfunc_end1628:
	.size	_ZN7rocprim17ROCPRIM_400000_NS6detail17trampoline_kernelINS0_14default_configENS1_38merge_sort_block_merge_config_selectorIlNS0_10empty_typeEEEZZNS1_27merge_sort_block_merge_implIS3_PlPS5_mZN2at6native12_GLOBAL__N_124unique_dim_cuda_templateImEESt5tupleIJNSA_6TensorESF_SF_EERKSF_lbbbEUlllE_EE10hipError_tT0_T1_T2_jT3_P12ihipStream_tbPNSt15iterator_traitsISL_E10value_typeEPNSR_ISM_E10value_typeEPSN_NS1_7vsmem_tEENKUlT_SL_SM_SN_E_clIS8_S8_S9_S9_EESK_S10_SL_SM_SN_EUlS10_E_NS1_11comp_targetILNS1_3genE4ELNS1_11target_archE910ELNS1_3gpuE8ELNS1_3repE0EEENS1_48merge_mergepath_partition_config_static_selectorELNS0_4arch9wavefront6targetE1EEEvSM_, .Lfunc_end1628-_ZN7rocprim17ROCPRIM_400000_NS6detail17trampoline_kernelINS0_14default_configENS1_38merge_sort_block_merge_config_selectorIlNS0_10empty_typeEEEZZNS1_27merge_sort_block_merge_implIS3_PlPS5_mZN2at6native12_GLOBAL__N_124unique_dim_cuda_templateImEESt5tupleIJNSA_6TensorESF_SF_EERKSF_lbbbEUlllE_EE10hipError_tT0_T1_T2_jT3_P12ihipStream_tbPNSt15iterator_traitsISL_E10value_typeEPNSR_ISM_E10value_typeEPSN_NS1_7vsmem_tEENKUlT_SL_SM_SN_E_clIS8_S8_S9_S9_EESK_S10_SL_SM_SN_EUlS10_E_NS1_11comp_targetILNS1_3genE4ELNS1_11target_archE910ELNS1_3gpuE8ELNS1_3repE0EEENS1_48merge_mergepath_partition_config_static_selectorELNS0_4arch9wavefront6targetE1EEEvSM_
                                        ; -- End function
	.section	.AMDGPU.csdata,"",@progbits
; Kernel info:
; codeLenInByte = 0
; NumSgprs: 6
; NumVgprs: 0
; NumAgprs: 0
; TotalNumVgprs: 0
; ScratchSize: 0
; MemoryBound: 0
; FloatMode: 240
; IeeeMode: 1
; LDSByteSize: 0 bytes/workgroup (compile time only)
; SGPRBlocks: 0
; VGPRBlocks: 0
; NumSGPRsForWavesPerEU: 6
; NumVGPRsForWavesPerEU: 1
; AccumOffset: 4
; Occupancy: 8
; WaveLimiterHint : 0
; COMPUTE_PGM_RSRC2:SCRATCH_EN: 0
; COMPUTE_PGM_RSRC2:USER_SGPR: 2
; COMPUTE_PGM_RSRC2:TRAP_HANDLER: 0
; COMPUTE_PGM_RSRC2:TGID_X_EN: 1
; COMPUTE_PGM_RSRC2:TGID_Y_EN: 0
; COMPUTE_PGM_RSRC2:TGID_Z_EN: 0
; COMPUTE_PGM_RSRC2:TIDIG_COMP_CNT: 0
; COMPUTE_PGM_RSRC3_GFX90A:ACCUM_OFFSET: 0
; COMPUTE_PGM_RSRC3_GFX90A:TG_SPLIT: 0
	.section	.text._ZN7rocprim17ROCPRIM_400000_NS6detail17trampoline_kernelINS0_14default_configENS1_38merge_sort_block_merge_config_selectorIlNS0_10empty_typeEEEZZNS1_27merge_sort_block_merge_implIS3_PlPS5_mZN2at6native12_GLOBAL__N_124unique_dim_cuda_templateImEESt5tupleIJNSA_6TensorESF_SF_EERKSF_lbbbEUlllE_EE10hipError_tT0_T1_T2_jT3_P12ihipStream_tbPNSt15iterator_traitsISL_E10value_typeEPNSR_ISM_E10value_typeEPSN_NS1_7vsmem_tEENKUlT_SL_SM_SN_E_clIS8_S8_S9_S9_EESK_S10_SL_SM_SN_EUlS10_E_NS1_11comp_targetILNS1_3genE3ELNS1_11target_archE908ELNS1_3gpuE7ELNS1_3repE0EEENS1_48merge_mergepath_partition_config_static_selectorELNS0_4arch9wavefront6targetE1EEEvSM_,"axG",@progbits,_ZN7rocprim17ROCPRIM_400000_NS6detail17trampoline_kernelINS0_14default_configENS1_38merge_sort_block_merge_config_selectorIlNS0_10empty_typeEEEZZNS1_27merge_sort_block_merge_implIS3_PlPS5_mZN2at6native12_GLOBAL__N_124unique_dim_cuda_templateImEESt5tupleIJNSA_6TensorESF_SF_EERKSF_lbbbEUlllE_EE10hipError_tT0_T1_T2_jT3_P12ihipStream_tbPNSt15iterator_traitsISL_E10value_typeEPNSR_ISM_E10value_typeEPSN_NS1_7vsmem_tEENKUlT_SL_SM_SN_E_clIS8_S8_S9_S9_EESK_S10_SL_SM_SN_EUlS10_E_NS1_11comp_targetILNS1_3genE3ELNS1_11target_archE908ELNS1_3gpuE7ELNS1_3repE0EEENS1_48merge_mergepath_partition_config_static_selectorELNS0_4arch9wavefront6targetE1EEEvSM_,comdat
	.globl	_ZN7rocprim17ROCPRIM_400000_NS6detail17trampoline_kernelINS0_14default_configENS1_38merge_sort_block_merge_config_selectorIlNS0_10empty_typeEEEZZNS1_27merge_sort_block_merge_implIS3_PlPS5_mZN2at6native12_GLOBAL__N_124unique_dim_cuda_templateImEESt5tupleIJNSA_6TensorESF_SF_EERKSF_lbbbEUlllE_EE10hipError_tT0_T1_T2_jT3_P12ihipStream_tbPNSt15iterator_traitsISL_E10value_typeEPNSR_ISM_E10value_typeEPSN_NS1_7vsmem_tEENKUlT_SL_SM_SN_E_clIS8_S8_S9_S9_EESK_S10_SL_SM_SN_EUlS10_E_NS1_11comp_targetILNS1_3genE3ELNS1_11target_archE908ELNS1_3gpuE7ELNS1_3repE0EEENS1_48merge_mergepath_partition_config_static_selectorELNS0_4arch9wavefront6targetE1EEEvSM_ ; -- Begin function _ZN7rocprim17ROCPRIM_400000_NS6detail17trampoline_kernelINS0_14default_configENS1_38merge_sort_block_merge_config_selectorIlNS0_10empty_typeEEEZZNS1_27merge_sort_block_merge_implIS3_PlPS5_mZN2at6native12_GLOBAL__N_124unique_dim_cuda_templateImEESt5tupleIJNSA_6TensorESF_SF_EERKSF_lbbbEUlllE_EE10hipError_tT0_T1_T2_jT3_P12ihipStream_tbPNSt15iterator_traitsISL_E10value_typeEPNSR_ISM_E10value_typeEPSN_NS1_7vsmem_tEENKUlT_SL_SM_SN_E_clIS8_S8_S9_S9_EESK_S10_SL_SM_SN_EUlS10_E_NS1_11comp_targetILNS1_3genE3ELNS1_11target_archE908ELNS1_3gpuE7ELNS1_3repE0EEENS1_48merge_mergepath_partition_config_static_selectorELNS0_4arch9wavefront6targetE1EEEvSM_
	.p2align	8
	.type	_ZN7rocprim17ROCPRIM_400000_NS6detail17trampoline_kernelINS0_14default_configENS1_38merge_sort_block_merge_config_selectorIlNS0_10empty_typeEEEZZNS1_27merge_sort_block_merge_implIS3_PlPS5_mZN2at6native12_GLOBAL__N_124unique_dim_cuda_templateImEESt5tupleIJNSA_6TensorESF_SF_EERKSF_lbbbEUlllE_EE10hipError_tT0_T1_T2_jT3_P12ihipStream_tbPNSt15iterator_traitsISL_E10value_typeEPNSR_ISM_E10value_typeEPSN_NS1_7vsmem_tEENKUlT_SL_SM_SN_E_clIS8_S8_S9_S9_EESK_S10_SL_SM_SN_EUlS10_E_NS1_11comp_targetILNS1_3genE3ELNS1_11target_archE908ELNS1_3gpuE7ELNS1_3repE0EEENS1_48merge_mergepath_partition_config_static_selectorELNS0_4arch9wavefront6targetE1EEEvSM_,@function
_ZN7rocprim17ROCPRIM_400000_NS6detail17trampoline_kernelINS0_14default_configENS1_38merge_sort_block_merge_config_selectorIlNS0_10empty_typeEEEZZNS1_27merge_sort_block_merge_implIS3_PlPS5_mZN2at6native12_GLOBAL__N_124unique_dim_cuda_templateImEESt5tupleIJNSA_6TensorESF_SF_EERKSF_lbbbEUlllE_EE10hipError_tT0_T1_T2_jT3_P12ihipStream_tbPNSt15iterator_traitsISL_E10value_typeEPNSR_ISM_E10value_typeEPSN_NS1_7vsmem_tEENKUlT_SL_SM_SN_E_clIS8_S8_S9_S9_EESK_S10_SL_SM_SN_EUlS10_E_NS1_11comp_targetILNS1_3genE3ELNS1_11target_archE908ELNS1_3gpuE7ELNS1_3repE0EEENS1_48merge_mergepath_partition_config_static_selectorELNS0_4arch9wavefront6targetE1EEEvSM_: ; @_ZN7rocprim17ROCPRIM_400000_NS6detail17trampoline_kernelINS0_14default_configENS1_38merge_sort_block_merge_config_selectorIlNS0_10empty_typeEEEZZNS1_27merge_sort_block_merge_implIS3_PlPS5_mZN2at6native12_GLOBAL__N_124unique_dim_cuda_templateImEESt5tupleIJNSA_6TensorESF_SF_EERKSF_lbbbEUlllE_EE10hipError_tT0_T1_T2_jT3_P12ihipStream_tbPNSt15iterator_traitsISL_E10value_typeEPNSR_ISM_E10value_typeEPSN_NS1_7vsmem_tEENKUlT_SL_SM_SN_E_clIS8_S8_S9_S9_EESK_S10_SL_SM_SN_EUlS10_E_NS1_11comp_targetILNS1_3genE3ELNS1_11target_archE908ELNS1_3gpuE7ELNS1_3repE0EEENS1_48merge_mergepath_partition_config_static_selectorELNS0_4arch9wavefront6targetE1EEEvSM_
; %bb.0:
	.section	.rodata,"a",@progbits
	.p2align	6, 0x0
	.amdhsa_kernel _ZN7rocprim17ROCPRIM_400000_NS6detail17trampoline_kernelINS0_14default_configENS1_38merge_sort_block_merge_config_selectorIlNS0_10empty_typeEEEZZNS1_27merge_sort_block_merge_implIS3_PlPS5_mZN2at6native12_GLOBAL__N_124unique_dim_cuda_templateImEESt5tupleIJNSA_6TensorESF_SF_EERKSF_lbbbEUlllE_EE10hipError_tT0_T1_T2_jT3_P12ihipStream_tbPNSt15iterator_traitsISL_E10value_typeEPNSR_ISM_E10value_typeEPSN_NS1_7vsmem_tEENKUlT_SL_SM_SN_E_clIS8_S8_S9_S9_EESK_S10_SL_SM_SN_EUlS10_E_NS1_11comp_targetILNS1_3genE3ELNS1_11target_archE908ELNS1_3gpuE7ELNS1_3repE0EEENS1_48merge_mergepath_partition_config_static_selectorELNS0_4arch9wavefront6targetE1EEEvSM_
		.amdhsa_group_segment_fixed_size 0
		.amdhsa_private_segment_fixed_size 0
		.amdhsa_kernarg_size 56
		.amdhsa_user_sgpr_count 2
		.amdhsa_user_sgpr_dispatch_ptr 0
		.amdhsa_user_sgpr_queue_ptr 0
		.amdhsa_user_sgpr_kernarg_segment_ptr 1
		.amdhsa_user_sgpr_dispatch_id 0
		.amdhsa_user_sgpr_kernarg_preload_length 0
		.amdhsa_user_sgpr_kernarg_preload_offset 0
		.amdhsa_user_sgpr_private_segment_size 0
		.amdhsa_uses_dynamic_stack 0
		.amdhsa_enable_private_segment 0
		.amdhsa_system_sgpr_workgroup_id_x 1
		.amdhsa_system_sgpr_workgroup_id_y 0
		.amdhsa_system_sgpr_workgroup_id_z 0
		.amdhsa_system_sgpr_workgroup_info 0
		.amdhsa_system_vgpr_workitem_id 0
		.amdhsa_next_free_vgpr 1
		.amdhsa_next_free_sgpr 0
		.amdhsa_accum_offset 4
		.amdhsa_reserve_vcc 0
		.amdhsa_float_round_mode_32 0
		.amdhsa_float_round_mode_16_64 0
		.amdhsa_float_denorm_mode_32 3
		.amdhsa_float_denorm_mode_16_64 3
		.amdhsa_dx10_clamp 1
		.amdhsa_ieee_mode 1
		.amdhsa_fp16_overflow 0
		.amdhsa_tg_split 0
		.amdhsa_exception_fp_ieee_invalid_op 0
		.amdhsa_exception_fp_denorm_src 0
		.amdhsa_exception_fp_ieee_div_zero 0
		.amdhsa_exception_fp_ieee_overflow 0
		.amdhsa_exception_fp_ieee_underflow 0
		.amdhsa_exception_fp_ieee_inexact 0
		.amdhsa_exception_int_div_zero 0
	.end_amdhsa_kernel
	.section	.text._ZN7rocprim17ROCPRIM_400000_NS6detail17trampoline_kernelINS0_14default_configENS1_38merge_sort_block_merge_config_selectorIlNS0_10empty_typeEEEZZNS1_27merge_sort_block_merge_implIS3_PlPS5_mZN2at6native12_GLOBAL__N_124unique_dim_cuda_templateImEESt5tupleIJNSA_6TensorESF_SF_EERKSF_lbbbEUlllE_EE10hipError_tT0_T1_T2_jT3_P12ihipStream_tbPNSt15iterator_traitsISL_E10value_typeEPNSR_ISM_E10value_typeEPSN_NS1_7vsmem_tEENKUlT_SL_SM_SN_E_clIS8_S8_S9_S9_EESK_S10_SL_SM_SN_EUlS10_E_NS1_11comp_targetILNS1_3genE3ELNS1_11target_archE908ELNS1_3gpuE7ELNS1_3repE0EEENS1_48merge_mergepath_partition_config_static_selectorELNS0_4arch9wavefront6targetE1EEEvSM_,"axG",@progbits,_ZN7rocprim17ROCPRIM_400000_NS6detail17trampoline_kernelINS0_14default_configENS1_38merge_sort_block_merge_config_selectorIlNS0_10empty_typeEEEZZNS1_27merge_sort_block_merge_implIS3_PlPS5_mZN2at6native12_GLOBAL__N_124unique_dim_cuda_templateImEESt5tupleIJNSA_6TensorESF_SF_EERKSF_lbbbEUlllE_EE10hipError_tT0_T1_T2_jT3_P12ihipStream_tbPNSt15iterator_traitsISL_E10value_typeEPNSR_ISM_E10value_typeEPSN_NS1_7vsmem_tEENKUlT_SL_SM_SN_E_clIS8_S8_S9_S9_EESK_S10_SL_SM_SN_EUlS10_E_NS1_11comp_targetILNS1_3genE3ELNS1_11target_archE908ELNS1_3gpuE7ELNS1_3repE0EEENS1_48merge_mergepath_partition_config_static_selectorELNS0_4arch9wavefront6targetE1EEEvSM_,comdat
.Lfunc_end1629:
	.size	_ZN7rocprim17ROCPRIM_400000_NS6detail17trampoline_kernelINS0_14default_configENS1_38merge_sort_block_merge_config_selectorIlNS0_10empty_typeEEEZZNS1_27merge_sort_block_merge_implIS3_PlPS5_mZN2at6native12_GLOBAL__N_124unique_dim_cuda_templateImEESt5tupleIJNSA_6TensorESF_SF_EERKSF_lbbbEUlllE_EE10hipError_tT0_T1_T2_jT3_P12ihipStream_tbPNSt15iterator_traitsISL_E10value_typeEPNSR_ISM_E10value_typeEPSN_NS1_7vsmem_tEENKUlT_SL_SM_SN_E_clIS8_S8_S9_S9_EESK_S10_SL_SM_SN_EUlS10_E_NS1_11comp_targetILNS1_3genE3ELNS1_11target_archE908ELNS1_3gpuE7ELNS1_3repE0EEENS1_48merge_mergepath_partition_config_static_selectorELNS0_4arch9wavefront6targetE1EEEvSM_, .Lfunc_end1629-_ZN7rocprim17ROCPRIM_400000_NS6detail17trampoline_kernelINS0_14default_configENS1_38merge_sort_block_merge_config_selectorIlNS0_10empty_typeEEEZZNS1_27merge_sort_block_merge_implIS3_PlPS5_mZN2at6native12_GLOBAL__N_124unique_dim_cuda_templateImEESt5tupleIJNSA_6TensorESF_SF_EERKSF_lbbbEUlllE_EE10hipError_tT0_T1_T2_jT3_P12ihipStream_tbPNSt15iterator_traitsISL_E10value_typeEPNSR_ISM_E10value_typeEPSN_NS1_7vsmem_tEENKUlT_SL_SM_SN_E_clIS8_S8_S9_S9_EESK_S10_SL_SM_SN_EUlS10_E_NS1_11comp_targetILNS1_3genE3ELNS1_11target_archE908ELNS1_3gpuE7ELNS1_3repE0EEENS1_48merge_mergepath_partition_config_static_selectorELNS0_4arch9wavefront6targetE1EEEvSM_
                                        ; -- End function
	.section	.AMDGPU.csdata,"",@progbits
; Kernel info:
; codeLenInByte = 0
; NumSgprs: 6
; NumVgprs: 0
; NumAgprs: 0
; TotalNumVgprs: 0
; ScratchSize: 0
; MemoryBound: 0
; FloatMode: 240
; IeeeMode: 1
; LDSByteSize: 0 bytes/workgroup (compile time only)
; SGPRBlocks: 0
; VGPRBlocks: 0
; NumSGPRsForWavesPerEU: 6
; NumVGPRsForWavesPerEU: 1
; AccumOffset: 4
; Occupancy: 8
; WaveLimiterHint : 0
; COMPUTE_PGM_RSRC2:SCRATCH_EN: 0
; COMPUTE_PGM_RSRC2:USER_SGPR: 2
; COMPUTE_PGM_RSRC2:TRAP_HANDLER: 0
; COMPUTE_PGM_RSRC2:TGID_X_EN: 1
; COMPUTE_PGM_RSRC2:TGID_Y_EN: 0
; COMPUTE_PGM_RSRC2:TGID_Z_EN: 0
; COMPUTE_PGM_RSRC2:TIDIG_COMP_CNT: 0
; COMPUTE_PGM_RSRC3_GFX90A:ACCUM_OFFSET: 0
; COMPUTE_PGM_RSRC3_GFX90A:TG_SPLIT: 0
	.section	.text._ZN7rocprim17ROCPRIM_400000_NS6detail17trampoline_kernelINS0_14default_configENS1_38merge_sort_block_merge_config_selectorIlNS0_10empty_typeEEEZZNS1_27merge_sort_block_merge_implIS3_PlPS5_mZN2at6native12_GLOBAL__N_124unique_dim_cuda_templateImEESt5tupleIJNSA_6TensorESF_SF_EERKSF_lbbbEUlllE_EE10hipError_tT0_T1_T2_jT3_P12ihipStream_tbPNSt15iterator_traitsISL_E10value_typeEPNSR_ISM_E10value_typeEPSN_NS1_7vsmem_tEENKUlT_SL_SM_SN_E_clIS8_S8_S9_S9_EESK_S10_SL_SM_SN_EUlS10_E_NS1_11comp_targetILNS1_3genE2ELNS1_11target_archE906ELNS1_3gpuE6ELNS1_3repE0EEENS1_48merge_mergepath_partition_config_static_selectorELNS0_4arch9wavefront6targetE1EEEvSM_,"axG",@progbits,_ZN7rocprim17ROCPRIM_400000_NS6detail17trampoline_kernelINS0_14default_configENS1_38merge_sort_block_merge_config_selectorIlNS0_10empty_typeEEEZZNS1_27merge_sort_block_merge_implIS3_PlPS5_mZN2at6native12_GLOBAL__N_124unique_dim_cuda_templateImEESt5tupleIJNSA_6TensorESF_SF_EERKSF_lbbbEUlllE_EE10hipError_tT0_T1_T2_jT3_P12ihipStream_tbPNSt15iterator_traitsISL_E10value_typeEPNSR_ISM_E10value_typeEPSN_NS1_7vsmem_tEENKUlT_SL_SM_SN_E_clIS8_S8_S9_S9_EESK_S10_SL_SM_SN_EUlS10_E_NS1_11comp_targetILNS1_3genE2ELNS1_11target_archE906ELNS1_3gpuE6ELNS1_3repE0EEENS1_48merge_mergepath_partition_config_static_selectorELNS0_4arch9wavefront6targetE1EEEvSM_,comdat
	.globl	_ZN7rocprim17ROCPRIM_400000_NS6detail17trampoline_kernelINS0_14default_configENS1_38merge_sort_block_merge_config_selectorIlNS0_10empty_typeEEEZZNS1_27merge_sort_block_merge_implIS3_PlPS5_mZN2at6native12_GLOBAL__N_124unique_dim_cuda_templateImEESt5tupleIJNSA_6TensorESF_SF_EERKSF_lbbbEUlllE_EE10hipError_tT0_T1_T2_jT3_P12ihipStream_tbPNSt15iterator_traitsISL_E10value_typeEPNSR_ISM_E10value_typeEPSN_NS1_7vsmem_tEENKUlT_SL_SM_SN_E_clIS8_S8_S9_S9_EESK_S10_SL_SM_SN_EUlS10_E_NS1_11comp_targetILNS1_3genE2ELNS1_11target_archE906ELNS1_3gpuE6ELNS1_3repE0EEENS1_48merge_mergepath_partition_config_static_selectorELNS0_4arch9wavefront6targetE1EEEvSM_ ; -- Begin function _ZN7rocprim17ROCPRIM_400000_NS6detail17trampoline_kernelINS0_14default_configENS1_38merge_sort_block_merge_config_selectorIlNS0_10empty_typeEEEZZNS1_27merge_sort_block_merge_implIS3_PlPS5_mZN2at6native12_GLOBAL__N_124unique_dim_cuda_templateImEESt5tupleIJNSA_6TensorESF_SF_EERKSF_lbbbEUlllE_EE10hipError_tT0_T1_T2_jT3_P12ihipStream_tbPNSt15iterator_traitsISL_E10value_typeEPNSR_ISM_E10value_typeEPSN_NS1_7vsmem_tEENKUlT_SL_SM_SN_E_clIS8_S8_S9_S9_EESK_S10_SL_SM_SN_EUlS10_E_NS1_11comp_targetILNS1_3genE2ELNS1_11target_archE906ELNS1_3gpuE6ELNS1_3repE0EEENS1_48merge_mergepath_partition_config_static_selectorELNS0_4arch9wavefront6targetE1EEEvSM_
	.p2align	8
	.type	_ZN7rocprim17ROCPRIM_400000_NS6detail17trampoline_kernelINS0_14default_configENS1_38merge_sort_block_merge_config_selectorIlNS0_10empty_typeEEEZZNS1_27merge_sort_block_merge_implIS3_PlPS5_mZN2at6native12_GLOBAL__N_124unique_dim_cuda_templateImEESt5tupleIJNSA_6TensorESF_SF_EERKSF_lbbbEUlllE_EE10hipError_tT0_T1_T2_jT3_P12ihipStream_tbPNSt15iterator_traitsISL_E10value_typeEPNSR_ISM_E10value_typeEPSN_NS1_7vsmem_tEENKUlT_SL_SM_SN_E_clIS8_S8_S9_S9_EESK_S10_SL_SM_SN_EUlS10_E_NS1_11comp_targetILNS1_3genE2ELNS1_11target_archE906ELNS1_3gpuE6ELNS1_3repE0EEENS1_48merge_mergepath_partition_config_static_selectorELNS0_4arch9wavefront6targetE1EEEvSM_,@function
_ZN7rocprim17ROCPRIM_400000_NS6detail17trampoline_kernelINS0_14default_configENS1_38merge_sort_block_merge_config_selectorIlNS0_10empty_typeEEEZZNS1_27merge_sort_block_merge_implIS3_PlPS5_mZN2at6native12_GLOBAL__N_124unique_dim_cuda_templateImEESt5tupleIJNSA_6TensorESF_SF_EERKSF_lbbbEUlllE_EE10hipError_tT0_T1_T2_jT3_P12ihipStream_tbPNSt15iterator_traitsISL_E10value_typeEPNSR_ISM_E10value_typeEPSN_NS1_7vsmem_tEENKUlT_SL_SM_SN_E_clIS8_S8_S9_S9_EESK_S10_SL_SM_SN_EUlS10_E_NS1_11comp_targetILNS1_3genE2ELNS1_11target_archE906ELNS1_3gpuE6ELNS1_3repE0EEENS1_48merge_mergepath_partition_config_static_selectorELNS0_4arch9wavefront6targetE1EEEvSM_: ; @_ZN7rocprim17ROCPRIM_400000_NS6detail17trampoline_kernelINS0_14default_configENS1_38merge_sort_block_merge_config_selectorIlNS0_10empty_typeEEEZZNS1_27merge_sort_block_merge_implIS3_PlPS5_mZN2at6native12_GLOBAL__N_124unique_dim_cuda_templateImEESt5tupleIJNSA_6TensorESF_SF_EERKSF_lbbbEUlllE_EE10hipError_tT0_T1_T2_jT3_P12ihipStream_tbPNSt15iterator_traitsISL_E10value_typeEPNSR_ISM_E10value_typeEPSN_NS1_7vsmem_tEENKUlT_SL_SM_SN_E_clIS8_S8_S9_S9_EESK_S10_SL_SM_SN_EUlS10_E_NS1_11comp_targetILNS1_3genE2ELNS1_11target_archE906ELNS1_3gpuE6ELNS1_3repE0EEENS1_48merge_mergepath_partition_config_static_selectorELNS0_4arch9wavefront6targetE1EEEvSM_
; %bb.0:
	.section	.rodata,"a",@progbits
	.p2align	6, 0x0
	.amdhsa_kernel _ZN7rocprim17ROCPRIM_400000_NS6detail17trampoline_kernelINS0_14default_configENS1_38merge_sort_block_merge_config_selectorIlNS0_10empty_typeEEEZZNS1_27merge_sort_block_merge_implIS3_PlPS5_mZN2at6native12_GLOBAL__N_124unique_dim_cuda_templateImEESt5tupleIJNSA_6TensorESF_SF_EERKSF_lbbbEUlllE_EE10hipError_tT0_T1_T2_jT3_P12ihipStream_tbPNSt15iterator_traitsISL_E10value_typeEPNSR_ISM_E10value_typeEPSN_NS1_7vsmem_tEENKUlT_SL_SM_SN_E_clIS8_S8_S9_S9_EESK_S10_SL_SM_SN_EUlS10_E_NS1_11comp_targetILNS1_3genE2ELNS1_11target_archE906ELNS1_3gpuE6ELNS1_3repE0EEENS1_48merge_mergepath_partition_config_static_selectorELNS0_4arch9wavefront6targetE1EEEvSM_
		.amdhsa_group_segment_fixed_size 0
		.amdhsa_private_segment_fixed_size 0
		.amdhsa_kernarg_size 56
		.amdhsa_user_sgpr_count 2
		.amdhsa_user_sgpr_dispatch_ptr 0
		.amdhsa_user_sgpr_queue_ptr 0
		.amdhsa_user_sgpr_kernarg_segment_ptr 1
		.amdhsa_user_sgpr_dispatch_id 0
		.amdhsa_user_sgpr_kernarg_preload_length 0
		.amdhsa_user_sgpr_kernarg_preload_offset 0
		.amdhsa_user_sgpr_private_segment_size 0
		.amdhsa_uses_dynamic_stack 0
		.amdhsa_enable_private_segment 0
		.amdhsa_system_sgpr_workgroup_id_x 1
		.amdhsa_system_sgpr_workgroup_id_y 0
		.amdhsa_system_sgpr_workgroup_id_z 0
		.amdhsa_system_sgpr_workgroup_info 0
		.amdhsa_system_vgpr_workitem_id 0
		.amdhsa_next_free_vgpr 1
		.amdhsa_next_free_sgpr 0
		.amdhsa_accum_offset 4
		.amdhsa_reserve_vcc 0
		.amdhsa_float_round_mode_32 0
		.amdhsa_float_round_mode_16_64 0
		.amdhsa_float_denorm_mode_32 3
		.amdhsa_float_denorm_mode_16_64 3
		.amdhsa_dx10_clamp 1
		.amdhsa_ieee_mode 1
		.amdhsa_fp16_overflow 0
		.amdhsa_tg_split 0
		.amdhsa_exception_fp_ieee_invalid_op 0
		.amdhsa_exception_fp_denorm_src 0
		.amdhsa_exception_fp_ieee_div_zero 0
		.amdhsa_exception_fp_ieee_overflow 0
		.amdhsa_exception_fp_ieee_underflow 0
		.amdhsa_exception_fp_ieee_inexact 0
		.amdhsa_exception_int_div_zero 0
	.end_amdhsa_kernel
	.section	.text._ZN7rocprim17ROCPRIM_400000_NS6detail17trampoline_kernelINS0_14default_configENS1_38merge_sort_block_merge_config_selectorIlNS0_10empty_typeEEEZZNS1_27merge_sort_block_merge_implIS3_PlPS5_mZN2at6native12_GLOBAL__N_124unique_dim_cuda_templateImEESt5tupleIJNSA_6TensorESF_SF_EERKSF_lbbbEUlllE_EE10hipError_tT0_T1_T2_jT3_P12ihipStream_tbPNSt15iterator_traitsISL_E10value_typeEPNSR_ISM_E10value_typeEPSN_NS1_7vsmem_tEENKUlT_SL_SM_SN_E_clIS8_S8_S9_S9_EESK_S10_SL_SM_SN_EUlS10_E_NS1_11comp_targetILNS1_3genE2ELNS1_11target_archE906ELNS1_3gpuE6ELNS1_3repE0EEENS1_48merge_mergepath_partition_config_static_selectorELNS0_4arch9wavefront6targetE1EEEvSM_,"axG",@progbits,_ZN7rocprim17ROCPRIM_400000_NS6detail17trampoline_kernelINS0_14default_configENS1_38merge_sort_block_merge_config_selectorIlNS0_10empty_typeEEEZZNS1_27merge_sort_block_merge_implIS3_PlPS5_mZN2at6native12_GLOBAL__N_124unique_dim_cuda_templateImEESt5tupleIJNSA_6TensorESF_SF_EERKSF_lbbbEUlllE_EE10hipError_tT0_T1_T2_jT3_P12ihipStream_tbPNSt15iterator_traitsISL_E10value_typeEPNSR_ISM_E10value_typeEPSN_NS1_7vsmem_tEENKUlT_SL_SM_SN_E_clIS8_S8_S9_S9_EESK_S10_SL_SM_SN_EUlS10_E_NS1_11comp_targetILNS1_3genE2ELNS1_11target_archE906ELNS1_3gpuE6ELNS1_3repE0EEENS1_48merge_mergepath_partition_config_static_selectorELNS0_4arch9wavefront6targetE1EEEvSM_,comdat
.Lfunc_end1630:
	.size	_ZN7rocprim17ROCPRIM_400000_NS6detail17trampoline_kernelINS0_14default_configENS1_38merge_sort_block_merge_config_selectorIlNS0_10empty_typeEEEZZNS1_27merge_sort_block_merge_implIS3_PlPS5_mZN2at6native12_GLOBAL__N_124unique_dim_cuda_templateImEESt5tupleIJNSA_6TensorESF_SF_EERKSF_lbbbEUlllE_EE10hipError_tT0_T1_T2_jT3_P12ihipStream_tbPNSt15iterator_traitsISL_E10value_typeEPNSR_ISM_E10value_typeEPSN_NS1_7vsmem_tEENKUlT_SL_SM_SN_E_clIS8_S8_S9_S9_EESK_S10_SL_SM_SN_EUlS10_E_NS1_11comp_targetILNS1_3genE2ELNS1_11target_archE906ELNS1_3gpuE6ELNS1_3repE0EEENS1_48merge_mergepath_partition_config_static_selectorELNS0_4arch9wavefront6targetE1EEEvSM_, .Lfunc_end1630-_ZN7rocprim17ROCPRIM_400000_NS6detail17trampoline_kernelINS0_14default_configENS1_38merge_sort_block_merge_config_selectorIlNS0_10empty_typeEEEZZNS1_27merge_sort_block_merge_implIS3_PlPS5_mZN2at6native12_GLOBAL__N_124unique_dim_cuda_templateImEESt5tupleIJNSA_6TensorESF_SF_EERKSF_lbbbEUlllE_EE10hipError_tT0_T1_T2_jT3_P12ihipStream_tbPNSt15iterator_traitsISL_E10value_typeEPNSR_ISM_E10value_typeEPSN_NS1_7vsmem_tEENKUlT_SL_SM_SN_E_clIS8_S8_S9_S9_EESK_S10_SL_SM_SN_EUlS10_E_NS1_11comp_targetILNS1_3genE2ELNS1_11target_archE906ELNS1_3gpuE6ELNS1_3repE0EEENS1_48merge_mergepath_partition_config_static_selectorELNS0_4arch9wavefront6targetE1EEEvSM_
                                        ; -- End function
	.section	.AMDGPU.csdata,"",@progbits
; Kernel info:
; codeLenInByte = 0
; NumSgprs: 6
; NumVgprs: 0
; NumAgprs: 0
; TotalNumVgprs: 0
; ScratchSize: 0
; MemoryBound: 0
; FloatMode: 240
; IeeeMode: 1
; LDSByteSize: 0 bytes/workgroup (compile time only)
; SGPRBlocks: 0
; VGPRBlocks: 0
; NumSGPRsForWavesPerEU: 6
; NumVGPRsForWavesPerEU: 1
; AccumOffset: 4
; Occupancy: 8
; WaveLimiterHint : 0
; COMPUTE_PGM_RSRC2:SCRATCH_EN: 0
; COMPUTE_PGM_RSRC2:USER_SGPR: 2
; COMPUTE_PGM_RSRC2:TRAP_HANDLER: 0
; COMPUTE_PGM_RSRC2:TGID_X_EN: 1
; COMPUTE_PGM_RSRC2:TGID_Y_EN: 0
; COMPUTE_PGM_RSRC2:TGID_Z_EN: 0
; COMPUTE_PGM_RSRC2:TIDIG_COMP_CNT: 0
; COMPUTE_PGM_RSRC3_GFX90A:ACCUM_OFFSET: 0
; COMPUTE_PGM_RSRC3_GFX90A:TG_SPLIT: 0
	.section	.text._ZN7rocprim17ROCPRIM_400000_NS6detail17trampoline_kernelINS0_14default_configENS1_38merge_sort_block_merge_config_selectorIlNS0_10empty_typeEEEZZNS1_27merge_sort_block_merge_implIS3_PlPS5_mZN2at6native12_GLOBAL__N_124unique_dim_cuda_templateImEESt5tupleIJNSA_6TensorESF_SF_EERKSF_lbbbEUlllE_EE10hipError_tT0_T1_T2_jT3_P12ihipStream_tbPNSt15iterator_traitsISL_E10value_typeEPNSR_ISM_E10value_typeEPSN_NS1_7vsmem_tEENKUlT_SL_SM_SN_E_clIS8_S8_S9_S9_EESK_S10_SL_SM_SN_EUlS10_E_NS1_11comp_targetILNS1_3genE9ELNS1_11target_archE1100ELNS1_3gpuE3ELNS1_3repE0EEENS1_48merge_mergepath_partition_config_static_selectorELNS0_4arch9wavefront6targetE1EEEvSM_,"axG",@progbits,_ZN7rocprim17ROCPRIM_400000_NS6detail17trampoline_kernelINS0_14default_configENS1_38merge_sort_block_merge_config_selectorIlNS0_10empty_typeEEEZZNS1_27merge_sort_block_merge_implIS3_PlPS5_mZN2at6native12_GLOBAL__N_124unique_dim_cuda_templateImEESt5tupleIJNSA_6TensorESF_SF_EERKSF_lbbbEUlllE_EE10hipError_tT0_T1_T2_jT3_P12ihipStream_tbPNSt15iterator_traitsISL_E10value_typeEPNSR_ISM_E10value_typeEPSN_NS1_7vsmem_tEENKUlT_SL_SM_SN_E_clIS8_S8_S9_S9_EESK_S10_SL_SM_SN_EUlS10_E_NS1_11comp_targetILNS1_3genE9ELNS1_11target_archE1100ELNS1_3gpuE3ELNS1_3repE0EEENS1_48merge_mergepath_partition_config_static_selectorELNS0_4arch9wavefront6targetE1EEEvSM_,comdat
	.globl	_ZN7rocprim17ROCPRIM_400000_NS6detail17trampoline_kernelINS0_14default_configENS1_38merge_sort_block_merge_config_selectorIlNS0_10empty_typeEEEZZNS1_27merge_sort_block_merge_implIS3_PlPS5_mZN2at6native12_GLOBAL__N_124unique_dim_cuda_templateImEESt5tupleIJNSA_6TensorESF_SF_EERKSF_lbbbEUlllE_EE10hipError_tT0_T1_T2_jT3_P12ihipStream_tbPNSt15iterator_traitsISL_E10value_typeEPNSR_ISM_E10value_typeEPSN_NS1_7vsmem_tEENKUlT_SL_SM_SN_E_clIS8_S8_S9_S9_EESK_S10_SL_SM_SN_EUlS10_E_NS1_11comp_targetILNS1_3genE9ELNS1_11target_archE1100ELNS1_3gpuE3ELNS1_3repE0EEENS1_48merge_mergepath_partition_config_static_selectorELNS0_4arch9wavefront6targetE1EEEvSM_ ; -- Begin function _ZN7rocprim17ROCPRIM_400000_NS6detail17trampoline_kernelINS0_14default_configENS1_38merge_sort_block_merge_config_selectorIlNS0_10empty_typeEEEZZNS1_27merge_sort_block_merge_implIS3_PlPS5_mZN2at6native12_GLOBAL__N_124unique_dim_cuda_templateImEESt5tupleIJNSA_6TensorESF_SF_EERKSF_lbbbEUlllE_EE10hipError_tT0_T1_T2_jT3_P12ihipStream_tbPNSt15iterator_traitsISL_E10value_typeEPNSR_ISM_E10value_typeEPSN_NS1_7vsmem_tEENKUlT_SL_SM_SN_E_clIS8_S8_S9_S9_EESK_S10_SL_SM_SN_EUlS10_E_NS1_11comp_targetILNS1_3genE9ELNS1_11target_archE1100ELNS1_3gpuE3ELNS1_3repE0EEENS1_48merge_mergepath_partition_config_static_selectorELNS0_4arch9wavefront6targetE1EEEvSM_
	.p2align	8
	.type	_ZN7rocprim17ROCPRIM_400000_NS6detail17trampoline_kernelINS0_14default_configENS1_38merge_sort_block_merge_config_selectorIlNS0_10empty_typeEEEZZNS1_27merge_sort_block_merge_implIS3_PlPS5_mZN2at6native12_GLOBAL__N_124unique_dim_cuda_templateImEESt5tupleIJNSA_6TensorESF_SF_EERKSF_lbbbEUlllE_EE10hipError_tT0_T1_T2_jT3_P12ihipStream_tbPNSt15iterator_traitsISL_E10value_typeEPNSR_ISM_E10value_typeEPSN_NS1_7vsmem_tEENKUlT_SL_SM_SN_E_clIS8_S8_S9_S9_EESK_S10_SL_SM_SN_EUlS10_E_NS1_11comp_targetILNS1_3genE9ELNS1_11target_archE1100ELNS1_3gpuE3ELNS1_3repE0EEENS1_48merge_mergepath_partition_config_static_selectorELNS0_4arch9wavefront6targetE1EEEvSM_,@function
_ZN7rocprim17ROCPRIM_400000_NS6detail17trampoline_kernelINS0_14default_configENS1_38merge_sort_block_merge_config_selectorIlNS0_10empty_typeEEEZZNS1_27merge_sort_block_merge_implIS3_PlPS5_mZN2at6native12_GLOBAL__N_124unique_dim_cuda_templateImEESt5tupleIJNSA_6TensorESF_SF_EERKSF_lbbbEUlllE_EE10hipError_tT0_T1_T2_jT3_P12ihipStream_tbPNSt15iterator_traitsISL_E10value_typeEPNSR_ISM_E10value_typeEPSN_NS1_7vsmem_tEENKUlT_SL_SM_SN_E_clIS8_S8_S9_S9_EESK_S10_SL_SM_SN_EUlS10_E_NS1_11comp_targetILNS1_3genE9ELNS1_11target_archE1100ELNS1_3gpuE3ELNS1_3repE0EEENS1_48merge_mergepath_partition_config_static_selectorELNS0_4arch9wavefront6targetE1EEEvSM_: ; @_ZN7rocprim17ROCPRIM_400000_NS6detail17trampoline_kernelINS0_14default_configENS1_38merge_sort_block_merge_config_selectorIlNS0_10empty_typeEEEZZNS1_27merge_sort_block_merge_implIS3_PlPS5_mZN2at6native12_GLOBAL__N_124unique_dim_cuda_templateImEESt5tupleIJNSA_6TensorESF_SF_EERKSF_lbbbEUlllE_EE10hipError_tT0_T1_T2_jT3_P12ihipStream_tbPNSt15iterator_traitsISL_E10value_typeEPNSR_ISM_E10value_typeEPSN_NS1_7vsmem_tEENKUlT_SL_SM_SN_E_clIS8_S8_S9_S9_EESK_S10_SL_SM_SN_EUlS10_E_NS1_11comp_targetILNS1_3genE9ELNS1_11target_archE1100ELNS1_3gpuE3ELNS1_3repE0EEENS1_48merge_mergepath_partition_config_static_selectorELNS0_4arch9wavefront6targetE1EEEvSM_
; %bb.0:
	.section	.rodata,"a",@progbits
	.p2align	6, 0x0
	.amdhsa_kernel _ZN7rocprim17ROCPRIM_400000_NS6detail17trampoline_kernelINS0_14default_configENS1_38merge_sort_block_merge_config_selectorIlNS0_10empty_typeEEEZZNS1_27merge_sort_block_merge_implIS3_PlPS5_mZN2at6native12_GLOBAL__N_124unique_dim_cuda_templateImEESt5tupleIJNSA_6TensorESF_SF_EERKSF_lbbbEUlllE_EE10hipError_tT0_T1_T2_jT3_P12ihipStream_tbPNSt15iterator_traitsISL_E10value_typeEPNSR_ISM_E10value_typeEPSN_NS1_7vsmem_tEENKUlT_SL_SM_SN_E_clIS8_S8_S9_S9_EESK_S10_SL_SM_SN_EUlS10_E_NS1_11comp_targetILNS1_3genE9ELNS1_11target_archE1100ELNS1_3gpuE3ELNS1_3repE0EEENS1_48merge_mergepath_partition_config_static_selectorELNS0_4arch9wavefront6targetE1EEEvSM_
		.amdhsa_group_segment_fixed_size 0
		.amdhsa_private_segment_fixed_size 0
		.amdhsa_kernarg_size 56
		.amdhsa_user_sgpr_count 2
		.amdhsa_user_sgpr_dispatch_ptr 0
		.amdhsa_user_sgpr_queue_ptr 0
		.amdhsa_user_sgpr_kernarg_segment_ptr 1
		.amdhsa_user_sgpr_dispatch_id 0
		.amdhsa_user_sgpr_kernarg_preload_length 0
		.amdhsa_user_sgpr_kernarg_preload_offset 0
		.amdhsa_user_sgpr_private_segment_size 0
		.amdhsa_uses_dynamic_stack 0
		.amdhsa_enable_private_segment 0
		.amdhsa_system_sgpr_workgroup_id_x 1
		.amdhsa_system_sgpr_workgroup_id_y 0
		.amdhsa_system_sgpr_workgroup_id_z 0
		.amdhsa_system_sgpr_workgroup_info 0
		.amdhsa_system_vgpr_workitem_id 0
		.amdhsa_next_free_vgpr 1
		.amdhsa_next_free_sgpr 0
		.amdhsa_accum_offset 4
		.amdhsa_reserve_vcc 0
		.amdhsa_float_round_mode_32 0
		.amdhsa_float_round_mode_16_64 0
		.amdhsa_float_denorm_mode_32 3
		.amdhsa_float_denorm_mode_16_64 3
		.amdhsa_dx10_clamp 1
		.amdhsa_ieee_mode 1
		.amdhsa_fp16_overflow 0
		.amdhsa_tg_split 0
		.amdhsa_exception_fp_ieee_invalid_op 0
		.amdhsa_exception_fp_denorm_src 0
		.amdhsa_exception_fp_ieee_div_zero 0
		.amdhsa_exception_fp_ieee_overflow 0
		.amdhsa_exception_fp_ieee_underflow 0
		.amdhsa_exception_fp_ieee_inexact 0
		.amdhsa_exception_int_div_zero 0
	.end_amdhsa_kernel
	.section	.text._ZN7rocprim17ROCPRIM_400000_NS6detail17trampoline_kernelINS0_14default_configENS1_38merge_sort_block_merge_config_selectorIlNS0_10empty_typeEEEZZNS1_27merge_sort_block_merge_implIS3_PlPS5_mZN2at6native12_GLOBAL__N_124unique_dim_cuda_templateImEESt5tupleIJNSA_6TensorESF_SF_EERKSF_lbbbEUlllE_EE10hipError_tT0_T1_T2_jT3_P12ihipStream_tbPNSt15iterator_traitsISL_E10value_typeEPNSR_ISM_E10value_typeEPSN_NS1_7vsmem_tEENKUlT_SL_SM_SN_E_clIS8_S8_S9_S9_EESK_S10_SL_SM_SN_EUlS10_E_NS1_11comp_targetILNS1_3genE9ELNS1_11target_archE1100ELNS1_3gpuE3ELNS1_3repE0EEENS1_48merge_mergepath_partition_config_static_selectorELNS0_4arch9wavefront6targetE1EEEvSM_,"axG",@progbits,_ZN7rocprim17ROCPRIM_400000_NS6detail17trampoline_kernelINS0_14default_configENS1_38merge_sort_block_merge_config_selectorIlNS0_10empty_typeEEEZZNS1_27merge_sort_block_merge_implIS3_PlPS5_mZN2at6native12_GLOBAL__N_124unique_dim_cuda_templateImEESt5tupleIJNSA_6TensorESF_SF_EERKSF_lbbbEUlllE_EE10hipError_tT0_T1_T2_jT3_P12ihipStream_tbPNSt15iterator_traitsISL_E10value_typeEPNSR_ISM_E10value_typeEPSN_NS1_7vsmem_tEENKUlT_SL_SM_SN_E_clIS8_S8_S9_S9_EESK_S10_SL_SM_SN_EUlS10_E_NS1_11comp_targetILNS1_3genE9ELNS1_11target_archE1100ELNS1_3gpuE3ELNS1_3repE0EEENS1_48merge_mergepath_partition_config_static_selectorELNS0_4arch9wavefront6targetE1EEEvSM_,comdat
.Lfunc_end1631:
	.size	_ZN7rocprim17ROCPRIM_400000_NS6detail17trampoline_kernelINS0_14default_configENS1_38merge_sort_block_merge_config_selectorIlNS0_10empty_typeEEEZZNS1_27merge_sort_block_merge_implIS3_PlPS5_mZN2at6native12_GLOBAL__N_124unique_dim_cuda_templateImEESt5tupleIJNSA_6TensorESF_SF_EERKSF_lbbbEUlllE_EE10hipError_tT0_T1_T2_jT3_P12ihipStream_tbPNSt15iterator_traitsISL_E10value_typeEPNSR_ISM_E10value_typeEPSN_NS1_7vsmem_tEENKUlT_SL_SM_SN_E_clIS8_S8_S9_S9_EESK_S10_SL_SM_SN_EUlS10_E_NS1_11comp_targetILNS1_3genE9ELNS1_11target_archE1100ELNS1_3gpuE3ELNS1_3repE0EEENS1_48merge_mergepath_partition_config_static_selectorELNS0_4arch9wavefront6targetE1EEEvSM_, .Lfunc_end1631-_ZN7rocprim17ROCPRIM_400000_NS6detail17trampoline_kernelINS0_14default_configENS1_38merge_sort_block_merge_config_selectorIlNS0_10empty_typeEEEZZNS1_27merge_sort_block_merge_implIS3_PlPS5_mZN2at6native12_GLOBAL__N_124unique_dim_cuda_templateImEESt5tupleIJNSA_6TensorESF_SF_EERKSF_lbbbEUlllE_EE10hipError_tT0_T1_T2_jT3_P12ihipStream_tbPNSt15iterator_traitsISL_E10value_typeEPNSR_ISM_E10value_typeEPSN_NS1_7vsmem_tEENKUlT_SL_SM_SN_E_clIS8_S8_S9_S9_EESK_S10_SL_SM_SN_EUlS10_E_NS1_11comp_targetILNS1_3genE9ELNS1_11target_archE1100ELNS1_3gpuE3ELNS1_3repE0EEENS1_48merge_mergepath_partition_config_static_selectorELNS0_4arch9wavefront6targetE1EEEvSM_
                                        ; -- End function
	.section	.AMDGPU.csdata,"",@progbits
; Kernel info:
; codeLenInByte = 0
; NumSgprs: 6
; NumVgprs: 0
; NumAgprs: 0
; TotalNumVgprs: 0
; ScratchSize: 0
; MemoryBound: 0
; FloatMode: 240
; IeeeMode: 1
; LDSByteSize: 0 bytes/workgroup (compile time only)
; SGPRBlocks: 0
; VGPRBlocks: 0
; NumSGPRsForWavesPerEU: 6
; NumVGPRsForWavesPerEU: 1
; AccumOffset: 4
; Occupancy: 8
; WaveLimiterHint : 0
; COMPUTE_PGM_RSRC2:SCRATCH_EN: 0
; COMPUTE_PGM_RSRC2:USER_SGPR: 2
; COMPUTE_PGM_RSRC2:TRAP_HANDLER: 0
; COMPUTE_PGM_RSRC2:TGID_X_EN: 1
; COMPUTE_PGM_RSRC2:TGID_Y_EN: 0
; COMPUTE_PGM_RSRC2:TGID_Z_EN: 0
; COMPUTE_PGM_RSRC2:TIDIG_COMP_CNT: 0
; COMPUTE_PGM_RSRC3_GFX90A:ACCUM_OFFSET: 0
; COMPUTE_PGM_RSRC3_GFX90A:TG_SPLIT: 0
	.section	.text._ZN7rocprim17ROCPRIM_400000_NS6detail17trampoline_kernelINS0_14default_configENS1_38merge_sort_block_merge_config_selectorIlNS0_10empty_typeEEEZZNS1_27merge_sort_block_merge_implIS3_PlPS5_mZN2at6native12_GLOBAL__N_124unique_dim_cuda_templateImEESt5tupleIJNSA_6TensorESF_SF_EERKSF_lbbbEUlllE_EE10hipError_tT0_T1_T2_jT3_P12ihipStream_tbPNSt15iterator_traitsISL_E10value_typeEPNSR_ISM_E10value_typeEPSN_NS1_7vsmem_tEENKUlT_SL_SM_SN_E_clIS8_S8_S9_S9_EESK_S10_SL_SM_SN_EUlS10_E_NS1_11comp_targetILNS1_3genE8ELNS1_11target_archE1030ELNS1_3gpuE2ELNS1_3repE0EEENS1_48merge_mergepath_partition_config_static_selectorELNS0_4arch9wavefront6targetE1EEEvSM_,"axG",@progbits,_ZN7rocprim17ROCPRIM_400000_NS6detail17trampoline_kernelINS0_14default_configENS1_38merge_sort_block_merge_config_selectorIlNS0_10empty_typeEEEZZNS1_27merge_sort_block_merge_implIS3_PlPS5_mZN2at6native12_GLOBAL__N_124unique_dim_cuda_templateImEESt5tupleIJNSA_6TensorESF_SF_EERKSF_lbbbEUlllE_EE10hipError_tT0_T1_T2_jT3_P12ihipStream_tbPNSt15iterator_traitsISL_E10value_typeEPNSR_ISM_E10value_typeEPSN_NS1_7vsmem_tEENKUlT_SL_SM_SN_E_clIS8_S8_S9_S9_EESK_S10_SL_SM_SN_EUlS10_E_NS1_11comp_targetILNS1_3genE8ELNS1_11target_archE1030ELNS1_3gpuE2ELNS1_3repE0EEENS1_48merge_mergepath_partition_config_static_selectorELNS0_4arch9wavefront6targetE1EEEvSM_,comdat
	.globl	_ZN7rocprim17ROCPRIM_400000_NS6detail17trampoline_kernelINS0_14default_configENS1_38merge_sort_block_merge_config_selectorIlNS0_10empty_typeEEEZZNS1_27merge_sort_block_merge_implIS3_PlPS5_mZN2at6native12_GLOBAL__N_124unique_dim_cuda_templateImEESt5tupleIJNSA_6TensorESF_SF_EERKSF_lbbbEUlllE_EE10hipError_tT0_T1_T2_jT3_P12ihipStream_tbPNSt15iterator_traitsISL_E10value_typeEPNSR_ISM_E10value_typeEPSN_NS1_7vsmem_tEENKUlT_SL_SM_SN_E_clIS8_S8_S9_S9_EESK_S10_SL_SM_SN_EUlS10_E_NS1_11comp_targetILNS1_3genE8ELNS1_11target_archE1030ELNS1_3gpuE2ELNS1_3repE0EEENS1_48merge_mergepath_partition_config_static_selectorELNS0_4arch9wavefront6targetE1EEEvSM_ ; -- Begin function _ZN7rocprim17ROCPRIM_400000_NS6detail17trampoline_kernelINS0_14default_configENS1_38merge_sort_block_merge_config_selectorIlNS0_10empty_typeEEEZZNS1_27merge_sort_block_merge_implIS3_PlPS5_mZN2at6native12_GLOBAL__N_124unique_dim_cuda_templateImEESt5tupleIJNSA_6TensorESF_SF_EERKSF_lbbbEUlllE_EE10hipError_tT0_T1_T2_jT3_P12ihipStream_tbPNSt15iterator_traitsISL_E10value_typeEPNSR_ISM_E10value_typeEPSN_NS1_7vsmem_tEENKUlT_SL_SM_SN_E_clIS8_S8_S9_S9_EESK_S10_SL_SM_SN_EUlS10_E_NS1_11comp_targetILNS1_3genE8ELNS1_11target_archE1030ELNS1_3gpuE2ELNS1_3repE0EEENS1_48merge_mergepath_partition_config_static_selectorELNS0_4arch9wavefront6targetE1EEEvSM_
	.p2align	8
	.type	_ZN7rocprim17ROCPRIM_400000_NS6detail17trampoline_kernelINS0_14default_configENS1_38merge_sort_block_merge_config_selectorIlNS0_10empty_typeEEEZZNS1_27merge_sort_block_merge_implIS3_PlPS5_mZN2at6native12_GLOBAL__N_124unique_dim_cuda_templateImEESt5tupleIJNSA_6TensorESF_SF_EERKSF_lbbbEUlllE_EE10hipError_tT0_T1_T2_jT3_P12ihipStream_tbPNSt15iterator_traitsISL_E10value_typeEPNSR_ISM_E10value_typeEPSN_NS1_7vsmem_tEENKUlT_SL_SM_SN_E_clIS8_S8_S9_S9_EESK_S10_SL_SM_SN_EUlS10_E_NS1_11comp_targetILNS1_3genE8ELNS1_11target_archE1030ELNS1_3gpuE2ELNS1_3repE0EEENS1_48merge_mergepath_partition_config_static_selectorELNS0_4arch9wavefront6targetE1EEEvSM_,@function
_ZN7rocprim17ROCPRIM_400000_NS6detail17trampoline_kernelINS0_14default_configENS1_38merge_sort_block_merge_config_selectorIlNS0_10empty_typeEEEZZNS1_27merge_sort_block_merge_implIS3_PlPS5_mZN2at6native12_GLOBAL__N_124unique_dim_cuda_templateImEESt5tupleIJNSA_6TensorESF_SF_EERKSF_lbbbEUlllE_EE10hipError_tT0_T1_T2_jT3_P12ihipStream_tbPNSt15iterator_traitsISL_E10value_typeEPNSR_ISM_E10value_typeEPSN_NS1_7vsmem_tEENKUlT_SL_SM_SN_E_clIS8_S8_S9_S9_EESK_S10_SL_SM_SN_EUlS10_E_NS1_11comp_targetILNS1_3genE8ELNS1_11target_archE1030ELNS1_3gpuE2ELNS1_3repE0EEENS1_48merge_mergepath_partition_config_static_selectorELNS0_4arch9wavefront6targetE1EEEvSM_: ; @_ZN7rocprim17ROCPRIM_400000_NS6detail17trampoline_kernelINS0_14default_configENS1_38merge_sort_block_merge_config_selectorIlNS0_10empty_typeEEEZZNS1_27merge_sort_block_merge_implIS3_PlPS5_mZN2at6native12_GLOBAL__N_124unique_dim_cuda_templateImEESt5tupleIJNSA_6TensorESF_SF_EERKSF_lbbbEUlllE_EE10hipError_tT0_T1_T2_jT3_P12ihipStream_tbPNSt15iterator_traitsISL_E10value_typeEPNSR_ISM_E10value_typeEPSN_NS1_7vsmem_tEENKUlT_SL_SM_SN_E_clIS8_S8_S9_S9_EESK_S10_SL_SM_SN_EUlS10_E_NS1_11comp_targetILNS1_3genE8ELNS1_11target_archE1030ELNS1_3gpuE2ELNS1_3repE0EEENS1_48merge_mergepath_partition_config_static_selectorELNS0_4arch9wavefront6targetE1EEEvSM_
; %bb.0:
	.section	.rodata,"a",@progbits
	.p2align	6, 0x0
	.amdhsa_kernel _ZN7rocprim17ROCPRIM_400000_NS6detail17trampoline_kernelINS0_14default_configENS1_38merge_sort_block_merge_config_selectorIlNS0_10empty_typeEEEZZNS1_27merge_sort_block_merge_implIS3_PlPS5_mZN2at6native12_GLOBAL__N_124unique_dim_cuda_templateImEESt5tupleIJNSA_6TensorESF_SF_EERKSF_lbbbEUlllE_EE10hipError_tT0_T1_T2_jT3_P12ihipStream_tbPNSt15iterator_traitsISL_E10value_typeEPNSR_ISM_E10value_typeEPSN_NS1_7vsmem_tEENKUlT_SL_SM_SN_E_clIS8_S8_S9_S9_EESK_S10_SL_SM_SN_EUlS10_E_NS1_11comp_targetILNS1_3genE8ELNS1_11target_archE1030ELNS1_3gpuE2ELNS1_3repE0EEENS1_48merge_mergepath_partition_config_static_selectorELNS0_4arch9wavefront6targetE1EEEvSM_
		.amdhsa_group_segment_fixed_size 0
		.amdhsa_private_segment_fixed_size 0
		.amdhsa_kernarg_size 56
		.amdhsa_user_sgpr_count 2
		.amdhsa_user_sgpr_dispatch_ptr 0
		.amdhsa_user_sgpr_queue_ptr 0
		.amdhsa_user_sgpr_kernarg_segment_ptr 1
		.amdhsa_user_sgpr_dispatch_id 0
		.amdhsa_user_sgpr_kernarg_preload_length 0
		.amdhsa_user_sgpr_kernarg_preload_offset 0
		.amdhsa_user_sgpr_private_segment_size 0
		.amdhsa_uses_dynamic_stack 0
		.amdhsa_enable_private_segment 0
		.amdhsa_system_sgpr_workgroup_id_x 1
		.amdhsa_system_sgpr_workgroup_id_y 0
		.amdhsa_system_sgpr_workgroup_id_z 0
		.amdhsa_system_sgpr_workgroup_info 0
		.amdhsa_system_vgpr_workitem_id 0
		.amdhsa_next_free_vgpr 1
		.amdhsa_next_free_sgpr 0
		.amdhsa_accum_offset 4
		.amdhsa_reserve_vcc 0
		.amdhsa_float_round_mode_32 0
		.amdhsa_float_round_mode_16_64 0
		.amdhsa_float_denorm_mode_32 3
		.amdhsa_float_denorm_mode_16_64 3
		.amdhsa_dx10_clamp 1
		.amdhsa_ieee_mode 1
		.amdhsa_fp16_overflow 0
		.amdhsa_tg_split 0
		.amdhsa_exception_fp_ieee_invalid_op 0
		.amdhsa_exception_fp_denorm_src 0
		.amdhsa_exception_fp_ieee_div_zero 0
		.amdhsa_exception_fp_ieee_overflow 0
		.amdhsa_exception_fp_ieee_underflow 0
		.amdhsa_exception_fp_ieee_inexact 0
		.amdhsa_exception_int_div_zero 0
	.end_amdhsa_kernel
	.section	.text._ZN7rocprim17ROCPRIM_400000_NS6detail17trampoline_kernelINS0_14default_configENS1_38merge_sort_block_merge_config_selectorIlNS0_10empty_typeEEEZZNS1_27merge_sort_block_merge_implIS3_PlPS5_mZN2at6native12_GLOBAL__N_124unique_dim_cuda_templateImEESt5tupleIJNSA_6TensorESF_SF_EERKSF_lbbbEUlllE_EE10hipError_tT0_T1_T2_jT3_P12ihipStream_tbPNSt15iterator_traitsISL_E10value_typeEPNSR_ISM_E10value_typeEPSN_NS1_7vsmem_tEENKUlT_SL_SM_SN_E_clIS8_S8_S9_S9_EESK_S10_SL_SM_SN_EUlS10_E_NS1_11comp_targetILNS1_3genE8ELNS1_11target_archE1030ELNS1_3gpuE2ELNS1_3repE0EEENS1_48merge_mergepath_partition_config_static_selectorELNS0_4arch9wavefront6targetE1EEEvSM_,"axG",@progbits,_ZN7rocprim17ROCPRIM_400000_NS6detail17trampoline_kernelINS0_14default_configENS1_38merge_sort_block_merge_config_selectorIlNS0_10empty_typeEEEZZNS1_27merge_sort_block_merge_implIS3_PlPS5_mZN2at6native12_GLOBAL__N_124unique_dim_cuda_templateImEESt5tupleIJNSA_6TensorESF_SF_EERKSF_lbbbEUlllE_EE10hipError_tT0_T1_T2_jT3_P12ihipStream_tbPNSt15iterator_traitsISL_E10value_typeEPNSR_ISM_E10value_typeEPSN_NS1_7vsmem_tEENKUlT_SL_SM_SN_E_clIS8_S8_S9_S9_EESK_S10_SL_SM_SN_EUlS10_E_NS1_11comp_targetILNS1_3genE8ELNS1_11target_archE1030ELNS1_3gpuE2ELNS1_3repE0EEENS1_48merge_mergepath_partition_config_static_selectorELNS0_4arch9wavefront6targetE1EEEvSM_,comdat
.Lfunc_end1632:
	.size	_ZN7rocprim17ROCPRIM_400000_NS6detail17trampoline_kernelINS0_14default_configENS1_38merge_sort_block_merge_config_selectorIlNS0_10empty_typeEEEZZNS1_27merge_sort_block_merge_implIS3_PlPS5_mZN2at6native12_GLOBAL__N_124unique_dim_cuda_templateImEESt5tupleIJNSA_6TensorESF_SF_EERKSF_lbbbEUlllE_EE10hipError_tT0_T1_T2_jT3_P12ihipStream_tbPNSt15iterator_traitsISL_E10value_typeEPNSR_ISM_E10value_typeEPSN_NS1_7vsmem_tEENKUlT_SL_SM_SN_E_clIS8_S8_S9_S9_EESK_S10_SL_SM_SN_EUlS10_E_NS1_11comp_targetILNS1_3genE8ELNS1_11target_archE1030ELNS1_3gpuE2ELNS1_3repE0EEENS1_48merge_mergepath_partition_config_static_selectorELNS0_4arch9wavefront6targetE1EEEvSM_, .Lfunc_end1632-_ZN7rocprim17ROCPRIM_400000_NS6detail17trampoline_kernelINS0_14default_configENS1_38merge_sort_block_merge_config_selectorIlNS0_10empty_typeEEEZZNS1_27merge_sort_block_merge_implIS3_PlPS5_mZN2at6native12_GLOBAL__N_124unique_dim_cuda_templateImEESt5tupleIJNSA_6TensorESF_SF_EERKSF_lbbbEUlllE_EE10hipError_tT0_T1_T2_jT3_P12ihipStream_tbPNSt15iterator_traitsISL_E10value_typeEPNSR_ISM_E10value_typeEPSN_NS1_7vsmem_tEENKUlT_SL_SM_SN_E_clIS8_S8_S9_S9_EESK_S10_SL_SM_SN_EUlS10_E_NS1_11comp_targetILNS1_3genE8ELNS1_11target_archE1030ELNS1_3gpuE2ELNS1_3repE0EEENS1_48merge_mergepath_partition_config_static_selectorELNS0_4arch9wavefront6targetE1EEEvSM_
                                        ; -- End function
	.section	.AMDGPU.csdata,"",@progbits
; Kernel info:
; codeLenInByte = 0
; NumSgprs: 6
; NumVgprs: 0
; NumAgprs: 0
; TotalNumVgprs: 0
; ScratchSize: 0
; MemoryBound: 0
; FloatMode: 240
; IeeeMode: 1
; LDSByteSize: 0 bytes/workgroup (compile time only)
; SGPRBlocks: 0
; VGPRBlocks: 0
; NumSGPRsForWavesPerEU: 6
; NumVGPRsForWavesPerEU: 1
; AccumOffset: 4
; Occupancy: 8
; WaveLimiterHint : 0
; COMPUTE_PGM_RSRC2:SCRATCH_EN: 0
; COMPUTE_PGM_RSRC2:USER_SGPR: 2
; COMPUTE_PGM_RSRC2:TRAP_HANDLER: 0
; COMPUTE_PGM_RSRC2:TGID_X_EN: 1
; COMPUTE_PGM_RSRC2:TGID_Y_EN: 0
; COMPUTE_PGM_RSRC2:TGID_Z_EN: 0
; COMPUTE_PGM_RSRC2:TIDIG_COMP_CNT: 0
; COMPUTE_PGM_RSRC3_GFX90A:ACCUM_OFFSET: 0
; COMPUTE_PGM_RSRC3_GFX90A:TG_SPLIT: 0
	.section	.text._ZN7rocprim17ROCPRIM_400000_NS6detail17trampoline_kernelINS0_14default_configENS1_38merge_sort_block_merge_config_selectorIlNS0_10empty_typeEEEZZNS1_27merge_sort_block_merge_implIS3_PlPS5_mZN2at6native12_GLOBAL__N_124unique_dim_cuda_templateImEESt5tupleIJNSA_6TensorESF_SF_EERKSF_lbbbEUlllE_EE10hipError_tT0_T1_T2_jT3_P12ihipStream_tbPNSt15iterator_traitsISL_E10value_typeEPNSR_ISM_E10value_typeEPSN_NS1_7vsmem_tEENKUlT_SL_SM_SN_E_clIS8_S8_S9_S9_EESK_S10_SL_SM_SN_EUlS10_E0_NS1_11comp_targetILNS1_3genE0ELNS1_11target_archE4294967295ELNS1_3gpuE0ELNS1_3repE0EEENS1_38merge_mergepath_config_static_selectorELNS0_4arch9wavefront6targetE1EEEvSM_,"axG",@progbits,_ZN7rocprim17ROCPRIM_400000_NS6detail17trampoline_kernelINS0_14default_configENS1_38merge_sort_block_merge_config_selectorIlNS0_10empty_typeEEEZZNS1_27merge_sort_block_merge_implIS3_PlPS5_mZN2at6native12_GLOBAL__N_124unique_dim_cuda_templateImEESt5tupleIJNSA_6TensorESF_SF_EERKSF_lbbbEUlllE_EE10hipError_tT0_T1_T2_jT3_P12ihipStream_tbPNSt15iterator_traitsISL_E10value_typeEPNSR_ISM_E10value_typeEPSN_NS1_7vsmem_tEENKUlT_SL_SM_SN_E_clIS8_S8_S9_S9_EESK_S10_SL_SM_SN_EUlS10_E0_NS1_11comp_targetILNS1_3genE0ELNS1_11target_archE4294967295ELNS1_3gpuE0ELNS1_3repE0EEENS1_38merge_mergepath_config_static_selectorELNS0_4arch9wavefront6targetE1EEEvSM_,comdat
	.globl	_ZN7rocprim17ROCPRIM_400000_NS6detail17trampoline_kernelINS0_14default_configENS1_38merge_sort_block_merge_config_selectorIlNS0_10empty_typeEEEZZNS1_27merge_sort_block_merge_implIS3_PlPS5_mZN2at6native12_GLOBAL__N_124unique_dim_cuda_templateImEESt5tupleIJNSA_6TensorESF_SF_EERKSF_lbbbEUlllE_EE10hipError_tT0_T1_T2_jT3_P12ihipStream_tbPNSt15iterator_traitsISL_E10value_typeEPNSR_ISM_E10value_typeEPSN_NS1_7vsmem_tEENKUlT_SL_SM_SN_E_clIS8_S8_S9_S9_EESK_S10_SL_SM_SN_EUlS10_E0_NS1_11comp_targetILNS1_3genE0ELNS1_11target_archE4294967295ELNS1_3gpuE0ELNS1_3repE0EEENS1_38merge_mergepath_config_static_selectorELNS0_4arch9wavefront6targetE1EEEvSM_ ; -- Begin function _ZN7rocprim17ROCPRIM_400000_NS6detail17trampoline_kernelINS0_14default_configENS1_38merge_sort_block_merge_config_selectorIlNS0_10empty_typeEEEZZNS1_27merge_sort_block_merge_implIS3_PlPS5_mZN2at6native12_GLOBAL__N_124unique_dim_cuda_templateImEESt5tupleIJNSA_6TensorESF_SF_EERKSF_lbbbEUlllE_EE10hipError_tT0_T1_T2_jT3_P12ihipStream_tbPNSt15iterator_traitsISL_E10value_typeEPNSR_ISM_E10value_typeEPSN_NS1_7vsmem_tEENKUlT_SL_SM_SN_E_clIS8_S8_S9_S9_EESK_S10_SL_SM_SN_EUlS10_E0_NS1_11comp_targetILNS1_3genE0ELNS1_11target_archE4294967295ELNS1_3gpuE0ELNS1_3repE0EEENS1_38merge_mergepath_config_static_selectorELNS0_4arch9wavefront6targetE1EEEvSM_
	.p2align	8
	.type	_ZN7rocprim17ROCPRIM_400000_NS6detail17trampoline_kernelINS0_14default_configENS1_38merge_sort_block_merge_config_selectorIlNS0_10empty_typeEEEZZNS1_27merge_sort_block_merge_implIS3_PlPS5_mZN2at6native12_GLOBAL__N_124unique_dim_cuda_templateImEESt5tupleIJNSA_6TensorESF_SF_EERKSF_lbbbEUlllE_EE10hipError_tT0_T1_T2_jT3_P12ihipStream_tbPNSt15iterator_traitsISL_E10value_typeEPNSR_ISM_E10value_typeEPSN_NS1_7vsmem_tEENKUlT_SL_SM_SN_E_clIS8_S8_S9_S9_EESK_S10_SL_SM_SN_EUlS10_E0_NS1_11comp_targetILNS1_3genE0ELNS1_11target_archE4294967295ELNS1_3gpuE0ELNS1_3repE0EEENS1_38merge_mergepath_config_static_selectorELNS0_4arch9wavefront6targetE1EEEvSM_,@function
_ZN7rocprim17ROCPRIM_400000_NS6detail17trampoline_kernelINS0_14default_configENS1_38merge_sort_block_merge_config_selectorIlNS0_10empty_typeEEEZZNS1_27merge_sort_block_merge_implIS3_PlPS5_mZN2at6native12_GLOBAL__N_124unique_dim_cuda_templateImEESt5tupleIJNSA_6TensorESF_SF_EERKSF_lbbbEUlllE_EE10hipError_tT0_T1_T2_jT3_P12ihipStream_tbPNSt15iterator_traitsISL_E10value_typeEPNSR_ISM_E10value_typeEPSN_NS1_7vsmem_tEENKUlT_SL_SM_SN_E_clIS8_S8_S9_S9_EESK_S10_SL_SM_SN_EUlS10_E0_NS1_11comp_targetILNS1_3genE0ELNS1_11target_archE4294967295ELNS1_3gpuE0ELNS1_3repE0EEENS1_38merge_mergepath_config_static_selectorELNS0_4arch9wavefront6targetE1EEEvSM_: ; @_ZN7rocprim17ROCPRIM_400000_NS6detail17trampoline_kernelINS0_14default_configENS1_38merge_sort_block_merge_config_selectorIlNS0_10empty_typeEEEZZNS1_27merge_sort_block_merge_implIS3_PlPS5_mZN2at6native12_GLOBAL__N_124unique_dim_cuda_templateImEESt5tupleIJNSA_6TensorESF_SF_EERKSF_lbbbEUlllE_EE10hipError_tT0_T1_T2_jT3_P12ihipStream_tbPNSt15iterator_traitsISL_E10value_typeEPNSR_ISM_E10value_typeEPSN_NS1_7vsmem_tEENKUlT_SL_SM_SN_E_clIS8_S8_S9_S9_EESK_S10_SL_SM_SN_EUlS10_E0_NS1_11comp_targetILNS1_3genE0ELNS1_11target_archE4294967295ELNS1_3gpuE0ELNS1_3repE0EEENS1_38merge_mergepath_config_static_selectorELNS0_4arch9wavefront6targetE1EEEvSM_
; %bb.0:
	.section	.rodata,"a",@progbits
	.p2align	6, 0x0
	.amdhsa_kernel _ZN7rocprim17ROCPRIM_400000_NS6detail17trampoline_kernelINS0_14default_configENS1_38merge_sort_block_merge_config_selectorIlNS0_10empty_typeEEEZZNS1_27merge_sort_block_merge_implIS3_PlPS5_mZN2at6native12_GLOBAL__N_124unique_dim_cuda_templateImEESt5tupleIJNSA_6TensorESF_SF_EERKSF_lbbbEUlllE_EE10hipError_tT0_T1_T2_jT3_P12ihipStream_tbPNSt15iterator_traitsISL_E10value_typeEPNSR_ISM_E10value_typeEPSN_NS1_7vsmem_tEENKUlT_SL_SM_SN_E_clIS8_S8_S9_S9_EESK_S10_SL_SM_SN_EUlS10_E0_NS1_11comp_targetILNS1_3genE0ELNS1_11target_archE4294967295ELNS1_3gpuE0ELNS1_3repE0EEENS1_38merge_mergepath_config_static_selectorELNS0_4arch9wavefront6targetE1EEEvSM_
		.amdhsa_group_segment_fixed_size 0
		.amdhsa_private_segment_fixed_size 0
		.amdhsa_kernarg_size 88
		.amdhsa_user_sgpr_count 2
		.amdhsa_user_sgpr_dispatch_ptr 0
		.amdhsa_user_sgpr_queue_ptr 0
		.amdhsa_user_sgpr_kernarg_segment_ptr 1
		.amdhsa_user_sgpr_dispatch_id 0
		.amdhsa_user_sgpr_kernarg_preload_length 0
		.amdhsa_user_sgpr_kernarg_preload_offset 0
		.amdhsa_user_sgpr_private_segment_size 0
		.amdhsa_uses_dynamic_stack 0
		.amdhsa_enable_private_segment 0
		.amdhsa_system_sgpr_workgroup_id_x 1
		.amdhsa_system_sgpr_workgroup_id_y 0
		.amdhsa_system_sgpr_workgroup_id_z 0
		.amdhsa_system_sgpr_workgroup_info 0
		.amdhsa_system_vgpr_workitem_id 0
		.amdhsa_next_free_vgpr 1
		.amdhsa_next_free_sgpr 0
		.amdhsa_accum_offset 4
		.amdhsa_reserve_vcc 0
		.amdhsa_float_round_mode_32 0
		.amdhsa_float_round_mode_16_64 0
		.amdhsa_float_denorm_mode_32 3
		.amdhsa_float_denorm_mode_16_64 3
		.amdhsa_dx10_clamp 1
		.amdhsa_ieee_mode 1
		.amdhsa_fp16_overflow 0
		.amdhsa_tg_split 0
		.amdhsa_exception_fp_ieee_invalid_op 0
		.amdhsa_exception_fp_denorm_src 0
		.amdhsa_exception_fp_ieee_div_zero 0
		.amdhsa_exception_fp_ieee_overflow 0
		.amdhsa_exception_fp_ieee_underflow 0
		.amdhsa_exception_fp_ieee_inexact 0
		.amdhsa_exception_int_div_zero 0
	.end_amdhsa_kernel
	.section	.text._ZN7rocprim17ROCPRIM_400000_NS6detail17trampoline_kernelINS0_14default_configENS1_38merge_sort_block_merge_config_selectorIlNS0_10empty_typeEEEZZNS1_27merge_sort_block_merge_implIS3_PlPS5_mZN2at6native12_GLOBAL__N_124unique_dim_cuda_templateImEESt5tupleIJNSA_6TensorESF_SF_EERKSF_lbbbEUlllE_EE10hipError_tT0_T1_T2_jT3_P12ihipStream_tbPNSt15iterator_traitsISL_E10value_typeEPNSR_ISM_E10value_typeEPSN_NS1_7vsmem_tEENKUlT_SL_SM_SN_E_clIS8_S8_S9_S9_EESK_S10_SL_SM_SN_EUlS10_E0_NS1_11comp_targetILNS1_3genE0ELNS1_11target_archE4294967295ELNS1_3gpuE0ELNS1_3repE0EEENS1_38merge_mergepath_config_static_selectorELNS0_4arch9wavefront6targetE1EEEvSM_,"axG",@progbits,_ZN7rocprim17ROCPRIM_400000_NS6detail17trampoline_kernelINS0_14default_configENS1_38merge_sort_block_merge_config_selectorIlNS0_10empty_typeEEEZZNS1_27merge_sort_block_merge_implIS3_PlPS5_mZN2at6native12_GLOBAL__N_124unique_dim_cuda_templateImEESt5tupleIJNSA_6TensorESF_SF_EERKSF_lbbbEUlllE_EE10hipError_tT0_T1_T2_jT3_P12ihipStream_tbPNSt15iterator_traitsISL_E10value_typeEPNSR_ISM_E10value_typeEPSN_NS1_7vsmem_tEENKUlT_SL_SM_SN_E_clIS8_S8_S9_S9_EESK_S10_SL_SM_SN_EUlS10_E0_NS1_11comp_targetILNS1_3genE0ELNS1_11target_archE4294967295ELNS1_3gpuE0ELNS1_3repE0EEENS1_38merge_mergepath_config_static_selectorELNS0_4arch9wavefront6targetE1EEEvSM_,comdat
.Lfunc_end1633:
	.size	_ZN7rocprim17ROCPRIM_400000_NS6detail17trampoline_kernelINS0_14default_configENS1_38merge_sort_block_merge_config_selectorIlNS0_10empty_typeEEEZZNS1_27merge_sort_block_merge_implIS3_PlPS5_mZN2at6native12_GLOBAL__N_124unique_dim_cuda_templateImEESt5tupleIJNSA_6TensorESF_SF_EERKSF_lbbbEUlllE_EE10hipError_tT0_T1_T2_jT3_P12ihipStream_tbPNSt15iterator_traitsISL_E10value_typeEPNSR_ISM_E10value_typeEPSN_NS1_7vsmem_tEENKUlT_SL_SM_SN_E_clIS8_S8_S9_S9_EESK_S10_SL_SM_SN_EUlS10_E0_NS1_11comp_targetILNS1_3genE0ELNS1_11target_archE4294967295ELNS1_3gpuE0ELNS1_3repE0EEENS1_38merge_mergepath_config_static_selectorELNS0_4arch9wavefront6targetE1EEEvSM_, .Lfunc_end1633-_ZN7rocprim17ROCPRIM_400000_NS6detail17trampoline_kernelINS0_14default_configENS1_38merge_sort_block_merge_config_selectorIlNS0_10empty_typeEEEZZNS1_27merge_sort_block_merge_implIS3_PlPS5_mZN2at6native12_GLOBAL__N_124unique_dim_cuda_templateImEESt5tupleIJNSA_6TensorESF_SF_EERKSF_lbbbEUlllE_EE10hipError_tT0_T1_T2_jT3_P12ihipStream_tbPNSt15iterator_traitsISL_E10value_typeEPNSR_ISM_E10value_typeEPSN_NS1_7vsmem_tEENKUlT_SL_SM_SN_E_clIS8_S8_S9_S9_EESK_S10_SL_SM_SN_EUlS10_E0_NS1_11comp_targetILNS1_3genE0ELNS1_11target_archE4294967295ELNS1_3gpuE0ELNS1_3repE0EEENS1_38merge_mergepath_config_static_selectorELNS0_4arch9wavefront6targetE1EEEvSM_
                                        ; -- End function
	.section	.AMDGPU.csdata,"",@progbits
; Kernel info:
; codeLenInByte = 0
; NumSgprs: 6
; NumVgprs: 0
; NumAgprs: 0
; TotalNumVgprs: 0
; ScratchSize: 0
; MemoryBound: 0
; FloatMode: 240
; IeeeMode: 1
; LDSByteSize: 0 bytes/workgroup (compile time only)
; SGPRBlocks: 0
; VGPRBlocks: 0
; NumSGPRsForWavesPerEU: 6
; NumVGPRsForWavesPerEU: 1
; AccumOffset: 4
; Occupancy: 8
; WaveLimiterHint : 0
; COMPUTE_PGM_RSRC2:SCRATCH_EN: 0
; COMPUTE_PGM_RSRC2:USER_SGPR: 2
; COMPUTE_PGM_RSRC2:TRAP_HANDLER: 0
; COMPUTE_PGM_RSRC2:TGID_X_EN: 1
; COMPUTE_PGM_RSRC2:TGID_Y_EN: 0
; COMPUTE_PGM_RSRC2:TGID_Z_EN: 0
; COMPUTE_PGM_RSRC2:TIDIG_COMP_CNT: 0
; COMPUTE_PGM_RSRC3_GFX90A:ACCUM_OFFSET: 0
; COMPUTE_PGM_RSRC3_GFX90A:TG_SPLIT: 0
	.section	.text._ZN7rocprim17ROCPRIM_400000_NS6detail17trampoline_kernelINS0_14default_configENS1_38merge_sort_block_merge_config_selectorIlNS0_10empty_typeEEEZZNS1_27merge_sort_block_merge_implIS3_PlPS5_mZN2at6native12_GLOBAL__N_124unique_dim_cuda_templateImEESt5tupleIJNSA_6TensorESF_SF_EERKSF_lbbbEUlllE_EE10hipError_tT0_T1_T2_jT3_P12ihipStream_tbPNSt15iterator_traitsISL_E10value_typeEPNSR_ISM_E10value_typeEPSN_NS1_7vsmem_tEENKUlT_SL_SM_SN_E_clIS8_S8_S9_S9_EESK_S10_SL_SM_SN_EUlS10_E0_NS1_11comp_targetILNS1_3genE10ELNS1_11target_archE1201ELNS1_3gpuE5ELNS1_3repE0EEENS1_38merge_mergepath_config_static_selectorELNS0_4arch9wavefront6targetE1EEEvSM_,"axG",@progbits,_ZN7rocprim17ROCPRIM_400000_NS6detail17trampoline_kernelINS0_14default_configENS1_38merge_sort_block_merge_config_selectorIlNS0_10empty_typeEEEZZNS1_27merge_sort_block_merge_implIS3_PlPS5_mZN2at6native12_GLOBAL__N_124unique_dim_cuda_templateImEESt5tupleIJNSA_6TensorESF_SF_EERKSF_lbbbEUlllE_EE10hipError_tT0_T1_T2_jT3_P12ihipStream_tbPNSt15iterator_traitsISL_E10value_typeEPNSR_ISM_E10value_typeEPSN_NS1_7vsmem_tEENKUlT_SL_SM_SN_E_clIS8_S8_S9_S9_EESK_S10_SL_SM_SN_EUlS10_E0_NS1_11comp_targetILNS1_3genE10ELNS1_11target_archE1201ELNS1_3gpuE5ELNS1_3repE0EEENS1_38merge_mergepath_config_static_selectorELNS0_4arch9wavefront6targetE1EEEvSM_,comdat
	.globl	_ZN7rocprim17ROCPRIM_400000_NS6detail17trampoline_kernelINS0_14default_configENS1_38merge_sort_block_merge_config_selectorIlNS0_10empty_typeEEEZZNS1_27merge_sort_block_merge_implIS3_PlPS5_mZN2at6native12_GLOBAL__N_124unique_dim_cuda_templateImEESt5tupleIJNSA_6TensorESF_SF_EERKSF_lbbbEUlllE_EE10hipError_tT0_T1_T2_jT3_P12ihipStream_tbPNSt15iterator_traitsISL_E10value_typeEPNSR_ISM_E10value_typeEPSN_NS1_7vsmem_tEENKUlT_SL_SM_SN_E_clIS8_S8_S9_S9_EESK_S10_SL_SM_SN_EUlS10_E0_NS1_11comp_targetILNS1_3genE10ELNS1_11target_archE1201ELNS1_3gpuE5ELNS1_3repE0EEENS1_38merge_mergepath_config_static_selectorELNS0_4arch9wavefront6targetE1EEEvSM_ ; -- Begin function _ZN7rocprim17ROCPRIM_400000_NS6detail17trampoline_kernelINS0_14default_configENS1_38merge_sort_block_merge_config_selectorIlNS0_10empty_typeEEEZZNS1_27merge_sort_block_merge_implIS3_PlPS5_mZN2at6native12_GLOBAL__N_124unique_dim_cuda_templateImEESt5tupleIJNSA_6TensorESF_SF_EERKSF_lbbbEUlllE_EE10hipError_tT0_T1_T2_jT3_P12ihipStream_tbPNSt15iterator_traitsISL_E10value_typeEPNSR_ISM_E10value_typeEPSN_NS1_7vsmem_tEENKUlT_SL_SM_SN_E_clIS8_S8_S9_S9_EESK_S10_SL_SM_SN_EUlS10_E0_NS1_11comp_targetILNS1_3genE10ELNS1_11target_archE1201ELNS1_3gpuE5ELNS1_3repE0EEENS1_38merge_mergepath_config_static_selectorELNS0_4arch9wavefront6targetE1EEEvSM_
	.p2align	8
	.type	_ZN7rocprim17ROCPRIM_400000_NS6detail17trampoline_kernelINS0_14default_configENS1_38merge_sort_block_merge_config_selectorIlNS0_10empty_typeEEEZZNS1_27merge_sort_block_merge_implIS3_PlPS5_mZN2at6native12_GLOBAL__N_124unique_dim_cuda_templateImEESt5tupleIJNSA_6TensorESF_SF_EERKSF_lbbbEUlllE_EE10hipError_tT0_T1_T2_jT3_P12ihipStream_tbPNSt15iterator_traitsISL_E10value_typeEPNSR_ISM_E10value_typeEPSN_NS1_7vsmem_tEENKUlT_SL_SM_SN_E_clIS8_S8_S9_S9_EESK_S10_SL_SM_SN_EUlS10_E0_NS1_11comp_targetILNS1_3genE10ELNS1_11target_archE1201ELNS1_3gpuE5ELNS1_3repE0EEENS1_38merge_mergepath_config_static_selectorELNS0_4arch9wavefront6targetE1EEEvSM_,@function
_ZN7rocprim17ROCPRIM_400000_NS6detail17trampoline_kernelINS0_14default_configENS1_38merge_sort_block_merge_config_selectorIlNS0_10empty_typeEEEZZNS1_27merge_sort_block_merge_implIS3_PlPS5_mZN2at6native12_GLOBAL__N_124unique_dim_cuda_templateImEESt5tupleIJNSA_6TensorESF_SF_EERKSF_lbbbEUlllE_EE10hipError_tT0_T1_T2_jT3_P12ihipStream_tbPNSt15iterator_traitsISL_E10value_typeEPNSR_ISM_E10value_typeEPSN_NS1_7vsmem_tEENKUlT_SL_SM_SN_E_clIS8_S8_S9_S9_EESK_S10_SL_SM_SN_EUlS10_E0_NS1_11comp_targetILNS1_3genE10ELNS1_11target_archE1201ELNS1_3gpuE5ELNS1_3repE0EEENS1_38merge_mergepath_config_static_selectorELNS0_4arch9wavefront6targetE1EEEvSM_: ; @_ZN7rocprim17ROCPRIM_400000_NS6detail17trampoline_kernelINS0_14default_configENS1_38merge_sort_block_merge_config_selectorIlNS0_10empty_typeEEEZZNS1_27merge_sort_block_merge_implIS3_PlPS5_mZN2at6native12_GLOBAL__N_124unique_dim_cuda_templateImEESt5tupleIJNSA_6TensorESF_SF_EERKSF_lbbbEUlllE_EE10hipError_tT0_T1_T2_jT3_P12ihipStream_tbPNSt15iterator_traitsISL_E10value_typeEPNSR_ISM_E10value_typeEPSN_NS1_7vsmem_tEENKUlT_SL_SM_SN_E_clIS8_S8_S9_S9_EESK_S10_SL_SM_SN_EUlS10_E0_NS1_11comp_targetILNS1_3genE10ELNS1_11target_archE1201ELNS1_3gpuE5ELNS1_3repE0EEENS1_38merge_mergepath_config_static_selectorELNS0_4arch9wavefront6targetE1EEEvSM_
; %bb.0:
	.section	.rodata,"a",@progbits
	.p2align	6, 0x0
	.amdhsa_kernel _ZN7rocprim17ROCPRIM_400000_NS6detail17trampoline_kernelINS0_14default_configENS1_38merge_sort_block_merge_config_selectorIlNS0_10empty_typeEEEZZNS1_27merge_sort_block_merge_implIS3_PlPS5_mZN2at6native12_GLOBAL__N_124unique_dim_cuda_templateImEESt5tupleIJNSA_6TensorESF_SF_EERKSF_lbbbEUlllE_EE10hipError_tT0_T1_T2_jT3_P12ihipStream_tbPNSt15iterator_traitsISL_E10value_typeEPNSR_ISM_E10value_typeEPSN_NS1_7vsmem_tEENKUlT_SL_SM_SN_E_clIS8_S8_S9_S9_EESK_S10_SL_SM_SN_EUlS10_E0_NS1_11comp_targetILNS1_3genE10ELNS1_11target_archE1201ELNS1_3gpuE5ELNS1_3repE0EEENS1_38merge_mergepath_config_static_selectorELNS0_4arch9wavefront6targetE1EEEvSM_
		.amdhsa_group_segment_fixed_size 0
		.amdhsa_private_segment_fixed_size 0
		.amdhsa_kernarg_size 88
		.amdhsa_user_sgpr_count 2
		.amdhsa_user_sgpr_dispatch_ptr 0
		.amdhsa_user_sgpr_queue_ptr 0
		.amdhsa_user_sgpr_kernarg_segment_ptr 1
		.amdhsa_user_sgpr_dispatch_id 0
		.amdhsa_user_sgpr_kernarg_preload_length 0
		.amdhsa_user_sgpr_kernarg_preload_offset 0
		.amdhsa_user_sgpr_private_segment_size 0
		.amdhsa_uses_dynamic_stack 0
		.amdhsa_enable_private_segment 0
		.amdhsa_system_sgpr_workgroup_id_x 1
		.amdhsa_system_sgpr_workgroup_id_y 0
		.amdhsa_system_sgpr_workgroup_id_z 0
		.amdhsa_system_sgpr_workgroup_info 0
		.amdhsa_system_vgpr_workitem_id 0
		.amdhsa_next_free_vgpr 1
		.amdhsa_next_free_sgpr 0
		.amdhsa_accum_offset 4
		.amdhsa_reserve_vcc 0
		.amdhsa_float_round_mode_32 0
		.amdhsa_float_round_mode_16_64 0
		.amdhsa_float_denorm_mode_32 3
		.amdhsa_float_denorm_mode_16_64 3
		.amdhsa_dx10_clamp 1
		.amdhsa_ieee_mode 1
		.amdhsa_fp16_overflow 0
		.amdhsa_tg_split 0
		.amdhsa_exception_fp_ieee_invalid_op 0
		.amdhsa_exception_fp_denorm_src 0
		.amdhsa_exception_fp_ieee_div_zero 0
		.amdhsa_exception_fp_ieee_overflow 0
		.amdhsa_exception_fp_ieee_underflow 0
		.amdhsa_exception_fp_ieee_inexact 0
		.amdhsa_exception_int_div_zero 0
	.end_amdhsa_kernel
	.section	.text._ZN7rocprim17ROCPRIM_400000_NS6detail17trampoline_kernelINS0_14default_configENS1_38merge_sort_block_merge_config_selectorIlNS0_10empty_typeEEEZZNS1_27merge_sort_block_merge_implIS3_PlPS5_mZN2at6native12_GLOBAL__N_124unique_dim_cuda_templateImEESt5tupleIJNSA_6TensorESF_SF_EERKSF_lbbbEUlllE_EE10hipError_tT0_T1_T2_jT3_P12ihipStream_tbPNSt15iterator_traitsISL_E10value_typeEPNSR_ISM_E10value_typeEPSN_NS1_7vsmem_tEENKUlT_SL_SM_SN_E_clIS8_S8_S9_S9_EESK_S10_SL_SM_SN_EUlS10_E0_NS1_11comp_targetILNS1_3genE10ELNS1_11target_archE1201ELNS1_3gpuE5ELNS1_3repE0EEENS1_38merge_mergepath_config_static_selectorELNS0_4arch9wavefront6targetE1EEEvSM_,"axG",@progbits,_ZN7rocprim17ROCPRIM_400000_NS6detail17trampoline_kernelINS0_14default_configENS1_38merge_sort_block_merge_config_selectorIlNS0_10empty_typeEEEZZNS1_27merge_sort_block_merge_implIS3_PlPS5_mZN2at6native12_GLOBAL__N_124unique_dim_cuda_templateImEESt5tupleIJNSA_6TensorESF_SF_EERKSF_lbbbEUlllE_EE10hipError_tT0_T1_T2_jT3_P12ihipStream_tbPNSt15iterator_traitsISL_E10value_typeEPNSR_ISM_E10value_typeEPSN_NS1_7vsmem_tEENKUlT_SL_SM_SN_E_clIS8_S8_S9_S9_EESK_S10_SL_SM_SN_EUlS10_E0_NS1_11comp_targetILNS1_3genE10ELNS1_11target_archE1201ELNS1_3gpuE5ELNS1_3repE0EEENS1_38merge_mergepath_config_static_selectorELNS0_4arch9wavefront6targetE1EEEvSM_,comdat
.Lfunc_end1634:
	.size	_ZN7rocprim17ROCPRIM_400000_NS6detail17trampoline_kernelINS0_14default_configENS1_38merge_sort_block_merge_config_selectorIlNS0_10empty_typeEEEZZNS1_27merge_sort_block_merge_implIS3_PlPS5_mZN2at6native12_GLOBAL__N_124unique_dim_cuda_templateImEESt5tupleIJNSA_6TensorESF_SF_EERKSF_lbbbEUlllE_EE10hipError_tT0_T1_T2_jT3_P12ihipStream_tbPNSt15iterator_traitsISL_E10value_typeEPNSR_ISM_E10value_typeEPSN_NS1_7vsmem_tEENKUlT_SL_SM_SN_E_clIS8_S8_S9_S9_EESK_S10_SL_SM_SN_EUlS10_E0_NS1_11comp_targetILNS1_3genE10ELNS1_11target_archE1201ELNS1_3gpuE5ELNS1_3repE0EEENS1_38merge_mergepath_config_static_selectorELNS0_4arch9wavefront6targetE1EEEvSM_, .Lfunc_end1634-_ZN7rocprim17ROCPRIM_400000_NS6detail17trampoline_kernelINS0_14default_configENS1_38merge_sort_block_merge_config_selectorIlNS0_10empty_typeEEEZZNS1_27merge_sort_block_merge_implIS3_PlPS5_mZN2at6native12_GLOBAL__N_124unique_dim_cuda_templateImEESt5tupleIJNSA_6TensorESF_SF_EERKSF_lbbbEUlllE_EE10hipError_tT0_T1_T2_jT3_P12ihipStream_tbPNSt15iterator_traitsISL_E10value_typeEPNSR_ISM_E10value_typeEPSN_NS1_7vsmem_tEENKUlT_SL_SM_SN_E_clIS8_S8_S9_S9_EESK_S10_SL_SM_SN_EUlS10_E0_NS1_11comp_targetILNS1_3genE10ELNS1_11target_archE1201ELNS1_3gpuE5ELNS1_3repE0EEENS1_38merge_mergepath_config_static_selectorELNS0_4arch9wavefront6targetE1EEEvSM_
                                        ; -- End function
	.section	.AMDGPU.csdata,"",@progbits
; Kernel info:
; codeLenInByte = 0
; NumSgprs: 6
; NumVgprs: 0
; NumAgprs: 0
; TotalNumVgprs: 0
; ScratchSize: 0
; MemoryBound: 0
; FloatMode: 240
; IeeeMode: 1
; LDSByteSize: 0 bytes/workgroup (compile time only)
; SGPRBlocks: 0
; VGPRBlocks: 0
; NumSGPRsForWavesPerEU: 6
; NumVGPRsForWavesPerEU: 1
; AccumOffset: 4
; Occupancy: 8
; WaveLimiterHint : 0
; COMPUTE_PGM_RSRC2:SCRATCH_EN: 0
; COMPUTE_PGM_RSRC2:USER_SGPR: 2
; COMPUTE_PGM_RSRC2:TRAP_HANDLER: 0
; COMPUTE_PGM_RSRC2:TGID_X_EN: 1
; COMPUTE_PGM_RSRC2:TGID_Y_EN: 0
; COMPUTE_PGM_RSRC2:TGID_Z_EN: 0
; COMPUTE_PGM_RSRC2:TIDIG_COMP_CNT: 0
; COMPUTE_PGM_RSRC3_GFX90A:ACCUM_OFFSET: 0
; COMPUTE_PGM_RSRC3_GFX90A:TG_SPLIT: 0
	.section	.text._ZN7rocprim17ROCPRIM_400000_NS6detail17trampoline_kernelINS0_14default_configENS1_38merge_sort_block_merge_config_selectorIlNS0_10empty_typeEEEZZNS1_27merge_sort_block_merge_implIS3_PlPS5_mZN2at6native12_GLOBAL__N_124unique_dim_cuda_templateImEESt5tupleIJNSA_6TensorESF_SF_EERKSF_lbbbEUlllE_EE10hipError_tT0_T1_T2_jT3_P12ihipStream_tbPNSt15iterator_traitsISL_E10value_typeEPNSR_ISM_E10value_typeEPSN_NS1_7vsmem_tEENKUlT_SL_SM_SN_E_clIS8_S8_S9_S9_EESK_S10_SL_SM_SN_EUlS10_E0_NS1_11comp_targetILNS1_3genE5ELNS1_11target_archE942ELNS1_3gpuE9ELNS1_3repE0EEENS1_38merge_mergepath_config_static_selectorELNS0_4arch9wavefront6targetE1EEEvSM_,"axG",@progbits,_ZN7rocprim17ROCPRIM_400000_NS6detail17trampoline_kernelINS0_14default_configENS1_38merge_sort_block_merge_config_selectorIlNS0_10empty_typeEEEZZNS1_27merge_sort_block_merge_implIS3_PlPS5_mZN2at6native12_GLOBAL__N_124unique_dim_cuda_templateImEESt5tupleIJNSA_6TensorESF_SF_EERKSF_lbbbEUlllE_EE10hipError_tT0_T1_T2_jT3_P12ihipStream_tbPNSt15iterator_traitsISL_E10value_typeEPNSR_ISM_E10value_typeEPSN_NS1_7vsmem_tEENKUlT_SL_SM_SN_E_clIS8_S8_S9_S9_EESK_S10_SL_SM_SN_EUlS10_E0_NS1_11comp_targetILNS1_3genE5ELNS1_11target_archE942ELNS1_3gpuE9ELNS1_3repE0EEENS1_38merge_mergepath_config_static_selectorELNS0_4arch9wavefront6targetE1EEEvSM_,comdat
	.globl	_ZN7rocprim17ROCPRIM_400000_NS6detail17trampoline_kernelINS0_14default_configENS1_38merge_sort_block_merge_config_selectorIlNS0_10empty_typeEEEZZNS1_27merge_sort_block_merge_implIS3_PlPS5_mZN2at6native12_GLOBAL__N_124unique_dim_cuda_templateImEESt5tupleIJNSA_6TensorESF_SF_EERKSF_lbbbEUlllE_EE10hipError_tT0_T1_T2_jT3_P12ihipStream_tbPNSt15iterator_traitsISL_E10value_typeEPNSR_ISM_E10value_typeEPSN_NS1_7vsmem_tEENKUlT_SL_SM_SN_E_clIS8_S8_S9_S9_EESK_S10_SL_SM_SN_EUlS10_E0_NS1_11comp_targetILNS1_3genE5ELNS1_11target_archE942ELNS1_3gpuE9ELNS1_3repE0EEENS1_38merge_mergepath_config_static_selectorELNS0_4arch9wavefront6targetE1EEEvSM_ ; -- Begin function _ZN7rocprim17ROCPRIM_400000_NS6detail17trampoline_kernelINS0_14default_configENS1_38merge_sort_block_merge_config_selectorIlNS0_10empty_typeEEEZZNS1_27merge_sort_block_merge_implIS3_PlPS5_mZN2at6native12_GLOBAL__N_124unique_dim_cuda_templateImEESt5tupleIJNSA_6TensorESF_SF_EERKSF_lbbbEUlllE_EE10hipError_tT0_T1_T2_jT3_P12ihipStream_tbPNSt15iterator_traitsISL_E10value_typeEPNSR_ISM_E10value_typeEPSN_NS1_7vsmem_tEENKUlT_SL_SM_SN_E_clIS8_S8_S9_S9_EESK_S10_SL_SM_SN_EUlS10_E0_NS1_11comp_targetILNS1_3genE5ELNS1_11target_archE942ELNS1_3gpuE9ELNS1_3repE0EEENS1_38merge_mergepath_config_static_selectorELNS0_4arch9wavefront6targetE1EEEvSM_
	.p2align	8
	.type	_ZN7rocprim17ROCPRIM_400000_NS6detail17trampoline_kernelINS0_14default_configENS1_38merge_sort_block_merge_config_selectorIlNS0_10empty_typeEEEZZNS1_27merge_sort_block_merge_implIS3_PlPS5_mZN2at6native12_GLOBAL__N_124unique_dim_cuda_templateImEESt5tupleIJNSA_6TensorESF_SF_EERKSF_lbbbEUlllE_EE10hipError_tT0_T1_T2_jT3_P12ihipStream_tbPNSt15iterator_traitsISL_E10value_typeEPNSR_ISM_E10value_typeEPSN_NS1_7vsmem_tEENKUlT_SL_SM_SN_E_clIS8_S8_S9_S9_EESK_S10_SL_SM_SN_EUlS10_E0_NS1_11comp_targetILNS1_3genE5ELNS1_11target_archE942ELNS1_3gpuE9ELNS1_3repE0EEENS1_38merge_mergepath_config_static_selectorELNS0_4arch9wavefront6targetE1EEEvSM_,@function
_ZN7rocprim17ROCPRIM_400000_NS6detail17trampoline_kernelINS0_14default_configENS1_38merge_sort_block_merge_config_selectorIlNS0_10empty_typeEEEZZNS1_27merge_sort_block_merge_implIS3_PlPS5_mZN2at6native12_GLOBAL__N_124unique_dim_cuda_templateImEESt5tupleIJNSA_6TensorESF_SF_EERKSF_lbbbEUlllE_EE10hipError_tT0_T1_T2_jT3_P12ihipStream_tbPNSt15iterator_traitsISL_E10value_typeEPNSR_ISM_E10value_typeEPSN_NS1_7vsmem_tEENKUlT_SL_SM_SN_E_clIS8_S8_S9_S9_EESK_S10_SL_SM_SN_EUlS10_E0_NS1_11comp_targetILNS1_3genE5ELNS1_11target_archE942ELNS1_3gpuE9ELNS1_3repE0EEENS1_38merge_mergepath_config_static_selectorELNS0_4arch9wavefront6targetE1EEEvSM_: ; @_ZN7rocprim17ROCPRIM_400000_NS6detail17trampoline_kernelINS0_14default_configENS1_38merge_sort_block_merge_config_selectorIlNS0_10empty_typeEEEZZNS1_27merge_sort_block_merge_implIS3_PlPS5_mZN2at6native12_GLOBAL__N_124unique_dim_cuda_templateImEESt5tupleIJNSA_6TensorESF_SF_EERKSF_lbbbEUlllE_EE10hipError_tT0_T1_T2_jT3_P12ihipStream_tbPNSt15iterator_traitsISL_E10value_typeEPNSR_ISM_E10value_typeEPSN_NS1_7vsmem_tEENKUlT_SL_SM_SN_E_clIS8_S8_S9_S9_EESK_S10_SL_SM_SN_EUlS10_E0_NS1_11comp_targetILNS1_3genE5ELNS1_11target_archE942ELNS1_3gpuE9ELNS1_3repE0EEENS1_38merge_mergepath_config_static_selectorELNS0_4arch9wavefront6targetE1EEEvSM_
; %bb.0:
	s_load_dwordx2 s[24:25], s[0:1], 0x58
	s_load_dword s5, s[0:1], 0x38
	s_add_u32 s22, s0, 0x58
	s_addc_u32 s23, s1, 0
	s_waitcnt lgkmcnt(0)
	s_mul_i32 s4, s25, s4
	s_add_i32 s3, s4, s3
	s_mul_i32 s3, s3, s24
	s_add_i32 s20, s3, s2
	s_cmp_ge_u32 s20, s5
	s_cbranch_scc1 .LBB1635_138
; %bb.1:
	s_load_dwordx2 s[4:5], s[0:1], 0x50
	s_load_dwordx4 s[12:15], s[0:1], 0x8
	s_load_dwordx4 s[8:11], s[0:1], 0x28
	s_mov_b32 s21, 0
	s_lshl_b64 s[6:7], s[20:21], 3
	s_waitcnt lgkmcnt(0)
	s_add_u32 s4, s4, s6
	s_addc_u32 s5, s5, s7
	v_mov_b32_e32 v1, s10
	v_alignbit_b32 v1, s11, v1, 9
	v_and_b32_e32 v1, -2, v1
	v_sub_u32_e32 v1, 0, v1
	s_load_dwordx4 s[16:19], s[4:5], 0x0
	v_and_b32_e32 v2, s20, v1
	v_mov_b32_e32 v3, 0
	v_lshlrev_b64 v[6:7], 10, v[2:3]
	s_lshl_b64 s[6:7], s[20:21], 10
	v_mov_b32_e32 v5, s7
	v_sub_co_u32_e32 v4, vcc, s6, v6
	v_lshlrev_b64 v[2:3], 11, v[2:3]
	s_nop 0
	v_subb_co_u32_e32 v5, vcc, v5, v7, vcc
	v_lshl_add_u64 v[8:9], v[2:3], 0, s[10:11]
	v_lshl_add_u64 v[2:3], v[8:9], 0, v[4:5]
	s_waitcnt lgkmcnt(0)
	v_mov_b32_e32 v5, s19
	v_subrev_co_u32_e32 v4, vcc, s18, v2
	s_mov_b64 s[4:5], 0x400
	s_nop 0
	v_subb_co_u32_e32 v5, vcc, v3, v5, vcc
	v_or_b32_e32 v1, s20, v1
	v_lshl_add_u64 v[10:11], v[4:5], 0, s[4:5]
	v_cmp_ne_u32_e32 vcc, -1, v1
	v_cmp_lt_u64_e64 s[4:5], s[8:9], v[10:11]
	s_cbranch_vccz .LBB1635_3
; %bb.2:
	v_mov_b32_e32 v1, s8
	v_mov_b64_e32 v[4:5], s[18:19]
	v_cndmask_b32_e64 v6, v10, v1, s[4:5]
	s_branch .LBB1635_4
.LBB1635_3:
	v_sub_co_u32_e32 v6, vcc, v8, v6
	v_mov_b32_e32 v1, s8
	s_nop 0
	v_subb_co_u32_e32 v7, vcc, v9, v7, vcc
	v_cmp_lt_u64_e32 vcc, s[8:9], v[6:7]
	s_nop 1
	v_cndmask_b32_e32 v4, v6, v1, vcc
	v_lshl_add_u64 v[6:7], v[6:7], 0, s[10:11]
	v_cmp_lt_u64_e32 vcc, s[8:9], v[6:7]
	s_nop 1
	v_cndmask_b32_e32 v6, v6, v1, vcc
.LBB1635_4:
	s_lshr_b64 s[18:19], s[8:9], 10
	s_cmp_lg_u64 s[18:19], s[20:21]
	s_cselect_b64 s[10:11], -1, 0
	s_lshl_b64 s[4:5], s[16:17], 3
	s_add_u32 s4, s12, s4
	s_addc_u32 s5, s13, s5
	s_cmp_lt_u32 s2, s24
	v_mov_b32_e32 v19, 0
	s_cselect_b32 s2, 12, 18
	global_load_dword v5, v19, s[22:23] offset:14
	s_add_u32 s2, s22, s2
	s_addc_u32 s3, s23, 0
	global_load_ushort v7, v19, s[2:3]
	v_mov_b32_e32 v8, s17
	v_subrev_co_u32_e32 v2, vcc, s16, v2
	v_mov_b32_e32 v9, s9
	s_nop 0
	v_subb_co_u32_e32 v3, vcc, v3, v8, vcc
	v_mov_b32_e32 v10, s8
	v_cmp_lt_u64_e32 vcc, s[8:9], v[2:3]
	v_subrev_u32_e32 v1, s16, v4
	s_cmp_eq_u64 s[18:19], s[20:21]
	v_cndmask_b32_e32 v3, v3, v9, vcc
	v_cndmask_b32_e32 v2, v2, v10, vcc
	v_sub_u32_e32 v25, v6, v2
	v_lshlrev_b64 v[2:3], 3, v[2:3]
	v_lshl_add_u64 v[20:21], s[12:13], 0, v[2:3]
	v_lshlrev_b32_e32 v18, 3, v0
	s_waitcnt vmcnt(1)
	v_lshrrev_b32_e32 v2, 16, v5
	v_and_b32_e32 v3, 0xffff, v5
	v_mul_lo_u32 v2, v3, v2
	s_waitcnt vmcnt(0)
	v_mul_lo_u32 v26, v2, v7
	s_cbranch_scc1 .LBB1635_6
; %bb.5:
	v_sub_u32_e32 v4, v0, v1
	v_mov_b32_e32 v5, v19
	v_add_u32_e32 v6, v26, v0
	v_lshl_add_u64 v[2:3], s[4:5], 0, v[18:19]
	v_lshl_add_u64 v[4:5], v[4:5], 3, v[20:21]
	v_cmp_lt_u32_e32 vcc, v0, v1
	v_mov_b32_e32 v7, v19
	v_sub_u32_e32 v8, v6, v1
	v_mov_b32_e32 v9, v19
	v_cndmask_b32_e32 v3, v5, v3, vcc
	v_cndmask_b32_e32 v2, v4, v2, vcc
	v_lshl_add_u64 v[4:5], v[6:7], 3, s[4:5]
	v_lshl_add_u64 v[8:9], v[8:9], 3, v[20:21]
	v_cmp_lt_u32_e32 vcc, v6, v1
	v_mov_b32_e32 v11, v19
	v_mov_b32_e32 v13, v19
	v_cndmask_b32_e32 v4, v8, v4, vcc
	v_add_u32_e32 v8, v6, v26
	v_cndmask_b32_e32 v5, v9, v5, vcc
	v_mov_b32_e32 v9, v19
	v_sub_u32_e32 v10, v8, v1
	v_lshl_add_u64 v[6:7], v[8:9], 3, s[4:5]
	v_lshl_add_u64 v[10:11], v[10:11], 3, v[20:21]
	v_cmp_lt_u32_e32 vcc, v8, v1
	v_mov_b32_e32 v15, v19
	v_mov_b32_e32 v17, v19
	v_cndmask_b32_e32 v6, v10, v6, vcc
	v_add_u32_e32 v10, v8, v26
	v_cndmask_b32_e32 v7, v11, v7, vcc
	v_mov_b32_e32 v11, v19
	v_sub_u32_e32 v12, v10, v1
	;; [unrolled: 10-line block ×3, first 2 shown]
	v_lshl_add_u64 v[10:11], v[12:13], 3, s[4:5]
	v_lshl_add_u64 v[14:15], v[14:15], 3, v[20:21]
	v_cmp_lt_u32_e32 vcc, v12, v1
	global_load_dwordx2 v[2:3], v[2:3], off
	v_add_u32_e32 v24, v1, v25
	v_cndmask_b32_e32 v10, v14, v10, vcc
	v_add_u32_e32 v14, v12, v26
	v_cndmask_b32_e32 v11, v15, v11, vcc
	v_mov_b32_e32 v15, v19
	v_sub_u32_e32 v16, v14, v1
	v_lshl_add_u64 v[12:13], v[14:15], 3, s[4:5]
	v_lshl_add_u64 v[16:17], v[16:17], 3, v[20:21]
	v_cmp_lt_u32_e32 vcc, v14, v1
	global_load_dwordx2 v[4:5], v[4:5], off
	s_nop 0
	v_cndmask_b32_e32 v13, v17, v13, vcc
	v_cndmask_b32_e32 v12, v16, v12, vcc
	v_add_u32_e32 v16, v14, v26
	v_mov_b32_e32 v17, v19
	v_lshl_add_u64 v[14:15], v[16:17], 3, s[4:5]
	v_sub_u32_e32 v22, v16, v1
	v_cmp_lt_u32_e32 vcc, v16, v1
	v_add_u32_e32 v16, v16, v26
	v_lshl_add_u64 v[22:23], v[22:23], 3, v[20:21]
	v_sub_u32_e32 v28, v16, v1
	v_cndmask_b32_e32 v15, v23, v15, vcc
	v_cndmask_b32_e32 v14, v22, v14, vcc
	v_lshl_add_u64 v[22:23], v[16:17], 3, s[4:5]
	v_lshl_add_u64 v[28:29], v[28:29], 3, v[20:21]
	v_cmp_lt_u32_e32 vcc, v16, v1
	global_load_dwordx2 v[6:7], v[6:7], off
	s_nop 0
	v_cndmask_b32_e32 v17, v29, v23, vcc
	v_cndmask_b32_e32 v16, v28, v22, vcc
	global_load_dwordx2 v[8:9], v[8:9], off
	s_nop 0
	global_load_dwordx2 v[10:11], v[10:11], off
	s_nop 0
	;; [unrolled: 2-line block ×4, first 2 shown]
	global_load_dwordx2 v[16:17], v[16:17], off
	s_cbranch_execz .LBB1635_7
	s_branch .LBB1635_24
.LBB1635_6:
                                        ; implicit-def: $vgpr2_vgpr3_vgpr4_vgpr5_vgpr6_vgpr7_vgpr8_vgpr9_vgpr10_vgpr11_vgpr12_vgpr13_vgpr14_vgpr15_vgpr16_vgpr17
                                        ; implicit-def: $vgpr24
.LBB1635_7:
	v_add_u32_e32 v24, v1, v25
	v_cmp_lt_u32_e32 vcc, v0, v24
                                        ; implicit-def: $vgpr2_vgpr3_vgpr4_vgpr5_vgpr6_vgpr7_vgpr8_vgpr9_vgpr10_vgpr11_vgpr12_vgpr13_vgpr14_vgpr15_vgpr16_vgpr17
	s_and_saveexec_b64 s[2:3], vcc
	s_cbranch_execz .LBB1635_9
; %bb.8:
	v_mov_b32_e32 v19, 0
	s_waitcnt vmcnt(6)
	v_sub_u32_e32 v4, v0, v1
	v_mov_b32_e32 v5, v19
	v_lshl_add_u64 v[2:3], s[4:5], 0, v[18:19]
	v_lshl_add_u64 v[4:5], v[4:5], 3, v[20:21]
	v_cmp_lt_u32_e32 vcc, v0, v1
	s_nop 1
	v_cndmask_b32_e32 v3, v5, v3, vcc
	v_cndmask_b32_e32 v2, v4, v2, vcc
	global_load_dwordx2 v[2:3], v[2:3], off
.LBB1635_9:
	s_or_b64 exec, exec, s[2:3]
	v_add_u32_e32 v22, v26, v0
	v_cmp_lt_u32_e32 vcc, v22, v24
	s_and_saveexec_b64 s[2:3], vcc
	s_cbranch_execz .LBB1635_11
; %bb.10:
	v_mov_b32_e32 v23, 0
	v_sub_u32_e32 v28, v22, v1
	v_mov_b32_e32 v29, v23
	s_waitcnt vmcnt(6)
	v_lshl_add_u64 v[4:5], v[22:23], 3, s[4:5]
	v_lshl_add_u64 v[28:29], v[28:29], 3, v[20:21]
	v_cmp_lt_u32_e32 vcc, v22, v1
	s_nop 1
	v_cndmask_b32_e32 v5, v29, v5, vcc
	v_cndmask_b32_e32 v4, v28, v4, vcc
	global_load_dwordx2 v[4:5], v[4:5], off
.LBB1635_11:
	s_or_b64 exec, exec, s[2:3]
	v_add_u32_e32 v22, v22, v26
	v_cmp_lt_u32_e32 vcc, v22, v24
	s_and_saveexec_b64 s[2:3], vcc
	s_cbranch_execz .LBB1635_13
; %bb.12:
	v_mov_b32_e32 v23, 0
	v_sub_u32_e32 v28, v22, v1
	v_mov_b32_e32 v29, v23
	s_waitcnt vmcnt(5)
	v_lshl_add_u64 v[6:7], v[22:23], 3, s[4:5]
	v_lshl_add_u64 v[28:29], v[28:29], 3, v[20:21]
	v_cmp_lt_u32_e32 vcc, v22, v1
	s_nop 1
	v_cndmask_b32_e32 v7, v29, v7, vcc
	v_cndmask_b32_e32 v6, v28, v6, vcc
	global_load_dwordx2 v[6:7], v[6:7], off
.LBB1635_13:
	;; [unrolled: 18-line block ×6, first 2 shown]
	s_or_b64 exec, exec, s[2:3]
	v_add_u32_e32 v22, v22, v26
	v_cmp_lt_u32_e32 vcc, v22, v24
	s_and_saveexec_b64 s[2:3], vcc
	s_cbranch_execz .LBB1635_23
; %bb.22:
	v_mov_b32_e32 v23, 0
	s_waitcnt vmcnt(0)
	v_lshl_add_u64 v[16:17], v[22:23], 3, s[4:5]
	v_cmp_lt_u32_e32 vcc, v22, v1
	v_sub_u32_e32 v22, v22, v1
	v_lshl_add_u64 v[20:21], v[22:23], 3, v[20:21]
	v_cndmask_b32_e32 v17, v21, v17, vcc
	v_cndmask_b32_e32 v16, v20, v16, vcc
	global_load_dwordx2 v[16:17], v[16:17], off
.LBB1635_23:
	s_or_b64 exec, exec, s[2:3]
.LBB1635_24:
	s_load_dwordx4 s[16:19], s[0:1], 0x40
	v_min_u32_e32 v19, v24, v18
	v_sub_u32_e64 v25, v19, v25 clamp
	v_min_u32_e32 v26, v19, v1
	v_cmp_lt_u32_e32 vcc, v25, v26
	s_waitcnt vmcnt(0)
	ds_write2st64_b64 v18, v[2:3], v[4:5] offset1:2
	ds_write2st64_b64 v18, v[6:7], v[8:9] offset0:4 offset1:6
	ds_write2st64_b64 v18, v[10:11], v[12:13] offset0:8 offset1:10
	;; [unrolled: 1-line block ×3, first 2 shown]
	s_waitcnt lgkmcnt(0)
	s_barrier
	s_and_saveexec_b64 s[12:13], vcc
	s_cbranch_execz .LBB1635_34
; %bb.25:
	v_lshlrev_b32_e32 v20, 3, v19
	v_cmp_gt_i64_e64 s[0:1], s[16:17], 0
	v_lshl_add_u32 v27, v1, 3, v20
	s_mov_b64 s[20:21], 0
	v_cndmask_b32_e64 v20, 0, 1, s[0:1]
	s_lshl_b64 s[22:23], s[16:17], 3
	v_cmp_ne_u32_e64 s[0:1], 1, v20
	s_branch .LBB1635_28
.LBB1635_26:                            ;   in Loop: Header=BB1635_28 Depth=1
	s_or_b64 exec, exec, s[26:27]
.LBB1635_27:                            ;   in Loop: Header=BB1635_28 Depth=1
	v_add_u32_e32 v20, 1, v28
	v_cndmask_b32_e64 v26, v26, v28, s[24:25]
	v_cndmask_b32_e64 v25, v20, v25, s[24:25]
	v_cmp_ge_u32_e32 vcc, v25, v26
	s_or_b64 s[20:21], vcc, s[20:21]
	s_andn2_b64 exec, exec, s[20:21]
	s_cbranch_execz .LBB1635_33
.LBB1635_28:                            ; =>This Loop Header: Depth=1
                                        ;     Child Loop BB1635_31 Depth 2
	v_add_u32_e32 v20, v26, v25
	v_lshrrev_b32_e32 v28, 1, v20
	s_and_b64 vcc, exec, s[0:1]
	s_mov_b64 s[24:25], 0
	s_cbranch_vccnz .LBB1635_27
; %bb.29:                               ;   in Loop: Header=BB1635_28 Depth=1
	v_not_b32_e32 v20, v28
	v_lshl_add_u32 v20, v20, 3, v27
	ds_read_b64 v[20:21], v20
	v_lshlrev_b32_e32 v29, 3, v28
	ds_read_b64 v[30:31], v29
	v_mov_b64_e32 v[22:23], s[18:19]
	s_mov_b64 s[26:27], 0
	s_waitcnt lgkmcnt(1)
	v_mul_lo_u32 v29, s22, v21
	v_mul_lo_u32 v32, s23, v20
	v_mad_u64_u32 v[20:21], s[2:3], s22, v20, v[22:23]
	v_add3_u32 v21, v32, v21, v29
	s_waitcnt lgkmcnt(0)
	v_mul_lo_u32 v29, s22, v31
	v_mul_lo_u32 v31, s23, v30
	v_mad_u64_u32 v[22:23], s[2:3], s22, v30, v[22:23]
	v_add3_u32 v23, v31, v23, v29
	s_mov_b64 s[34:35], s[16:17]
                                        ; implicit-def: $sgpr24_sgpr25
                                        ; implicit-def: $sgpr28_sgpr29
                                        ; implicit-def: $sgpr30_sgpr31
                                        ; implicit-def: $sgpr2_sgpr3
                                        ; implicit-def: $sgpr36_sgpr37
	s_branch .LBB1635_31
.LBB1635_30:                            ;   in Loop: Header=BB1635_31 Depth=2
	s_or_b64 exec, exec, s[38:39]
	s_and_b64 s[4:5], exec, s[28:29]
	s_or_b64 s[26:27], s[4:5], s[26:27]
	s_andn2_b64 s[4:5], s[36:37], exec
	s_and_b64 s[36:37], s[30:31], exec
	s_or_b64 s[36:37], s[4:5], s[36:37]
	s_andn2_b64 s[4:5], s[24:25], exec
	s_and_b64 s[24:25], s[2:3], exec
	s_or_b64 s[24:25], s[4:5], s[24:25]
	s_andn2_b64 exec, exec, s[26:27]
	s_cbranch_execz .LBB1635_26
.LBB1635_31:                            ;   Parent Loop BB1635_28 Depth=1
                                        ; =>  This Inner Loop Header: Depth=2
	global_load_dwordx2 v[30:31], v[20:21], off
	global_load_dwordx2 v[32:33], v[22:23], off
	s_andn2_b64 s[38:39], s[2:3], exec
	s_andn2_b64 s[30:31], s[30:31], exec
	s_or_b64 s[28:29], s[28:29], exec
	s_waitcnt vmcnt(0)
	v_cmp_le_u64_e64 s[2:3], v[30:31], v[32:33]
	v_cmp_lt_u64_e32 vcc, v[30:31], v[32:33]
	s_and_b64 s[2:3], s[2:3], s[36:37]
	s_or_b64 s[40:41], vcc, s[2:3]
	s_and_b64 s[2:3], s[40:41], exec
	v_cmp_eq_u64_e64 s[4:5], v[30:31], v[32:33]
	s_or_b64 s[2:3], s[38:39], s[2:3]
	s_and_saveexec_b64 s[38:39], s[4:5]
	s_cbranch_execz .LBB1635_30
; %bb.32:                               ;   in Loop: Header=BB1635_31 Depth=2
	s_add_u32 s34, s34, -1
	s_addc_u32 s35, s35, -1
	s_cmp_eq_u64 s[34:35], 0
	s_cselect_b64 s[4:5], -1, 0
	s_andn2_b64 s[30:31], s[30:31], exec
	s_and_b64 s[36:37], s[40:41], exec
	s_andn2_b64 s[28:29], s[28:29], exec
	s_and_b64 s[4:5], s[4:5], exec
	v_lshl_add_u64 v[20:21], v[20:21], 0, 8
	v_lshl_add_u64 v[22:23], v[22:23], 0, 8
	s_andn2_b64 s[2:3], s[2:3], exec
	s_or_b64 s[30:31], s[30:31], s[36:37]
	s_or_b64 s[28:29], s[28:29], s[4:5]
                                        ; implicit-def: $sgpr36_sgpr37
	s_branch .LBB1635_30
.LBB1635_33:
	s_or_b64 exec, exec, s[20:21]
.LBB1635_34:
	s_or_b64 exec, exec, s[12:13]
	v_sub_u32_e32 v19, v19, v25
	v_add_u32_e32 v21, v19, v1
	v_cmp_le_u32_e32 vcc, v25, v1
	v_cmp_le_u32_e64 s[0:1], v21, v24
	s_or_b64 s[0:1], vcc, s[0:1]
	s_and_saveexec_b64 s[4:5], s[0:1]
	s_cbranch_execz .LBB1635_124
; %bb.35:
	v_cmp_ge_u32_e32 vcc, v25, v1
	v_cmp_lt_u32_e64 s[0:1], v25, v1
                                        ; implicit-def: $vgpr2_vgpr3
	s_and_saveexec_b64 s[2:3], s[0:1]
	s_cbranch_execz .LBB1635_37
; %bb.36:
	v_lshlrev_b32_e32 v2, 3, v25
	ds_read_b64 v[2:3], v2
.LBB1635_37:
	s_or_b64 exec, exec, s[2:3]
	v_cmp_ge_u32_e64 s[20:21], v21, v24
	v_cmp_lt_u32_e64 s[0:1], v21, v24
                                        ; implicit-def: $vgpr14_vgpr15
	s_and_saveexec_b64 s[2:3], s[0:1]
	s_cbranch_execz .LBB1635_39
; %bb.38:
	v_lshlrev_b32_e32 v4, 3, v21
	ds_read_b64 v[14:15], v4
.LBB1635_39:
	s_or_b64 exec, exec, s[2:3]
	s_or_b64 s[0:1], vcc, s[20:21]
	s_mov_b64 s[24:25], 0
	v_cmp_gt_i64_e64 s[12:13], s[16:17], 0
	s_xor_b64 s[0:1], s[0:1], -1
	s_and_saveexec_b64 s[22:23], s[0:1]
	s_cbranch_execz .LBB1635_47
; %bb.40:
	s_andn2_b64 vcc, exec, s[12:13]
	s_cbranch_vccnz .LBB1635_46
; %bb.41:
	s_waitcnt lgkmcnt(0)
	v_mul_lo_u32 v6, v15, s16
	v_mul_lo_u32 v7, v14, s17
	v_mad_u64_u32 v[4:5], s[0:1], v14, s16, 0
	v_add3_u32 v5, v5, v7, v6
	v_mul_lo_u32 v8, v3, s16
	v_mul_lo_u32 v9, v2, s17
	v_mad_u64_u32 v[6:7], s[0:1], v2, s16, 0
	v_add3_u32 v7, v7, v9, v8
	v_lshl_add_u64 v[4:5], v[4:5], 3, s[18:19]
	v_lshl_add_u64 v[6:7], v[6:7], 3, s[18:19]
	s_mov_b64 s[26:27], 0
	s_mov_b64 s[34:35], s[16:17]
                                        ; implicit-def: $sgpr24_sgpr25
                                        ; implicit-def: $sgpr28_sgpr29
                                        ; implicit-def: $sgpr30_sgpr31
                                        ; implicit-def: $sgpr0_sgpr1
                                        ; implicit-def: $sgpr36_sgpr37
	s_branch .LBB1635_43
.LBB1635_42:                            ;   in Loop: Header=BB1635_43 Depth=1
	s_or_b64 exec, exec, s[38:39]
	s_and_b64 s[2:3], exec, s[28:29]
	s_or_b64 s[26:27], s[2:3], s[26:27]
	s_andn2_b64 s[2:3], s[36:37], exec
	s_and_b64 s[36:37], s[30:31], exec
	s_or_b64 s[36:37], s[2:3], s[36:37]
	s_andn2_b64 s[2:3], s[24:25], exec
	s_and_b64 s[24:25], s[0:1], exec
	s_or_b64 s[24:25], s[2:3], s[24:25]
	s_andn2_b64 exec, exec, s[26:27]
	s_cbranch_execz .LBB1635_45
.LBB1635_43:                            ; =>This Inner Loop Header: Depth=1
	global_load_dwordx2 v[8:9], v[4:5], off
	global_load_dwordx2 v[10:11], v[6:7], off
	s_andn2_b64 s[38:39], s[0:1], exec
	s_andn2_b64 s[30:31], s[30:31], exec
	s_or_b64 s[28:29], s[28:29], exec
	s_waitcnt vmcnt(0)
	v_cmp_le_u64_e64 s[0:1], v[8:9], v[10:11]
	v_cmp_lt_u64_e32 vcc, v[8:9], v[10:11]
	s_and_b64 s[0:1], s[0:1], s[36:37]
	s_or_b64 s[40:41], vcc, s[0:1]
	s_and_b64 s[0:1], s[40:41], exec
	v_cmp_eq_u64_e64 s[2:3], v[8:9], v[10:11]
	s_or_b64 s[0:1], s[38:39], s[0:1]
	s_and_saveexec_b64 s[38:39], s[2:3]
	s_cbranch_execz .LBB1635_42
; %bb.44:                               ;   in Loop: Header=BB1635_43 Depth=1
	s_add_u32 s34, s34, -1
	s_addc_u32 s35, s35, -1
	s_cmp_eq_u64 s[34:35], 0
	s_cselect_b64 s[2:3], -1, 0
	s_andn2_b64 s[30:31], s[30:31], exec
	s_and_b64 s[36:37], s[40:41], exec
	s_andn2_b64 s[28:29], s[28:29], exec
	s_and_b64 s[2:3], s[2:3], exec
	v_lshl_add_u64 v[4:5], v[4:5], 0, 8
	v_lshl_add_u64 v[6:7], v[6:7], 0, 8
	s_andn2_b64 s[0:1], s[0:1], exec
	s_or_b64 s[30:31], s[30:31], s[36:37]
	s_or_b64 s[28:29], s[28:29], s[2:3]
                                        ; implicit-def: $sgpr36_sgpr37
	s_branch .LBB1635_42
.LBB1635_45:
	s_or_b64 exec, exec, s[26:27]
.LBB1635_46:
	s_xor_b64 s[0:1], s[24:25], -1
	s_andn2_b64 s[2:3], s[20:21], exec
	s_and_b64 s[0:1], s[0:1], exec
	s_or_b64 s[20:21], s[2:3], s[0:1]
.LBB1635_47:
	s_or_b64 exec, exec, s[22:23]
	v_cndmask_b32_e64 v4, v21, v25, s[20:21]
	v_cndmask_b32_e64 v5, v24, v1, s[20:21]
	v_add_u32_e32 v6, 1, v4
	v_add_u32_e32 v4, -1, v5
	v_min_u32_e32 v4, v6, v4
	v_lshlrev_b32_e32 v4, 3, v4
	ds_read_b64 v[4:5], v4
	v_cndmask_b32_e64 v8, v6, v21, s[20:21]
	v_cndmask_b32_e64 v9, v25, v6, s[20:21]
	v_cmp_lt_u32_e32 vcc, v8, v24
	s_mov_b64 s[24:25], -1
	s_waitcnt lgkmcnt(0)
	v_cndmask_b32_e64 v16, v5, v15, s[20:21]
	v_cndmask_b32_e64 v17, v4, v14, s[20:21]
	;; [unrolled: 1-line block ×4, first 2 shown]
	s_mov_b64 s[22:23], -1
	s_and_saveexec_b64 s[26:27], vcc
	s_cbranch_execz .LBB1635_58
; %bb.48:
	v_cmp_lt_u32_e32 vcc, v9, v1
	s_mov_b64 s[0:1], 0
	s_and_saveexec_b64 s[22:23], vcc
	s_cbranch_execz .LBB1635_57
; %bb.49:
	s_andn2_b64 vcc, exec, s[12:13]
	s_cbranch_vccnz .LBB1635_55
; %bb.50:
	v_mul_lo_u32 v6, v16, s16
	v_mul_lo_u32 v7, v17, s17
	v_mad_u64_u32 v[4:5], s[0:1], v17, s16, 0
	v_add3_u32 v5, v5, v7, v6
	v_mul_lo_u32 v10, v19, s16
	v_mul_lo_u32 v11, v20, s17
	v_mad_u64_u32 v[6:7], s[0:1], v20, s16, 0
	v_add3_u32 v7, v7, v11, v10
	v_lshl_add_u64 v[4:5], v[4:5], 3, s[18:19]
	v_lshl_add_u64 v[6:7], v[6:7], 3, s[18:19]
	s_mov_b64 s[30:31], 0
	s_mov_b64 s[38:39], s[16:17]
                                        ; implicit-def: $sgpr28_sgpr29
                                        ; implicit-def: $sgpr34_sgpr35
                                        ; implicit-def: $sgpr36_sgpr37
                                        ; implicit-def: $sgpr0_sgpr1
                                        ; implicit-def: $sgpr40_sgpr41
	s_branch .LBB1635_52
.LBB1635_51:                            ;   in Loop: Header=BB1635_52 Depth=1
	s_or_b64 exec, exec, s[42:43]
	s_and_b64 s[2:3], exec, s[34:35]
	s_or_b64 s[30:31], s[2:3], s[30:31]
	s_andn2_b64 s[2:3], s[40:41], exec
	s_and_b64 s[40:41], s[36:37], exec
	s_or_b64 s[40:41], s[2:3], s[40:41]
	s_andn2_b64 s[2:3], s[28:29], exec
	s_and_b64 s[28:29], s[0:1], exec
	s_or_b64 s[28:29], s[2:3], s[28:29]
	s_andn2_b64 exec, exec, s[30:31]
	s_cbranch_execz .LBB1635_54
.LBB1635_52:                            ; =>This Inner Loop Header: Depth=1
	global_load_dwordx2 v[10:11], v[4:5], off
	global_load_dwordx2 v[12:13], v[6:7], off
	s_andn2_b64 s[42:43], s[0:1], exec
	s_andn2_b64 s[36:37], s[36:37], exec
	s_or_b64 s[34:35], s[34:35], exec
	s_waitcnt vmcnt(0)
	v_cmp_le_u64_e64 s[0:1], v[10:11], v[12:13]
	v_cmp_lt_u64_e32 vcc, v[10:11], v[12:13]
	s_and_b64 s[0:1], s[0:1], s[40:41]
	s_or_b64 s[44:45], vcc, s[0:1]
	s_and_b64 s[0:1], s[44:45], exec
	v_cmp_eq_u64_e64 s[2:3], v[10:11], v[12:13]
	s_or_b64 s[0:1], s[42:43], s[0:1]
	s_and_saveexec_b64 s[42:43], s[2:3]
	s_cbranch_execz .LBB1635_51
; %bb.53:                               ;   in Loop: Header=BB1635_52 Depth=1
	s_add_u32 s38, s38, -1
	s_addc_u32 s39, s39, -1
	s_cmp_eq_u64 s[38:39], 0
	s_cselect_b64 s[2:3], -1, 0
	s_andn2_b64 s[36:37], s[36:37], exec
	s_and_b64 s[40:41], s[44:45], exec
	s_andn2_b64 s[34:35], s[34:35], exec
	s_and_b64 s[2:3], s[2:3], exec
	v_lshl_add_u64 v[4:5], v[4:5], 0, 8
	v_lshl_add_u64 v[6:7], v[6:7], 0, 8
	s_andn2_b64 s[0:1], s[0:1], exec
	s_or_b64 s[36:37], s[36:37], s[40:41]
	s_or_b64 s[34:35], s[34:35], s[2:3]
                                        ; implicit-def: $sgpr40_sgpr41
	s_branch .LBB1635_51
.LBB1635_54:
	s_or_b64 exec, exec, s[30:31]
	s_branch .LBB1635_56
.LBB1635_55:
	s_mov_b64 s[28:29], 0
.LBB1635_56:
	s_xor_b64 s[0:1], s[28:29], -1
	s_and_b64 s[0:1], s[0:1], exec
.LBB1635_57:
	s_or_b64 exec, exec, s[22:23]
	s_orn2_b64 s[22:23], s[0:1], exec
.LBB1635_58:
	s_or_b64 exec, exec, s[26:27]
	v_cndmask_b32_e64 v4, v8, v9, s[22:23]
	v_cndmask_b32_e64 v5, v24, v1, s[22:23]
	v_add_u32_e32 v6, 1, v4
	v_add_u32_e32 v4, -1, v5
	v_min_u32_e32 v4, v6, v4
	v_lshlrev_b32_e32 v4, 3, v4
	ds_read_b64 v[4:5], v4
	v_cndmask_b32_e64 v10, v6, v8, s[22:23]
	v_cndmask_b32_e64 v11, v9, v6, s[22:23]
	v_cmp_lt_u32_e32 vcc, v10, v24
	s_waitcnt lgkmcnt(0)
	v_cndmask_b32_e64 v21, v5, v16, s[22:23]
	v_cndmask_b32_e64 v22, v4, v17, s[22:23]
	;; [unrolled: 1-line block ×4, first 2 shown]
	s_and_saveexec_b64 s[26:27], vcc
	s_cbranch_execz .LBB1635_69
; %bb.59:
	v_cmp_lt_u32_e32 vcc, v11, v1
	s_mov_b64 s[0:1], 0
	s_and_saveexec_b64 s[24:25], vcc
	s_cbranch_execz .LBB1635_68
; %bb.60:
	s_andn2_b64 vcc, exec, s[12:13]
	s_cbranch_vccnz .LBB1635_66
; %bb.61:
	v_mul_lo_u32 v6, v21, s16
	v_mul_lo_u32 v7, v22, s17
	v_mad_u64_u32 v[4:5], s[0:1], v22, s16, 0
	v_add3_u32 v5, v5, v7, v6
	v_mul_lo_u32 v8, v23, s16
	v_mul_lo_u32 v9, v25, s17
	v_mad_u64_u32 v[6:7], s[0:1], v25, s16, 0
	v_add3_u32 v7, v7, v9, v8
	v_lshl_add_u64 v[4:5], v[4:5], 3, s[18:19]
	v_lshl_add_u64 v[6:7], v[6:7], 3, s[18:19]
	s_mov_b64 s[30:31], 0
	s_mov_b64 s[38:39], s[16:17]
                                        ; implicit-def: $sgpr28_sgpr29
                                        ; implicit-def: $sgpr34_sgpr35
                                        ; implicit-def: $sgpr36_sgpr37
                                        ; implicit-def: $sgpr0_sgpr1
                                        ; implicit-def: $sgpr40_sgpr41
	s_branch .LBB1635_63
.LBB1635_62:                            ;   in Loop: Header=BB1635_63 Depth=1
	s_or_b64 exec, exec, s[42:43]
	s_and_b64 s[2:3], exec, s[34:35]
	s_or_b64 s[30:31], s[2:3], s[30:31]
	s_andn2_b64 s[2:3], s[40:41], exec
	s_and_b64 s[40:41], s[36:37], exec
	s_or_b64 s[40:41], s[2:3], s[40:41]
	s_andn2_b64 s[2:3], s[28:29], exec
	s_and_b64 s[28:29], s[0:1], exec
	s_or_b64 s[28:29], s[2:3], s[28:29]
	s_andn2_b64 exec, exec, s[30:31]
	s_cbranch_execz .LBB1635_65
.LBB1635_63:                            ; =>This Inner Loop Header: Depth=1
	global_load_dwordx2 v[8:9], v[4:5], off
	global_load_dwordx2 v[12:13], v[6:7], off
	s_andn2_b64 s[42:43], s[0:1], exec
	s_andn2_b64 s[36:37], s[36:37], exec
	s_or_b64 s[34:35], s[34:35], exec
	s_waitcnt vmcnt(0)
	v_cmp_le_u64_e64 s[0:1], v[8:9], v[12:13]
	v_cmp_lt_u64_e32 vcc, v[8:9], v[12:13]
	s_and_b64 s[0:1], s[0:1], s[40:41]
	s_or_b64 s[44:45], vcc, s[0:1]
	s_and_b64 s[0:1], s[44:45], exec
	v_cmp_eq_u64_e64 s[2:3], v[8:9], v[12:13]
	s_or_b64 s[0:1], s[42:43], s[0:1]
	s_and_saveexec_b64 s[42:43], s[2:3]
	s_cbranch_execz .LBB1635_62
; %bb.64:                               ;   in Loop: Header=BB1635_63 Depth=1
	s_add_u32 s38, s38, -1
	s_addc_u32 s39, s39, -1
	s_cmp_eq_u64 s[38:39], 0
	s_cselect_b64 s[2:3], -1, 0
	s_andn2_b64 s[36:37], s[36:37], exec
	s_and_b64 s[40:41], s[44:45], exec
	s_andn2_b64 s[34:35], s[34:35], exec
	s_and_b64 s[2:3], s[2:3], exec
	v_lshl_add_u64 v[4:5], v[4:5], 0, 8
	v_lshl_add_u64 v[6:7], v[6:7], 0, 8
	s_andn2_b64 s[0:1], s[0:1], exec
	s_or_b64 s[36:37], s[36:37], s[40:41]
	s_or_b64 s[34:35], s[34:35], s[2:3]
                                        ; implicit-def: $sgpr40_sgpr41
	s_branch .LBB1635_62
.LBB1635_65:
	s_or_b64 exec, exec, s[30:31]
	s_branch .LBB1635_67
.LBB1635_66:
	s_mov_b64 s[28:29], 0
.LBB1635_67:
	s_xor_b64 s[0:1], s[28:29], -1
	s_and_b64 s[0:1], s[0:1], exec
.LBB1635_68:
	s_or_b64 exec, exec, s[24:25]
	s_orn2_b64 s[24:25], s[0:1], exec
.LBB1635_69:
	s_or_b64 exec, exec, s[26:27]
	v_cndmask_b32_e64 v4, v10, v11, s[24:25]
	v_cndmask_b32_e64 v5, v24, v1, s[24:25]
	v_add_u32_e32 v6, 1, v4
	v_add_u32_e32 v4, -1, v5
	v_min_u32_e32 v4, v6, v4
	v_lshlrev_b32_e32 v4, 3, v4
	ds_read_b64 v[4:5], v4
	v_cndmask_b32_e64 v12, v6, v10, s[24:25]
	v_cndmask_b32_e64 v13, v11, v6, s[24:25]
	v_cmp_lt_u32_e32 vcc, v12, v24
	s_mov_b64 s[28:29], -1
	s_waitcnt lgkmcnt(0)
	v_cndmask_b32_e64 v8, v5, v21, s[24:25]
	v_cndmask_b32_e64 v26, v4, v22, s[24:25]
	;; [unrolled: 1-line block ×4, first 2 shown]
	s_mov_b64 s[26:27], -1
	s_and_saveexec_b64 s[30:31], vcc
	s_cbranch_execz .LBB1635_80
; %bb.70:
	v_cmp_lt_u32_e32 vcc, v13, v1
	s_mov_b64 s[0:1], 0
	s_and_saveexec_b64 s[26:27], vcc
	s_cbranch_execz .LBB1635_79
; %bb.71:
	s_andn2_b64 vcc, exec, s[12:13]
	s_cbranch_vccnz .LBB1635_77
; %bb.72:
	v_mul_lo_u32 v6, v8, s16
	v_mul_lo_u32 v7, v26, s17
	v_mad_u64_u32 v[4:5], s[0:1], v26, s16, 0
	v_add3_u32 v5, v5, v7, v6
	v_mul_lo_u32 v10, v9, s16
	v_mul_lo_u32 v11, v27, s17
	v_mad_u64_u32 v[6:7], s[0:1], v27, s16, 0
	v_add3_u32 v7, v7, v11, v10
	v_lshl_add_u64 v[4:5], v[4:5], 3, s[18:19]
	v_lshl_add_u64 v[6:7], v[6:7], 3, s[18:19]
	s_mov_b64 s[34:35], 0
	s_mov_b64 s[42:43], s[16:17]
                                        ; implicit-def: $sgpr36_sgpr37
                                        ; implicit-def: $sgpr38_sgpr39
                                        ; implicit-def: $sgpr0_sgpr1
                                        ; implicit-def: $sgpr40_sgpr41
                                        ; implicit-def: $sgpr44_sgpr45
	s_branch .LBB1635_74
.LBB1635_73:                            ;   in Loop: Header=BB1635_74 Depth=1
	s_or_b64 exec, exec, s[46:47]
	s_and_b64 s[2:3], exec, s[38:39]
	s_or_b64 s[34:35], s[2:3], s[34:35]
	s_andn2_b64 s[2:3], s[44:45], exec
	s_and_b64 s[44:45], s[40:41], exec
	s_or_b64 s[44:45], s[2:3], s[44:45]
	s_andn2_b64 s[2:3], s[36:37], exec
	s_and_b64 s[36:37], s[0:1], exec
	s_or_b64 s[36:37], s[2:3], s[36:37]
	s_andn2_b64 exec, exec, s[34:35]
	s_cbranch_execz .LBB1635_76
.LBB1635_74:                            ; =>This Inner Loop Header: Depth=1
	global_load_dwordx2 v[10:11], v[4:5], off
	global_load_dwordx2 v[28:29], v[6:7], off
	s_andn2_b64 s[46:47], s[0:1], exec
	s_andn2_b64 s[40:41], s[40:41], exec
	s_or_b64 s[38:39], s[38:39], exec
	s_waitcnt vmcnt(0)
	v_cmp_le_u64_e64 s[0:1], v[10:11], v[28:29]
	v_cmp_lt_u64_e32 vcc, v[10:11], v[28:29]
	s_and_b64 s[0:1], s[0:1], s[44:45]
	s_or_b64 s[48:49], vcc, s[0:1]
	s_and_b64 s[0:1], s[48:49], exec
	v_cmp_eq_u64_e64 s[2:3], v[10:11], v[28:29]
	s_or_b64 s[0:1], s[46:47], s[0:1]
	s_and_saveexec_b64 s[46:47], s[2:3]
	s_cbranch_execz .LBB1635_73
; %bb.75:                               ;   in Loop: Header=BB1635_74 Depth=1
	s_add_u32 s42, s42, -1
	s_addc_u32 s43, s43, -1
	s_cmp_eq_u64 s[42:43], 0
	s_cselect_b64 s[2:3], -1, 0
	s_andn2_b64 s[40:41], s[40:41], exec
	s_and_b64 s[44:45], s[48:49], exec
	s_andn2_b64 s[38:39], s[38:39], exec
	s_and_b64 s[2:3], s[2:3], exec
	v_lshl_add_u64 v[4:5], v[4:5], 0, 8
	v_lshl_add_u64 v[6:7], v[6:7], 0, 8
	s_or_b64 s[40:41], s[40:41], s[44:45]
	s_andn2_b64 s[0:1], s[0:1], exec
	s_or_b64 s[38:39], s[38:39], s[2:3]
                                        ; implicit-def: $sgpr44_sgpr45
	s_branch .LBB1635_73
.LBB1635_76:
	s_or_b64 exec, exec, s[34:35]
	s_xor_b64 s[0:1], s[36:37], -1
	s_branch .LBB1635_78
.LBB1635_77:
	s_mov_b64 s[0:1], -1
.LBB1635_78:
	s_and_b64 s[0:1], s[0:1], exec
.LBB1635_79:
	s_or_b64 exec, exec, s[26:27]
	s_orn2_b64 s[26:27], s[0:1], exec
.LBB1635_80:
	s_or_b64 exec, exec, s[30:31]
	v_cndmask_b32_e64 v4, v12, v13, s[26:27]
	v_cndmask_b32_e64 v5, v24, v1, s[26:27]
	v_add_u32_e32 v6, 1, v4
	v_add_u32_e32 v4, -1, v5
	v_min_u32_e32 v4, v6, v4
	v_lshlrev_b32_e32 v4, 3, v4
	ds_read_b64 v[4:5], v4
	v_cndmask_b32_e64 v32, v6, v12, s[26:27]
	v_cndmask_b32_e64 v33, v13, v6, s[26:27]
	v_cmp_lt_u32_e32 vcc, v32, v24
	s_waitcnt lgkmcnt(0)
	v_cndmask_b32_e64 v10, v5, v8, s[26:27]
	v_cndmask_b32_e64 v28, v4, v26, s[26:27]
	;; [unrolled: 1-line block ×4, first 2 shown]
	s_and_saveexec_b64 s[30:31], vcc
	s_cbranch_execz .LBB1635_91
; %bb.81:
	v_cmp_lt_u32_e32 vcc, v33, v1
	s_mov_b64 s[0:1], 0
	s_and_saveexec_b64 s[28:29], vcc
	s_cbranch_execz .LBB1635_90
; %bb.82:
	s_andn2_b64 vcc, exec, s[12:13]
	s_cbranch_vccnz .LBB1635_88
; %bb.83:
	v_mul_lo_u32 v6, v10, s16
	v_mul_lo_u32 v7, v28, s17
	v_mad_u64_u32 v[4:5], s[0:1], v28, s16, 0
	v_add3_u32 v5, v5, v7, v6
	v_mul_lo_u32 v12, v11, s16
	v_mul_lo_u32 v13, v29, s17
	v_mad_u64_u32 v[6:7], s[0:1], v29, s16, 0
	v_add3_u32 v7, v7, v13, v12
	v_lshl_add_u64 v[4:5], v[4:5], 3, s[18:19]
	v_lshl_add_u64 v[6:7], v[6:7], 3, s[18:19]
	s_mov_b64 s[34:35], 0
	s_mov_b64 s[42:43], s[16:17]
                                        ; implicit-def: $sgpr36_sgpr37
                                        ; implicit-def: $sgpr38_sgpr39
                                        ; implicit-def: $sgpr0_sgpr1
                                        ; implicit-def: $sgpr40_sgpr41
                                        ; implicit-def: $sgpr44_sgpr45
	s_branch .LBB1635_85
.LBB1635_84:                            ;   in Loop: Header=BB1635_85 Depth=1
	s_or_b64 exec, exec, s[46:47]
	s_and_b64 s[2:3], exec, s[38:39]
	s_or_b64 s[34:35], s[2:3], s[34:35]
	s_andn2_b64 s[2:3], s[44:45], exec
	s_and_b64 s[44:45], s[40:41], exec
	s_or_b64 s[44:45], s[2:3], s[44:45]
	s_andn2_b64 s[2:3], s[36:37], exec
	s_and_b64 s[36:37], s[0:1], exec
	s_or_b64 s[36:37], s[2:3], s[36:37]
	s_andn2_b64 exec, exec, s[34:35]
	s_cbranch_execz .LBB1635_87
.LBB1635_85:                            ; =>This Inner Loop Header: Depth=1
	global_load_dwordx2 v[12:13], v[4:5], off
	global_load_dwordx2 v[30:31], v[6:7], off
	s_andn2_b64 s[46:47], s[0:1], exec
	s_andn2_b64 s[40:41], s[40:41], exec
	s_or_b64 s[38:39], s[38:39], exec
	s_waitcnt vmcnt(0)
	v_cmp_le_u64_e64 s[0:1], v[12:13], v[30:31]
	v_cmp_lt_u64_e32 vcc, v[12:13], v[30:31]
	s_and_b64 s[0:1], s[0:1], s[44:45]
	s_or_b64 s[48:49], vcc, s[0:1]
	s_and_b64 s[0:1], s[48:49], exec
	v_cmp_eq_u64_e64 s[2:3], v[12:13], v[30:31]
	s_or_b64 s[0:1], s[46:47], s[0:1]
	s_and_saveexec_b64 s[46:47], s[2:3]
	s_cbranch_execz .LBB1635_84
; %bb.86:                               ;   in Loop: Header=BB1635_85 Depth=1
	s_add_u32 s42, s42, -1
	s_addc_u32 s43, s43, -1
	s_cmp_eq_u64 s[42:43], 0
	s_cselect_b64 s[2:3], -1, 0
	s_andn2_b64 s[40:41], s[40:41], exec
	s_and_b64 s[44:45], s[48:49], exec
	s_andn2_b64 s[38:39], s[38:39], exec
	s_and_b64 s[2:3], s[2:3], exec
	v_lshl_add_u64 v[4:5], v[4:5], 0, 8
	v_lshl_add_u64 v[6:7], v[6:7], 0, 8
	s_or_b64 s[40:41], s[40:41], s[44:45]
	s_andn2_b64 s[0:1], s[0:1], exec
	s_or_b64 s[38:39], s[38:39], s[2:3]
                                        ; implicit-def: $sgpr44_sgpr45
	s_branch .LBB1635_84
.LBB1635_87:
	s_or_b64 exec, exec, s[34:35]
	s_xor_b64 s[0:1], s[36:37], -1
	s_branch .LBB1635_89
.LBB1635_88:
	s_mov_b64 s[0:1], -1
.LBB1635_89:
	s_and_b64 s[0:1], s[0:1], exec
.LBB1635_90:
	s_or_b64 exec, exec, s[28:29]
	s_orn2_b64 s[28:29], s[0:1], exec
.LBB1635_91:
	s_or_b64 exec, exec, s[30:31]
	v_cndmask_b32_e64 v4, v32, v33, s[28:29]
	v_cndmask_b32_e64 v5, v24, v1, s[28:29]
	v_add_u32_e32 v6, 1, v4
	v_add_u32_e32 v4, -1, v5
	v_min_u32_e32 v4, v6, v4
	v_lshlrev_b32_e32 v4, 3, v4
	ds_read_b64 v[4:5], v4
	v_cndmask_b32_e64 v34, v6, v32, s[28:29]
	v_cndmask_b32_e64 v38, v33, v6, s[28:29]
	v_cmp_lt_u32_e32 vcc, v34, v24
	s_mov_b64 s[30:31], -1
	s_waitcnt lgkmcnt(0)
	v_cndmask_b32_e64 v12, v5, v10, s[28:29]
	v_cndmask_b32_e64 v30, v4, v28, s[28:29]
	;; [unrolled: 1-line block ×4, first 2 shown]
	s_mov_b64 s[34:35], -1
	s_and_saveexec_b64 s[36:37], vcc
	s_cbranch_execz .LBB1635_102
; %bb.92:
	v_cmp_lt_u32_e32 vcc, v38, v1
	s_mov_b64 s[0:1], 0
	s_and_saveexec_b64 s[34:35], vcc
	s_cbranch_execz .LBB1635_101
; %bb.93:
	s_andn2_b64 vcc, exec, s[12:13]
	s_cbranch_vccnz .LBB1635_99
; %bb.94:
	v_mul_lo_u32 v6, v12, s16
	v_mul_lo_u32 v7, v30, s17
	v_mad_u64_u32 v[4:5], s[0:1], v30, s16, 0
	v_add3_u32 v5, v5, v7, v6
	v_mul_lo_u32 v32, v13, s16
	v_mul_lo_u32 v33, v31, s17
	v_mad_u64_u32 v[6:7], s[0:1], v31, s16, 0
	v_add3_u32 v7, v7, v33, v32
	v_lshl_add_u64 v[4:5], v[4:5], 3, s[18:19]
	v_lshl_add_u64 v[6:7], v[6:7], 3, s[18:19]
	s_mov_b64 s[38:39], 0
	s_mov_b64 s[46:47], s[16:17]
                                        ; implicit-def: $sgpr40_sgpr41
                                        ; implicit-def: $sgpr42_sgpr43
                                        ; implicit-def: $sgpr0_sgpr1
                                        ; implicit-def: $sgpr44_sgpr45
                                        ; implicit-def: $sgpr48_sgpr49
	s_branch .LBB1635_96
.LBB1635_95:                            ;   in Loop: Header=BB1635_96 Depth=1
	s_or_b64 exec, exec, s[50:51]
	s_and_b64 s[2:3], exec, s[42:43]
	s_or_b64 s[38:39], s[2:3], s[38:39]
	s_andn2_b64 s[2:3], s[48:49], exec
	s_and_b64 s[48:49], s[44:45], exec
	s_or_b64 s[48:49], s[2:3], s[48:49]
	s_andn2_b64 s[2:3], s[40:41], exec
	s_and_b64 s[40:41], s[0:1], exec
	s_or_b64 s[40:41], s[2:3], s[40:41]
	s_andn2_b64 exec, exec, s[38:39]
	s_cbranch_execz .LBB1635_98
.LBB1635_96:                            ; =>This Inner Loop Header: Depth=1
	global_load_dwordx2 v[32:33], v[4:5], off
	global_load_dwordx2 v[36:37], v[6:7], off
	s_andn2_b64 s[50:51], s[0:1], exec
	s_andn2_b64 s[44:45], s[44:45], exec
	s_or_b64 s[42:43], s[42:43], exec
	s_waitcnt vmcnt(0)
	v_cmp_le_u64_e64 s[0:1], v[32:33], v[36:37]
	v_cmp_lt_u64_e32 vcc, v[32:33], v[36:37]
	s_and_b64 s[0:1], s[0:1], s[48:49]
	s_or_b64 s[52:53], vcc, s[0:1]
	s_and_b64 s[0:1], s[52:53], exec
	v_cmp_eq_u64_e64 s[2:3], v[32:33], v[36:37]
	s_or_b64 s[0:1], s[50:51], s[0:1]
	s_and_saveexec_b64 s[50:51], s[2:3]
	s_cbranch_execz .LBB1635_95
; %bb.97:                               ;   in Loop: Header=BB1635_96 Depth=1
	s_add_u32 s46, s46, -1
	s_addc_u32 s47, s47, -1
	s_cmp_eq_u64 s[46:47], 0
	s_cselect_b64 s[2:3], -1, 0
	s_andn2_b64 s[44:45], s[44:45], exec
	s_and_b64 s[48:49], s[52:53], exec
	s_andn2_b64 s[42:43], s[42:43], exec
	s_and_b64 s[2:3], s[2:3], exec
	v_lshl_add_u64 v[4:5], v[4:5], 0, 8
	v_lshl_add_u64 v[6:7], v[6:7], 0, 8
	s_or_b64 s[44:45], s[44:45], s[48:49]
	s_andn2_b64 s[0:1], s[0:1], exec
	s_or_b64 s[42:43], s[42:43], s[2:3]
                                        ; implicit-def: $sgpr48_sgpr49
	s_branch .LBB1635_95
.LBB1635_98:
	s_or_b64 exec, exec, s[38:39]
	s_xor_b64 s[0:1], s[40:41], -1
	s_branch .LBB1635_100
.LBB1635_99:
	s_mov_b64 s[0:1], -1
.LBB1635_100:
	s_and_b64 s[0:1], s[0:1], exec
.LBB1635_101:
	s_or_b64 exec, exec, s[34:35]
	s_orn2_b64 s[34:35], s[0:1], exec
.LBB1635_102:
	s_or_b64 exec, exec, s[36:37]
	v_cndmask_b32_e64 v4, v34, v38, s[34:35]
	v_cndmask_b32_e64 v5, v24, v1, s[34:35]
	v_add_u32_e32 v6, 1, v4
	v_add_u32_e32 v4, -1, v5
	v_min_u32_e32 v4, v6, v4
	v_lshlrev_b32_e32 v4, 3, v4
	ds_read_b64 v[4:5], v4
	v_cndmask_b32_e64 v35, v6, v34, s[34:35]
	v_cndmask_b32_e64 v34, v38, v6, s[34:35]
	v_cmp_lt_u32_e32 vcc, v35, v24
	s_waitcnt lgkmcnt(0)
	v_cndmask_b32_e64 v32, v5, v12, s[34:35]
	v_cndmask_b32_e64 v33, v4, v30, s[34:35]
	;; [unrolled: 1-line block ×4, first 2 shown]
	s_and_saveexec_b64 s[36:37], vcc
	s_cbranch_execz .LBB1635_113
; %bb.103:
	v_cmp_lt_u32_e32 vcc, v34, v1
	s_mov_b64 s[0:1], 0
	s_and_saveexec_b64 s[30:31], vcc
	s_cbranch_execz .LBB1635_112
; %bb.104:
	s_andn2_b64 vcc, exec, s[12:13]
	s_cbranch_vccnz .LBB1635_110
; %bb.105:
	v_mul_lo_u32 v6, v32, s16
	v_mul_lo_u32 v7, v33, s17
	v_mad_u64_u32 v[4:5], s[0:1], v33, s16, 0
	v_add3_u32 v5, v5, v7, v6
	v_mul_lo_u32 v38, v36, s16
	v_mul_lo_u32 v39, v37, s17
	v_mad_u64_u32 v[6:7], s[0:1], v37, s16, 0
	v_add3_u32 v7, v7, v39, v38
	v_lshl_add_u64 v[4:5], v[4:5], 3, s[18:19]
	v_lshl_add_u64 v[6:7], v[6:7], 3, s[18:19]
	s_mov_b64 s[38:39], 0
	s_mov_b64 s[46:47], s[16:17]
                                        ; implicit-def: $sgpr40_sgpr41
                                        ; implicit-def: $sgpr42_sgpr43
                                        ; implicit-def: $sgpr0_sgpr1
                                        ; implicit-def: $sgpr44_sgpr45
                                        ; implicit-def: $sgpr48_sgpr49
	s_branch .LBB1635_107
.LBB1635_106:                           ;   in Loop: Header=BB1635_107 Depth=1
	s_or_b64 exec, exec, s[50:51]
	s_and_b64 s[2:3], exec, s[42:43]
	s_or_b64 s[38:39], s[2:3], s[38:39]
	s_andn2_b64 s[2:3], s[48:49], exec
	s_and_b64 s[48:49], s[44:45], exec
	s_or_b64 s[48:49], s[2:3], s[48:49]
	s_andn2_b64 s[2:3], s[40:41], exec
	s_and_b64 s[40:41], s[0:1], exec
	s_or_b64 s[40:41], s[2:3], s[40:41]
	s_andn2_b64 exec, exec, s[38:39]
	s_cbranch_execz .LBB1635_109
.LBB1635_107:                           ; =>This Inner Loop Header: Depth=1
	global_load_dwordx2 v[38:39], v[4:5], off
	global_load_dwordx2 v[40:41], v[6:7], off
	s_andn2_b64 s[50:51], s[0:1], exec
	s_andn2_b64 s[44:45], s[44:45], exec
	s_or_b64 s[42:43], s[42:43], exec
	s_waitcnt vmcnt(0)
	v_cmp_le_u64_e64 s[0:1], v[38:39], v[40:41]
	v_cmp_lt_u64_e32 vcc, v[38:39], v[40:41]
	s_and_b64 s[0:1], s[0:1], s[48:49]
	s_or_b64 s[52:53], vcc, s[0:1]
	s_and_b64 s[0:1], s[52:53], exec
	v_cmp_eq_u64_e64 s[2:3], v[38:39], v[40:41]
	s_or_b64 s[0:1], s[50:51], s[0:1]
	s_and_saveexec_b64 s[50:51], s[2:3]
	s_cbranch_execz .LBB1635_106
; %bb.108:                              ;   in Loop: Header=BB1635_107 Depth=1
	s_add_u32 s46, s46, -1
	s_addc_u32 s47, s47, -1
	s_cmp_eq_u64 s[46:47], 0
	s_cselect_b64 s[2:3], -1, 0
	s_andn2_b64 s[44:45], s[44:45], exec
	s_and_b64 s[48:49], s[52:53], exec
	s_andn2_b64 s[42:43], s[42:43], exec
	s_and_b64 s[2:3], s[2:3], exec
	v_lshl_add_u64 v[4:5], v[4:5], 0, 8
	v_lshl_add_u64 v[6:7], v[6:7], 0, 8
	s_or_b64 s[44:45], s[44:45], s[48:49]
	s_andn2_b64 s[0:1], s[0:1], exec
	s_or_b64 s[42:43], s[42:43], s[2:3]
                                        ; implicit-def: $sgpr48_sgpr49
	s_branch .LBB1635_106
.LBB1635_109:
	s_or_b64 exec, exec, s[38:39]
	s_xor_b64 s[0:1], s[40:41], -1
	s_branch .LBB1635_111
.LBB1635_110:
	s_mov_b64 s[0:1], -1
.LBB1635_111:
	s_and_b64 s[0:1], s[0:1], exec
.LBB1635_112:
	s_or_b64 exec, exec, s[30:31]
	s_orn2_b64 s[30:31], s[0:1], exec
.LBB1635_113:
	s_or_b64 exec, exec, s[36:37]
	v_cndmask_b32_e64 v5, v16, v19, s[22:23]
	v_cndmask_b32_e64 v4, v17, v20, s[22:23]
	;; [unrolled: 1-line block ×4, first 2 shown]
	v_add_u32_e32 v19, 1, v16
	v_add_u32_e32 v16, -1, v17
	v_min_u32_e32 v16, v19, v16
	v_lshlrev_b32_e32 v16, 3, v16
	v_cndmask_b32_e64 v7, v21, v23, s[24:25]
	ds_read_b64 v[20:21], v16
	v_cndmask_b32_e64 v6, v22, v25, s[24:25]
	v_cndmask_b32_e64 v22, v19, v35, s[30:31]
	;; [unrolled: 1-line block ×12, first 2 shown]
	s_waitcnt lgkmcnt(0)
	v_cndmask_b32_e64 v17, v36, v21, s[30:31]
	v_cndmask_b32_e64 v16, v37, v20, s[30:31]
	v_cmp_lt_u32_e32 vcc, v22, v24
	s_and_saveexec_b64 s[20:21], vcc
	s_cbranch_execz .LBB1635_123
; %bb.114:
	v_cndmask_b32_e64 v19, v34, v19, s[30:31]
	v_cndmask_b32_e64 v21, v21, v32, s[30:31]
	v_cndmask_b32_e64 v20, v20, v33, s[30:31]
	v_cmp_lt_u32_e32 vcc, v19, v1
	s_and_saveexec_b64 s[22:23], vcc
	s_cbranch_execz .LBB1635_122
; %bb.115:
	s_andn2_b64 vcc, exec, s[12:13]
	s_cbranch_vccnz .LBB1635_121
; %bb.116:
	v_mul_lo_u32 v1, v21, s16
	v_mul_lo_u32 v19, v20, s17
	v_mad_u64_u32 v[22:23], s[0:1], v20, s16, 0
	v_add3_u32 v23, v23, v19, v1
	v_mul_lo_u32 v1, v17, s16
	v_mul_lo_u32 v19, v16, s17
	v_mad_u64_u32 v[24:25], s[0:1], v16, s16, 0
	v_add3_u32 v25, v25, v19, v1
	v_lshl_add_u64 v[22:23], v[22:23], 3, s[18:19]
	v_lshl_add_u64 v[24:25], v[24:25], 3, s[18:19]
	s_mov_b64 s[12:13], 0
                                        ; implicit-def: $sgpr18_sgpr19
                                        ; implicit-def: $sgpr24_sgpr25
                                        ; implicit-def: $sgpr0_sgpr1
                                        ; implicit-def: $sgpr26_sgpr27
                                        ; implicit-def: $sgpr28_sgpr29
	s_branch .LBB1635_118
.LBB1635_117:                           ;   in Loop: Header=BB1635_118 Depth=1
	s_or_b64 exec, exec, s[30:31]
	s_and_b64 s[2:3], exec, s[24:25]
	s_or_b64 s[12:13], s[2:3], s[12:13]
	s_andn2_b64 s[2:3], s[28:29], exec
	s_and_b64 s[28:29], s[26:27], exec
	s_or_b64 s[28:29], s[2:3], s[28:29]
	s_andn2_b64 s[2:3], s[18:19], exec
	s_and_b64 s[18:19], s[0:1], exec
	s_or_b64 s[18:19], s[2:3], s[18:19]
	s_andn2_b64 exec, exec, s[12:13]
	s_cbranch_execz .LBB1635_120
.LBB1635_118:                           ; =>This Inner Loop Header: Depth=1
	global_load_dwordx2 v[26:27], v[22:23], off
	global_load_dwordx2 v[28:29], v[24:25], off
	s_andn2_b64 s[30:31], s[0:1], exec
	s_andn2_b64 s[26:27], s[26:27], exec
	s_or_b64 s[24:25], s[24:25], exec
	s_waitcnt vmcnt(0)
	v_cmp_le_u64_e64 s[0:1], v[26:27], v[28:29]
	v_cmp_lt_u64_e32 vcc, v[26:27], v[28:29]
	s_and_b64 s[0:1], s[0:1], s[28:29]
	s_or_b64 s[34:35], vcc, s[0:1]
	s_and_b64 s[0:1], s[34:35], exec
	v_cmp_eq_u64_e64 s[2:3], v[26:27], v[28:29]
	s_or_b64 s[0:1], s[30:31], s[0:1]
	s_and_saveexec_b64 s[30:31], s[2:3]
	s_cbranch_execz .LBB1635_117
; %bb.119:                              ;   in Loop: Header=BB1635_118 Depth=1
	s_add_u32 s16, s16, -1
	s_addc_u32 s17, s17, -1
	s_cmp_eq_u64 s[16:17], 0
	s_cselect_b64 s[2:3], -1, 0
	s_andn2_b64 s[26:27], s[26:27], exec
	s_and_b64 s[28:29], s[34:35], exec
	s_andn2_b64 s[24:25], s[24:25], exec
	s_and_b64 s[2:3], s[2:3], exec
	v_lshl_add_u64 v[22:23], v[22:23], 0, 8
	v_lshl_add_u64 v[24:25], v[24:25], 0, 8
	s_or_b64 s[26:27], s[26:27], s[28:29]
	s_andn2_b64 s[0:1], s[0:1], exec
	s_or_b64 s[24:25], s[24:25], s[2:3]
                                        ; implicit-def: $sgpr28_sgpr29
	s_branch .LBB1635_117
.LBB1635_120:
	s_or_b64 exec, exec, s[12:13]
	v_cndmask_b32_e64 v17, v17, v21, s[18:19]
	v_cndmask_b32_e64 v16, v16, v20, s[18:19]
.LBB1635_121:
	v_mov_b64_e32 v[20:21], v[16:17]
.LBB1635_122:
	s_or_b64 exec, exec, s[22:23]
	v_mov_b64_e32 v[16:17], v[20:21]
.LBB1635_123:
	s_or_b64 exec, exec, s[20:21]
.LBB1635_124:
	s_or_b64 exec, exec, s[4:5]
	v_lshrrev_b32_e32 v1, 2, v0
	v_lshlrev_b32_e32 v19, 3, v18
	v_lshl_add_u32 v19, v1, 3, v19
	v_and_b32_e32 v1, 24, v1
	v_or_b32_e32 v25, 0x80, v0
	v_add_u32_e32 v26, v18, v1
	v_lshrrev_b32_e32 v1, 2, v25
	v_and_b32_e32 v1, 56, v1
	v_or_b32_e32 v24, 0x100, v0
	s_barrier
	s_barrier
	ds_write2_b64 v19, v[2:3], v[4:5] offset1:1
	ds_write2_b64 v19, v[6:7], v[8:9] offset0:2 offset1:3
	ds_write2_b64 v19, v[10:11], v[12:13] offset0:4 offset1:5
	;; [unrolled: 1-line block ×3, first 2 shown]
	v_add_u32_e32 v6, v18, v1
	v_lshrrev_b32_e32 v1, 2, v24
	v_and_b32_e32 v1, 0x58, v1
	v_or_b32_e32 v23, 0x180, v0
	v_add_u32_e32 v7, v18, v1
	v_lshrrev_b32_e32 v1, 2, v23
	v_and_b32_e32 v1, 0x78, v1
	v_or_b32_e32 v22, 0x200, v0
	;; [unrolled: 4-line block ×4, first 2 shown]
	v_add_u32_e32 v27, v18, v1
	v_lshrrev_b32_e32 v1, 2, v20
	v_and_b32_e32 v1, 0xd8, v1
	s_lshl_b64 s[0:1], s[6:7], 3
	v_add_u32_e32 v28, v18, v1
	v_or_b32_e32 v1, 0x380, v0
	s_add_u32 s0, s14, s0
	v_lshrrev_b32_e32 v2, 2, v1
	s_addc_u32 s1, s15, s1
	v_and_b32_e32 v2, 0xf8, v2
	v_mov_b32_e32 v19, 0
	v_add_u32_e32 v29, v18, v2
	v_lshl_add_u64 v[2:3], s[0:1], 0, v[18:19]
	s_and_b64 vcc, exec, s[10:11]
	s_waitcnt lgkmcnt(0)
	s_cbranch_vccz .LBB1635_126
; %bb.125:
	s_barrier
	ds_read_b64 v[10:11], v26
	ds_read_b64 v[12:13], v6 offset:1024
	ds_read_b64 v[14:15], v7 offset:2048
	ds_read_b64 v[16:17], v8 offset:3072
	ds_read_b64 v[18:19], v9 offset:4096
	ds_read_b64 v[30:31], v27 offset:5120
	ds_read_b64 v[32:33], v28 offset:6144
	ds_read_b64 v[4:5], v29 offset:7168
	s_waitcnt lgkmcnt(7)
	global_store_dwordx2 v[2:3], v[10:11], off
	s_waitcnt lgkmcnt(6)
	global_store_dwordx2 v[2:3], v[12:13], off offset:1024
	s_waitcnt lgkmcnt(5)
	global_store_dwordx2 v[2:3], v[14:15], off offset:2048
	;; [unrolled: 2-line block ×3, first 2 shown]
	v_add_co_u32_e32 v10, vcc, 0x1000, v2
	s_nop 1
	v_addc_co_u32_e32 v11, vcc, 0, v3, vcc
	s_waitcnt lgkmcnt(3)
	global_store_dwordx2 v[10:11], v[18:19], off
	s_waitcnt lgkmcnt(2)
	global_store_dwordx2 v[10:11], v[30:31], off offset:1024
	s_waitcnt lgkmcnt(1)
	global_store_dwordx2 v[10:11], v[32:33], off offset:2048
	s_mov_b64 s[0:1], -1
	s_cbranch_execz .LBB1635_127
	s_branch .LBB1635_136
.LBB1635_126:
	s_mov_b64 s[0:1], 0
                                        ; implicit-def: $vgpr4_vgpr5
.LBB1635_127:
	s_barrier
	s_waitcnt lgkmcnt(0)
	ds_read_b64 v[16:17], v6 offset:1024
	ds_read_b64 v[14:15], v7 offset:2048
	ds_read_b64 v[12:13], v8 offset:3072
	ds_read_b64 v[10:11], v9 offset:4096
	ds_read_b64 v[8:9], v27 offset:5120
	ds_read_b64 v[6:7], v28 offset:6144
	ds_read_b64 v[4:5], v29 offset:7168
	s_sub_i32 s2, s8, s6
	v_cmp_gt_u32_e32 vcc, s2, v0
	s_and_saveexec_b64 s[0:1], vcc
	s_cbranch_execnz .LBB1635_139
; %bb.128:
	s_or_b64 exec, exec, s[0:1]
	v_cmp_gt_u32_e32 vcc, s2, v25
	s_and_saveexec_b64 s[0:1], vcc
	s_cbranch_execnz .LBB1635_140
.LBB1635_129:
	s_or_b64 exec, exec, s[0:1]
	v_cmp_gt_u32_e32 vcc, s2, v24
	s_and_saveexec_b64 s[0:1], vcc
	s_cbranch_execnz .LBB1635_141
.LBB1635_130:
	s_or_b64 exec, exec, s[0:1]
	v_cmp_gt_u32_e32 vcc, s2, v23
	s_and_saveexec_b64 s[0:1], vcc
	s_cbranch_execnz .LBB1635_142
.LBB1635_131:
	s_or_b64 exec, exec, s[0:1]
	v_cmp_gt_u32_e32 vcc, s2, v22
	s_and_saveexec_b64 s[0:1], vcc
	s_cbranch_execnz .LBB1635_143
.LBB1635_132:
	s_or_b64 exec, exec, s[0:1]
	v_cmp_gt_u32_e32 vcc, s2, v21
	s_and_saveexec_b64 s[0:1], vcc
	s_cbranch_execnz .LBB1635_144
.LBB1635_133:
	s_or_b64 exec, exec, s[0:1]
	v_cmp_gt_u32_e32 vcc, s2, v20
	s_and_saveexec_b64 s[0:1], vcc
	s_cbranch_execz .LBB1635_135
.LBB1635_134:
	s_waitcnt lgkmcnt(2)
	v_add_co_u32_e32 v8, vcc, 0x1000, v2
	s_nop 1
	v_addc_co_u32_e32 v9, vcc, 0, v3, vcc
	s_waitcnt lgkmcnt(1)
	global_store_dwordx2 v[8:9], v[6:7], off offset:2048
.LBB1635_135:
	s_or_b64 exec, exec, s[0:1]
	v_cmp_gt_u32_e64 s[0:1], s2, v1
.LBB1635_136:
	s_and_saveexec_b64 s[2:3], s[0:1]
	s_cbranch_execz .LBB1635_138
; %bb.137:
	v_add_co_u32_e32 v0, vcc, 0x1000, v2
	s_nop 1
	v_addc_co_u32_e32 v1, vcc, 0, v3, vcc
	s_waitcnt lgkmcnt(0)
	global_store_dwordx2 v[0:1], v[4:5], off offset:3072
.LBB1635_138:
	s_endpgm
.LBB1635_139:
	ds_read_b64 v[18:19], v26
	s_waitcnt lgkmcnt(0)
	global_store_dwordx2 v[2:3], v[18:19], off
	s_or_b64 exec, exec, s[0:1]
	v_cmp_gt_u32_e32 vcc, s2, v25
	s_and_saveexec_b64 s[0:1], vcc
	s_cbranch_execz .LBB1635_129
.LBB1635_140:
	s_waitcnt lgkmcnt(6)
	global_store_dwordx2 v[2:3], v[16:17], off offset:1024
	s_or_b64 exec, exec, s[0:1]
	v_cmp_gt_u32_e32 vcc, s2, v24
	s_and_saveexec_b64 s[0:1], vcc
	s_cbranch_execz .LBB1635_130
.LBB1635_141:
	s_waitcnt lgkmcnt(5)
	global_store_dwordx2 v[2:3], v[14:15], off offset:2048
	s_or_b64 exec, exec, s[0:1]
	v_cmp_gt_u32_e32 vcc, s2, v23
	s_and_saveexec_b64 s[0:1], vcc
	s_cbranch_execz .LBB1635_131
.LBB1635_142:
	s_waitcnt lgkmcnt(4)
	global_store_dwordx2 v[2:3], v[12:13], off offset:3072
	s_or_b64 exec, exec, s[0:1]
	v_cmp_gt_u32_e32 vcc, s2, v22
	s_and_saveexec_b64 s[0:1], vcc
	s_cbranch_execz .LBB1635_132
.LBB1635_143:
	s_waitcnt lgkmcnt(4)
	v_add_co_u32_e32 v12, vcc, 0x1000, v2
	s_nop 1
	v_addc_co_u32_e32 v13, vcc, 0, v3, vcc
	s_waitcnt lgkmcnt(3)
	global_store_dwordx2 v[12:13], v[10:11], off
	s_or_b64 exec, exec, s[0:1]
	v_cmp_gt_u32_e32 vcc, s2, v21
	s_and_saveexec_b64 s[0:1], vcc
	s_cbranch_execz .LBB1635_133
.LBB1635_144:
	s_waitcnt lgkmcnt(3)
	v_add_co_u32_e32 v10, vcc, 0x1000, v2
	s_nop 1
	v_addc_co_u32_e32 v11, vcc, 0, v3, vcc
	s_waitcnt lgkmcnt(2)
	global_store_dwordx2 v[10:11], v[8:9], off offset:1024
	s_or_b64 exec, exec, s[0:1]
	v_cmp_gt_u32_e32 vcc, s2, v20
	s_and_saveexec_b64 s[0:1], vcc
	s_cbranch_execnz .LBB1635_134
	s_branch .LBB1635_135
	.section	.rodata,"a",@progbits
	.p2align	6, 0x0
	.amdhsa_kernel _ZN7rocprim17ROCPRIM_400000_NS6detail17trampoline_kernelINS0_14default_configENS1_38merge_sort_block_merge_config_selectorIlNS0_10empty_typeEEEZZNS1_27merge_sort_block_merge_implIS3_PlPS5_mZN2at6native12_GLOBAL__N_124unique_dim_cuda_templateImEESt5tupleIJNSA_6TensorESF_SF_EERKSF_lbbbEUlllE_EE10hipError_tT0_T1_T2_jT3_P12ihipStream_tbPNSt15iterator_traitsISL_E10value_typeEPNSR_ISM_E10value_typeEPSN_NS1_7vsmem_tEENKUlT_SL_SM_SN_E_clIS8_S8_S9_S9_EESK_S10_SL_SM_SN_EUlS10_E0_NS1_11comp_targetILNS1_3genE5ELNS1_11target_archE942ELNS1_3gpuE9ELNS1_3repE0EEENS1_38merge_mergepath_config_static_selectorELNS0_4arch9wavefront6targetE1EEEvSM_
		.amdhsa_group_segment_fixed_size 8448
		.amdhsa_private_segment_fixed_size 0
		.amdhsa_kernarg_size 344
		.amdhsa_user_sgpr_count 2
		.amdhsa_user_sgpr_dispatch_ptr 0
		.amdhsa_user_sgpr_queue_ptr 0
		.amdhsa_user_sgpr_kernarg_segment_ptr 1
		.amdhsa_user_sgpr_dispatch_id 0
		.amdhsa_user_sgpr_kernarg_preload_length 0
		.amdhsa_user_sgpr_kernarg_preload_offset 0
		.amdhsa_user_sgpr_private_segment_size 0
		.amdhsa_uses_dynamic_stack 0
		.amdhsa_enable_private_segment 0
		.amdhsa_system_sgpr_workgroup_id_x 1
		.amdhsa_system_sgpr_workgroup_id_y 1
		.amdhsa_system_sgpr_workgroup_id_z 1
		.amdhsa_system_sgpr_workgroup_info 0
		.amdhsa_system_vgpr_workitem_id 0
		.amdhsa_next_free_vgpr 42
		.amdhsa_next_free_sgpr 54
		.amdhsa_accum_offset 44
		.amdhsa_reserve_vcc 1
		.amdhsa_float_round_mode_32 0
		.amdhsa_float_round_mode_16_64 0
		.amdhsa_float_denorm_mode_32 3
		.amdhsa_float_denorm_mode_16_64 3
		.amdhsa_dx10_clamp 1
		.amdhsa_ieee_mode 1
		.amdhsa_fp16_overflow 0
		.amdhsa_tg_split 0
		.amdhsa_exception_fp_ieee_invalid_op 0
		.amdhsa_exception_fp_denorm_src 0
		.amdhsa_exception_fp_ieee_div_zero 0
		.amdhsa_exception_fp_ieee_overflow 0
		.amdhsa_exception_fp_ieee_underflow 0
		.amdhsa_exception_fp_ieee_inexact 0
		.amdhsa_exception_int_div_zero 0
	.end_amdhsa_kernel
	.section	.text._ZN7rocprim17ROCPRIM_400000_NS6detail17trampoline_kernelINS0_14default_configENS1_38merge_sort_block_merge_config_selectorIlNS0_10empty_typeEEEZZNS1_27merge_sort_block_merge_implIS3_PlPS5_mZN2at6native12_GLOBAL__N_124unique_dim_cuda_templateImEESt5tupleIJNSA_6TensorESF_SF_EERKSF_lbbbEUlllE_EE10hipError_tT0_T1_T2_jT3_P12ihipStream_tbPNSt15iterator_traitsISL_E10value_typeEPNSR_ISM_E10value_typeEPSN_NS1_7vsmem_tEENKUlT_SL_SM_SN_E_clIS8_S8_S9_S9_EESK_S10_SL_SM_SN_EUlS10_E0_NS1_11comp_targetILNS1_3genE5ELNS1_11target_archE942ELNS1_3gpuE9ELNS1_3repE0EEENS1_38merge_mergepath_config_static_selectorELNS0_4arch9wavefront6targetE1EEEvSM_,"axG",@progbits,_ZN7rocprim17ROCPRIM_400000_NS6detail17trampoline_kernelINS0_14default_configENS1_38merge_sort_block_merge_config_selectorIlNS0_10empty_typeEEEZZNS1_27merge_sort_block_merge_implIS3_PlPS5_mZN2at6native12_GLOBAL__N_124unique_dim_cuda_templateImEESt5tupleIJNSA_6TensorESF_SF_EERKSF_lbbbEUlllE_EE10hipError_tT0_T1_T2_jT3_P12ihipStream_tbPNSt15iterator_traitsISL_E10value_typeEPNSR_ISM_E10value_typeEPSN_NS1_7vsmem_tEENKUlT_SL_SM_SN_E_clIS8_S8_S9_S9_EESK_S10_SL_SM_SN_EUlS10_E0_NS1_11comp_targetILNS1_3genE5ELNS1_11target_archE942ELNS1_3gpuE9ELNS1_3repE0EEENS1_38merge_mergepath_config_static_selectorELNS0_4arch9wavefront6targetE1EEEvSM_,comdat
.Lfunc_end1635:
	.size	_ZN7rocprim17ROCPRIM_400000_NS6detail17trampoline_kernelINS0_14default_configENS1_38merge_sort_block_merge_config_selectorIlNS0_10empty_typeEEEZZNS1_27merge_sort_block_merge_implIS3_PlPS5_mZN2at6native12_GLOBAL__N_124unique_dim_cuda_templateImEESt5tupleIJNSA_6TensorESF_SF_EERKSF_lbbbEUlllE_EE10hipError_tT0_T1_T2_jT3_P12ihipStream_tbPNSt15iterator_traitsISL_E10value_typeEPNSR_ISM_E10value_typeEPSN_NS1_7vsmem_tEENKUlT_SL_SM_SN_E_clIS8_S8_S9_S9_EESK_S10_SL_SM_SN_EUlS10_E0_NS1_11comp_targetILNS1_3genE5ELNS1_11target_archE942ELNS1_3gpuE9ELNS1_3repE0EEENS1_38merge_mergepath_config_static_selectorELNS0_4arch9wavefront6targetE1EEEvSM_, .Lfunc_end1635-_ZN7rocprim17ROCPRIM_400000_NS6detail17trampoline_kernelINS0_14default_configENS1_38merge_sort_block_merge_config_selectorIlNS0_10empty_typeEEEZZNS1_27merge_sort_block_merge_implIS3_PlPS5_mZN2at6native12_GLOBAL__N_124unique_dim_cuda_templateImEESt5tupleIJNSA_6TensorESF_SF_EERKSF_lbbbEUlllE_EE10hipError_tT0_T1_T2_jT3_P12ihipStream_tbPNSt15iterator_traitsISL_E10value_typeEPNSR_ISM_E10value_typeEPSN_NS1_7vsmem_tEENKUlT_SL_SM_SN_E_clIS8_S8_S9_S9_EESK_S10_SL_SM_SN_EUlS10_E0_NS1_11comp_targetILNS1_3genE5ELNS1_11target_archE942ELNS1_3gpuE9ELNS1_3repE0EEENS1_38merge_mergepath_config_static_selectorELNS0_4arch9wavefront6targetE1EEEvSM_
                                        ; -- End function
	.section	.AMDGPU.csdata,"",@progbits
; Kernel info:
; codeLenInByte = 6584
; NumSgprs: 60
; NumVgprs: 42
; NumAgprs: 0
; TotalNumVgprs: 42
; ScratchSize: 0
; MemoryBound: 0
; FloatMode: 240
; IeeeMode: 1
; LDSByteSize: 8448 bytes/workgroup (compile time only)
; SGPRBlocks: 7
; VGPRBlocks: 5
; NumSGPRsForWavesPerEU: 60
; NumVGPRsForWavesPerEU: 42
; AccumOffset: 44
; Occupancy: 4
; WaveLimiterHint : 1
; COMPUTE_PGM_RSRC2:SCRATCH_EN: 0
; COMPUTE_PGM_RSRC2:USER_SGPR: 2
; COMPUTE_PGM_RSRC2:TRAP_HANDLER: 0
; COMPUTE_PGM_RSRC2:TGID_X_EN: 1
; COMPUTE_PGM_RSRC2:TGID_Y_EN: 1
; COMPUTE_PGM_RSRC2:TGID_Z_EN: 1
; COMPUTE_PGM_RSRC2:TIDIG_COMP_CNT: 0
; COMPUTE_PGM_RSRC3_GFX90A:ACCUM_OFFSET: 10
; COMPUTE_PGM_RSRC3_GFX90A:TG_SPLIT: 0
	.section	.text._ZN7rocprim17ROCPRIM_400000_NS6detail17trampoline_kernelINS0_14default_configENS1_38merge_sort_block_merge_config_selectorIlNS0_10empty_typeEEEZZNS1_27merge_sort_block_merge_implIS3_PlPS5_mZN2at6native12_GLOBAL__N_124unique_dim_cuda_templateImEESt5tupleIJNSA_6TensorESF_SF_EERKSF_lbbbEUlllE_EE10hipError_tT0_T1_T2_jT3_P12ihipStream_tbPNSt15iterator_traitsISL_E10value_typeEPNSR_ISM_E10value_typeEPSN_NS1_7vsmem_tEENKUlT_SL_SM_SN_E_clIS8_S8_S9_S9_EESK_S10_SL_SM_SN_EUlS10_E0_NS1_11comp_targetILNS1_3genE4ELNS1_11target_archE910ELNS1_3gpuE8ELNS1_3repE0EEENS1_38merge_mergepath_config_static_selectorELNS0_4arch9wavefront6targetE1EEEvSM_,"axG",@progbits,_ZN7rocprim17ROCPRIM_400000_NS6detail17trampoline_kernelINS0_14default_configENS1_38merge_sort_block_merge_config_selectorIlNS0_10empty_typeEEEZZNS1_27merge_sort_block_merge_implIS3_PlPS5_mZN2at6native12_GLOBAL__N_124unique_dim_cuda_templateImEESt5tupleIJNSA_6TensorESF_SF_EERKSF_lbbbEUlllE_EE10hipError_tT0_T1_T2_jT3_P12ihipStream_tbPNSt15iterator_traitsISL_E10value_typeEPNSR_ISM_E10value_typeEPSN_NS1_7vsmem_tEENKUlT_SL_SM_SN_E_clIS8_S8_S9_S9_EESK_S10_SL_SM_SN_EUlS10_E0_NS1_11comp_targetILNS1_3genE4ELNS1_11target_archE910ELNS1_3gpuE8ELNS1_3repE0EEENS1_38merge_mergepath_config_static_selectorELNS0_4arch9wavefront6targetE1EEEvSM_,comdat
	.globl	_ZN7rocprim17ROCPRIM_400000_NS6detail17trampoline_kernelINS0_14default_configENS1_38merge_sort_block_merge_config_selectorIlNS0_10empty_typeEEEZZNS1_27merge_sort_block_merge_implIS3_PlPS5_mZN2at6native12_GLOBAL__N_124unique_dim_cuda_templateImEESt5tupleIJNSA_6TensorESF_SF_EERKSF_lbbbEUlllE_EE10hipError_tT0_T1_T2_jT3_P12ihipStream_tbPNSt15iterator_traitsISL_E10value_typeEPNSR_ISM_E10value_typeEPSN_NS1_7vsmem_tEENKUlT_SL_SM_SN_E_clIS8_S8_S9_S9_EESK_S10_SL_SM_SN_EUlS10_E0_NS1_11comp_targetILNS1_3genE4ELNS1_11target_archE910ELNS1_3gpuE8ELNS1_3repE0EEENS1_38merge_mergepath_config_static_selectorELNS0_4arch9wavefront6targetE1EEEvSM_ ; -- Begin function _ZN7rocprim17ROCPRIM_400000_NS6detail17trampoline_kernelINS0_14default_configENS1_38merge_sort_block_merge_config_selectorIlNS0_10empty_typeEEEZZNS1_27merge_sort_block_merge_implIS3_PlPS5_mZN2at6native12_GLOBAL__N_124unique_dim_cuda_templateImEESt5tupleIJNSA_6TensorESF_SF_EERKSF_lbbbEUlllE_EE10hipError_tT0_T1_T2_jT3_P12ihipStream_tbPNSt15iterator_traitsISL_E10value_typeEPNSR_ISM_E10value_typeEPSN_NS1_7vsmem_tEENKUlT_SL_SM_SN_E_clIS8_S8_S9_S9_EESK_S10_SL_SM_SN_EUlS10_E0_NS1_11comp_targetILNS1_3genE4ELNS1_11target_archE910ELNS1_3gpuE8ELNS1_3repE0EEENS1_38merge_mergepath_config_static_selectorELNS0_4arch9wavefront6targetE1EEEvSM_
	.p2align	8
	.type	_ZN7rocprim17ROCPRIM_400000_NS6detail17trampoline_kernelINS0_14default_configENS1_38merge_sort_block_merge_config_selectorIlNS0_10empty_typeEEEZZNS1_27merge_sort_block_merge_implIS3_PlPS5_mZN2at6native12_GLOBAL__N_124unique_dim_cuda_templateImEESt5tupleIJNSA_6TensorESF_SF_EERKSF_lbbbEUlllE_EE10hipError_tT0_T1_T2_jT3_P12ihipStream_tbPNSt15iterator_traitsISL_E10value_typeEPNSR_ISM_E10value_typeEPSN_NS1_7vsmem_tEENKUlT_SL_SM_SN_E_clIS8_S8_S9_S9_EESK_S10_SL_SM_SN_EUlS10_E0_NS1_11comp_targetILNS1_3genE4ELNS1_11target_archE910ELNS1_3gpuE8ELNS1_3repE0EEENS1_38merge_mergepath_config_static_selectorELNS0_4arch9wavefront6targetE1EEEvSM_,@function
_ZN7rocprim17ROCPRIM_400000_NS6detail17trampoline_kernelINS0_14default_configENS1_38merge_sort_block_merge_config_selectorIlNS0_10empty_typeEEEZZNS1_27merge_sort_block_merge_implIS3_PlPS5_mZN2at6native12_GLOBAL__N_124unique_dim_cuda_templateImEESt5tupleIJNSA_6TensorESF_SF_EERKSF_lbbbEUlllE_EE10hipError_tT0_T1_T2_jT3_P12ihipStream_tbPNSt15iterator_traitsISL_E10value_typeEPNSR_ISM_E10value_typeEPSN_NS1_7vsmem_tEENKUlT_SL_SM_SN_E_clIS8_S8_S9_S9_EESK_S10_SL_SM_SN_EUlS10_E0_NS1_11comp_targetILNS1_3genE4ELNS1_11target_archE910ELNS1_3gpuE8ELNS1_3repE0EEENS1_38merge_mergepath_config_static_selectorELNS0_4arch9wavefront6targetE1EEEvSM_: ; @_ZN7rocprim17ROCPRIM_400000_NS6detail17trampoline_kernelINS0_14default_configENS1_38merge_sort_block_merge_config_selectorIlNS0_10empty_typeEEEZZNS1_27merge_sort_block_merge_implIS3_PlPS5_mZN2at6native12_GLOBAL__N_124unique_dim_cuda_templateImEESt5tupleIJNSA_6TensorESF_SF_EERKSF_lbbbEUlllE_EE10hipError_tT0_T1_T2_jT3_P12ihipStream_tbPNSt15iterator_traitsISL_E10value_typeEPNSR_ISM_E10value_typeEPSN_NS1_7vsmem_tEENKUlT_SL_SM_SN_E_clIS8_S8_S9_S9_EESK_S10_SL_SM_SN_EUlS10_E0_NS1_11comp_targetILNS1_3genE4ELNS1_11target_archE910ELNS1_3gpuE8ELNS1_3repE0EEENS1_38merge_mergepath_config_static_selectorELNS0_4arch9wavefront6targetE1EEEvSM_
; %bb.0:
	.section	.rodata,"a",@progbits
	.p2align	6, 0x0
	.amdhsa_kernel _ZN7rocprim17ROCPRIM_400000_NS6detail17trampoline_kernelINS0_14default_configENS1_38merge_sort_block_merge_config_selectorIlNS0_10empty_typeEEEZZNS1_27merge_sort_block_merge_implIS3_PlPS5_mZN2at6native12_GLOBAL__N_124unique_dim_cuda_templateImEESt5tupleIJNSA_6TensorESF_SF_EERKSF_lbbbEUlllE_EE10hipError_tT0_T1_T2_jT3_P12ihipStream_tbPNSt15iterator_traitsISL_E10value_typeEPNSR_ISM_E10value_typeEPSN_NS1_7vsmem_tEENKUlT_SL_SM_SN_E_clIS8_S8_S9_S9_EESK_S10_SL_SM_SN_EUlS10_E0_NS1_11comp_targetILNS1_3genE4ELNS1_11target_archE910ELNS1_3gpuE8ELNS1_3repE0EEENS1_38merge_mergepath_config_static_selectorELNS0_4arch9wavefront6targetE1EEEvSM_
		.amdhsa_group_segment_fixed_size 0
		.amdhsa_private_segment_fixed_size 0
		.amdhsa_kernarg_size 88
		.amdhsa_user_sgpr_count 2
		.amdhsa_user_sgpr_dispatch_ptr 0
		.amdhsa_user_sgpr_queue_ptr 0
		.amdhsa_user_sgpr_kernarg_segment_ptr 1
		.amdhsa_user_sgpr_dispatch_id 0
		.amdhsa_user_sgpr_kernarg_preload_length 0
		.amdhsa_user_sgpr_kernarg_preload_offset 0
		.amdhsa_user_sgpr_private_segment_size 0
		.amdhsa_uses_dynamic_stack 0
		.amdhsa_enable_private_segment 0
		.amdhsa_system_sgpr_workgroup_id_x 1
		.amdhsa_system_sgpr_workgroup_id_y 0
		.amdhsa_system_sgpr_workgroup_id_z 0
		.amdhsa_system_sgpr_workgroup_info 0
		.amdhsa_system_vgpr_workitem_id 0
		.amdhsa_next_free_vgpr 1
		.amdhsa_next_free_sgpr 0
		.amdhsa_accum_offset 4
		.amdhsa_reserve_vcc 0
		.amdhsa_float_round_mode_32 0
		.amdhsa_float_round_mode_16_64 0
		.amdhsa_float_denorm_mode_32 3
		.amdhsa_float_denorm_mode_16_64 3
		.amdhsa_dx10_clamp 1
		.amdhsa_ieee_mode 1
		.amdhsa_fp16_overflow 0
		.amdhsa_tg_split 0
		.amdhsa_exception_fp_ieee_invalid_op 0
		.amdhsa_exception_fp_denorm_src 0
		.amdhsa_exception_fp_ieee_div_zero 0
		.amdhsa_exception_fp_ieee_overflow 0
		.amdhsa_exception_fp_ieee_underflow 0
		.amdhsa_exception_fp_ieee_inexact 0
		.amdhsa_exception_int_div_zero 0
	.end_amdhsa_kernel
	.section	.text._ZN7rocprim17ROCPRIM_400000_NS6detail17trampoline_kernelINS0_14default_configENS1_38merge_sort_block_merge_config_selectorIlNS0_10empty_typeEEEZZNS1_27merge_sort_block_merge_implIS3_PlPS5_mZN2at6native12_GLOBAL__N_124unique_dim_cuda_templateImEESt5tupleIJNSA_6TensorESF_SF_EERKSF_lbbbEUlllE_EE10hipError_tT0_T1_T2_jT3_P12ihipStream_tbPNSt15iterator_traitsISL_E10value_typeEPNSR_ISM_E10value_typeEPSN_NS1_7vsmem_tEENKUlT_SL_SM_SN_E_clIS8_S8_S9_S9_EESK_S10_SL_SM_SN_EUlS10_E0_NS1_11comp_targetILNS1_3genE4ELNS1_11target_archE910ELNS1_3gpuE8ELNS1_3repE0EEENS1_38merge_mergepath_config_static_selectorELNS0_4arch9wavefront6targetE1EEEvSM_,"axG",@progbits,_ZN7rocprim17ROCPRIM_400000_NS6detail17trampoline_kernelINS0_14default_configENS1_38merge_sort_block_merge_config_selectorIlNS0_10empty_typeEEEZZNS1_27merge_sort_block_merge_implIS3_PlPS5_mZN2at6native12_GLOBAL__N_124unique_dim_cuda_templateImEESt5tupleIJNSA_6TensorESF_SF_EERKSF_lbbbEUlllE_EE10hipError_tT0_T1_T2_jT3_P12ihipStream_tbPNSt15iterator_traitsISL_E10value_typeEPNSR_ISM_E10value_typeEPSN_NS1_7vsmem_tEENKUlT_SL_SM_SN_E_clIS8_S8_S9_S9_EESK_S10_SL_SM_SN_EUlS10_E0_NS1_11comp_targetILNS1_3genE4ELNS1_11target_archE910ELNS1_3gpuE8ELNS1_3repE0EEENS1_38merge_mergepath_config_static_selectorELNS0_4arch9wavefront6targetE1EEEvSM_,comdat
.Lfunc_end1636:
	.size	_ZN7rocprim17ROCPRIM_400000_NS6detail17trampoline_kernelINS0_14default_configENS1_38merge_sort_block_merge_config_selectorIlNS0_10empty_typeEEEZZNS1_27merge_sort_block_merge_implIS3_PlPS5_mZN2at6native12_GLOBAL__N_124unique_dim_cuda_templateImEESt5tupleIJNSA_6TensorESF_SF_EERKSF_lbbbEUlllE_EE10hipError_tT0_T1_T2_jT3_P12ihipStream_tbPNSt15iterator_traitsISL_E10value_typeEPNSR_ISM_E10value_typeEPSN_NS1_7vsmem_tEENKUlT_SL_SM_SN_E_clIS8_S8_S9_S9_EESK_S10_SL_SM_SN_EUlS10_E0_NS1_11comp_targetILNS1_3genE4ELNS1_11target_archE910ELNS1_3gpuE8ELNS1_3repE0EEENS1_38merge_mergepath_config_static_selectorELNS0_4arch9wavefront6targetE1EEEvSM_, .Lfunc_end1636-_ZN7rocprim17ROCPRIM_400000_NS6detail17trampoline_kernelINS0_14default_configENS1_38merge_sort_block_merge_config_selectorIlNS0_10empty_typeEEEZZNS1_27merge_sort_block_merge_implIS3_PlPS5_mZN2at6native12_GLOBAL__N_124unique_dim_cuda_templateImEESt5tupleIJNSA_6TensorESF_SF_EERKSF_lbbbEUlllE_EE10hipError_tT0_T1_T2_jT3_P12ihipStream_tbPNSt15iterator_traitsISL_E10value_typeEPNSR_ISM_E10value_typeEPSN_NS1_7vsmem_tEENKUlT_SL_SM_SN_E_clIS8_S8_S9_S9_EESK_S10_SL_SM_SN_EUlS10_E0_NS1_11comp_targetILNS1_3genE4ELNS1_11target_archE910ELNS1_3gpuE8ELNS1_3repE0EEENS1_38merge_mergepath_config_static_selectorELNS0_4arch9wavefront6targetE1EEEvSM_
                                        ; -- End function
	.section	.AMDGPU.csdata,"",@progbits
; Kernel info:
; codeLenInByte = 0
; NumSgprs: 6
; NumVgprs: 0
; NumAgprs: 0
; TotalNumVgprs: 0
; ScratchSize: 0
; MemoryBound: 0
; FloatMode: 240
; IeeeMode: 1
; LDSByteSize: 0 bytes/workgroup (compile time only)
; SGPRBlocks: 0
; VGPRBlocks: 0
; NumSGPRsForWavesPerEU: 6
; NumVGPRsForWavesPerEU: 1
; AccumOffset: 4
; Occupancy: 8
; WaveLimiterHint : 0
; COMPUTE_PGM_RSRC2:SCRATCH_EN: 0
; COMPUTE_PGM_RSRC2:USER_SGPR: 2
; COMPUTE_PGM_RSRC2:TRAP_HANDLER: 0
; COMPUTE_PGM_RSRC2:TGID_X_EN: 1
; COMPUTE_PGM_RSRC2:TGID_Y_EN: 0
; COMPUTE_PGM_RSRC2:TGID_Z_EN: 0
; COMPUTE_PGM_RSRC2:TIDIG_COMP_CNT: 0
; COMPUTE_PGM_RSRC3_GFX90A:ACCUM_OFFSET: 0
; COMPUTE_PGM_RSRC3_GFX90A:TG_SPLIT: 0
	.section	.text._ZN7rocprim17ROCPRIM_400000_NS6detail17trampoline_kernelINS0_14default_configENS1_38merge_sort_block_merge_config_selectorIlNS0_10empty_typeEEEZZNS1_27merge_sort_block_merge_implIS3_PlPS5_mZN2at6native12_GLOBAL__N_124unique_dim_cuda_templateImEESt5tupleIJNSA_6TensorESF_SF_EERKSF_lbbbEUlllE_EE10hipError_tT0_T1_T2_jT3_P12ihipStream_tbPNSt15iterator_traitsISL_E10value_typeEPNSR_ISM_E10value_typeEPSN_NS1_7vsmem_tEENKUlT_SL_SM_SN_E_clIS8_S8_S9_S9_EESK_S10_SL_SM_SN_EUlS10_E0_NS1_11comp_targetILNS1_3genE3ELNS1_11target_archE908ELNS1_3gpuE7ELNS1_3repE0EEENS1_38merge_mergepath_config_static_selectorELNS0_4arch9wavefront6targetE1EEEvSM_,"axG",@progbits,_ZN7rocprim17ROCPRIM_400000_NS6detail17trampoline_kernelINS0_14default_configENS1_38merge_sort_block_merge_config_selectorIlNS0_10empty_typeEEEZZNS1_27merge_sort_block_merge_implIS3_PlPS5_mZN2at6native12_GLOBAL__N_124unique_dim_cuda_templateImEESt5tupleIJNSA_6TensorESF_SF_EERKSF_lbbbEUlllE_EE10hipError_tT0_T1_T2_jT3_P12ihipStream_tbPNSt15iterator_traitsISL_E10value_typeEPNSR_ISM_E10value_typeEPSN_NS1_7vsmem_tEENKUlT_SL_SM_SN_E_clIS8_S8_S9_S9_EESK_S10_SL_SM_SN_EUlS10_E0_NS1_11comp_targetILNS1_3genE3ELNS1_11target_archE908ELNS1_3gpuE7ELNS1_3repE0EEENS1_38merge_mergepath_config_static_selectorELNS0_4arch9wavefront6targetE1EEEvSM_,comdat
	.globl	_ZN7rocprim17ROCPRIM_400000_NS6detail17trampoline_kernelINS0_14default_configENS1_38merge_sort_block_merge_config_selectorIlNS0_10empty_typeEEEZZNS1_27merge_sort_block_merge_implIS3_PlPS5_mZN2at6native12_GLOBAL__N_124unique_dim_cuda_templateImEESt5tupleIJNSA_6TensorESF_SF_EERKSF_lbbbEUlllE_EE10hipError_tT0_T1_T2_jT3_P12ihipStream_tbPNSt15iterator_traitsISL_E10value_typeEPNSR_ISM_E10value_typeEPSN_NS1_7vsmem_tEENKUlT_SL_SM_SN_E_clIS8_S8_S9_S9_EESK_S10_SL_SM_SN_EUlS10_E0_NS1_11comp_targetILNS1_3genE3ELNS1_11target_archE908ELNS1_3gpuE7ELNS1_3repE0EEENS1_38merge_mergepath_config_static_selectorELNS0_4arch9wavefront6targetE1EEEvSM_ ; -- Begin function _ZN7rocprim17ROCPRIM_400000_NS6detail17trampoline_kernelINS0_14default_configENS1_38merge_sort_block_merge_config_selectorIlNS0_10empty_typeEEEZZNS1_27merge_sort_block_merge_implIS3_PlPS5_mZN2at6native12_GLOBAL__N_124unique_dim_cuda_templateImEESt5tupleIJNSA_6TensorESF_SF_EERKSF_lbbbEUlllE_EE10hipError_tT0_T1_T2_jT3_P12ihipStream_tbPNSt15iterator_traitsISL_E10value_typeEPNSR_ISM_E10value_typeEPSN_NS1_7vsmem_tEENKUlT_SL_SM_SN_E_clIS8_S8_S9_S9_EESK_S10_SL_SM_SN_EUlS10_E0_NS1_11comp_targetILNS1_3genE3ELNS1_11target_archE908ELNS1_3gpuE7ELNS1_3repE0EEENS1_38merge_mergepath_config_static_selectorELNS0_4arch9wavefront6targetE1EEEvSM_
	.p2align	8
	.type	_ZN7rocprim17ROCPRIM_400000_NS6detail17trampoline_kernelINS0_14default_configENS1_38merge_sort_block_merge_config_selectorIlNS0_10empty_typeEEEZZNS1_27merge_sort_block_merge_implIS3_PlPS5_mZN2at6native12_GLOBAL__N_124unique_dim_cuda_templateImEESt5tupleIJNSA_6TensorESF_SF_EERKSF_lbbbEUlllE_EE10hipError_tT0_T1_T2_jT3_P12ihipStream_tbPNSt15iterator_traitsISL_E10value_typeEPNSR_ISM_E10value_typeEPSN_NS1_7vsmem_tEENKUlT_SL_SM_SN_E_clIS8_S8_S9_S9_EESK_S10_SL_SM_SN_EUlS10_E0_NS1_11comp_targetILNS1_3genE3ELNS1_11target_archE908ELNS1_3gpuE7ELNS1_3repE0EEENS1_38merge_mergepath_config_static_selectorELNS0_4arch9wavefront6targetE1EEEvSM_,@function
_ZN7rocprim17ROCPRIM_400000_NS6detail17trampoline_kernelINS0_14default_configENS1_38merge_sort_block_merge_config_selectorIlNS0_10empty_typeEEEZZNS1_27merge_sort_block_merge_implIS3_PlPS5_mZN2at6native12_GLOBAL__N_124unique_dim_cuda_templateImEESt5tupleIJNSA_6TensorESF_SF_EERKSF_lbbbEUlllE_EE10hipError_tT0_T1_T2_jT3_P12ihipStream_tbPNSt15iterator_traitsISL_E10value_typeEPNSR_ISM_E10value_typeEPSN_NS1_7vsmem_tEENKUlT_SL_SM_SN_E_clIS8_S8_S9_S9_EESK_S10_SL_SM_SN_EUlS10_E0_NS1_11comp_targetILNS1_3genE3ELNS1_11target_archE908ELNS1_3gpuE7ELNS1_3repE0EEENS1_38merge_mergepath_config_static_selectorELNS0_4arch9wavefront6targetE1EEEvSM_: ; @_ZN7rocprim17ROCPRIM_400000_NS6detail17trampoline_kernelINS0_14default_configENS1_38merge_sort_block_merge_config_selectorIlNS0_10empty_typeEEEZZNS1_27merge_sort_block_merge_implIS3_PlPS5_mZN2at6native12_GLOBAL__N_124unique_dim_cuda_templateImEESt5tupleIJNSA_6TensorESF_SF_EERKSF_lbbbEUlllE_EE10hipError_tT0_T1_T2_jT3_P12ihipStream_tbPNSt15iterator_traitsISL_E10value_typeEPNSR_ISM_E10value_typeEPSN_NS1_7vsmem_tEENKUlT_SL_SM_SN_E_clIS8_S8_S9_S9_EESK_S10_SL_SM_SN_EUlS10_E0_NS1_11comp_targetILNS1_3genE3ELNS1_11target_archE908ELNS1_3gpuE7ELNS1_3repE0EEENS1_38merge_mergepath_config_static_selectorELNS0_4arch9wavefront6targetE1EEEvSM_
; %bb.0:
	.section	.rodata,"a",@progbits
	.p2align	6, 0x0
	.amdhsa_kernel _ZN7rocprim17ROCPRIM_400000_NS6detail17trampoline_kernelINS0_14default_configENS1_38merge_sort_block_merge_config_selectorIlNS0_10empty_typeEEEZZNS1_27merge_sort_block_merge_implIS3_PlPS5_mZN2at6native12_GLOBAL__N_124unique_dim_cuda_templateImEESt5tupleIJNSA_6TensorESF_SF_EERKSF_lbbbEUlllE_EE10hipError_tT0_T1_T2_jT3_P12ihipStream_tbPNSt15iterator_traitsISL_E10value_typeEPNSR_ISM_E10value_typeEPSN_NS1_7vsmem_tEENKUlT_SL_SM_SN_E_clIS8_S8_S9_S9_EESK_S10_SL_SM_SN_EUlS10_E0_NS1_11comp_targetILNS1_3genE3ELNS1_11target_archE908ELNS1_3gpuE7ELNS1_3repE0EEENS1_38merge_mergepath_config_static_selectorELNS0_4arch9wavefront6targetE1EEEvSM_
		.amdhsa_group_segment_fixed_size 0
		.amdhsa_private_segment_fixed_size 0
		.amdhsa_kernarg_size 88
		.amdhsa_user_sgpr_count 2
		.amdhsa_user_sgpr_dispatch_ptr 0
		.amdhsa_user_sgpr_queue_ptr 0
		.amdhsa_user_sgpr_kernarg_segment_ptr 1
		.amdhsa_user_sgpr_dispatch_id 0
		.amdhsa_user_sgpr_kernarg_preload_length 0
		.amdhsa_user_sgpr_kernarg_preload_offset 0
		.amdhsa_user_sgpr_private_segment_size 0
		.amdhsa_uses_dynamic_stack 0
		.amdhsa_enable_private_segment 0
		.amdhsa_system_sgpr_workgroup_id_x 1
		.amdhsa_system_sgpr_workgroup_id_y 0
		.amdhsa_system_sgpr_workgroup_id_z 0
		.amdhsa_system_sgpr_workgroup_info 0
		.amdhsa_system_vgpr_workitem_id 0
		.amdhsa_next_free_vgpr 1
		.amdhsa_next_free_sgpr 0
		.amdhsa_accum_offset 4
		.amdhsa_reserve_vcc 0
		.amdhsa_float_round_mode_32 0
		.amdhsa_float_round_mode_16_64 0
		.amdhsa_float_denorm_mode_32 3
		.amdhsa_float_denorm_mode_16_64 3
		.amdhsa_dx10_clamp 1
		.amdhsa_ieee_mode 1
		.amdhsa_fp16_overflow 0
		.amdhsa_tg_split 0
		.amdhsa_exception_fp_ieee_invalid_op 0
		.amdhsa_exception_fp_denorm_src 0
		.amdhsa_exception_fp_ieee_div_zero 0
		.amdhsa_exception_fp_ieee_overflow 0
		.amdhsa_exception_fp_ieee_underflow 0
		.amdhsa_exception_fp_ieee_inexact 0
		.amdhsa_exception_int_div_zero 0
	.end_amdhsa_kernel
	.section	.text._ZN7rocprim17ROCPRIM_400000_NS6detail17trampoline_kernelINS0_14default_configENS1_38merge_sort_block_merge_config_selectorIlNS0_10empty_typeEEEZZNS1_27merge_sort_block_merge_implIS3_PlPS5_mZN2at6native12_GLOBAL__N_124unique_dim_cuda_templateImEESt5tupleIJNSA_6TensorESF_SF_EERKSF_lbbbEUlllE_EE10hipError_tT0_T1_T2_jT3_P12ihipStream_tbPNSt15iterator_traitsISL_E10value_typeEPNSR_ISM_E10value_typeEPSN_NS1_7vsmem_tEENKUlT_SL_SM_SN_E_clIS8_S8_S9_S9_EESK_S10_SL_SM_SN_EUlS10_E0_NS1_11comp_targetILNS1_3genE3ELNS1_11target_archE908ELNS1_3gpuE7ELNS1_3repE0EEENS1_38merge_mergepath_config_static_selectorELNS0_4arch9wavefront6targetE1EEEvSM_,"axG",@progbits,_ZN7rocprim17ROCPRIM_400000_NS6detail17trampoline_kernelINS0_14default_configENS1_38merge_sort_block_merge_config_selectorIlNS0_10empty_typeEEEZZNS1_27merge_sort_block_merge_implIS3_PlPS5_mZN2at6native12_GLOBAL__N_124unique_dim_cuda_templateImEESt5tupleIJNSA_6TensorESF_SF_EERKSF_lbbbEUlllE_EE10hipError_tT0_T1_T2_jT3_P12ihipStream_tbPNSt15iterator_traitsISL_E10value_typeEPNSR_ISM_E10value_typeEPSN_NS1_7vsmem_tEENKUlT_SL_SM_SN_E_clIS8_S8_S9_S9_EESK_S10_SL_SM_SN_EUlS10_E0_NS1_11comp_targetILNS1_3genE3ELNS1_11target_archE908ELNS1_3gpuE7ELNS1_3repE0EEENS1_38merge_mergepath_config_static_selectorELNS0_4arch9wavefront6targetE1EEEvSM_,comdat
.Lfunc_end1637:
	.size	_ZN7rocprim17ROCPRIM_400000_NS6detail17trampoline_kernelINS0_14default_configENS1_38merge_sort_block_merge_config_selectorIlNS0_10empty_typeEEEZZNS1_27merge_sort_block_merge_implIS3_PlPS5_mZN2at6native12_GLOBAL__N_124unique_dim_cuda_templateImEESt5tupleIJNSA_6TensorESF_SF_EERKSF_lbbbEUlllE_EE10hipError_tT0_T1_T2_jT3_P12ihipStream_tbPNSt15iterator_traitsISL_E10value_typeEPNSR_ISM_E10value_typeEPSN_NS1_7vsmem_tEENKUlT_SL_SM_SN_E_clIS8_S8_S9_S9_EESK_S10_SL_SM_SN_EUlS10_E0_NS1_11comp_targetILNS1_3genE3ELNS1_11target_archE908ELNS1_3gpuE7ELNS1_3repE0EEENS1_38merge_mergepath_config_static_selectorELNS0_4arch9wavefront6targetE1EEEvSM_, .Lfunc_end1637-_ZN7rocprim17ROCPRIM_400000_NS6detail17trampoline_kernelINS0_14default_configENS1_38merge_sort_block_merge_config_selectorIlNS0_10empty_typeEEEZZNS1_27merge_sort_block_merge_implIS3_PlPS5_mZN2at6native12_GLOBAL__N_124unique_dim_cuda_templateImEESt5tupleIJNSA_6TensorESF_SF_EERKSF_lbbbEUlllE_EE10hipError_tT0_T1_T2_jT3_P12ihipStream_tbPNSt15iterator_traitsISL_E10value_typeEPNSR_ISM_E10value_typeEPSN_NS1_7vsmem_tEENKUlT_SL_SM_SN_E_clIS8_S8_S9_S9_EESK_S10_SL_SM_SN_EUlS10_E0_NS1_11comp_targetILNS1_3genE3ELNS1_11target_archE908ELNS1_3gpuE7ELNS1_3repE0EEENS1_38merge_mergepath_config_static_selectorELNS0_4arch9wavefront6targetE1EEEvSM_
                                        ; -- End function
	.section	.AMDGPU.csdata,"",@progbits
; Kernel info:
; codeLenInByte = 0
; NumSgprs: 6
; NumVgprs: 0
; NumAgprs: 0
; TotalNumVgprs: 0
; ScratchSize: 0
; MemoryBound: 0
; FloatMode: 240
; IeeeMode: 1
; LDSByteSize: 0 bytes/workgroup (compile time only)
; SGPRBlocks: 0
; VGPRBlocks: 0
; NumSGPRsForWavesPerEU: 6
; NumVGPRsForWavesPerEU: 1
; AccumOffset: 4
; Occupancy: 8
; WaveLimiterHint : 0
; COMPUTE_PGM_RSRC2:SCRATCH_EN: 0
; COMPUTE_PGM_RSRC2:USER_SGPR: 2
; COMPUTE_PGM_RSRC2:TRAP_HANDLER: 0
; COMPUTE_PGM_RSRC2:TGID_X_EN: 1
; COMPUTE_PGM_RSRC2:TGID_Y_EN: 0
; COMPUTE_PGM_RSRC2:TGID_Z_EN: 0
; COMPUTE_PGM_RSRC2:TIDIG_COMP_CNT: 0
; COMPUTE_PGM_RSRC3_GFX90A:ACCUM_OFFSET: 0
; COMPUTE_PGM_RSRC3_GFX90A:TG_SPLIT: 0
	.section	.text._ZN7rocprim17ROCPRIM_400000_NS6detail17trampoline_kernelINS0_14default_configENS1_38merge_sort_block_merge_config_selectorIlNS0_10empty_typeEEEZZNS1_27merge_sort_block_merge_implIS3_PlPS5_mZN2at6native12_GLOBAL__N_124unique_dim_cuda_templateImEESt5tupleIJNSA_6TensorESF_SF_EERKSF_lbbbEUlllE_EE10hipError_tT0_T1_T2_jT3_P12ihipStream_tbPNSt15iterator_traitsISL_E10value_typeEPNSR_ISM_E10value_typeEPSN_NS1_7vsmem_tEENKUlT_SL_SM_SN_E_clIS8_S8_S9_S9_EESK_S10_SL_SM_SN_EUlS10_E0_NS1_11comp_targetILNS1_3genE2ELNS1_11target_archE906ELNS1_3gpuE6ELNS1_3repE0EEENS1_38merge_mergepath_config_static_selectorELNS0_4arch9wavefront6targetE1EEEvSM_,"axG",@progbits,_ZN7rocprim17ROCPRIM_400000_NS6detail17trampoline_kernelINS0_14default_configENS1_38merge_sort_block_merge_config_selectorIlNS0_10empty_typeEEEZZNS1_27merge_sort_block_merge_implIS3_PlPS5_mZN2at6native12_GLOBAL__N_124unique_dim_cuda_templateImEESt5tupleIJNSA_6TensorESF_SF_EERKSF_lbbbEUlllE_EE10hipError_tT0_T1_T2_jT3_P12ihipStream_tbPNSt15iterator_traitsISL_E10value_typeEPNSR_ISM_E10value_typeEPSN_NS1_7vsmem_tEENKUlT_SL_SM_SN_E_clIS8_S8_S9_S9_EESK_S10_SL_SM_SN_EUlS10_E0_NS1_11comp_targetILNS1_3genE2ELNS1_11target_archE906ELNS1_3gpuE6ELNS1_3repE0EEENS1_38merge_mergepath_config_static_selectorELNS0_4arch9wavefront6targetE1EEEvSM_,comdat
	.globl	_ZN7rocprim17ROCPRIM_400000_NS6detail17trampoline_kernelINS0_14default_configENS1_38merge_sort_block_merge_config_selectorIlNS0_10empty_typeEEEZZNS1_27merge_sort_block_merge_implIS3_PlPS5_mZN2at6native12_GLOBAL__N_124unique_dim_cuda_templateImEESt5tupleIJNSA_6TensorESF_SF_EERKSF_lbbbEUlllE_EE10hipError_tT0_T1_T2_jT3_P12ihipStream_tbPNSt15iterator_traitsISL_E10value_typeEPNSR_ISM_E10value_typeEPSN_NS1_7vsmem_tEENKUlT_SL_SM_SN_E_clIS8_S8_S9_S9_EESK_S10_SL_SM_SN_EUlS10_E0_NS1_11comp_targetILNS1_3genE2ELNS1_11target_archE906ELNS1_3gpuE6ELNS1_3repE0EEENS1_38merge_mergepath_config_static_selectorELNS0_4arch9wavefront6targetE1EEEvSM_ ; -- Begin function _ZN7rocprim17ROCPRIM_400000_NS6detail17trampoline_kernelINS0_14default_configENS1_38merge_sort_block_merge_config_selectorIlNS0_10empty_typeEEEZZNS1_27merge_sort_block_merge_implIS3_PlPS5_mZN2at6native12_GLOBAL__N_124unique_dim_cuda_templateImEESt5tupleIJNSA_6TensorESF_SF_EERKSF_lbbbEUlllE_EE10hipError_tT0_T1_T2_jT3_P12ihipStream_tbPNSt15iterator_traitsISL_E10value_typeEPNSR_ISM_E10value_typeEPSN_NS1_7vsmem_tEENKUlT_SL_SM_SN_E_clIS8_S8_S9_S9_EESK_S10_SL_SM_SN_EUlS10_E0_NS1_11comp_targetILNS1_3genE2ELNS1_11target_archE906ELNS1_3gpuE6ELNS1_3repE0EEENS1_38merge_mergepath_config_static_selectorELNS0_4arch9wavefront6targetE1EEEvSM_
	.p2align	8
	.type	_ZN7rocprim17ROCPRIM_400000_NS6detail17trampoline_kernelINS0_14default_configENS1_38merge_sort_block_merge_config_selectorIlNS0_10empty_typeEEEZZNS1_27merge_sort_block_merge_implIS3_PlPS5_mZN2at6native12_GLOBAL__N_124unique_dim_cuda_templateImEESt5tupleIJNSA_6TensorESF_SF_EERKSF_lbbbEUlllE_EE10hipError_tT0_T1_T2_jT3_P12ihipStream_tbPNSt15iterator_traitsISL_E10value_typeEPNSR_ISM_E10value_typeEPSN_NS1_7vsmem_tEENKUlT_SL_SM_SN_E_clIS8_S8_S9_S9_EESK_S10_SL_SM_SN_EUlS10_E0_NS1_11comp_targetILNS1_3genE2ELNS1_11target_archE906ELNS1_3gpuE6ELNS1_3repE0EEENS1_38merge_mergepath_config_static_selectorELNS0_4arch9wavefront6targetE1EEEvSM_,@function
_ZN7rocprim17ROCPRIM_400000_NS6detail17trampoline_kernelINS0_14default_configENS1_38merge_sort_block_merge_config_selectorIlNS0_10empty_typeEEEZZNS1_27merge_sort_block_merge_implIS3_PlPS5_mZN2at6native12_GLOBAL__N_124unique_dim_cuda_templateImEESt5tupleIJNSA_6TensorESF_SF_EERKSF_lbbbEUlllE_EE10hipError_tT0_T1_T2_jT3_P12ihipStream_tbPNSt15iterator_traitsISL_E10value_typeEPNSR_ISM_E10value_typeEPSN_NS1_7vsmem_tEENKUlT_SL_SM_SN_E_clIS8_S8_S9_S9_EESK_S10_SL_SM_SN_EUlS10_E0_NS1_11comp_targetILNS1_3genE2ELNS1_11target_archE906ELNS1_3gpuE6ELNS1_3repE0EEENS1_38merge_mergepath_config_static_selectorELNS0_4arch9wavefront6targetE1EEEvSM_: ; @_ZN7rocprim17ROCPRIM_400000_NS6detail17trampoline_kernelINS0_14default_configENS1_38merge_sort_block_merge_config_selectorIlNS0_10empty_typeEEEZZNS1_27merge_sort_block_merge_implIS3_PlPS5_mZN2at6native12_GLOBAL__N_124unique_dim_cuda_templateImEESt5tupleIJNSA_6TensorESF_SF_EERKSF_lbbbEUlllE_EE10hipError_tT0_T1_T2_jT3_P12ihipStream_tbPNSt15iterator_traitsISL_E10value_typeEPNSR_ISM_E10value_typeEPSN_NS1_7vsmem_tEENKUlT_SL_SM_SN_E_clIS8_S8_S9_S9_EESK_S10_SL_SM_SN_EUlS10_E0_NS1_11comp_targetILNS1_3genE2ELNS1_11target_archE906ELNS1_3gpuE6ELNS1_3repE0EEENS1_38merge_mergepath_config_static_selectorELNS0_4arch9wavefront6targetE1EEEvSM_
; %bb.0:
	.section	.rodata,"a",@progbits
	.p2align	6, 0x0
	.amdhsa_kernel _ZN7rocprim17ROCPRIM_400000_NS6detail17trampoline_kernelINS0_14default_configENS1_38merge_sort_block_merge_config_selectorIlNS0_10empty_typeEEEZZNS1_27merge_sort_block_merge_implIS3_PlPS5_mZN2at6native12_GLOBAL__N_124unique_dim_cuda_templateImEESt5tupleIJNSA_6TensorESF_SF_EERKSF_lbbbEUlllE_EE10hipError_tT0_T1_T2_jT3_P12ihipStream_tbPNSt15iterator_traitsISL_E10value_typeEPNSR_ISM_E10value_typeEPSN_NS1_7vsmem_tEENKUlT_SL_SM_SN_E_clIS8_S8_S9_S9_EESK_S10_SL_SM_SN_EUlS10_E0_NS1_11comp_targetILNS1_3genE2ELNS1_11target_archE906ELNS1_3gpuE6ELNS1_3repE0EEENS1_38merge_mergepath_config_static_selectorELNS0_4arch9wavefront6targetE1EEEvSM_
		.amdhsa_group_segment_fixed_size 0
		.amdhsa_private_segment_fixed_size 0
		.amdhsa_kernarg_size 88
		.amdhsa_user_sgpr_count 2
		.amdhsa_user_sgpr_dispatch_ptr 0
		.amdhsa_user_sgpr_queue_ptr 0
		.amdhsa_user_sgpr_kernarg_segment_ptr 1
		.amdhsa_user_sgpr_dispatch_id 0
		.amdhsa_user_sgpr_kernarg_preload_length 0
		.amdhsa_user_sgpr_kernarg_preload_offset 0
		.amdhsa_user_sgpr_private_segment_size 0
		.amdhsa_uses_dynamic_stack 0
		.amdhsa_enable_private_segment 0
		.amdhsa_system_sgpr_workgroup_id_x 1
		.amdhsa_system_sgpr_workgroup_id_y 0
		.amdhsa_system_sgpr_workgroup_id_z 0
		.amdhsa_system_sgpr_workgroup_info 0
		.amdhsa_system_vgpr_workitem_id 0
		.amdhsa_next_free_vgpr 1
		.amdhsa_next_free_sgpr 0
		.amdhsa_accum_offset 4
		.amdhsa_reserve_vcc 0
		.amdhsa_float_round_mode_32 0
		.amdhsa_float_round_mode_16_64 0
		.amdhsa_float_denorm_mode_32 3
		.amdhsa_float_denorm_mode_16_64 3
		.amdhsa_dx10_clamp 1
		.amdhsa_ieee_mode 1
		.amdhsa_fp16_overflow 0
		.amdhsa_tg_split 0
		.amdhsa_exception_fp_ieee_invalid_op 0
		.amdhsa_exception_fp_denorm_src 0
		.amdhsa_exception_fp_ieee_div_zero 0
		.amdhsa_exception_fp_ieee_overflow 0
		.amdhsa_exception_fp_ieee_underflow 0
		.amdhsa_exception_fp_ieee_inexact 0
		.amdhsa_exception_int_div_zero 0
	.end_amdhsa_kernel
	.section	.text._ZN7rocprim17ROCPRIM_400000_NS6detail17trampoline_kernelINS0_14default_configENS1_38merge_sort_block_merge_config_selectorIlNS0_10empty_typeEEEZZNS1_27merge_sort_block_merge_implIS3_PlPS5_mZN2at6native12_GLOBAL__N_124unique_dim_cuda_templateImEESt5tupleIJNSA_6TensorESF_SF_EERKSF_lbbbEUlllE_EE10hipError_tT0_T1_T2_jT3_P12ihipStream_tbPNSt15iterator_traitsISL_E10value_typeEPNSR_ISM_E10value_typeEPSN_NS1_7vsmem_tEENKUlT_SL_SM_SN_E_clIS8_S8_S9_S9_EESK_S10_SL_SM_SN_EUlS10_E0_NS1_11comp_targetILNS1_3genE2ELNS1_11target_archE906ELNS1_3gpuE6ELNS1_3repE0EEENS1_38merge_mergepath_config_static_selectorELNS0_4arch9wavefront6targetE1EEEvSM_,"axG",@progbits,_ZN7rocprim17ROCPRIM_400000_NS6detail17trampoline_kernelINS0_14default_configENS1_38merge_sort_block_merge_config_selectorIlNS0_10empty_typeEEEZZNS1_27merge_sort_block_merge_implIS3_PlPS5_mZN2at6native12_GLOBAL__N_124unique_dim_cuda_templateImEESt5tupleIJNSA_6TensorESF_SF_EERKSF_lbbbEUlllE_EE10hipError_tT0_T1_T2_jT3_P12ihipStream_tbPNSt15iterator_traitsISL_E10value_typeEPNSR_ISM_E10value_typeEPSN_NS1_7vsmem_tEENKUlT_SL_SM_SN_E_clIS8_S8_S9_S9_EESK_S10_SL_SM_SN_EUlS10_E0_NS1_11comp_targetILNS1_3genE2ELNS1_11target_archE906ELNS1_3gpuE6ELNS1_3repE0EEENS1_38merge_mergepath_config_static_selectorELNS0_4arch9wavefront6targetE1EEEvSM_,comdat
.Lfunc_end1638:
	.size	_ZN7rocprim17ROCPRIM_400000_NS6detail17trampoline_kernelINS0_14default_configENS1_38merge_sort_block_merge_config_selectorIlNS0_10empty_typeEEEZZNS1_27merge_sort_block_merge_implIS3_PlPS5_mZN2at6native12_GLOBAL__N_124unique_dim_cuda_templateImEESt5tupleIJNSA_6TensorESF_SF_EERKSF_lbbbEUlllE_EE10hipError_tT0_T1_T2_jT3_P12ihipStream_tbPNSt15iterator_traitsISL_E10value_typeEPNSR_ISM_E10value_typeEPSN_NS1_7vsmem_tEENKUlT_SL_SM_SN_E_clIS8_S8_S9_S9_EESK_S10_SL_SM_SN_EUlS10_E0_NS1_11comp_targetILNS1_3genE2ELNS1_11target_archE906ELNS1_3gpuE6ELNS1_3repE0EEENS1_38merge_mergepath_config_static_selectorELNS0_4arch9wavefront6targetE1EEEvSM_, .Lfunc_end1638-_ZN7rocprim17ROCPRIM_400000_NS6detail17trampoline_kernelINS0_14default_configENS1_38merge_sort_block_merge_config_selectorIlNS0_10empty_typeEEEZZNS1_27merge_sort_block_merge_implIS3_PlPS5_mZN2at6native12_GLOBAL__N_124unique_dim_cuda_templateImEESt5tupleIJNSA_6TensorESF_SF_EERKSF_lbbbEUlllE_EE10hipError_tT0_T1_T2_jT3_P12ihipStream_tbPNSt15iterator_traitsISL_E10value_typeEPNSR_ISM_E10value_typeEPSN_NS1_7vsmem_tEENKUlT_SL_SM_SN_E_clIS8_S8_S9_S9_EESK_S10_SL_SM_SN_EUlS10_E0_NS1_11comp_targetILNS1_3genE2ELNS1_11target_archE906ELNS1_3gpuE6ELNS1_3repE0EEENS1_38merge_mergepath_config_static_selectorELNS0_4arch9wavefront6targetE1EEEvSM_
                                        ; -- End function
	.section	.AMDGPU.csdata,"",@progbits
; Kernel info:
; codeLenInByte = 0
; NumSgprs: 6
; NumVgprs: 0
; NumAgprs: 0
; TotalNumVgprs: 0
; ScratchSize: 0
; MemoryBound: 0
; FloatMode: 240
; IeeeMode: 1
; LDSByteSize: 0 bytes/workgroup (compile time only)
; SGPRBlocks: 0
; VGPRBlocks: 0
; NumSGPRsForWavesPerEU: 6
; NumVGPRsForWavesPerEU: 1
; AccumOffset: 4
; Occupancy: 8
; WaveLimiterHint : 0
; COMPUTE_PGM_RSRC2:SCRATCH_EN: 0
; COMPUTE_PGM_RSRC2:USER_SGPR: 2
; COMPUTE_PGM_RSRC2:TRAP_HANDLER: 0
; COMPUTE_PGM_RSRC2:TGID_X_EN: 1
; COMPUTE_PGM_RSRC2:TGID_Y_EN: 0
; COMPUTE_PGM_RSRC2:TGID_Z_EN: 0
; COMPUTE_PGM_RSRC2:TIDIG_COMP_CNT: 0
; COMPUTE_PGM_RSRC3_GFX90A:ACCUM_OFFSET: 0
; COMPUTE_PGM_RSRC3_GFX90A:TG_SPLIT: 0
	.section	.text._ZN7rocprim17ROCPRIM_400000_NS6detail17trampoline_kernelINS0_14default_configENS1_38merge_sort_block_merge_config_selectorIlNS0_10empty_typeEEEZZNS1_27merge_sort_block_merge_implIS3_PlPS5_mZN2at6native12_GLOBAL__N_124unique_dim_cuda_templateImEESt5tupleIJNSA_6TensorESF_SF_EERKSF_lbbbEUlllE_EE10hipError_tT0_T1_T2_jT3_P12ihipStream_tbPNSt15iterator_traitsISL_E10value_typeEPNSR_ISM_E10value_typeEPSN_NS1_7vsmem_tEENKUlT_SL_SM_SN_E_clIS8_S8_S9_S9_EESK_S10_SL_SM_SN_EUlS10_E0_NS1_11comp_targetILNS1_3genE9ELNS1_11target_archE1100ELNS1_3gpuE3ELNS1_3repE0EEENS1_38merge_mergepath_config_static_selectorELNS0_4arch9wavefront6targetE1EEEvSM_,"axG",@progbits,_ZN7rocprim17ROCPRIM_400000_NS6detail17trampoline_kernelINS0_14default_configENS1_38merge_sort_block_merge_config_selectorIlNS0_10empty_typeEEEZZNS1_27merge_sort_block_merge_implIS3_PlPS5_mZN2at6native12_GLOBAL__N_124unique_dim_cuda_templateImEESt5tupleIJNSA_6TensorESF_SF_EERKSF_lbbbEUlllE_EE10hipError_tT0_T1_T2_jT3_P12ihipStream_tbPNSt15iterator_traitsISL_E10value_typeEPNSR_ISM_E10value_typeEPSN_NS1_7vsmem_tEENKUlT_SL_SM_SN_E_clIS8_S8_S9_S9_EESK_S10_SL_SM_SN_EUlS10_E0_NS1_11comp_targetILNS1_3genE9ELNS1_11target_archE1100ELNS1_3gpuE3ELNS1_3repE0EEENS1_38merge_mergepath_config_static_selectorELNS0_4arch9wavefront6targetE1EEEvSM_,comdat
	.globl	_ZN7rocprim17ROCPRIM_400000_NS6detail17trampoline_kernelINS0_14default_configENS1_38merge_sort_block_merge_config_selectorIlNS0_10empty_typeEEEZZNS1_27merge_sort_block_merge_implIS3_PlPS5_mZN2at6native12_GLOBAL__N_124unique_dim_cuda_templateImEESt5tupleIJNSA_6TensorESF_SF_EERKSF_lbbbEUlllE_EE10hipError_tT0_T1_T2_jT3_P12ihipStream_tbPNSt15iterator_traitsISL_E10value_typeEPNSR_ISM_E10value_typeEPSN_NS1_7vsmem_tEENKUlT_SL_SM_SN_E_clIS8_S8_S9_S9_EESK_S10_SL_SM_SN_EUlS10_E0_NS1_11comp_targetILNS1_3genE9ELNS1_11target_archE1100ELNS1_3gpuE3ELNS1_3repE0EEENS1_38merge_mergepath_config_static_selectorELNS0_4arch9wavefront6targetE1EEEvSM_ ; -- Begin function _ZN7rocprim17ROCPRIM_400000_NS6detail17trampoline_kernelINS0_14default_configENS1_38merge_sort_block_merge_config_selectorIlNS0_10empty_typeEEEZZNS1_27merge_sort_block_merge_implIS3_PlPS5_mZN2at6native12_GLOBAL__N_124unique_dim_cuda_templateImEESt5tupleIJNSA_6TensorESF_SF_EERKSF_lbbbEUlllE_EE10hipError_tT0_T1_T2_jT3_P12ihipStream_tbPNSt15iterator_traitsISL_E10value_typeEPNSR_ISM_E10value_typeEPSN_NS1_7vsmem_tEENKUlT_SL_SM_SN_E_clIS8_S8_S9_S9_EESK_S10_SL_SM_SN_EUlS10_E0_NS1_11comp_targetILNS1_3genE9ELNS1_11target_archE1100ELNS1_3gpuE3ELNS1_3repE0EEENS1_38merge_mergepath_config_static_selectorELNS0_4arch9wavefront6targetE1EEEvSM_
	.p2align	8
	.type	_ZN7rocprim17ROCPRIM_400000_NS6detail17trampoline_kernelINS0_14default_configENS1_38merge_sort_block_merge_config_selectorIlNS0_10empty_typeEEEZZNS1_27merge_sort_block_merge_implIS3_PlPS5_mZN2at6native12_GLOBAL__N_124unique_dim_cuda_templateImEESt5tupleIJNSA_6TensorESF_SF_EERKSF_lbbbEUlllE_EE10hipError_tT0_T1_T2_jT3_P12ihipStream_tbPNSt15iterator_traitsISL_E10value_typeEPNSR_ISM_E10value_typeEPSN_NS1_7vsmem_tEENKUlT_SL_SM_SN_E_clIS8_S8_S9_S9_EESK_S10_SL_SM_SN_EUlS10_E0_NS1_11comp_targetILNS1_3genE9ELNS1_11target_archE1100ELNS1_3gpuE3ELNS1_3repE0EEENS1_38merge_mergepath_config_static_selectorELNS0_4arch9wavefront6targetE1EEEvSM_,@function
_ZN7rocprim17ROCPRIM_400000_NS6detail17trampoline_kernelINS0_14default_configENS1_38merge_sort_block_merge_config_selectorIlNS0_10empty_typeEEEZZNS1_27merge_sort_block_merge_implIS3_PlPS5_mZN2at6native12_GLOBAL__N_124unique_dim_cuda_templateImEESt5tupleIJNSA_6TensorESF_SF_EERKSF_lbbbEUlllE_EE10hipError_tT0_T1_T2_jT3_P12ihipStream_tbPNSt15iterator_traitsISL_E10value_typeEPNSR_ISM_E10value_typeEPSN_NS1_7vsmem_tEENKUlT_SL_SM_SN_E_clIS8_S8_S9_S9_EESK_S10_SL_SM_SN_EUlS10_E0_NS1_11comp_targetILNS1_3genE9ELNS1_11target_archE1100ELNS1_3gpuE3ELNS1_3repE0EEENS1_38merge_mergepath_config_static_selectorELNS0_4arch9wavefront6targetE1EEEvSM_: ; @_ZN7rocprim17ROCPRIM_400000_NS6detail17trampoline_kernelINS0_14default_configENS1_38merge_sort_block_merge_config_selectorIlNS0_10empty_typeEEEZZNS1_27merge_sort_block_merge_implIS3_PlPS5_mZN2at6native12_GLOBAL__N_124unique_dim_cuda_templateImEESt5tupleIJNSA_6TensorESF_SF_EERKSF_lbbbEUlllE_EE10hipError_tT0_T1_T2_jT3_P12ihipStream_tbPNSt15iterator_traitsISL_E10value_typeEPNSR_ISM_E10value_typeEPSN_NS1_7vsmem_tEENKUlT_SL_SM_SN_E_clIS8_S8_S9_S9_EESK_S10_SL_SM_SN_EUlS10_E0_NS1_11comp_targetILNS1_3genE9ELNS1_11target_archE1100ELNS1_3gpuE3ELNS1_3repE0EEENS1_38merge_mergepath_config_static_selectorELNS0_4arch9wavefront6targetE1EEEvSM_
; %bb.0:
	.section	.rodata,"a",@progbits
	.p2align	6, 0x0
	.amdhsa_kernel _ZN7rocprim17ROCPRIM_400000_NS6detail17trampoline_kernelINS0_14default_configENS1_38merge_sort_block_merge_config_selectorIlNS0_10empty_typeEEEZZNS1_27merge_sort_block_merge_implIS3_PlPS5_mZN2at6native12_GLOBAL__N_124unique_dim_cuda_templateImEESt5tupleIJNSA_6TensorESF_SF_EERKSF_lbbbEUlllE_EE10hipError_tT0_T1_T2_jT3_P12ihipStream_tbPNSt15iterator_traitsISL_E10value_typeEPNSR_ISM_E10value_typeEPSN_NS1_7vsmem_tEENKUlT_SL_SM_SN_E_clIS8_S8_S9_S9_EESK_S10_SL_SM_SN_EUlS10_E0_NS1_11comp_targetILNS1_3genE9ELNS1_11target_archE1100ELNS1_3gpuE3ELNS1_3repE0EEENS1_38merge_mergepath_config_static_selectorELNS0_4arch9wavefront6targetE1EEEvSM_
		.amdhsa_group_segment_fixed_size 0
		.amdhsa_private_segment_fixed_size 0
		.amdhsa_kernarg_size 88
		.amdhsa_user_sgpr_count 2
		.amdhsa_user_sgpr_dispatch_ptr 0
		.amdhsa_user_sgpr_queue_ptr 0
		.amdhsa_user_sgpr_kernarg_segment_ptr 1
		.amdhsa_user_sgpr_dispatch_id 0
		.amdhsa_user_sgpr_kernarg_preload_length 0
		.amdhsa_user_sgpr_kernarg_preload_offset 0
		.amdhsa_user_sgpr_private_segment_size 0
		.amdhsa_uses_dynamic_stack 0
		.amdhsa_enable_private_segment 0
		.amdhsa_system_sgpr_workgroup_id_x 1
		.amdhsa_system_sgpr_workgroup_id_y 0
		.amdhsa_system_sgpr_workgroup_id_z 0
		.amdhsa_system_sgpr_workgroup_info 0
		.amdhsa_system_vgpr_workitem_id 0
		.amdhsa_next_free_vgpr 1
		.amdhsa_next_free_sgpr 0
		.amdhsa_accum_offset 4
		.amdhsa_reserve_vcc 0
		.amdhsa_float_round_mode_32 0
		.amdhsa_float_round_mode_16_64 0
		.amdhsa_float_denorm_mode_32 3
		.amdhsa_float_denorm_mode_16_64 3
		.amdhsa_dx10_clamp 1
		.amdhsa_ieee_mode 1
		.amdhsa_fp16_overflow 0
		.amdhsa_tg_split 0
		.amdhsa_exception_fp_ieee_invalid_op 0
		.amdhsa_exception_fp_denorm_src 0
		.amdhsa_exception_fp_ieee_div_zero 0
		.amdhsa_exception_fp_ieee_overflow 0
		.amdhsa_exception_fp_ieee_underflow 0
		.amdhsa_exception_fp_ieee_inexact 0
		.amdhsa_exception_int_div_zero 0
	.end_amdhsa_kernel
	.section	.text._ZN7rocprim17ROCPRIM_400000_NS6detail17trampoline_kernelINS0_14default_configENS1_38merge_sort_block_merge_config_selectorIlNS0_10empty_typeEEEZZNS1_27merge_sort_block_merge_implIS3_PlPS5_mZN2at6native12_GLOBAL__N_124unique_dim_cuda_templateImEESt5tupleIJNSA_6TensorESF_SF_EERKSF_lbbbEUlllE_EE10hipError_tT0_T1_T2_jT3_P12ihipStream_tbPNSt15iterator_traitsISL_E10value_typeEPNSR_ISM_E10value_typeEPSN_NS1_7vsmem_tEENKUlT_SL_SM_SN_E_clIS8_S8_S9_S9_EESK_S10_SL_SM_SN_EUlS10_E0_NS1_11comp_targetILNS1_3genE9ELNS1_11target_archE1100ELNS1_3gpuE3ELNS1_3repE0EEENS1_38merge_mergepath_config_static_selectorELNS0_4arch9wavefront6targetE1EEEvSM_,"axG",@progbits,_ZN7rocprim17ROCPRIM_400000_NS6detail17trampoline_kernelINS0_14default_configENS1_38merge_sort_block_merge_config_selectorIlNS0_10empty_typeEEEZZNS1_27merge_sort_block_merge_implIS3_PlPS5_mZN2at6native12_GLOBAL__N_124unique_dim_cuda_templateImEESt5tupleIJNSA_6TensorESF_SF_EERKSF_lbbbEUlllE_EE10hipError_tT0_T1_T2_jT3_P12ihipStream_tbPNSt15iterator_traitsISL_E10value_typeEPNSR_ISM_E10value_typeEPSN_NS1_7vsmem_tEENKUlT_SL_SM_SN_E_clIS8_S8_S9_S9_EESK_S10_SL_SM_SN_EUlS10_E0_NS1_11comp_targetILNS1_3genE9ELNS1_11target_archE1100ELNS1_3gpuE3ELNS1_3repE0EEENS1_38merge_mergepath_config_static_selectorELNS0_4arch9wavefront6targetE1EEEvSM_,comdat
.Lfunc_end1639:
	.size	_ZN7rocprim17ROCPRIM_400000_NS6detail17trampoline_kernelINS0_14default_configENS1_38merge_sort_block_merge_config_selectorIlNS0_10empty_typeEEEZZNS1_27merge_sort_block_merge_implIS3_PlPS5_mZN2at6native12_GLOBAL__N_124unique_dim_cuda_templateImEESt5tupleIJNSA_6TensorESF_SF_EERKSF_lbbbEUlllE_EE10hipError_tT0_T1_T2_jT3_P12ihipStream_tbPNSt15iterator_traitsISL_E10value_typeEPNSR_ISM_E10value_typeEPSN_NS1_7vsmem_tEENKUlT_SL_SM_SN_E_clIS8_S8_S9_S9_EESK_S10_SL_SM_SN_EUlS10_E0_NS1_11comp_targetILNS1_3genE9ELNS1_11target_archE1100ELNS1_3gpuE3ELNS1_3repE0EEENS1_38merge_mergepath_config_static_selectorELNS0_4arch9wavefront6targetE1EEEvSM_, .Lfunc_end1639-_ZN7rocprim17ROCPRIM_400000_NS6detail17trampoline_kernelINS0_14default_configENS1_38merge_sort_block_merge_config_selectorIlNS0_10empty_typeEEEZZNS1_27merge_sort_block_merge_implIS3_PlPS5_mZN2at6native12_GLOBAL__N_124unique_dim_cuda_templateImEESt5tupleIJNSA_6TensorESF_SF_EERKSF_lbbbEUlllE_EE10hipError_tT0_T1_T2_jT3_P12ihipStream_tbPNSt15iterator_traitsISL_E10value_typeEPNSR_ISM_E10value_typeEPSN_NS1_7vsmem_tEENKUlT_SL_SM_SN_E_clIS8_S8_S9_S9_EESK_S10_SL_SM_SN_EUlS10_E0_NS1_11comp_targetILNS1_3genE9ELNS1_11target_archE1100ELNS1_3gpuE3ELNS1_3repE0EEENS1_38merge_mergepath_config_static_selectorELNS0_4arch9wavefront6targetE1EEEvSM_
                                        ; -- End function
	.section	.AMDGPU.csdata,"",@progbits
; Kernel info:
; codeLenInByte = 0
; NumSgprs: 6
; NumVgprs: 0
; NumAgprs: 0
; TotalNumVgprs: 0
; ScratchSize: 0
; MemoryBound: 0
; FloatMode: 240
; IeeeMode: 1
; LDSByteSize: 0 bytes/workgroup (compile time only)
; SGPRBlocks: 0
; VGPRBlocks: 0
; NumSGPRsForWavesPerEU: 6
; NumVGPRsForWavesPerEU: 1
; AccumOffset: 4
; Occupancy: 8
; WaveLimiterHint : 0
; COMPUTE_PGM_RSRC2:SCRATCH_EN: 0
; COMPUTE_PGM_RSRC2:USER_SGPR: 2
; COMPUTE_PGM_RSRC2:TRAP_HANDLER: 0
; COMPUTE_PGM_RSRC2:TGID_X_EN: 1
; COMPUTE_PGM_RSRC2:TGID_Y_EN: 0
; COMPUTE_PGM_RSRC2:TGID_Z_EN: 0
; COMPUTE_PGM_RSRC2:TIDIG_COMP_CNT: 0
; COMPUTE_PGM_RSRC3_GFX90A:ACCUM_OFFSET: 0
; COMPUTE_PGM_RSRC3_GFX90A:TG_SPLIT: 0
	.section	.text._ZN7rocprim17ROCPRIM_400000_NS6detail17trampoline_kernelINS0_14default_configENS1_38merge_sort_block_merge_config_selectorIlNS0_10empty_typeEEEZZNS1_27merge_sort_block_merge_implIS3_PlPS5_mZN2at6native12_GLOBAL__N_124unique_dim_cuda_templateImEESt5tupleIJNSA_6TensorESF_SF_EERKSF_lbbbEUlllE_EE10hipError_tT0_T1_T2_jT3_P12ihipStream_tbPNSt15iterator_traitsISL_E10value_typeEPNSR_ISM_E10value_typeEPSN_NS1_7vsmem_tEENKUlT_SL_SM_SN_E_clIS8_S8_S9_S9_EESK_S10_SL_SM_SN_EUlS10_E0_NS1_11comp_targetILNS1_3genE8ELNS1_11target_archE1030ELNS1_3gpuE2ELNS1_3repE0EEENS1_38merge_mergepath_config_static_selectorELNS0_4arch9wavefront6targetE1EEEvSM_,"axG",@progbits,_ZN7rocprim17ROCPRIM_400000_NS6detail17trampoline_kernelINS0_14default_configENS1_38merge_sort_block_merge_config_selectorIlNS0_10empty_typeEEEZZNS1_27merge_sort_block_merge_implIS3_PlPS5_mZN2at6native12_GLOBAL__N_124unique_dim_cuda_templateImEESt5tupleIJNSA_6TensorESF_SF_EERKSF_lbbbEUlllE_EE10hipError_tT0_T1_T2_jT3_P12ihipStream_tbPNSt15iterator_traitsISL_E10value_typeEPNSR_ISM_E10value_typeEPSN_NS1_7vsmem_tEENKUlT_SL_SM_SN_E_clIS8_S8_S9_S9_EESK_S10_SL_SM_SN_EUlS10_E0_NS1_11comp_targetILNS1_3genE8ELNS1_11target_archE1030ELNS1_3gpuE2ELNS1_3repE0EEENS1_38merge_mergepath_config_static_selectorELNS0_4arch9wavefront6targetE1EEEvSM_,comdat
	.globl	_ZN7rocprim17ROCPRIM_400000_NS6detail17trampoline_kernelINS0_14default_configENS1_38merge_sort_block_merge_config_selectorIlNS0_10empty_typeEEEZZNS1_27merge_sort_block_merge_implIS3_PlPS5_mZN2at6native12_GLOBAL__N_124unique_dim_cuda_templateImEESt5tupleIJNSA_6TensorESF_SF_EERKSF_lbbbEUlllE_EE10hipError_tT0_T1_T2_jT3_P12ihipStream_tbPNSt15iterator_traitsISL_E10value_typeEPNSR_ISM_E10value_typeEPSN_NS1_7vsmem_tEENKUlT_SL_SM_SN_E_clIS8_S8_S9_S9_EESK_S10_SL_SM_SN_EUlS10_E0_NS1_11comp_targetILNS1_3genE8ELNS1_11target_archE1030ELNS1_3gpuE2ELNS1_3repE0EEENS1_38merge_mergepath_config_static_selectorELNS0_4arch9wavefront6targetE1EEEvSM_ ; -- Begin function _ZN7rocprim17ROCPRIM_400000_NS6detail17trampoline_kernelINS0_14default_configENS1_38merge_sort_block_merge_config_selectorIlNS0_10empty_typeEEEZZNS1_27merge_sort_block_merge_implIS3_PlPS5_mZN2at6native12_GLOBAL__N_124unique_dim_cuda_templateImEESt5tupleIJNSA_6TensorESF_SF_EERKSF_lbbbEUlllE_EE10hipError_tT0_T1_T2_jT3_P12ihipStream_tbPNSt15iterator_traitsISL_E10value_typeEPNSR_ISM_E10value_typeEPSN_NS1_7vsmem_tEENKUlT_SL_SM_SN_E_clIS8_S8_S9_S9_EESK_S10_SL_SM_SN_EUlS10_E0_NS1_11comp_targetILNS1_3genE8ELNS1_11target_archE1030ELNS1_3gpuE2ELNS1_3repE0EEENS1_38merge_mergepath_config_static_selectorELNS0_4arch9wavefront6targetE1EEEvSM_
	.p2align	8
	.type	_ZN7rocprim17ROCPRIM_400000_NS6detail17trampoline_kernelINS0_14default_configENS1_38merge_sort_block_merge_config_selectorIlNS0_10empty_typeEEEZZNS1_27merge_sort_block_merge_implIS3_PlPS5_mZN2at6native12_GLOBAL__N_124unique_dim_cuda_templateImEESt5tupleIJNSA_6TensorESF_SF_EERKSF_lbbbEUlllE_EE10hipError_tT0_T1_T2_jT3_P12ihipStream_tbPNSt15iterator_traitsISL_E10value_typeEPNSR_ISM_E10value_typeEPSN_NS1_7vsmem_tEENKUlT_SL_SM_SN_E_clIS8_S8_S9_S9_EESK_S10_SL_SM_SN_EUlS10_E0_NS1_11comp_targetILNS1_3genE8ELNS1_11target_archE1030ELNS1_3gpuE2ELNS1_3repE0EEENS1_38merge_mergepath_config_static_selectorELNS0_4arch9wavefront6targetE1EEEvSM_,@function
_ZN7rocprim17ROCPRIM_400000_NS6detail17trampoline_kernelINS0_14default_configENS1_38merge_sort_block_merge_config_selectorIlNS0_10empty_typeEEEZZNS1_27merge_sort_block_merge_implIS3_PlPS5_mZN2at6native12_GLOBAL__N_124unique_dim_cuda_templateImEESt5tupleIJNSA_6TensorESF_SF_EERKSF_lbbbEUlllE_EE10hipError_tT0_T1_T2_jT3_P12ihipStream_tbPNSt15iterator_traitsISL_E10value_typeEPNSR_ISM_E10value_typeEPSN_NS1_7vsmem_tEENKUlT_SL_SM_SN_E_clIS8_S8_S9_S9_EESK_S10_SL_SM_SN_EUlS10_E0_NS1_11comp_targetILNS1_3genE8ELNS1_11target_archE1030ELNS1_3gpuE2ELNS1_3repE0EEENS1_38merge_mergepath_config_static_selectorELNS0_4arch9wavefront6targetE1EEEvSM_: ; @_ZN7rocprim17ROCPRIM_400000_NS6detail17trampoline_kernelINS0_14default_configENS1_38merge_sort_block_merge_config_selectorIlNS0_10empty_typeEEEZZNS1_27merge_sort_block_merge_implIS3_PlPS5_mZN2at6native12_GLOBAL__N_124unique_dim_cuda_templateImEESt5tupleIJNSA_6TensorESF_SF_EERKSF_lbbbEUlllE_EE10hipError_tT0_T1_T2_jT3_P12ihipStream_tbPNSt15iterator_traitsISL_E10value_typeEPNSR_ISM_E10value_typeEPSN_NS1_7vsmem_tEENKUlT_SL_SM_SN_E_clIS8_S8_S9_S9_EESK_S10_SL_SM_SN_EUlS10_E0_NS1_11comp_targetILNS1_3genE8ELNS1_11target_archE1030ELNS1_3gpuE2ELNS1_3repE0EEENS1_38merge_mergepath_config_static_selectorELNS0_4arch9wavefront6targetE1EEEvSM_
; %bb.0:
	.section	.rodata,"a",@progbits
	.p2align	6, 0x0
	.amdhsa_kernel _ZN7rocprim17ROCPRIM_400000_NS6detail17trampoline_kernelINS0_14default_configENS1_38merge_sort_block_merge_config_selectorIlNS0_10empty_typeEEEZZNS1_27merge_sort_block_merge_implIS3_PlPS5_mZN2at6native12_GLOBAL__N_124unique_dim_cuda_templateImEESt5tupleIJNSA_6TensorESF_SF_EERKSF_lbbbEUlllE_EE10hipError_tT0_T1_T2_jT3_P12ihipStream_tbPNSt15iterator_traitsISL_E10value_typeEPNSR_ISM_E10value_typeEPSN_NS1_7vsmem_tEENKUlT_SL_SM_SN_E_clIS8_S8_S9_S9_EESK_S10_SL_SM_SN_EUlS10_E0_NS1_11comp_targetILNS1_3genE8ELNS1_11target_archE1030ELNS1_3gpuE2ELNS1_3repE0EEENS1_38merge_mergepath_config_static_selectorELNS0_4arch9wavefront6targetE1EEEvSM_
		.amdhsa_group_segment_fixed_size 0
		.amdhsa_private_segment_fixed_size 0
		.amdhsa_kernarg_size 88
		.amdhsa_user_sgpr_count 2
		.amdhsa_user_sgpr_dispatch_ptr 0
		.amdhsa_user_sgpr_queue_ptr 0
		.amdhsa_user_sgpr_kernarg_segment_ptr 1
		.amdhsa_user_sgpr_dispatch_id 0
		.amdhsa_user_sgpr_kernarg_preload_length 0
		.amdhsa_user_sgpr_kernarg_preload_offset 0
		.amdhsa_user_sgpr_private_segment_size 0
		.amdhsa_uses_dynamic_stack 0
		.amdhsa_enable_private_segment 0
		.amdhsa_system_sgpr_workgroup_id_x 1
		.amdhsa_system_sgpr_workgroup_id_y 0
		.amdhsa_system_sgpr_workgroup_id_z 0
		.amdhsa_system_sgpr_workgroup_info 0
		.amdhsa_system_vgpr_workitem_id 0
		.amdhsa_next_free_vgpr 1
		.amdhsa_next_free_sgpr 0
		.amdhsa_accum_offset 4
		.amdhsa_reserve_vcc 0
		.amdhsa_float_round_mode_32 0
		.amdhsa_float_round_mode_16_64 0
		.amdhsa_float_denorm_mode_32 3
		.amdhsa_float_denorm_mode_16_64 3
		.amdhsa_dx10_clamp 1
		.amdhsa_ieee_mode 1
		.amdhsa_fp16_overflow 0
		.amdhsa_tg_split 0
		.amdhsa_exception_fp_ieee_invalid_op 0
		.amdhsa_exception_fp_denorm_src 0
		.amdhsa_exception_fp_ieee_div_zero 0
		.amdhsa_exception_fp_ieee_overflow 0
		.amdhsa_exception_fp_ieee_underflow 0
		.amdhsa_exception_fp_ieee_inexact 0
		.amdhsa_exception_int_div_zero 0
	.end_amdhsa_kernel
	.section	.text._ZN7rocprim17ROCPRIM_400000_NS6detail17trampoline_kernelINS0_14default_configENS1_38merge_sort_block_merge_config_selectorIlNS0_10empty_typeEEEZZNS1_27merge_sort_block_merge_implIS3_PlPS5_mZN2at6native12_GLOBAL__N_124unique_dim_cuda_templateImEESt5tupleIJNSA_6TensorESF_SF_EERKSF_lbbbEUlllE_EE10hipError_tT0_T1_T2_jT3_P12ihipStream_tbPNSt15iterator_traitsISL_E10value_typeEPNSR_ISM_E10value_typeEPSN_NS1_7vsmem_tEENKUlT_SL_SM_SN_E_clIS8_S8_S9_S9_EESK_S10_SL_SM_SN_EUlS10_E0_NS1_11comp_targetILNS1_3genE8ELNS1_11target_archE1030ELNS1_3gpuE2ELNS1_3repE0EEENS1_38merge_mergepath_config_static_selectorELNS0_4arch9wavefront6targetE1EEEvSM_,"axG",@progbits,_ZN7rocprim17ROCPRIM_400000_NS6detail17trampoline_kernelINS0_14default_configENS1_38merge_sort_block_merge_config_selectorIlNS0_10empty_typeEEEZZNS1_27merge_sort_block_merge_implIS3_PlPS5_mZN2at6native12_GLOBAL__N_124unique_dim_cuda_templateImEESt5tupleIJNSA_6TensorESF_SF_EERKSF_lbbbEUlllE_EE10hipError_tT0_T1_T2_jT3_P12ihipStream_tbPNSt15iterator_traitsISL_E10value_typeEPNSR_ISM_E10value_typeEPSN_NS1_7vsmem_tEENKUlT_SL_SM_SN_E_clIS8_S8_S9_S9_EESK_S10_SL_SM_SN_EUlS10_E0_NS1_11comp_targetILNS1_3genE8ELNS1_11target_archE1030ELNS1_3gpuE2ELNS1_3repE0EEENS1_38merge_mergepath_config_static_selectorELNS0_4arch9wavefront6targetE1EEEvSM_,comdat
.Lfunc_end1640:
	.size	_ZN7rocprim17ROCPRIM_400000_NS6detail17trampoline_kernelINS0_14default_configENS1_38merge_sort_block_merge_config_selectorIlNS0_10empty_typeEEEZZNS1_27merge_sort_block_merge_implIS3_PlPS5_mZN2at6native12_GLOBAL__N_124unique_dim_cuda_templateImEESt5tupleIJNSA_6TensorESF_SF_EERKSF_lbbbEUlllE_EE10hipError_tT0_T1_T2_jT3_P12ihipStream_tbPNSt15iterator_traitsISL_E10value_typeEPNSR_ISM_E10value_typeEPSN_NS1_7vsmem_tEENKUlT_SL_SM_SN_E_clIS8_S8_S9_S9_EESK_S10_SL_SM_SN_EUlS10_E0_NS1_11comp_targetILNS1_3genE8ELNS1_11target_archE1030ELNS1_3gpuE2ELNS1_3repE0EEENS1_38merge_mergepath_config_static_selectorELNS0_4arch9wavefront6targetE1EEEvSM_, .Lfunc_end1640-_ZN7rocprim17ROCPRIM_400000_NS6detail17trampoline_kernelINS0_14default_configENS1_38merge_sort_block_merge_config_selectorIlNS0_10empty_typeEEEZZNS1_27merge_sort_block_merge_implIS3_PlPS5_mZN2at6native12_GLOBAL__N_124unique_dim_cuda_templateImEESt5tupleIJNSA_6TensorESF_SF_EERKSF_lbbbEUlllE_EE10hipError_tT0_T1_T2_jT3_P12ihipStream_tbPNSt15iterator_traitsISL_E10value_typeEPNSR_ISM_E10value_typeEPSN_NS1_7vsmem_tEENKUlT_SL_SM_SN_E_clIS8_S8_S9_S9_EESK_S10_SL_SM_SN_EUlS10_E0_NS1_11comp_targetILNS1_3genE8ELNS1_11target_archE1030ELNS1_3gpuE2ELNS1_3repE0EEENS1_38merge_mergepath_config_static_selectorELNS0_4arch9wavefront6targetE1EEEvSM_
                                        ; -- End function
	.section	.AMDGPU.csdata,"",@progbits
; Kernel info:
; codeLenInByte = 0
; NumSgprs: 6
; NumVgprs: 0
; NumAgprs: 0
; TotalNumVgprs: 0
; ScratchSize: 0
; MemoryBound: 0
; FloatMode: 240
; IeeeMode: 1
; LDSByteSize: 0 bytes/workgroup (compile time only)
; SGPRBlocks: 0
; VGPRBlocks: 0
; NumSGPRsForWavesPerEU: 6
; NumVGPRsForWavesPerEU: 1
; AccumOffset: 4
; Occupancy: 8
; WaveLimiterHint : 0
; COMPUTE_PGM_RSRC2:SCRATCH_EN: 0
; COMPUTE_PGM_RSRC2:USER_SGPR: 2
; COMPUTE_PGM_RSRC2:TRAP_HANDLER: 0
; COMPUTE_PGM_RSRC2:TGID_X_EN: 1
; COMPUTE_PGM_RSRC2:TGID_Y_EN: 0
; COMPUTE_PGM_RSRC2:TGID_Z_EN: 0
; COMPUTE_PGM_RSRC2:TIDIG_COMP_CNT: 0
; COMPUTE_PGM_RSRC3_GFX90A:ACCUM_OFFSET: 0
; COMPUTE_PGM_RSRC3_GFX90A:TG_SPLIT: 0
	.section	.text._ZN7rocprim17ROCPRIM_400000_NS6detail17trampoline_kernelINS0_14default_configENS1_38merge_sort_block_merge_config_selectorIlNS0_10empty_typeEEEZZNS1_27merge_sort_block_merge_implIS3_PlPS5_mZN2at6native12_GLOBAL__N_124unique_dim_cuda_templateImEESt5tupleIJNSA_6TensorESF_SF_EERKSF_lbbbEUlllE_EE10hipError_tT0_T1_T2_jT3_P12ihipStream_tbPNSt15iterator_traitsISL_E10value_typeEPNSR_ISM_E10value_typeEPSN_NS1_7vsmem_tEENKUlT_SL_SM_SN_E_clIS8_S8_S9_S9_EESK_S10_SL_SM_SN_EUlS10_E1_NS1_11comp_targetILNS1_3genE0ELNS1_11target_archE4294967295ELNS1_3gpuE0ELNS1_3repE0EEENS1_36merge_oddeven_config_static_selectorELNS0_4arch9wavefront6targetE1EEEvSM_,"axG",@progbits,_ZN7rocprim17ROCPRIM_400000_NS6detail17trampoline_kernelINS0_14default_configENS1_38merge_sort_block_merge_config_selectorIlNS0_10empty_typeEEEZZNS1_27merge_sort_block_merge_implIS3_PlPS5_mZN2at6native12_GLOBAL__N_124unique_dim_cuda_templateImEESt5tupleIJNSA_6TensorESF_SF_EERKSF_lbbbEUlllE_EE10hipError_tT0_T1_T2_jT3_P12ihipStream_tbPNSt15iterator_traitsISL_E10value_typeEPNSR_ISM_E10value_typeEPSN_NS1_7vsmem_tEENKUlT_SL_SM_SN_E_clIS8_S8_S9_S9_EESK_S10_SL_SM_SN_EUlS10_E1_NS1_11comp_targetILNS1_3genE0ELNS1_11target_archE4294967295ELNS1_3gpuE0ELNS1_3repE0EEENS1_36merge_oddeven_config_static_selectorELNS0_4arch9wavefront6targetE1EEEvSM_,comdat
	.globl	_ZN7rocprim17ROCPRIM_400000_NS6detail17trampoline_kernelINS0_14default_configENS1_38merge_sort_block_merge_config_selectorIlNS0_10empty_typeEEEZZNS1_27merge_sort_block_merge_implIS3_PlPS5_mZN2at6native12_GLOBAL__N_124unique_dim_cuda_templateImEESt5tupleIJNSA_6TensorESF_SF_EERKSF_lbbbEUlllE_EE10hipError_tT0_T1_T2_jT3_P12ihipStream_tbPNSt15iterator_traitsISL_E10value_typeEPNSR_ISM_E10value_typeEPSN_NS1_7vsmem_tEENKUlT_SL_SM_SN_E_clIS8_S8_S9_S9_EESK_S10_SL_SM_SN_EUlS10_E1_NS1_11comp_targetILNS1_3genE0ELNS1_11target_archE4294967295ELNS1_3gpuE0ELNS1_3repE0EEENS1_36merge_oddeven_config_static_selectorELNS0_4arch9wavefront6targetE1EEEvSM_ ; -- Begin function _ZN7rocprim17ROCPRIM_400000_NS6detail17trampoline_kernelINS0_14default_configENS1_38merge_sort_block_merge_config_selectorIlNS0_10empty_typeEEEZZNS1_27merge_sort_block_merge_implIS3_PlPS5_mZN2at6native12_GLOBAL__N_124unique_dim_cuda_templateImEESt5tupleIJNSA_6TensorESF_SF_EERKSF_lbbbEUlllE_EE10hipError_tT0_T1_T2_jT3_P12ihipStream_tbPNSt15iterator_traitsISL_E10value_typeEPNSR_ISM_E10value_typeEPSN_NS1_7vsmem_tEENKUlT_SL_SM_SN_E_clIS8_S8_S9_S9_EESK_S10_SL_SM_SN_EUlS10_E1_NS1_11comp_targetILNS1_3genE0ELNS1_11target_archE4294967295ELNS1_3gpuE0ELNS1_3repE0EEENS1_36merge_oddeven_config_static_selectorELNS0_4arch9wavefront6targetE1EEEvSM_
	.p2align	8
	.type	_ZN7rocprim17ROCPRIM_400000_NS6detail17trampoline_kernelINS0_14default_configENS1_38merge_sort_block_merge_config_selectorIlNS0_10empty_typeEEEZZNS1_27merge_sort_block_merge_implIS3_PlPS5_mZN2at6native12_GLOBAL__N_124unique_dim_cuda_templateImEESt5tupleIJNSA_6TensorESF_SF_EERKSF_lbbbEUlllE_EE10hipError_tT0_T1_T2_jT3_P12ihipStream_tbPNSt15iterator_traitsISL_E10value_typeEPNSR_ISM_E10value_typeEPSN_NS1_7vsmem_tEENKUlT_SL_SM_SN_E_clIS8_S8_S9_S9_EESK_S10_SL_SM_SN_EUlS10_E1_NS1_11comp_targetILNS1_3genE0ELNS1_11target_archE4294967295ELNS1_3gpuE0ELNS1_3repE0EEENS1_36merge_oddeven_config_static_selectorELNS0_4arch9wavefront6targetE1EEEvSM_,@function
_ZN7rocprim17ROCPRIM_400000_NS6detail17trampoline_kernelINS0_14default_configENS1_38merge_sort_block_merge_config_selectorIlNS0_10empty_typeEEEZZNS1_27merge_sort_block_merge_implIS3_PlPS5_mZN2at6native12_GLOBAL__N_124unique_dim_cuda_templateImEESt5tupleIJNSA_6TensorESF_SF_EERKSF_lbbbEUlllE_EE10hipError_tT0_T1_T2_jT3_P12ihipStream_tbPNSt15iterator_traitsISL_E10value_typeEPNSR_ISM_E10value_typeEPSN_NS1_7vsmem_tEENKUlT_SL_SM_SN_E_clIS8_S8_S9_S9_EESK_S10_SL_SM_SN_EUlS10_E1_NS1_11comp_targetILNS1_3genE0ELNS1_11target_archE4294967295ELNS1_3gpuE0ELNS1_3repE0EEENS1_36merge_oddeven_config_static_selectorELNS0_4arch9wavefront6targetE1EEEvSM_: ; @_ZN7rocprim17ROCPRIM_400000_NS6detail17trampoline_kernelINS0_14default_configENS1_38merge_sort_block_merge_config_selectorIlNS0_10empty_typeEEEZZNS1_27merge_sort_block_merge_implIS3_PlPS5_mZN2at6native12_GLOBAL__N_124unique_dim_cuda_templateImEESt5tupleIJNSA_6TensorESF_SF_EERKSF_lbbbEUlllE_EE10hipError_tT0_T1_T2_jT3_P12ihipStream_tbPNSt15iterator_traitsISL_E10value_typeEPNSR_ISM_E10value_typeEPSN_NS1_7vsmem_tEENKUlT_SL_SM_SN_E_clIS8_S8_S9_S9_EESK_S10_SL_SM_SN_EUlS10_E1_NS1_11comp_targetILNS1_3genE0ELNS1_11target_archE4294967295ELNS1_3gpuE0ELNS1_3repE0EEENS1_36merge_oddeven_config_static_selectorELNS0_4arch9wavefront6targetE1EEEvSM_
; %bb.0:
	.section	.rodata,"a",@progbits
	.p2align	6, 0x0
	.amdhsa_kernel _ZN7rocprim17ROCPRIM_400000_NS6detail17trampoline_kernelINS0_14default_configENS1_38merge_sort_block_merge_config_selectorIlNS0_10empty_typeEEEZZNS1_27merge_sort_block_merge_implIS3_PlPS5_mZN2at6native12_GLOBAL__N_124unique_dim_cuda_templateImEESt5tupleIJNSA_6TensorESF_SF_EERKSF_lbbbEUlllE_EE10hipError_tT0_T1_T2_jT3_P12ihipStream_tbPNSt15iterator_traitsISL_E10value_typeEPNSR_ISM_E10value_typeEPSN_NS1_7vsmem_tEENKUlT_SL_SM_SN_E_clIS8_S8_S9_S9_EESK_S10_SL_SM_SN_EUlS10_E1_NS1_11comp_targetILNS1_3genE0ELNS1_11target_archE4294967295ELNS1_3gpuE0ELNS1_3repE0EEENS1_36merge_oddeven_config_static_selectorELNS0_4arch9wavefront6targetE1EEEvSM_
		.amdhsa_group_segment_fixed_size 0
		.amdhsa_private_segment_fixed_size 0
		.amdhsa_kernarg_size 64
		.amdhsa_user_sgpr_count 2
		.amdhsa_user_sgpr_dispatch_ptr 0
		.amdhsa_user_sgpr_queue_ptr 0
		.amdhsa_user_sgpr_kernarg_segment_ptr 1
		.amdhsa_user_sgpr_dispatch_id 0
		.amdhsa_user_sgpr_kernarg_preload_length 0
		.amdhsa_user_sgpr_kernarg_preload_offset 0
		.amdhsa_user_sgpr_private_segment_size 0
		.amdhsa_uses_dynamic_stack 0
		.amdhsa_enable_private_segment 0
		.amdhsa_system_sgpr_workgroup_id_x 1
		.amdhsa_system_sgpr_workgroup_id_y 0
		.amdhsa_system_sgpr_workgroup_id_z 0
		.amdhsa_system_sgpr_workgroup_info 0
		.amdhsa_system_vgpr_workitem_id 0
		.amdhsa_next_free_vgpr 1
		.amdhsa_next_free_sgpr 0
		.amdhsa_accum_offset 4
		.amdhsa_reserve_vcc 0
		.amdhsa_float_round_mode_32 0
		.amdhsa_float_round_mode_16_64 0
		.amdhsa_float_denorm_mode_32 3
		.amdhsa_float_denorm_mode_16_64 3
		.amdhsa_dx10_clamp 1
		.amdhsa_ieee_mode 1
		.amdhsa_fp16_overflow 0
		.amdhsa_tg_split 0
		.amdhsa_exception_fp_ieee_invalid_op 0
		.amdhsa_exception_fp_denorm_src 0
		.amdhsa_exception_fp_ieee_div_zero 0
		.amdhsa_exception_fp_ieee_overflow 0
		.amdhsa_exception_fp_ieee_underflow 0
		.amdhsa_exception_fp_ieee_inexact 0
		.amdhsa_exception_int_div_zero 0
	.end_amdhsa_kernel
	.section	.text._ZN7rocprim17ROCPRIM_400000_NS6detail17trampoline_kernelINS0_14default_configENS1_38merge_sort_block_merge_config_selectorIlNS0_10empty_typeEEEZZNS1_27merge_sort_block_merge_implIS3_PlPS5_mZN2at6native12_GLOBAL__N_124unique_dim_cuda_templateImEESt5tupleIJNSA_6TensorESF_SF_EERKSF_lbbbEUlllE_EE10hipError_tT0_T1_T2_jT3_P12ihipStream_tbPNSt15iterator_traitsISL_E10value_typeEPNSR_ISM_E10value_typeEPSN_NS1_7vsmem_tEENKUlT_SL_SM_SN_E_clIS8_S8_S9_S9_EESK_S10_SL_SM_SN_EUlS10_E1_NS1_11comp_targetILNS1_3genE0ELNS1_11target_archE4294967295ELNS1_3gpuE0ELNS1_3repE0EEENS1_36merge_oddeven_config_static_selectorELNS0_4arch9wavefront6targetE1EEEvSM_,"axG",@progbits,_ZN7rocprim17ROCPRIM_400000_NS6detail17trampoline_kernelINS0_14default_configENS1_38merge_sort_block_merge_config_selectorIlNS0_10empty_typeEEEZZNS1_27merge_sort_block_merge_implIS3_PlPS5_mZN2at6native12_GLOBAL__N_124unique_dim_cuda_templateImEESt5tupleIJNSA_6TensorESF_SF_EERKSF_lbbbEUlllE_EE10hipError_tT0_T1_T2_jT3_P12ihipStream_tbPNSt15iterator_traitsISL_E10value_typeEPNSR_ISM_E10value_typeEPSN_NS1_7vsmem_tEENKUlT_SL_SM_SN_E_clIS8_S8_S9_S9_EESK_S10_SL_SM_SN_EUlS10_E1_NS1_11comp_targetILNS1_3genE0ELNS1_11target_archE4294967295ELNS1_3gpuE0ELNS1_3repE0EEENS1_36merge_oddeven_config_static_selectorELNS0_4arch9wavefront6targetE1EEEvSM_,comdat
.Lfunc_end1641:
	.size	_ZN7rocprim17ROCPRIM_400000_NS6detail17trampoline_kernelINS0_14default_configENS1_38merge_sort_block_merge_config_selectorIlNS0_10empty_typeEEEZZNS1_27merge_sort_block_merge_implIS3_PlPS5_mZN2at6native12_GLOBAL__N_124unique_dim_cuda_templateImEESt5tupleIJNSA_6TensorESF_SF_EERKSF_lbbbEUlllE_EE10hipError_tT0_T1_T2_jT3_P12ihipStream_tbPNSt15iterator_traitsISL_E10value_typeEPNSR_ISM_E10value_typeEPSN_NS1_7vsmem_tEENKUlT_SL_SM_SN_E_clIS8_S8_S9_S9_EESK_S10_SL_SM_SN_EUlS10_E1_NS1_11comp_targetILNS1_3genE0ELNS1_11target_archE4294967295ELNS1_3gpuE0ELNS1_3repE0EEENS1_36merge_oddeven_config_static_selectorELNS0_4arch9wavefront6targetE1EEEvSM_, .Lfunc_end1641-_ZN7rocprim17ROCPRIM_400000_NS6detail17trampoline_kernelINS0_14default_configENS1_38merge_sort_block_merge_config_selectorIlNS0_10empty_typeEEEZZNS1_27merge_sort_block_merge_implIS3_PlPS5_mZN2at6native12_GLOBAL__N_124unique_dim_cuda_templateImEESt5tupleIJNSA_6TensorESF_SF_EERKSF_lbbbEUlllE_EE10hipError_tT0_T1_T2_jT3_P12ihipStream_tbPNSt15iterator_traitsISL_E10value_typeEPNSR_ISM_E10value_typeEPSN_NS1_7vsmem_tEENKUlT_SL_SM_SN_E_clIS8_S8_S9_S9_EESK_S10_SL_SM_SN_EUlS10_E1_NS1_11comp_targetILNS1_3genE0ELNS1_11target_archE4294967295ELNS1_3gpuE0ELNS1_3repE0EEENS1_36merge_oddeven_config_static_selectorELNS0_4arch9wavefront6targetE1EEEvSM_
                                        ; -- End function
	.section	.AMDGPU.csdata,"",@progbits
; Kernel info:
; codeLenInByte = 0
; NumSgprs: 6
; NumVgprs: 0
; NumAgprs: 0
; TotalNumVgprs: 0
; ScratchSize: 0
; MemoryBound: 0
; FloatMode: 240
; IeeeMode: 1
; LDSByteSize: 0 bytes/workgroup (compile time only)
; SGPRBlocks: 0
; VGPRBlocks: 0
; NumSGPRsForWavesPerEU: 6
; NumVGPRsForWavesPerEU: 1
; AccumOffset: 4
; Occupancy: 8
; WaveLimiterHint : 0
; COMPUTE_PGM_RSRC2:SCRATCH_EN: 0
; COMPUTE_PGM_RSRC2:USER_SGPR: 2
; COMPUTE_PGM_RSRC2:TRAP_HANDLER: 0
; COMPUTE_PGM_RSRC2:TGID_X_EN: 1
; COMPUTE_PGM_RSRC2:TGID_Y_EN: 0
; COMPUTE_PGM_RSRC2:TGID_Z_EN: 0
; COMPUTE_PGM_RSRC2:TIDIG_COMP_CNT: 0
; COMPUTE_PGM_RSRC3_GFX90A:ACCUM_OFFSET: 0
; COMPUTE_PGM_RSRC3_GFX90A:TG_SPLIT: 0
	.section	.text._ZN7rocprim17ROCPRIM_400000_NS6detail17trampoline_kernelINS0_14default_configENS1_38merge_sort_block_merge_config_selectorIlNS0_10empty_typeEEEZZNS1_27merge_sort_block_merge_implIS3_PlPS5_mZN2at6native12_GLOBAL__N_124unique_dim_cuda_templateImEESt5tupleIJNSA_6TensorESF_SF_EERKSF_lbbbEUlllE_EE10hipError_tT0_T1_T2_jT3_P12ihipStream_tbPNSt15iterator_traitsISL_E10value_typeEPNSR_ISM_E10value_typeEPSN_NS1_7vsmem_tEENKUlT_SL_SM_SN_E_clIS8_S8_S9_S9_EESK_S10_SL_SM_SN_EUlS10_E1_NS1_11comp_targetILNS1_3genE10ELNS1_11target_archE1201ELNS1_3gpuE5ELNS1_3repE0EEENS1_36merge_oddeven_config_static_selectorELNS0_4arch9wavefront6targetE1EEEvSM_,"axG",@progbits,_ZN7rocprim17ROCPRIM_400000_NS6detail17trampoline_kernelINS0_14default_configENS1_38merge_sort_block_merge_config_selectorIlNS0_10empty_typeEEEZZNS1_27merge_sort_block_merge_implIS3_PlPS5_mZN2at6native12_GLOBAL__N_124unique_dim_cuda_templateImEESt5tupleIJNSA_6TensorESF_SF_EERKSF_lbbbEUlllE_EE10hipError_tT0_T1_T2_jT3_P12ihipStream_tbPNSt15iterator_traitsISL_E10value_typeEPNSR_ISM_E10value_typeEPSN_NS1_7vsmem_tEENKUlT_SL_SM_SN_E_clIS8_S8_S9_S9_EESK_S10_SL_SM_SN_EUlS10_E1_NS1_11comp_targetILNS1_3genE10ELNS1_11target_archE1201ELNS1_3gpuE5ELNS1_3repE0EEENS1_36merge_oddeven_config_static_selectorELNS0_4arch9wavefront6targetE1EEEvSM_,comdat
	.globl	_ZN7rocprim17ROCPRIM_400000_NS6detail17trampoline_kernelINS0_14default_configENS1_38merge_sort_block_merge_config_selectorIlNS0_10empty_typeEEEZZNS1_27merge_sort_block_merge_implIS3_PlPS5_mZN2at6native12_GLOBAL__N_124unique_dim_cuda_templateImEESt5tupleIJNSA_6TensorESF_SF_EERKSF_lbbbEUlllE_EE10hipError_tT0_T1_T2_jT3_P12ihipStream_tbPNSt15iterator_traitsISL_E10value_typeEPNSR_ISM_E10value_typeEPSN_NS1_7vsmem_tEENKUlT_SL_SM_SN_E_clIS8_S8_S9_S9_EESK_S10_SL_SM_SN_EUlS10_E1_NS1_11comp_targetILNS1_3genE10ELNS1_11target_archE1201ELNS1_3gpuE5ELNS1_3repE0EEENS1_36merge_oddeven_config_static_selectorELNS0_4arch9wavefront6targetE1EEEvSM_ ; -- Begin function _ZN7rocprim17ROCPRIM_400000_NS6detail17trampoline_kernelINS0_14default_configENS1_38merge_sort_block_merge_config_selectorIlNS0_10empty_typeEEEZZNS1_27merge_sort_block_merge_implIS3_PlPS5_mZN2at6native12_GLOBAL__N_124unique_dim_cuda_templateImEESt5tupleIJNSA_6TensorESF_SF_EERKSF_lbbbEUlllE_EE10hipError_tT0_T1_T2_jT3_P12ihipStream_tbPNSt15iterator_traitsISL_E10value_typeEPNSR_ISM_E10value_typeEPSN_NS1_7vsmem_tEENKUlT_SL_SM_SN_E_clIS8_S8_S9_S9_EESK_S10_SL_SM_SN_EUlS10_E1_NS1_11comp_targetILNS1_3genE10ELNS1_11target_archE1201ELNS1_3gpuE5ELNS1_3repE0EEENS1_36merge_oddeven_config_static_selectorELNS0_4arch9wavefront6targetE1EEEvSM_
	.p2align	8
	.type	_ZN7rocprim17ROCPRIM_400000_NS6detail17trampoline_kernelINS0_14default_configENS1_38merge_sort_block_merge_config_selectorIlNS0_10empty_typeEEEZZNS1_27merge_sort_block_merge_implIS3_PlPS5_mZN2at6native12_GLOBAL__N_124unique_dim_cuda_templateImEESt5tupleIJNSA_6TensorESF_SF_EERKSF_lbbbEUlllE_EE10hipError_tT0_T1_T2_jT3_P12ihipStream_tbPNSt15iterator_traitsISL_E10value_typeEPNSR_ISM_E10value_typeEPSN_NS1_7vsmem_tEENKUlT_SL_SM_SN_E_clIS8_S8_S9_S9_EESK_S10_SL_SM_SN_EUlS10_E1_NS1_11comp_targetILNS1_3genE10ELNS1_11target_archE1201ELNS1_3gpuE5ELNS1_3repE0EEENS1_36merge_oddeven_config_static_selectorELNS0_4arch9wavefront6targetE1EEEvSM_,@function
_ZN7rocprim17ROCPRIM_400000_NS6detail17trampoline_kernelINS0_14default_configENS1_38merge_sort_block_merge_config_selectorIlNS0_10empty_typeEEEZZNS1_27merge_sort_block_merge_implIS3_PlPS5_mZN2at6native12_GLOBAL__N_124unique_dim_cuda_templateImEESt5tupleIJNSA_6TensorESF_SF_EERKSF_lbbbEUlllE_EE10hipError_tT0_T1_T2_jT3_P12ihipStream_tbPNSt15iterator_traitsISL_E10value_typeEPNSR_ISM_E10value_typeEPSN_NS1_7vsmem_tEENKUlT_SL_SM_SN_E_clIS8_S8_S9_S9_EESK_S10_SL_SM_SN_EUlS10_E1_NS1_11comp_targetILNS1_3genE10ELNS1_11target_archE1201ELNS1_3gpuE5ELNS1_3repE0EEENS1_36merge_oddeven_config_static_selectorELNS0_4arch9wavefront6targetE1EEEvSM_: ; @_ZN7rocprim17ROCPRIM_400000_NS6detail17trampoline_kernelINS0_14default_configENS1_38merge_sort_block_merge_config_selectorIlNS0_10empty_typeEEEZZNS1_27merge_sort_block_merge_implIS3_PlPS5_mZN2at6native12_GLOBAL__N_124unique_dim_cuda_templateImEESt5tupleIJNSA_6TensorESF_SF_EERKSF_lbbbEUlllE_EE10hipError_tT0_T1_T2_jT3_P12ihipStream_tbPNSt15iterator_traitsISL_E10value_typeEPNSR_ISM_E10value_typeEPSN_NS1_7vsmem_tEENKUlT_SL_SM_SN_E_clIS8_S8_S9_S9_EESK_S10_SL_SM_SN_EUlS10_E1_NS1_11comp_targetILNS1_3genE10ELNS1_11target_archE1201ELNS1_3gpuE5ELNS1_3repE0EEENS1_36merge_oddeven_config_static_selectorELNS0_4arch9wavefront6targetE1EEEvSM_
; %bb.0:
	.section	.rodata,"a",@progbits
	.p2align	6, 0x0
	.amdhsa_kernel _ZN7rocprim17ROCPRIM_400000_NS6detail17trampoline_kernelINS0_14default_configENS1_38merge_sort_block_merge_config_selectorIlNS0_10empty_typeEEEZZNS1_27merge_sort_block_merge_implIS3_PlPS5_mZN2at6native12_GLOBAL__N_124unique_dim_cuda_templateImEESt5tupleIJNSA_6TensorESF_SF_EERKSF_lbbbEUlllE_EE10hipError_tT0_T1_T2_jT3_P12ihipStream_tbPNSt15iterator_traitsISL_E10value_typeEPNSR_ISM_E10value_typeEPSN_NS1_7vsmem_tEENKUlT_SL_SM_SN_E_clIS8_S8_S9_S9_EESK_S10_SL_SM_SN_EUlS10_E1_NS1_11comp_targetILNS1_3genE10ELNS1_11target_archE1201ELNS1_3gpuE5ELNS1_3repE0EEENS1_36merge_oddeven_config_static_selectorELNS0_4arch9wavefront6targetE1EEEvSM_
		.amdhsa_group_segment_fixed_size 0
		.amdhsa_private_segment_fixed_size 0
		.amdhsa_kernarg_size 64
		.amdhsa_user_sgpr_count 2
		.amdhsa_user_sgpr_dispatch_ptr 0
		.amdhsa_user_sgpr_queue_ptr 0
		.amdhsa_user_sgpr_kernarg_segment_ptr 1
		.amdhsa_user_sgpr_dispatch_id 0
		.amdhsa_user_sgpr_kernarg_preload_length 0
		.amdhsa_user_sgpr_kernarg_preload_offset 0
		.amdhsa_user_sgpr_private_segment_size 0
		.amdhsa_uses_dynamic_stack 0
		.amdhsa_enable_private_segment 0
		.amdhsa_system_sgpr_workgroup_id_x 1
		.amdhsa_system_sgpr_workgroup_id_y 0
		.amdhsa_system_sgpr_workgroup_id_z 0
		.amdhsa_system_sgpr_workgroup_info 0
		.amdhsa_system_vgpr_workitem_id 0
		.amdhsa_next_free_vgpr 1
		.amdhsa_next_free_sgpr 0
		.amdhsa_accum_offset 4
		.amdhsa_reserve_vcc 0
		.amdhsa_float_round_mode_32 0
		.amdhsa_float_round_mode_16_64 0
		.amdhsa_float_denorm_mode_32 3
		.amdhsa_float_denorm_mode_16_64 3
		.amdhsa_dx10_clamp 1
		.amdhsa_ieee_mode 1
		.amdhsa_fp16_overflow 0
		.amdhsa_tg_split 0
		.amdhsa_exception_fp_ieee_invalid_op 0
		.amdhsa_exception_fp_denorm_src 0
		.amdhsa_exception_fp_ieee_div_zero 0
		.amdhsa_exception_fp_ieee_overflow 0
		.amdhsa_exception_fp_ieee_underflow 0
		.amdhsa_exception_fp_ieee_inexact 0
		.amdhsa_exception_int_div_zero 0
	.end_amdhsa_kernel
	.section	.text._ZN7rocprim17ROCPRIM_400000_NS6detail17trampoline_kernelINS0_14default_configENS1_38merge_sort_block_merge_config_selectorIlNS0_10empty_typeEEEZZNS1_27merge_sort_block_merge_implIS3_PlPS5_mZN2at6native12_GLOBAL__N_124unique_dim_cuda_templateImEESt5tupleIJNSA_6TensorESF_SF_EERKSF_lbbbEUlllE_EE10hipError_tT0_T1_T2_jT3_P12ihipStream_tbPNSt15iterator_traitsISL_E10value_typeEPNSR_ISM_E10value_typeEPSN_NS1_7vsmem_tEENKUlT_SL_SM_SN_E_clIS8_S8_S9_S9_EESK_S10_SL_SM_SN_EUlS10_E1_NS1_11comp_targetILNS1_3genE10ELNS1_11target_archE1201ELNS1_3gpuE5ELNS1_3repE0EEENS1_36merge_oddeven_config_static_selectorELNS0_4arch9wavefront6targetE1EEEvSM_,"axG",@progbits,_ZN7rocprim17ROCPRIM_400000_NS6detail17trampoline_kernelINS0_14default_configENS1_38merge_sort_block_merge_config_selectorIlNS0_10empty_typeEEEZZNS1_27merge_sort_block_merge_implIS3_PlPS5_mZN2at6native12_GLOBAL__N_124unique_dim_cuda_templateImEESt5tupleIJNSA_6TensorESF_SF_EERKSF_lbbbEUlllE_EE10hipError_tT0_T1_T2_jT3_P12ihipStream_tbPNSt15iterator_traitsISL_E10value_typeEPNSR_ISM_E10value_typeEPSN_NS1_7vsmem_tEENKUlT_SL_SM_SN_E_clIS8_S8_S9_S9_EESK_S10_SL_SM_SN_EUlS10_E1_NS1_11comp_targetILNS1_3genE10ELNS1_11target_archE1201ELNS1_3gpuE5ELNS1_3repE0EEENS1_36merge_oddeven_config_static_selectorELNS0_4arch9wavefront6targetE1EEEvSM_,comdat
.Lfunc_end1642:
	.size	_ZN7rocprim17ROCPRIM_400000_NS6detail17trampoline_kernelINS0_14default_configENS1_38merge_sort_block_merge_config_selectorIlNS0_10empty_typeEEEZZNS1_27merge_sort_block_merge_implIS3_PlPS5_mZN2at6native12_GLOBAL__N_124unique_dim_cuda_templateImEESt5tupleIJNSA_6TensorESF_SF_EERKSF_lbbbEUlllE_EE10hipError_tT0_T1_T2_jT3_P12ihipStream_tbPNSt15iterator_traitsISL_E10value_typeEPNSR_ISM_E10value_typeEPSN_NS1_7vsmem_tEENKUlT_SL_SM_SN_E_clIS8_S8_S9_S9_EESK_S10_SL_SM_SN_EUlS10_E1_NS1_11comp_targetILNS1_3genE10ELNS1_11target_archE1201ELNS1_3gpuE5ELNS1_3repE0EEENS1_36merge_oddeven_config_static_selectorELNS0_4arch9wavefront6targetE1EEEvSM_, .Lfunc_end1642-_ZN7rocprim17ROCPRIM_400000_NS6detail17trampoline_kernelINS0_14default_configENS1_38merge_sort_block_merge_config_selectorIlNS0_10empty_typeEEEZZNS1_27merge_sort_block_merge_implIS3_PlPS5_mZN2at6native12_GLOBAL__N_124unique_dim_cuda_templateImEESt5tupleIJNSA_6TensorESF_SF_EERKSF_lbbbEUlllE_EE10hipError_tT0_T1_T2_jT3_P12ihipStream_tbPNSt15iterator_traitsISL_E10value_typeEPNSR_ISM_E10value_typeEPSN_NS1_7vsmem_tEENKUlT_SL_SM_SN_E_clIS8_S8_S9_S9_EESK_S10_SL_SM_SN_EUlS10_E1_NS1_11comp_targetILNS1_3genE10ELNS1_11target_archE1201ELNS1_3gpuE5ELNS1_3repE0EEENS1_36merge_oddeven_config_static_selectorELNS0_4arch9wavefront6targetE1EEEvSM_
                                        ; -- End function
	.section	.AMDGPU.csdata,"",@progbits
; Kernel info:
; codeLenInByte = 0
; NumSgprs: 6
; NumVgprs: 0
; NumAgprs: 0
; TotalNumVgprs: 0
; ScratchSize: 0
; MemoryBound: 0
; FloatMode: 240
; IeeeMode: 1
; LDSByteSize: 0 bytes/workgroup (compile time only)
; SGPRBlocks: 0
; VGPRBlocks: 0
; NumSGPRsForWavesPerEU: 6
; NumVGPRsForWavesPerEU: 1
; AccumOffset: 4
; Occupancy: 8
; WaveLimiterHint : 0
; COMPUTE_PGM_RSRC2:SCRATCH_EN: 0
; COMPUTE_PGM_RSRC2:USER_SGPR: 2
; COMPUTE_PGM_RSRC2:TRAP_HANDLER: 0
; COMPUTE_PGM_RSRC2:TGID_X_EN: 1
; COMPUTE_PGM_RSRC2:TGID_Y_EN: 0
; COMPUTE_PGM_RSRC2:TGID_Z_EN: 0
; COMPUTE_PGM_RSRC2:TIDIG_COMP_CNT: 0
; COMPUTE_PGM_RSRC3_GFX90A:ACCUM_OFFSET: 0
; COMPUTE_PGM_RSRC3_GFX90A:TG_SPLIT: 0
	.section	.text._ZN7rocprim17ROCPRIM_400000_NS6detail17trampoline_kernelINS0_14default_configENS1_38merge_sort_block_merge_config_selectorIlNS0_10empty_typeEEEZZNS1_27merge_sort_block_merge_implIS3_PlPS5_mZN2at6native12_GLOBAL__N_124unique_dim_cuda_templateImEESt5tupleIJNSA_6TensorESF_SF_EERKSF_lbbbEUlllE_EE10hipError_tT0_T1_T2_jT3_P12ihipStream_tbPNSt15iterator_traitsISL_E10value_typeEPNSR_ISM_E10value_typeEPSN_NS1_7vsmem_tEENKUlT_SL_SM_SN_E_clIS8_S8_S9_S9_EESK_S10_SL_SM_SN_EUlS10_E1_NS1_11comp_targetILNS1_3genE5ELNS1_11target_archE942ELNS1_3gpuE9ELNS1_3repE0EEENS1_36merge_oddeven_config_static_selectorELNS0_4arch9wavefront6targetE1EEEvSM_,"axG",@progbits,_ZN7rocprim17ROCPRIM_400000_NS6detail17trampoline_kernelINS0_14default_configENS1_38merge_sort_block_merge_config_selectorIlNS0_10empty_typeEEEZZNS1_27merge_sort_block_merge_implIS3_PlPS5_mZN2at6native12_GLOBAL__N_124unique_dim_cuda_templateImEESt5tupleIJNSA_6TensorESF_SF_EERKSF_lbbbEUlllE_EE10hipError_tT0_T1_T2_jT3_P12ihipStream_tbPNSt15iterator_traitsISL_E10value_typeEPNSR_ISM_E10value_typeEPSN_NS1_7vsmem_tEENKUlT_SL_SM_SN_E_clIS8_S8_S9_S9_EESK_S10_SL_SM_SN_EUlS10_E1_NS1_11comp_targetILNS1_3genE5ELNS1_11target_archE942ELNS1_3gpuE9ELNS1_3repE0EEENS1_36merge_oddeven_config_static_selectorELNS0_4arch9wavefront6targetE1EEEvSM_,comdat
	.globl	_ZN7rocprim17ROCPRIM_400000_NS6detail17trampoline_kernelINS0_14default_configENS1_38merge_sort_block_merge_config_selectorIlNS0_10empty_typeEEEZZNS1_27merge_sort_block_merge_implIS3_PlPS5_mZN2at6native12_GLOBAL__N_124unique_dim_cuda_templateImEESt5tupleIJNSA_6TensorESF_SF_EERKSF_lbbbEUlllE_EE10hipError_tT0_T1_T2_jT3_P12ihipStream_tbPNSt15iterator_traitsISL_E10value_typeEPNSR_ISM_E10value_typeEPSN_NS1_7vsmem_tEENKUlT_SL_SM_SN_E_clIS8_S8_S9_S9_EESK_S10_SL_SM_SN_EUlS10_E1_NS1_11comp_targetILNS1_3genE5ELNS1_11target_archE942ELNS1_3gpuE9ELNS1_3repE0EEENS1_36merge_oddeven_config_static_selectorELNS0_4arch9wavefront6targetE1EEEvSM_ ; -- Begin function _ZN7rocprim17ROCPRIM_400000_NS6detail17trampoline_kernelINS0_14default_configENS1_38merge_sort_block_merge_config_selectorIlNS0_10empty_typeEEEZZNS1_27merge_sort_block_merge_implIS3_PlPS5_mZN2at6native12_GLOBAL__N_124unique_dim_cuda_templateImEESt5tupleIJNSA_6TensorESF_SF_EERKSF_lbbbEUlllE_EE10hipError_tT0_T1_T2_jT3_P12ihipStream_tbPNSt15iterator_traitsISL_E10value_typeEPNSR_ISM_E10value_typeEPSN_NS1_7vsmem_tEENKUlT_SL_SM_SN_E_clIS8_S8_S9_S9_EESK_S10_SL_SM_SN_EUlS10_E1_NS1_11comp_targetILNS1_3genE5ELNS1_11target_archE942ELNS1_3gpuE9ELNS1_3repE0EEENS1_36merge_oddeven_config_static_selectorELNS0_4arch9wavefront6targetE1EEEvSM_
	.p2align	8
	.type	_ZN7rocprim17ROCPRIM_400000_NS6detail17trampoline_kernelINS0_14default_configENS1_38merge_sort_block_merge_config_selectorIlNS0_10empty_typeEEEZZNS1_27merge_sort_block_merge_implIS3_PlPS5_mZN2at6native12_GLOBAL__N_124unique_dim_cuda_templateImEESt5tupleIJNSA_6TensorESF_SF_EERKSF_lbbbEUlllE_EE10hipError_tT0_T1_T2_jT3_P12ihipStream_tbPNSt15iterator_traitsISL_E10value_typeEPNSR_ISM_E10value_typeEPSN_NS1_7vsmem_tEENKUlT_SL_SM_SN_E_clIS8_S8_S9_S9_EESK_S10_SL_SM_SN_EUlS10_E1_NS1_11comp_targetILNS1_3genE5ELNS1_11target_archE942ELNS1_3gpuE9ELNS1_3repE0EEENS1_36merge_oddeven_config_static_selectorELNS0_4arch9wavefront6targetE1EEEvSM_,@function
_ZN7rocprim17ROCPRIM_400000_NS6detail17trampoline_kernelINS0_14default_configENS1_38merge_sort_block_merge_config_selectorIlNS0_10empty_typeEEEZZNS1_27merge_sort_block_merge_implIS3_PlPS5_mZN2at6native12_GLOBAL__N_124unique_dim_cuda_templateImEESt5tupleIJNSA_6TensorESF_SF_EERKSF_lbbbEUlllE_EE10hipError_tT0_T1_T2_jT3_P12ihipStream_tbPNSt15iterator_traitsISL_E10value_typeEPNSR_ISM_E10value_typeEPSN_NS1_7vsmem_tEENKUlT_SL_SM_SN_E_clIS8_S8_S9_S9_EESK_S10_SL_SM_SN_EUlS10_E1_NS1_11comp_targetILNS1_3genE5ELNS1_11target_archE942ELNS1_3gpuE9ELNS1_3repE0EEENS1_36merge_oddeven_config_static_selectorELNS0_4arch9wavefront6targetE1EEEvSM_: ; @_ZN7rocprim17ROCPRIM_400000_NS6detail17trampoline_kernelINS0_14default_configENS1_38merge_sort_block_merge_config_selectorIlNS0_10empty_typeEEEZZNS1_27merge_sort_block_merge_implIS3_PlPS5_mZN2at6native12_GLOBAL__N_124unique_dim_cuda_templateImEESt5tupleIJNSA_6TensorESF_SF_EERKSF_lbbbEUlllE_EE10hipError_tT0_T1_T2_jT3_P12ihipStream_tbPNSt15iterator_traitsISL_E10value_typeEPNSR_ISM_E10value_typeEPSN_NS1_7vsmem_tEENKUlT_SL_SM_SN_E_clIS8_S8_S9_S9_EESK_S10_SL_SM_SN_EUlS10_E1_NS1_11comp_targetILNS1_3genE5ELNS1_11target_archE942ELNS1_3gpuE9ELNS1_3repE0EEENS1_36merge_oddeven_config_static_selectorELNS0_4arch9wavefront6targetE1EEEvSM_
; %bb.0:
	s_load_dword s22, s[0:1], 0x20
	s_waitcnt lgkmcnt(0)
	s_lshr_b32 s3, s22, 8
	s_cmp_lg_u32 s2, s3
	s_cselect_b64 s[12:13], -1, 0
	s_cmp_eq_u32 s2, s3
	s_cselect_b64 s[6:7], -1, 0
	s_lshl_b32 s20, s2, 8
	s_sub_i32 s3, s22, s20
	v_cmp_gt_u32_e64 s[4:5], s3, v0
	s_or_b64 s[8:9], s[12:13], s[4:5]
	s_and_saveexec_b64 s[10:11], s[8:9]
	s_cbranch_execz .LBB1643_54
; %bb.1:
	s_load_dwordx4 s[8:11], s[0:1], 0x0
	s_load_dword s23, s[0:1], 0x28
	s_mov_b32 s21, 0
	s_lshl_b64 s[14:15], s[20:21], 3
	v_lshlrev_b32_e32 v1, 3, v0
	s_waitcnt lgkmcnt(0)
	s_add_u32 s14, s8, s14
	s_addc_u32 s15, s9, s15
	global_load_dwordx2 v[2:3], v1, s[14:15]
	s_lshr_b32 s3, s23, 8
	s_sub_i32 s14, 0, s3
	s_and_b32 s2, s2, s14
	s_and_b32 s3, s2, s3
	s_cmp_lg_u32 s3, 0
	s_cselect_b64 s[16:17], -1, 0
	s_lshl_b32 s21, s2, 8
	s_sub_i32 s2, 0, s23
	s_cmp_eq_u32 s3, 0
	s_cselect_b32 s33, s23, s2
	s_add_i32 s33, s33, s21
	s_cmp_lt_u32 s33, s22
	s_cbranch_scc1 .LBB1643_3
; %bb.2:
	v_add_u32_e32 v4, s20, v0
	v_cmp_gt_u32_e32 vcc, s22, v4
	s_or_b64 s[12:13], vcc, s[12:13]
	s_and_b64 s[18:19], s[12:13], exec
	s_cbranch_execz .LBB1643_4
	s_branch .LBB1643_52
.LBB1643_3:
	s_mov_b64 s[18:19], 0
                                        ; implicit-def: $vgpr4
.LBB1643_4:
	s_load_dwordx4 s[12:15], s[0:1], 0x30
	s_min_u32 s44, s33, s22
	s_add_i32 s0, s44, s23
	s_min_u32 s45, s0, s22
	s_min_u32 s0, s21, s44
	v_add_u32_e32 v0, s20, v0
	s_add_i32 s21, s21, s44
	v_subrev_u32_e32 v0, s21, v0
	v_add_u32_e32 v14, s0, v0
	s_and_b64 vcc, exec, s[6:7]
	s_cbranch_vccz .LBB1643_26
; %bb.5:
                                        ; implicit-def: $vgpr4
	s_and_saveexec_b64 s[20:21], s[4:5]
	s_cbranch_execz .LBB1643_29
; %bb.6:
	s_cmp_ge_u32 s33, s45
	v_mov_b32_e32 v15, s44
	s_cbranch_scc1 .LBB1643_28
; %bb.7:
	s_waitcnt vmcnt(0) lgkmcnt(0)
	v_mul_lo_u32 v0, v3, s12
	v_mul_lo_u32 v1, v2, s13
	v_mad_u64_u32 v[4:5], s[0:1], v2, s12, 0
	v_cndmask_b32_e64 v6, 0, 1, s[16:17]
	v_cmp_gt_i64_e64 s[2:3], s[12:13], 0
	v_add3_u32 v5, v5, v1, v0
	v_cmp_ne_u32_e64 s[0:1], 1, v6
	v_cndmask_b32_e64 v6, 0, 1, s[2:3]
	s_mov_b64 s[22:23], 0
	v_mov_b64_e32 v[0:1], s[14:15]
	v_lshl_add_u64 v[4:5], v[4:5], 3, s[14:15]
	s_lshl_b64 s[24:25], s[12:13], 3
	v_mov_b32_e32 v16, s45
	v_mov_b32_e32 v15, s44
	;; [unrolled: 1-line block ×3, first 2 shown]
	v_cmp_ne_u32_e64 s[2:3], 1, v6
	s_branch .LBB1643_10
.LBB1643_8:                             ;   in Loop: Header=BB1643_10 Depth=1
	s_or_b64 exec, exec, s[28:29]
.LBB1643_9:                             ;   in Loop: Header=BB1643_10 Depth=1
	s_waitcnt vmcnt(0)
	v_add_u32_e32 v8, 1, v6
	v_cndmask_b32_e64 v16, v6, v16, s[26:27]
	v_cndmask_b32_e64 v15, v15, v8, s[26:27]
	v_cmp_ge_u32_e32 vcc, v15, v16
	s_or_b64 s[22:23], vcc, s[22:23]
	s_andn2_b64 exec, exec, s[22:23]
	s_cbranch_execz .LBB1643_27
.LBB1643_10:                            ; =>This Loop Header: Depth=1
                                        ;     Child Loop BB1643_14 Depth 2
                                        ;     Child Loop BB1643_23 Depth 2
	v_add_u32_e32 v6, v15, v16
	v_lshrrev_b32_e32 v6, 1, v6
	v_lshl_add_u64 v[8:9], v[6:7], 3, s[8:9]
	global_load_dwordx2 v[8:9], v[8:9], off
	s_and_b64 vcc, exec, s[0:1]
	s_mov_b64 s[4:5], -1
                                        ; implicit-def: $sgpr26_sgpr27
	s_cbranch_vccnz .LBB1643_19
; %bb.11:                               ;   in Loop: Header=BB1643_10 Depth=1
	s_and_b64 vcc, exec, s[2:3]
	s_cbranch_vccnz .LBB1643_17
; %bb.12:                               ;   in Loop: Header=BB1643_10 Depth=1
	s_waitcnt vmcnt(0)
	v_mad_u64_u32 v[10:11], s[4:5], s24, v8, v[0:1]
	v_mul_lo_u32 v12, s24, v9
	v_mul_lo_u32 v13, s25, v8
	v_add3_u32 v11, v13, v11, v12
	s_mov_b64 s[28:29], 0
	s_mov_b64 s[36:37], s[12:13]
	v_mov_b64_e32 v[12:13], v[4:5]
                                        ; implicit-def: $sgpr26_sgpr27
                                        ; implicit-def: $sgpr30_sgpr31
                                        ; implicit-def: $sgpr34_sgpr35
                                        ; implicit-def: $sgpr4_sgpr5
                                        ; implicit-def: $sgpr38_sgpr39
	s_branch .LBB1643_14
.LBB1643_13:                            ;   in Loop: Header=BB1643_14 Depth=2
	s_or_b64 exec, exec, s[40:41]
	s_and_b64 s[6:7], exec, s[30:31]
	s_or_b64 s[28:29], s[6:7], s[28:29]
	s_andn2_b64 s[6:7], s[38:39], exec
	s_and_b64 s[38:39], s[34:35], exec
	s_or_b64 s[38:39], s[6:7], s[38:39]
	s_andn2_b64 s[6:7], s[26:27], exec
	s_and_b64 s[26:27], s[4:5], exec
	s_or_b64 s[26:27], s[6:7], s[26:27]
	s_andn2_b64 exec, exec, s[28:29]
	s_cbranch_execz .LBB1643_16
.LBB1643_14:                            ;   Parent Loop BB1643_10 Depth=1
                                        ; =>  This Inner Loop Header: Depth=2
	global_load_dwordx2 v[18:19], v[12:13], off
	global_load_dwordx2 v[20:21], v[10:11], off
	s_andn2_b64 s[40:41], s[4:5], exec
	s_andn2_b64 s[34:35], s[34:35], exec
	s_or_b64 s[30:31], s[30:31], exec
	s_waitcnt vmcnt(0)
	v_cmp_le_u64_e64 s[4:5], v[18:19], v[20:21]
	v_cmp_lt_u64_e32 vcc, v[18:19], v[20:21]
	s_and_b64 s[4:5], s[4:5], s[38:39]
	s_or_b64 s[42:43], vcc, s[4:5]
	s_and_b64 s[4:5], s[42:43], exec
	v_cmp_eq_u64_e64 s[6:7], v[18:19], v[20:21]
	s_or_b64 s[4:5], s[40:41], s[4:5]
	s_and_saveexec_b64 s[40:41], s[6:7]
	s_cbranch_execz .LBB1643_13
; %bb.15:                               ;   in Loop: Header=BB1643_14 Depth=2
	s_add_u32 s36, s36, -1
	s_addc_u32 s37, s37, -1
	s_cmp_eq_u64 s[36:37], 0
	s_cselect_b64 s[6:7], -1, 0
	s_andn2_b64 s[34:35], s[34:35], exec
	s_and_b64 s[38:39], s[42:43], exec
	s_andn2_b64 s[30:31], s[30:31], exec
	s_and_b64 s[6:7], s[6:7], exec
	v_lshl_add_u64 v[12:13], v[12:13], 0, 8
	v_lshl_add_u64 v[10:11], v[10:11], 0, 8
	s_andn2_b64 s[4:5], s[4:5], exec
	s_or_b64 s[34:35], s[34:35], s[38:39]
	s_or_b64 s[30:31], s[30:31], s[6:7]
                                        ; implicit-def: $sgpr38_sgpr39
	s_branch .LBB1643_13
.LBB1643_16:                            ;   in Loop: Header=BB1643_10 Depth=1
	s_or_b64 exec, exec, s[28:29]
	s_branch .LBB1643_18
.LBB1643_17:                            ;   in Loop: Header=BB1643_10 Depth=1
	s_mov_b64 s[26:27], 0
.LBB1643_18:                            ;   in Loop: Header=BB1643_10 Depth=1
	s_xor_b64 s[26:27], s[26:27], -1
	s_mov_b64 s[4:5], 0
.LBB1643_19:                            ;   in Loop: Header=BB1643_10 Depth=1
	s_and_b64 vcc, exec, s[4:5]
	s_cbranch_vccz .LBB1643_9
; %bb.20:                               ;   in Loop: Header=BB1643_10 Depth=1
	s_and_b64 vcc, exec, s[2:3]
	s_cbranch_vccnz .LBB1643_25
; %bb.21:                               ;   in Loop: Header=BB1643_10 Depth=1
	s_waitcnt vmcnt(0)
	v_mad_u64_u32 v[10:11], s[4:5], s24, v8, v[0:1]
	v_mul_lo_u32 v9, s24, v9
	v_mul_lo_u32 v8, s25, v8
	v_add3_u32 v11, v8, v11, v9
	s_mov_b64 s[28:29], 0
	s_mov_b64 s[36:37], s[12:13]
	v_mov_b64_e32 v[8:9], v[4:5]
                                        ; implicit-def: $sgpr26_sgpr27
                                        ; implicit-def: $sgpr30_sgpr31
                                        ; implicit-def: $sgpr34_sgpr35
                                        ; implicit-def: $sgpr4_sgpr5
                                        ; implicit-def: $sgpr38_sgpr39
	s_branch .LBB1643_23
.LBB1643_22:                            ;   in Loop: Header=BB1643_23 Depth=2
	s_or_b64 exec, exec, s[40:41]
	s_and_b64 s[6:7], exec, s[30:31]
	s_or_b64 s[28:29], s[6:7], s[28:29]
	s_andn2_b64 s[6:7], s[38:39], exec
	s_and_b64 s[38:39], s[34:35], exec
	s_or_b64 s[38:39], s[6:7], s[38:39]
	s_andn2_b64 s[6:7], s[26:27], exec
	s_and_b64 s[26:27], s[4:5], exec
	s_or_b64 s[26:27], s[6:7], s[26:27]
	s_andn2_b64 exec, exec, s[28:29]
	s_cbranch_execz .LBB1643_8
.LBB1643_23:                            ;   Parent Loop BB1643_10 Depth=1
                                        ; =>  This Inner Loop Header: Depth=2
	global_load_dwordx2 v[12:13], v[10:11], off
	global_load_dwordx2 v[18:19], v[8:9], off
	s_andn2_b64 s[40:41], s[4:5], exec
	s_andn2_b64 s[34:35], s[34:35], exec
	s_or_b64 s[30:31], s[30:31], exec
	s_waitcnt vmcnt(0)
	v_cmp_le_u64_e64 s[4:5], v[12:13], v[18:19]
	v_cmp_lt_u64_e32 vcc, v[12:13], v[18:19]
	s_and_b64 s[4:5], s[4:5], s[38:39]
	s_or_b64 s[42:43], vcc, s[4:5]
	s_and_b64 s[4:5], s[42:43], exec
	v_cmp_eq_u64_e64 s[6:7], v[12:13], v[18:19]
	s_or_b64 s[4:5], s[40:41], s[4:5]
	s_and_saveexec_b64 s[40:41], s[6:7]
	s_cbranch_execz .LBB1643_22
; %bb.24:                               ;   in Loop: Header=BB1643_23 Depth=2
	s_add_u32 s36, s36, -1
	s_addc_u32 s37, s37, -1
	s_cmp_eq_u64 s[36:37], 0
	s_cselect_b64 s[6:7], -1, 0
	s_andn2_b64 s[34:35], s[34:35], exec
	s_and_b64 s[38:39], s[42:43], exec
	s_andn2_b64 s[30:31], s[30:31], exec
	s_and_b64 s[6:7], s[6:7], exec
	v_lshl_add_u64 v[10:11], v[10:11], 0, 8
	v_lshl_add_u64 v[8:9], v[8:9], 0, 8
	s_andn2_b64 s[4:5], s[4:5], exec
	s_or_b64 s[34:35], s[34:35], s[38:39]
	s_or_b64 s[30:31], s[30:31], s[6:7]
                                        ; implicit-def: $sgpr38_sgpr39
	s_branch .LBB1643_22
.LBB1643_25:                            ;   in Loop: Header=BB1643_10 Depth=1
	s_mov_b64 s[26:27], 0
	s_branch .LBB1643_9
.LBB1643_26:
                                        ; implicit-def: $vgpr4
	s_cbranch_execnz .LBB1643_30
	s_branch .LBB1643_52
.LBB1643_27:
	s_or_b64 exec, exec, s[22:23]
.LBB1643_28:
	v_add_u32_e32 v4, v15, v14
	s_or_b64 s[18:19], s[18:19], exec
.LBB1643_29:
	s_or_b64 exec, exec, s[20:21]
	s_branch .LBB1643_52
.LBB1643_30:
	s_cmp_ge_u32 s33, s45
	v_mov_b32_e32 v15, s44
	s_cbranch_scc1 .LBB1643_51
; %bb.31:
	s_waitcnt vmcnt(0) lgkmcnt(0)
	v_mul_lo_u32 v0, v3, s12
	v_mul_lo_u32 v1, v2, s13
	v_mad_u64_u32 v[4:5], s[0:1], v2, s12, 0
	v_cndmask_b32_e64 v6, 0, 1, s[16:17]
	v_cmp_gt_i64_e64 s[2:3], s[12:13], 0
	v_add3_u32 v5, v5, v1, v0
	v_cmp_ne_u32_e64 s[0:1], 1, v6
	v_cndmask_b32_e64 v6, 0, 1, s[2:3]
	s_mov_b64 s[18:19], 0
	v_mov_b64_e32 v[0:1], s[14:15]
	v_lshl_add_u64 v[4:5], v[4:5], 3, s[14:15]
	s_lshl_b64 s[14:15], s[12:13], 3
	v_mov_b32_e32 v16, s45
	v_mov_b32_e32 v15, s44
	;; [unrolled: 1-line block ×3, first 2 shown]
	v_cmp_ne_u32_e64 s[2:3], 1, v6
	s_branch .LBB1643_34
.LBB1643_32:                            ;   in Loop: Header=BB1643_34 Depth=1
	s_or_b64 exec, exec, s[20:21]
.LBB1643_33:                            ;   in Loop: Header=BB1643_34 Depth=1
	s_waitcnt vmcnt(0)
	v_add_u32_e32 v8, 1, v6
	v_cndmask_b32_e64 v16, v6, v16, s[16:17]
	v_cndmask_b32_e64 v15, v15, v8, s[16:17]
	v_cmp_ge_u32_e32 vcc, v15, v16
	s_or_b64 s[18:19], vcc, s[18:19]
	s_andn2_b64 exec, exec, s[18:19]
	s_cbranch_execz .LBB1643_50
.LBB1643_34:                            ; =>This Loop Header: Depth=1
                                        ;     Child Loop BB1643_38 Depth 2
                                        ;     Child Loop BB1643_47 Depth 2
	v_add_u32_e32 v6, v15, v16
	v_lshrrev_b32_e32 v6, 1, v6
	v_lshl_add_u64 v[8:9], v[6:7], 3, s[8:9]
	global_load_dwordx2 v[8:9], v[8:9], off
	s_and_b64 vcc, exec, s[0:1]
	s_mov_b64 s[4:5], -1
                                        ; implicit-def: $sgpr16_sgpr17
	s_cbranch_vccnz .LBB1643_43
; %bb.35:                               ;   in Loop: Header=BB1643_34 Depth=1
	s_and_b64 vcc, exec, s[2:3]
	s_cbranch_vccnz .LBB1643_41
; %bb.36:                               ;   in Loop: Header=BB1643_34 Depth=1
	s_waitcnt vmcnt(0)
	v_mad_u64_u32 v[10:11], s[4:5], s14, v8, v[0:1]
	v_mul_lo_u32 v12, s14, v9
	v_mul_lo_u32 v13, s15, v8
	v_add3_u32 v11, v13, v11, v12
	s_mov_b64 s[20:21], 0
	s_mov_b64 s[26:27], s[12:13]
	v_mov_b64_e32 v[12:13], v[4:5]
                                        ; implicit-def: $sgpr16_sgpr17
                                        ; implicit-def: $sgpr22_sgpr23
                                        ; implicit-def: $sgpr24_sgpr25
                                        ; implicit-def: $sgpr4_sgpr5
                                        ; implicit-def: $sgpr28_sgpr29
	s_branch .LBB1643_38
.LBB1643_37:                            ;   in Loop: Header=BB1643_38 Depth=2
	s_or_b64 exec, exec, s[30:31]
	s_and_b64 s[6:7], exec, s[22:23]
	s_or_b64 s[20:21], s[6:7], s[20:21]
	s_andn2_b64 s[6:7], s[28:29], exec
	s_and_b64 s[28:29], s[24:25], exec
	s_or_b64 s[28:29], s[6:7], s[28:29]
	s_andn2_b64 s[6:7], s[16:17], exec
	s_and_b64 s[16:17], s[4:5], exec
	s_or_b64 s[16:17], s[6:7], s[16:17]
	s_andn2_b64 exec, exec, s[20:21]
	s_cbranch_execz .LBB1643_40
.LBB1643_38:                            ;   Parent Loop BB1643_34 Depth=1
                                        ; =>  This Inner Loop Header: Depth=2
	global_load_dwordx2 v[18:19], v[12:13], off
	global_load_dwordx2 v[20:21], v[10:11], off
	s_andn2_b64 s[30:31], s[4:5], exec
	s_andn2_b64 s[24:25], s[24:25], exec
	s_or_b64 s[22:23], s[22:23], exec
	s_waitcnt vmcnt(0)
	v_cmp_le_u64_e64 s[4:5], v[18:19], v[20:21]
	v_cmp_lt_u64_e32 vcc, v[18:19], v[20:21]
	s_and_b64 s[4:5], s[4:5], s[28:29]
	s_or_b64 s[34:35], vcc, s[4:5]
	s_and_b64 s[4:5], s[34:35], exec
	v_cmp_eq_u64_e64 s[6:7], v[18:19], v[20:21]
	s_or_b64 s[4:5], s[30:31], s[4:5]
	s_and_saveexec_b64 s[30:31], s[6:7]
	s_cbranch_execz .LBB1643_37
; %bb.39:                               ;   in Loop: Header=BB1643_38 Depth=2
	s_add_u32 s26, s26, -1
	s_addc_u32 s27, s27, -1
	s_cmp_eq_u64 s[26:27], 0
	s_cselect_b64 s[6:7], -1, 0
	s_andn2_b64 s[24:25], s[24:25], exec
	s_and_b64 s[28:29], s[34:35], exec
	s_andn2_b64 s[22:23], s[22:23], exec
	s_and_b64 s[6:7], s[6:7], exec
	v_lshl_add_u64 v[12:13], v[12:13], 0, 8
	v_lshl_add_u64 v[10:11], v[10:11], 0, 8
	s_andn2_b64 s[4:5], s[4:5], exec
	s_or_b64 s[24:25], s[24:25], s[28:29]
	s_or_b64 s[22:23], s[22:23], s[6:7]
                                        ; implicit-def: $sgpr28_sgpr29
	s_branch .LBB1643_37
.LBB1643_40:                            ;   in Loop: Header=BB1643_34 Depth=1
	s_or_b64 exec, exec, s[20:21]
	s_branch .LBB1643_42
.LBB1643_41:                            ;   in Loop: Header=BB1643_34 Depth=1
	s_mov_b64 s[16:17], 0
.LBB1643_42:                            ;   in Loop: Header=BB1643_34 Depth=1
	s_xor_b64 s[16:17], s[16:17], -1
	s_mov_b64 s[4:5], 0
.LBB1643_43:                            ;   in Loop: Header=BB1643_34 Depth=1
	s_and_b64 vcc, exec, s[4:5]
	s_cbranch_vccz .LBB1643_33
; %bb.44:                               ;   in Loop: Header=BB1643_34 Depth=1
	s_and_b64 vcc, exec, s[2:3]
	s_cbranch_vccnz .LBB1643_49
; %bb.45:                               ;   in Loop: Header=BB1643_34 Depth=1
	s_waitcnt vmcnt(0)
	v_mad_u64_u32 v[10:11], s[4:5], s14, v8, v[0:1]
	v_mul_lo_u32 v9, s14, v9
	v_mul_lo_u32 v8, s15, v8
	v_add3_u32 v11, v8, v11, v9
	s_mov_b64 s[20:21], 0
	s_mov_b64 s[26:27], s[12:13]
	v_mov_b64_e32 v[8:9], v[4:5]
                                        ; implicit-def: $sgpr16_sgpr17
                                        ; implicit-def: $sgpr22_sgpr23
                                        ; implicit-def: $sgpr24_sgpr25
                                        ; implicit-def: $sgpr4_sgpr5
                                        ; implicit-def: $sgpr28_sgpr29
	s_branch .LBB1643_47
.LBB1643_46:                            ;   in Loop: Header=BB1643_47 Depth=2
	s_or_b64 exec, exec, s[30:31]
	s_and_b64 s[6:7], exec, s[22:23]
	s_or_b64 s[20:21], s[6:7], s[20:21]
	s_andn2_b64 s[6:7], s[28:29], exec
	s_and_b64 s[28:29], s[24:25], exec
	s_or_b64 s[28:29], s[6:7], s[28:29]
	s_andn2_b64 s[6:7], s[16:17], exec
	s_and_b64 s[16:17], s[4:5], exec
	s_or_b64 s[16:17], s[6:7], s[16:17]
	s_andn2_b64 exec, exec, s[20:21]
	s_cbranch_execz .LBB1643_32
.LBB1643_47:                            ;   Parent Loop BB1643_34 Depth=1
                                        ; =>  This Inner Loop Header: Depth=2
	global_load_dwordx2 v[12:13], v[10:11], off
	global_load_dwordx2 v[18:19], v[8:9], off
	s_andn2_b64 s[30:31], s[4:5], exec
	s_andn2_b64 s[24:25], s[24:25], exec
	s_or_b64 s[22:23], s[22:23], exec
	s_waitcnt vmcnt(0)
	v_cmp_le_u64_e64 s[4:5], v[12:13], v[18:19]
	v_cmp_lt_u64_e32 vcc, v[12:13], v[18:19]
	s_and_b64 s[4:5], s[4:5], s[28:29]
	s_or_b64 s[34:35], vcc, s[4:5]
	s_and_b64 s[4:5], s[34:35], exec
	v_cmp_eq_u64_e64 s[6:7], v[12:13], v[18:19]
	s_or_b64 s[4:5], s[30:31], s[4:5]
	s_and_saveexec_b64 s[30:31], s[6:7]
	s_cbranch_execz .LBB1643_46
; %bb.48:                               ;   in Loop: Header=BB1643_47 Depth=2
	s_add_u32 s26, s26, -1
	s_addc_u32 s27, s27, -1
	s_cmp_eq_u64 s[26:27], 0
	s_cselect_b64 s[6:7], -1, 0
	s_andn2_b64 s[24:25], s[24:25], exec
	s_and_b64 s[28:29], s[34:35], exec
	s_andn2_b64 s[22:23], s[22:23], exec
	s_and_b64 s[6:7], s[6:7], exec
	v_lshl_add_u64 v[10:11], v[10:11], 0, 8
	v_lshl_add_u64 v[8:9], v[8:9], 0, 8
	s_andn2_b64 s[4:5], s[4:5], exec
	s_or_b64 s[24:25], s[24:25], s[28:29]
	s_or_b64 s[22:23], s[22:23], s[6:7]
                                        ; implicit-def: $sgpr28_sgpr29
	s_branch .LBB1643_46
.LBB1643_49:                            ;   in Loop: Header=BB1643_34 Depth=1
	s_mov_b64 s[16:17], 0
	s_branch .LBB1643_33
.LBB1643_50:
	s_or_b64 exec, exec, s[18:19]
.LBB1643_51:
	v_add_u32_e32 v4, v15, v14
	s_mov_b64 s[18:19], -1
.LBB1643_52:
	s_and_b64 exec, exec, s[18:19]
	s_cbranch_execz .LBB1643_54
; %bb.53:
	v_mov_b32_e32 v0, s10
	v_mov_b32_e32 v1, s11
	;; [unrolled: 1-line block ×3, first 2 shown]
	v_lshl_add_u64 v[0:1], v[4:5], 3, v[0:1]
	s_waitcnt vmcnt(0)
	global_store_dwordx2 v[0:1], v[2:3], off
.LBB1643_54:
	s_endpgm
	.section	.rodata,"a",@progbits
	.p2align	6, 0x0
	.amdhsa_kernel _ZN7rocprim17ROCPRIM_400000_NS6detail17trampoline_kernelINS0_14default_configENS1_38merge_sort_block_merge_config_selectorIlNS0_10empty_typeEEEZZNS1_27merge_sort_block_merge_implIS3_PlPS5_mZN2at6native12_GLOBAL__N_124unique_dim_cuda_templateImEESt5tupleIJNSA_6TensorESF_SF_EERKSF_lbbbEUlllE_EE10hipError_tT0_T1_T2_jT3_P12ihipStream_tbPNSt15iterator_traitsISL_E10value_typeEPNSR_ISM_E10value_typeEPSN_NS1_7vsmem_tEENKUlT_SL_SM_SN_E_clIS8_S8_S9_S9_EESK_S10_SL_SM_SN_EUlS10_E1_NS1_11comp_targetILNS1_3genE5ELNS1_11target_archE942ELNS1_3gpuE9ELNS1_3repE0EEENS1_36merge_oddeven_config_static_selectorELNS0_4arch9wavefront6targetE1EEEvSM_
		.amdhsa_group_segment_fixed_size 0
		.amdhsa_private_segment_fixed_size 0
		.amdhsa_kernarg_size 64
		.amdhsa_user_sgpr_count 2
		.amdhsa_user_sgpr_dispatch_ptr 0
		.amdhsa_user_sgpr_queue_ptr 0
		.amdhsa_user_sgpr_kernarg_segment_ptr 1
		.amdhsa_user_sgpr_dispatch_id 0
		.amdhsa_user_sgpr_kernarg_preload_length 0
		.amdhsa_user_sgpr_kernarg_preload_offset 0
		.amdhsa_user_sgpr_private_segment_size 0
		.amdhsa_uses_dynamic_stack 0
		.amdhsa_enable_private_segment 0
		.amdhsa_system_sgpr_workgroup_id_x 1
		.amdhsa_system_sgpr_workgroup_id_y 0
		.amdhsa_system_sgpr_workgroup_id_z 0
		.amdhsa_system_sgpr_workgroup_info 0
		.amdhsa_system_vgpr_workitem_id 0
		.amdhsa_next_free_vgpr 22
		.amdhsa_next_free_sgpr 46
		.amdhsa_accum_offset 24
		.amdhsa_reserve_vcc 1
		.amdhsa_float_round_mode_32 0
		.amdhsa_float_round_mode_16_64 0
		.amdhsa_float_denorm_mode_32 3
		.amdhsa_float_denorm_mode_16_64 3
		.amdhsa_dx10_clamp 1
		.amdhsa_ieee_mode 1
		.amdhsa_fp16_overflow 0
		.amdhsa_tg_split 0
		.amdhsa_exception_fp_ieee_invalid_op 0
		.amdhsa_exception_fp_denorm_src 0
		.amdhsa_exception_fp_ieee_div_zero 0
		.amdhsa_exception_fp_ieee_overflow 0
		.amdhsa_exception_fp_ieee_underflow 0
		.amdhsa_exception_fp_ieee_inexact 0
		.amdhsa_exception_int_div_zero 0
	.end_amdhsa_kernel
	.section	.text._ZN7rocprim17ROCPRIM_400000_NS6detail17trampoline_kernelINS0_14default_configENS1_38merge_sort_block_merge_config_selectorIlNS0_10empty_typeEEEZZNS1_27merge_sort_block_merge_implIS3_PlPS5_mZN2at6native12_GLOBAL__N_124unique_dim_cuda_templateImEESt5tupleIJNSA_6TensorESF_SF_EERKSF_lbbbEUlllE_EE10hipError_tT0_T1_T2_jT3_P12ihipStream_tbPNSt15iterator_traitsISL_E10value_typeEPNSR_ISM_E10value_typeEPSN_NS1_7vsmem_tEENKUlT_SL_SM_SN_E_clIS8_S8_S9_S9_EESK_S10_SL_SM_SN_EUlS10_E1_NS1_11comp_targetILNS1_3genE5ELNS1_11target_archE942ELNS1_3gpuE9ELNS1_3repE0EEENS1_36merge_oddeven_config_static_selectorELNS0_4arch9wavefront6targetE1EEEvSM_,"axG",@progbits,_ZN7rocprim17ROCPRIM_400000_NS6detail17trampoline_kernelINS0_14default_configENS1_38merge_sort_block_merge_config_selectorIlNS0_10empty_typeEEEZZNS1_27merge_sort_block_merge_implIS3_PlPS5_mZN2at6native12_GLOBAL__N_124unique_dim_cuda_templateImEESt5tupleIJNSA_6TensorESF_SF_EERKSF_lbbbEUlllE_EE10hipError_tT0_T1_T2_jT3_P12ihipStream_tbPNSt15iterator_traitsISL_E10value_typeEPNSR_ISM_E10value_typeEPSN_NS1_7vsmem_tEENKUlT_SL_SM_SN_E_clIS8_S8_S9_S9_EESK_S10_SL_SM_SN_EUlS10_E1_NS1_11comp_targetILNS1_3genE5ELNS1_11target_archE942ELNS1_3gpuE9ELNS1_3repE0EEENS1_36merge_oddeven_config_static_selectorELNS0_4arch9wavefront6targetE1EEEvSM_,comdat
.Lfunc_end1643:
	.size	_ZN7rocprim17ROCPRIM_400000_NS6detail17trampoline_kernelINS0_14default_configENS1_38merge_sort_block_merge_config_selectorIlNS0_10empty_typeEEEZZNS1_27merge_sort_block_merge_implIS3_PlPS5_mZN2at6native12_GLOBAL__N_124unique_dim_cuda_templateImEESt5tupleIJNSA_6TensorESF_SF_EERKSF_lbbbEUlllE_EE10hipError_tT0_T1_T2_jT3_P12ihipStream_tbPNSt15iterator_traitsISL_E10value_typeEPNSR_ISM_E10value_typeEPSN_NS1_7vsmem_tEENKUlT_SL_SM_SN_E_clIS8_S8_S9_S9_EESK_S10_SL_SM_SN_EUlS10_E1_NS1_11comp_targetILNS1_3genE5ELNS1_11target_archE942ELNS1_3gpuE9ELNS1_3repE0EEENS1_36merge_oddeven_config_static_selectorELNS0_4arch9wavefront6targetE1EEEvSM_, .Lfunc_end1643-_ZN7rocprim17ROCPRIM_400000_NS6detail17trampoline_kernelINS0_14default_configENS1_38merge_sort_block_merge_config_selectorIlNS0_10empty_typeEEEZZNS1_27merge_sort_block_merge_implIS3_PlPS5_mZN2at6native12_GLOBAL__N_124unique_dim_cuda_templateImEESt5tupleIJNSA_6TensorESF_SF_EERKSF_lbbbEUlllE_EE10hipError_tT0_T1_T2_jT3_P12ihipStream_tbPNSt15iterator_traitsISL_E10value_typeEPNSR_ISM_E10value_typeEPSN_NS1_7vsmem_tEENKUlT_SL_SM_SN_E_clIS8_S8_S9_S9_EESK_S10_SL_SM_SN_EUlS10_E1_NS1_11comp_targetILNS1_3genE5ELNS1_11target_archE942ELNS1_3gpuE9ELNS1_3repE0EEENS1_36merge_oddeven_config_static_selectorELNS0_4arch9wavefront6targetE1EEEvSM_
                                        ; -- End function
	.section	.AMDGPU.csdata,"",@progbits
; Kernel info:
; codeLenInByte = 1784
; NumSgprs: 52
; NumVgprs: 22
; NumAgprs: 0
; TotalNumVgprs: 22
; ScratchSize: 0
; MemoryBound: 0
; FloatMode: 240
; IeeeMode: 1
; LDSByteSize: 0 bytes/workgroup (compile time only)
; SGPRBlocks: 6
; VGPRBlocks: 2
; NumSGPRsForWavesPerEU: 52
; NumVGPRsForWavesPerEU: 22
; AccumOffset: 24
; Occupancy: 8
; WaveLimiterHint : 0
; COMPUTE_PGM_RSRC2:SCRATCH_EN: 0
; COMPUTE_PGM_RSRC2:USER_SGPR: 2
; COMPUTE_PGM_RSRC2:TRAP_HANDLER: 0
; COMPUTE_PGM_RSRC2:TGID_X_EN: 1
; COMPUTE_PGM_RSRC2:TGID_Y_EN: 0
; COMPUTE_PGM_RSRC2:TGID_Z_EN: 0
; COMPUTE_PGM_RSRC2:TIDIG_COMP_CNT: 0
; COMPUTE_PGM_RSRC3_GFX90A:ACCUM_OFFSET: 5
; COMPUTE_PGM_RSRC3_GFX90A:TG_SPLIT: 0
	.section	.text._ZN7rocprim17ROCPRIM_400000_NS6detail17trampoline_kernelINS0_14default_configENS1_38merge_sort_block_merge_config_selectorIlNS0_10empty_typeEEEZZNS1_27merge_sort_block_merge_implIS3_PlPS5_mZN2at6native12_GLOBAL__N_124unique_dim_cuda_templateImEESt5tupleIJNSA_6TensorESF_SF_EERKSF_lbbbEUlllE_EE10hipError_tT0_T1_T2_jT3_P12ihipStream_tbPNSt15iterator_traitsISL_E10value_typeEPNSR_ISM_E10value_typeEPSN_NS1_7vsmem_tEENKUlT_SL_SM_SN_E_clIS8_S8_S9_S9_EESK_S10_SL_SM_SN_EUlS10_E1_NS1_11comp_targetILNS1_3genE4ELNS1_11target_archE910ELNS1_3gpuE8ELNS1_3repE0EEENS1_36merge_oddeven_config_static_selectorELNS0_4arch9wavefront6targetE1EEEvSM_,"axG",@progbits,_ZN7rocprim17ROCPRIM_400000_NS6detail17trampoline_kernelINS0_14default_configENS1_38merge_sort_block_merge_config_selectorIlNS0_10empty_typeEEEZZNS1_27merge_sort_block_merge_implIS3_PlPS5_mZN2at6native12_GLOBAL__N_124unique_dim_cuda_templateImEESt5tupleIJNSA_6TensorESF_SF_EERKSF_lbbbEUlllE_EE10hipError_tT0_T1_T2_jT3_P12ihipStream_tbPNSt15iterator_traitsISL_E10value_typeEPNSR_ISM_E10value_typeEPSN_NS1_7vsmem_tEENKUlT_SL_SM_SN_E_clIS8_S8_S9_S9_EESK_S10_SL_SM_SN_EUlS10_E1_NS1_11comp_targetILNS1_3genE4ELNS1_11target_archE910ELNS1_3gpuE8ELNS1_3repE0EEENS1_36merge_oddeven_config_static_selectorELNS0_4arch9wavefront6targetE1EEEvSM_,comdat
	.globl	_ZN7rocprim17ROCPRIM_400000_NS6detail17trampoline_kernelINS0_14default_configENS1_38merge_sort_block_merge_config_selectorIlNS0_10empty_typeEEEZZNS1_27merge_sort_block_merge_implIS3_PlPS5_mZN2at6native12_GLOBAL__N_124unique_dim_cuda_templateImEESt5tupleIJNSA_6TensorESF_SF_EERKSF_lbbbEUlllE_EE10hipError_tT0_T1_T2_jT3_P12ihipStream_tbPNSt15iterator_traitsISL_E10value_typeEPNSR_ISM_E10value_typeEPSN_NS1_7vsmem_tEENKUlT_SL_SM_SN_E_clIS8_S8_S9_S9_EESK_S10_SL_SM_SN_EUlS10_E1_NS1_11comp_targetILNS1_3genE4ELNS1_11target_archE910ELNS1_3gpuE8ELNS1_3repE0EEENS1_36merge_oddeven_config_static_selectorELNS0_4arch9wavefront6targetE1EEEvSM_ ; -- Begin function _ZN7rocprim17ROCPRIM_400000_NS6detail17trampoline_kernelINS0_14default_configENS1_38merge_sort_block_merge_config_selectorIlNS0_10empty_typeEEEZZNS1_27merge_sort_block_merge_implIS3_PlPS5_mZN2at6native12_GLOBAL__N_124unique_dim_cuda_templateImEESt5tupleIJNSA_6TensorESF_SF_EERKSF_lbbbEUlllE_EE10hipError_tT0_T1_T2_jT3_P12ihipStream_tbPNSt15iterator_traitsISL_E10value_typeEPNSR_ISM_E10value_typeEPSN_NS1_7vsmem_tEENKUlT_SL_SM_SN_E_clIS8_S8_S9_S9_EESK_S10_SL_SM_SN_EUlS10_E1_NS1_11comp_targetILNS1_3genE4ELNS1_11target_archE910ELNS1_3gpuE8ELNS1_3repE0EEENS1_36merge_oddeven_config_static_selectorELNS0_4arch9wavefront6targetE1EEEvSM_
	.p2align	8
	.type	_ZN7rocprim17ROCPRIM_400000_NS6detail17trampoline_kernelINS0_14default_configENS1_38merge_sort_block_merge_config_selectorIlNS0_10empty_typeEEEZZNS1_27merge_sort_block_merge_implIS3_PlPS5_mZN2at6native12_GLOBAL__N_124unique_dim_cuda_templateImEESt5tupleIJNSA_6TensorESF_SF_EERKSF_lbbbEUlllE_EE10hipError_tT0_T1_T2_jT3_P12ihipStream_tbPNSt15iterator_traitsISL_E10value_typeEPNSR_ISM_E10value_typeEPSN_NS1_7vsmem_tEENKUlT_SL_SM_SN_E_clIS8_S8_S9_S9_EESK_S10_SL_SM_SN_EUlS10_E1_NS1_11comp_targetILNS1_3genE4ELNS1_11target_archE910ELNS1_3gpuE8ELNS1_3repE0EEENS1_36merge_oddeven_config_static_selectorELNS0_4arch9wavefront6targetE1EEEvSM_,@function
_ZN7rocprim17ROCPRIM_400000_NS6detail17trampoline_kernelINS0_14default_configENS1_38merge_sort_block_merge_config_selectorIlNS0_10empty_typeEEEZZNS1_27merge_sort_block_merge_implIS3_PlPS5_mZN2at6native12_GLOBAL__N_124unique_dim_cuda_templateImEESt5tupleIJNSA_6TensorESF_SF_EERKSF_lbbbEUlllE_EE10hipError_tT0_T1_T2_jT3_P12ihipStream_tbPNSt15iterator_traitsISL_E10value_typeEPNSR_ISM_E10value_typeEPSN_NS1_7vsmem_tEENKUlT_SL_SM_SN_E_clIS8_S8_S9_S9_EESK_S10_SL_SM_SN_EUlS10_E1_NS1_11comp_targetILNS1_3genE4ELNS1_11target_archE910ELNS1_3gpuE8ELNS1_3repE0EEENS1_36merge_oddeven_config_static_selectorELNS0_4arch9wavefront6targetE1EEEvSM_: ; @_ZN7rocprim17ROCPRIM_400000_NS6detail17trampoline_kernelINS0_14default_configENS1_38merge_sort_block_merge_config_selectorIlNS0_10empty_typeEEEZZNS1_27merge_sort_block_merge_implIS3_PlPS5_mZN2at6native12_GLOBAL__N_124unique_dim_cuda_templateImEESt5tupleIJNSA_6TensorESF_SF_EERKSF_lbbbEUlllE_EE10hipError_tT0_T1_T2_jT3_P12ihipStream_tbPNSt15iterator_traitsISL_E10value_typeEPNSR_ISM_E10value_typeEPSN_NS1_7vsmem_tEENKUlT_SL_SM_SN_E_clIS8_S8_S9_S9_EESK_S10_SL_SM_SN_EUlS10_E1_NS1_11comp_targetILNS1_3genE4ELNS1_11target_archE910ELNS1_3gpuE8ELNS1_3repE0EEENS1_36merge_oddeven_config_static_selectorELNS0_4arch9wavefront6targetE1EEEvSM_
; %bb.0:
	.section	.rodata,"a",@progbits
	.p2align	6, 0x0
	.amdhsa_kernel _ZN7rocprim17ROCPRIM_400000_NS6detail17trampoline_kernelINS0_14default_configENS1_38merge_sort_block_merge_config_selectorIlNS0_10empty_typeEEEZZNS1_27merge_sort_block_merge_implIS3_PlPS5_mZN2at6native12_GLOBAL__N_124unique_dim_cuda_templateImEESt5tupleIJNSA_6TensorESF_SF_EERKSF_lbbbEUlllE_EE10hipError_tT0_T1_T2_jT3_P12ihipStream_tbPNSt15iterator_traitsISL_E10value_typeEPNSR_ISM_E10value_typeEPSN_NS1_7vsmem_tEENKUlT_SL_SM_SN_E_clIS8_S8_S9_S9_EESK_S10_SL_SM_SN_EUlS10_E1_NS1_11comp_targetILNS1_3genE4ELNS1_11target_archE910ELNS1_3gpuE8ELNS1_3repE0EEENS1_36merge_oddeven_config_static_selectorELNS0_4arch9wavefront6targetE1EEEvSM_
		.amdhsa_group_segment_fixed_size 0
		.amdhsa_private_segment_fixed_size 0
		.amdhsa_kernarg_size 64
		.amdhsa_user_sgpr_count 2
		.amdhsa_user_sgpr_dispatch_ptr 0
		.amdhsa_user_sgpr_queue_ptr 0
		.amdhsa_user_sgpr_kernarg_segment_ptr 1
		.amdhsa_user_sgpr_dispatch_id 0
		.amdhsa_user_sgpr_kernarg_preload_length 0
		.amdhsa_user_sgpr_kernarg_preload_offset 0
		.amdhsa_user_sgpr_private_segment_size 0
		.amdhsa_uses_dynamic_stack 0
		.amdhsa_enable_private_segment 0
		.amdhsa_system_sgpr_workgroup_id_x 1
		.amdhsa_system_sgpr_workgroup_id_y 0
		.amdhsa_system_sgpr_workgroup_id_z 0
		.amdhsa_system_sgpr_workgroup_info 0
		.amdhsa_system_vgpr_workitem_id 0
		.amdhsa_next_free_vgpr 1
		.amdhsa_next_free_sgpr 0
		.amdhsa_accum_offset 4
		.amdhsa_reserve_vcc 0
		.amdhsa_float_round_mode_32 0
		.amdhsa_float_round_mode_16_64 0
		.amdhsa_float_denorm_mode_32 3
		.amdhsa_float_denorm_mode_16_64 3
		.amdhsa_dx10_clamp 1
		.amdhsa_ieee_mode 1
		.amdhsa_fp16_overflow 0
		.amdhsa_tg_split 0
		.amdhsa_exception_fp_ieee_invalid_op 0
		.amdhsa_exception_fp_denorm_src 0
		.amdhsa_exception_fp_ieee_div_zero 0
		.amdhsa_exception_fp_ieee_overflow 0
		.amdhsa_exception_fp_ieee_underflow 0
		.amdhsa_exception_fp_ieee_inexact 0
		.amdhsa_exception_int_div_zero 0
	.end_amdhsa_kernel
	.section	.text._ZN7rocprim17ROCPRIM_400000_NS6detail17trampoline_kernelINS0_14default_configENS1_38merge_sort_block_merge_config_selectorIlNS0_10empty_typeEEEZZNS1_27merge_sort_block_merge_implIS3_PlPS5_mZN2at6native12_GLOBAL__N_124unique_dim_cuda_templateImEESt5tupleIJNSA_6TensorESF_SF_EERKSF_lbbbEUlllE_EE10hipError_tT0_T1_T2_jT3_P12ihipStream_tbPNSt15iterator_traitsISL_E10value_typeEPNSR_ISM_E10value_typeEPSN_NS1_7vsmem_tEENKUlT_SL_SM_SN_E_clIS8_S8_S9_S9_EESK_S10_SL_SM_SN_EUlS10_E1_NS1_11comp_targetILNS1_3genE4ELNS1_11target_archE910ELNS1_3gpuE8ELNS1_3repE0EEENS1_36merge_oddeven_config_static_selectorELNS0_4arch9wavefront6targetE1EEEvSM_,"axG",@progbits,_ZN7rocprim17ROCPRIM_400000_NS6detail17trampoline_kernelINS0_14default_configENS1_38merge_sort_block_merge_config_selectorIlNS0_10empty_typeEEEZZNS1_27merge_sort_block_merge_implIS3_PlPS5_mZN2at6native12_GLOBAL__N_124unique_dim_cuda_templateImEESt5tupleIJNSA_6TensorESF_SF_EERKSF_lbbbEUlllE_EE10hipError_tT0_T1_T2_jT3_P12ihipStream_tbPNSt15iterator_traitsISL_E10value_typeEPNSR_ISM_E10value_typeEPSN_NS1_7vsmem_tEENKUlT_SL_SM_SN_E_clIS8_S8_S9_S9_EESK_S10_SL_SM_SN_EUlS10_E1_NS1_11comp_targetILNS1_3genE4ELNS1_11target_archE910ELNS1_3gpuE8ELNS1_3repE0EEENS1_36merge_oddeven_config_static_selectorELNS0_4arch9wavefront6targetE1EEEvSM_,comdat
.Lfunc_end1644:
	.size	_ZN7rocprim17ROCPRIM_400000_NS6detail17trampoline_kernelINS0_14default_configENS1_38merge_sort_block_merge_config_selectorIlNS0_10empty_typeEEEZZNS1_27merge_sort_block_merge_implIS3_PlPS5_mZN2at6native12_GLOBAL__N_124unique_dim_cuda_templateImEESt5tupleIJNSA_6TensorESF_SF_EERKSF_lbbbEUlllE_EE10hipError_tT0_T1_T2_jT3_P12ihipStream_tbPNSt15iterator_traitsISL_E10value_typeEPNSR_ISM_E10value_typeEPSN_NS1_7vsmem_tEENKUlT_SL_SM_SN_E_clIS8_S8_S9_S9_EESK_S10_SL_SM_SN_EUlS10_E1_NS1_11comp_targetILNS1_3genE4ELNS1_11target_archE910ELNS1_3gpuE8ELNS1_3repE0EEENS1_36merge_oddeven_config_static_selectorELNS0_4arch9wavefront6targetE1EEEvSM_, .Lfunc_end1644-_ZN7rocprim17ROCPRIM_400000_NS6detail17trampoline_kernelINS0_14default_configENS1_38merge_sort_block_merge_config_selectorIlNS0_10empty_typeEEEZZNS1_27merge_sort_block_merge_implIS3_PlPS5_mZN2at6native12_GLOBAL__N_124unique_dim_cuda_templateImEESt5tupleIJNSA_6TensorESF_SF_EERKSF_lbbbEUlllE_EE10hipError_tT0_T1_T2_jT3_P12ihipStream_tbPNSt15iterator_traitsISL_E10value_typeEPNSR_ISM_E10value_typeEPSN_NS1_7vsmem_tEENKUlT_SL_SM_SN_E_clIS8_S8_S9_S9_EESK_S10_SL_SM_SN_EUlS10_E1_NS1_11comp_targetILNS1_3genE4ELNS1_11target_archE910ELNS1_3gpuE8ELNS1_3repE0EEENS1_36merge_oddeven_config_static_selectorELNS0_4arch9wavefront6targetE1EEEvSM_
                                        ; -- End function
	.section	.AMDGPU.csdata,"",@progbits
; Kernel info:
; codeLenInByte = 0
; NumSgprs: 6
; NumVgprs: 0
; NumAgprs: 0
; TotalNumVgprs: 0
; ScratchSize: 0
; MemoryBound: 0
; FloatMode: 240
; IeeeMode: 1
; LDSByteSize: 0 bytes/workgroup (compile time only)
; SGPRBlocks: 0
; VGPRBlocks: 0
; NumSGPRsForWavesPerEU: 6
; NumVGPRsForWavesPerEU: 1
; AccumOffset: 4
; Occupancy: 8
; WaveLimiterHint : 0
; COMPUTE_PGM_RSRC2:SCRATCH_EN: 0
; COMPUTE_PGM_RSRC2:USER_SGPR: 2
; COMPUTE_PGM_RSRC2:TRAP_HANDLER: 0
; COMPUTE_PGM_RSRC2:TGID_X_EN: 1
; COMPUTE_PGM_RSRC2:TGID_Y_EN: 0
; COMPUTE_PGM_RSRC2:TGID_Z_EN: 0
; COMPUTE_PGM_RSRC2:TIDIG_COMP_CNT: 0
; COMPUTE_PGM_RSRC3_GFX90A:ACCUM_OFFSET: 0
; COMPUTE_PGM_RSRC3_GFX90A:TG_SPLIT: 0
	.section	.text._ZN7rocprim17ROCPRIM_400000_NS6detail17trampoline_kernelINS0_14default_configENS1_38merge_sort_block_merge_config_selectorIlNS0_10empty_typeEEEZZNS1_27merge_sort_block_merge_implIS3_PlPS5_mZN2at6native12_GLOBAL__N_124unique_dim_cuda_templateImEESt5tupleIJNSA_6TensorESF_SF_EERKSF_lbbbEUlllE_EE10hipError_tT0_T1_T2_jT3_P12ihipStream_tbPNSt15iterator_traitsISL_E10value_typeEPNSR_ISM_E10value_typeEPSN_NS1_7vsmem_tEENKUlT_SL_SM_SN_E_clIS8_S8_S9_S9_EESK_S10_SL_SM_SN_EUlS10_E1_NS1_11comp_targetILNS1_3genE3ELNS1_11target_archE908ELNS1_3gpuE7ELNS1_3repE0EEENS1_36merge_oddeven_config_static_selectorELNS0_4arch9wavefront6targetE1EEEvSM_,"axG",@progbits,_ZN7rocprim17ROCPRIM_400000_NS6detail17trampoline_kernelINS0_14default_configENS1_38merge_sort_block_merge_config_selectorIlNS0_10empty_typeEEEZZNS1_27merge_sort_block_merge_implIS3_PlPS5_mZN2at6native12_GLOBAL__N_124unique_dim_cuda_templateImEESt5tupleIJNSA_6TensorESF_SF_EERKSF_lbbbEUlllE_EE10hipError_tT0_T1_T2_jT3_P12ihipStream_tbPNSt15iterator_traitsISL_E10value_typeEPNSR_ISM_E10value_typeEPSN_NS1_7vsmem_tEENKUlT_SL_SM_SN_E_clIS8_S8_S9_S9_EESK_S10_SL_SM_SN_EUlS10_E1_NS1_11comp_targetILNS1_3genE3ELNS1_11target_archE908ELNS1_3gpuE7ELNS1_3repE0EEENS1_36merge_oddeven_config_static_selectorELNS0_4arch9wavefront6targetE1EEEvSM_,comdat
	.globl	_ZN7rocprim17ROCPRIM_400000_NS6detail17trampoline_kernelINS0_14default_configENS1_38merge_sort_block_merge_config_selectorIlNS0_10empty_typeEEEZZNS1_27merge_sort_block_merge_implIS3_PlPS5_mZN2at6native12_GLOBAL__N_124unique_dim_cuda_templateImEESt5tupleIJNSA_6TensorESF_SF_EERKSF_lbbbEUlllE_EE10hipError_tT0_T1_T2_jT3_P12ihipStream_tbPNSt15iterator_traitsISL_E10value_typeEPNSR_ISM_E10value_typeEPSN_NS1_7vsmem_tEENKUlT_SL_SM_SN_E_clIS8_S8_S9_S9_EESK_S10_SL_SM_SN_EUlS10_E1_NS1_11comp_targetILNS1_3genE3ELNS1_11target_archE908ELNS1_3gpuE7ELNS1_3repE0EEENS1_36merge_oddeven_config_static_selectorELNS0_4arch9wavefront6targetE1EEEvSM_ ; -- Begin function _ZN7rocprim17ROCPRIM_400000_NS6detail17trampoline_kernelINS0_14default_configENS1_38merge_sort_block_merge_config_selectorIlNS0_10empty_typeEEEZZNS1_27merge_sort_block_merge_implIS3_PlPS5_mZN2at6native12_GLOBAL__N_124unique_dim_cuda_templateImEESt5tupleIJNSA_6TensorESF_SF_EERKSF_lbbbEUlllE_EE10hipError_tT0_T1_T2_jT3_P12ihipStream_tbPNSt15iterator_traitsISL_E10value_typeEPNSR_ISM_E10value_typeEPSN_NS1_7vsmem_tEENKUlT_SL_SM_SN_E_clIS8_S8_S9_S9_EESK_S10_SL_SM_SN_EUlS10_E1_NS1_11comp_targetILNS1_3genE3ELNS1_11target_archE908ELNS1_3gpuE7ELNS1_3repE0EEENS1_36merge_oddeven_config_static_selectorELNS0_4arch9wavefront6targetE1EEEvSM_
	.p2align	8
	.type	_ZN7rocprim17ROCPRIM_400000_NS6detail17trampoline_kernelINS0_14default_configENS1_38merge_sort_block_merge_config_selectorIlNS0_10empty_typeEEEZZNS1_27merge_sort_block_merge_implIS3_PlPS5_mZN2at6native12_GLOBAL__N_124unique_dim_cuda_templateImEESt5tupleIJNSA_6TensorESF_SF_EERKSF_lbbbEUlllE_EE10hipError_tT0_T1_T2_jT3_P12ihipStream_tbPNSt15iterator_traitsISL_E10value_typeEPNSR_ISM_E10value_typeEPSN_NS1_7vsmem_tEENKUlT_SL_SM_SN_E_clIS8_S8_S9_S9_EESK_S10_SL_SM_SN_EUlS10_E1_NS1_11comp_targetILNS1_3genE3ELNS1_11target_archE908ELNS1_3gpuE7ELNS1_3repE0EEENS1_36merge_oddeven_config_static_selectorELNS0_4arch9wavefront6targetE1EEEvSM_,@function
_ZN7rocprim17ROCPRIM_400000_NS6detail17trampoline_kernelINS0_14default_configENS1_38merge_sort_block_merge_config_selectorIlNS0_10empty_typeEEEZZNS1_27merge_sort_block_merge_implIS3_PlPS5_mZN2at6native12_GLOBAL__N_124unique_dim_cuda_templateImEESt5tupleIJNSA_6TensorESF_SF_EERKSF_lbbbEUlllE_EE10hipError_tT0_T1_T2_jT3_P12ihipStream_tbPNSt15iterator_traitsISL_E10value_typeEPNSR_ISM_E10value_typeEPSN_NS1_7vsmem_tEENKUlT_SL_SM_SN_E_clIS8_S8_S9_S9_EESK_S10_SL_SM_SN_EUlS10_E1_NS1_11comp_targetILNS1_3genE3ELNS1_11target_archE908ELNS1_3gpuE7ELNS1_3repE0EEENS1_36merge_oddeven_config_static_selectorELNS0_4arch9wavefront6targetE1EEEvSM_: ; @_ZN7rocprim17ROCPRIM_400000_NS6detail17trampoline_kernelINS0_14default_configENS1_38merge_sort_block_merge_config_selectorIlNS0_10empty_typeEEEZZNS1_27merge_sort_block_merge_implIS3_PlPS5_mZN2at6native12_GLOBAL__N_124unique_dim_cuda_templateImEESt5tupleIJNSA_6TensorESF_SF_EERKSF_lbbbEUlllE_EE10hipError_tT0_T1_T2_jT3_P12ihipStream_tbPNSt15iterator_traitsISL_E10value_typeEPNSR_ISM_E10value_typeEPSN_NS1_7vsmem_tEENKUlT_SL_SM_SN_E_clIS8_S8_S9_S9_EESK_S10_SL_SM_SN_EUlS10_E1_NS1_11comp_targetILNS1_3genE3ELNS1_11target_archE908ELNS1_3gpuE7ELNS1_3repE0EEENS1_36merge_oddeven_config_static_selectorELNS0_4arch9wavefront6targetE1EEEvSM_
; %bb.0:
	.section	.rodata,"a",@progbits
	.p2align	6, 0x0
	.amdhsa_kernel _ZN7rocprim17ROCPRIM_400000_NS6detail17trampoline_kernelINS0_14default_configENS1_38merge_sort_block_merge_config_selectorIlNS0_10empty_typeEEEZZNS1_27merge_sort_block_merge_implIS3_PlPS5_mZN2at6native12_GLOBAL__N_124unique_dim_cuda_templateImEESt5tupleIJNSA_6TensorESF_SF_EERKSF_lbbbEUlllE_EE10hipError_tT0_T1_T2_jT3_P12ihipStream_tbPNSt15iterator_traitsISL_E10value_typeEPNSR_ISM_E10value_typeEPSN_NS1_7vsmem_tEENKUlT_SL_SM_SN_E_clIS8_S8_S9_S9_EESK_S10_SL_SM_SN_EUlS10_E1_NS1_11comp_targetILNS1_3genE3ELNS1_11target_archE908ELNS1_3gpuE7ELNS1_3repE0EEENS1_36merge_oddeven_config_static_selectorELNS0_4arch9wavefront6targetE1EEEvSM_
		.amdhsa_group_segment_fixed_size 0
		.amdhsa_private_segment_fixed_size 0
		.amdhsa_kernarg_size 64
		.amdhsa_user_sgpr_count 2
		.amdhsa_user_sgpr_dispatch_ptr 0
		.amdhsa_user_sgpr_queue_ptr 0
		.amdhsa_user_sgpr_kernarg_segment_ptr 1
		.amdhsa_user_sgpr_dispatch_id 0
		.amdhsa_user_sgpr_kernarg_preload_length 0
		.amdhsa_user_sgpr_kernarg_preload_offset 0
		.amdhsa_user_sgpr_private_segment_size 0
		.amdhsa_uses_dynamic_stack 0
		.amdhsa_enable_private_segment 0
		.amdhsa_system_sgpr_workgroup_id_x 1
		.amdhsa_system_sgpr_workgroup_id_y 0
		.amdhsa_system_sgpr_workgroup_id_z 0
		.amdhsa_system_sgpr_workgroup_info 0
		.amdhsa_system_vgpr_workitem_id 0
		.amdhsa_next_free_vgpr 1
		.amdhsa_next_free_sgpr 0
		.amdhsa_accum_offset 4
		.amdhsa_reserve_vcc 0
		.amdhsa_float_round_mode_32 0
		.amdhsa_float_round_mode_16_64 0
		.amdhsa_float_denorm_mode_32 3
		.amdhsa_float_denorm_mode_16_64 3
		.amdhsa_dx10_clamp 1
		.amdhsa_ieee_mode 1
		.amdhsa_fp16_overflow 0
		.amdhsa_tg_split 0
		.amdhsa_exception_fp_ieee_invalid_op 0
		.amdhsa_exception_fp_denorm_src 0
		.amdhsa_exception_fp_ieee_div_zero 0
		.amdhsa_exception_fp_ieee_overflow 0
		.amdhsa_exception_fp_ieee_underflow 0
		.amdhsa_exception_fp_ieee_inexact 0
		.amdhsa_exception_int_div_zero 0
	.end_amdhsa_kernel
	.section	.text._ZN7rocprim17ROCPRIM_400000_NS6detail17trampoline_kernelINS0_14default_configENS1_38merge_sort_block_merge_config_selectorIlNS0_10empty_typeEEEZZNS1_27merge_sort_block_merge_implIS3_PlPS5_mZN2at6native12_GLOBAL__N_124unique_dim_cuda_templateImEESt5tupleIJNSA_6TensorESF_SF_EERKSF_lbbbEUlllE_EE10hipError_tT0_T1_T2_jT3_P12ihipStream_tbPNSt15iterator_traitsISL_E10value_typeEPNSR_ISM_E10value_typeEPSN_NS1_7vsmem_tEENKUlT_SL_SM_SN_E_clIS8_S8_S9_S9_EESK_S10_SL_SM_SN_EUlS10_E1_NS1_11comp_targetILNS1_3genE3ELNS1_11target_archE908ELNS1_3gpuE7ELNS1_3repE0EEENS1_36merge_oddeven_config_static_selectorELNS0_4arch9wavefront6targetE1EEEvSM_,"axG",@progbits,_ZN7rocprim17ROCPRIM_400000_NS6detail17trampoline_kernelINS0_14default_configENS1_38merge_sort_block_merge_config_selectorIlNS0_10empty_typeEEEZZNS1_27merge_sort_block_merge_implIS3_PlPS5_mZN2at6native12_GLOBAL__N_124unique_dim_cuda_templateImEESt5tupleIJNSA_6TensorESF_SF_EERKSF_lbbbEUlllE_EE10hipError_tT0_T1_T2_jT3_P12ihipStream_tbPNSt15iterator_traitsISL_E10value_typeEPNSR_ISM_E10value_typeEPSN_NS1_7vsmem_tEENKUlT_SL_SM_SN_E_clIS8_S8_S9_S9_EESK_S10_SL_SM_SN_EUlS10_E1_NS1_11comp_targetILNS1_3genE3ELNS1_11target_archE908ELNS1_3gpuE7ELNS1_3repE0EEENS1_36merge_oddeven_config_static_selectorELNS0_4arch9wavefront6targetE1EEEvSM_,comdat
.Lfunc_end1645:
	.size	_ZN7rocprim17ROCPRIM_400000_NS6detail17trampoline_kernelINS0_14default_configENS1_38merge_sort_block_merge_config_selectorIlNS0_10empty_typeEEEZZNS1_27merge_sort_block_merge_implIS3_PlPS5_mZN2at6native12_GLOBAL__N_124unique_dim_cuda_templateImEESt5tupleIJNSA_6TensorESF_SF_EERKSF_lbbbEUlllE_EE10hipError_tT0_T1_T2_jT3_P12ihipStream_tbPNSt15iterator_traitsISL_E10value_typeEPNSR_ISM_E10value_typeEPSN_NS1_7vsmem_tEENKUlT_SL_SM_SN_E_clIS8_S8_S9_S9_EESK_S10_SL_SM_SN_EUlS10_E1_NS1_11comp_targetILNS1_3genE3ELNS1_11target_archE908ELNS1_3gpuE7ELNS1_3repE0EEENS1_36merge_oddeven_config_static_selectorELNS0_4arch9wavefront6targetE1EEEvSM_, .Lfunc_end1645-_ZN7rocprim17ROCPRIM_400000_NS6detail17trampoline_kernelINS0_14default_configENS1_38merge_sort_block_merge_config_selectorIlNS0_10empty_typeEEEZZNS1_27merge_sort_block_merge_implIS3_PlPS5_mZN2at6native12_GLOBAL__N_124unique_dim_cuda_templateImEESt5tupleIJNSA_6TensorESF_SF_EERKSF_lbbbEUlllE_EE10hipError_tT0_T1_T2_jT3_P12ihipStream_tbPNSt15iterator_traitsISL_E10value_typeEPNSR_ISM_E10value_typeEPSN_NS1_7vsmem_tEENKUlT_SL_SM_SN_E_clIS8_S8_S9_S9_EESK_S10_SL_SM_SN_EUlS10_E1_NS1_11comp_targetILNS1_3genE3ELNS1_11target_archE908ELNS1_3gpuE7ELNS1_3repE0EEENS1_36merge_oddeven_config_static_selectorELNS0_4arch9wavefront6targetE1EEEvSM_
                                        ; -- End function
	.section	.AMDGPU.csdata,"",@progbits
; Kernel info:
; codeLenInByte = 0
; NumSgprs: 6
; NumVgprs: 0
; NumAgprs: 0
; TotalNumVgprs: 0
; ScratchSize: 0
; MemoryBound: 0
; FloatMode: 240
; IeeeMode: 1
; LDSByteSize: 0 bytes/workgroup (compile time only)
; SGPRBlocks: 0
; VGPRBlocks: 0
; NumSGPRsForWavesPerEU: 6
; NumVGPRsForWavesPerEU: 1
; AccumOffset: 4
; Occupancy: 8
; WaveLimiterHint : 0
; COMPUTE_PGM_RSRC2:SCRATCH_EN: 0
; COMPUTE_PGM_RSRC2:USER_SGPR: 2
; COMPUTE_PGM_RSRC2:TRAP_HANDLER: 0
; COMPUTE_PGM_RSRC2:TGID_X_EN: 1
; COMPUTE_PGM_RSRC2:TGID_Y_EN: 0
; COMPUTE_PGM_RSRC2:TGID_Z_EN: 0
; COMPUTE_PGM_RSRC2:TIDIG_COMP_CNT: 0
; COMPUTE_PGM_RSRC3_GFX90A:ACCUM_OFFSET: 0
; COMPUTE_PGM_RSRC3_GFX90A:TG_SPLIT: 0
	.section	.text._ZN7rocprim17ROCPRIM_400000_NS6detail17trampoline_kernelINS0_14default_configENS1_38merge_sort_block_merge_config_selectorIlNS0_10empty_typeEEEZZNS1_27merge_sort_block_merge_implIS3_PlPS5_mZN2at6native12_GLOBAL__N_124unique_dim_cuda_templateImEESt5tupleIJNSA_6TensorESF_SF_EERKSF_lbbbEUlllE_EE10hipError_tT0_T1_T2_jT3_P12ihipStream_tbPNSt15iterator_traitsISL_E10value_typeEPNSR_ISM_E10value_typeEPSN_NS1_7vsmem_tEENKUlT_SL_SM_SN_E_clIS8_S8_S9_S9_EESK_S10_SL_SM_SN_EUlS10_E1_NS1_11comp_targetILNS1_3genE2ELNS1_11target_archE906ELNS1_3gpuE6ELNS1_3repE0EEENS1_36merge_oddeven_config_static_selectorELNS0_4arch9wavefront6targetE1EEEvSM_,"axG",@progbits,_ZN7rocprim17ROCPRIM_400000_NS6detail17trampoline_kernelINS0_14default_configENS1_38merge_sort_block_merge_config_selectorIlNS0_10empty_typeEEEZZNS1_27merge_sort_block_merge_implIS3_PlPS5_mZN2at6native12_GLOBAL__N_124unique_dim_cuda_templateImEESt5tupleIJNSA_6TensorESF_SF_EERKSF_lbbbEUlllE_EE10hipError_tT0_T1_T2_jT3_P12ihipStream_tbPNSt15iterator_traitsISL_E10value_typeEPNSR_ISM_E10value_typeEPSN_NS1_7vsmem_tEENKUlT_SL_SM_SN_E_clIS8_S8_S9_S9_EESK_S10_SL_SM_SN_EUlS10_E1_NS1_11comp_targetILNS1_3genE2ELNS1_11target_archE906ELNS1_3gpuE6ELNS1_3repE0EEENS1_36merge_oddeven_config_static_selectorELNS0_4arch9wavefront6targetE1EEEvSM_,comdat
	.globl	_ZN7rocprim17ROCPRIM_400000_NS6detail17trampoline_kernelINS0_14default_configENS1_38merge_sort_block_merge_config_selectorIlNS0_10empty_typeEEEZZNS1_27merge_sort_block_merge_implIS3_PlPS5_mZN2at6native12_GLOBAL__N_124unique_dim_cuda_templateImEESt5tupleIJNSA_6TensorESF_SF_EERKSF_lbbbEUlllE_EE10hipError_tT0_T1_T2_jT3_P12ihipStream_tbPNSt15iterator_traitsISL_E10value_typeEPNSR_ISM_E10value_typeEPSN_NS1_7vsmem_tEENKUlT_SL_SM_SN_E_clIS8_S8_S9_S9_EESK_S10_SL_SM_SN_EUlS10_E1_NS1_11comp_targetILNS1_3genE2ELNS1_11target_archE906ELNS1_3gpuE6ELNS1_3repE0EEENS1_36merge_oddeven_config_static_selectorELNS0_4arch9wavefront6targetE1EEEvSM_ ; -- Begin function _ZN7rocprim17ROCPRIM_400000_NS6detail17trampoline_kernelINS0_14default_configENS1_38merge_sort_block_merge_config_selectorIlNS0_10empty_typeEEEZZNS1_27merge_sort_block_merge_implIS3_PlPS5_mZN2at6native12_GLOBAL__N_124unique_dim_cuda_templateImEESt5tupleIJNSA_6TensorESF_SF_EERKSF_lbbbEUlllE_EE10hipError_tT0_T1_T2_jT3_P12ihipStream_tbPNSt15iterator_traitsISL_E10value_typeEPNSR_ISM_E10value_typeEPSN_NS1_7vsmem_tEENKUlT_SL_SM_SN_E_clIS8_S8_S9_S9_EESK_S10_SL_SM_SN_EUlS10_E1_NS1_11comp_targetILNS1_3genE2ELNS1_11target_archE906ELNS1_3gpuE6ELNS1_3repE0EEENS1_36merge_oddeven_config_static_selectorELNS0_4arch9wavefront6targetE1EEEvSM_
	.p2align	8
	.type	_ZN7rocprim17ROCPRIM_400000_NS6detail17trampoline_kernelINS0_14default_configENS1_38merge_sort_block_merge_config_selectorIlNS0_10empty_typeEEEZZNS1_27merge_sort_block_merge_implIS3_PlPS5_mZN2at6native12_GLOBAL__N_124unique_dim_cuda_templateImEESt5tupleIJNSA_6TensorESF_SF_EERKSF_lbbbEUlllE_EE10hipError_tT0_T1_T2_jT3_P12ihipStream_tbPNSt15iterator_traitsISL_E10value_typeEPNSR_ISM_E10value_typeEPSN_NS1_7vsmem_tEENKUlT_SL_SM_SN_E_clIS8_S8_S9_S9_EESK_S10_SL_SM_SN_EUlS10_E1_NS1_11comp_targetILNS1_3genE2ELNS1_11target_archE906ELNS1_3gpuE6ELNS1_3repE0EEENS1_36merge_oddeven_config_static_selectorELNS0_4arch9wavefront6targetE1EEEvSM_,@function
_ZN7rocprim17ROCPRIM_400000_NS6detail17trampoline_kernelINS0_14default_configENS1_38merge_sort_block_merge_config_selectorIlNS0_10empty_typeEEEZZNS1_27merge_sort_block_merge_implIS3_PlPS5_mZN2at6native12_GLOBAL__N_124unique_dim_cuda_templateImEESt5tupleIJNSA_6TensorESF_SF_EERKSF_lbbbEUlllE_EE10hipError_tT0_T1_T2_jT3_P12ihipStream_tbPNSt15iterator_traitsISL_E10value_typeEPNSR_ISM_E10value_typeEPSN_NS1_7vsmem_tEENKUlT_SL_SM_SN_E_clIS8_S8_S9_S9_EESK_S10_SL_SM_SN_EUlS10_E1_NS1_11comp_targetILNS1_3genE2ELNS1_11target_archE906ELNS1_3gpuE6ELNS1_3repE0EEENS1_36merge_oddeven_config_static_selectorELNS0_4arch9wavefront6targetE1EEEvSM_: ; @_ZN7rocprim17ROCPRIM_400000_NS6detail17trampoline_kernelINS0_14default_configENS1_38merge_sort_block_merge_config_selectorIlNS0_10empty_typeEEEZZNS1_27merge_sort_block_merge_implIS3_PlPS5_mZN2at6native12_GLOBAL__N_124unique_dim_cuda_templateImEESt5tupleIJNSA_6TensorESF_SF_EERKSF_lbbbEUlllE_EE10hipError_tT0_T1_T2_jT3_P12ihipStream_tbPNSt15iterator_traitsISL_E10value_typeEPNSR_ISM_E10value_typeEPSN_NS1_7vsmem_tEENKUlT_SL_SM_SN_E_clIS8_S8_S9_S9_EESK_S10_SL_SM_SN_EUlS10_E1_NS1_11comp_targetILNS1_3genE2ELNS1_11target_archE906ELNS1_3gpuE6ELNS1_3repE0EEENS1_36merge_oddeven_config_static_selectorELNS0_4arch9wavefront6targetE1EEEvSM_
; %bb.0:
	.section	.rodata,"a",@progbits
	.p2align	6, 0x0
	.amdhsa_kernel _ZN7rocprim17ROCPRIM_400000_NS6detail17trampoline_kernelINS0_14default_configENS1_38merge_sort_block_merge_config_selectorIlNS0_10empty_typeEEEZZNS1_27merge_sort_block_merge_implIS3_PlPS5_mZN2at6native12_GLOBAL__N_124unique_dim_cuda_templateImEESt5tupleIJNSA_6TensorESF_SF_EERKSF_lbbbEUlllE_EE10hipError_tT0_T1_T2_jT3_P12ihipStream_tbPNSt15iterator_traitsISL_E10value_typeEPNSR_ISM_E10value_typeEPSN_NS1_7vsmem_tEENKUlT_SL_SM_SN_E_clIS8_S8_S9_S9_EESK_S10_SL_SM_SN_EUlS10_E1_NS1_11comp_targetILNS1_3genE2ELNS1_11target_archE906ELNS1_3gpuE6ELNS1_3repE0EEENS1_36merge_oddeven_config_static_selectorELNS0_4arch9wavefront6targetE1EEEvSM_
		.amdhsa_group_segment_fixed_size 0
		.amdhsa_private_segment_fixed_size 0
		.amdhsa_kernarg_size 64
		.amdhsa_user_sgpr_count 2
		.amdhsa_user_sgpr_dispatch_ptr 0
		.amdhsa_user_sgpr_queue_ptr 0
		.amdhsa_user_sgpr_kernarg_segment_ptr 1
		.amdhsa_user_sgpr_dispatch_id 0
		.amdhsa_user_sgpr_kernarg_preload_length 0
		.amdhsa_user_sgpr_kernarg_preload_offset 0
		.amdhsa_user_sgpr_private_segment_size 0
		.amdhsa_uses_dynamic_stack 0
		.amdhsa_enable_private_segment 0
		.amdhsa_system_sgpr_workgroup_id_x 1
		.amdhsa_system_sgpr_workgroup_id_y 0
		.amdhsa_system_sgpr_workgroup_id_z 0
		.amdhsa_system_sgpr_workgroup_info 0
		.amdhsa_system_vgpr_workitem_id 0
		.amdhsa_next_free_vgpr 1
		.amdhsa_next_free_sgpr 0
		.amdhsa_accum_offset 4
		.amdhsa_reserve_vcc 0
		.amdhsa_float_round_mode_32 0
		.amdhsa_float_round_mode_16_64 0
		.amdhsa_float_denorm_mode_32 3
		.amdhsa_float_denorm_mode_16_64 3
		.amdhsa_dx10_clamp 1
		.amdhsa_ieee_mode 1
		.amdhsa_fp16_overflow 0
		.amdhsa_tg_split 0
		.amdhsa_exception_fp_ieee_invalid_op 0
		.amdhsa_exception_fp_denorm_src 0
		.amdhsa_exception_fp_ieee_div_zero 0
		.amdhsa_exception_fp_ieee_overflow 0
		.amdhsa_exception_fp_ieee_underflow 0
		.amdhsa_exception_fp_ieee_inexact 0
		.amdhsa_exception_int_div_zero 0
	.end_amdhsa_kernel
	.section	.text._ZN7rocprim17ROCPRIM_400000_NS6detail17trampoline_kernelINS0_14default_configENS1_38merge_sort_block_merge_config_selectorIlNS0_10empty_typeEEEZZNS1_27merge_sort_block_merge_implIS3_PlPS5_mZN2at6native12_GLOBAL__N_124unique_dim_cuda_templateImEESt5tupleIJNSA_6TensorESF_SF_EERKSF_lbbbEUlllE_EE10hipError_tT0_T1_T2_jT3_P12ihipStream_tbPNSt15iterator_traitsISL_E10value_typeEPNSR_ISM_E10value_typeEPSN_NS1_7vsmem_tEENKUlT_SL_SM_SN_E_clIS8_S8_S9_S9_EESK_S10_SL_SM_SN_EUlS10_E1_NS1_11comp_targetILNS1_3genE2ELNS1_11target_archE906ELNS1_3gpuE6ELNS1_3repE0EEENS1_36merge_oddeven_config_static_selectorELNS0_4arch9wavefront6targetE1EEEvSM_,"axG",@progbits,_ZN7rocprim17ROCPRIM_400000_NS6detail17trampoline_kernelINS0_14default_configENS1_38merge_sort_block_merge_config_selectorIlNS0_10empty_typeEEEZZNS1_27merge_sort_block_merge_implIS3_PlPS5_mZN2at6native12_GLOBAL__N_124unique_dim_cuda_templateImEESt5tupleIJNSA_6TensorESF_SF_EERKSF_lbbbEUlllE_EE10hipError_tT0_T1_T2_jT3_P12ihipStream_tbPNSt15iterator_traitsISL_E10value_typeEPNSR_ISM_E10value_typeEPSN_NS1_7vsmem_tEENKUlT_SL_SM_SN_E_clIS8_S8_S9_S9_EESK_S10_SL_SM_SN_EUlS10_E1_NS1_11comp_targetILNS1_3genE2ELNS1_11target_archE906ELNS1_3gpuE6ELNS1_3repE0EEENS1_36merge_oddeven_config_static_selectorELNS0_4arch9wavefront6targetE1EEEvSM_,comdat
.Lfunc_end1646:
	.size	_ZN7rocprim17ROCPRIM_400000_NS6detail17trampoline_kernelINS0_14default_configENS1_38merge_sort_block_merge_config_selectorIlNS0_10empty_typeEEEZZNS1_27merge_sort_block_merge_implIS3_PlPS5_mZN2at6native12_GLOBAL__N_124unique_dim_cuda_templateImEESt5tupleIJNSA_6TensorESF_SF_EERKSF_lbbbEUlllE_EE10hipError_tT0_T1_T2_jT3_P12ihipStream_tbPNSt15iterator_traitsISL_E10value_typeEPNSR_ISM_E10value_typeEPSN_NS1_7vsmem_tEENKUlT_SL_SM_SN_E_clIS8_S8_S9_S9_EESK_S10_SL_SM_SN_EUlS10_E1_NS1_11comp_targetILNS1_3genE2ELNS1_11target_archE906ELNS1_3gpuE6ELNS1_3repE0EEENS1_36merge_oddeven_config_static_selectorELNS0_4arch9wavefront6targetE1EEEvSM_, .Lfunc_end1646-_ZN7rocprim17ROCPRIM_400000_NS6detail17trampoline_kernelINS0_14default_configENS1_38merge_sort_block_merge_config_selectorIlNS0_10empty_typeEEEZZNS1_27merge_sort_block_merge_implIS3_PlPS5_mZN2at6native12_GLOBAL__N_124unique_dim_cuda_templateImEESt5tupleIJNSA_6TensorESF_SF_EERKSF_lbbbEUlllE_EE10hipError_tT0_T1_T2_jT3_P12ihipStream_tbPNSt15iterator_traitsISL_E10value_typeEPNSR_ISM_E10value_typeEPSN_NS1_7vsmem_tEENKUlT_SL_SM_SN_E_clIS8_S8_S9_S9_EESK_S10_SL_SM_SN_EUlS10_E1_NS1_11comp_targetILNS1_3genE2ELNS1_11target_archE906ELNS1_3gpuE6ELNS1_3repE0EEENS1_36merge_oddeven_config_static_selectorELNS0_4arch9wavefront6targetE1EEEvSM_
                                        ; -- End function
	.section	.AMDGPU.csdata,"",@progbits
; Kernel info:
; codeLenInByte = 0
; NumSgprs: 6
; NumVgprs: 0
; NumAgprs: 0
; TotalNumVgprs: 0
; ScratchSize: 0
; MemoryBound: 0
; FloatMode: 240
; IeeeMode: 1
; LDSByteSize: 0 bytes/workgroup (compile time only)
; SGPRBlocks: 0
; VGPRBlocks: 0
; NumSGPRsForWavesPerEU: 6
; NumVGPRsForWavesPerEU: 1
; AccumOffset: 4
; Occupancy: 8
; WaveLimiterHint : 0
; COMPUTE_PGM_RSRC2:SCRATCH_EN: 0
; COMPUTE_PGM_RSRC2:USER_SGPR: 2
; COMPUTE_PGM_RSRC2:TRAP_HANDLER: 0
; COMPUTE_PGM_RSRC2:TGID_X_EN: 1
; COMPUTE_PGM_RSRC2:TGID_Y_EN: 0
; COMPUTE_PGM_RSRC2:TGID_Z_EN: 0
; COMPUTE_PGM_RSRC2:TIDIG_COMP_CNT: 0
; COMPUTE_PGM_RSRC3_GFX90A:ACCUM_OFFSET: 0
; COMPUTE_PGM_RSRC3_GFX90A:TG_SPLIT: 0
	.section	.text._ZN7rocprim17ROCPRIM_400000_NS6detail17trampoline_kernelINS0_14default_configENS1_38merge_sort_block_merge_config_selectorIlNS0_10empty_typeEEEZZNS1_27merge_sort_block_merge_implIS3_PlPS5_mZN2at6native12_GLOBAL__N_124unique_dim_cuda_templateImEESt5tupleIJNSA_6TensorESF_SF_EERKSF_lbbbEUlllE_EE10hipError_tT0_T1_T2_jT3_P12ihipStream_tbPNSt15iterator_traitsISL_E10value_typeEPNSR_ISM_E10value_typeEPSN_NS1_7vsmem_tEENKUlT_SL_SM_SN_E_clIS8_S8_S9_S9_EESK_S10_SL_SM_SN_EUlS10_E1_NS1_11comp_targetILNS1_3genE9ELNS1_11target_archE1100ELNS1_3gpuE3ELNS1_3repE0EEENS1_36merge_oddeven_config_static_selectorELNS0_4arch9wavefront6targetE1EEEvSM_,"axG",@progbits,_ZN7rocprim17ROCPRIM_400000_NS6detail17trampoline_kernelINS0_14default_configENS1_38merge_sort_block_merge_config_selectorIlNS0_10empty_typeEEEZZNS1_27merge_sort_block_merge_implIS3_PlPS5_mZN2at6native12_GLOBAL__N_124unique_dim_cuda_templateImEESt5tupleIJNSA_6TensorESF_SF_EERKSF_lbbbEUlllE_EE10hipError_tT0_T1_T2_jT3_P12ihipStream_tbPNSt15iterator_traitsISL_E10value_typeEPNSR_ISM_E10value_typeEPSN_NS1_7vsmem_tEENKUlT_SL_SM_SN_E_clIS8_S8_S9_S9_EESK_S10_SL_SM_SN_EUlS10_E1_NS1_11comp_targetILNS1_3genE9ELNS1_11target_archE1100ELNS1_3gpuE3ELNS1_3repE0EEENS1_36merge_oddeven_config_static_selectorELNS0_4arch9wavefront6targetE1EEEvSM_,comdat
	.globl	_ZN7rocprim17ROCPRIM_400000_NS6detail17trampoline_kernelINS0_14default_configENS1_38merge_sort_block_merge_config_selectorIlNS0_10empty_typeEEEZZNS1_27merge_sort_block_merge_implIS3_PlPS5_mZN2at6native12_GLOBAL__N_124unique_dim_cuda_templateImEESt5tupleIJNSA_6TensorESF_SF_EERKSF_lbbbEUlllE_EE10hipError_tT0_T1_T2_jT3_P12ihipStream_tbPNSt15iterator_traitsISL_E10value_typeEPNSR_ISM_E10value_typeEPSN_NS1_7vsmem_tEENKUlT_SL_SM_SN_E_clIS8_S8_S9_S9_EESK_S10_SL_SM_SN_EUlS10_E1_NS1_11comp_targetILNS1_3genE9ELNS1_11target_archE1100ELNS1_3gpuE3ELNS1_3repE0EEENS1_36merge_oddeven_config_static_selectorELNS0_4arch9wavefront6targetE1EEEvSM_ ; -- Begin function _ZN7rocprim17ROCPRIM_400000_NS6detail17trampoline_kernelINS0_14default_configENS1_38merge_sort_block_merge_config_selectorIlNS0_10empty_typeEEEZZNS1_27merge_sort_block_merge_implIS3_PlPS5_mZN2at6native12_GLOBAL__N_124unique_dim_cuda_templateImEESt5tupleIJNSA_6TensorESF_SF_EERKSF_lbbbEUlllE_EE10hipError_tT0_T1_T2_jT3_P12ihipStream_tbPNSt15iterator_traitsISL_E10value_typeEPNSR_ISM_E10value_typeEPSN_NS1_7vsmem_tEENKUlT_SL_SM_SN_E_clIS8_S8_S9_S9_EESK_S10_SL_SM_SN_EUlS10_E1_NS1_11comp_targetILNS1_3genE9ELNS1_11target_archE1100ELNS1_3gpuE3ELNS1_3repE0EEENS1_36merge_oddeven_config_static_selectorELNS0_4arch9wavefront6targetE1EEEvSM_
	.p2align	8
	.type	_ZN7rocprim17ROCPRIM_400000_NS6detail17trampoline_kernelINS0_14default_configENS1_38merge_sort_block_merge_config_selectorIlNS0_10empty_typeEEEZZNS1_27merge_sort_block_merge_implIS3_PlPS5_mZN2at6native12_GLOBAL__N_124unique_dim_cuda_templateImEESt5tupleIJNSA_6TensorESF_SF_EERKSF_lbbbEUlllE_EE10hipError_tT0_T1_T2_jT3_P12ihipStream_tbPNSt15iterator_traitsISL_E10value_typeEPNSR_ISM_E10value_typeEPSN_NS1_7vsmem_tEENKUlT_SL_SM_SN_E_clIS8_S8_S9_S9_EESK_S10_SL_SM_SN_EUlS10_E1_NS1_11comp_targetILNS1_3genE9ELNS1_11target_archE1100ELNS1_3gpuE3ELNS1_3repE0EEENS1_36merge_oddeven_config_static_selectorELNS0_4arch9wavefront6targetE1EEEvSM_,@function
_ZN7rocprim17ROCPRIM_400000_NS6detail17trampoline_kernelINS0_14default_configENS1_38merge_sort_block_merge_config_selectorIlNS0_10empty_typeEEEZZNS1_27merge_sort_block_merge_implIS3_PlPS5_mZN2at6native12_GLOBAL__N_124unique_dim_cuda_templateImEESt5tupleIJNSA_6TensorESF_SF_EERKSF_lbbbEUlllE_EE10hipError_tT0_T1_T2_jT3_P12ihipStream_tbPNSt15iterator_traitsISL_E10value_typeEPNSR_ISM_E10value_typeEPSN_NS1_7vsmem_tEENKUlT_SL_SM_SN_E_clIS8_S8_S9_S9_EESK_S10_SL_SM_SN_EUlS10_E1_NS1_11comp_targetILNS1_3genE9ELNS1_11target_archE1100ELNS1_3gpuE3ELNS1_3repE0EEENS1_36merge_oddeven_config_static_selectorELNS0_4arch9wavefront6targetE1EEEvSM_: ; @_ZN7rocprim17ROCPRIM_400000_NS6detail17trampoline_kernelINS0_14default_configENS1_38merge_sort_block_merge_config_selectorIlNS0_10empty_typeEEEZZNS1_27merge_sort_block_merge_implIS3_PlPS5_mZN2at6native12_GLOBAL__N_124unique_dim_cuda_templateImEESt5tupleIJNSA_6TensorESF_SF_EERKSF_lbbbEUlllE_EE10hipError_tT0_T1_T2_jT3_P12ihipStream_tbPNSt15iterator_traitsISL_E10value_typeEPNSR_ISM_E10value_typeEPSN_NS1_7vsmem_tEENKUlT_SL_SM_SN_E_clIS8_S8_S9_S9_EESK_S10_SL_SM_SN_EUlS10_E1_NS1_11comp_targetILNS1_3genE9ELNS1_11target_archE1100ELNS1_3gpuE3ELNS1_3repE0EEENS1_36merge_oddeven_config_static_selectorELNS0_4arch9wavefront6targetE1EEEvSM_
; %bb.0:
	.section	.rodata,"a",@progbits
	.p2align	6, 0x0
	.amdhsa_kernel _ZN7rocprim17ROCPRIM_400000_NS6detail17trampoline_kernelINS0_14default_configENS1_38merge_sort_block_merge_config_selectorIlNS0_10empty_typeEEEZZNS1_27merge_sort_block_merge_implIS3_PlPS5_mZN2at6native12_GLOBAL__N_124unique_dim_cuda_templateImEESt5tupleIJNSA_6TensorESF_SF_EERKSF_lbbbEUlllE_EE10hipError_tT0_T1_T2_jT3_P12ihipStream_tbPNSt15iterator_traitsISL_E10value_typeEPNSR_ISM_E10value_typeEPSN_NS1_7vsmem_tEENKUlT_SL_SM_SN_E_clIS8_S8_S9_S9_EESK_S10_SL_SM_SN_EUlS10_E1_NS1_11comp_targetILNS1_3genE9ELNS1_11target_archE1100ELNS1_3gpuE3ELNS1_3repE0EEENS1_36merge_oddeven_config_static_selectorELNS0_4arch9wavefront6targetE1EEEvSM_
		.amdhsa_group_segment_fixed_size 0
		.amdhsa_private_segment_fixed_size 0
		.amdhsa_kernarg_size 64
		.amdhsa_user_sgpr_count 2
		.amdhsa_user_sgpr_dispatch_ptr 0
		.amdhsa_user_sgpr_queue_ptr 0
		.amdhsa_user_sgpr_kernarg_segment_ptr 1
		.amdhsa_user_sgpr_dispatch_id 0
		.amdhsa_user_sgpr_kernarg_preload_length 0
		.amdhsa_user_sgpr_kernarg_preload_offset 0
		.amdhsa_user_sgpr_private_segment_size 0
		.amdhsa_uses_dynamic_stack 0
		.amdhsa_enable_private_segment 0
		.amdhsa_system_sgpr_workgroup_id_x 1
		.amdhsa_system_sgpr_workgroup_id_y 0
		.amdhsa_system_sgpr_workgroup_id_z 0
		.amdhsa_system_sgpr_workgroup_info 0
		.amdhsa_system_vgpr_workitem_id 0
		.amdhsa_next_free_vgpr 1
		.amdhsa_next_free_sgpr 0
		.amdhsa_accum_offset 4
		.amdhsa_reserve_vcc 0
		.amdhsa_float_round_mode_32 0
		.amdhsa_float_round_mode_16_64 0
		.amdhsa_float_denorm_mode_32 3
		.amdhsa_float_denorm_mode_16_64 3
		.amdhsa_dx10_clamp 1
		.amdhsa_ieee_mode 1
		.amdhsa_fp16_overflow 0
		.amdhsa_tg_split 0
		.amdhsa_exception_fp_ieee_invalid_op 0
		.amdhsa_exception_fp_denorm_src 0
		.amdhsa_exception_fp_ieee_div_zero 0
		.amdhsa_exception_fp_ieee_overflow 0
		.amdhsa_exception_fp_ieee_underflow 0
		.amdhsa_exception_fp_ieee_inexact 0
		.amdhsa_exception_int_div_zero 0
	.end_amdhsa_kernel
	.section	.text._ZN7rocprim17ROCPRIM_400000_NS6detail17trampoline_kernelINS0_14default_configENS1_38merge_sort_block_merge_config_selectorIlNS0_10empty_typeEEEZZNS1_27merge_sort_block_merge_implIS3_PlPS5_mZN2at6native12_GLOBAL__N_124unique_dim_cuda_templateImEESt5tupleIJNSA_6TensorESF_SF_EERKSF_lbbbEUlllE_EE10hipError_tT0_T1_T2_jT3_P12ihipStream_tbPNSt15iterator_traitsISL_E10value_typeEPNSR_ISM_E10value_typeEPSN_NS1_7vsmem_tEENKUlT_SL_SM_SN_E_clIS8_S8_S9_S9_EESK_S10_SL_SM_SN_EUlS10_E1_NS1_11comp_targetILNS1_3genE9ELNS1_11target_archE1100ELNS1_3gpuE3ELNS1_3repE0EEENS1_36merge_oddeven_config_static_selectorELNS0_4arch9wavefront6targetE1EEEvSM_,"axG",@progbits,_ZN7rocprim17ROCPRIM_400000_NS6detail17trampoline_kernelINS0_14default_configENS1_38merge_sort_block_merge_config_selectorIlNS0_10empty_typeEEEZZNS1_27merge_sort_block_merge_implIS3_PlPS5_mZN2at6native12_GLOBAL__N_124unique_dim_cuda_templateImEESt5tupleIJNSA_6TensorESF_SF_EERKSF_lbbbEUlllE_EE10hipError_tT0_T1_T2_jT3_P12ihipStream_tbPNSt15iterator_traitsISL_E10value_typeEPNSR_ISM_E10value_typeEPSN_NS1_7vsmem_tEENKUlT_SL_SM_SN_E_clIS8_S8_S9_S9_EESK_S10_SL_SM_SN_EUlS10_E1_NS1_11comp_targetILNS1_3genE9ELNS1_11target_archE1100ELNS1_3gpuE3ELNS1_3repE0EEENS1_36merge_oddeven_config_static_selectorELNS0_4arch9wavefront6targetE1EEEvSM_,comdat
.Lfunc_end1647:
	.size	_ZN7rocprim17ROCPRIM_400000_NS6detail17trampoline_kernelINS0_14default_configENS1_38merge_sort_block_merge_config_selectorIlNS0_10empty_typeEEEZZNS1_27merge_sort_block_merge_implIS3_PlPS5_mZN2at6native12_GLOBAL__N_124unique_dim_cuda_templateImEESt5tupleIJNSA_6TensorESF_SF_EERKSF_lbbbEUlllE_EE10hipError_tT0_T1_T2_jT3_P12ihipStream_tbPNSt15iterator_traitsISL_E10value_typeEPNSR_ISM_E10value_typeEPSN_NS1_7vsmem_tEENKUlT_SL_SM_SN_E_clIS8_S8_S9_S9_EESK_S10_SL_SM_SN_EUlS10_E1_NS1_11comp_targetILNS1_3genE9ELNS1_11target_archE1100ELNS1_3gpuE3ELNS1_3repE0EEENS1_36merge_oddeven_config_static_selectorELNS0_4arch9wavefront6targetE1EEEvSM_, .Lfunc_end1647-_ZN7rocprim17ROCPRIM_400000_NS6detail17trampoline_kernelINS0_14default_configENS1_38merge_sort_block_merge_config_selectorIlNS0_10empty_typeEEEZZNS1_27merge_sort_block_merge_implIS3_PlPS5_mZN2at6native12_GLOBAL__N_124unique_dim_cuda_templateImEESt5tupleIJNSA_6TensorESF_SF_EERKSF_lbbbEUlllE_EE10hipError_tT0_T1_T2_jT3_P12ihipStream_tbPNSt15iterator_traitsISL_E10value_typeEPNSR_ISM_E10value_typeEPSN_NS1_7vsmem_tEENKUlT_SL_SM_SN_E_clIS8_S8_S9_S9_EESK_S10_SL_SM_SN_EUlS10_E1_NS1_11comp_targetILNS1_3genE9ELNS1_11target_archE1100ELNS1_3gpuE3ELNS1_3repE0EEENS1_36merge_oddeven_config_static_selectorELNS0_4arch9wavefront6targetE1EEEvSM_
                                        ; -- End function
	.section	.AMDGPU.csdata,"",@progbits
; Kernel info:
; codeLenInByte = 0
; NumSgprs: 6
; NumVgprs: 0
; NumAgprs: 0
; TotalNumVgprs: 0
; ScratchSize: 0
; MemoryBound: 0
; FloatMode: 240
; IeeeMode: 1
; LDSByteSize: 0 bytes/workgroup (compile time only)
; SGPRBlocks: 0
; VGPRBlocks: 0
; NumSGPRsForWavesPerEU: 6
; NumVGPRsForWavesPerEU: 1
; AccumOffset: 4
; Occupancy: 8
; WaveLimiterHint : 0
; COMPUTE_PGM_RSRC2:SCRATCH_EN: 0
; COMPUTE_PGM_RSRC2:USER_SGPR: 2
; COMPUTE_PGM_RSRC2:TRAP_HANDLER: 0
; COMPUTE_PGM_RSRC2:TGID_X_EN: 1
; COMPUTE_PGM_RSRC2:TGID_Y_EN: 0
; COMPUTE_PGM_RSRC2:TGID_Z_EN: 0
; COMPUTE_PGM_RSRC2:TIDIG_COMP_CNT: 0
; COMPUTE_PGM_RSRC3_GFX90A:ACCUM_OFFSET: 0
; COMPUTE_PGM_RSRC3_GFX90A:TG_SPLIT: 0
	.section	.text._ZN7rocprim17ROCPRIM_400000_NS6detail17trampoline_kernelINS0_14default_configENS1_38merge_sort_block_merge_config_selectorIlNS0_10empty_typeEEEZZNS1_27merge_sort_block_merge_implIS3_PlPS5_mZN2at6native12_GLOBAL__N_124unique_dim_cuda_templateImEESt5tupleIJNSA_6TensorESF_SF_EERKSF_lbbbEUlllE_EE10hipError_tT0_T1_T2_jT3_P12ihipStream_tbPNSt15iterator_traitsISL_E10value_typeEPNSR_ISM_E10value_typeEPSN_NS1_7vsmem_tEENKUlT_SL_SM_SN_E_clIS8_S8_S9_S9_EESK_S10_SL_SM_SN_EUlS10_E1_NS1_11comp_targetILNS1_3genE8ELNS1_11target_archE1030ELNS1_3gpuE2ELNS1_3repE0EEENS1_36merge_oddeven_config_static_selectorELNS0_4arch9wavefront6targetE1EEEvSM_,"axG",@progbits,_ZN7rocprim17ROCPRIM_400000_NS6detail17trampoline_kernelINS0_14default_configENS1_38merge_sort_block_merge_config_selectorIlNS0_10empty_typeEEEZZNS1_27merge_sort_block_merge_implIS3_PlPS5_mZN2at6native12_GLOBAL__N_124unique_dim_cuda_templateImEESt5tupleIJNSA_6TensorESF_SF_EERKSF_lbbbEUlllE_EE10hipError_tT0_T1_T2_jT3_P12ihipStream_tbPNSt15iterator_traitsISL_E10value_typeEPNSR_ISM_E10value_typeEPSN_NS1_7vsmem_tEENKUlT_SL_SM_SN_E_clIS8_S8_S9_S9_EESK_S10_SL_SM_SN_EUlS10_E1_NS1_11comp_targetILNS1_3genE8ELNS1_11target_archE1030ELNS1_3gpuE2ELNS1_3repE0EEENS1_36merge_oddeven_config_static_selectorELNS0_4arch9wavefront6targetE1EEEvSM_,comdat
	.globl	_ZN7rocprim17ROCPRIM_400000_NS6detail17trampoline_kernelINS0_14default_configENS1_38merge_sort_block_merge_config_selectorIlNS0_10empty_typeEEEZZNS1_27merge_sort_block_merge_implIS3_PlPS5_mZN2at6native12_GLOBAL__N_124unique_dim_cuda_templateImEESt5tupleIJNSA_6TensorESF_SF_EERKSF_lbbbEUlllE_EE10hipError_tT0_T1_T2_jT3_P12ihipStream_tbPNSt15iterator_traitsISL_E10value_typeEPNSR_ISM_E10value_typeEPSN_NS1_7vsmem_tEENKUlT_SL_SM_SN_E_clIS8_S8_S9_S9_EESK_S10_SL_SM_SN_EUlS10_E1_NS1_11comp_targetILNS1_3genE8ELNS1_11target_archE1030ELNS1_3gpuE2ELNS1_3repE0EEENS1_36merge_oddeven_config_static_selectorELNS0_4arch9wavefront6targetE1EEEvSM_ ; -- Begin function _ZN7rocprim17ROCPRIM_400000_NS6detail17trampoline_kernelINS0_14default_configENS1_38merge_sort_block_merge_config_selectorIlNS0_10empty_typeEEEZZNS1_27merge_sort_block_merge_implIS3_PlPS5_mZN2at6native12_GLOBAL__N_124unique_dim_cuda_templateImEESt5tupleIJNSA_6TensorESF_SF_EERKSF_lbbbEUlllE_EE10hipError_tT0_T1_T2_jT3_P12ihipStream_tbPNSt15iterator_traitsISL_E10value_typeEPNSR_ISM_E10value_typeEPSN_NS1_7vsmem_tEENKUlT_SL_SM_SN_E_clIS8_S8_S9_S9_EESK_S10_SL_SM_SN_EUlS10_E1_NS1_11comp_targetILNS1_3genE8ELNS1_11target_archE1030ELNS1_3gpuE2ELNS1_3repE0EEENS1_36merge_oddeven_config_static_selectorELNS0_4arch9wavefront6targetE1EEEvSM_
	.p2align	8
	.type	_ZN7rocprim17ROCPRIM_400000_NS6detail17trampoline_kernelINS0_14default_configENS1_38merge_sort_block_merge_config_selectorIlNS0_10empty_typeEEEZZNS1_27merge_sort_block_merge_implIS3_PlPS5_mZN2at6native12_GLOBAL__N_124unique_dim_cuda_templateImEESt5tupleIJNSA_6TensorESF_SF_EERKSF_lbbbEUlllE_EE10hipError_tT0_T1_T2_jT3_P12ihipStream_tbPNSt15iterator_traitsISL_E10value_typeEPNSR_ISM_E10value_typeEPSN_NS1_7vsmem_tEENKUlT_SL_SM_SN_E_clIS8_S8_S9_S9_EESK_S10_SL_SM_SN_EUlS10_E1_NS1_11comp_targetILNS1_3genE8ELNS1_11target_archE1030ELNS1_3gpuE2ELNS1_3repE0EEENS1_36merge_oddeven_config_static_selectorELNS0_4arch9wavefront6targetE1EEEvSM_,@function
_ZN7rocprim17ROCPRIM_400000_NS6detail17trampoline_kernelINS0_14default_configENS1_38merge_sort_block_merge_config_selectorIlNS0_10empty_typeEEEZZNS1_27merge_sort_block_merge_implIS3_PlPS5_mZN2at6native12_GLOBAL__N_124unique_dim_cuda_templateImEESt5tupleIJNSA_6TensorESF_SF_EERKSF_lbbbEUlllE_EE10hipError_tT0_T1_T2_jT3_P12ihipStream_tbPNSt15iterator_traitsISL_E10value_typeEPNSR_ISM_E10value_typeEPSN_NS1_7vsmem_tEENKUlT_SL_SM_SN_E_clIS8_S8_S9_S9_EESK_S10_SL_SM_SN_EUlS10_E1_NS1_11comp_targetILNS1_3genE8ELNS1_11target_archE1030ELNS1_3gpuE2ELNS1_3repE0EEENS1_36merge_oddeven_config_static_selectorELNS0_4arch9wavefront6targetE1EEEvSM_: ; @_ZN7rocprim17ROCPRIM_400000_NS6detail17trampoline_kernelINS0_14default_configENS1_38merge_sort_block_merge_config_selectorIlNS0_10empty_typeEEEZZNS1_27merge_sort_block_merge_implIS3_PlPS5_mZN2at6native12_GLOBAL__N_124unique_dim_cuda_templateImEESt5tupleIJNSA_6TensorESF_SF_EERKSF_lbbbEUlllE_EE10hipError_tT0_T1_T2_jT3_P12ihipStream_tbPNSt15iterator_traitsISL_E10value_typeEPNSR_ISM_E10value_typeEPSN_NS1_7vsmem_tEENKUlT_SL_SM_SN_E_clIS8_S8_S9_S9_EESK_S10_SL_SM_SN_EUlS10_E1_NS1_11comp_targetILNS1_3genE8ELNS1_11target_archE1030ELNS1_3gpuE2ELNS1_3repE0EEENS1_36merge_oddeven_config_static_selectorELNS0_4arch9wavefront6targetE1EEEvSM_
; %bb.0:
	.section	.rodata,"a",@progbits
	.p2align	6, 0x0
	.amdhsa_kernel _ZN7rocprim17ROCPRIM_400000_NS6detail17trampoline_kernelINS0_14default_configENS1_38merge_sort_block_merge_config_selectorIlNS0_10empty_typeEEEZZNS1_27merge_sort_block_merge_implIS3_PlPS5_mZN2at6native12_GLOBAL__N_124unique_dim_cuda_templateImEESt5tupleIJNSA_6TensorESF_SF_EERKSF_lbbbEUlllE_EE10hipError_tT0_T1_T2_jT3_P12ihipStream_tbPNSt15iterator_traitsISL_E10value_typeEPNSR_ISM_E10value_typeEPSN_NS1_7vsmem_tEENKUlT_SL_SM_SN_E_clIS8_S8_S9_S9_EESK_S10_SL_SM_SN_EUlS10_E1_NS1_11comp_targetILNS1_3genE8ELNS1_11target_archE1030ELNS1_3gpuE2ELNS1_3repE0EEENS1_36merge_oddeven_config_static_selectorELNS0_4arch9wavefront6targetE1EEEvSM_
		.amdhsa_group_segment_fixed_size 0
		.amdhsa_private_segment_fixed_size 0
		.amdhsa_kernarg_size 64
		.amdhsa_user_sgpr_count 2
		.amdhsa_user_sgpr_dispatch_ptr 0
		.amdhsa_user_sgpr_queue_ptr 0
		.amdhsa_user_sgpr_kernarg_segment_ptr 1
		.amdhsa_user_sgpr_dispatch_id 0
		.amdhsa_user_sgpr_kernarg_preload_length 0
		.amdhsa_user_sgpr_kernarg_preload_offset 0
		.amdhsa_user_sgpr_private_segment_size 0
		.amdhsa_uses_dynamic_stack 0
		.amdhsa_enable_private_segment 0
		.amdhsa_system_sgpr_workgroup_id_x 1
		.amdhsa_system_sgpr_workgroup_id_y 0
		.amdhsa_system_sgpr_workgroup_id_z 0
		.amdhsa_system_sgpr_workgroup_info 0
		.amdhsa_system_vgpr_workitem_id 0
		.amdhsa_next_free_vgpr 1
		.amdhsa_next_free_sgpr 0
		.amdhsa_accum_offset 4
		.amdhsa_reserve_vcc 0
		.amdhsa_float_round_mode_32 0
		.amdhsa_float_round_mode_16_64 0
		.amdhsa_float_denorm_mode_32 3
		.amdhsa_float_denorm_mode_16_64 3
		.amdhsa_dx10_clamp 1
		.amdhsa_ieee_mode 1
		.amdhsa_fp16_overflow 0
		.amdhsa_tg_split 0
		.amdhsa_exception_fp_ieee_invalid_op 0
		.amdhsa_exception_fp_denorm_src 0
		.amdhsa_exception_fp_ieee_div_zero 0
		.amdhsa_exception_fp_ieee_overflow 0
		.amdhsa_exception_fp_ieee_underflow 0
		.amdhsa_exception_fp_ieee_inexact 0
		.amdhsa_exception_int_div_zero 0
	.end_amdhsa_kernel
	.section	.text._ZN7rocprim17ROCPRIM_400000_NS6detail17trampoline_kernelINS0_14default_configENS1_38merge_sort_block_merge_config_selectorIlNS0_10empty_typeEEEZZNS1_27merge_sort_block_merge_implIS3_PlPS5_mZN2at6native12_GLOBAL__N_124unique_dim_cuda_templateImEESt5tupleIJNSA_6TensorESF_SF_EERKSF_lbbbEUlllE_EE10hipError_tT0_T1_T2_jT3_P12ihipStream_tbPNSt15iterator_traitsISL_E10value_typeEPNSR_ISM_E10value_typeEPSN_NS1_7vsmem_tEENKUlT_SL_SM_SN_E_clIS8_S8_S9_S9_EESK_S10_SL_SM_SN_EUlS10_E1_NS1_11comp_targetILNS1_3genE8ELNS1_11target_archE1030ELNS1_3gpuE2ELNS1_3repE0EEENS1_36merge_oddeven_config_static_selectorELNS0_4arch9wavefront6targetE1EEEvSM_,"axG",@progbits,_ZN7rocprim17ROCPRIM_400000_NS6detail17trampoline_kernelINS0_14default_configENS1_38merge_sort_block_merge_config_selectorIlNS0_10empty_typeEEEZZNS1_27merge_sort_block_merge_implIS3_PlPS5_mZN2at6native12_GLOBAL__N_124unique_dim_cuda_templateImEESt5tupleIJNSA_6TensorESF_SF_EERKSF_lbbbEUlllE_EE10hipError_tT0_T1_T2_jT3_P12ihipStream_tbPNSt15iterator_traitsISL_E10value_typeEPNSR_ISM_E10value_typeEPSN_NS1_7vsmem_tEENKUlT_SL_SM_SN_E_clIS8_S8_S9_S9_EESK_S10_SL_SM_SN_EUlS10_E1_NS1_11comp_targetILNS1_3genE8ELNS1_11target_archE1030ELNS1_3gpuE2ELNS1_3repE0EEENS1_36merge_oddeven_config_static_selectorELNS0_4arch9wavefront6targetE1EEEvSM_,comdat
.Lfunc_end1648:
	.size	_ZN7rocprim17ROCPRIM_400000_NS6detail17trampoline_kernelINS0_14default_configENS1_38merge_sort_block_merge_config_selectorIlNS0_10empty_typeEEEZZNS1_27merge_sort_block_merge_implIS3_PlPS5_mZN2at6native12_GLOBAL__N_124unique_dim_cuda_templateImEESt5tupleIJNSA_6TensorESF_SF_EERKSF_lbbbEUlllE_EE10hipError_tT0_T1_T2_jT3_P12ihipStream_tbPNSt15iterator_traitsISL_E10value_typeEPNSR_ISM_E10value_typeEPSN_NS1_7vsmem_tEENKUlT_SL_SM_SN_E_clIS8_S8_S9_S9_EESK_S10_SL_SM_SN_EUlS10_E1_NS1_11comp_targetILNS1_3genE8ELNS1_11target_archE1030ELNS1_3gpuE2ELNS1_3repE0EEENS1_36merge_oddeven_config_static_selectorELNS0_4arch9wavefront6targetE1EEEvSM_, .Lfunc_end1648-_ZN7rocprim17ROCPRIM_400000_NS6detail17trampoline_kernelINS0_14default_configENS1_38merge_sort_block_merge_config_selectorIlNS0_10empty_typeEEEZZNS1_27merge_sort_block_merge_implIS3_PlPS5_mZN2at6native12_GLOBAL__N_124unique_dim_cuda_templateImEESt5tupleIJNSA_6TensorESF_SF_EERKSF_lbbbEUlllE_EE10hipError_tT0_T1_T2_jT3_P12ihipStream_tbPNSt15iterator_traitsISL_E10value_typeEPNSR_ISM_E10value_typeEPSN_NS1_7vsmem_tEENKUlT_SL_SM_SN_E_clIS8_S8_S9_S9_EESK_S10_SL_SM_SN_EUlS10_E1_NS1_11comp_targetILNS1_3genE8ELNS1_11target_archE1030ELNS1_3gpuE2ELNS1_3repE0EEENS1_36merge_oddeven_config_static_selectorELNS0_4arch9wavefront6targetE1EEEvSM_
                                        ; -- End function
	.section	.AMDGPU.csdata,"",@progbits
; Kernel info:
; codeLenInByte = 0
; NumSgprs: 6
; NumVgprs: 0
; NumAgprs: 0
; TotalNumVgprs: 0
; ScratchSize: 0
; MemoryBound: 0
; FloatMode: 240
; IeeeMode: 1
; LDSByteSize: 0 bytes/workgroup (compile time only)
; SGPRBlocks: 0
; VGPRBlocks: 0
; NumSGPRsForWavesPerEU: 6
; NumVGPRsForWavesPerEU: 1
; AccumOffset: 4
; Occupancy: 8
; WaveLimiterHint : 0
; COMPUTE_PGM_RSRC2:SCRATCH_EN: 0
; COMPUTE_PGM_RSRC2:USER_SGPR: 2
; COMPUTE_PGM_RSRC2:TRAP_HANDLER: 0
; COMPUTE_PGM_RSRC2:TGID_X_EN: 1
; COMPUTE_PGM_RSRC2:TGID_Y_EN: 0
; COMPUTE_PGM_RSRC2:TGID_Z_EN: 0
; COMPUTE_PGM_RSRC2:TIDIG_COMP_CNT: 0
; COMPUTE_PGM_RSRC3_GFX90A:ACCUM_OFFSET: 0
; COMPUTE_PGM_RSRC3_GFX90A:TG_SPLIT: 0
	.section	.text._ZN7rocprim17ROCPRIM_400000_NS6detail17trampoline_kernelINS0_14default_configENS1_35adjacent_difference_config_selectorILb0ElEEZNS1_24adjacent_difference_implIS3_Lb0ELb0EPlS7_ZN2at6native12_GLOBAL__N_124unique_dim_cuda_templateImEESt5tupleIJNS8_6TensorESD_SD_EERKSD_lbbbEUlllE1_EE10hipError_tPvRmT2_T3_mT4_P12ihipStream_tbEUlT_E_NS1_11comp_targetILNS1_3genE0ELNS1_11target_archE4294967295ELNS1_3gpuE0ELNS1_3repE0EEENS1_30default_config_static_selectorELNS0_4arch9wavefront6targetE1EEEvT1_,"axG",@progbits,_ZN7rocprim17ROCPRIM_400000_NS6detail17trampoline_kernelINS0_14default_configENS1_35adjacent_difference_config_selectorILb0ElEEZNS1_24adjacent_difference_implIS3_Lb0ELb0EPlS7_ZN2at6native12_GLOBAL__N_124unique_dim_cuda_templateImEESt5tupleIJNS8_6TensorESD_SD_EERKSD_lbbbEUlllE1_EE10hipError_tPvRmT2_T3_mT4_P12ihipStream_tbEUlT_E_NS1_11comp_targetILNS1_3genE0ELNS1_11target_archE4294967295ELNS1_3gpuE0ELNS1_3repE0EEENS1_30default_config_static_selectorELNS0_4arch9wavefront6targetE1EEEvT1_,comdat
	.globl	_ZN7rocprim17ROCPRIM_400000_NS6detail17trampoline_kernelINS0_14default_configENS1_35adjacent_difference_config_selectorILb0ElEEZNS1_24adjacent_difference_implIS3_Lb0ELb0EPlS7_ZN2at6native12_GLOBAL__N_124unique_dim_cuda_templateImEESt5tupleIJNS8_6TensorESD_SD_EERKSD_lbbbEUlllE1_EE10hipError_tPvRmT2_T3_mT4_P12ihipStream_tbEUlT_E_NS1_11comp_targetILNS1_3genE0ELNS1_11target_archE4294967295ELNS1_3gpuE0ELNS1_3repE0EEENS1_30default_config_static_selectorELNS0_4arch9wavefront6targetE1EEEvT1_ ; -- Begin function _ZN7rocprim17ROCPRIM_400000_NS6detail17trampoline_kernelINS0_14default_configENS1_35adjacent_difference_config_selectorILb0ElEEZNS1_24adjacent_difference_implIS3_Lb0ELb0EPlS7_ZN2at6native12_GLOBAL__N_124unique_dim_cuda_templateImEESt5tupleIJNS8_6TensorESD_SD_EERKSD_lbbbEUlllE1_EE10hipError_tPvRmT2_T3_mT4_P12ihipStream_tbEUlT_E_NS1_11comp_targetILNS1_3genE0ELNS1_11target_archE4294967295ELNS1_3gpuE0ELNS1_3repE0EEENS1_30default_config_static_selectorELNS0_4arch9wavefront6targetE1EEEvT1_
	.p2align	8
	.type	_ZN7rocprim17ROCPRIM_400000_NS6detail17trampoline_kernelINS0_14default_configENS1_35adjacent_difference_config_selectorILb0ElEEZNS1_24adjacent_difference_implIS3_Lb0ELb0EPlS7_ZN2at6native12_GLOBAL__N_124unique_dim_cuda_templateImEESt5tupleIJNS8_6TensorESD_SD_EERKSD_lbbbEUlllE1_EE10hipError_tPvRmT2_T3_mT4_P12ihipStream_tbEUlT_E_NS1_11comp_targetILNS1_3genE0ELNS1_11target_archE4294967295ELNS1_3gpuE0ELNS1_3repE0EEENS1_30default_config_static_selectorELNS0_4arch9wavefront6targetE1EEEvT1_,@function
_ZN7rocprim17ROCPRIM_400000_NS6detail17trampoline_kernelINS0_14default_configENS1_35adjacent_difference_config_selectorILb0ElEEZNS1_24adjacent_difference_implIS3_Lb0ELb0EPlS7_ZN2at6native12_GLOBAL__N_124unique_dim_cuda_templateImEESt5tupleIJNS8_6TensorESD_SD_EERKSD_lbbbEUlllE1_EE10hipError_tPvRmT2_T3_mT4_P12ihipStream_tbEUlT_E_NS1_11comp_targetILNS1_3genE0ELNS1_11target_archE4294967295ELNS1_3gpuE0ELNS1_3repE0EEENS1_30default_config_static_selectorELNS0_4arch9wavefront6targetE1EEEvT1_: ; @_ZN7rocprim17ROCPRIM_400000_NS6detail17trampoline_kernelINS0_14default_configENS1_35adjacent_difference_config_selectorILb0ElEEZNS1_24adjacent_difference_implIS3_Lb0ELb0EPlS7_ZN2at6native12_GLOBAL__N_124unique_dim_cuda_templateImEESt5tupleIJNS8_6TensorESD_SD_EERKSD_lbbbEUlllE1_EE10hipError_tPvRmT2_T3_mT4_P12ihipStream_tbEUlT_E_NS1_11comp_targetILNS1_3genE0ELNS1_11target_archE4294967295ELNS1_3gpuE0ELNS1_3repE0EEENS1_30default_config_static_selectorELNS0_4arch9wavefront6targetE1EEEvT1_
; %bb.0:
	.section	.rodata,"a",@progbits
	.p2align	6, 0x0
	.amdhsa_kernel _ZN7rocprim17ROCPRIM_400000_NS6detail17trampoline_kernelINS0_14default_configENS1_35adjacent_difference_config_selectorILb0ElEEZNS1_24adjacent_difference_implIS3_Lb0ELb0EPlS7_ZN2at6native12_GLOBAL__N_124unique_dim_cuda_templateImEESt5tupleIJNS8_6TensorESD_SD_EERKSD_lbbbEUlllE1_EE10hipError_tPvRmT2_T3_mT4_P12ihipStream_tbEUlT_E_NS1_11comp_targetILNS1_3genE0ELNS1_11target_archE4294967295ELNS1_3gpuE0ELNS1_3repE0EEENS1_30default_config_static_selectorELNS0_4arch9wavefront6targetE1EEEvT1_
		.amdhsa_group_segment_fixed_size 0
		.amdhsa_private_segment_fixed_size 0
		.amdhsa_kernarg_size 64
		.amdhsa_user_sgpr_count 2
		.amdhsa_user_sgpr_dispatch_ptr 0
		.amdhsa_user_sgpr_queue_ptr 0
		.amdhsa_user_sgpr_kernarg_segment_ptr 1
		.amdhsa_user_sgpr_dispatch_id 0
		.amdhsa_user_sgpr_kernarg_preload_length 0
		.amdhsa_user_sgpr_kernarg_preload_offset 0
		.amdhsa_user_sgpr_private_segment_size 0
		.amdhsa_uses_dynamic_stack 0
		.amdhsa_enable_private_segment 0
		.amdhsa_system_sgpr_workgroup_id_x 1
		.amdhsa_system_sgpr_workgroup_id_y 0
		.amdhsa_system_sgpr_workgroup_id_z 0
		.amdhsa_system_sgpr_workgroup_info 0
		.amdhsa_system_vgpr_workitem_id 0
		.amdhsa_next_free_vgpr 1
		.amdhsa_next_free_sgpr 0
		.amdhsa_accum_offset 4
		.amdhsa_reserve_vcc 0
		.amdhsa_float_round_mode_32 0
		.amdhsa_float_round_mode_16_64 0
		.amdhsa_float_denorm_mode_32 3
		.amdhsa_float_denorm_mode_16_64 3
		.amdhsa_dx10_clamp 1
		.amdhsa_ieee_mode 1
		.amdhsa_fp16_overflow 0
		.amdhsa_tg_split 0
		.amdhsa_exception_fp_ieee_invalid_op 0
		.amdhsa_exception_fp_denorm_src 0
		.amdhsa_exception_fp_ieee_div_zero 0
		.amdhsa_exception_fp_ieee_overflow 0
		.amdhsa_exception_fp_ieee_underflow 0
		.amdhsa_exception_fp_ieee_inexact 0
		.amdhsa_exception_int_div_zero 0
	.end_amdhsa_kernel
	.section	.text._ZN7rocprim17ROCPRIM_400000_NS6detail17trampoline_kernelINS0_14default_configENS1_35adjacent_difference_config_selectorILb0ElEEZNS1_24adjacent_difference_implIS3_Lb0ELb0EPlS7_ZN2at6native12_GLOBAL__N_124unique_dim_cuda_templateImEESt5tupleIJNS8_6TensorESD_SD_EERKSD_lbbbEUlllE1_EE10hipError_tPvRmT2_T3_mT4_P12ihipStream_tbEUlT_E_NS1_11comp_targetILNS1_3genE0ELNS1_11target_archE4294967295ELNS1_3gpuE0ELNS1_3repE0EEENS1_30default_config_static_selectorELNS0_4arch9wavefront6targetE1EEEvT1_,"axG",@progbits,_ZN7rocprim17ROCPRIM_400000_NS6detail17trampoline_kernelINS0_14default_configENS1_35adjacent_difference_config_selectorILb0ElEEZNS1_24adjacent_difference_implIS3_Lb0ELb0EPlS7_ZN2at6native12_GLOBAL__N_124unique_dim_cuda_templateImEESt5tupleIJNS8_6TensorESD_SD_EERKSD_lbbbEUlllE1_EE10hipError_tPvRmT2_T3_mT4_P12ihipStream_tbEUlT_E_NS1_11comp_targetILNS1_3genE0ELNS1_11target_archE4294967295ELNS1_3gpuE0ELNS1_3repE0EEENS1_30default_config_static_selectorELNS0_4arch9wavefront6targetE1EEEvT1_,comdat
.Lfunc_end1649:
	.size	_ZN7rocprim17ROCPRIM_400000_NS6detail17trampoline_kernelINS0_14default_configENS1_35adjacent_difference_config_selectorILb0ElEEZNS1_24adjacent_difference_implIS3_Lb0ELb0EPlS7_ZN2at6native12_GLOBAL__N_124unique_dim_cuda_templateImEESt5tupleIJNS8_6TensorESD_SD_EERKSD_lbbbEUlllE1_EE10hipError_tPvRmT2_T3_mT4_P12ihipStream_tbEUlT_E_NS1_11comp_targetILNS1_3genE0ELNS1_11target_archE4294967295ELNS1_3gpuE0ELNS1_3repE0EEENS1_30default_config_static_selectorELNS0_4arch9wavefront6targetE1EEEvT1_, .Lfunc_end1649-_ZN7rocprim17ROCPRIM_400000_NS6detail17trampoline_kernelINS0_14default_configENS1_35adjacent_difference_config_selectorILb0ElEEZNS1_24adjacent_difference_implIS3_Lb0ELb0EPlS7_ZN2at6native12_GLOBAL__N_124unique_dim_cuda_templateImEESt5tupleIJNS8_6TensorESD_SD_EERKSD_lbbbEUlllE1_EE10hipError_tPvRmT2_T3_mT4_P12ihipStream_tbEUlT_E_NS1_11comp_targetILNS1_3genE0ELNS1_11target_archE4294967295ELNS1_3gpuE0ELNS1_3repE0EEENS1_30default_config_static_selectorELNS0_4arch9wavefront6targetE1EEEvT1_
                                        ; -- End function
	.section	.AMDGPU.csdata,"",@progbits
; Kernel info:
; codeLenInByte = 0
; NumSgprs: 6
; NumVgprs: 0
; NumAgprs: 0
; TotalNumVgprs: 0
; ScratchSize: 0
; MemoryBound: 0
; FloatMode: 240
; IeeeMode: 1
; LDSByteSize: 0 bytes/workgroup (compile time only)
; SGPRBlocks: 0
; VGPRBlocks: 0
; NumSGPRsForWavesPerEU: 6
; NumVGPRsForWavesPerEU: 1
; AccumOffset: 4
; Occupancy: 8
; WaveLimiterHint : 0
; COMPUTE_PGM_RSRC2:SCRATCH_EN: 0
; COMPUTE_PGM_RSRC2:USER_SGPR: 2
; COMPUTE_PGM_RSRC2:TRAP_HANDLER: 0
; COMPUTE_PGM_RSRC2:TGID_X_EN: 1
; COMPUTE_PGM_RSRC2:TGID_Y_EN: 0
; COMPUTE_PGM_RSRC2:TGID_Z_EN: 0
; COMPUTE_PGM_RSRC2:TIDIG_COMP_CNT: 0
; COMPUTE_PGM_RSRC3_GFX90A:ACCUM_OFFSET: 0
; COMPUTE_PGM_RSRC3_GFX90A:TG_SPLIT: 0
	.section	.text._ZN7rocprim17ROCPRIM_400000_NS6detail17trampoline_kernelINS0_14default_configENS1_35adjacent_difference_config_selectorILb0ElEEZNS1_24adjacent_difference_implIS3_Lb0ELb0EPlS7_ZN2at6native12_GLOBAL__N_124unique_dim_cuda_templateImEESt5tupleIJNS8_6TensorESD_SD_EERKSD_lbbbEUlllE1_EE10hipError_tPvRmT2_T3_mT4_P12ihipStream_tbEUlT_E_NS1_11comp_targetILNS1_3genE10ELNS1_11target_archE1201ELNS1_3gpuE5ELNS1_3repE0EEENS1_30default_config_static_selectorELNS0_4arch9wavefront6targetE1EEEvT1_,"axG",@progbits,_ZN7rocprim17ROCPRIM_400000_NS6detail17trampoline_kernelINS0_14default_configENS1_35adjacent_difference_config_selectorILb0ElEEZNS1_24adjacent_difference_implIS3_Lb0ELb0EPlS7_ZN2at6native12_GLOBAL__N_124unique_dim_cuda_templateImEESt5tupleIJNS8_6TensorESD_SD_EERKSD_lbbbEUlllE1_EE10hipError_tPvRmT2_T3_mT4_P12ihipStream_tbEUlT_E_NS1_11comp_targetILNS1_3genE10ELNS1_11target_archE1201ELNS1_3gpuE5ELNS1_3repE0EEENS1_30default_config_static_selectorELNS0_4arch9wavefront6targetE1EEEvT1_,comdat
	.globl	_ZN7rocprim17ROCPRIM_400000_NS6detail17trampoline_kernelINS0_14default_configENS1_35adjacent_difference_config_selectorILb0ElEEZNS1_24adjacent_difference_implIS3_Lb0ELb0EPlS7_ZN2at6native12_GLOBAL__N_124unique_dim_cuda_templateImEESt5tupleIJNS8_6TensorESD_SD_EERKSD_lbbbEUlllE1_EE10hipError_tPvRmT2_T3_mT4_P12ihipStream_tbEUlT_E_NS1_11comp_targetILNS1_3genE10ELNS1_11target_archE1201ELNS1_3gpuE5ELNS1_3repE0EEENS1_30default_config_static_selectorELNS0_4arch9wavefront6targetE1EEEvT1_ ; -- Begin function _ZN7rocprim17ROCPRIM_400000_NS6detail17trampoline_kernelINS0_14default_configENS1_35adjacent_difference_config_selectorILb0ElEEZNS1_24adjacent_difference_implIS3_Lb0ELb0EPlS7_ZN2at6native12_GLOBAL__N_124unique_dim_cuda_templateImEESt5tupleIJNS8_6TensorESD_SD_EERKSD_lbbbEUlllE1_EE10hipError_tPvRmT2_T3_mT4_P12ihipStream_tbEUlT_E_NS1_11comp_targetILNS1_3genE10ELNS1_11target_archE1201ELNS1_3gpuE5ELNS1_3repE0EEENS1_30default_config_static_selectorELNS0_4arch9wavefront6targetE1EEEvT1_
	.p2align	8
	.type	_ZN7rocprim17ROCPRIM_400000_NS6detail17trampoline_kernelINS0_14default_configENS1_35adjacent_difference_config_selectorILb0ElEEZNS1_24adjacent_difference_implIS3_Lb0ELb0EPlS7_ZN2at6native12_GLOBAL__N_124unique_dim_cuda_templateImEESt5tupleIJNS8_6TensorESD_SD_EERKSD_lbbbEUlllE1_EE10hipError_tPvRmT2_T3_mT4_P12ihipStream_tbEUlT_E_NS1_11comp_targetILNS1_3genE10ELNS1_11target_archE1201ELNS1_3gpuE5ELNS1_3repE0EEENS1_30default_config_static_selectorELNS0_4arch9wavefront6targetE1EEEvT1_,@function
_ZN7rocprim17ROCPRIM_400000_NS6detail17trampoline_kernelINS0_14default_configENS1_35adjacent_difference_config_selectorILb0ElEEZNS1_24adjacent_difference_implIS3_Lb0ELb0EPlS7_ZN2at6native12_GLOBAL__N_124unique_dim_cuda_templateImEESt5tupleIJNS8_6TensorESD_SD_EERKSD_lbbbEUlllE1_EE10hipError_tPvRmT2_T3_mT4_P12ihipStream_tbEUlT_E_NS1_11comp_targetILNS1_3genE10ELNS1_11target_archE1201ELNS1_3gpuE5ELNS1_3repE0EEENS1_30default_config_static_selectorELNS0_4arch9wavefront6targetE1EEEvT1_: ; @_ZN7rocprim17ROCPRIM_400000_NS6detail17trampoline_kernelINS0_14default_configENS1_35adjacent_difference_config_selectorILb0ElEEZNS1_24adjacent_difference_implIS3_Lb0ELb0EPlS7_ZN2at6native12_GLOBAL__N_124unique_dim_cuda_templateImEESt5tupleIJNS8_6TensorESD_SD_EERKSD_lbbbEUlllE1_EE10hipError_tPvRmT2_T3_mT4_P12ihipStream_tbEUlT_E_NS1_11comp_targetILNS1_3genE10ELNS1_11target_archE1201ELNS1_3gpuE5ELNS1_3repE0EEENS1_30default_config_static_selectorELNS0_4arch9wavefront6targetE1EEEvT1_
; %bb.0:
	.section	.rodata,"a",@progbits
	.p2align	6, 0x0
	.amdhsa_kernel _ZN7rocprim17ROCPRIM_400000_NS6detail17trampoline_kernelINS0_14default_configENS1_35adjacent_difference_config_selectorILb0ElEEZNS1_24adjacent_difference_implIS3_Lb0ELb0EPlS7_ZN2at6native12_GLOBAL__N_124unique_dim_cuda_templateImEESt5tupleIJNS8_6TensorESD_SD_EERKSD_lbbbEUlllE1_EE10hipError_tPvRmT2_T3_mT4_P12ihipStream_tbEUlT_E_NS1_11comp_targetILNS1_3genE10ELNS1_11target_archE1201ELNS1_3gpuE5ELNS1_3repE0EEENS1_30default_config_static_selectorELNS0_4arch9wavefront6targetE1EEEvT1_
		.amdhsa_group_segment_fixed_size 0
		.amdhsa_private_segment_fixed_size 0
		.amdhsa_kernarg_size 64
		.amdhsa_user_sgpr_count 2
		.amdhsa_user_sgpr_dispatch_ptr 0
		.amdhsa_user_sgpr_queue_ptr 0
		.amdhsa_user_sgpr_kernarg_segment_ptr 1
		.amdhsa_user_sgpr_dispatch_id 0
		.amdhsa_user_sgpr_kernarg_preload_length 0
		.amdhsa_user_sgpr_kernarg_preload_offset 0
		.amdhsa_user_sgpr_private_segment_size 0
		.amdhsa_uses_dynamic_stack 0
		.amdhsa_enable_private_segment 0
		.amdhsa_system_sgpr_workgroup_id_x 1
		.amdhsa_system_sgpr_workgroup_id_y 0
		.amdhsa_system_sgpr_workgroup_id_z 0
		.amdhsa_system_sgpr_workgroup_info 0
		.amdhsa_system_vgpr_workitem_id 0
		.amdhsa_next_free_vgpr 1
		.amdhsa_next_free_sgpr 0
		.amdhsa_accum_offset 4
		.amdhsa_reserve_vcc 0
		.amdhsa_float_round_mode_32 0
		.amdhsa_float_round_mode_16_64 0
		.amdhsa_float_denorm_mode_32 3
		.amdhsa_float_denorm_mode_16_64 3
		.amdhsa_dx10_clamp 1
		.amdhsa_ieee_mode 1
		.amdhsa_fp16_overflow 0
		.amdhsa_tg_split 0
		.amdhsa_exception_fp_ieee_invalid_op 0
		.amdhsa_exception_fp_denorm_src 0
		.amdhsa_exception_fp_ieee_div_zero 0
		.amdhsa_exception_fp_ieee_overflow 0
		.amdhsa_exception_fp_ieee_underflow 0
		.amdhsa_exception_fp_ieee_inexact 0
		.amdhsa_exception_int_div_zero 0
	.end_amdhsa_kernel
	.section	.text._ZN7rocprim17ROCPRIM_400000_NS6detail17trampoline_kernelINS0_14default_configENS1_35adjacent_difference_config_selectorILb0ElEEZNS1_24adjacent_difference_implIS3_Lb0ELb0EPlS7_ZN2at6native12_GLOBAL__N_124unique_dim_cuda_templateImEESt5tupleIJNS8_6TensorESD_SD_EERKSD_lbbbEUlllE1_EE10hipError_tPvRmT2_T3_mT4_P12ihipStream_tbEUlT_E_NS1_11comp_targetILNS1_3genE10ELNS1_11target_archE1201ELNS1_3gpuE5ELNS1_3repE0EEENS1_30default_config_static_selectorELNS0_4arch9wavefront6targetE1EEEvT1_,"axG",@progbits,_ZN7rocprim17ROCPRIM_400000_NS6detail17trampoline_kernelINS0_14default_configENS1_35adjacent_difference_config_selectorILb0ElEEZNS1_24adjacent_difference_implIS3_Lb0ELb0EPlS7_ZN2at6native12_GLOBAL__N_124unique_dim_cuda_templateImEESt5tupleIJNS8_6TensorESD_SD_EERKSD_lbbbEUlllE1_EE10hipError_tPvRmT2_T3_mT4_P12ihipStream_tbEUlT_E_NS1_11comp_targetILNS1_3genE10ELNS1_11target_archE1201ELNS1_3gpuE5ELNS1_3repE0EEENS1_30default_config_static_selectorELNS0_4arch9wavefront6targetE1EEEvT1_,comdat
.Lfunc_end1650:
	.size	_ZN7rocprim17ROCPRIM_400000_NS6detail17trampoline_kernelINS0_14default_configENS1_35adjacent_difference_config_selectorILb0ElEEZNS1_24adjacent_difference_implIS3_Lb0ELb0EPlS7_ZN2at6native12_GLOBAL__N_124unique_dim_cuda_templateImEESt5tupleIJNS8_6TensorESD_SD_EERKSD_lbbbEUlllE1_EE10hipError_tPvRmT2_T3_mT4_P12ihipStream_tbEUlT_E_NS1_11comp_targetILNS1_3genE10ELNS1_11target_archE1201ELNS1_3gpuE5ELNS1_3repE0EEENS1_30default_config_static_selectorELNS0_4arch9wavefront6targetE1EEEvT1_, .Lfunc_end1650-_ZN7rocprim17ROCPRIM_400000_NS6detail17trampoline_kernelINS0_14default_configENS1_35adjacent_difference_config_selectorILb0ElEEZNS1_24adjacent_difference_implIS3_Lb0ELb0EPlS7_ZN2at6native12_GLOBAL__N_124unique_dim_cuda_templateImEESt5tupleIJNS8_6TensorESD_SD_EERKSD_lbbbEUlllE1_EE10hipError_tPvRmT2_T3_mT4_P12ihipStream_tbEUlT_E_NS1_11comp_targetILNS1_3genE10ELNS1_11target_archE1201ELNS1_3gpuE5ELNS1_3repE0EEENS1_30default_config_static_selectorELNS0_4arch9wavefront6targetE1EEEvT1_
                                        ; -- End function
	.section	.AMDGPU.csdata,"",@progbits
; Kernel info:
; codeLenInByte = 0
; NumSgprs: 6
; NumVgprs: 0
; NumAgprs: 0
; TotalNumVgprs: 0
; ScratchSize: 0
; MemoryBound: 0
; FloatMode: 240
; IeeeMode: 1
; LDSByteSize: 0 bytes/workgroup (compile time only)
; SGPRBlocks: 0
; VGPRBlocks: 0
; NumSGPRsForWavesPerEU: 6
; NumVGPRsForWavesPerEU: 1
; AccumOffset: 4
; Occupancy: 8
; WaveLimiterHint : 0
; COMPUTE_PGM_RSRC2:SCRATCH_EN: 0
; COMPUTE_PGM_RSRC2:USER_SGPR: 2
; COMPUTE_PGM_RSRC2:TRAP_HANDLER: 0
; COMPUTE_PGM_RSRC2:TGID_X_EN: 1
; COMPUTE_PGM_RSRC2:TGID_Y_EN: 0
; COMPUTE_PGM_RSRC2:TGID_Z_EN: 0
; COMPUTE_PGM_RSRC2:TIDIG_COMP_CNT: 0
; COMPUTE_PGM_RSRC3_GFX90A:ACCUM_OFFSET: 0
; COMPUTE_PGM_RSRC3_GFX90A:TG_SPLIT: 0
	.section	.text._ZN7rocprim17ROCPRIM_400000_NS6detail17trampoline_kernelINS0_14default_configENS1_35adjacent_difference_config_selectorILb0ElEEZNS1_24adjacent_difference_implIS3_Lb0ELb0EPlS7_ZN2at6native12_GLOBAL__N_124unique_dim_cuda_templateImEESt5tupleIJNS8_6TensorESD_SD_EERKSD_lbbbEUlllE1_EE10hipError_tPvRmT2_T3_mT4_P12ihipStream_tbEUlT_E_NS1_11comp_targetILNS1_3genE5ELNS1_11target_archE942ELNS1_3gpuE9ELNS1_3repE0EEENS1_30default_config_static_selectorELNS0_4arch9wavefront6targetE1EEEvT1_,"axG",@progbits,_ZN7rocprim17ROCPRIM_400000_NS6detail17trampoline_kernelINS0_14default_configENS1_35adjacent_difference_config_selectorILb0ElEEZNS1_24adjacent_difference_implIS3_Lb0ELb0EPlS7_ZN2at6native12_GLOBAL__N_124unique_dim_cuda_templateImEESt5tupleIJNS8_6TensorESD_SD_EERKSD_lbbbEUlllE1_EE10hipError_tPvRmT2_T3_mT4_P12ihipStream_tbEUlT_E_NS1_11comp_targetILNS1_3genE5ELNS1_11target_archE942ELNS1_3gpuE9ELNS1_3repE0EEENS1_30default_config_static_selectorELNS0_4arch9wavefront6targetE1EEEvT1_,comdat
	.globl	_ZN7rocprim17ROCPRIM_400000_NS6detail17trampoline_kernelINS0_14default_configENS1_35adjacent_difference_config_selectorILb0ElEEZNS1_24adjacent_difference_implIS3_Lb0ELb0EPlS7_ZN2at6native12_GLOBAL__N_124unique_dim_cuda_templateImEESt5tupleIJNS8_6TensorESD_SD_EERKSD_lbbbEUlllE1_EE10hipError_tPvRmT2_T3_mT4_P12ihipStream_tbEUlT_E_NS1_11comp_targetILNS1_3genE5ELNS1_11target_archE942ELNS1_3gpuE9ELNS1_3repE0EEENS1_30default_config_static_selectorELNS0_4arch9wavefront6targetE1EEEvT1_ ; -- Begin function _ZN7rocprim17ROCPRIM_400000_NS6detail17trampoline_kernelINS0_14default_configENS1_35adjacent_difference_config_selectorILb0ElEEZNS1_24adjacent_difference_implIS3_Lb0ELb0EPlS7_ZN2at6native12_GLOBAL__N_124unique_dim_cuda_templateImEESt5tupleIJNS8_6TensorESD_SD_EERKSD_lbbbEUlllE1_EE10hipError_tPvRmT2_T3_mT4_P12ihipStream_tbEUlT_E_NS1_11comp_targetILNS1_3genE5ELNS1_11target_archE942ELNS1_3gpuE9ELNS1_3repE0EEENS1_30default_config_static_selectorELNS0_4arch9wavefront6targetE1EEEvT1_
	.p2align	8
	.type	_ZN7rocprim17ROCPRIM_400000_NS6detail17trampoline_kernelINS0_14default_configENS1_35adjacent_difference_config_selectorILb0ElEEZNS1_24adjacent_difference_implIS3_Lb0ELb0EPlS7_ZN2at6native12_GLOBAL__N_124unique_dim_cuda_templateImEESt5tupleIJNS8_6TensorESD_SD_EERKSD_lbbbEUlllE1_EE10hipError_tPvRmT2_T3_mT4_P12ihipStream_tbEUlT_E_NS1_11comp_targetILNS1_3genE5ELNS1_11target_archE942ELNS1_3gpuE9ELNS1_3repE0EEENS1_30default_config_static_selectorELNS0_4arch9wavefront6targetE1EEEvT1_,@function
_ZN7rocprim17ROCPRIM_400000_NS6detail17trampoline_kernelINS0_14default_configENS1_35adjacent_difference_config_selectorILb0ElEEZNS1_24adjacent_difference_implIS3_Lb0ELb0EPlS7_ZN2at6native12_GLOBAL__N_124unique_dim_cuda_templateImEESt5tupleIJNS8_6TensorESD_SD_EERKSD_lbbbEUlllE1_EE10hipError_tPvRmT2_T3_mT4_P12ihipStream_tbEUlT_E_NS1_11comp_targetILNS1_3genE5ELNS1_11target_archE942ELNS1_3gpuE9ELNS1_3repE0EEENS1_30default_config_static_selectorELNS0_4arch9wavefront6targetE1EEEvT1_: ; @_ZN7rocprim17ROCPRIM_400000_NS6detail17trampoline_kernelINS0_14default_configENS1_35adjacent_difference_config_selectorILb0ElEEZNS1_24adjacent_difference_implIS3_Lb0ELb0EPlS7_ZN2at6native12_GLOBAL__N_124unique_dim_cuda_templateImEESt5tupleIJNS8_6TensorESD_SD_EERKSD_lbbbEUlllE1_EE10hipError_tPvRmT2_T3_mT4_P12ihipStream_tbEUlT_E_NS1_11comp_targetILNS1_3genE5ELNS1_11target_archE942ELNS1_3gpuE9ELNS1_3repE0EEENS1_30default_config_static_selectorELNS0_4arch9wavefront6targetE1EEEvT1_
; %bb.0:
	s_load_dwordx8 s[4:11], s[0:1], 0x0
	s_load_dwordx4 s[12:15], s[0:1], 0x20
	s_load_dwordx2 s[18:19], s[0:1], 0x38
	s_mov_b32 s1, 0xcec4e8e0
	v_bfrev_b32_e32 v1, 1
	s_waitcnt lgkmcnt(0)
	s_lshl_b64 s[16:17], s[6:7], 3
	s_add_u32 s24, s4, s16
	s_addc_u32 s25, s5, s17
	s_add_u32 s1, 0x150, s1
	s_addc_u32 s3, 0, 0
	v_add_co_u32_e32 v1, vcc, s1, v1
	s_cmp_lg_u64 vcc, 0
	v_readfirstlane_b32 s4, v1
	s_addc_u32 s1, s3, 0x4ec4eb
	s_mul_hi_u32 s5, s4, 0xfffffcc0
	s_mul_i32 s3, s1, 0xfffffcc0
	s_sub_i32 s5, s5, s4
	s_add_i32 s5, s5, s3
	s_mul_i32 s21, s4, 0xfffffcc0
	s_mul_hi_u32 s3, s4, s5
	s_mul_i32 s20, s4, s5
	s_mul_hi_u32 s4, s4, s21
	s_add_u32 s4, s4, s20
	s_addc_u32 s3, 0, s3
	s_mul_hi_u32 s22, s1, s21
	s_mul_i32 s21, s1, s21
	s_add_u32 s4, s4, s21
	s_mul_hi_u32 s20, s1, s5
	s_addc_u32 s3, s3, s22
	s_addc_u32 s4, s20, 0
	s_mul_i32 s5, s1, s5
	s_add_u32 s3, s3, s5
	s_addc_u32 s4, 0, s4
	v_add_co_u32_e32 v1, vcc, s3, v1
	s_cmp_lg_u64 vcc, 0
	s_addc_u32 s1, s1, s4
	v_readfirstlane_b32 s5, v1
	s_mul_i32 s4, s10, s1
	s_mul_hi_u32 s20, s10, s5
	s_mul_hi_u32 s3, s10, s1
	s_add_u32 s4, s20, s4
	s_addc_u32 s3, 0, s3
	s_mul_hi_u32 s21, s11, s5
	s_mul_i32 s5, s11, s5
	s_add_u32 s4, s4, s5
	s_mul_hi_u32 s20, s11, s1
	s_addc_u32 s3, s3, s21
	s_addc_u32 s4, s20, 0
	s_mul_i32 s1, s11, s1
	s_add_u32 s1, s3, s1
	s_addc_u32 s3, 0, s4
	s_add_u32 s4, s1, 1
	s_addc_u32 s5, s3, 0
	s_add_u32 s20, s1, 2
	s_mul_i32 s22, s3, 0x340
	s_mul_hi_u32 s23, s1, 0x340
	s_addc_u32 s21, s3, 0
	s_add_i32 s23, s23, s22
	s_mul_i32 s22, s1, 0x340
	v_mov_b32_e32 v1, s22
	v_sub_co_u32_e32 v1, vcc, s10, v1
	s_movk_i32 s0, 0x340
	s_cmp_lg_u64 vcc, 0
	s_subb_u32 s22, s11, s23
	v_subrev_co_u32_e32 v2, vcc, s0, v1
	s_cmp_lg_u64 vcc, 0
	s_subb_u32 s0, s22, 0
	v_readfirstlane_b32 s23, v2
	s_cmpk_gt_u32 s23, 0x33f
	s_cselect_b32 s23, -1, 0
	s_cmp_eq_u32 s0, 0
	s_cselect_b32 s0, s23, -1
	s_cmp_lg_u32 s0, 0
	s_cselect_b32 s0, s20, s4
	s_cselect_b32 s4, s21, s5
	v_readfirstlane_b32 s5, v1
	s_cmpk_gt_u32 s5, 0x33f
	s_cselect_b32 s5, -1, 0
	s_cmp_eq_u32 s22, 0
	s_cselect_b32 s5, s5, -1
	s_cmp_lg_u32 s5, 0
	s_cselect_b32 s3, s4, s3
	s_cselect_b32 s4, s0, s1
	s_mul_i32 s0, s3, 0x340
	s_mul_hi_u32 s1, s4, 0x340
	s_add_i32 s1, s1, s0
	s_mul_i32 s0, s4, 0x340
	s_sub_u32 s0, s10, s0
	s_subb_u32 s1, s11, s1
	s_cmp_lg_u64 s[0:1], 0
	s_cselect_b64 s[0:1], -1, 0
	v_cndmask_b32_e64 v1, 0, 1, s[0:1]
	s_mul_i32 s6, s2, 0x340
	v_readfirstlane_b32 s0, v1
	s_add_u32 s4, s4, s0
	s_addc_u32 s5, s3, 0
	s_add_u32 s22, s18, s2
	s_addc_u32 s23, s19, 0
	s_add_u32 s2, s4, -1
	s_addc_u32 s3, s5, -1
	v_mov_b64_e32 v[2:3], s[2:3]
	v_cmp_ge_u64_e64 s[0:1], s[22:23], v[2:3]
	s_mov_b32 s7, 0
	s_mov_b64 s[18:19], -1
	s_and_b64 vcc, exec, s[0:1]
	s_mul_i32 s11, s2, 0xfffffcc0
	s_cbranch_vccz .LBB1651_28
; %bb.1:
	s_add_i32 s26, s11, s10
	s_lshl_b64 s[18:19], s[6:7], 3
	s_add_u32 s18, s24, s18
	s_addc_u32 s19, s25, s19
	v_cmp_gt_u32_e32 vcc, s26, v0
                                        ; implicit-def: $vgpr2_vgpr3_vgpr4_vgpr5_vgpr6_vgpr7_vgpr8_vgpr9_vgpr10_vgpr11_vgpr12_vgpr13_vgpr14_vgpr15_vgpr16_vgpr17_vgpr18_vgpr19_vgpr20_vgpr21_vgpr22_vgpr23_vgpr24_vgpr25_vgpr26_vgpr27_vgpr28_vgpr29_vgpr30_vgpr31_vgpr32_vgpr33
	s_and_saveexec_b64 s[20:21], vcc
	s_cbranch_execz .LBB1651_3
; %bb.2:
	v_lshlrev_b32_e32 v1, 3, v0
	global_load_dwordx2 v[2:3], v1, s[18:19]
.LBB1651_3:
	s_or_b64 exec, exec, s[20:21]
	v_or_b32_e32 v1, 64, v0
	v_cmp_gt_u32_e32 vcc, s26, v1
	s_and_saveexec_b64 s[20:21], vcc
	s_cbranch_execz .LBB1651_5
; %bb.4:
	v_lshlrev_b32_e32 v1, 3, v0
	global_load_dwordx2 v[4:5], v1, s[18:19] offset:512
.LBB1651_5:
	s_or_b64 exec, exec, s[20:21]
	v_or_b32_e32 v1, 0x80, v0
	v_cmp_gt_u32_e32 vcc, s26, v1
	s_and_saveexec_b64 s[20:21], vcc
	s_cbranch_execz .LBB1651_7
; %bb.6:
	v_lshlrev_b32_e32 v1, 3, v0
	global_load_dwordx2 v[6:7], v1, s[18:19] offset:1024
.LBB1651_7:
	s_or_b64 exec, exec, s[20:21]
	v_or_b32_e32 v1, 0xc0, v0
	v_cmp_gt_u32_e32 vcc, s26, v1
	s_and_saveexec_b64 s[20:21], vcc
	s_cbranch_execz .LBB1651_9
; %bb.8:
	v_lshlrev_b32_e32 v1, 3, v0
	global_load_dwordx2 v[8:9], v1, s[18:19] offset:1536
.LBB1651_9:
	s_or_b64 exec, exec, s[20:21]
	v_or_b32_e32 v1, 0x100, v0
	v_cmp_gt_u32_e32 vcc, s26, v1
	s_and_saveexec_b64 s[20:21], vcc
	s_cbranch_execz .LBB1651_11
; %bb.10:
	v_lshlrev_b32_e32 v1, 3, v0
	global_load_dwordx2 v[10:11], v1, s[18:19] offset:2048
.LBB1651_11:
	s_or_b64 exec, exec, s[20:21]
	v_or_b32_e32 v1, 0x140, v0
	v_cmp_gt_u32_e32 vcc, s26, v1
	s_and_saveexec_b64 s[20:21], vcc
	s_cbranch_execz .LBB1651_13
; %bb.12:
	v_lshlrev_b32_e32 v1, 3, v0
	global_load_dwordx2 v[12:13], v1, s[18:19] offset:2560
.LBB1651_13:
	s_or_b64 exec, exec, s[20:21]
	v_or_b32_e32 v1, 0x180, v0
	v_cmp_gt_u32_e32 vcc, s26, v1
	s_and_saveexec_b64 s[20:21], vcc
	s_cbranch_execz .LBB1651_15
; %bb.14:
	v_lshlrev_b32_e32 v1, 3, v0
	global_load_dwordx2 v[14:15], v1, s[18:19] offset:3072
.LBB1651_15:
	s_or_b64 exec, exec, s[20:21]
	v_or_b32_e32 v1, 0x1c0, v0
	v_cmp_gt_u32_e32 vcc, s26, v1
	s_and_saveexec_b64 s[20:21], vcc
	s_cbranch_execz .LBB1651_17
; %bb.16:
	v_lshlrev_b32_e32 v1, 3, v0
	global_load_dwordx2 v[16:17], v1, s[18:19] offset:3584
.LBB1651_17:
	s_or_b64 exec, exec, s[20:21]
	v_or_b32_e32 v1, 0x200, v0
	v_cmp_gt_u32_e32 vcc, s26, v1
	s_and_saveexec_b64 s[20:21], vcc
	s_cbranch_execz .LBB1651_19
; %bb.18:
	v_lshlrev_b32_e32 v1, 3, v1
	global_load_dwordx2 v[18:19], v1, s[18:19]
.LBB1651_19:
	s_or_b64 exec, exec, s[20:21]
	v_or_b32_e32 v1, 0x240, v0
	v_cmp_gt_u32_e32 vcc, s26, v1
	s_and_saveexec_b64 s[20:21], vcc
	s_cbranch_execz .LBB1651_21
; %bb.20:
	v_lshlrev_b32_e32 v1, 3, v1
	global_load_dwordx2 v[20:21], v1, s[18:19]
.LBB1651_21:
	;; [unrolled: 9-line block ×5, first 2 shown]
	s_or_b64 exec, exec, s[20:21]
	v_lshlrev_b32_e32 v1, 3, v0
	s_mov_b64 s[18:19], 0
	s_waitcnt vmcnt(0)
	ds_write2st64_b64 v1, v[2:3], v[4:5] offset1:1
	ds_write2st64_b64 v1, v[6:7], v[8:9] offset0:2 offset1:3
	ds_write2st64_b64 v1, v[10:11], v[12:13] offset0:4 offset1:5
	;; [unrolled: 1-line block ×5, first 2 shown]
	ds_write_b64 v1, v[26:27] offset:6144
	s_waitcnt lgkmcnt(0)
	; wave barrier
.LBB1651_28:
	s_and_b64 vcc, exec, s[18:19]
	v_lshlrev_b32_e32 v48, 3, v0
	s_cbranch_vccz .LBB1651_30
; %bb.29:
	s_lshl_b64 s[18:19], s[6:7], 3
	s_add_u32 s18, s24, s18
	s_addc_u32 s19, s25, s19
	v_mov_b32_e32 v49, 0
	v_lshl_add_u64 v[2:3], s[18:19], 0, v[48:49]
	s_movk_i32 s7, 0x1000
	v_add_co_u32_e32 v2, vcc, s7, v2
	global_load_dwordx2 v[4:5], v48, s[18:19]
	global_load_dwordx2 v[6:7], v48, s[18:19] offset:512
	global_load_dwordx2 v[8:9], v48, s[18:19] offset:1024
	;; [unrolled: 1-line block ×7, first 2 shown]
	v_addc_co_u32_e32 v3, vcc, 0, v3, vcc
	global_load_dwordx2 v[20:21], v[2:3], off
	global_load_dwordx2 v[22:23], v[2:3], off offset:512
	global_load_dwordx2 v[24:25], v[2:3], off offset:1024
	;; [unrolled: 1-line block ×4, first 2 shown]
	s_waitcnt vmcnt(11)
	ds_write2st64_b64 v48, v[4:5], v[6:7] offset1:1
	s_waitcnt vmcnt(9)
	ds_write2st64_b64 v48, v[8:9], v[10:11] offset0:2 offset1:3
	s_waitcnt vmcnt(7)
	ds_write2st64_b64 v48, v[12:13], v[14:15] offset0:4 offset1:5
	;; [unrolled: 2-line block ×5, first 2 shown]
	s_waitcnt vmcnt(0)
	ds_write_b64 v48, v[28:29] offset:6144
	s_waitcnt lgkmcnt(0)
	; wave barrier
.LBB1651_30:
	v_mul_u32_u24_e32 v1, 13, v0
	v_lshlrev_b32_e32 v1, 3, v1
	s_waitcnt lgkmcnt(0)
	ds_read2_b64 v[2:5], v1 offset1:1
	ds_read2_b64 v[6:9], v1 offset0:2 offset1:3
	ds_read2_b64 v[10:13], v1 offset0:4 offset1:5
	;; [unrolled: 1-line block ×5, first 2 shown]
	ds_read_b64 v[44:45], v1 offset:96
	s_cmp_eq_u64 s[22:23], 0
	s_mov_b64 s[18:19], 0
	s_waitcnt lgkmcnt(0)
	; wave barrier
	s_waitcnt lgkmcnt(0)
	s_cbranch_scc1 .LBB1651_39
; %bb.31:
	s_mov_b32 s7, 0
	s_lshl_b64 s[20:21], s[6:7], 3
	s_add_u32 s7, s24, s20
	s_addc_u32 s21, s25, s21
	s_add_u32 s20, s7, -8
	s_addc_u32 s21, s21, -1
	s_load_dwordx2 s[20:21], s[20:21], 0x0
	s_cmp_lg_u64 s[22:23], s[2:3]
	s_cbranch_scc0 .LBB1651_40
; %bb.32:
	v_mul_lo_u32 v1, v25, s12
	v_mul_lo_u32 v28, v24, s13
	v_mad_u64_u32 v[26:27], s[24:25], v24, s12, 0
	v_mov_b64_e32 v[46:47], 0
	v_cmp_lt_i64_e64 s[2:3], s[12:13], 1
	v_add3_u32 v27, v27, v28, v1
	v_cmp_gt_i64_e64 s[18:19], s[12:13], 0
	s_and_b64 vcc, exec, s[2:3]
	v_lshl_add_u64 v[26:27], v[26:27], 3, s[14:15]
	v_mov_b64_e32 v[50:51], v[46:47]
	ds_write_b64 v48, v[44:45]
	s_cbranch_vccnz .LBB1651_44
; %bb.33:
	v_mul_lo_u32 v1, v45, s12
	v_mul_lo_u32 v30, v44, s13
	v_mad_u64_u32 v[28:29], s[2:3], v44, s12, 0
	v_add3_u32 v29, v29, v30, v1
	v_lshl_add_u64 v[30:31], v[28:29], 3, s[14:15]
	global_load_dwordx2 v[28:29], v[30:31], off
	global_load_dwordx2 v[32:33], v[26:27], off
	v_mov_b64_e32 v[50:51], 1
	s_waitcnt vmcnt(0)
	v_cmp_eq_u64_e32 vcc, v[28:29], v[32:33]
	s_and_saveexec_b64 s[2:3], vcc
	s_cbranch_execz .LBB1651_43
; %bb.34:
	s_add_u32 s24, s12, -1
	v_lshl_add_u64 v[28:29], v[26:27], 0, 8
	v_lshl_add_u64 v[30:31], v[30:31], 0, 8
	s_addc_u32 s25, s13, -1
	s_mov_b64 s[26:27], 0
	s_mov_b64 s[30:31], 0
                                        ; implicit-def: $sgpr28_sgpr29
	s_branch .LBB1651_37
.LBB1651_35:                            ;   in Loop: Header=BB1651_37 Depth=1
	global_load_dwordx2 v[32:33], v[30:31], off
	global_load_dwordx2 v[34:35], v[28:29], off
	s_add_u32 s30, s30, 1
	s_addc_u32 s31, s31, 0
	s_andn2_b64 s[28:29], s[28:29], exec
	v_lshl_add_u64 v[28:29], v[28:29], 0, 8
	v_lshl_add_u64 v[30:31], v[30:31], 0, 8
	s_waitcnt vmcnt(0)
	v_cmp_ne_u64_e32 vcc, v[32:33], v[34:35]
	s_and_b64 s[34:35], vcc, exec
	s_or_b64 s[28:29], s[28:29], s[34:35]
.LBB1651_36:                            ;   in Loop: Header=BB1651_37 Depth=1
	s_and_b64 s[34:35], exec, s[28:29]
	s_or_b64 s[26:27], s[34:35], s[26:27]
	v_mov_b64_e32 v[32:33], s[30:31]
	s_andn2_b64 exec, exec, s[26:27]
	s_cbranch_execz .LBB1651_42
.LBB1651_37:                            ; =>This Inner Loop Header: Depth=1
	s_or_b64 s[28:29], s[28:29], exec
	s_cmp_eq_u64 s[24:25], s[30:31]
	s_cbranch_scc0 .LBB1651_35
; %bb.38:                               ;   in Loop: Header=BB1651_37 Depth=1
                                        ; implicit-def: $vgpr28_vgpr29
                                        ; implicit-def: $vgpr30_vgpr31
	s_mov_b64 s[30:31], s[12:13]
	s_branch .LBB1651_36
.LBB1651_39:
                                        ; implicit-def: $vgpr26_vgpr27_vgpr28_vgpr29
                                        ; implicit-def: $sgpr24_sgpr25
                                        ; implicit-def: $vgpr50_vgpr51
                                        ; implicit-def: $vgpr52_vgpr53
                                        ; implicit-def: $vgpr46_vgpr47
                                        ; implicit-def: $vgpr70_vgpr71
                                        ; implicit-def: $vgpr68_vgpr69
                                        ; implicit-def: $vgpr66_vgpr67
                                        ; implicit-def: $vgpr64_vgpr65
                                        ; implicit-def: $vgpr62_vgpr63
                                        ; implicit-def: $vgpr60_vgpr61
                                        ; implicit-def: $vgpr58_vgpr59
                                        ; implicit-def: $vgpr56_vgpr57
                                        ; implicit-def: $vgpr54_vgpr55
                                        ; implicit-def: $vgpr72_vgpr73
                                        ; implicit-def: $vgpr82_vgpr83
                                        ; implicit-def: $vgpr74_vgpr75
                                        ; implicit-def: $vgpr76_vgpr77
                                        ; implicit-def: $vgpr78_vgpr79
                                        ; implicit-def: $vgpr80_vgpr81
                                        ; implicit-def: $vgpr28_vgpr29_vgpr30_vgpr31
                                        ; implicit-def: $vgpr32_vgpr33_vgpr34_vgpr35
                                        ; implicit-def: $vgpr36_vgpr37_vgpr38_vgpr39
                                        ; implicit-def: $vgpr40_vgpr41_vgpr42_vgpr43
	s_cbranch_execnz .LBB1651_303
	s_branch .LBB1651_572
.LBB1651_40:
                                        ; implicit-def: $sgpr24_sgpr25
                                        ; implicit-def: $vgpr50_vgpr51
                                        ; implicit-def: $vgpr52_vgpr53
                                        ; implicit-def: $vgpr46_vgpr47
                                        ; implicit-def: $vgpr70_vgpr71
                                        ; implicit-def: $vgpr68_vgpr69
                                        ; implicit-def: $vgpr66_vgpr67
                                        ; implicit-def: $vgpr64_vgpr65
                                        ; implicit-def: $vgpr62_vgpr63
                                        ; implicit-def: $vgpr60_vgpr61
                                        ; implicit-def: $vgpr58_vgpr59
                                        ; implicit-def: $vgpr56_vgpr57
                                        ; implicit-def: $vgpr54_vgpr55
	s_cbranch_execnz .LBB1651_156
.LBB1651_41:
                                        ; implicit-def: $vgpr26_vgpr27_vgpr28_vgpr29
                                        ; implicit-def: $vgpr72_vgpr73
                                        ; implicit-def: $vgpr82_vgpr83
                                        ; implicit-def: $vgpr74_vgpr75
                                        ; implicit-def: $vgpr76_vgpr77
                                        ; implicit-def: $vgpr78_vgpr79
                                        ; implicit-def: $vgpr80_vgpr81
                                        ; implicit-def: $vgpr32_vgpr33_vgpr34_vgpr35
                                        ; implicit-def: $vgpr36_vgpr37_vgpr38_vgpr39
                                        ; implicit-def: $vgpr40_vgpr41_vgpr42_vgpr43
                                        ; implicit-def: $vgpr28_vgpr29_vgpr30_vgpr31
	s_branch .LBB1651_572
.LBB1651_42:
	s_or_b64 exec, exec, s[26:27]
	v_cmp_gt_i64_e32 vcc, s[12:13], v[32:33]
	s_mov_b32 s7, 0
	v_mov_b32_e32 v51, s7
	v_cndmask_b32_e64 v50, 0, 1, vcc
.LBB1651_43:
	s_or_b64 exec, exec, s[2:3]
.LBB1651_44:
	v_mul_lo_u32 v1, v23, s12
	v_mul_lo_u32 v30, v22, s13
	v_mad_u64_u32 v[28:29], s[2:3], v22, s12, 0
	v_add3_u32 v29, v29, v30, v1
	v_cndmask_b32_e64 v1, 0, 1, s[18:19]
	v_cmp_ne_u32_e64 s[2:3], 1, v1
	s_andn2_b64 vcc, exec, s[18:19]
	v_lshl_add_u64 v[28:29], v[28:29], 3, s[14:15]
	v_mov_b64_e32 v[52:53], v[46:47]
	s_cbranch_vccnz .LBB1651_53
; %bb.45:
	global_load_dwordx2 v[30:31], v[26:27], off
	global_load_dwordx2 v[32:33], v[28:29], off
	v_mov_b64_e32 v[52:53], 1
	s_waitcnt vmcnt(0)
	v_cmp_eq_u64_e32 vcc, v[30:31], v[32:33]
	s_and_saveexec_b64 s[18:19], vcc
	s_cbranch_execz .LBB1651_52
; %bb.46:
	s_add_u32 s24, s12, -1
	v_lshl_add_u64 v[30:31], v[28:29], 0, 8
	v_lshl_add_u64 v[26:27], v[26:27], 0, 8
	s_addc_u32 s25, s13, -1
	s_mov_b64 s[26:27], 0
	s_mov_b64 s[30:31], 0
                                        ; implicit-def: $sgpr28_sgpr29
	s_branch .LBB1651_49
.LBB1651_47:                            ;   in Loop: Header=BB1651_49 Depth=1
	global_load_dwordx2 v[32:33], v[26:27], off
	global_load_dwordx2 v[34:35], v[30:31], off
	s_add_u32 s30, s30, 1
	s_addc_u32 s31, s31, 0
	s_andn2_b64 s[28:29], s[28:29], exec
	v_lshl_add_u64 v[30:31], v[30:31], 0, 8
	v_lshl_add_u64 v[26:27], v[26:27], 0, 8
	s_waitcnt vmcnt(0)
	v_cmp_ne_u64_e32 vcc, v[32:33], v[34:35]
	s_and_b64 s[34:35], vcc, exec
	s_or_b64 s[28:29], s[28:29], s[34:35]
.LBB1651_48:                            ;   in Loop: Header=BB1651_49 Depth=1
	s_and_b64 s[34:35], exec, s[28:29]
	s_or_b64 s[26:27], s[34:35], s[26:27]
	v_mov_b64_e32 v[32:33], s[30:31]
	s_andn2_b64 exec, exec, s[26:27]
	s_cbranch_execz .LBB1651_51
.LBB1651_49:                            ; =>This Inner Loop Header: Depth=1
	s_or_b64 s[28:29], s[28:29], exec
	s_cmp_eq_u64 s[24:25], s[30:31]
	s_cbranch_scc0 .LBB1651_47
; %bb.50:                               ;   in Loop: Header=BB1651_49 Depth=1
                                        ; implicit-def: $vgpr30_vgpr31
                                        ; implicit-def: $vgpr26_vgpr27
	s_mov_b64 s[30:31], s[12:13]
	s_branch .LBB1651_48
.LBB1651_51:
	s_or_b64 exec, exec, s[26:27]
	v_cmp_gt_i64_e32 vcc, s[12:13], v[32:33]
	s_mov_b32 s7, 0
	v_mov_b32_e32 v53, s7
	v_cndmask_b32_e64 v52, 0, 1, vcc
.LBB1651_52:
	s_or_b64 exec, exec, s[18:19]
.LBB1651_53:
	v_mul_lo_u32 v1, v21, s12
	v_mul_lo_u32 v30, v20, s13
	v_mad_u64_u32 v[26:27], s[18:19], v20, s12, 0
	v_add3_u32 v27, v27, v30, v1
	s_and_b64 vcc, exec, s[2:3]
	v_lshl_add_u64 v[26:27], v[26:27], 3, s[14:15]
	s_cbranch_vccnz .LBB1651_62
; %bb.54:
	global_load_dwordx2 v[30:31], v[28:29], off
	global_load_dwordx2 v[32:33], v[26:27], off
	v_mov_b64_e32 v[46:47], 1
	s_waitcnt vmcnt(0)
	v_cmp_eq_u64_e32 vcc, v[30:31], v[32:33]
	s_and_saveexec_b64 s[18:19], vcc
	s_cbranch_execz .LBB1651_61
; %bb.55:
	s_add_u32 s24, s12, -1
	v_lshl_add_u64 v[30:31], v[26:27], 0, 8
	v_lshl_add_u64 v[28:29], v[28:29], 0, 8
	s_addc_u32 s25, s13, -1
	s_mov_b64 s[26:27], 0
	s_mov_b64 s[30:31], 0
                                        ; implicit-def: $sgpr28_sgpr29
	s_branch .LBB1651_58
.LBB1651_56:                            ;   in Loop: Header=BB1651_58 Depth=1
	global_load_dwordx2 v[32:33], v[28:29], off
	global_load_dwordx2 v[34:35], v[30:31], off
	s_add_u32 s30, s30, 1
	s_addc_u32 s31, s31, 0
	s_andn2_b64 s[28:29], s[28:29], exec
	v_lshl_add_u64 v[30:31], v[30:31], 0, 8
	v_lshl_add_u64 v[28:29], v[28:29], 0, 8
	s_waitcnt vmcnt(0)
	v_cmp_ne_u64_e32 vcc, v[32:33], v[34:35]
	s_and_b64 s[34:35], vcc, exec
	s_or_b64 s[28:29], s[28:29], s[34:35]
.LBB1651_57:                            ;   in Loop: Header=BB1651_58 Depth=1
	s_and_b64 s[34:35], exec, s[28:29]
	s_or_b64 s[26:27], s[34:35], s[26:27]
	v_mov_b64_e32 v[32:33], s[30:31]
	s_andn2_b64 exec, exec, s[26:27]
	s_cbranch_execz .LBB1651_60
.LBB1651_58:                            ; =>This Inner Loop Header: Depth=1
	s_or_b64 s[28:29], s[28:29], exec
	s_cmp_eq_u64 s[24:25], s[30:31]
	s_cbranch_scc0 .LBB1651_56
; %bb.59:                               ;   in Loop: Header=BB1651_58 Depth=1
                                        ; implicit-def: $vgpr30_vgpr31
                                        ; implicit-def: $vgpr28_vgpr29
	s_mov_b64 s[30:31], s[12:13]
	s_branch .LBB1651_57
.LBB1651_60:
	s_or_b64 exec, exec, s[26:27]
	v_cmp_gt_i64_e32 vcc, s[12:13], v[32:33]
	s_mov_b32 s7, 0
	v_mov_b32_e32 v47, s7
	v_cndmask_b32_e64 v46, 0, 1, vcc
.LBB1651_61:
	s_or_b64 exec, exec, s[18:19]
.LBB1651_62:
	v_mul_lo_u32 v1, v19, s12
	v_mul_lo_u32 v30, v18, s13
	v_mad_u64_u32 v[28:29], s[18:19], v18, s12, 0
	v_add3_u32 v29, v29, v30, v1
	v_mov_b64_e32 v[56:57], 0
	s_and_b64 vcc, exec, s[2:3]
	v_lshl_add_u64 v[28:29], v[28:29], 3, s[14:15]
	v_mov_b64_e32 v[54:55], v[56:57]
	s_cbranch_vccnz .LBB1651_71
; %bb.63:
	global_load_dwordx2 v[30:31], v[26:27], off
	global_load_dwordx2 v[32:33], v[28:29], off
	v_mov_b64_e32 v[54:55], 1
	s_waitcnt vmcnt(0)
	v_cmp_eq_u64_e32 vcc, v[30:31], v[32:33]
	s_and_saveexec_b64 s[18:19], vcc
	s_cbranch_execz .LBB1651_70
; %bb.64:
	s_add_u32 s24, s12, -1
	v_lshl_add_u64 v[30:31], v[28:29], 0, 8
	v_lshl_add_u64 v[26:27], v[26:27], 0, 8
	s_addc_u32 s25, s13, -1
	s_mov_b64 s[26:27], 0
	s_mov_b64 s[30:31], 0
                                        ; implicit-def: $sgpr28_sgpr29
	s_branch .LBB1651_67
.LBB1651_65:                            ;   in Loop: Header=BB1651_67 Depth=1
	global_load_dwordx2 v[32:33], v[26:27], off
	global_load_dwordx2 v[34:35], v[30:31], off
	s_add_u32 s30, s30, 1
	s_addc_u32 s31, s31, 0
	s_andn2_b64 s[28:29], s[28:29], exec
	v_lshl_add_u64 v[30:31], v[30:31], 0, 8
	v_lshl_add_u64 v[26:27], v[26:27], 0, 8
	s_waitcnt vmcnt(0)
	v_cmp_ne_u64_e32 vcc, v[32:33], v[34:35]
	s_and_b64 s[34:35], vcc, exec
	s_or_b64 s[28:29], s[28:29], s[34:35]
.LBB1651_66:                            ;   in Loop: Header=BB1651_67 Depth=1
	s_and_b64 s[34:35], exec, s[28:29]
	s_or_b64 s[26:27], s[34:35], s[26:27]
	v_mov_b64_e32 v[32:33], s[30:31]
	s_andn2_b64 exec, exec, s[26:27]
	s_cbranch_execz .LBB1651_69
.LBB1651_67:                            ; =>This Inner Loop Header: Depth=1
	s_or_b64 s[28:29], s[28:29], exec
	s_cmp_eq_u64 s[24:25], s[30:31]
	s_cbranch_scc0 .LBB1651_65
; %bb.68:                               ;   in Loop: Header=BB1651_67 Depth=1
                                        ; implicit-def: $vgpr30_vgpr31
                                        ; implicit-def: $vgpr26_vgpr27
	s_mov_b64 s[30:31], s[12:13]
	s_branch .LBB1651_66
.LBB1651_69:
	s_or_b64 exec, exec, s[26:27]
	v_cmp_gt_i64_e32 vcc, s[12:13], v[32:33]
	s_mov_b32 s7, 0
	v_mov_b32_e32 v55, s7
	v_cndmask_b32_e64 v54, 0, 1, vcc
.LBB1651_70:
	s_or_b64 exec, exec, s[18:19]
.LBB1651_71:
	v_mul_lo_u32 v1, v17, s12
	v_mul_lo_u32 v30, v16, s13
	v_mad_u64_u32 v[26:27], s[18:19], v16, s12, 0
	v_add3_u32 v27, v27, v30, v1
	s_and_b64 vcc, exec, s[2:3]
	v_lshl_add_u64 v[26:27], v[26:27], 3, s[14:15]
	s_cbranch_vccnz .LBB1651_80
; %bb.72:
	global_load_dwordx2 v[30:31], v[28:29], off
	global_load_dwordx2 v[32:33], v[26:27], off
	v_mov_b64_e32 v[56:57], 1
	s_waitcnt vmcnt(0)
	v_cmp_eq_u64_e32 vcc, v[30:31], v[32:33]
	s_and_saveexec_b64 s[18:19], vcc
	s_cbranch_execz .LBB1651_79
; %bb.73:
	s_add_u32 s24, s12, -1
	v_lshl_add_u64 v[30:31], v[26:27], 0, 8
	v_lshl_add_u64 v[28:29], v[28:29], 0, 8
	s_addc_u32 s25, s13, -1
	s_mov_b64 s[26:27], 0
	s_mov_b64 s[30:31], 0
                                        ; implicit-def: $sgpr28_sgpr29
	s_branch .LBB1651_76
.LBB1651_74:                            ;   in Loop: Header=BB1651_76 Depth=1
	global_load_dwordx2 v[32:33], v[28:29], off
	global_load_dwordx2 v[34:35], v[30:31], off
	s_add_u32 s30, s30, 1
	s_addc_u32 s31, s31, 0
	s_andn2_b64 s[28:29], s[28:29], exec
	v_lshl_add_u64 v[30:31], v[30:31], 0, 8
	v_lshl_add_u64 v[28:29], v[28:29], 0, 8
	s_waitcnt vmcnt(0)
	v_cmp_ne_u64_e32 vcc, v[32:33], v[34:35]
	s_and_b64 s[34:35], vcc, exec
	s_or_b64 s[28:29], s[28:29], s[34:35]
.LBB1651_75:                            ;   in Loop: Header=BB1651_76 Depth=1
	s_and_b64 s[34:35], exec, s[28:29]
	s_or_b64 s[26:27], s[34:35], s[26:27]
	v_mov_b64_e32 v[32:33], s[30:31]
	s_andn2_b64 exec, exec, s[26:27]
	s_cbranch_execz .LBB1651_78
.LBB1651_76:                            ; =>This Inner Loop Header: Depth=1
	s_or_b64 s[28:29], s[28:29], exec
	s_cmp_eq_u64 s[24:25], s[30:31]
	s_cbranch_scc0 .LBB1651_74
; %bb.77:                               ;   in Loop: Header=BB1651_76 Depth=1
                                        ; implicit-def: $vgpr30_vgpr31
                                        ; implicit-def: $vgpr28_vgpr29
	s_mov_b64 s[30:31], s[12:13]
	s_branch .LBB1651_75
.LBB1651_78:
	s_or_b64 exec, exec, s[26:27]
	v_cmp_gt_i64_e32 vcc, s[12:13], v[32:33]
	s_mov_b32 s7, 0
	v_mov_b32_e32 v57, s7
	v_cndmask_b32_e64 v56, 0, 1, vcc
.LBB1651_79:
	s_or_b64 exec, exec, s[18:19]
.LBB1651_80:
	v_mul_lo_u32 v1, v15, s12
	v_mul_lo_u32 v30, v14, s13
	v_mad_u64_u32 v[28:29], s[18:19], v14, s12, 0
	v_add3_u32 v29, v29, v30, v1
	v_mov_b64_e32 v[60:61], 0
	s_and_b64 vcc, exec, s[2:3]
	v_lshl_add_u64 v[28:29], v[28:29], 3, s[14:15]
	v_mov_b64_e32 v[58:59], v[60:61]
	s_cbranch_vccnz .LBB1651_89
; %bb.81:
	global_load_dwordx2 v[30:31], v[26:27], off
	global_load_dwordx2 v[32:33], v[28:29], off
	v_mov_b64_e32 v[58:59], 1
	s_waitcnt vmcnt(0)
	v_cmp_eq_u64_e32 vcc, v[30:31], v[32:33]
	s_and_saveexec_b64 s[18:19], vcc
	s_cbranch_execz .LBB1651_88
; %bb.82:
	s_add_u32 s24, s12, -1
	v_lshl_add_u64 v[30:31], v[28:29], 0, 8
	v_lshl_add_u64 v[26:27], v[26:27], 0, 8
	s_addc_u32 s25, s13, -1
	s_mov_b64 s[26:27], 0
	s_mov_b64 s[30:31], 0
                                        ; implicit-def: $sgpr28_sgpr29
	s_branch .LBB1651_85
.LBB1651_83:                            ;   in Loop: Header=BB1651_85 Depth=1
	global_load_dwordx2 v[32:33], v[26:27], off
	global_load_dwordx2 v[34:35], v[30:31], off
	s_add_u32 s30, s30, 1
	s_addc_u32 s31, s31, 0
	s_andn2_b64 s[28:29], s[28:29], exec
	v_lshl_add_u64 v[30:31], v[30:31], 0, 8
	v_lshl_add_u64 v[26:27], v[26:27], 0, 8
	s_waitcnt vmcnt(0)
	v_cmp_ne_u64_e32 vcc, v[32:33], v[34:35]
	s_and_b64 s[34:35], vcc, exec
	s_or_b64 s[28:29], s[28:29], s[34:35]
.LBB1651_84:                            ;   in Loop: Header=BB1651_85 Depth=1
	s_and_b64 s[34:35], exec, s[28:29]
	s_or_b64 s[26:27], s[34:35], s[26:27]
	v_mov_b64_e32 v[32:33], s[30:31]
	s_andn2_b64 exec, exec, s[26:27]
	s_cbranch_execz .LBB1651_87
.LBB1651_85:                            ; =>This Inner Loop Header: Depth=1
	s_or_b64 s[28:29], s[28:29], exec
	s_cmp_eq_u64 s[24:25], s[30:31]
	s_cbranch_scc0 .LBB1651_83
; %bb.86:                               ;   in Loop: Header=BB1651_85 Depth=1
                                        ; implicit-def: $vgpr30_vgpr31
                                        ; implicit-def: $vgpr26_vgpr27
	s_mov_b64 s[30:31], s[12:13]
	s_branch .LBB1651_84
.LBB1651_87:
	s_or_b64 exec, exec, s[26:27]
	v_cmp_gt_i64_e32 vcc, s[12:13], v[32:33]
	s_mov_b32 s7, 0
	v_mov_b32_e32 v59, s7
	v_cndmask_b32_e64 v58, 0, 1, vcc
.LBB1651_88:
	s_or_b64 exec, exec, s[18:19]
.LBB1651_89:
	v_mul_lo_u32 v1, v13, s12
	v_mul_lo_u32 v30, v12, s13
	v_mad_u64_u32 v[26:27], s[18:19], v12, s12, 0
	v_add3_u32 v27, v27, v30, v1
	s_and_b64 vcc, exec, s[2:3]
	v_lshl_add_u64 v[26:27], v[26:27], 3, s[14:15]
	s_cbranch_vccnz .LBB1651_98
; %bb.90:
	global_load_dwordx2 v[30:31], v[28:29], off
	global_load_dwordx2 v[32:33], v[26:27], off
	v_mov_b64_e32 v[60:61], 1
	s_waitcnt vmcnt(0)
	v_cmp_eq_u64_e32 vcc, v[30:31], v[32:33]
	s_and_saveexec_b64 s[18:19], vcc
	s_cbranch_execz .LBB1651_97
; %bb.91:
	s_add_u32 s24, s12, -1
	v_lshl_add_u64 v[30:31], v[26:27], 0, 8
	v_lshl_add_u64 v[28:29], v[28:29], 0, 8
	s_addc_u32 s25, s13, -1
	s_mov_b64 s[26:27], 0
	s_mov_b64 s[30:31], 0
                                        ; implicit-def: $sgpr28_sgpr29
	s_branch .LBB1651_94
.LBB1651_92:                            ;   in Loop: Header=BB1651_94 Depth=1
	global_load_dwordx2 v[32:33], v[28:29], off
	global_load_dwordx2 v[34:35], v[30:31], off
	s_add_u32 s30, s30, 1
	s_addc_u32 s31, s31, 0
	s_andn2_b64 s[28:29], s[28:29], exec
	v_lshl_add_u64 v[30:31], v[30:31], 0, 8
	v_lshl_add_u64 v[28:29], v[28:29], 0, 8
	s_waitcnt vmcnt(0)
	v_cmp_ne_u64_e32 vcc, v[32:33], v[34:35]
	s_and_b64 s[34:35], vcc, exec
	s_or_b64 s[28:29], s[28:29], s[34:35]
.LBB1651_93:                            ;   in Loop: Header=BB1651_94 Depth=1
	s_and_b64 s[34:35], exec, s[28:29]
	s_or_b64 s[26:27], s[34:35], s[26:27]
	v_mov_b64_e32 v[32:33], s[30:31]
	s_andn2_b64 exec, exec, s[26:27]
	s_cbranch_execz .LBB1651_96
.LBB1651_94:                            ; =>This Inner Loop Header: Depth=1
	s_or_b64 s[28:29], s[28:29], exec
	s_cmp_eq_u64 s[24:25], s[30:31]
	s_cbranch_scc0 .LBB1651_92
; %bb.95:                               ;   in Loop: Header=BB1651_94 Depth=1
                                        ; implicit-def: $vgpr30_vgpr31
                                        ; implicit-def: $vgpr28_vgpr29
	s_mov_b64 s[30:31], s[12:13]
	s_branch .LBB1651_93
.LBB1651_96:
	s_or_b64 exec, exec, s[26:27]
	v_cmp_gt_i64_e32 vcc, s[12:13], v[32:33]
	s_mov_b32 s7, 0
	v_mov_b32_e32 v61, s7
	v_cndmask_b32_e64 v60, 0, 1, vcc
.LBB1651_97:
	s_or_b64 exec, exec, s[18:19]
.LBB1651_98:
	v_mul_lo_u32 v1, v11, s12
	v_mul_lo_u32 v30, v10, s13
	v_mad_u64_u32 v[28:29], s[18:19], v10, s12, 0
	v_add3_u32 v29, v29, v30, v1
	v_mov_b64_e32 v[64:65], 0
	s_and_b64 vcc, exec, s[2:3]
	v_lshl_add_u64 v[28:29], v[28:29], 3, s[14:15]
	v_mov_b64_e32 v[62:63], v[64:65]
	s_cbranch_vccnz .LBB1651_107
; %bb.99:
	global_load_dwordx2 v[30:31], v[26:27], off
	global_load_dwordx2 v[32:33], v[28:29], off
	v_mov_b64_e32 v[62:63], 1
	s_waitcnt vmcnt(0)
	v_cmp_eq_u64_e32 vcc, v[30:31], v[32:33]
	s_and_saveexec_b64 s[18:19], vcc
	s_cbranch_execz .LBB1651_106
; %bb.100:
	s_add_u32 s24, s12, -1
	v_lshl_add_u64 v[30:31], v[28:29], 0, 8
	v_lshl_add_u64 v[26:27], v[26:27], 0, 8
	s_addc_u32 s25, s13, -1
	s_mov_b64 s[26:27], 0
	s_mov_b64 s[30:31], 0
                                        ; implicit-def: $sgpr28_sgpr29
	s_branch .LBB1651_103
.LBB1651_101:                           ;   in Loop: Header=BB1651_103 Depth=1
	global_load_dwordx2 v[32:33], v[26:27], off
	global_load_dwordx2 v[34:35], v[30:31], off
	s_add_u32 s30, s30, 1
	s_addc_u32 s31, s31, 0
	s_andn2_b64 s[28:29], s[28:29], exec
	v_lshl_add_u64 v[30:31], v[30:31], 0, 8
	v_lshl_add_u64 v[26:27], v[26:27], 0, 8
	s_waitcnt vmcnt(0)
	v_cmp_ne_u64_e32 vcc, v[32:33], v[34:35]
	s_and_b64 s[34:35], vcc, exec
	s_or_b64 s[28:29], s[28:29], s[34:35]
.LBB1651_102:                           ;   in Loop: Header=BB1651_103 Depth=1
	s_and_b64 s[34:35], exec, s[28:29]
	s_or_b64 s[26:27], s[34:35], s[26:27]
	v_mov_b64_e32 v[32:33], s[30:31]
	s_andn2_b64 exec, exec, s[26:27]
	s_cbranch_execz .LBB1651_105
.LBB1651_103:                           ; =>This Inner Loop Header: Depth=1
	s_or_b64 s[28:29], s[28:29], exec
	s_cmp_eq_u64 s[24:25], s[30:31]
	s_cbranch_scc0 .LBB1651_101
; %bb.104:                              ;   in Loop: Header=BB1651_103 Depth=1
                                        ; implicit-def: $vgpr30_vgpr31
                                        ; implicit-def: $vgpr26_vgpr27
	s_mov_b64 s[30:31], s[12:13]
	s_branch .LBB1651_102
.LBB1651_105:
	s_or_b64 exec, exec, s[26:27]
	v_cmp_gt_i64_e32 vcc, s[12:13], v[32:33]
	s_mov_b32 s7, 0
	v_mov_b32_e32 v63, s7
	v_cndmask_b32_e64 v62, 0, 1, vcc
.LBB1651_106:
	s_or_b64 exec, exec, s[18:19]
.LBB1651_107:
	v_mul_lo_u32 v1, v9, s12
	v_mul_lo_u32 v30, v8, s13
	v_mad_u64_u32 v[26:27], s[18:19], v8, s12, 0
	v_add3_u32 v27, v27, v30, v1
	s_and_b64 vcc, exec, s[2:3]
	v_lshl_add_u64 v[26:27], v[26:27], 3, s[14:15]
	s_cbranch_vccnz .LBB1651_116
; %bb.108:
	global_load_dwordx2 v[30:31], v[28:29], off
	global_load_dwordx2 v[32:33], v[26:27], off
	v_mov_b64_e32 v[64:65], 1
	s_waitcnt vmcnt(0)
	v_cmp_eq_u64_e32 vcc, v[30:31], v[32:33]
	s_and_saveexec_b64 s[18:19], vcc
	s_cbranch_execz .LBB1651_115
; %bb.109:
	s_add_u32 s24, s12, -1
	v_lshl_add_u64 v[30:31], v[26:27], 0, 8
	v_lshl_add_u64 v[28:29], v[28:29], 0, 8
	s_addc_u32 s25, s13, -1
	s_mov_b64 s[26:27], 0
	s_mov_b64 s[30:31], 0
                                        ; implicit-def: $sgpr28_sgpr29
	s_branch .LBB1651_112
.LBB1651_110:                           ;   in Loop: Header=BB1651_112 Depth=1
	global_load_dwordx2 v[32:33], v[28:29], off
	global_load_dwordx2 v[34:35], v[30:31], off
	s_add_u32 s30, s30, 1
	s_addc_u32 s31, s31, 0
	s_andn2_b64 s[28:29], s[28:29], exec
	v_lshl_add_u64 v[30:31], v[30:31], 0, 8
	v_lshl_add_u64 v[28:29], v[28:29], 0, 8
	s_waitcnt vmcnt(0)
	v_cmp_ne_u64_e32 vcc, v[32:33], v[34:35]
	s_and_b64 s[34:35], vcc, exec
	s_or_b64 s[28:29], s[28:29], s[34:35]
.LBB1651_111:                           ;   in Loop: Header=BB1651_112 Depth=1
	s_and_b64 s[34:35], exec, s[28:29]
	s_or_b64 s[26:27], s[34:35], s[26:27]
	v_mov_b64_e32 v[32:33], s[30:31]
	s_andn2_b64 exec, exec, s[26:27]
	s_cbranch_execz .LBB1651_114
.LBB1651_112:                           ; =>This Inner Loop Header: Depth=1
	s_or_b64 s[28:29], s[28:29], exec
	s_cmp_eq_u64 s[24:25], s[30:31]
	s_cbranch_scc0 .LBB1651_110
; %bb.113:                              ;   in Loop: Header=BB1651_112 Depth=1
                                        ; implicit-def: $vgpr30_vgpr31
                                        ; implicit-def: $vgpr28_vgpr29
	s_mov_b64 s[30:31], s[12:13]
	s_branch .LBB1651_111
.LBB1651_114:
	s_or_b64 exec, exec, s[26:27]
	v_cmp_gt_i64_e32 vcc, s[12:13], v[32:33]
	s_mov_b32 s7, 0
	v_mov_b32_e32 v65, s7
	v_cndmask_b32_e64 v64, 0, 1, vcc
.LBB1651_115:
	s_or_b64 exec, exec, s[18:19]
.LBB1651_116:
	v_mul_lo_u32 v1, v7, s12
	v_mul_lo_u32 v30, v6, s13
	v_mad_u64_u32 v[28:29], s[18:19], v6, s12, 0
	v_add3_u32 v29, v29, v30, v1
	v_mov_b64_e32 v[68:69], 0
	s_and_b64 vcc, exec, s[2:3]
	v_lshl_add_u64 v[28:29], v[28:29], 3, s[14:15]
	v_mov_b64_e32 v[66:67], v[68:69]
	s_cbranch_vccnz .LBB1651_125
; %bb.117:
	global_load_dwordx2 v[30:31], v[26:27], off
	global_load_dwordx2 v[32:33], v[28:29], off
	v_mov_b64_e32 v[66:67], 1
	s_waitcnt vmcnt(0)
	v_cmp_eq_u64_e32 vcc, v[30:31], v[32:33]
	s_and_saveexec_b64 s[18:19], vcc
	s_cbranch_execz .LBB1651_124
; %bb.118:
	s_add_u32 s24, s12, -1
	v_lshl_add_u64 v[30:31], v[28:29], 0, 8
	v_lshl_add_u64 v[26:27], v[26:27], 0, 8
	s_addc_u32 s25, s13, -1
	s_mov_b64 s[26:27], 0
	s_mov_b64 s[30:31], 0
                                        ; implicit-def: $sgpr28_sgpr29
	s_branch .LBB1651_121
.LBB1651_119:                           ;   in Loop: Header=BB1651_121 Depth=1
	global_load_dwordx2 v[32:33], v[26:27], off
	global_load_dwordx2 v[34:35], v[30:31], off
	s_add_u32 s30, s30, 1
	s_addc_u32 s31, s31, 0
	s_andn2_b64 s[28:29], s[28:29], exec
	v_lshl_add_u64 v[30:31], v[30:31], 0, 8
	v_lshl_add_u64 v[26:27], v[26:27], 0, 8
	s_waitcnt vmcnt(0)
	v_cmp_ne_u64_e32 vcc, v[32:33], v[34:35]
	s_and_b64 s[34:35], vcc, exec
	s_or_b64 s[28:29], s[28:29], s[34:35]
.LBB1651_120:                           ;   in Loop: Header=BB1651_121 Depth=1
	s_and_b64 s[34:35], exec, s[28:29]
	s_or_b64 s[26:27], s[34:35], s[26:27]
	v_mov_b64_e32 v[32:33], s[30:31]
	s_andn2_b64 exec, exec, s[26:27]
	s_cbranch_execz .LBB1651_123
.LBB1651_121:                           ; =>This Inner Loop Header: Depth=1
	s_or_b64 s[28:29], s[28:29], exec
	s_cmp_eq_u64 s[24:25], s[30:31]
	s_cbranch_scc0 .LBB1651_119
; %bb.122:                              ;   in Loop: Header=BB1651_121 Depth=1
                                        ; implicit-def: $vgpr30_vgpr31
                                        ; implicit-def: $vgpr26_vgpr27
	s_mov_b64 s[30:31], s[12:13]
	s_branch .LBB1651_120
.LBB1651_123:
	s_or_b64 exec, exec, s[26:27]
	v_cmp_gt_i64_e32 vcc, s[12:13], v[32:33]
	s_mov_b32 s7, 0
	v_mov_b32_e32 v67, s7
	v_cndmask_b32_e64 v66, 0, 1, vcc
.LBB1651_124:
	s_or_b64 exec, exec, s[18:19]
.LBB1651_125:
	v_mul_lo_u32 v1, v5, s12
	v_mul_lo_u32 v30, v4, s13
	v_mad_u64_u32 v[26:27], s[18:19], v4, s12, 0
	v_add3_u32 v27, v27, v30, v1
	s_and_b64 vcc, exec, s[2:3]
	v_lshl_add_u64 v[26:27], v[26:27], 3, s[14:15]
	s_cbranch_vccnz .LBB1651_134
; %bb.126:
	global_load_dwordx2 v[30:31], v[28:29], off
	global_load_dwordx2 v[32:33], v[26:27], off
	v_mov_b64_e32 v[68:69], 1
	s_waitcnt vmcnt(0)
	v_cmp_eq_u64_e32 vcc, v[30:31], v[32:33]
	s_and_saveexec_b64 s[18:19], vcc
	s_cbranch_execz .LBB1651_133
; %bb.127:
	s_add_u32 s24, s12, -1
	v_lshl_add_u64 v[30:31], v[26:27], 0, 8
	v_lshl_add_u64 v[28:29], v[28:29], 0, 8
	s_addc_u32 s25, s13, -1
	s_mov_b64 s[26:27], 0
	s_mov_b64 s[30:31], 0
                                        ; implicit-def: $sgpr28_sgpr29
	s_branch .LBB1651_130
.LBB1651_128:                           ;   in Loop: Header=BB1651_130 Depth=1
	global_load_dwordx2 v[32:33], v[28:29], off
	global_load_dwordx2 v[34:35], v[30:31], off
	s_add_u32 s30, s30, 1
	s_addc_u32 s31, s31, 0
	s_andn2_b64 s[28:29], s[28:29], exec
	v_lshl_add_u64 v[30:31], v[30:31], 0, 8
	v_lshl_add_u64 v[28:29], v[28:29], 0, 8
	s_waitcnt vmcnt(0)
	v_cmp_ne_u64_e32 vcc, v[32:33], v[34:35]
	s_and_b64 s[34:35], vcc, exec
	s_or_b64 s[28:29], s[28:29], s[34:35]
.LBB1651_129:                           ;   in Loop: Header=BB1651_130 Depth=1
	s_and_b64 s[34:35], exec, s[28:29]
	s_or_b64 s[26:27], s[34:35], s[26:27]
	v_mov_b64_e32 v[32:33], s[30:31]
	s_andn2_b64 exec, exec, s[26:27]
	s_cbranch_execz .LBB1651_132
.LBB1651_130:                           ; =>This Inner Loop Header: Depth=1
	s_or_b64 s[28:29], s[28:29], exec
	s_cmp_eq_u64 s[24:25], s[30:31]
	s_cbranch_scc0 .LBB1651_128
; %bb.131:                              ;   in Loop: Header=BB1651_130 Depth=1
                                        ; implicit-def: $vgpr30_vgpr31
                                        ; implicit-def: $vgpr28_vgpr29
	s_mov_b64 s[30:31], s[12:13]
	s_branch .LBB1651_129
.LBB1651_132:
	s_or_b64 exec, exec, s[26:27]
	v_cmp_gt_i64_e32 vcc, s[12:13], v[32:33]
	s_mov_b32 s7, 0
	v_mov_b32_e32 v69, s7
	v_cndmask_b32_e64 v68, 0, 1, vcc
.LBB1651_133:
	s_or_b64 exec, exec, s[18:19]
.LBB1651_134:
	s_and_b64 vcc, exec, s[2:3]
	s_cbranch_vccnz .LBB1651_141
; %bb.135:
	v_mul_lo_u32 v1, v3, s12
	v_mul_lo_u32 v30, v2, s13
	v_mad_u64_u32 v[28:29], s[18:19], v2, s12, 0
	v_add3_u32 v29, v29, v30, v1
	v_lshl_add_u64 v[28:29], v[28:29], 3, s[14:15]
	global_load_dwordx2 v[30:31], v[26:27], off
	global_load_dwordx2 v[32:33], v[28:29], off
	v_mov_b64_e32 v[70:71], 1
	s_waitcnt vmcnt(0)
	v_cmp_eq_u64_e32 vcc, v[30:31], v[32:33]
	s_and_saveexec_b64 s[18:19], vcc
	s_cbranch_execz .LBB1651_143
; %bb.136:
	s_add_u32 s24, s12, -1
	v_lshl_add_u64 v[28:29], v[28:29], 0, 8
	v_lshl_add_u64 v[26:27], v[26:27], 0, 8
	s_addc_u32 s25, s13, -1
	s_mov_b64 s[26:27], 0
	s_mov_b64 s[30:31], 0
                                        ; implicit-def: $sgpr28_sgpr29
	s_branch .LBB1651_139
.LBB1651_137:                           ;   in Loop: Header=BB1651_139 Depth=1
	global_load_dwordx2 v[30:31], v[26:27], off
	global_load_dwordx2 v[32:33], v[28:29], off
	s_add_u32 s30, s30, 1
	s_addc_u32 s31, s31, 0
	s_andn2_b64 s[28:29], s[28:29], exec
	v_lshl_add_u64 v[28:29], v[28:29], 0, 8
	v_lshl_add_u64 v[26:27], v[26:27], 0, 8
	s_waitcnt vmcnt(0)
	v_cmp_ne_u64_e32 vcc, v[30:31], v[32:33]
	s_and_b64 s[34:35], vcc, exec
	s_or_b64 s[28:29], s[28:29], s[34:35]
.LBB1651_138:                           ;   in Loop: Header=BB1651_139 Depth=1
	s_and_b64 s[34:35], exec, s[28:29]
	s_or_b64 s[26:27], s[34:35], s[26:27]
	v_mov_b64_e32 v[30:31], s[30:31]
	s_andn2_b64 exec, exec, s[26:27]
	s_cbranch_execz .LBB1651_142
.LBB1651_139:                           ; =>This Inner Loop Header: Depth=1
	s_or_b64 s[28:29], s[28:29], exec
	s_cmp_eq_u64 s[24:25], s[30:31]
	s_cbranch_scc0 .LBB1651_137
; %bb.140:                              ;   in Loop: Header=BB1651_139 Depth=1
                                        ; implicit-def: $vgpr28_vgpr29
                                        ; implicit-def: $vgpr26_vgpr27
	s_mov_b64 s[30:31], s[12:13]
	s_branch .LBB1651_138
.LBB1651_141:
	v_mov_b64_e32 v[70:71], 0
	s_branch .LBB1651_144
.LBB1651_142:
	s_or_b64 exec, exec, s[26:27]
	v_cmp_gt_i64_e32 vcc, s[12:13], v[30:31]
	s_mov_b32 s7, 0
	v_mov_b32_e32 v71, s7
	v_cndmask_b32_e64 v70, 0, 1, vcc
.LBB1651_143:
	s_or_b64 exec, exec, s[18:19]
.LBB1651_144:
	v_cmp_ne_u32_e32 vcc, 0, v0
	s_waitcnt lgkmcnt(0)
	v_mov_b64_e32 v[26:27], s[20:21]
	s_waitcnt lgkmcnt(0)
	; wave barrier
	s_and_saveexec_b64 s[18:19], vcc
	s_cbranch_execz .LBB1651_146
; %bb.145:
	v_add_u32_e32 v1, -8, v48
	ds_read_b64 v[26:27], v1
.LBB1651_146:
	s_or_b64 exec, exec, s[18:19]
	s_mov_b64 s[26:27], 0
	s_and_b64 vcc, exec, s[2:3]
	s_mov_b64 s[24:25], 0
	s_cbranch_vccnz .LBB1651_155
; %bb.147:
	v_mul_lo_u32 v1, v3, s12
	v_mul_lo_u32 v30, v2, s13
	v_mad_u64_u32 v[28:29], s[2:3], v2, s12, 0
	v_add3_u32 v29, v29, v30, v1
	s_waitcnt lgkmcnt(0)
	v_mul_lo_u32 v1, v27, s12
	v_mul_lo_u32 v30, v26, s13
	v_mad_u64_u32 v[26:27], s[2:3], v26, s12, 0
	v_add3_u32 v27, v27, v30, v1
	v_lshl_add_u64 v[28:29], v[28:29], 3, s[14:15]
	v_lshl_add_u64 v[26:27], v[26:27], 3, s[14:15]
	global_load_dwordx2 v[30:31], v[28:29], off
	global_load_dwordx2 v[32:33], v[26:27], off
	s_mov_b64 s[24:25], -1
	s_waitcnt vmcnt(0)
	v_cmp_eq_u64_e32 vcc, v[30:31], v[32:33]
	s_and_saveexec_b64 s[2:3], vcc
	s_cbranch_execz .LBB1651_154
; %bb.148:
	s_add_u32 s18, s12, -1
	v_lshl_add_u64 v[26:27], v[26:27], 0, 8
	v_lshl_add_u64 v[28:29], v[28:29], 0, 8
	s_addc_u32 s19, s13, -1
	s_mov_b64 s[24:25], 0
	s_mov_b64 s[30:31], 0
                                        ; implicit-def: $sgpr28_sgpr29
	s_branch .LBB1651_151
.LBB1651_149:                           ;   in Loop: Header=BB1651_151 Depth=1
	global_load_dwordx2 v[30:31], v[28:29], off
	global_load_dwordx2 v[32:33], v[26:27], off
	s_add_u32 s30, s30, 1
	s_addc_u32 s31, s31, 0
	s_andn2_b64 s[28:29], s[28:29], exec
	v_lshl_add_u64 v[26:27], v[26:27], 0, 8
	v_lshl_add_u64 v[28:29], v[28:29], 0, 8
	s_waitcnt vmcnt(0)
	v_cmp_ne_u64_e32 vcc, v[30:31], v[32:33]
	s_and_b64 s[34:35], vcc, exec
	s_or_b64 s[28:29], s[28:29], s[34:35]
.LBB1651_150:                           ;   in Loop: Header=BB1651_151 Depth=1
	s_and_b64 s[34:35], exec, s[28:29]
	s_or_b64 s[24:25], s[34:35], s[24:25]
	v_mov_b64_e32 v[30:31], s[30:31]
	s_andn2_b64 exec, exec, s[24:25]
	s_cbranch_execz .LBB1651_153
.LBB1651_151:                           ; =>This Inner Loop Header: Depth=1
	s_or_b64 s[28:29], s[28:29], exec
	s_cmp_eq_u64 s[18:19], s[30:31]
	s_cbranch_scc0 .LBB1651_149
; %bb.152:                              ;   in Loop: Header=BB1651_151 Depth=1
                                        ; implicit-def: $vgpr26_vgpr27
                                        ; implicit-def: $vgpr28_vgpr29
	s_mov_b64 s[30:31], s[12:13]
	s_branch .LBB1651_150
.LBB1651_153:
	s_or_b64 exec, exec, s[24:25]
	v_cmp_gt_i64_e32 vcc, s[12:13], v[30:31]
	s_orn2_b64 s[24:25], vcc, exec
.LBB1651_154:
	s_or_b64 exec, exec, s[2:3]
.LBB1651_155:
	s_mov_b64 s[18:19], -1
	s_and_b64 vcc, exec, s[26:27]
	s_cbranch_vccz .LBB1651_41
.LBB1651_156:
	s_mul_i32 s7, s22, 0xfffffcc0
	s_add_i32 s7, s7, s10
	s_waitcnt lgkmcnt(0)
	v_mad_u32_u24 v26, v0, 13, 12
	v_cmp_gt_i64_e64 s[2:3], s[12:13], 0
	v_cmp_gt_u32_e32 vcc, s7, v26
	v_mul_u32_u24_e32 v1, 13, v0
	v_cndmask_b32_e64 v26, 0, 1, s[2:3]
	v_cmp_ne_u32_e64 s[2:3], 1, v26
	v_mov_b64_e32 v[50:51], v[44:45]
	ds_write_b64 v48, v[44:45]
	s_and_saveexec_b64 s[22:23], vcc
	s_cbranch_execz .LBB1651_167
; %bb.157:
	s_and_b64 vcc, exec, s[2:3]
	s_cbranch_vccnz .LBB1651_164
; %bb.158:
	v_mul_lo_u32 v28, v45, s12
	v_mul_lo_u32 v29, v44, s13
	v_mad_u64_u32 v[26:27], s[24:25], v44, s12, 0
	v_add3_u32 v27, v27, v29, v28
	v_mul_lo_u32 v28, v25, s12
	v_mul_lo_u32 v29, v24, s13
	v_mad_u64_u32 v[30:31], s[24:25], v24, s12, 0
	v_add3_u32 v31, v31, v29, v28
	v_lshl_add_u64 v[28:29], v[26:27], 3, s[14:15]
	v_lshl_add_u64 v[26:27], v[30:31], 3, s[14:15]
	global_load_dwordx2 v[30:31], v[28:29], off
	global_load_dwordx2 v[32:33], v[26:27], off
	v_mov_b64_e32 v[50:51], 1
	s_waitcnt vmcnt(0)
	v_cmp_eq_u64_e32 vcc, v[30:31], v[32:33]
	s_and_saveexec_b64 s[24:25], vcc
	s_cbranch_execz .LBB1651_166
; %bb.159:
	s_add_u32 s26, s12, -1
	v_lshl_add_u64 v[26:27], v[26:27], 0, 8
	v_lshl_add_u64 v[28:29], v[28:29], 0, 8
	s_addc_u32 s27, s13, -1
	s_mov_b64 s[28:29], 0
	s_mov_b64 s[34:35], 0
                                        ; implicit-def: $sgpr30_sgpr31
	s_branch .LBB1651_162
.LBB1651_160:                           ;   in Loop: Header=BB1651_162 Depth=1
	global_load_dwordx2 v[30:31], v[28:29], off
	global_load_dwordx2 v[32:33], v[26:27], off
	s_add_u32 s34, s34, 1
	s_addc_u32 s35, s35, 0
	s_andn2_b64 s[30:31], s[30:31], exec
	v_lshl_add_u64 v[26:27], v[26:27], 0, 8
	v_lshl_add_u64 v[28:29], v[28:29], 0, 8
	s_waitcnt vmcnt(0)
	v_cmp_ne_u64_e32 vcc, v[30:31], v[32:33]
	s_and_b64 s[36:37], vcc, exec
	s_or_b64 s[30:31], s[30:31], s[36:37]
.LBB1651_161:                           ;   in Loop: Header=BB1651_162 Depth=1
	s_and_b64 s[36:37], exec, s[30:31]
	s_or_b64 s[28:29], s[36:37], s[28:29]
	v_mov_b64_e32 v[30:31], s[34:35]
	s_andn2_b64 exec, exec, s[28:29]
	s_cbranch_execz .LBB1651_165
.LBB1651_162:                           ; =>This Inner Loop Header: Depth=1
	s_or_b64 s[30:31], s[30:31], exec
	s_cmp_eq_u64 s[26:27], s[34:35]
	s_cbranch_scc0 .LBB1651_160
; %bb.163:                              ;   in Loop: Header=BB1651_162 Depth=1
                                        ; implicit-def: $vgpr26_vgpr27
                                        ; implicit-def: $vgpr28_vgpr29
	s_mov_b64 s[34:35], s[12:13]
	s_branch .LBB1651_161
.LBB1651_164:
	v_mov_b64_e32 v[50:51], 0
	s_branch .LBB1651_167
.LBB1651_165:
	s_or_b64 exec, exec, s[28:29]
	v_cmp_gt_i64_e32 vcc, s[12:13], v[30:31]
	s_mov_b32 s26, 0
	v_mov_b32_e32 v51, s26
	v_cndmask_b32_e64 v50, 0, 1, vcc
.LBB1651_166:
	s_or_b64 exec, exec, s[24:25]
.LBB1651_167:
	s_or_b64 exec, exec, s[22:23]
	v_add_u32_e32 v26, 11, v1
	v_cmp_gt_u32_e32 vcc, s7, v26
	v_mov_b64_e32 v[52:53], v[24:25]
	s_and_saveexec_b64 s[22:23], vcc
	s_cbranch_execz .LBB1651_178
; %bb.168:
	s_and_b64 vcc, exec, s[2:3]
	s_cbranch_vccnz .LBB1651_175
; %bb.169:
	v_mul_lo_u32 v28, v25, s12
	v_mul_lo_u32 v29, v24, s13
	v_mad_u64_u32 v[26:27], s[24:25], v24, s12, 0
	v_add3_u32 v27, v27, v29, v28
	v_mul_lo_u32 v28, v23, s12
	v_mul_lo_u32 v29, v22, s13
	v_mad_u64_u32 v[30:31], s[24:25], v22, s12, 0
	v_add3_u32 v31, v31, v29, v28
	v_lshl_add_u64 v[28:29], v[26:27], 3, s[14:15]
	v_lshl_add_u64 v[26:27], v[30:31], 3, s[14:15]
	global_load_dwordx2 v[30:31], v[28:29], off
	global_load_dwordx2 v[32:33], v[26:27], off
	v_mov_b64_e32 v[52:53], 1
	s_waitcnt vmcnt(0)
	v_cmp_eq_u64_e32 vcc, v[30:31], v[32:33]
	s_and_saveexec_b64 s[24:25], vcc
	s_cbranch_execz .LBB1651_177
; %bb.170:
	s_add_u32 s26, s12, -1
	v_lshl_add_u64 v[26:27], v[26:27], 0, 8
	v_lshl_add_u64 v[28:29], v[28:29], 0, 8
	s_addc_u32 s27, s13, -1
	s_mov_b64 s[28:29], 0
	s_mov_b64 s[34:35], 0
                                        ; implicit-def: $sgpr30_sgpr31
	s_branch .LBB1651_173
.LBB1651_171:                           ;   in Loop: Header=BB1651_173 Depth=1
	global_load_dwordx2 v[30:31], v[28:29], off
	global_load_dwordx2 v[32:33], v[26:27], off
	s_add_u32 s34, s34, 1
	s_addc_u32 s35, s35, 0
	s_andn2_b64 s[30:31], s[30:31], exec
	v_lshl_add_u64 v[26:27], v[26:27], 0, 8
	v_lshl_add_u64 v[28:29], v[28:29], 0, 8
	s_waitcnt vmcnt(0)
	v_cmp_ne_u64_e32 vcc, v[30:31], v[32:33]
	s_and_b64 s[36:37], vcc, exec
	s_or_b64 s[30:31], s[30:31], s[36:37]
.LBB1651_172:                           ;   in Loop: Header=BB1651_173 Depth=1
	s_and_b64 s[36:37], exec, s[30:31]
	s_or_b64 s[28:29], s[36:37], s[28:29]
	v_mov_b64_e32 v[30:31], s[34:35]
	s_andn2_b64 exec, exec, s[28:29]
	s_cbranch_execz .LBB1651_176
.LBB1651_173:                           ; =>This Inner Loop Header: Depth=1
	s_or_b64 s[30:31], s[30:31], exec
	s_cmp_eq_u64 s[26:27], s[34:35]
	s_cbranch_scc0 .LBB1651_171
; %bb.174:                              ;   in Loop: Header=BB1651_173 Depth=1
                                        ; implicit-def: $vgpr26_vgpr27
                                        ; implicit-def: $vgpr28_vgpr29
	s_mov_b64 s[34:35], s[12:13]
	s_branch .LBB1651_172
.LBB1651_175:
	v_mov_b64_e32 v[52:53], 0
	s_branch .LBB1651_178
.LBB1651_176:
	s_or_b64 exec, exec, s[28:29]
	v_cmp_gt_i64_e32 vcc, s[12:13], v[30:31]
	s_mov_b32 s26, 0
	v_mov_b32_e32 v53, s26
	v_cndmask_b32_e64 v52, 0, 1, vcc
.LBB1651_177:
	s_or_b64 exec, exec, s[24:25]
.LBB1651_178:
	s_or_b64 exec, exec, s[22:23]
	v_add_u32_e32 v26, 10, v1
	v_cmp_gt_u32_e32 vcc, s7, v26
	v_mov_b64_e32 v[46:47], v[22:23]
	s_and_saveexec_b64 s[22:23], vcc
	s_cbranch_execz .LBB1651_189
; %bb.179:
	s_and_b64 vcc, exec, s[2:3]
	s_cbranch_vccnz .LBB1651_186
; %bb.180:
	v_mul_lo_u32 v28, v23, s12
	v_mul_lo_u32 v29, v22, s13
	v_mad_u64_u32 v[26:27], s[24:25], v22, s12, 0
	v_add3_u32 v27, v27, v29, v28
	v_mul_lo_u32 v28, v21, s12
	v_mul_lo_u32 v29, v20, s13
	v_mad_u64_u32 v[30:31], s[24:25], v20, s12, 0
	v_add3_u32 v31, v31, v29, v28
	v_lshl_add_u64 v[28:29], v[26:27], 3, s[14:15]
	v_lshl_add_u64 v[26:27], v[30:31], 3, s[14:15]
	global_load_dwordx2 v[30:31], v[28:29], off
	global_load_dwordx2 v[32:33], v[26:27], off
	v_mov_b64_e32 v[46:47], 1
	s_waitcnt vmcnt(0)
	v_cmp_eq_u64_e32 vcc, v[30:31], v[32:33]
	s_and_saveexec_b64 s[24:25], vcc
	s_cbranch_execz .LBB1651_188
; %bb.181:
	s_add_u32 s26, s12, -1
	v_lshl_add_u64 v[26:27], v[26:27], 0, 8
	v_lshl_add_u64 v[28:29], v[28:29], 0, 8
	s_addc_u32 s27, s13, -1
	s_mov_b64 s[28:29], 0
	s_mov_b64 s[34:35], 0
                                        ; implicit-def: $sgpr30_sgpr31
	s_branch .LBB1651_184
.LBB1651_182:                           ;   in Loop: Header=BB1651_184 Depth=1
	global_load_dwordx2 v[30:31], v[28:29], off
	global_load_dwordx2 v[32:33], v[26:27], off
	s_add_u32 s34, s34, 1
	s_addc_u32 s35, s35, 0
	s_andn2_b64 s[30:31], s[30:31], exec
	v_lshl_add_u64 v[26:27], v[26:27], 0, 8
	v_lshl_add_u64 v[28:29], v[28:29], 0, 8
	s_waitcnt vmcnt(0)
	v_cmp_ne_u64_e32 vcc, v[30:31], v[32:33]
	s_and_b64 s[36:37], vcc, exec
	s_or_b64 s[30:31], s[30:31], s[36:37]
.LBB1651_183:                           ;   in Loop: Header=BB1651_184 Depth=1
	s_and_b64 s[36:37], exec, s[30:31]
	s_or_b64 s[28:29], s[36:37], s[28:29]
	v_mov_b64_e32 v[30:31], s[34:35]
	s_andn2_b64 exec, exec, s[28:29]
	s_cbranch_execz .LBB1651_187
.LBB1651_184:                           ; =>This Inner Loop Header: Depth=1
	s_or_b64 s[30:31], s[30:31], exec
	s_cmp_eq_u64 s[26:27], s[34:35]
	s_cbranch_scc0 .LBB1651_182
; %bb.185:                              ;   in Loop: Header=BB1651_184 Depth=1
                                        ; implicit-def: $vgpr26_vgpr27
                                        ; implicit-def: $vgpr28_vgpr29
	s_mov_b64 s[34:35], s[12:13]
	s_branch .LBB1651_183
.LBB1651_186:
	v_mov_b64_e32 v[46:47], 0
	s_branch .LBB1651_189
.LBB1651_187:
	s_or_b64 exec, exec, s[28:29]
	v_cmp_gt_i64_e32 vcc, s[12:13], v[30:31]
	s_mov_b32 s26, 0
	v_mov_b32_e32 v47, s26
	v_cndmask_b32_e64 v46, 0, 1, vcc
.LBB1651_188:
	s_or_b64 exec, exec, s[24:25]
.LBB1651_189:
	s_or_b64 exec, exec, s[22:23]
	v_add_u32_e32 v26, 9, v1
	v_cmp_gt_u32_e32 vcc, s7, v26
	v_mov_b64_e32 v[54:55], v[20:21]
	s_and_saveexec_b64 s[22:23], vcc
	s_cbranch_execz .LBB1651_200
; %bb.190:
	s_and_b64 vcc, exec, s[2:3]
	s_cbranch_vccnz .LBB1651_197
; %bb.191:
	v_mul_lo_u32 v28, v21, s12
	v_mul_lo_u32 v29, v20, s13
	v_mad_u64_u32 v[26:27], s[24:25], v20, s12, 0
	v_add3_u32 v27, v27, v29, v28
	v_mul_lo_u32 v28, v19, s12
	v_mul_lo_u32 v29, v18, s13
	v_mad_u64_u32 v[30:31], s[24:25], v18, s12, 0
	v_add3_u32 v31, v31, v29, v28
	v_lshl_add_u64 v[28:29], v[26:27], 3, s[14:15]
	v_lshl_add_u64 v[26:27], v[30:31], 3, s[14:15]
	global_load_dwordx2 v[30:31], v[28:29], off
	global_load_dwordx2 v[32:33], v[26:27], off
	v_mov_b64_e32 v[54:55], 1
	s_waitcnt vmcnt(0)
	v_cmp_eq_u64_e32 vcc, v[30:31], v[32:33]
	s_and_saveexec_b64 s[24:25], vcc
	s_cbranch_execz .LBB1651_199
; %bb.192:
	s_add_u32 s26, s12, -1
	v_lshl_add_u64 v[26:27], v[26:27], 0, 8
	v_lshl_add_u64 v[28:29], v[28:29], 0, 8
	s_addc_u32 s27, s13, -1
	s_mov_b64 s[28:29], 0
	s_mov_b64 s[34:35], 0
                                        ; implicit-def: $sgpr30_sgpr31
	s_branch .LBB1651_195
.LBB1651_193:                           ;   in Loop: Header=BB1651_195 Depth=1
	global_load_dwordx2 v[30:31], v[28:29], off
	global_load_dwordx2 v[32:33], v[26:27], off
	s_add_u32 s34, s34, 1
	s_addc_u32 s35, s35, 0
	s_andn2_b64 s[30:31], s[30:31], exec
	v_lshl_add_u64 v[26:27], v[26:27], 0, 8
	v_lshl_add_u64 v[28:29], v[28:29], 0, 8
	s_waitcnt vmcnt(0)
	v_cmp_ne_u64_e32 vcc, v[30:31], v[32:33]
	s_and_b64 s[36:37], vcc, exec
	s_or_b64 s[30:31], s[30:31], s[36:37]
.LBB1651_194:                           ;   in Loop: Header=BB1651_195 Depth=1
	s_and_b64 s[36:37], exec, s[30:31]
	s_or_b64 s[28:29], s[36:37], s[28:29]
	v_mov_b64_e32 v[30:31], s[34:35]
	s_andn2_b64 exec, exec, s[28:29]
	s_cbranch_execz .LBB1651_198
.LBB1651_195:                           ; =>This Inner Loop Header: Depth=1
	s_or_b64 s[30:31], s[30:31], exec
	s_cmp_eq_u64 s[26:27], s[34:35]
	s_cbranch_scc0 .LBB1651_193
; %bb.196:                              ;   in Loop: Header=BB1651_195 Depth=1
                                        ; implicit-def: $vgpr26_vgpr27
                                        ; implicit-def: $vgpr28_vgpr29
	s_mov_b64 s[34:35], s[12:13]
	s_branch .LBB1651_194
.LBB1651_197:
	v_mov_b64_e32 v[54:55], 0
	s_branch .LBB1651_200
.LBB1651_198:
	s_or_b64 exec, exec, s[28:29]
	v_cmp_gt_i64_e32 vcc, s[12:13], v[30:31]
	s_mov_b32 s26, 0
	v_mov_b32_e32 v55, s26
	v_cndmask_b32_e64 v54, 0, 1, vcc
.LBB1651_199:
	s_or_b64 exec, exec, s[24:25]
.LBB1651_200:
	s_or_b64 exec, exec, s[22:23]
	v_add_u32_e32 v26, 8, v1
	v_cmp_gt_u32_e32 vcc, s7, v26
	v_mov_b64_e32 v[56:57], v[18:19]
	s_and_saveexec_b64 s[22:23], vcc
	s_cbranch_execz .LBB1651_211
; %bb.201:
	s_and_b64 vcc, exec, s[2:3]
	s_cbranch_vccnz .LBB1651_208
; %bb.202:
	v_mul_lo_u32 v28, v19, s12
	v_mul_lo_u32 v29, v18, s13
	v_mad_u64_u32 v[26:27], s[24:25], v18, s12, 0
	v_add3_u32 v27, v27, v29, v28
	v_mul_lo_u32 v28, v17, s12
	v_mul_lo_u32 v29, v16, s13
	v_mad_u64_u32 v[30:31], s[24:25], v16, s12, 0
	v_add3_u32 v31, v31, v29, v28
	v_lshl_add_u64 v[28:29], v[26:27], 3, s[14:15]
	v_lshl_add_u64 v[26:27], v[30:31], 3, s[14:15]
	global_load_dwordx2 v[30:31], v[28:29], off
	global_load_dwordx2 v[32:33], v[26:27], off
	v_mov_b64_e32 v[56:57], 1
	s_waitcnt vmcnt(0)
	v_cmp_eq_u64_e32 vcc, v[30:31], v[32:33]
	s_and_saveexec_b64 s[24:25], vcc
	s_cbranch_execz .LBB1651_210
; %bb.203:
	s_add_u32 s26, s12, -1
	v_lshl_add_u64 v[26:27], v[26:27], 0, 8
	v_lshl_add_u64 v[28:29], v[28:29], 0, 8
	s_addc_u32 s27, s13, -1
	s_mov_b64 s[28:29], 0
	s_mov_b64 s[34:35], 0
                                        ; implicit-def: $sgpr30_sgpr31
	s_branch .LBB1651_206
.LBB1651_204:                           ;   in Loop: Header=BB1651_206 Depth=1
	global_load_dwordx2 v[30:31], v[28:29], off
	global_load_dwordx2 v[32:33], v[26:27], off
	s_add_u32 s34, s34, 1
	s_addc_u32 s35, s35, 0
	s_andn2_b64 s[30:31], s[30:31], exec
	v_lshl_add_u64 v[26:27], v[26:27], 0, 8
	v_lshl_add_u64 v[28:29], v[28:29], 0, 8
	s_waitcnt vmcnt(0)
	v_cmp_ne_u64_e32 vcc, v[30:31], v[32:33]
	s_and_b64 s[36:37], vcc, exec
	s_or_b64 s[30:31], s[30:31], s[36:37]
.LBB1651_205:                           ;   in Loop: Header=BB1651_206 Depth=1
	s_and_b64 s[36:37], exec, s[30:31]
	s_or_b64 s[28:29], s[36:37], s[28:29]
	v_mov_b64_e32 v[30:31], s[34:35]
	s_andn2_b64 exec, exec, s[28:29]
	s_cbranch_execz .LBB1651_209
.LBB1651_206:                           ; =>This Inner Loop Header: Depth=1
	s_or_b64 s[30:31], s[30:31], exec
	s_cmp_eq_u64 s[26:27], s[34:35]
	s_cbranch_scc0 .LBB1651_204
; %bb.207:                              ;   in Loop: Header=BB1651_206 Depth=1
                                        ; implicit-def: $vgpr26_vgpr27
                                        ; implicit-def: $vgpr28_vgpr29
	s_mov_b64 s[34:35], s[12:13]
	s_branch .LBB1651_205
.LBB1651_208:
	v_mov_b64_e32 v[56:57], 0
	s_branch .LBB1651_211
.LBB1651_209:
	s_or_b64 exec, exec, s[28:29]
	v_cmp_gt_i64_e32 vcc, s[12:13], v[30:31]
	s_mov_b32 s26, 0
	v_mov_b32_e32 v57, s26
	v_cndmask_b32_e64 v56, 0, 1, vcc
.LBB1651_210:
	s_or_b64 exec, exec, s[24:25]
.LBB1651_211:
	s_or_b64 exec, exec, s[22:23]
	v_add_u32_e32 v26, 7, v1
	v_cmp_gt_u32_e32 vcc, s7, v26
	v_mov_b64_e32 v[58:59], v[16:17]
	s_and_saveexec_b64 s[22:23], vcc
	s_cbranch_execz .LBB1651_222
; %bb.212:
	s_and_b64 vcc, exec, s[2:3]
	s_cbranch_vccnz .LBB1651_219
; %bb.213:
	v_mul_lo_u32 v28, v17, s12
	v_mul_lo_u32 v29, v16, s13
	v_mad_u64_u32 v[26:27], s[24:25], v16, s12, 0
	v_add3_u32 v27, v27, v29, v28
	v_mul_lo_u32 v28, v15, s12
	v_mul_lo_u32 v29, v14, s13
	v_mad_u64_u32 v[30:31], s[24:25], v14, s12, 0
	v_add3_u32 v31, v31, v29, v28
	v_lshl_add_u64 v[28:29], v[26:27], 3, s[14:15]
	v_lshl_add_u64 v[26:27], v[30:31], 3, s[14:15]
	global_load_dwordx2 v[30:31], v[28:29], off
	global_load_dwordx2 v[32:33], v[26:27], off
	v_mov_b64_e32 v[58:59], 1
	s_waitcnt vmcnt(0)
	v_cmp_eq_u64_e32 vcc, v[30:31], v[32:33]
	s_and_saveexec_b64 s[24:25], vcc
	s_cbranch_execz .LBB1651_221
; %bb.214:
	s_add_u32 s26, s12, -1
	v_lshl_add_u64 v[26:27], v[26:27], 0, 8
	v_lshl_add_u64 v[28:29], v[28:29], 0, 8
	s_addc_u32 s27, s13, -1
	s_mov_b64 s[28:29], 0
	s_mov_b64 s[34:35], 0
                                        ; implicit-def: $sgpr30_sgpr31
	s_branch .LBB1651_217
.LBB1651_215:                           ;   in Loop: Header=BB1651_217 Depth=1
	global_load_dwordx2 v[30:31], v[28:29], off
	global_load_dwordx2 v[32:33], v[26:27], off
	s_add_u32 s34, s34, 1
	s_addc_u32 s35, s35, 0
	s_andn2_b64 s[30:31], s[30:31], exec
	v_lshl_add_u64 v[26:27], v[26:27], 0, 8
	v_lshl_add_u64 v[28:29], v[28:29], 0, 8
	s_waitcnt vmcnt(0)
	v_cmp_ne_u64_e32 vcc, v[30:31], v[32:33]
	s_and_b64 s[36:37], vcc, exec
	s_or_b64 s[30:31], s[30:31], s[36:37]
.LBB1651_216:                           ;   in Loop: Header=BB1651_217 Depth=1
	s_and_b64 s[36:37], exec, s[30:31]
	s_or_b64 s[28:29], s[36:37], s[28:29]
	v_mov_b64_e32 v[30:31], s[34:35]
	s_andn2_b64 exec, exec, s[28:29]
	s_cbranch_execz .LBB1651_220
.LBB1651_217:                           ; =>This Inner Loop Header: Depth=1
	s_or_b64 s[30:31], s[30:31], exec
	s_cmp_eq_u64 s[26:27], s[34:35]
	s_cbranch_scc0 .LBB1651_215
; %bb.218:                              ;   in Loop: Header=BB1651_217 Depth=1
                                        ; implicit-def: $vgpr26_vgpr27
                                        ; implicit-def: $vgpr28_vgpr29
	s_mov_b64 s[34:35], s[12:13]
	s_branch .LBB1651_216
.LBB1651_219:
	v_mov_b64_e32 v[58:59], 0
	s_branch .LBB1651_222
.LBB1651_220:
	s_or_b64 exec, exec, s[28:29]
	v_cmp_gt_i64_e32 vcc, s[12:13], v[30:31]
	s_mov_b32 s26, 0
	v_mov_b32_e32 v59, s26
	v_cndmask_b32_e64 v58, 0, 1, vcc
.LBB1651_221:
	s_or_b64 exec, exec, s[24:25]
.LBB1651_222:
	s_or_b64 exec, exec, s[22:23]
	v_add_u32_e32 v26, 6, v1
	v_cmp_gt_u32_e32 vcc, s7, v26
	v_mov_b64_e32 v[60:61], v[14:15]
	s_and_saveexec_b64 s[22:23], vcc
	s_cbranch_execz .LBB1651_233
; %bb.223:
	s_and_b64 vcc, exec, s[2:3]
	s_cbranch_vccnz .LBB1651_230
; %bb.224:
	v_mul_lo_u32 v28, v15, s12
	v_mul_lo_u32 v29, v14, s13
	v_mad_u64_u32 v[26:27], s[24:25], v14, s12, 0
	v_add3_u32 v27, v27, v29, v28
	v_mul_lo_u32 v28, v13, s12
	v_mul_lo_u32 v29, v12, s13
	v_mad_u64_u32 v[30:31], s[24:25], v12, s12, 0
	v_add3_u32 v31, v31, v29, v28
	v_lshl_add_u64 v[28:29], v[26:27], 3, s[14:15]
	v_lshl_add_u64 v[26:27], v[30:31], 3, s[14:15]
	global_load_dwordx2 v[30:31], v[28:29], off
	global_load_dwordx2 v[32:33], v[26:27], off
	v_mov_b64_e32 v[60:61], 1
	s_waitcnt vmcnt(0)
	v_cmp_eq_u64_e32 vcc, v[30:31], v[32:33]
	s_and_saveexec_b64 s[24:25], vcc
	s_cbranch_execz .LBB1651_232
; %bb.225:
	s_add_u32 s26, s12, -1
	v_lshl_add_u64 v[26:27], v[26:27], 0, 8
	v_lshl_add_u64 v[28:29], v[28:29], 0, 8
	s_addc_u32 s27, s13, -1
	s_mov_b64 s[28:29], 0
	s_mov_b64 s[34:35], 0
                                        ; implicit-def: $sgpr30_sgpr31
	s_branch .LBB1651_228
.LBB1651_226:                           ;   in Loop: Header=BB1651_228 Depth=1
	global_load_dwordx2 v[30:31], v[28:29], off
	global_load_dwordx2 v[32:33], v[26:27], off
	s_add_u32 s34, s34, 1
	s_addc_u32 s35, s35, 0
	s_andn2_b64 s[30:31], s[30:31], exec
	v_lshl_add_u64 v[26:27], v[26:27], 0, 8
	v_lshl_add_u64 v[28:29], v[28:29], 0, 8
	s_waitcnt vmcnt(0)
	v_cmp_ne_u64_e32 vcc, v[30:31], v[32:33]
	s_and_b64 s[36:37], vcc, exec
	s_or_b64 s[30:31], s[30:31], s[36:37]
.LBB1651_227:                           ;   in Loop: Header=BB1651_228 Depth=1
	s_and_b64 s[36:37], exec, s[30:31]
	s_or_b64 s[28:29], s[36:37], s[28:29]
	v_mov_b64_e32 v[30:31], s[34:35]
	s_andn2_b64 exec, exec, s[28:29]
	s_cbranch_execz .LBB1651_231
.LBB1651_228:                           ; =>This Inner Loop Header: Depth=1
	s_or_b64 s[30:31], s[30:31], exec
	s_cmp_eq_u64 s[26:27], s[34:35]
	s_cbranch_scc0 .LBB1651_226
; %bb.229:                              ;   in Loop: Header=BB1651_228 Depth=1
                                        ; implicit-def: $vgpr26_vgpr27
                                        ; implicit-def: $vgpr28_vgpr29
	s_mov_b64 s[34:35], s[12:13]
	s_branch .LBB1651_227
.LBB1651_230:
	v_mov_b64_e32 v[60:61], 0
	s_branch .LBB1651_233
.LBB1651_231:
	s_or_b64 exec, exec, s[28:29]
	v_cmp_gt_i64_e32 vcc, s[12:13], v[30:31]
	s_mov_b32 s26, 0
	v_mov_b32_e32 v61, s26
	v_cndmask_b32_e64 v60, 0, 1, vcc
.LBB1651_232:
	s_or_b64 exec, exec, s[24:25]
.LBB1651_233:
	s_or_b64 exec, exec, s[22:23]
	v_add_u32_e32 v26, 5, v1
	v_cmp_gt_u32_e32 vcc, s7, v26
	v_mov_b64_e32 v[62:63], v[12:13]
	s_and_saveexec_b64 s[22:23], vcc
	s_cbranch_execz .LBB1651_244
; %bb.234:
	s_and_b64 vcc, exec, s[2:3]
	s_cbranch_vccnz .LBB1651_241
; %bb.235:
	v_mul_lo_u32 v28, v13, s12
	v_mul_lo_u32 v29, v12, s13
	v_mad_u64_u32 v[26:27], s[24:25], v12, s12, 0
	v_add3_u32 v27, v27, v29, v28
	v_mul_lo_u32 v28, v11, s12
	v_mul_lo_u32 v29, v10, s13
	v_mad_u64_u32 v[30:31], s[24:25], v10, s12, 0
	v_add3_u32 v31, v31, v29, v28
	v_lshl_add_u64 v[28:29], v[26:27], 3, s[14:15]
	v_lshl_add_u64 v[26:27], v[30:31], 3, s[14:15]
	global_load_dwordx2 v[30:31], v[28:29], off
	global_load_dwordx2 v[32:33], v[26:27], off
	v_mov_b64_e32 v[62:63], 1
	s_waitcnt vmcnt(0)
	v_cmp_eq_u64_e32 vcc, v[30:31], v[32:33]
	s_and_saveexec_b64 s[24:25], vcc
	s_cbranch_execz .LBB1651_243
; %bb.236:
	s_add_u32 s26, s12, -1
	v_lshl_add_u64 v[26:27], v[26:27], 0, 8
	v_lshl_add_u64 v[28:29], v[28:29], 0, 8
	s_addc_u32 s27, s13, -1
	s_mov_b64 s[28:29], 0
	s_mov_b64 s[34:35], 0
                                        ; implicit-def: $sgpr30_sgpr31
	s_branch .LBB1651_239
.LBB1651_237:                           ;   in Loop: Header=BB1651_239 Depth=1
	global_load_dwordx2 v[30:31], v[28:29], off
	global_load_dwordx2 v[32:33], v[26:27], off
	s_add_u32 s34, s34, 1
	s_addc_u32 s35, s35, 0
	s_andn2_b64 s[30:31], s[30:31], exec
	v_lshl_add_u64 v[26:27], v[26:27], 0, 8
	v_lshl_add_u64 v[28:29], v[28:29], 0, 8
	s_waitcnt vmcnt(0)
	v_cmp_ne_u64_e32 vcc, v[30:31], v[32:33]
	s_and_b64 s[36:37], vcc, exec
	s_or_b64 s[30:31], s[30:31], s[36:37]
.LBB1651_238:                           ;   in Loop: Header=BB1651_239 Depth=1
	s_and_b64 s[36:37], exec, s[30:31]
	s_or_b64 s[28:29], s[36:37], s[28:29]
	v_mov_b64_e32 v[30:31], s[34:35]
	s_andn2_b64 exec, exec, s[28:29]
	s_cbranch_execz .LBB1651_242
.LBB1651_239:                           ; =>This Inner Loop Header: Depth=1
	s_or_b64 s[30:31], s[30:31], exec
	s_cmp_eq_u64 s[26:27], s[34:35]
	s_cbranch_scc0 .LBB1651_237
; %bb.240:                              ;   in Loop: Header=BB1651_239 Depth=1
                                        ; implicit-def: $vgpr26_vgpr27
                                        ; implicit-def: $vgpr28_vgpr29
	s_mov_b64 s[34:35], s[12:13]
	s_branch .LBB1651_238
.LBB1651_241:
	v_mov_b64_e32 v[62:63], 0
	s_branch .LBB1651_244
.LBB1651_242:
	s_or_b64 exec, exec, s[28:29]
	v_cmp_gt_i64_e32 vcc, s[12:13], v[30:31]
	s_mov_b32 s26, 0
	v_mov_b32_e32 v63, s26
	v_cndmask_b32_e64 v62, 0, 1, vcc
.LBB1651_243:
	s_or_b64 exec, exec, s[24:25]
.LBB1651_244:
	s_or_b64 exec, exec, s[22:23]
	v_add_u32_e32 v26, 4, v1
	v_cmp_gt_u32_e32 vcc, s7, v26
	v_mov_b64_e32 v[64:65], v[10:11]
	s_and_saveexec_b64 s[22:23], vcc
	s_cbranch_execz .LBB1651_255
; %bb.245:
	s_and_b64 vcc, exec, s[2:3]
	s_cbranch_vccnz .LBB1651_252
; %bb.246:
	v_mul_lo_u32 v28, v11, s12
	v_mul_lo_u32 v29, v10, s13
	v_mad_u64_u32 v[26:27], s[24:25], v10, s12, 0
	v_add3_u32 v27, v27, v29, v28
	v_mul_lo_u32 v28, v9, s12
	v_mul_lo_u32 v29, v8, s13
	v_mad_u64_u32 v[30:31], s[24:25], v8, s12, 0
	v_add3_u32 v31, v31, v29, v28
	v_lshl_add_u64 v[28:29], v[26:27], 3, s[14:15]
	v_lshl_add_u64 v[26:27], v[30:31], 3, s[14:15]
	global_load_dwordx2 v[30:31], v[28:29], off
	global_load_dwordx2 v[32:33], v[26:27], off
	v_mov_b64_e32 v[64:65], 1
	s_waitcnt vmcnt(0)
	v_cmp_eq_u64_e32 vcc, v[30:31], v[32:33]
	s_and_saveexec_b64 s[24:25], vcc
	s_cbranch_execz .LBB1651_254
; %bb.247:
	s_add_u32 s26, s12, -1
	v_lshl_add_u64 v[26:27], v[26:27], 0, 8
	v_lshl_add_u64 v[28:29], v[28:29], 0, 8
	s_addc_u32 s27, s13, -1
	s_mov_b64 s[28:29], 0
	s_mov_b64 s[34:35], 0
                                        ; implicit-def: $sgpr30_sgpr31
	s_branch .LBB1651_250
.LBB1651_248:                           ;   in Loop: Header=BB1651_250 Depth=1
	global_load_dwordx2 v[30:31], v[28:29], off
	global_load_dwordx2 v[32:33], v[26:27], off
	s_add_u32 s34, s34, 1
	s_addc_u32 s35, s35, 0
	s_andn2_b64 s[30:31], s[30:31], exec
	v_lshl_add_u64 v[26:27], v[26:27], 0, 8
	v_lshl_add_u64 v[28:29], v[28:29], 0, 8
	s_waitcnt vmcnt(0)
	v_cmp_ne_u64_e32 vcc, v[30:31], v[32:33]
	s_and_b64 s[36:37], vcc, exec
	s_or_b64 s[30:31], s[30:31], s[36:37]
.LBB1651_249:                           ;   in Loop: Header=BB1651_250 Depth=1
	s_and_b64 s[36:37], exec, s[30:31]
	s_or_b64 s[28:29], s[36:37], s[28:29]
	v_mov_b64_e32 v[30:31], s[34:35]
	s_andn2_b64 exec, exec, s[28:29]
	s_cbranch_execz .LBB1651_253
.LBB1651_250:                           ; =>This Inner Loop Header: Depth=1
	s_or_b64 s[30:31], s[30:31], exec
	s_cmp_eq_u64 s[26:27], s[34:35]
	s_cbranch_scc0 .LBB1651_248
; %bb.251:                              ;   in Loop: Header=BB1651_250 Depth=1
                                        ; implicit-def: $vgpr26_vgpr27
                                        ; implicit-def: $vgpr28_vgpr29
	s_mov_b64 s[34:35], s[12:13]
	s_branch .LBB1651_249
.LBB1651_252:
	v_mov_b64_e32 v[64:65], 0
	s_branch .LBB1651_255
.LBB1651_253:
	s_or_b64 exec, exec, s[28:29]
	v_cmp_gt_i64_e32 vcc, s[12:13], v[30:31]
	s_mov_b32 s26, 0
	v_mov_b32_e32 v65, s26
	v_cndmask_b32_e64 v64, 0, 1, vcc
.LBB1651_254:
	s_or_b64 exec, exec, s[24:25]
.LBB1651_255:
	s_or_b64 exec, exec, s[22:23]
	v_add_u32_e32 v26, 3, v1
	v_cmp_gt_u32_e32 vcc, s7, v26
	v_mov_b64_e32 v[66:67], v[8:9]
	s_and_saveexec_b64 s[22:23], vcc
	s_cbranch_execz .LBB1651_266
; %bb.256:
	s_and_b64 vcc, exec, s[2:3]
	s_cbranch_vccnz .LBB1651_263
; %bb.257:
	v_mul_lo_u32 v28, v9, s12
	v_mul_lo_u32 v29, v8, s13
	v_mad_u64_u32 v[26:27], s[24:25], v8, s12, 0
	v_add3_u32 v27, v27, v29, v28
	v_mul_lo_u32 v28, v7, s12
	v_mul_lo_u32 v29, v6, s13
	v_mad_u64_u32 v[30:31], s[24:25], v6, s12, 0
	v_add3_u32 v31, v31, v29, v28
	v_lshl_add_u64 v[28:29], v[26:27], 3, s[14:15]
	v_lshl_add_u64 v[26:27], v[30:31], 3, s[14:15]
	global_load_dwordx2 v[30:31], v[28:29], off
	global_load_dwordx2 v[32:33], v[26:27], off
	v_mov_b64_e32 v[66:67], 1
	s_waitcnt vmcnt(0)
	v_cmp_eq_u64_e32 vcc, v[30:31], v[32:33]
	s_and_saveexec_b64 s[24:25], vcc
	s_cbranch_execz .LBB1651_265
; %bb.258:
	s_add_u32 s26, s12, -1
	v_lshl_add_u64 v[26:27], v[26:27], 0, 8
	v_lshl_add_u64 v[28:29], v[28:29], 0, 8
	s_addc_u32 s27, s13, -1
	s_mov_b64 s[28:29], 0
	s_mov_b64 s[34:35], 0
                                        ; implicit-def: $sgpr30_sgpr31
	s_branch .LBB1651_261
.LBB1651_259:                           ;   in Loop: Header=BB1651_261 Depth=1
	global_load_dwordx2 v[30:31], v[28:29], off
	global_load_dwordx2 v[32:33], v[26:27], off
	s_add_u32 s34, s34, 1
	s_addc_u32 s35, s35, 0
	s_andn2_b64 s[30:31], s[30:31], exec
	v_lshl_add_u64 v[26:27], v[26:27], 0, 8
	v_lshl_add_u64 v[28:29], v[28:29], 0, 8
	s_waitcnt vmcnt(0)
	v_cmp_ne_u64_e32 vcc, v[30:31], v[32:33]
	s_and_b64 s[36:37], vcc, exec
	s_or_b64 s[30:31], s[30:31], s[36:37]
.LBB1651_260:                           ;   in Loop: Header=BB1651_261 Depth=1
	s_and_b64 s[36:37], exec, s[30:31]
	s_or_b64 s[28:29], s[36:37], s[28:29]
	v_mov_b64_e32 v[30:31], s[34:35]
	s_andn2_b64 exec, exec, s[28:29]
	s_cbranch_execz .LBB1651_264
.LBB1651_261:                           ; =>This Inner Loop Header: Depth=1
	s_or_b64 s[30:31], s[30:31], exec
	s_cmp_eq_u64 s[26:27], s[34:35]
	s_cbranch_scc0 .LBB1651_259
; %bb.262:                              ;   in Loop: Header=BB1651_261 Depth=1
                                        ; implicit-def: $vgpr26_vgpr27
                                        ; implicit-def: $vgpr28_vgpr29
	s_mov_b64 s[34:35], s[12:13]
	s_branch .LBB1651_260
.LBB1651_263:
	v_mov_b64_e32 v[66:67], 0
	s_branch .LBB1651_266
.LBB1651_264:
	s_or_b64 exec, exec, s[28:29]
	v_cmp_gt_i64_e32 vcc, s[12:13], v[30:31]
	s_mov_b32 s26, 0
	v_mov_b32_e32 v67, s26
	v_cndmask_b32_e64 v66, 0, 1, vcc
.LBB1651_265:
	s_or_b64 exec, exec, s[24:25]
.LBB1651_266:
	s_or_b64 exec, exec, s[22:23]
	v_add_u32_e32 v26, 2, v1
	v_cmp_gt_u32_e32 vcc, s7, v26
	v_mov_b64_e32 v[68:69], v[6:7]
	s_and_saveexec_b64 s[22:23], vcc
	s_cbranch_execz .LBB1651_277
; %bb.267:
	s_and_b64 vcc, exec, s[2:3]
	s_cbranch_vccnz .LBB1651_274
; %bb.268:
	v_mul_lo_u32 v28, v7, s12
	v_mul_lo_u32 v29, v6, s13
	v_mad_u64_u32 v[26:27], s[24:25], v6, s12, 0
	v_add3_u32 v27, v27, v29, v28
	v_mul_lo_u32 v28, v5, s12
	v_mul_lo_u32 v29, v4, s13
	v_mad_u64_u32 v[30:31], s[24:25], v4, s12, 0
	v_add3_u32 v31, v31, v29, v28
	v_lshl_add_u64 v[28:29], v[26:27], 3, s[14:15]
	v_lshl_add_u64 v[26:27], v[30:31], 3, s[14:15]
	global_load_dwordx2 v[30:31], v[28:29], off
	global_load_dwordx2 v[32:33], v[26:27], off
	v_mov_b64_e32 v[68:69], 1
	s_waitcnt vmcnt(0)
	v_cmp_eq_u64_e32 vcc, v[30:31], v[32:33]
	s_and_saveexec_b64 s[24:25], vcc
	s_cbranch_execz .LBB1651_276
; %bb.269:
	s_add_u32 s26, s12, -1
	v_lshl_add_u64 v[26:27], v[26:27], 0, 8
	v_lshl_add_u64 v[28:29], v[28:29], 0, 8
	s_addc_u32 s27, s13, -1
	s_mov_b64 s[28:29], 0
	s_mov_b64 s[34:35], 0
                                        ; implicit-def: $sgpr30_sgpr31
	s_branch .LBB1651_272
.LBB1651_270:                           ;   in Loop: Header=BB1651_272 Depth=1
	global_load_dwordx2 v[30:31], v[28:29], off
	global_load_dwordx2 v[32:33], v[26:27], off
	s_add_u32 s34, s34, 1
	s_addc_u32 s35, s35, 0
	s_andn2_b64 s[30:31], s[30:31], exec
	v_lshl_add_u64 v[26:27], v[26:27], 0, 8
	v_lshl_add_u64 v[28:29], v[28:29], 0, 8
	s_waitcnt vmcnt(0)
	v_cmp_ne_u64_e32 vcc, v[30:31], v[32:33]
	s_and_b64 s[36:37], vcc, exec
	s_or_b64 s[30:31], s[30:31], s[36:37]
.LBB1651_271:                           ;   in Loop: Header=BB1651_272 Depth=1
	s_and_b64 s[36:37], exec, s[30:31]
	s_or_b64 s[28:29], s[36:37], s[28:29]
	v_mov_b64_e32 v[30:31], s[34:35]
	s_andn2_b64 exec, exec, s[28:29]
	s_cbranch_execz .LBB1651_275
.LBB1651_272:                           ; =>This Inner Loop Header: Depth=1
	s_or_b64 s[30:31], s[30:31], exec
	s_cmp_eq_u64 s[26:27], s[34:35]
	s_cbranch_scc0 .LBB1651_270
; %bb.273:                              ;   in Loop: Header=BB1651_272 Depth=1
                                        ; implicit-def: $vgpr26_vgpr27
                                        ; implicit-def: $vgpr28_vgpr29
	s_mov_b64 s[34:35], s[12:13]
	s_branch .LBB1651_271
.LBB1651_274:
	v_mov_b64_e32 v[68:69], 0
	s_branch .LBB1651_277
.LBB1651_275:
	s_or_b64 exec, exec, s[28:29]
	v_cmp_gt_i64_e32 vcc, s[12:13], v[30:31]
	s_mov_b32 s26, 0
	v_mov_b32_e32 v69, s26
	v_cndmask_b32_e64 v68, 0, 1, vcc
.LBB1651_276:
	s_or_b64 exec, exec, s[24:25]
.LBB1651_277:
	s_or_b64 exec, exec, s[22:23]
	v_add_u32_e32 v26, 1, v1
	v_cmp_gt_u32_e32 vcc, s7, v26
	v_mov_b64_e32 v[70:71], v[4:5]
	s_and_saveexec_b64 s[22:23], vcc
	s_cbranch_execz .LBB1651_288
; %bb.278:
	s_and_b64 vcc, exec, s[2:3]
	s_cbranch_vccnz .LBB1651_285
; %bb.279:
	v_mul_lo_u32 v28, v5, s12
	v_mul_lo_u32 v29, v4, s13
	v_mad_u64_u32 v[26:27], s[24:25], v4, s12, 0
	v_add3_u32 v27, v27, v29, v28
	v_mul_lo_u32 v28, v3, s12
	v_mul_lo_u32 v29, v2, s13
	v_mad_u64_u32 v[30:31], s[24:25], v2, s12, 0
	v_add3_u32 v31, v31, v29, v28
	v_lshl_add_u64 v[28:29], v[26:27], 3, s[14:15]
	v_lshl_add_u64 v[26:27], v[30:31], 3, s[14:15]
	global_load_dwordx2 v[30:31], v[28:29], off
	global_load_dwordx2 v[32:33], v[26:27], off
	v_mov_b64_e32 v[70:71], 1
	s_waitcnt vmcnt(0)
	v_cmp_eq_u64_e32 vcc, v[30:31], v[32:33]
	s_and_saveexec_b64 s[24:25], vcc
	s_cbranch_execz .LBB1651_287
; %bb.280:
	s_add_u32 s26, s12, -1
	v_lshl_add_u64 v[26:27], v[26:27], 0, 8
	v_lshl_add_u64 v[28:29], v[28:29], 0, 8
	s_addc_u32 s27, s13, -1
	s_mov_b64 s[28:29], 0
	s_mov_b64 s[34:35], 0
                                        ; implicit-def: $sgpr30_sgpr31
	s_branch .LBB1651_283
.LBB1651_281:                           ;   in Loop: Header=BB1651_283 Depth=1
	global_load_dwordx2 v[30:31], v[28:29], off
	global_load_dwordx2 v[32:33], v[26:27], off
	s_add_u32 s34, s34, 1
	s_addc_u32 s35, s35, 0
	s_andn2_b64 s[30:31], s[30:31], exec
	v_lshl_add_u64 v[26:27], v[26:27], 0, 8
	v_lshl_add_u64 v[28:29], v[28:29], 0, 8
	s_waitcnt vmcnt(0)
	v_cmp_ne_u64_e32 vcc, v[30:31], v[32:33]
	s_and_b64 s[36:37], vcc, exec
	s_or_b64 s[30:31], s[30:31], s[36:37]
.LBB1651_282:                           ;   in Loop: Header=BB1651_283 Depth=1
	s_and_b64 s[36:37], exec, s[30:31]
	s_or_b64 s[28:29], s[36:37], s[28:29]
	v_mov_b64_e32 v[30:31], s[34:35]
	s_andn2_b64 exec, exec, s[28:29]
	s_cbranch_execz .LBB1651_286
.LBB1651_283:                           ; =>This Inner Loop Header: Depth=1
	s_or_b64 s[30:31], s[30:31], exec
	s_cmp_eq_u64 s[26:27], s[34:35]
	s_cbranch_scc0 .LBB1651_281
; %bb.284:                              ;   in Loop: Header=BB1651_283 Depth=1
                                        ; implicit-def: $vgpr26_vgpr27
                                        ; implicit-def: $vgpr28_vgpr29
	s_mov_b64 s[34:35], s[12:13]
	s_branch .LBB1651_282
.LBB1651_285:
	v_mov_b64_e32 v[70:71], 0
	s_branch .LBB1651_288
.LBB1651_286:
	s_or_b64 exec, exec, s[28:29]
	v_cmp_gt_i64_e32 vcc, s[12:13], v[30:31]
	s_mov_b32 s26, 0
	v_mov_b32_e32 v71, s26
	v_cndmask_b32_e64 v70, 0, 1, vcc
.LBB1651_287:
	s_or_b64 exec, exec, s[24:25]
.LBB1651_288:
	s_or_b64 exec, exec, s[22:23]
	v_cmp_ne_u32_e32 vcc, 0, v0
	v_mov_b64_e32 v[26:27], s[20:21]
	s_waitcnt lgkmcnt(0)
	; wave barrier
	s_waitcnt lgkmcnt(0)
	s_and_saveexec_b64 s[20:21], vcc
	s_cbranch_execz .LBB1651_290
; %bb.289:
	v_add_u32_e32 v26, -8, v48
	ds_read_b64 v[26:27], v26
.LBB1651_290:
	s_or_b64 exec, exec, s[20:21]
	v_cmp_gt_u32_e32 vcc, s7, v1
                                        ; implicit-def: $sgpr24_sgpr25
	s_and_saveexec_b64 s[20:21], vcc
	s_cbranch_execz .LBB1651_302
; %bb.291:
	s_and_b64 vcc, exec, s[2:3]
	s_cbranch_vccnz .LBB1651_298
; %bb.292:
	v_mul_lo_u32 v1, v3, s12
	v_mul_lo_u32 v30, v2, s13
	v_mad_u64_u32 v[28:29], s[2:3], v2, s12, 0
	v_add3_u32 v29, v29, v30, v1
	s_waitcnt lgkmcnt(0)
	v_mul_lo_u32 v1, v27, s12
	v_mul_lo_u32 v30, v26, s13
	v_mad_u64_u32 v[26:27], s[2:3], v26, s12, 0
	v_add3_u32 v27, v27, v30, v1
	v_lshl_add_u64 v[28:29], v[28:29], 3, s[14:15]
	v_lshl_add_u64 v[26:27], v[26:27], 3, s[14:15]
	global_load_dwordx2 v[30:31], v[28:29], off
	global_load_dwordx2 v[32:33], v[26:27], off
	s_mov_b64 s[22:23], -1
	s_waitcnt vmcnt(0)
	v_cmp_eq_u64_e32 vcc, v[30:31], v[32:33]
	s_and_saveexec_b64 s[2:3], vcc
	s_cbranch_execz .LBB1651_300
; %bb.293:
	s_add_u32 s22, s12, -1
	v_lshl_add_u64 v[26:27], v[26:27], 0, 8
	v_lshl_add_u64 v[28:29], v[28:29], 0, 8
	s_addc_u32 s23, s13, -1
	s_mov_b64 s[24:25], 0
	s_mov_b64 s[28:29], 0
                                        ; implicit-def: $sgpr26_sgpr27
	s_branch .LBB1651_296
.LBB1651_294:                           ;   in Loop: Header=BB1651_296 Depth=1
	global_load_dwordx2 v[30:31], v[28:29], off
	global_load_dwordx2 v[32:33], v[26:27], off
	s_add_u32 s28, s28, 1
	s_addc_u32 s29, s29, 0
	s_andn2_b64 s[26:27], s[26:27], exec
	v_lshl_add_u64 v[26:27], v[26:27], 0, 8
	v_lshl_add_u64 v[28:29], v[28:29], 0, 8
	s_waitcnt vmcnt(0)
	v_cmp_ne_u64_e32 vcc, v[30:31], v[32:33]
	s_and_b64 s[30:31], vcc, exec
	s_or_b64 s[26:27], s[26:27], s[30:31]
.LBB1651_295:                           ;   in Loop: Header=BB1651_296 Depth=1
	s_and_b64 s[30:31], exec, s[26:27]
	s_or_b64 s[24:25], s[30:31], s[24:25]
	v_mov_b64_e32 v[30:31], s[28:29]
	s_andn2_b64 exec, exec, s[24:25]
	s_cbranch_execz .LBB1651_299
.LBB1651_296:                           ; =>This Inner Loop Header: Depth=1
	s_or_b64 s[26:27], s[26:27], exec
	s_cmp_eq_u64 s[22:23], s[28:29]
	s_cbranch_scc0 .LBB1651_294
; %bb.297:                              ;   in Loop: Header=BB1651_296 Depth=1
                                        ; implicit-def: $vgpr26_vgpr27
                                        ; implicit-def: $vgpr28_vgpr29
	s_mov_b64 s[28:29], s[12:13]
	s_branch .LBB1651_295
.LBB1651_298:
	s_mov_b64 s[22:23], 0
	s_branch .LBB1651_301
.LBB1651_299:
	s_or_b64 exec, exec, s[24:25]
	v_cmp_gt_i64_e32 vcc, s[12:13], v[30:31]
	s_orn2_b64 s[22:23], vcc, exec
.LBB1651_300:
	s_or_b64 exec, exec, s[2:3]
.LBB1651_301:
	s_and_b64 s[24:25], s[22:23], exec
	s_or_b64 s[18:19], s[18:19], exec
.LBB1651_302:
	s_or_b64 exec, exec, s[20:21]
	v_mov_b64_e32 v[72:73], v[52:53]
	s_waitcnt lgkmcnt(0)
	v_mov_b64_e32 v[26:27], v[46:47]
	v_mov_b64_e32 v[82:83], v[70:71]
	;; [unrolled: 1-line block ×10, first 2 shown]
	s_branch .LBB1651_572
.LBB1651_303:
	s_cmp_lg_u64 s[4:5], 1
	s_cbranch_scc0 .LBB1651_311
; %bb.304:
	v_mul_lo_u32 v1, v25, s12
	v_mul_lo_u32 v28, v24, s13
	s_waitcnt lgkmcnt(0)
	v_mad_u64_u32 v[26:27], s[20:21], v24, s12, 0
	v_mov_b64_e32 v[46:47], 0
	v_cmp_lt_i64_e64 s[2:3], s[12:13], 1
	v_add3_u32 v27, v27, v28, v1
	v_cmp_gt_i64_e64 s[4:5], s[12:13], 0
	s_and_b64 vcc, exec, s[2:3]
	v_lshl_add_u64 v[26:27], v[26:27], 3, s[14:15]
	v_mov_b64_e32 v[50:51], v[46:47]
	ds_write_b64 v48, v[44:45]
	s_cbranch_vccnz .LBB1651_314
; %bb.305:
	v_mul_lo_u32 v1, v45, s12
	v_mul_lo_u32 v30, v44, s13
	v_mad_u64_u32 v[28:29], s[2:3], v44, s12, 0
	v_add3_u32 v29, v29, v30, v1
	v_lshl_add_u64 v[30:31], v[28:29], 3, s[14:15]
	global_load_dwordx2 v[28:29], v[30:31], off
	global_load_dwordx2 v[32:33], v[26:27], off
	v_mov_b64_e32 v[50:51], 1
	s_waitcnt vmcnt(0)
	v_cmp_eq_u64_e32 vcc, v[28:29], v[32:33]
	s_and_saveexec_b64 s[2:3], vcc
	s_cbranch_execz .LBB1651_313
; %bb.306:
	s_add_u32 s20, s12, -1
	v_lshl_add_u64 v[28:29], v[26:27], 0, 8
	v_lshl_add_u64 v[30:31], v[30:31], 0, 8
	s_addc_u32 s21, s13, -1
	s_mov_b64 s[22:23], 0
	s_mov_b64 s[26:27], 0
                                        ; implicit-def: $sgpr24_sgpr25
	s_branch .LBB1651_309
.LBB1651_307:                           ;   in Loop: Header=BB1651_309 Depth=1
	global_load_dwordx2 v[32:33], v[30:31], off
	global_load_dwordx2 v[34:35], v[28:29], off
	s_add_u32 s26, s26, 1
	s_addc_u32 s27, s27, 0
	s_andn2_b64 s[24:25], s[24:25], exec
	v_lshl_add_u64 v[28:29], v[28:29], 0, 8
	v_lshl_add_u64 v[30:31], v[30:31], 0, 8
	s_waitcnt vmcnt(0)
	v_cmp_ne_u64_e32 vcc, v[32:33], v[34:35]
	s_and_b64 s[28:29], vcc, exec
	s_or_b64 s[24:25], s[24:25], s[28:29]
.LBB1651_308:                           ;   in Loop: Header=BB1651_309 Depth=1
	s_and_b64 s[28:29], exec, s[24:25]
	s_or_b64 s[22:23], s[28:29], s[22:23]
	v_mov_b64_e32 v[32:33], s[26:27]
	s_andn2_b64 exec, exec, s[22:23]
	s_cbranch_execz .LBB1651_312
.LBB1651_309:                           ; =>This Inner Loop Header: Depth=1
	s_or_b64 s[24:25], s[24:25], exec
	s_cmp_eq_u64 s[20:21], s[26:27]
	s_cbranch_scc0 .LBB1651_307
; %bb.310:                              ;   in Loop: Header=BB1651_309 Depth=1
                                        ; implicit-def: $vgpr28_vgpr29
                                        ; implicit-def: $vgpr30_vgpr31
	s_mov_b64 s[26:27], s[12:13]
	s_branch .LBB1651_308
.LBB1651_311:
                                        ; implicit-def: $vgpr26_vgpr27_vgpr28_vgpr29
                                        ; implicit-def: $sgpr24_sgpr25
                                        ; implicit-def: $vgpr50_vgpr51
                                        ; implicit-def: $vgpr52_vgpr53
                                        ; implicit-def: $vgpr46_vgpr47
                                        ; implicit-def: $vgpr70_vgpr71
                                        ; implicit-def: $vgpr68_vgpr69
                                        ; implicit-def: $vgpr66_vgpr67
                                        ; implicit-def: $vgpr64_vgpr65
                                        ; implicit-def: $vgpr62_vgpr63
                                        ; implicit-def: $vgpr60_vgpr61
                                        ; implicit-def: $vgpr58_vgpr59
                                        ; implicit-def: $vgpr56_vgpr57
                                        ; implicit-def: $vgpr54_vgpr55
                                        ; implicit-def: $vgpr72_vgpr73
                                        ; implicit-def: $vgpr82_vgpr83
                                        ; implicit-def: $vgpr74_vgpr75
                                        ; implicit-def: $vgpr76_vgpr77
                                        ; implicit-def: $vgpr78_vgpr79
                                        ; implicit-def: $vgpr80_vgpr81
                                        ; implicit-def: $vgpr28_vgpr29_vgpr30_vgpr31
                                        ; implicit-def: $vgpr32_vgpr33_vgpr34_vgpr35
                                        ; implicit-def: $vgpr36_vgpr37_vgpr38_vgpr39
                                        ; implicit-def: $vgpr40_vgpr41_vgpr42_vgpr43
	s_cbranch_execnz .LBB1651_427
	s_branch .LBB1651_572
.LBB1651_312:
	s_or_b64 exec, exec, s[22:23]
	v_cmp_gt_i64_e32 vcc, s[12:13], v[32:33]
	s_mov_b32 s7, 0
	v_mov_b32_e32 v51, s7
	v_cndmask_b32_e64 v50, 0, 1, vcc
.LBB1651_313:
	s_or_b64 exec, exec, s[2:3]
.LBB1651_314:
	v_mul_lo_u32 v1, v23, s12
	v_mul_lo_u32 v30, v22, s13
	v_mad_u64_u32 v[28:29], s[2:3], v22, s12, 0
	v_add3_u32 v29, v29, v30, v1
	v_cndmask_b32_e64 v1, 0, 1, s[4:5]
	v_cmp_ne_u32_e64 s[2:3], 1, v1
	s_andn2_b64 vcc, exec, s[4:5]
	v_lshl_add_u64 v[28:29], v[28:29], 3, s[14:15]
	v_mov_b64_e32 v[52:53], v[46:47]
	s_cbranch_vccnz .LBB1651_323
; %bb.315:
	global_load_dwordx2 v[30:31], v[26:27], off
	global_load_dwordx2 v[32:33], v[28:29], off
	v_mov_b64_e32 v[52:53], 1
	s_waitcnt vmcnt(0)
	v_cmp_eq_u64_e32 vcc, v[30:31], v[32:33]
	s_and_saveexec_b64 s[4:5], vcc
	s_cbranch_execz .LBB1651_322
; %bb.316:
	s_add_u32 s20, s12, -1
	v_lshl_add_u64 v[30:31], v[28:29], 0, 8
	v_lshl_add_u64 v[26:27], v[26:27], 0, 8
	s_addc_u32 s21, s13, -1
	s_mov_b64 s[22:23], 0
	s_mov_b64 s[26:27], 0
                                        ; implicit-def: $sgpr24_sgpr25
	s_branch .LBB1651_319
.LBB1651_317:                           ;   in Loop: Header=BB1651_319 Depth=1
	global_load_dwordx2 v[32:33], v[26:27], off
	global_load_dwordx2 v[34:35], v[30:31], off
	s_add_u32 s26, s26, 1
	s_addc_u32 s27, s27, 0
	s_andn2_b64 s[24:25], s[24:25], exec
	v_lshl_add_u64 v[30:31], v[30:31], 0, 8
	v_lshl_add_u64 v[26:27], v[26:27], 0, 8
	s_waitcnt vmcnt(0)
	v_cmp_ne_u64_e32 vcc, v[32:33], v[34:35]
	s_and_b64 s[28:29], vcc, exec
	s_or_b64 s[24:25], s[24:25], s[28:29]
.LBB1651_318:                           ;   in Loop: Header=BB1651_319 Depth=1
	s_and_b64 s[28:29], exec, s[24:25]
	s_or_b64 s[22:23], s[28:29], s[22:23]
	v_mov_b64_e32 v[32:33], s[26:27]
	s_andn2_b64 exec, exec, s[22:23]
	s_cbranch_execz .LBB1651_321
.LBB1651_319:                           ; =>This Inner Loop Header: Depth=1
	s_or_b64 s[24:25], s[24:25], exec
	s_cmp_eq_u64 s[20:21], s[26:27]
	s_cbranch_scc0 .LBB1651_317
; %bb.320:                              ;   in Loop: Header=BB1651_319 Depth=1
                                        ; implicit-def: $vgpr30_vgpr31
                                        ; implicit-def: $vgpr26_vgpr27
	s_mov_b64 s[26:27], s[12:13]
	s_branch .LBB1651_318
.LBB1651_321:
	s_or_b64 exec, exec, s[22:23]
	v_cmp_gt_i64_e32 vcc, s[12:13], v[32:33]
	s_mov_b32 s7, 0
	v_mov_b32_e32 v53, s7
	v_cndmask_b32_e64 v52, 0, 1, vcc
.LBB1651_322:
	s_or_b64 exec, exec, s[4:5]
.LBB1651_323:
	v_mul_lo_u32 v1, v21, s12
	v_mul_lo_u32 v30, v20, s13
	v_mad_u64_u32 v[26:27], s[4:5], v20, s12, 0
	v_add3_u32 v27, v27, v30, v1
	s_and_b64 vcc, exec, s[2:3]
	v_lshl_add_u64 v[26:27], v[26:27], 3, s[14:15]
	s_cbranch_vccnz .LBB1651_332
; %bb.324:
	global_load_dwordx2 v[30:31], v[28:29], off
	global_load_dwordx2 v[32:33], v[26:27], off
	v_mov_b64_e32 v[46:47], 1
	s_waitcnt vmcnt(0)
	v_cmp_eq_u64_e32 vcc, v[30:31], v[32:33]
	s_and_saveexec_b64 s[4:5], vcc
	s_cbranch_execz .LBB1651_331
; %bb.325:
	s_add_u32 s20, s12, -1
	v_lshl_add_u64 v[30:31], v[26:27], 0, 8
	v_lshl_add_u64 v[28:29], v[28:29], 0, 8
	s_addc_u32 s21, s13, -1
	s_mov_b64 s[22:23], 0
	s_mov_b64 s[26:27], 0
                                        ; implicit-def: $sgpr24_sgpr25
	s_branch .LBB1651_328
.LBB1651_326:                           ;   in Loop: Header=BB1651_328 Depth=1
	global_load_dwordx2 v[32:33], v[28:29], off
	global_load_dwordx2 v[34:35], v[30:31], off
	s_add_u32 s26, s26, 1
	s_addc_u32 s27, s27, 0
	s_andn2_b64 s[24:25], s[24:25], exec
	v_lshl_add_u64 v[30:31], v[30:31], 0, 8
	v_lshl_add_u64 v[28:29], v[28:29], 0, 8
	s_waitcnt vmcnt(0)
	v_cmp_ne_u64_e32 vcc, v[32:33], v[34:35]
	s_and_b64 s[28:29], vcc, exec
	s_or_b64 s[24:25], s[24:25], s[28:29]
.LBB1651_327:                           ;   in Loop: Header=BB1651_328 Depth=1
	s_and_b64 s[28:29], exec, s[24:25]
	s_or_b64 s[22:23], s[28:29], s[22:23]
	v_mov_b64_e32 v[32:33], s[26:27]
	s_andn2_b64 exec, exec, s[22:23]
	s_cbranch_execz .LBB1651_330
.LBB1651_328:                           ; =>This Inner Loop Header: Depth=1
	s_or_b64 s[24:25], s[24:25], exec
	s_cmp_eq_u64 s[20:21], s[26:27]
	s_cbranch_scc0 .LBB1651_326
; %bb.329:                              ;   in Loop: Header=BB1651_328 Depth=1
                                        ; implicit-def: $vgpr30_vgpr31
                                        ; implicit-def: $vgpr28_vgpr29
	s_mov_b64 s[26:27], s[12:13]
	s_branch .LBB1651_327
.LBB1651_330:
	s_or_b64 exec, exec, s[22:23]
	v_cmp_gt_i64_e32 vcc, s[12:13], v[32:33]
	s_mov_b32 s7, 0
	v_mov_b32_e32 v47, s7
	v_cndmask_b32_e64 v46, 0, 1, vcc
.LBB1651_331:
	s_or_b64 exec, exec, s[4:5]
.LBB1651_332:
	v_mul_lo_u32 v1, v19, s12
	v_mul_lo_u32 v30, v18, s13
	v_mad_u64_u32 v[28:29], s[4:5], v18, s12, 0
	v_add3_u32 v29, v29, v30, v1
	v_mov_b64_e32 v[56:57], 0
	s_and_b64 vcc, exec, s[2:3]
	v_lshl_add_u64 v[28:29], v[28:29], 3, s[14:15]
	v_mov_b64_e32 v[54:55], v[56:57]
	s_cbranch_vccnz .LBB1651_341
; %bb.333:
	global_load_dwordx2 v[30:31], v[26:27], off
	global_load_dwordx2 v[32:33], v[28:29], off
	v_mov_b64_e32 v[54:55], 1
	s_waitcnt vmcnt(0)
	v_cmp_eq_u64_e32 vcc, v[30:31], v[32:33]
	s_and_saveexec_b64 s[4:5], vcc
	s_cbranch_execz .LBB1651_340
; %bb.334:
	s_add_u32 s20, s12, -1
	v_lshl_add_u64 v[30:31], v[28:29], 0, 8
	v_lshl_add_u64 v[26:27], v[26:27], 0, 8
	s_addc_u32 s21, s13, -1
	s_mov_b64 s[22:23], 0
	s_mov_b64 s[26:27], 0
                                        ; implicit-def: $sgpr24_sgpr25
	s_branch .LBB1651_337
.LBB1651_335:                           ;   in Loop: Header=BB1651_337 Depth=1
	global_load_dwordx2 v[32:33], v[26:27], off
	global_load_dwordx2 v[34:35], v[30:31], off
	s_add_u32 s26, s26, 1
	s_addc_u32 s27, s27, 0
	s_andn2_b64 s[24:25], s[24:25], exec
	v_lshl_add_u64 v[30:31], v[30:31], 0, 8
	v_lshl_add_u64 v[26:27], v[26:27], 0, 8
	s_waitcnt vmcnt(0)
	v_cmp_ne_u64_e32 vcc, v[32:33], v[34:35]
	s_and_b64 s[28:29], vcc, exec
	s_or_b64 s[24:25], s[24:25], s[28:29]
.LBB1651_336:                           ;   in Loop: Header=BB1651_337 Depth=1
	s_and_b64 s[28:29], exec, s[24:25]
	s_or_b64 s[22:23], s[28:29], s[22:23]
	v_mov_b64_e32 v[32:33], s[26:27]
	s_andn2_b64 exec, exec, s[22:23]
	s_cbranch_execz .LBB1651_339
.LBB1651_337:                           ; =>This Inner Loop Header: Depth=1
	s_or_b64 s[24:25], s[24:25], exec
	s_cmp_eq_u64 s[20:21], s[26:27]
	s_cbranch_scc0 .LBB1651_335
; %bb.338:                              ;   in Loop: Header=BB1651_337 Depth=1
                                        ; implicit-def: $vgpr30_vgpr31
                                        ; implicit-def: $vgpr26_vgpr27
	s_mov_b64 s[26:27], s[12:13]
	s_branch .LBB1651_336
.LBB1651_339:
	s_or_b64 exec, exec, s[22:23]
	v_cmp_gt_i64_e32 vcc, s[12:13], v[32:33]
	s_mov_b32 s7, 0
	v_mov_b32_e32 v55, s7
	v_cndmask_b32_e64 v54, 0, 1, vcc
.LBB1651_340:
	s_or_b64 exec, exec, s[4:5]
.LBB1651_341:
	v_mul_lo_u32 v1, v17, s12
	v_mul_lo_u32 v30, v16, s13
	v_mad_u64_u32 v[26:27], s[4:5], v16, s12, 0
	v_add3_u32 v27, v27, v30, v1
	s_and_b64 vcc, exec, s[2:3]
	v_lshl_add_u64 v[26:27], v[26:27], 3, s[14:15]
	s_cbranch_vccnz .LBB1651_350
; %bb.342:
	global_load_dwordx2 v[30:31], v[28:29], off
	global_load_dwordx2 v[32:33], v[26:27], off
	v_mov_b64_e32 v[56:57], 1
	s_waitcnt vmcnt(0)
	v_cmp_eq_u64_e32 vcc, v[30:31], v[32:33]
	s_and_saveexec_b64 s[4:5], vcc
	s_cbranch_execz .LBB1651_349
; %bb.343:
	s_add_u32 s20, s12, -1
	v_lshl_add_u64 v[30:31], v[26:27], 0, 8
	v_lshl_add_u64 v[28:29], v[28:29], 0, 8
	s_addc_u32 s21, s13, -1
	s_mov_b64 s[22:23], 0
	s_mov_b64 s[26:27], 0
                                        ; implicit-def: $sgpr24_sgpr25
	s_branch .LBB1651_346
.LBB1651_344:                           ;   in Loop: Header=BB1651_346 Depth=1
	global_load_dwordx2 v[32:33], v[28:29], off
	global_load_dwordx2 v[34:35], v[30:31], off
	s_add_u32 s26, s26, 1
	s_addc_u32 s27, s27, 0
	s_andn2_b64 s[24:25], s[24:25], exec
	v_lshl_add_u64 v[30:31], v[30:31], 0, 8
	v_lshl_add_u64 v[28:29], v[28:29], 0, 8
	s_waitcnt vmcnt(0)
	v_cmp_ne_u64_e32 vcc, v[32:33], v[34:35]
	s_and_b64 s[28:29], vcc, exec
	s_or_b64 s[24:25], s[24:25], s[28:29]
.LBB1651_345:                           ;   in Loop: Header=BB1651_346 Depth=1
	s_and_b64 s[28:29], exec, s[24:25]
	s_or_b64 s[22:23], s[28:29], s[22:23]
	v_mov_b64_e32 v[32:33], s[26:27]
	s_andn2_b64 exec, exec, s[22:23]
	s_cbranch_execz .LBB1651_348
.LBB1651_346:                           ; =>This Inner Loop Header: Depth=1
	s_or_b64 s[24:25], s[24:25], exec
	s_cmp_eq_u64 s[20:21], s[26:27]
	s_cbranch_scc0 .LBB1651_344
; %bb.347:                              ;   in Loop: Header=BB1651_346 Depth=1
                                        ; implicit-def: $vgpr30_vgpr31
                                        ; implicit-def: $vgpr28_vgpr29
	s_mov_b64 s[26:27], s[12:13]
	s_branch .LBB1651_345
.LBB1651_348:
	s_or_b64 exec, exec, s[22:23]
	v_cmp_gt_i64_e32 vcc, s[12:13], v[32:33]
	s_mov_b32 s7, 0
	v_mov_b32_e32 v57, s7
	v_cndmask_b32_e64 v56, 0, 1, vcc
.LBB1651_349:
	s_or_b64 exec, exec, s[4:5]
.LBB1651_350:
	v_mul_lo_u32 v1, v15, s12
	v_mul_lo_u32 v30, v14, s13
	v_mad_u64_u32 v[28:29], s[4:5], v14, s12, 0
	v_add3_u32 v29, v29, v30, v1
	v_mov_b64_e32 v[60:61], 0
	s_and_b64 vcc, exec, s[2:3]
	v_lshl_add_u64 v[28:29], v[28:29], 3, s[14:15]
	v_mov_b64_e32 v[58:59], v[60:61]
	s_cbranch_vccnz .LBB1651_359
; %bb.351:
	global_load_dwordx2 v[30:31], v[26:27], off
	global_load_dwordx2 v[32:33], v[28:29], off
	v_mov_b64_e32 v[58:59], 1
	s_waitcnt vmcnt(0)
	v_cmp_eq_u64_e32 vcc, v[30:31], v[32:33]
	s_and_saveexec_b64 s[4:5], vcc
	s_cbranch_execz .LBB1651_358
; %bb.352:
	s_add_u32 s20, s12, -1
	v_lshl_add_u64 v[30:31], v[28:29], 0, 8
	v_lshl_add_u64 v[26:27], v[26:27], 0, 8
	s_addc_u32 s21, s13, -1
	s_mov_b64 s[22:23], 0
	s_mov_b64 s[26:27], 0
                                        ; implicit-def: $sgpr24_sgpr25
	s_branch .LBB1651_355
.LBB1651_353:                           ;   in Loop: Header=BB1651_355 Depth=1
	global_load_dwordx2 v[32:33], v[26:27], off
	global_load_dwordx2 v[34:35], v[30:31], off
	s_add_u32 s26, s26, 1
	s_addc_u32 s27, s27, 0
	s_andn2_b64 s[24:25], s[24:25], exec
	v_lshl_add_u64 v[30:31], v[30:31], 0, 8
	v_lshl_add_u64 v[26:27], v[26:27], 0, 8
	s_waitcnt vmcnt(0)
	v_cmp_ne_u64_e32 vcc, v[32:33], v[34:35]
	s_and_b64 s[28:29], vcc, exec
	s_or_b64 s[24:25], s[24:25], s[28:29]
.LBB1651_354:                           ;   in Loop: Header=BB1651_355 Depth=1
	s_and_b64 s[28:29], exec, s[24:25]
	s_or_b64 s[22:23], s[28:29], s[22:23]
	v_mov_b64_e32 v[32:33], s[26:27]
	s_andn2_b64 exec, exec, s[22:23]
	s_cbranch_execz .LBB1651_357
.LBB1651_355:                           ; =>This Inner Loop Header: Depth=1
	s_or_b64 s[24:25], s[24:25], exec
	s_cmp_eq_u64 s[20:21], s[26:27]
	s_cbranch_scc0 .LBB1651_353
; %bb.356:                              ;   in Loop: Header=BB1651_355 Depth=1
                                        ; implicit-def: $vgpr30_vgpr31
                                        ; implicit-def: $vgpr26_vgpr27
	s_mov_b64 s[26:27], s[12:13]
	s_branch .LBB1651_354
.LBB1651_357:
	s_or_b64 exec, exec, s[22:23]
	v_cmp_gt_i64_e32 vcc, s[12:13], v[32:33]
	s_mov_b32 s7, 0
	v_mov_b32_e32 v59, s7
	v_cndmask_b32_e64 v58, 0, 1, vcc
.LBB1651_358:
	s_or_b64 exec, exec, s[4:5]
.LBB1651_359:
	v_mul_lo_u32 v1, v13, s12
	v_mul_lo_u32 v30, v12, s13
	v_mad_u64_u32 v[26:27], s[4:5], v12, s12, 0
	v_add3_u32 v27, v27, v30, v1
	s_and_b64 vcc, exec, s[2:3]
	v_lshl_add_u64 v[26:27], v[26:27], 3, s[14:15]
	s_cbranch_vccnz .LBB1651_368
; %bb.360:
	global_load_dwordx2 v[30:31], v[28:29], off
	global_load_dwordx2 v[32:33], v[26:27], off
	v_mov_b64_e32 v[60:61], 1
	s_waitcnt vmcnt(0)
	v_cmp_eq_u64_e32 vcc, v[30:31], v[32:33]
	s_and_saveexec_b64 s[4:5], vcc
	s_cbranch_execz .LBB1651_367
; %bb.361:
	s_add_u32 s20, s12, -1
	v_lshl_add_u64 v[30:31], v[26:27], 0, 8
	v_lshl_add_u64 v[28:29], v[28:29], 0, 8
	s_addc_u32 s21, s13, -1
	s_mov_b64 s[22:23], 0
	s_mov_b64 s[26:27], 0
                                        ; implicit-def: $sgpr24_sgpr25
	s_branch .LBB1651_364
.LBB1651_362:                           ;   in Loop: Header=BB1651_364 Depth=1
	global_load_dwordx2 v[32:33], v[28:29], off
	global_load_dwordx2 v[34:35], v[30:31], off
	s_add_u32 s26, s26, 1
	s_addc_u32 s27, s27, 0
	s_andn2_b64 s[24:25], s[24:25], exec
	v_lshl_add_u64 v[30:31], v[30:31], 0, 8
	v_lshl_add_u64 v[28:29], v[28:29], 0, 8
	s_waitcnt vmcnt(0)
	v_cmp_ne_u64_e32 vcc, v[32:33], v[34:35]
	s_and_b64 s[28:29], vcc, exec
	s_or_b64 s[24:25], s[24:25], s[28:29]
.LBB1651_363:                           ;   in Loop: Header=BB1651_364 Depth=1
	s_and_b64 s[28:29], exec, s[24:25]
	s_or_b64 s[22:23], s[28:29], s[22:23]
	v_mov_b64_e32 v[32:33], s[26:27]
	s_andn2_b64 exec, exec, s[22:23]
	s_cbranch_execz .LBB1651_366
.LBB1651_364:                           ; =>This Inner Loop Header: Depth=1
	s_or_b64 s[24:25], s[24:25], exec
	s_cmp_eq_u64 s[20:21], s[26:27]
	s_cbranch_scc0 .LBB1651_362
; %bb.365:                              ;   in Loop: Header=BB1651_364 Depth=1
                                        ; implicit-def: $vgpr30_vgpr31
                                        ; implicit-def: $vgpr28_vgpr29
	s_mov_b64 s[26:27], s[12:13]
	s_branch .LBB1651_363
.LBB1651_366:
	s_or_b64 exec, exec, s[22:23]
	v_cmp_gt_i64_e32 vcc, s[12:13], v[32:33]
	s_mov_b32 s7, 0
	v_mov_b32_e32 v61, s7
	v_cndmask_b32_e64 v60, 0, 1, vcc
.LBB1651_367:
	s_or_b64 exec, exec, s[4:5]
.LBB1651_368:
	v_mul_lo_u32 v1, v11, s12
	v_mul_lo_u32 v30, v10, s13
	v_mad_u64_u32 v[28:29], s[4:5], v10, s12, 0
	v_add3_u32 v29, v29, v30, v1
	v_mov_b64_e32 v[64:65], 0
	s_and_b64 vcc, exec, s[2:3]
	v_lshl_add_u64 v[28:29], v[28:29], 3, s[14:15]
	v_mov_b64_e32 v[62:63], v[64:65]
	s_cbranch_vccnz .LBB1651_377
; %bb.369:
	global_load_dwordx2 v[30:31], v[26:27], off
	global_load_dwordx2 v[32:33], v[28:29], off
	v_mov_b64_e32 v[62:63], 1
	s_waitcnt vmcnt(0)
	v_cmp_eq_u64_e32 vcc, v[30:31], v[32:33]
	s_and_saveexec_b64 s[4:5], vcc
	s_cbranch_execz .LBB1651_376
; %bb.370:
	s_add_u32 s20, s12, -1
	v_lshl_add_u64 v[30:31], v[28:29], 0, 8
	v_lshl_add_u64 v[26:27], v[26:27], 0, 8
	s_addc_u32 s21, s13, -1
	s_mov_b64 s[22:23], 0
	s_mov_b64 s[26:27], 0
                                        ; implicit-def: $sgpr24_sgpr25
	s_branch .LBB1651_373
.LBB1651_371:                           ;   in Loop: Header=BB1651_373 Depth=1
	global_load_dwordx2 v[32:33], v[26:27], off
	global_load_dwordx2 v[34:35], v[30:31], off
	s_add_u32 s26, s26, 1
	s_addc_u32 s27, s27, 0
	s_andn2_b64 s[24:25], s[24:25], exec
	v_lshl_add_u64 v[30:31], v[30:31], 0, 8
	v_lshl_add_u64 v[26:27], v[26:27], 0, 8
	s_waitcnt vmcnt(0)
	v_cmp_ne_u64_e32 vcc, v[32:33], v[34:35]
	s_and_b64 s[28:29], vcc, exec
	s_or_b64 s[24:25], s[24:25], s[28:29]
.LBB1651_372:                           ;   in Loop: Header=BB1651_373 Depth=1
	s_and_b64 s[28:29], exec, s[24:25]
	s_or_b64 s[22:23], s[28:29], s[22:23]
	v_mov_b64_e32 v[32:33], s[26:27]
	s_andn2_b64 exec, exec, s[22:23]
	s_cbranch_execz .LBB1651_375
.LBB1651_373:                           ; =>This Inner Loop Header: Depth=1
	s_or_b64 s[24:25], s[24:25], exec
	s_cmp_eq_u64 s[20:21], s[26:27]
	s_cbranch_scc0 .LBB1651_371
; %bb.374:                              ;   in Loop: Header=BB1651_373 Depth=1
                                        ; implicit-def: $vgpr30_vgpr31
                                        ; implicit-def: $vgpr26_vgpr27
	s_mov_b64 s[26:27], s[12:13]
	s_branch .LBB1651_372
.LBB1651_375:
	s_or_b64 exec, exec, s[22:23]
	v_cmp_gt_i64_e32 vcc, s[12:13], v[32:33]
	s_mov_b32 s7, 0
	v_mov_b32_e32 v63, s7
	v_cndmask_b32_e64 v62, 0, 1, vcc
.LBB1651_376:
	s_or_b64 exec, exec, s[4:5]
.LBB1651_377:
	v_mul_lo_u32 v1, v9, s12
	v_mul_lo_u32 v30, v8, s13
	v_mad_u64_u32 v[26:27], s[4:5], v8, s12, 0
	v_add3_u32 v27, v27, v30, v1
	s_and_b64 vcc, exec, s[2:3]
	v_lshl_add_u64 v[26:27], v[26:27], 3, s[14:15]
	s_cbranch_vccnz .LBB1651_386
; %bb.378:
	global_load_dwordx2 v[30:31], v[28:29], off
	global_load_dwordx2 v[32:33], v[26:27], off
	v_mov_b64_e32 v[64:65], 1
	s_waitcnt vmcnt(0)
	v_cmp_eq_u64_e32 vcc, v[30:31], v[32:33]
	s_and_saveexec_b64 s[4:5], vcc
	s_cbranch_execz .LBB1651_385
; %bb.379:
	s_add_u32 s20, s12, -1
	v_lshl_add_u64 v[30:31], v[26:27], 0, 8
	v_lshl_add_u64 v[28:29], v[28:29], 0, 8
	s_addc_u32 s21, s13, -1
	s_mov_b64 s[22:23], 0
	s_mov_b64 s[26:27], 0
                                        ; implicit-def: $sgpr24_sgpr25
	s_branch .LBB1651_382
.LBB1651_380:                           ;   in Loop: Header=BB1651_382 Depth=1
	global_load_dwordx2 v[32:33], v[28:29], off
	global_load_dwordx2 v[34:35], v[30:31], off
	s_add_u32 s26, s26, 1
	s_addc_u32 s27, s27, 0
	s_andn2_b64 s[24:25], s[24:25], exec
	v_lshl_add_u64 v[30:31], v[30:31], 0, 8
	v_lshl_add_u64 v[28:29], v[28:29], 0, 8
	s_waitcnt vmcnt(0)
	v_cmp_ne_u64_e32 vcc, v[32:33], v[34:35]
	s_and_b64 s[28:29], vcc, exec
	s_or_b64 s[24:25], s[24:25], s[28:29]
.LBB1651_381:                           ;   in Loop: Header=BB1651_382 Depth=1
	s_and_b64 s[28:29], exec, s[24:25]
	s_or_b64 s[22:23], s[28:29], s[22:23]
	v_mov_b64_e32 v[32:33], s[26:27]
	s_andn2_b64 exec, exec, s[22:23]
	s_cbranch_execz .LBB1651_384
.LBB1651_382:                           ; =>This Inner Loop Header: Depth=1
	s_or_b64 s[24:25], s[24:25], exec
	s_cmp_eq_u64 s[20:21], s[26:27]
	s_cbranch_scc0 .LBB1651_380
; %bb.383:                              ;   in Loop: Header=BB1651_382 Depth=1
                                        ; implicit-def: $vgpr30_vgpr31
                                        ; implicit-def: $vgpr28_vgpr29
	s_mov_b64 s[26:27], s[12:13]
	s_branch .LBB1651_381
.LBB1651_384:
	s_or_b64 exec, exec, s[22:23]
	v_cmp_gt_i64_e32 vcc, s[12:13], v[32:33]
	s_mov_b32 s7, 0
	v_mov_b32_e32 v65, s7
	v_cndmask_b32_e64 v64, 0, 1, vcc
.LBB1651_385:
	s_or_b64 exec, exec, s[4:5]
.LBB1651_386:
	v_mul_lo_u32 v1, v7, s12
	v_mul_lo_u32 v30, v6, s13
	v_mad_u64_u32 v[28:29], s[4:5], v6, s12, 0
	v_add3_u32 v29, v29, v30, v1
	v_mov_b64_e32 v[68:69], 0
	s_and_b64 vcc, exec, s[2:3]
	v_lshl_add_u64 v[28:29], v[28:29], 3, s[14:15]
	v_mov_b64_e32 v[66:67], v[68:69]
	s_cbranch_vccnz .LBB1651_395
; %bb.387:
	global_load_dwordx2 v[30:31], v[26:27], off
	global_load_dwordx2 v[32:33], v[28:29], off
	v_mov_b64_e32 v[66:67], 1
	s_waitcnt vmcnt(0)
	v_cmp_eq_u64_e32 vcc, v[30:31], v[32:33]
	s_and_saveexec_b64 s[4:5], vcc
	s_cbranch_execz .LBB1651_394
; %bb.388:
	s_add_u32 s20, s12, -1
	v_lshl_add_u64 v[30:31], v[28:29], 0, 8
	v_lshl_add_u64 v[26:27], v[26:27], 0, 8
	s_addc_u32 s21, s13, -1
	s_mov_b64 s[22:23], 0
	s_mov_b64 s[26:27], 0
                                        ; implicit-def: $sgpr24_sgpr25
	s_branch .LBB1651_391
.LBB1651_389:                           ;   in Loop: Header=BB1651_391 Depth=1
	global_load_dwordx2 v[32:33], v[26:27], off
	global_load_dwordx2 v[34:35], v[30:31], off
	s_add_u32 s26, s26, 1
	s_addc_u32 s27, s27, 0
	s_andn2_b64 s[24:25], s[24:25], exec
	v_lshl_add_u64 v[30:31], v[30:31], 0, 8
	v_lshl_add_u64 v[26:27], v[26:27], 0, 8
	s_waitcnt vmcnt(0)
	v_cmp_ne_u64_e32 vcc, v[32:33], v[34:35]
	s_and_b64 s[28:29], vcc, exec
	s_or_b64 s[24:25], s[24:25], s[28:29]
.LBB1651_390:                           ;   in Loop: Header=BB1651_391 Depth=1
	s_and_b64 s[28:29], exec, s[24:25]
	s_or_b64 s[22:23], s[28:29], s[22:23]
	v_mov_b64_e32 v[32:33], s[26:27]
	s_andn2_b64 exec, exec, s[22:23]
	s_cbranch_execz .LBB1651_393
.LBB1651_391:                           ; =>This Inner Loop Header: Depth=1
	s_or_b64 s[24:25], s[24:25], exec
	s_cmp_eq_u64 s[20:21], s[26:27]
	s_cbranch_scc0 .LBB1651_389
; %bb.392:                              ;   in Loop: Header=BB1651_391 Depth=1
                                        ; implicit-def: $vgpr30_vgpr31
                                        ; implicit-def: $vgpr26_vgpr27
	s_mov_b64 s[26:27], s[12:13]
	s_branch .LBB1651_390
.LBB1651_393:
	s_or_b64 exec, exec, s[22:23]
	v_cmp_gt_i64_e32 vcc, s[12:13], v[32:33]
	s_mov_b32 s7, 0
	v_mov_b32_e32 v67, s7
	v_cndmask_b32_e64 v66, 0, 1, vcc
.LBB1651_394:
	s_or_b64 exec, exec, s[4:5]
.LBB1651_395:
	v_mul_lo_u32 v1, v5, s12
	v_mul_lo_u32 v30, v4, s13
	v_mad_u64_u32 v[26:27], s[4:5], v4, s12, 0
	v_add3_u32 v27, v27, v30, v1
	s_and_b64 vcc, exec, s[2:3]
	v_lshl_add_u64 v[26:27], v[26:27], 3, s[14:15]
	s_cbranch_vccnz .LBB1651_404
; %bb.396:
	global_load_dwordx2 v[30:31], v[28:29], off
	global_load_dwordx2 v[32:33], v[26:27], off
	v_mov_b64_e32 v[68:69], 1
	s_waitcnt vmcnt(0)
	v_cmp_eq_u64_e32 vcc, v[30:31], v[32:33]
	s_and_saveexec_b64 s[4:5], vcc
	s_cbranch_execz .LBB1651_403
; %bb.397:
	s_add_u32 s20, s12, -1
	v_lshl_add_u64 v[30:31], v[26:27], 0, 8
	v_lshl_add_u64 v[28:29], v[28:29], 0, 8
	s_addc_u32 s21, s13, -1
	s_mov_b64 s[22:23], 0
	s_mov_b64 s[26:27], 0
                                        ; implicit-def: $sgpr24_sgpr25
	s_branch .LBB1651_400
.LBB1651_398:                           ;   in Loop: Header=BB1651_400 Depth=1
	global_load_dwordx2 v[32:33], v[28:29], off
	global_load_dwordx2 v[34:35], v[30:31], off
	s_add_u32 s26, s26, 1
	s_addc_u32 s27, s27, 0
	s_andn2_b64 s[24:25], s[24:25], exec
	v_lshl_add_u64 v[30:31], v[30:31], 0, 8
	v_lshl_add_u64 v[28:29], v[28:29], 0, 8
	s_waitcnt vmcnt(0)
	v_cmp_ne_u64_e32 vcc, v[32:33], v[34:35]
	s_and_b64 s[28:29], vcc, exec
	s_or_b64 s[24:25], s[24:25], s[28:29]
.LBB1651_399:                           ;   in Loop: Header=BB1651_400 Depth=1
	s_and_b64 s[28:29], exec, s[24:25]
	s_or_b64 s[22:23], s[28:29], s[22:23]
	v_mov_b64_e32 v[32:33], s[26:27]
	s_andn2_b64 exec, exec, s[22:23]
	s_cbranch_execz .LBB1651_402
.LBB1651_400:                           ; =>This Inner Loop Header: Depth=1
	s_or_b64 s[24:25], s[24:25], exec
	s_cmp_eq_u64 s[20:21], s[26:27]
	s_cbranch_scc0 .LBB1651_398
; %bb.401:                              ;   in Loop: Header=BB1651_400 Depth=1
                                        ; implicit-def: $vgpr30_vgpr31
                                        ; implicit-def: $vgpr28_vgpr29
	s_mov_b64 s[26:27], s[12:13]
	s_branch .LBB1651_399
.LBB1651_402:
	s_or_b64 exec, exec, s[22:23]
	v_cmp_gt_i64_e32 vcc, s[12:13], v[32:33]
	s_mov_b32 s7, 0
	v_mov_b32_e32 v69, s7
	v_cndmask_b32_e64 v68, 0, 1, vcc
.LBB1651_403:
	s_or_b64 exec, exec, s[4:5]
.LBB1651_404:
	s_and_b64 vcc, exec, s[2:3]
	s_cbranch_vccnz .LBB1651_411
; %bb.405:
	v_mul_lo_u32 v1, v3, s12
	v_mul_lo_u32 v30, v2, s13
	v_mad_u64_u32 v[28:29], s[4:5], v2, s12, 0
	v_add3_u32 v29, v29, v30, v1
	v_lshl_add_u64 v[28:29], v[28:29], 3, s[14:15]
	global_load_dwordx2 v[30:31], v[26:27], off
	global_load_dwordx2 v[32:33], v[28:29], off
	v_mov_b64_e32 v[70:71], 1
	s_waitcnt vmcnt(0)
	v_cmp_eq_u64_e32 vcc, v[30:31], v[32:33]
	s_and_saveexec_b64 s[4:5], vcc
	s_cbranch_execz .LBB1651_413
; %bb.406:
	s_add_u32 s20, s12, -1
	v_lshl_add_u64 v[28:29], v[28:29], 0, 8
	v_lshl_add_u64 v[26:27], v[26:27], 0, 8
	s_addc_u32 s21, s13, -1
	s_mov_b64 s[22:23], 0
	s_mov_b64 s[26:27], 0
                                        ; implicit-def: $sgpr24_sgpr25
	s_branch .LBB1651_409
.LBB1651_407:                           ;   in Loop: Header=BB1651_409 Depth=1
	global_load_dwordx2 v[30:31], v[26:27], off
	global_load_dwordx2 v[32:33], v[28:29], off
	s_add_u32 s26, s26, 1
	s_addc_u32 s27, s27, 0
	s_andn2_b64 s[24:25], s[24:25], exec
	v_lshl_add_u64 v[28:29], v[28:29], 0, 8
	v_lshl_add_u64 v[26:27], v[26:27], 0, 8
	s_waitcnt vmcnt(0)
	v_cmp_ne_u64_e32 vcc, v[30:31], v[32:33]
	s_and_b64 s[28:29], vcc, exec
	s_or_b64 s[24:25], s[24:25], s[28:29]
.LBB1651_408:                           ;   in Loop: Header=BB1651_409 Depth=1
	s_and_b64 s[28:29], exec, s[24:25]
	s_or_b64 s[22:23], s[28:29], s[22:23]
	v_mov_b64_e32 v[30:31], s[26:27]
	s_andn2_b64 exec, exec, s[22:23]
	s_cbranch_execz .LBB1651_412
.LBB1651_409:                           ; =>This Inner Loop Header: Depth=1
	s_or_b64 s[24:25], s[24:25], exec
	s_cmp_eq_u64 s[20:21], s[26:27]
	s_cbranch_scc0 .LBB1651_407
; %bb.410:                              ;   in Loop: Header=BB1651_409 Depth=1
                                        ; implicit-def: $vgpr28_vgpr29
                                        ; implicit-def: $vgpr26_vgpr27
	s_mov_b64 s[26:27], s[12:13]
	s_branch .LBB1651_408
.LBB1651_411:
	v_mov_b64_e32 v[70:71], 0
	s_branch .LBB1651_414
.LBB1651_412:
	s_or_b64 exec, exec, s[22:23]
	v_cmp_gt_i64_e32 vcc, s[12:13], v[30:31]
	s_mov_b32 s7, 0
	v_mov_b32_e32 v71, s7
	v_cndmask_b32_e64 v70, 0, 1, vcc
.LBB1651_413:
	s_or_b64 exec, exec, s[4:5]
.LBB1651_414:
	v_cmp_ne_u32_e32 vcc, 0, v0
	s_waitcnt lgkmcnt(0)
	; wave barrier
	s_waitcnt lgkmcnt(0)
                                        ; implicit-def: $sgpr24_sgpr25
	s_and_saveexec_b64 s[4:5], vcc
	s_cbranch_execz .LBB1651_426
; %bb.415:
	s_and_b64 vcc, exec, s[2:3]
	s_cbranch_vccnz .LBB1651_422
; %bb.416:
	v_add_u32_e32 v26, -8, v48
	ds_read_b64 v[26:27], v26
	v_mul_lo_u32 v1, v3, s12
	v_mul_lo_u32 v30, v2, s13
	v_mad_u64_u32 v[28:29], s[2:3], v2, s12, 0
	v_add3_u32 v29, v29, v30, v1
	s_waitcnt lgkmcnt(0)
	v_mul_lo_u32 v1, v27, s12
	v_mul_lo_u32 v30, v26, s13
	v_mad_u64_u32 v[26:27], s[2:3], v26, s12, 0
	v_add3_u32 v27, v27, v30, v1
	v_lshl_add_u64 v[28:29], v[28:29], 3, s[14:15]
	v_lshl_add_u64 v[26:27], v[26:27], 3, s[14:15]
	global_load_dwordx2 v[30:31], v[28:29], off
	global_load_dwordx2 v[32:33], v[26:27], off
	s_mov_b64 s[20:21], -1
	s_waitcnt vmcnt(0)
	v_cmp_eq_u64_e32 vcc, v[30:31], v[32:33]
	s_and_saveexec_b64 s[2:3], vcc
	s_cbranch_execz .LBB1651_424
; %bb.417:
	s_add_u32 s20, s12, -1
	v_lshl_add_u64 v[26:27], v[26:27], 0, 8
	v_lshl_add_u64 v[28:29], v[28:29], 0, 8
	s_addc_u32 s21, s13, -1
	s_mov_b64 s[22:23], 0
	s_mov_b64 s[26:27], 0
                                        ; implicit-def: $sgpr24_sgpr25
	s_branch .LBB1651_420
.LBB1651_418:                           ;   in Loop: Header=BB1651_420 Depth=1
	global_load_dwordx2 v[30:31], v[28:29], off
	global_load_dwordx2 v[32:33], v[26:27], off
	s_add_u32 s26, s26, 1
	s_addc_u32 s27, s27, 0
	s_andn2_b64 s[24:25], s[24:25], exec
	v_lshl_add_u64 v[26:27], v[26:27], 0, 8
	v_lshl_add_u64 v[28:29], v[28:29], 0, 8
	s_waitcnt vmcnt(0)
	v_cmp_ne_u64_e32 vcc, v[30:31], v[32:33]
	s_and_b64 s[28:29], vcc, exec
	s_or_b64 s[24:25], s[24:25], s[28:29]
.LBB1651_419:                           ;   in Loop: Header=BB1651_420 Depth=1
	s_and_b64 s[28:29], exec, s[24:25]
	s_or_b64 s[22:23], s[28:29], s[22:23]
	v_mov_b64_e32 v[30:31], s[26:27]
	s_andn2_b64 exec, exec, s[22:23]
	s_cbranch_execz .LBB1651_423
.LBB1651_420:                           ; =>This Inner Loop Header: Depth=1
	s_or_b64 s[24:25], s[24:25], exec
	s_cmp_eq_u64 s[20:21], s[26:27]
	s_cbranch_scc0 .LBB1651_418
; %bb.421:                              ;   in Loop: Header=BB1651_420 Depth=1
                                        ; implicit-def: $vgpr26_vgpr27
                                        ; implicit-def: $vgpr28_vgpr29
	s_mov_b64 s[26:27], s[12:13]
	s_branch .LBB1651_419
.LBB1651_422:
	s_mov_b64 s[20:21], 0
	s_branch .LBB1651_425
.LBB1651_423:
	s_or_b64 exec, exec, s[22:23]
	v_cmp_gt_i64_e32 vcc, s[12:13], v[30:31]
	s_orn2_b64 s[20:21], vcc, exec
.LBB1651_424:
	s_or_b64 exec, exec, s[2:3]
.LBB1651_425:
	s_and_b64 s[24:25], s[20:21], exec
	s_or_b64 s[18:19], s[18:19], exec
.LBB1651_426:
	s_or_b64 exec, exec, s[4:5]
	v_mov_b64_e32 v[72:73], v[52:53]
	v_mov_b64_e32 v[26:27], v[46:47]
	;; [unrolled: 1-line block ×11, first 2 shown]
	s_branch .LBB1651_572
.LBB1651_427:
	s_waitcnt lgkmcnt(0)
	v_mad_u32_u24 v26, v0, 13, 12
	v_cmp_gt_i64_e64 s[2:3], s[12:13], 0
	v_cmp_gt_u32_e32 vcc, s10, v26
	v_mul_u32_u24_e32 v1, 13, v0
	v_cndmask_b32_e64 v26, 0, 1, s[2:3]
	v_cmp_ne_u32_e64 s[2:3], 1, v26
	ds_write_b64 v48, v[44:45]
	s_and_saveexec_b64 s[4:5], vcc
	s_cbranch_execz .LBB1651_438
; %bb.428:
	s_and_b64 vcc, exec, s[2:3]
	s_cbranch_vccnz .LBB1651_435
; %bb.429:
	v_mul_lo_u32 v28, v45, s12
	v_mul_lo_u32 v29, v44, s13
	v_mad_u64_u32 v[26:27], s[20:21], v44, s12, 0
	v_add3_u32 v27, v27, v29, v28
	v_mul_lo_u32 v28, v25, s12
	v_mul_lo_u32 v29, v24, s13
	v_mad_u64_u32 v[30:31], s[20:21], v24, s12, 0
	v_add3_u32 v31, v31, v29, v28
	v_lshl_add_u64 v[28:29], v[26:27], 3, s[14:15]
	v_lshl_add_u64 v[26:27], v[30:31], 3, s[14:15]
	global_load_dwordx2 v[30:31], v[28:29], off
	global_load_dwordx2 v[32:33], v[26:27], off
	v_mov_b64_e32 v[44:45], 1
	s_waitcnt vmcnt(0)
	v_cmp_eq_u64_e32 vcc, v[30:31], v[32:33]
	s_and_saveexec_b64 s[20:21], vcc
	s_cbranch_execz .LBB1651_437
; %bb.430:
	s_add_u32 s22, s12, -1
	v_lshl_add_u64 v[26:27], v[26:27], 0, 8
	v_lshl_add_u64 v[28:29], v[28:29], 0, 8
	s_addc_u32 s23, s13, -1
	s_mov_b64 s[24:25], 0
	s_mov_b64 s[28:29], 0
                                        ; implicit-def: $sgpr26_sgpr27
	s_branch .LBB1651_433
.LBB1651_431:                           ;   in Loop: Header=BB1651_433 Depth=1
	global_load_dwordx2 v[30:31], v[28:29], off
	global_load_dwordx2 v[32:33], v[26:27], off
	s_add_u32 s28, s28, 1
	s_addc_u32 s29, s29, 0
	s_andn2_b64 s[26:27], s[26:27], exec
	v_lshl_add_u64 v[26:27], v[26:27], 0, 8
	v_lshl_add_u64 v[28:29], v[28:29], 0, 8
	s_waitcnt vmcnt(0)
	v_cmp_ne_u64_e32 vcc, v[30:31], v[32:33]
	s_and_b64 s[30:31], vcc, exec
	s_or_b64 s[26:27], s[26:27], s[30:31]
.LBB1651_432:                           ;   in Loop: Header=BB1651_433 Depth=1
	s_and_b64 s[30:31], exec, s[26:27]
	s_or_b64 s[24:25], s[30:31], s[24:25]
	v_mov_b64_e32 v[30:31], s[28:29]
	s_andn2_b64 exec, exec, s[24:25]
	s_cbranch_execz .LBB1651_436
.LBB1651_433:                           ; =>This Inner Loop Header: Depth=1
	s_or_b64 s[26:27], s[26:27], exec
	s_cmp_eq_u64 s[22:23], s[28:29]
	s_cbranch_scc0 .LBB1651_431
; %bb.434:                              ;   in Loop: Header=BB1651_433 Depth=1
                                        ; implicit-def: $vgpr26_vgpr27
                                        ; implicit-def: $vgpr28_vgpr29
	s_mov_b64 s[28:29], s[12:13]
	s_branch .LBB1651_432
.LBB1651_435:
	v_mov_b64_e32 v[44:45], 0
	s_branch .LBB1651_438
.LBB1651_436:
	s_or_b64 exec, exec, s[24:25]
	v_cmp_gt_i64_e32 vcc, s[12:13], v[30:31]
	s_mov_b32 s7, 0
	v_mov_b32_e32 v45, s7
	v_cndmask_b32_e64 v44, 0, 1, vcc
.LBB1651_437:
	s_or_b64 exec, exec, s[20:21]
.LBB1651_438:
	s_or_b64 exec, exec, s[4:5]
	v_add_u32_e32 v26, 11, v1
	v_cmp_gt_u32_e32 vcc, s10, v26
	s_and_saveexec_b64 s[4:5], vcc
	s_cbranch_execz .LBB1651_449
; %bb.439:
	s_and_b64 vcc, exec, s[2:3]
	s_cbranch_vccnz .LBB1651_446
; %bb.440:
	v_mul_lo_u32 v26, v25, s12
	v_mul_lo_u32 v27, v24, s13
	v_mad_u64_u32 v[24:25], s[20:21], v24, s12, 0
	v_add3_u32 v25, v25, v27, v26
	v_mul_lo_u32 v26, v23, s12
	v_mul_lo_u32 v27, v22, s13
	v_mad_u64_u32 v[28:29], s[20:21], v22, s12, 0
	v_add3_u32 v29, v29, v27, v26
	v_lshl_add_u64 v[26:27], v[24:25], 3, s[14:15]
	v_lshl_add_u64 v[28:29], v[28:29], 3, s[14:15]
	global_load_dwordx2 v[24:25], v[26:27], off
	global_load_dwordx2 v[30:31], v[28:29], off
	s_waitcnt vmcnt(0)
	v_cmp_eq_u64_e32 vcc, v[24:25], v[30:31]
	v_mov_b64_e32 v[24:25], 1
	s_and_saveexec_b64 s[20:21], vcc
	s_cbranch_execz .LBB1651_448
; %bb.441:
	s_add_u32 s22, s12, -1
	v_lshl_add_u64 v[24:25], v[28:29], 0, 8
	v_lshl_add_u64 v[26:27], v[26:27], 0, 8
	s_addc_u32 s23, s13, -1
	s_mov_b64 s[24:25], 0
	s_mov_b64 s[28:29], 0
                                        ; implicit-def: $sgpr26_sgpr27
	s_branch .LBB1651_444
.LBB1651_442:                           ;   in Loop: Header=BB1651_444 Depth=1
	global_load_dwordx2 v[28:29], v[26:27], off
	global_load_dwordx2 v[30:31], v[24:25], off
	s_add_u32 s28, s28, 1
	s_addc_u32 s29, s29, 0
	s_andn2_b64 s[26:27], s[26:27], exec
	v_lshl_add_u64 v[24:25], v[24:25], 0, 8
	v_lshl_add_u64 v[26:27], v[26:27], 0, 8
	s_waitcnt vmcnt(0)
	v_cmp_ne_u64_e32 vcc, v[28:29], v[30:31]
	s_and_b64 s[30:31], vcc, exec
	s_or_b64 s[26:27], s[26:27], s[30:31]
.LBB1651_443:                           ;   in Loop: Header=BB1651_444 Depth=1
	s_and_b64 s[30:31], exec, s[26:27]
	s_or_b64 s[24:25], s[30:31], s[24:25]
	v_mov_b64_e32 v[28:29], s[28:29]
	s_andn2_b64 exec, exec, s[24:25]
	s_cbranch_execz .LBB1651_447
.LBB1651_444:                           ; =>This Inner Loop Header: Depth=1
	s_or_b64 s[26:27], s[26:27], exec
	s_cmp_eq_u64 s[22:23], s[28:29]
	s_cbranch_scc0 .LBB1651_442
; %bb.445:                              ;   in Loop: Header=BB1651_444 Depth=1
                                        ; implicit-def: $vgpr24_vgpr25
                                        ; implicit-def: $vgpr26_vgpr27
	s_mov_b64 s[28:29], s[12:13]
	s_branch .LBB1651_443
.LBB1651_446:
	v_mov_b64_e32 v[24:25], 0
	s_branch .LBB1651_449
.LBB1651_447:
	s_or_b64 exec, exec, s[24:25]
	v_cmp_gt_i64_e32 vcc, s[12:13], v[28:29]
	s_mov_b32 s7, 0
	v_mov_b32_e32 v25, s7
	v_cndmask_b32_e64 v24, 0, 1, vcc
.LBB1651_448:
	s_or_b64 exec, exec, s[20:21]
.LBB1651_449:
	s_or_b64 exec, exec, s[4:5]
	v_add_u32_e32 v26, 10, v1
	v_cmp_gt_u32_e32 vcc, s10, v26
	s_and_saveexec_b64 s[4:5], vcc
	s_cbranch_execz .LBB1651_460
; %bb.450:
	s_and_b64 vcc, exec, s[2:3]
	s_cbranch_vccnz .LBB1651_457
; %bb.451:
	v_mul_lo_u32 v26, v23, s12
	v_mul_lo_u32 v27, v22, s13
	v_mad_u64_u32 v[22:23], s[20:21], v22, s12, 0
	v_add3_u32 v23, v23, v27, v26
	v_mul_lo_u32 v26, v21, s12
	v_mul_lo_u32 v27, v20, s13
	v_mad_u64_u32 v[28:29], s[20:21], v20, s12, 0
	v_add3_u32 v29, v29, v27, v26
	v_lshl_add_u64 v[26:27], v[22:23], 3, s[14:15]
	v_lshl_add_u64 v[28:29], v[28:29], 3, s[14:15]
	global_load_dwordx2 v[22:23], v[26:27], off
	global_load_dwordx2 v[30:31], v[28:29], off
	s_waitcnt vmcnt(0)
	v_cmp_eq_u64_e32 vcc, v[22:23], v[30:31]
	v_mov_b64_e32 v[22:23], 1
	s_and_saveexec_b64 s[20:21], vcc
	s_cbranch_execz .LBB1651_459
; %bb.452:
	s_add_u32 s22, s12, -1
	v_lshl_add_u64 v[22:23], v[28:29], 0, 8
	v_lshl_add_u64 v[26:27], v[26:27], 0, 8
	s_addc_u32 s23, s13, -1
	s_mov_b64 s[24:25], 0
	s_mov_b64 s[28:29], 0
                                        ; implicit-def: $sgpr26_sgpr27
	s_branch .LBB1651_455
.LBB1651_453:                           ;   in Loop: Header=BB1651_455 Depth=1
	global_load_dwordx2 v[28:29], v[26:27], off
	global_load_dwordx2 v[30:31], v[22:23], off
	s_add_u32 s28, s28, 1
	s_addc_u32 s29, s29, 0
	s_andn2_b64 s[26:27], s[26:27], exec
	v_lshl_add_u64 v[22:23], v[22:23], 0, 8
	v_lshl_add_u64 v[26:27], v[26:27], 0, 8
	s_waitcnt vmcnt(0)
	v_cmp_ne_u64_e32 vcc, v[28:29], v[30:31]
	s_and_b64 s[30:31], vcc, exec
	s_or_b64 s[26:27], s[26:27], s[30:31]
.LBB1651_454:                           ;   in Loop: Header=BB1651_455 Depth=1
	s_and_b64 s[30:31], exec, s[26:27]
	s_or_b64 s[24:25], s[30:31], s[24:25]
	v_mov_b64_e32 v[28:29], s[28:29]
	s_andn2_b64 exec, exec, s[24:25]
	s_cbranch_execz .LBB1651_458
.LBB1651_455:                           ; =>This Inner Loop Header: Depth=1
	s_or_b64 s[26:27], s[26:27], exec
	s_cmp_eq_u64 s[22:23], s[28:29]
	s_cbranch_scc0 .LBB1651_453
; %bb.456:                              ;   in Loop: Header=BB1651_455 Depth=1
                                        ; implicit-def: $vgpr22_vgpr23
                                        ; implicit-def: $vgpr26_vgpr27
	s_mov_b64 s[28:29], s[12:13]
	s_branch .LBB1651_454
.LBB1651_457:
	v_mov_b64_e32 v[22:23], 0
	s_branch .LBB1651_460
.LBB1651_458:
	s_or_b64 exec, exec, s[24:25]
	v_cmp_gt_i64_e32 vcc, s[12:13], v[28:29]
	s_mov_b32 s7, 0
	v_mov_b32_e32 v23, s7
	v_cndmask_b32_e64 v22, 0, 1, vcc
.LBB1651_459:
	s_or_b64 exec, exec, s[20:21]
.LBB1651_460:
	s_or_b64 exec, exec, s[4:5]
	v_add_u32_e32 v26, 9, v1
	v_cmp_gt_u32_e32 vcc, s10, v26
	s_and_saveexec_b64 s[4:5], vcc
	s_cbranch_execz .LBB1651_471
; %bb.461:
	s_and_b64 vcc, exec, s[2:3]
	s_cbranch_vccnz .LBB1651_468
; %bb.462:
	v_mul_lo_u32 v26, v21, s12
	v_mul_lo_u32 v27, v20, s13
	v_mad_u64_u32 v[20:21], s[20:21], v20, s12, 0
	v_add3_u32 v21, v21, v27, v26
	v_mul_lo_u32 v26, v19, s12
	v_mul_lo_u32 v27, v18, s13
	v_mad_u64_u32 v[28:29], s[20:21], v18, s12, 0
	v_add3_u32 v29, v29, v27, v26
	v_lshl_add_u64 v[26:27], v[20:21], 3, s[14:15]
	v_lshl_add_u64 v[28:29], v[28:29], 3, s[14:15]
	global_load_dwordx2 v[20:21], v[26:27], off
	global_load_dwordx2 v[30:31], v[28:29], off
	s_waitcnt vmcnt(0)
	v_cmp_eq_u64_e32 vcc, v[20:21], v[30:31]
	v_mov_b64_e32 v[20:21], 1
	s_and_saveexec_b64 s[20:21], vcc
	s_cbranch_execz .LBB1651_470
; %bb.463:
	s_add_u32 s22, s12, -1
	v_lshl_add_u64 v[20:21], v[28:29], 0, 8
	v_lshl_add_u64 v[26:27], v[26:27], 0, 8
	s_addc_u32 s23, s13, -1
	s_mov_b64 s[24:25], 0
	s_mov_b64 s[28:29], 0
                                        ; implicit-def: $sgpr26_sgpr27
	s_branch .LBB1651_466
.LBB1651_464:                           ;   in Loop: Header=BB1651_466 Depth=1
	global_load_dwordx2 v[28:29], v[26:27], off
	global_load_dwordx2 v[30:31], v[20:21], off
	s_add_u32 s28, s28, 1
	s_addc_u32 s29, s29, 0
	s_andn2_b64 s[26:27], s[26:27], exec
	v_lshl_add_u64 v[20:21], v[20:21], 0, 8
	v_lshl_add_u64 v[26:27], v[26:27], 0, 8
	s_waitcnt vmcnt(0)
	v_cmp_ne_u64_e32 vcc, v[28:29], v[30:31]
	s_and_b64 s[30:31], vcc, exec
	s_or_b64 s[26:27], s[26:27], s[30:31]
.LBB1651_465:                           ;   in Loop: Header=BB1651_466 Depth=1
	s_and_b64 s[30:31], exec, s[26:27]
	s_or_b64 s[24:25], s[30:31], s[24:25]
	v_mov_b64_e32 v[28:29], s[28:29]
	s_andn2_b64 exec, exec, s[24:25]
	s_cbranch_execz .LBB1651_469
.LBB1651_466:                           ; =>This Inner Loop Header: Depth=1
	s_or_b64 s[26:27], s[26:27], exec
	s_cmp_eq_u64 s[22:23], s[28:29]
	s_cbranch_scc0 .LBB1651_464
; %bb.467:                              ;   in Loop: Header=BB1651_466 Depth=1
                                        ; implicit-def: $vgpr20_vgpr21
                                        ; implicit-def: $vgpr26_vgpr27
	s_mov_b64 s[28:29], s[12:13]
	s_branch .LBB1651_465
.LBB1651_468:
	v_mov_b64_e32 v[20:21], 0
	s_branch .LBB1651_471
.LBB1651_469:
	s_or_b64 exec, exec, s[24:25]
	v_cmp_gt_i64_e32 vcc, s[12:13], v[28:29]
	s_mov_b32 s7, 0
	v_mov_b32_e32 v21, s7
	v_cndmask_b32_e64 v20, 0, 1, vcc
.LBB1651_470:
	s_or_b64 exec, exec, s[20:21]
.LBB1651_471:
	s_or_b64 exec, exec, s[4:5]
	v_add_u32_e32 v26, 8, v1
	v_cmp_gt_u32_e32 vcc, s10, v26
	s_and_saveexec_b64 s[4:5], vcc
	s_cbranch_execz .LBB1651_482
; %bb.472:
	s_and_b64 vcc, exec, s[2:3]
	s_cbranch_vccnz .LBB1651_479
; %bb.473:
	v_mul_lo_u32 v26, v19, s12
	v_mul_lo_u32 v27, v18, s13
	v_mad_u64_u32 v[18:19], s[20:21], v18, s12, 0
	v_add3_u32 v19, v19, v27, v26
	v_mul_lo_u32 v26, v17, s12
	v_mul_lo_u32 v27, v16, s13
	v_mad_u64_u32 v[28:29], s[20:21], v16, s12, 0
	v_add3_u32 v29, v29, v27, v26
	v_lshl_add_u64 v[26:27], v[18:19], 3, s[14:15]
	v_lshl_add_u64 v[28:29], v[28:29], 3, s[14:15]
	global_load_dwordx2 v[18:19], v[26:27], off
	global_load_dwordx2 v[30:31], v[28:29], off
	s_waitcnt vmcnt(0)
	v_cmp_eq_u64_e32 vcc, v[18:19], v[30:31]
	v_mov_b64_e32 v[18:19], 1
	s_and_saveexec_b64 s[20:21], vcc
	s_cbranch_execz .LBB1651_481
; %bb.474:
	s_add_u32 s22, s12, -1
	v_lshl_add_u64 v[18:19], v[28:29], 0, 8
	v_lshl_add_u64 v[26:27], v[26:27], 0, 8
	s_addc_u32 s23, s13, -1
	s_mov_b64 s[24:25], 0
	s_mov_b64 s[28:29], 0
                                        ; implicit-def: $sgpr26_sgpr27
	s_branch .LBB1651_477
.LBB1651_475:                           ;   in Loop: Header=BB1651_477 Depth=1
	global_load_dwordx2 v[28:29], v[26:27], off
	global_load_dwordx2 v[30:31], v[18:19], off
	s_add_u32 s28, s28, 1
	s_addc_u32 s29, s29, 0
	s_andn2_b64 s[26:27], s[26:27], exec
	v_lshl_add_u64 v[18:19], v[18:19], 0, 8
	v_lshl_add_u64 v[26:27], v[26:27], 0, 8
	s_waitcnt vmcnt(0)
	v_cmp_ne_u64_e32 vcc, v[28:29], v[30:31]
	s_and_b64 s[30:31], vcc, exec
	s_or_b64 s[26:27], s[26:27], s[30:31]
.LBB1651_476:                           ;   in Loop: Header=BB1651_477 Depth=1
	s_and_b64 s[30:31], exec, s[26:27]
	s_or_b64 s[24:25], s[30:31], s[24:25]
	v_mov_b64_e32 v[28:29], s[28:29]
	s_andn2_b64 exec, exec, s[24:25]
	s_cbranch_execz .LBB1651_480
.LBB1651_477:                           ; =>This Inner Loop Header: Depth=1
	s_or_b64 s[26:27], s[26:27], exec
	s_cmp_eq_u64 s[22:23], s[28:29]
	s_cbranch_scc0 .LBB1651_475
; %bb.478:                              ;   in Loop: Header=BB1651_477 Depth=1
                                        ; implicit-def: $vgpr18_vgpr19
                                        ; implicit-def: $vgpr26_vgpr27
	s_mov_b64 s[28:29], s[12:13]
	s_branch .LBB1651_476
.LBB1651_479:
	v_mov_b64_e32 v[18:19], 0
	s_branch .LBB1651_482
.LBB1651_480:
	s_or_b64 exec, exec, s[24:25]
	v_cmp_gt_i64_e32 vcc, s[12:13], v[28:29]
	s_mov_b32 s7, 0
	v_mov_b32_e32 v19, s7
	v_cndmask_b32_e64 v18, 0, 1, vcc
.LBB1651_481:
	s_or_b64 exec, exec, s[20:21]
.LBB1651_482:
	s_or_b64 exec, exec, s[4:5]
	v_add_u32_e32 v26, 7, v1
	v_cmp_gt_u32_e32 vcc, s10, v26
	s_and_saveexec_b64 s[4:5], vcc
	s_cbranch_execz .LBB1651_493
; %bb.483:
	s_and_b64 vcc, exec, s[2:3]
	s_cbranch_vccnz .LBB1651_490
; %bb.484:
	v_mul_lo_u32 v26, v17, s12
	v_mul_lo_u32 v27, v16, s13
	v_mad_u64_u32 v[16:17], s[20:21], v16, s12, 0
	v_add3_u32 v17, v17, v27, v26
	v_mul_lo_u32 v26, v15, s12
	v_mul_lo_u32 v27, v14, s13
	v_mad_u64_u32 v[28:29], s[20:21], v14, s12, 0
	v_add3_u32 v29, v29, v27, v26
	v_lshl_add_u64 v[26:27], v[16:17], 3, s[14:15]
	v_lshl_add_u64 v[28:29], v[28:29], 3, s[14:15]
	global_load_dwordx2 v[16:17], v[26:27], off
	global_load_dwordx2 v[30:31], v[28:29], off
	s_waitcnt vmcnt(0)
	v_cmp_eq_u64_e32 vcc, v[16:17], v[30:31]
	v_mov_b64_e32 v[16:17], 1
	s_and_saveexec_b64 s[20:21], vcc
	s_cbranch_execz .LBB1651_492
; %bb.485:
	s_add_u32 s22, s12, -1
	v_lshl_add_u64 v[16:17], v[28:29], 0, 8
	v_lshl_add_u64 v[26:27], v[26:27], 0, 8
	s_addc_u32 s23, s13, -1
	s_mov_b64 s[24:25], 0
	s_mov_b64 s[28:29], 0
                                        ; implicit-def: $sgpr26_sgpr27
	s_branch .LBB1651_488
.LBB1651_486:                           ;   in Loop: Header=BB1651_488 Depth=1
	global_load_dwordx2 v[28:29], v[26:27], off
	global_load_dwordx2 v[30:31], v[16:17], off
	s_add_u32 s28, s28, 1
	s_addc_u32 s29, s29, 0
	s_andn2_b64 s[26:27], s[26:27], exec
	v_lshl_add_u64 v[16:17], v[16:17], 0, 8
	v_lshl_add_u64 v[26:27], v[26:27], 0, 8
	s_waitcnt vmcnt(0)
	v_cmp_ne_u64_e32 vcc, v[28:29], v[30:31]
	s_and_b64 s[30:31], vcc, exec
	s_or_b64 s[26:27], s[26:27], s[30:31]
.LBB1651_487:                           ;   in Loop: Header=BB1651_488 Depth=1
	s_and_b64 s[30:31], exec, s[26:27]
	s_or_b64 s[24:25], s[30:31], s[24:25]
	v_mov_b64_e32 v[28:29], s[28:29]
	s_andn2_b64 exec, exec, s[24:25]
	s_cbranch_execz .LBB1651_491
.LBB1651_488:                           ; =>This Inner Loop Header: Depth=1
	s_or_b64 s[26:27], s[26:27], exec
	s_cmp_eq_u64 s[22:23], s[28:29]
	s_cbranch_scc0 .LBB1651_486
; %bb.489:                              ;   in Loop: Header=BB1651_488 Depth=1
                                        ; implicit-def: $vgpr16_vgpr17
                                        ; implicit-def: $vgpr26_vgpr27
	s_mov_b64 s[28:29], s[12:13]
	s_branch .LBB1651_487
.LBB1651_490:
	v_mov_b64_e32 v[16:17], 0
	s_branch .LBB1651_493
.LBB1651_491:
	s_or_b64 exec, exec, s[24:25]
	v_cmp_gt_i64_e32 vcc, s[12:13], v[28:29]
	s_mov_b32 s7, 0
	v_mov_b32_e32 v17, s7
	v_cndmask_b32_e64 v16, 0, 1, vcc
.LBB1651_492:
	s_or_b64 exec, exec, s[20:21]
.LBB1651_493:
	s_or_b64 exec, exec, s[4:5]
	v_add_u32_e32 v26, 6, v1
	v_cmp_gt_u32_e32 vcc, s10, v26
	s_and_saveexec_b64 s[4:5], vcc
	s_cbranch_execz .LBB1651_504
; %bb.494:
	s_and_b64 vcc, exec, s[2:3]
	s_cbranch_vccnz .LBB1651_501
; %bb.495:
	v_mul_lo_u32 v26, v15, s12
	v_mul_lo_u32 v27, v14, s13
	v_mad_u64_u32 v[14:15], s[20:21], v14, s12, 0
	v_add3_u32 v15, v15, v27, v26
	v_mul_lo_u32 v26, v13, s12
	v_mul_lo_u32 v27, v12, s13
	v_mad_u64_u32 v[28:29], s[20:21], v12, s12, 0
	v_add3_u32 v29, v29, v27, v26
	v_lshl_add_u64 v[26:27], v[14:15], 3, s[14:15]
	v_lshl_add_u64 v[28:29], v[28:29], 3, s[14:15]
	global_load_dwordx2 v[14:15], v[26:27], off
	global_load_dwordx2 v[30:31], v[28:29], off
	s_waitcnt vmcnt(0)
	v_cmp_eq_u64_e32 vcc, v[14:15], v[30:31]
	v_mov_b64_e32 v[14:15], 1
	s_and_saveexec_b64 s[20:21], vcc
	s_cbranch_execz .LBB1651_503
; %bb.496:
	s_add_u32 s22, s12, -1
	v_lshl_add_u64 v[14:15], v[28:29], 0, 8
	v_lshl_add_u64 v[26:27], v[26:27], 0, 8
	s_addc_u32 s23, s13, -1
	s_mov_b64 s[24:25], 0
	s_mov_b64 s[28:29], 0
                                        ; implicit-def: $sgpr26_sgpr27
	s_branch .LBB1651_499
.LBB1651_497:                           ;   in Loop: Header=BB1651_499 Depth=1
	global_load_dwordx2 v[28:29], v[26:27], off
	global_load_dwordx2 v[30:31], v[14:15], off
	s_add_u32 s28, s28, 1
	s_addc_u32 s29, s29, 0
	s_andn2_b64 s[26:27], s[26:27], exec
	v_lshl_add_u64 v[14:15], v[14:15], 0, 8
	v_lshl_add_u64 v[26:27], v[26:27], 0, 8
	s_waitcnt vmcnt(0)
	v_cmp_ne_u64_e32 vcc, v[28:29], v[30:31]
	s_and_b64 s[30:31], vcc, exec
	s_or_b64 s[26:27], s[26:27], s[30:31]
.LBB1651_498:                           ;   in Loop: Header=BB1651_499 Depth=1
	s_and_b64 s[30:31], exec, s[26:27]
	s_or_b64 s[24:25], s[30:31], s[24:25]
	v_mov_b64_e32 v[28:29], s[28:29]
	s_andn2_b64 exec, exec, s[24:25]
	s_cbranch_execz .LBB1651_502
.LBB1651_499:                           ; =>This Inner Loop Header: Depth=1
	s_or_b64 s[26:27], s[26:27], exec
	s_cmp_eq_u64 s[22:23], s[28:29]
	s_cbranch_scc0 .LBB1651_497
; %bb.500:                              ;   in Loop: Header=BB1651_499 Depth=1
                                        ; implicit-def: $vgpr14_vgpr15
                                        ; implicit-def: $vgpr26_vgpr27
	s_mov_b64 s[28:29], s[12:13]
	s_branch .LBB1651_498
.LBB1651_501:
	v_mov_b64_e32 v[14:15], 0
	s_branch .LBB1651_504
.LBB1651_502:
	s_or_b64 exec, exec, s[24:25]
	v_cmp_gt_i64_e32 vcc, s[12:13], v[28:29]
	s_mov_b32 s7, 0
	v_mov_b32_e32 v15, s7
	v_cndmask_b32_e64 v14, 0, 1, vcc
.LBB1651_503:
	s_or_b64 exec, exec, s[20:21]
.LBB1651_504:
	s_or_b64 exec, exec, s[4:5]
	v_add_u32_e32 v26, 5, v1
	v_cmp_gt_u32_e32 vcc, s10, v26
	s_and_saveexec_b64 s[4:5], vcc
	s_cbranch_execz .LBB1651_515
; %bb.505:
	s_and_b64 vcc, exec, s[2:3]
	s_cbranch_vccnz .LBB1651_512
; %bb.506:
	v_mul_lo_u32 v26, v13, s12
	v_mul_lo_u32 v27, v12, s13
	v_mad_u64_u32 v[12:13], s[20:21], v12, s12, 0
	v_add3_u32 v13, v13, v27, v26
	v_mul_lo_u32 v26, v11, s12
	v_mul_lo_u32 v27, v10, s13
	v_mad_u64_u32 v[28:29], s[20:21], v10, s12, 0
	v_add3_u32 v29, v29, v27, v26
	v_lshl_add_u64 v[26:27], v[12:13], 3, s[14:15]
	v_lshl_add_u64 v[28:29], v[28:29], 3, s[14:15]
	global_load_dwordx2 v[12:13], v[26:27], off
	global_load_dwordx2 v[30:31], v[28:29], off
	s_waitcnt vmcnt(0)
	v_cmp_eq_u64_e32 vcc, v[12:13], v[30:31]
	v_mov_b64_e32 v[12:13], 1
	s_and_saveexec_b64 s[20:21], vcc
	s_cbranch_execz .LBB1651_514
; %bb.507:
	s_add_u32 s22, s12, -1
	v_lshl_add_u64 v[12:13], v[28:29], 0, 8
	v_lshl_add_u64 v[26:27], v[26:27], 0, 8
	s_addc_u32 s23, s13, -1
	s_mov_b64 s[24:25], 0
	s_mov_b64 s[28:29], 0
                                        ; implicit-def: $sgpr26_sgpr27
	s_branch .LBB1651_510
.LBB1651_508:                           ;   in Loop: Header=BB1651_510 Depth=1
	global_load_dwordx2 v[28:29], v[26:27], off
	global_load_dwordx2 v[30:31], v[12:13], off
	s_add_u32 s28, s28, 1
	s_addc_u32 s29, s29, 0
	s_andn2_b64 s[26:27], s[26:27], exec
	v_lshl_add_u64 v[12:13], v[12:13], 0, 8
	v_lshl_add_u64 v[26:27], v[26:27], 0, 8
	s_waitcnt vmcnt(0)
	v_cmp_ne_u64_e32 vcc, v[28:29], v[30:31]
	s_and_b64 s[30:31], vcc, exec
	s_or_b64 s[26:27], s[26:27], s[30:31]
.LBB1651_509:                           ;   in Loop: Header=BB1651_510 Depth=1
	s_and_b64 s[30:31], exec, s[26:27]
	s_or_b64 s[24:25], s[30:31], s[24:25]
	v_mov_b64_e32 v[28:29], s[28:29]
	s_andn2_b64 exec, exec, s[24:25]
	s_cbranch_execz .LBB1651_513
.LBB1651_510:                           ; =>This Inner Loop Header: Depth=1
	s_or_b64 s[26:27], s[26:27], exec
	s_cmp_eq_u64 s[22:23], s[28:29]
	s_cbranch_scc0 .LBB1651_508
; %bb.511:                              ;   in Loop: Header=BB1651_510 Depth=1
                                        ; implicit-def: $vgpr12_vgpr13
                                        ; implicit-def: $vgpr26_vgpr27
	s_mov_b64 s[28:29], s[12:13]
	s_branch .LBB1651_509
.LBB1651_512:
	v_mov_b64_e32 v[12:13], 0
	s_branch .LBB1651_515
.LBB1651_513:
	s_or_b64 exec, exec, s[24:25]
	v_cmp_gt_i64_e32 vcc, s[12:13], v[28:29]
	s_mov_b32 s7, 0
	v_mov_b32_e32 v13, s7
	v_cndmask_b32_e64 v12, 0, 1, vcc
.LBB1651_514:
	s_or_b64 exec, exec, s[20:21]
.LBB1651_515:
	s_or_b64 exec, exec, s[4:5]
	v_add_u32_e32 v26, 4, v1
	v_cmp_gt_u32_e32 vcc, s10, v26
	s_and_saveexec_b64 s[4:5], vcc
	s_cbranch_execz .LBB1651_526
; %bb.516:
	s_and_b64 vcc, exec, s[2:3]
	s_cbranch_vccnz .LBB1651_523
; %bb.517:
	v_mul_lo_u32 v26, v11, s12
	v_mul_lo_u32 v27, v10, s13
	v_mad_u64_u32 v[10:11], s[20:21], v10, s12, 0
	v_add3_u32 v11, v11, v27, v26
	v_mul_lo_u32 v26, v9, s12
	v_mul_lo_u32 v27, v8, s13
	v_mad_u64_u32 v[28:29], s[20:21], v8, s12, 0
	v_add3_u32 v29, v29, v27, v26
	v_lshl_add_u64 v[26:27], v[10:11], 3, s[14:15]
	v_lshl_add_u64 v[28:29], v[28:29], 3, s[14:15]
	global_load_dwordx2 v[10:11], v[26:27], off
	global_load_dwordx2 v[30:31], v[28:29], off
	s_waitcnt vmcnt(0)
	v_cmp_eq_u64_e32 vcc, v[10:11], v[30:31]
	v_mov_b64_e32 v[10:11], 1
	s_and_saveexec_b64 s[20:21], vcc
	s_cbranch_execz .LBB1651_525
; %bb.518:
	s_add_u32 s22, s12, -1
	v_lshl_add_u64 v[10:11], v[28:29], 0, 8
	v_lshl_add_u64 v[26:27], v[26:27], 0, 8
	s_addc_u32 s23, s13, -1
	s_mov_b64 s[24:25], 0
	s_mov_b64 s[28:29], 0
                                        ; implicit-def: $sgpr26_sgpr27
	s_branch .LBB1651_521
.LBB1651_519:                           ;   in Loop: Header=BB1651_521 Depth=1
	global_load_dwordx2 v[28:29], v[26:27], off
	global_load_dwordx2 v[30:31], v[10:11], off
	s_add_u32 s28, s28, 1
	s_addc_u32 s29, s29, 0
	s_andn2_b64 s[26:27], s[26:27], exec
	v_lshl_add_u64 v[10:11], v[10:11], 0, 8
	v_lshl_add_u64 v[26:27], v[26:27], 0, 8
	s_waitcnt vmcnt(0)
	v_cmp_ne_u64_e32 vcc, v[28:29], v[30:31]
	s_and_b64 s[30:31], vcc, exec
	s_or_b64 s[26:27], s[26:27], s[30:31]
.LBB1651_520:                           ;   in Loop: Header=BB1651_521 Depth=1
	s_and_b64 s[30:31], exec, s[26:27]
	s_or_b64 s[24:25], s[30:31], s[24:25]
	v_mov_b64_e32 v[28:29], s[28:29]
	s_andn2_b64 exec, exec, s[24:25]
	s_cbranch_execz .LBB1651_524
.LBB1651_521:                           ; =>This Inner Loop Header: Depth=1
	s_or_b64 s[26:27], s[26:27], exec
	s_cmp_eq_u64 s[22:23], s[28:29]
	s_cbranch_scc0 .LBB1651_519
; %bb.522:                              ;   in Loop: Header=BB1651_521 Depth=1
                                        ; implicit-def: $vgpr10_vgpr11
                                        ; implicit-def: $vgpr26_vgpr27
	s_mov_b64 s[28:29], s[12:13]
	s_branch .LBB1651_520
.LBB1651_523:
	v_mov_b64_e32 v[10:11], 0
	s_branch .LBB1651_526
.LBB1651_524:
	s_or_b64 exec, exec, s[24:25]
	v_cmp_gt_i64_e32 vcc, s[12:13], v[28:29]
	s_mov_b32 s7, 0
	v_mov_b32_e32 v11, s7
	v_cndmask_b32_e64 v10, 0, 1, vcc
.LBB1651_525:
	s_or_b64 exec, exec, s[20:21]
.LBB1651_526:
	s_or_b64 exec, exec, s[4:5]
	v_add_u32_e32 v26, 3, v1
	v_cmp_gt_u32_e32 vcc, s10, v26
	s_and_saveexec_b64 s[4:5], vcc
	s_cbranch_execz .LBB1651_537
; %bb.527:
	s_and_b64 vcc, exec, s[2:3]
	s_cbranch_vccnz .LBB1651_534
; %bb.528:
	v_mul_lo_u32 v26, v9, s12
	v_mul_lo_u32 v27, v8, s13
	v_mad_u64_u32 v[8:9], s[20:21], v8, s12, 0
	v_add3_u32 v9, v9, v27, v26
	v_mul_lo_u32 v26, v7, s12
	v_mul_lo_u32 v27, v6, s13
	v_mad_u64_u32 v[28:29], s[20:21], v6, s12, 0
	v_add3_u32 v29, v29, v27, v26
	v_lshl_add_u64 v[26:27], v[8:9], 3, s[14:15]
	v_lshl_add_u64 v[28:29], v[28:29], 3, s[14:15]
	global_load_dwordx2 v[8:9], v[26:27], off
	global_load_dwordx2 v[30:31], v[28:29], off
	s_waitcnt vmcnt(0)
	v_cmp_eq_u64_e32 vcc, v[8:9], v[30:31]
	v_mov_b64_e32 v[8:9], 1
	s_and_saveexec_b64 s[20:21], vcc
	s_cbranch_execz .LBB1651_536
; %bb.529:
	s_add_u32 s22, s12, -1
	v_lshl_add_u64 v[8:9], v[28:29], 0, 8
	v_lshl_add_u64 v[26:27], v[26:27], 0, 8
	s_addc_u32 s23, s13, -1
	s_mov_b64 s[24:25], 0
	s_mov_b64 s[28:29], 0
                                        ; implicit-def: $sgpr26_sgpr27
	s_branch .LBB1651_532
.LBB1651_530:                           ;   in Loop: Header=BB1651_532 Depth=1
	global_load_dwordx2 v[28:29], v[26:27], off
	global_load_dwordx2 v[30:31], v[8:9], off
	s_add_u32 s28, s28, 1
	s_addc_u32 s29, s29, 0
	s_andn2_b64 s[26:27], s[26:27], exec
	v_lshl_add_u64 v[8:9], v[8:9], 0, 8
	v_lshl_add_u64 v[26:27], v[26:27], 0, 8
	s_waitcnt vmcnt(0)
	v_cmp_ne_u64_e32 vcc, v[28:29], v[30:31]
	s_and_b64 s[30:31], vcc, exec
	s_or_b64 s[26:27], s[26:27], s[30:31]
.LBB1651_531:                           ;   in Loop: Header=BB1651_532 Depth=1
	s_and_b64 s[30:31], exec, s[26:27]
	s_or_b64 s[24:25], s[30:31], s[24:25]
	v_mov_b64_e32 v[28:29], s[28:29]
	s_andn2_b64 exec, exec, s[24:25]
	s_cbranch_execz .LBB1651_535
.LBB1651_532:                           ; =>This Inner Loop Header: Depth=1
	s_or_b64 s[26:27], s[26:27], exec
	s_cmp_eq_u64 s[22:23], s[28:29]
	s_cbranch_scc0 .LBB1651_530
; %bb.533:                              ;   in Loop: Header=BB1651_532 Depth=1
                                        ; implicit-def: $vgpr8_vgpr9
                                        ; implicit-def: $vgpr26_vgpr27
	s_mov_b64 s[28:29], s[12:13]
	s_branch .LBB1651_531
.LBB1651_534:
	v_mov_b64_e32 v[8:9], 0
	s_branch .LBB1651_537
.LBB1651_535:
	s_or_b64 exec, exec, s[24:25]
	v_cmp_gt_i64_e32 vcc, s[12:13], v[28:29]
	s_mov_b32 s7, 0
	v_mov_b32_e32 v9, s7
	v_cndmask_b32_e64 v8, 0, 1, vcc
.LBB1651_536:
	s_or_b64 exec, exec, s[20:21]
.LBB1651_537:
	s_or_b64 exec, exec, s[4:5]
	v_add_u32_e32 v26, 2, v1
	v_cmp_gt_u32_e32 vcc, s10, v26
	s_and_saveexec_b64 s[4:5], vcc
	s_cbranch_execz .LBB1651_548
; %bb.538:
	s_and_b64 vcc, exec, s[2:3]
	s_cbranch_vccnz .LBB1651_545
; %bb.539:
	v_mul_lo_u32 v26, v7, s12
	v_mul_lo_u32 v27, v6, s13
	v_mad_u64_u32 v[6:7], s[20:21], v6, s12, 0
	v_add3_u32 v7, v7, v27, v26
	v_mul_lo_u32 v26, v5, s12
	v_mul_lo_u32 v27, v4, s13
	v_mad_u64_u32 v[28:29], s[20:21], v4, s12, 0
	v_add3_u32 v29, v29, v27, v26
	v_lshl_add_u64 v[26:27], v[6:7], 3, s[14:15]
	v_lshl_add_u64 v[28:29], v[28:29], 3, s[14:15]
	global_load_dwordx2 v[6:7], v[26:27], off
	global_load_dwordx2 v[30:31], v[28:29], off
	s_waitcnt vmcnt(0)
	v_cmp_eq_u64_e32 vcc, v[6:7], v[30:31]
	v_mov_b64_e32 v[6:7], 1
	s_and_saveexec_b64 s[20:21], vcc
	s_cbranch_execz .LBB1651_547
; %bb.540:
	s_add_u32 s22, s12, -1
	v_lshl_add_u64 v[6:7], v[28:29], 0, 8
	v_lshl_add_u64 v[26:27], v[26:27], 0, 8
	s_addc_u32 s23, s13, -1
	s_mov_b64 s[24:25], 0
	s_mov_b64 s[28:29], 0
                                        ; implicit-def: $sgpr26_sgpr27
	s_branch .LBB1651_543
.LBB1651_541:                           ;   in Loop: Header=BB1651_543 Depth=1
	global_load_dwordx2 v[28:29], v[26:27], off
	global_load_dwordx2 v[30:31], v[6:7], off
	s_add_u32 s28, s28, 1
	s_addc_u32 s29, s29, 0
	s_andn2_b64 s[26:27], s[26:27], exec
	v_lshl_add_u64 v[6:7], v[6:7], 0, 8
	v_lshl_add_u64 v[26:27], v[26:27], 0, 8
	s_waitcnt vmcnt(0)
	v_cmp_ne_u64_e32 vcc, v[28:29], v[30:31]
	s_and_b64 s[30:31], vcc, exec
	s_or_b64 s[26:27], s[26:27], s[30:31]
.LBB1651_542:                           ;   in Loop: Header=BB1651_543 Depth=1
	s_and_b64 s[30:31], exec, s[26:27]
	s_or_b64 s[24:25], s[30:31], s[24:25]
	v_mov_b64_e32 v[28:29], s[28:29]
	s_andn2_b64 exec, exec, s[24:25]
	s_cbranch_execz .LBB1651_546
.LBB1651_543:                           ; =>This Inner Loop Header: Depth=1
	s_or_b64 s[26:27], s[26:27], exec
	s_cmp_eq_u64 s[22:23], s[28:29]
	s_cbranch_scc0 .LBB1651_541
; %bb.544:                              ;   in Loop: Header=BB1651_543 Depth=1
                                        ; implicit-def: $vgpr6_vgpr7
                                        ; implicit-def: $vgpr26_vgpr27
	s_mov_b64 s[28:29], s[12:13]
	s_branch .LBB1651_542
.LBB1651_545:
	v_mov_b64_e32 v[6:7], 0
	s_branch .LBB1651_548
.LBB1651_546:
	s_or_b64 exec, exec, s[24:25]
	v_cmp_gt_i64_e32 vcc, s[12:13], v[28:29]
	s_mov_b32 s7, 0
	v_mov_b32_e32 v7, s7
	v_cndmask_b32_e64 v6, 0, 1, vcc
.LBB1651_547:
	s_or_b64 exec, exec, s[20:21]
.LBB1651_548:
	s_or_b64 exec, exec, s[4:5]
	v_add_u32_e32 v26, 1, v1
	v_cmp_gt_u32_e32 vcc, s10, v26
	s_and_saveexec_b64 s[4:5], vcc
	s_cbranch_execz .LBB1651_559
; %bb.549:
	s_and_b64 vcc, exec, s[2:3]
	s_cbranch_vccnz .LBB1651_556
; %bb.550:
	v_mul_lo_u32 v26, v5, s12
	v_mul_lo_u32 v27, v4, s13
	v_mad_u64_u32 v[4:5], s[20:21], v4, s12, 0
	v_add3_u32 v5, v5, v27, v26
	v_mul_lo_u32 v26, v3, s12
	v_mul_lo_u32 v27, v2, s13
	v_mad_u64_u32 v[28:29], s[20:21], v2, s12, 0
	v_add3_u32 v29, v29, v27, v26
	v_lshl_add_u64 v[26:27], v[4:5], 3, s[14:15]
	v_lshl_add_u64 v[28:29], v[28:29], 3, s[14:15]
	global_load_dwordx2 v[4:5], v[26:27], off
	global_load_dwordx2 v[30:31], v[28:29], off
	s_waitcnt vmcnt(0)
	v_cmp_eq_u64_e32 vcc, v[4:5], v[30:31]
	v_mov_b64_e32 v[4:5], 1
	s_and_saveexec_b64 s[20:21], vcc
	s_cbranch_execz .LBB1651_558
; %bb.551:
	s_add_u32 s22, s12, -1
	v_lshl_add_u64 v[4:5], v[28:29], 0, 8
	v_lshl_add_u64 v[26:27], v[26:27], 0, 8
	s_addc_u32 s23, s13, -1
	s_mov_b64 s[24:25], 0
	s_mov_b64 s[28:29], 0
                                        ; implicit-def: $sgpr26_sgpr27
	s_branch .LBB1651_554
.LBB1651_552:                           ;   in Loop: Header=BB1651_554 Depth=1
	global_load_dwordx2 v[28:29], v[26:27], off
	global_load_dwordx2 v[30:31], v[4:5], off
	s_add_u32 s28, s28, 1
	s_addc_u32 s29, s29, 0
	s_andn2_b64 s[26:27], s[26:27], exec
	v_lshl_add_u64 v[4:5], v[4:5], 0, 8
	v_lshl_add_u64 v[26:27], v[26:27], 0, 8
	s_waitcnt vmcnt(0)
	v_cmp_ne_u64_e32 vcc, v[28:29], v[30:31]
	s_and_b64 s[30:31], vcc, exec
	s_or_b64 s[26:27], s[26:27], s[30:31]
.LBB1651_553:                           ;   in Loop: Header=BB1651_554 Depth=1
	s_and_b64 s[30:31], exec, s[26:27]
	s_or_b64 s[24:25], s[30:31], s[24:25]
	v_mov_b64_e32 v[28:29], s[28:29]
	s_andn2_b64 exec, exec, s[24:25]
	s_cbranch_execz .LBB1651_557
.LBB1651_554:                           ; =>This Inner Loop Header: Depth=1
	s_or_b64 s[26:27], s[26:27], exec
	s_cmp_eq_u64 s[22:23], s[28:29]
	s_cbranch_scc0 .LBB1651_552
; %bb.555:                              ;   in Loop: Header=BB1651_554 Depth=1
                                        ; implicit-def: $vgpr4_vgpr5
                                        ; implicit-def: $vgpr26_vgpr27
	s_mov_b64 s[28:29], s[12:13]
	s_branch .LBB1651_553
.LBB1651_556:
	v_mov_b64_e32 v[4:5], 0
	s_branch .LBB1651_559
.LBB1651_557:
	s_or_b64 exec, exec, s[24:25]
	v_cmp_gt_i64_e32 vcc, s[12:13], v[28:29]
	s_mov_b32 s7, 0
	v_mov_b32_e32 v5, s7
	v_cndmask_b32_e64 v4, 0, 1, vcc
.LBB1651_558:
	s_or_b64 exec, exec, s[20:21]
.LBB1651_559:
	s_or_b64 exec, exec, s[4:5]
	v_cmp_ne_u32_e32 vcc, 0, v0
	v_cmp_gt_u32_e64 s[4:5], s10, v1
	s_and_b64 s[20:21], vcc, s[4:5]
	s_waitcnt lgkmcnt(0)
	; wave barrier
	s_waitcnt lgkmcnt(0)
                                        ; implicit-def: $sgpr24_sgpr25
	s_and_saveexec_b64 s[4:5], s[20:21]
	s_cbranch_execz .LBB1651_571
; %bb.560:
	s_and_b64 vcc, exec, s[2:3]
	s_cbranch_vccnz .LBB1651_567
; %bb.561:
	v_mul_lo_u32 v1, v3, s12
	v_add_u32_e32 v3, -8, v48
	ds_read_b64 v[26:27], v3
	v_mul_lo_u32 v28, v2, s13
	v_mad_u64_u32 v[2:3], s[2:3], v2, s12, 0
	v_add3_u32 v3, v3, v28, v1
	s_waitcnt lgkmcnt(0)
	v_mul_lo_u32 v1, v27, s12
	v_mul_lo_u32 v27, v26, s13
	v_mad_u64_u32 v[28:29], s[2:3], v26, s12, 0
	v_add3_u32 v29, v29, v27, v1
	v_lshl_add_u64 v[26:27], v[2:3], 3, s[14:15]
	v_lshl_add_u64 v[2:3], v[28:29], 3, s[14:15]
	global_load_dwordx2 v[28:29], v[26:27], off
	global_load_dwordx2 v[30:31], v[2:3], off
	s_mov_b64 s[14:15], -1
	s_waitcnt vmcnt(0)
	v_cmp_eq_u64_e32 vcc, v[28:29], v[30:31]
	s_and_saveexec_b64 s[2:3], vcc
	s_cbranch_execz .LBB1651_569
; %bb.562:
	s_add_u32 s14, s12, -1
	v_lshl_add_u64 v[2:3], v[2:3], 0, 8
	v_lshl_add_u64 v[26:27], v[26:27], 0, 8
	s_addc_u32 s15, s13, -1
	s_mov_b64 s[20:21], 0
	s_mov_b64 s[24:25], 0
                                        ; implicit-def: $sgpr22_sgpr23
	s_branch .LBB1651_565
.LBB1651_563:                           ;   in Loop: Header=BB1651_565 Depth=1
	global_load_dwordx2 v[28:29], v[26:27], off
	global_load_dwordx2 v[30:31], v[2:3], off
	s_add_u32 s24, s24, 1
	s_addc_u32 s25, s25, 0
	s_andn2_b64 s[22:23], s[22:23], exec
	v_lshl_add_u64 v[2:3], v[2:3], 0, 8
	v_lshl_add_u64 v[26:27], v[26:27], 0, 8
	s_waitcnt vmcnt(0)
	v_cmp_ne_u64_e32 vcc, v[28:29], v[30:31]
	s_and_b64 s[26:27], vcc, exec
	s_or_b64 s[22:23], s[22:23], s[26:27]
.LBB1651_564:                           ;   in Loop: Header=BB1651_565 Depth=1
	s_and_b64 s[26:27], exec, s[22:23]
	s_or_b64 s[20:21], s[26:27], s[20:21]
	v_mov_b64_e32 v[28:29], s[24:25]
	s_andn2_b64 exec, exec, s[20:21]
	s_cbranch_execz .LBB1651_568
.LBB1651_565:                           ; =>This Inner Loop Header: Depth=1
	s_or_b64 s[22:23], s[22:23], exec
	s_cmp_eq_u64 s[14:15], s[24:25]
	s_cbranch_scc0 .LBB1651_563
; %bb.566:                              ;   in Loop: Header=BB1651_565 Depth=1
                                        ; implicit-def: $vgpr2_vgpr3
                                        ; implicit-def: $vgpr26_vgpr27
	s_mov_b64 s[24:25], s[12:13]
	s_branch .LBB1651_564
.LBB1651_567:
	s_mov_b64 s[14:15], 0
	s_branch .LBB1651_570
.LBB1651_568:
	s_or_b64 exec, exec, s[20:21]
	v_cmp_gt_i64_e32 vcc, s[12:13], v[28:29]
	s_orn2_b64 s[14:15], vcc, exec
.LBB1651_569:
	s_or_b64 exec, exec, s[2:3]
.LBB1651_570:
	s_and_b64 s[24:25], s[14:15], exec
	s_or_b64 s[18:19], s[18:19], exec
.LBB1651_571:
	s_or_b64 exec, exec, s[4:5]
	v_mov_b64_e32 v[50:51], v[44:45]
	v_mov_b64_e32 v[52:53], v[24:25]
	;; [unrolled: 1-line block ×23, first 2 shown]
.LBB1651_572:
	s_and_saveexec_b64 s[2:3], s[18:19]
	s_cbranch_execz .LBB1651_574
; %bb.573:
	s_mov_b32 s4, 0
	v_cndmask_b32_e64 v2, 0, 1, s[24:25]
	v_mov_b32_e32 v3, s4
	v_mov_b64_e32 v[30:31], v[54:55]
	v_mov_b64_e32 v[80:81], v[56:57]
	;; [unrolled: 1-line block ×9, first 2 shown]
	s_waitcnt lgkmcnt(0)
	v_mov_b64_e32 v[26:27], v[46:47]
	v_mov_b64_e32 v[72:73], v[52:53]
.LBB1651_574:
	s_or_b64 exec, exec, s[2:3]
	s_add_u32 s4, s8, s16
	s_addc_u32 s5, s9, s17
	s_and_b64 vcc, exec, s[0:1]
	s_waitcnt lgkmcnt(0)
	; wave barrier
	s_waitcnt lgkmcnt(0)
	s_cbranch_vccz .LBB1651_600
; %bb.575:
	s_movk_i32 s2, 0x68
	v_mul_u32_u24_e32 v1, 0x68, v0
	v_mov_b32_e32 v4, v82
	v_mov_b32_e32 v5, v83
	v_mul_i32_i24_e32 v28, 0xffffffa0, v0
	ds_write2_b64 v1, v[2:3], v[4:5] offset1:1
	ds_write2_b64 v1, v[74:75], v[42:43] offset0:2 offset1:3
	ds_write2_b64 v1, v[76:77], v[38:39] offset0:4 offset1:5
	;; [unrolled: 1-line block ×5, first 2 shown]
	ds_write_b64 v1, v[50:51] offset:96
	v_mad_u32_u24 v4, v0, s2, v28
	s_waitcnt lgkmcnt(0)
	; wave barrier
	s_waitcnt lgkmcnt(0)
	ds_read2st64_b64 v[44:47], v4 offset0:1 offset1:2
	ds_read2st64_b64 v[20:23], v4 offset0:3 offset1:4
	;; [unrolled: 1-line block ×6, first 2 shown]
	s_mov_b32 s7, 0
	s_add_i32 s11, s11, s10
	s_lshl_b64 s[0:1], s[6:7], 3
	s_add_u32 s0, s4, s0
	s_addc_u32 s1, s5, s1
	v_mov_b32_e32 v49, 0
	v_lshl_add_u64 v[24:25], s[0:1], 0, v[48:49]
	v_cmp_gt_u32_e32 vcc, s11, v0
	s_and_saveexec_b64 s[0:1], vcc
	s_cbranch_execz .LBB1651_577
; %bb.576:
	v_add_u32_e32 v1, v1, v28
	ds_read_b64 v[28:29], v1
	s_waitcnt lgkmcnt(0)
	global_store_dwordx2 v[24:25], v[28:29], off
.LBB1651_577:
	s_or_b64 exec, exec, s[0:1]
	v_or_b32_e32 v1, 64, v0
	v_cmp_gt_u32_e32 vcc, s11, v1
	s_and_saveexec_b64 s[0:1], vcc
	s_cbranch_execz .LBB1651_579
; %bb.578:
	s_waitcnt lgkmcnt(5)
	global_store_dwordx2 v[24:25], v[44:45], off offset:512
.LBB1651_579:
	s_or_b64 exec, exec, s[0:1]
	v_or_b32_e32 v1, 0x80, v0
	v_cmp_gt_u32_e32 vcc, s11, v1
	s_and_saveexec_b64 s[0:1], vcc
	s_cbranch_execz .LBB1651_581
; %bb.580:
	s_waitcnt lgkmcnt(5)
	global_store_dwordx2 v[24:25], v[46:47], off offset:1024
.LBB1651_581:
	;; [unrolled: 9-line block ×7, first 2 shown]
	s_or_b64 exec, exec, s[0:1]
	v_or_b32_e32 v1, 0x200, v0
	v_cmp_gt_u32_e32 vcc, s11, v1
	s_and_saveexec_b64 s[0:1], vcc
	s_cbranch_execz .LBB1651_593
; %bb.592:
	s_waitcnt lgkmcnt(2)
	v_add_co_u32_e32 v12, vcc, 0x1000, v24
	s_nop 1
	v_addc_co_u32_e32 v13, vcc, 0, v25, vcc
	global_store_dwordx2 v[12:13], v[14:15], off
.LBB1651_593:
	s_or_b64 exec, exec, s[0:1]
	v_or_b32_e32 v1, 0x240, v0
	v_cmp_gt_u32_e32 vcc, s11, v1
	s_and_saveexec_b64 s[0:1], vcc
	s_cbranch_execz .LBB1651_595
; %bb.594:
	s_waitcnt lgkmcnt(2)
	v_add_co_u32_e32 v12, vcc, 0x1000, v24
	s_nop 1
	v_addc_co_u32_e32 v13, vcc, 0, v25, vcc
	s_waitcnt lgkmcnt(1)
	global_store_dwordx2 v[12:13], v[8:9], off offset:512
.LBB1651_595:
	s_or_b64 exec, exec, s[0:1]
	v_or_b32_e32 v1, 0x280, v0
	v_cmp_gt_u32_e32 vcc, s11, v1
	s_and_saveexec_b64 s[0:1], vcc
	s_cbranch_execz .LBB1651_597
; %bb.596:
	s_waitcnt lgkmcnt(1)
	v_add_co_u32_e32 v8, vcc, 0x1000, v24
	s_nop 1
	v_addc_co_u32_e32 v9, vcc, 0, v25, vcc
	global_store_dwordx2 v[8:9], v[10:11], off offset:1024
.LBB1651_597:
	s_or_b64 exec, exec, s[0:1]
	v_or_b32_e32 v1, 0x2c0, v0
	v_cmp_gt_u32_e32 vcc, s11, v1
	s_and_saveexec_b64 s[0:1], vcc
	s_cbranch_execz .LBB1651_599
; %bb.598:
	s_waitcnt lgkmcnt(1)
	v_add_co_u32_e32 v8, vcc, 0x1000, v24
	s_nop 1
	v_addc_co_u32_e32 v9, vcc, 0, v25, vcc
	s_waitcnt lgkmcnt(0)
	global_store_dwordx2 v[8:9], v[4:5], off offset:1536
.LBB1651_599:
	s_or_b64 exec, exec, s[0:1]
	v_or_b32_e32 v1, 0x300, v0
	v_cmp_gt_u32_e64 s[0:1], s11, v1
	s_branch .LBB1651_602
.LBB1651_600:
	s_mov_b64 s[0:1], 0
                                        ; implicit-def: $vgpr6_vgpr7
                                        ; implicit-def: $vgpr24_vgpr25
	s_cbranch_execz .LBB1651_602
; %bb.601:
	s_mov_b32 s7, 0
	s_lshl_b64 s[2:3], s[6:7], 3
	v_mul_u32_u24_e32 v1, 0x68, v0
	s_add_u32 s2, s4, s2
	s_movk_i32 s4, 0x68
	ds_write2_b64 v1, v[2:3], v[82:83] offset1:1
	ds_write2_b64 v1, v[74:75], v[42:43] offset0:2 offset1:3
	ds_write2_b64 v1, v[76:77], v[38:39] offset0:4 offset1:5
	;; [unrolled: 1-line block ×5, first 2 shown]
	ds_write_b64 v1, v[50:51] offset:96
	v_mul_i32_i24_e32 v1, 0xffffffa0, v0
	s_waitcnt lgkmcnt(7)
	v_mad_u32_u24 v4, v0, s4, v1
	s_addc_u32 s3, s5, s3
	s_waitcnt lgkmcnt(0)
	; wave barrier
	s_waitcnt lgkmcnt(0)
	ds_read2st64_b64 v[0:3], v4 offset1:1
	ds_read2st64_b64 v[8:11], v4 offset0:2 offset1:3
	ds_read2st64_b64 v[12:15], v4 offset0:4 offset1:5
	;; [unrolled: 1-line block ×5, first 2 shown]
	ds_read_b64 v[6:7], v4 offset:6144
	v_mov_b32_e32 v49, 0
	v_lshl_add_u64 v[24:25], s[2:3], 0, v[48:49]
	s_waitcnt lgkmcnt(6)
	global_store_dwordx2 v48, v[0:1], s[2:3]
	global_store_dwordx2 v48, v[2:3], s[2:3] offset:512
	s_waitcnt lgkmcnt(5)
	global_store_dwordx2 v48, v[8:9], s[2:3] offset:1024
	global_store_dwordx2 v48, v[10:11], s[2:3] offset:1536
	s_waitcnt lgkmcnt(4)
	global_store_dwordx2 v48, v[12:13], s[2:3] offset:2048
	;; [unrolled: 3-line block ×3, first 2 shown]
	global_store_dwordx2 v48, v[18:19], s[2:3] offset:3584
	v_add_co_u32_e32 v0, vcc, 0x1000, v24
	s_or_b64 s[0:1], s[0:1], exec
	s_nop 0
	v_addc_co_u32_e32 v1, vcc, 0, v25, vcc
	s_waitcnt lgkmcnt(2)
	global_store_dwordx2 v[0:1], v[20:21], off
	global_store_dwordx2 v[0:1], v[22:23], off offset:512
	s_waitcnt lgkmcnt(1)
	global_store_dwordx2 v[0:1], v[26:27], off offset:1024
	global_store_dwordx2 v[0:1], v[28:29], off offset:1536
.LBB1651_602:
	s_and_saveexec_b64 s[2:3], s[0:1]
	s_cbranch_execnz .LBB1651_604
; %bb.603:
	s_endpgm
.LBB1651_604:
	v_add_co_u32_e32 v0, vcc, 0x1000, v24
	s_nop 1
	v_addc_co_u32_e32 v1, vcc, 0, v25, vcc
	s_waitcnt lgkmcnt(0)
	global_store_dwordx2 v[0:1], v[6:7], off offset:2048
	s_endpgm
	.section	.rodata,"a",@progbits
	.p2align	6, 0x0
	.amdhsa_kernel _ZN7rocprim17ROCPRIM_400000_NS6detail17trampoline_kernelINS0_14default_configENS1_35adjacent_difference_config_selectorILb0ElEEZNS1_24adjacent_difference_implIS3_Lb0ELb0EPlS7_ZN2at6native12_GLOBAL__N_124unique_dim_cuda_templateImEESt5tupleIJNS8_6TensorESD_SD_EERKSD_lbbbEUlllE1_EE10hipError_tPvRmT2_T3_mT4_P12ihipStream_tbEUlT_E_NS1_11comp_targetILNS1_3genE5ELNS1_11target_archE942ELNS1_3gpuE9ELNS1_3repE0EEENS1_30default_config_static_selectorELNS0_4arch9wavefront6targetE1EEEvT1_
		.amdhsa_group_segment_fixed_size 6656
		.amdhsa_private_segment_fixed_size 0
		.amdhsa_kernarg_size 64
		.amdhsa_user_sgpr_count 2
		.amdhsa_user_sgpr_dispatch_ptr 0
		.amdhsa_user_sgpr_queue_ptr 0
		.amdhsa_user_sgpr_kernarg_segment_ptr 1
		.amdhsa_user_sgpr_dispatch_id 0
		.amdhsa_user_sgpr_kernarg_preload_length 0
		.amdhsa_user_sgpr_kernarg_preload_offset 0
		.amdhsa_user_sgpr_private_segment_size 0
		.amdhsa_uses_dynamic_stack 0
		.amdhsa_enable_private_segment 0
		.amdhsa_system_sgpr_workgroup_id_x 1
		.amdhsa_system_sgpr_workgroup_id_y 0
		.amdhsa_system_sgpr_workgroup_id_z 0
		.amdhsa_system_sgpr_workgroup_info 0
		.amdhsa_system_vgpr_workitem_id 0
		.amdhsa_next_free_vgpr 84
		.amdhsa_next_free_sgpr 38
		.amdhsa_accum_offset 84
		.amdhsa_reserve_vcc 1
		.amdhsa_float_round_mode_32 0
		.amdhsa_float_round_mode_16_64 0
		.amdhsa_float_denorm_mode_32 3
		.amdhsa_float_denorm_mode_16_64 3
		.amdhsa_dx10_clamp 1
		.amdhsa_ieee_mode 1
		.amdhsa_fp16_overflow 0
		.amdhsa_tg_split 0
		.amdhsa_exception_fp_ieee_invalid_op 0
		.amdhsa_exception_fp_denorm_src 0
		.amdhsa_exception_fp_ieee_div_zero 0
		.amdhsa_exception_fp_ieee_overflow 0
		.amdhsa_exception_fp_ieee_underflow 0
		.amdhsa_exception_fp_ieee_inexact 0
		.amdhsa_exception_int_div_zero 0
	.end_amdhsa_kernel
	.section	.text._ZN7rocprim17ROCPRIM_400000_NS6detail17trampoline_kernelINS0_14default_configENS1_35adjacent_difference_config_selectorILb0ElEEZNS1_24adjacent_difference_implIS3_Lb0ELb0EPlS7_ZN2at6native12_GLOBAL__N_124unique_dim_cuda_templateImEESt5tupleIJNS8_6TensorESD_SD_EERKSD_lbbbEUlllE1_EE10hipError_tPvRmT2_T3_mT4_P12ihipStream_tbEUlT_E_NS1_11comp_targetILNS1_3genE5ELNS1_11target_archE942ELNS1_3gpuE9ELNS1_3repE0EEENS1_30default_config_static_selectorELNS0_4arch9wavefront6targetE1EEEvT1_,"axG",@progbits,_ZN7rocprim17ROCPRIM_400000_NS6detail17trampoline_kernelINS0_14default_configENS1_35adjacent_difference_config_selectorILb0ElEEZNS1_24adjacent_difference_implIS3_Lb0ELb0EPlS7_ZN2at6native12_GLOBAL__N_124unique_dim_cuda_templateImEESt5tupleIJNS8_6TensorESD_SD_EERKSD_lbbbEUlllE1_EE10hipError_tPvRmT2_T3_mT4_P12ihipStream_tbEUlT_E_NS1_11comp_targetILNS1_3genE5ELNS1_11target_archE942ELNS1_3gpuE9ELNS1_3repE0EEENS1_30default_config_static_selectorELNS0_4arch9wavefront6targetE1EEEvT1_,comdat
.Lfunc_end1651:
	.size	_ZN7rocprim17ROCPRIM_400000_NS6detail17trampoline_kernelINS0_14default_configENS1_35adjacent_difference_config_selectorILb0ElEEZNS1_24adjacent_difference_implIS3_Lb0ELb0EPlS7_ZN2at6native12_GLOBAL__N_124unique_dim_cuda_templateImEESt5tupleIJNS8_6TensorESD_SD_EERKSD_lbbbEUlllE1_EE10hipError_tPvRmT2_T3_mT4_P12ihipStream_tbEUlT_E_NS1_11comp_targetILNS1_3genE5ELNS1_11target_archE942ELNS1_3gpuE9ELNS1_3repE0EEENS1_30default_config_static_selectorELNS0_4arch9wavefront6targetE1EEEvT1_, .Lfunc_end1651-_ZN7rocprim17ROCPRIM_400000_NS6detail17trampoline_kernelINS0_14default_configENS1_35adjacent_difference_config_selectorILb0ElEEZNS1_24adjacent_difference_implIS3_Lb0ELb0EPlS7_ZN2at6native12_GLOBAL__N_124unique_dim_cuda_templateImEESt5tupleIJNS8_6TensorESD_SD_EERKSD_lbbbEUlllE1_EE10hipError_tPvRmT2_T3_mT4_P12ihipStream_tbEUlT_E_NS1_11comp_targetILNS1_3genE5ELNS1_11target_archE942ELNS1_3gpuE9ELNS1_3repE0EEENS1_30default_config_static_selectorELNS0_4arch9wavefront6targetE1EEEvT1_
                                        ; -- End function
	.section	.AMDGPU.csdata,"",@progbits
; Kernel info:
; codeLenInByte = 18140
; NumSgprs: 44
; NumVgprs: 84
; NumAgprs: 0
; TotalNumVgprs: 84
; ScratchSize: 0
; MemoryBound: 1
; FloatMode: 240
; IeeeMode: 1
; LDSByteSize: 6656 bytes/workgroup (compile time only)
; SGPRBlocks: 5
; VGPRBlocks: 10
; NumSGPRsForWavesPerEU: 44
; NumVGPRsForWavesPerEU: 84
; AccumOffset: 84
; Occupancy: 3
; WaveLimiterHint : 1
; COMPUTE_PGM_RSRC2:SCRATCH_EN: 0
; COMPUTE_PGM_RSRC2:USER_SGPR: 2
; COMPUTE_PGM_RSRC2:TRAP_HANDLER: 0
; COMPUTE_PGM_RSRC2:TGID_X_EN: 1
; COMPUTE_PGM_RSRC2:TGID_Y_EN: 0
; COMPUTE_PGM_RSRC2:TGID_Z_EN: 0
; COMPUTE_PGM_RSRC2:TIDIG_COMP_CNT: 0
; COMPUTE_PGM_RSRC3_GFX90A:ACCUM_OFFSET: 20
; COMPUTE_PGM_RSRC3_GFX90A:TG_SPLIT: 0
	.section	.text._ZN7rocprim17ROCPRIM_400000_NS6detail17trampoline_kernelINS0_14default_configENS1_35adjacent_difference_config_selectorILb0ElEEZNS1_24adjacent_difference_implIS3_Lb0ELb0EPlS7_ZN2at6native12_GLOBAL__N_124unique_dim_cuda_templateImEESt5tupleIJNS8_6TensorESD_SD_EERKSD_lbbbEUlllE1_EE10hipError_tPvRmT2_T3_mT4_P12ihipStream_tbEUlT_E_NS1_11comp_targetILNS1_3genE4ELNS1_11target_archE910ELNS1_3gpuE8ELNS1_3repE0EEENS1_30default_config_static_selectorELNS0_4arch9wavefront6targetE1EEEvT1_,"axG",@progbits,_ZN7rocprim17ROCPRIM_400000_NS6detail17trampoline_kernelINS0_14default_configENS1_35adjacent_difference_config_selectorILb0ElEEZNS1_24adjacent_difference_implIS3_Lb0ELb0EPlS7_ZN2at6native12_GLOBAL__N_124unique_dim_cuda_templateImEESt5tupleIJNS8_6TensorESD_SD_EERKSD_lbbbEUlllE1_EE10hipError_tPvRmT2_T3_mT4_P12ihipStream_tbEUlT_E_NS1_11comp_targetILNS1_3genE4ELNS1_11target_archE910ELNS1_3gpuE8ELNS1_3repE0EEENS1_30default_config_static_selectorELNS0_4arch9wavefront6targetE1EEEvT1_,comdat
	.globl	_ZN7rocprim17ROCPRIM_400000_NS6detail17trampoline_kernelINS0_14default_configENS1_35adjacent_difference_config_selectorILb0ElEEZNS1_24adjacent_difference_implIS3_Lb0ELb0EPlS7_ZN2at6native12_GLOBAL__N_124unique_dim_cuda_templateImEESt5tupleIJNS8_6TensorESD_SD_EERKSD_lbbbEUlllE1_EE10hipError_tPvRmT2_T3_mT4_P12ihipStream_tbEUlT_E_NS1_11comp_targetILNS1_3genE4ELNS1_11target_archE910ELNS1_3gpuE8ELNS1_3repE0EEENS1_30default_config_static_selectorELNS0_4arch9wavefront6targetE1EEEvT1_ ; -- Begin function _ZN7rocprim17ROCPRIM_400000_NS6detail17trampoline_kernelINS0_14default_configENS1_35adjacent_difference_config_selectorILb0ElEEZNS1_24adjacent_difference_implIS3_Lb0ELb0EPlS7_ZN2at6native12_GLOBAL__N_124unique_dim_cuda_templateImEESt5tupleIJNS8_6TensorESD_SD_EERKSD_lbbbEUlllE1_EE10hipError_tPvRmT2_T3_mT4_P12ihipStream_tbEUlT_E_NS1_11comp_targetILNS1_3genE4ELNS1_11target_archE910ELNS1_3gpuE8ELNS1_3repE0EEENS1_30default_config_static_selectorELNS0_4arch9wavefront6targetE1EEEvT1_
	.p2align	8
	.type	_ZN7rocprim17ROCPRIM_400000_NS6detail17trampoline_kernelINS0_14default_configENS1_35adjacent_difference_config_selectorILb0ElEEZNS1_24adjacent_difference_implIS3_Lb0ELb0EPlS7_ZN2at6native12_GLOBAL__N_124unique_dim_cuda_templateImEESt5tupleIJNS8_6TensorESD_SD_EERKSD_lbbbEUlllE1_EE10hipError_tPvRmT2_T3_mT4_P12ihipStream_tbEUlT_E_NS1_11comp_targetILNS1_3genE4ELNS1_11target_archE910ELNS1_3gpuE8ELNS1_3repE0EEENS1_30default_config_static_selectorELNS0_4arch9wavefront6targetE1EEEvT1_,@function
_ZN7rocprim17ROCPRIM_400000_NS6detail17trampoline_kernelINS0_14default_configENS1_35adjacent_difference_config_selectorILb0ElEEZNS1_24adjacent_difference_implIS3_Lb0ELb0EPlS7_ZN2at6native12_GLOBAL__N_124unique_dim_cuda_templateImEESt5tupleIJNS8_6TensorESD_SD_EERKSD_lbbbEUlllE1_EE10hipError_tPvRmT2_T3_mT4_P12ihipStream_tbEUlT_E_NS1_11comp_targetILNS1_3genE4ELNS1_11target_archE910ELNS1_3gpuE8ELNS1_3repE0EEENS1_30default_config_static_selectorELNS0_4arch9wavefront6targetE1EEEvT1_: ; @_ZN7rocprim17ROCPRIM_400000_NS6detail17trampoline_kernelINS0_14default_configENS1_35adjacent_difference_config_selectorILb0ElEEZNS1_24adjacent_difference_implIS3_Lb0ELb0EPlS7_ZN2at6native12_GLOBAL__N_124unique_dim_cuda_templateImEESt5tupleIJNS8_6TensorESD_SD_EERKSD_lbbbEUlllE1_EE10hipError_tPvRmT2_T3_mT4_P12ihipStream_tbEUlT_E_NS1_11comp_targetILNS1_3genE4ELNS1_11target_archE910ELNS1_3gpuE8ELNS1_3repE0EEENS1_30default_config_static_selectorELNS0_4arch9wavefront6targetE1EEEvT1_
; %bb.0:
	.section	.rodata,"a",@progbits
	.p2align	6, 0x0
	.amdhsa_kernel _ZN7rocprim17ROCPRIM_400000_NS6detail17trampoline_kernelINS0_14default_configENS1_35adjacent_difference_config_selectorILb0ElEEZNS1_24adjacent_difference_implIS3_Lb0ELb0EPlS7_ZN2at6native12_GLOBAL__N_124unique_dim_cuda_templateImEESt5tupleIJNS8_6TensorESD_SD_EERKSD_lbbbEUlllE1_EE10hipError_tPvRmT2_T3_mT4_P12ihipStream_tbEUlT_E_NS1_11comp_targetILNS1_3genE4ELNS1_11target_archE910ELNS1_3gpuE8ELNS1_3repE0EEENS1_30default_config_static_selectorELNS0_4arch9wavefront6targetE1EEEvT1_
		.amdhsa_group_segment_fixed_size 0
		.amdhsa_private_segment_fixed_size 0
		.amdhsa_kernarg_size 64
		.amdhsa_user_sgpr_count 2
		.amdhsa_user_sgpr_dispatch_ptr 0
		.amdhsa_user_sgpr_queue_ptr 0
		.amdhsa_user_sgpr_kernarg_segment_ptr 1
		.amdhsa_user_sgpr_dispatch_id 0
		.amdhsa_user_sgpr_kernarg_preload_length 0
		.amdhsa_user_sgpr_kernarg_preload_offset 0
		.amdhsa_user_sgpr_private_segment_size 0
		.amdhsa_uses_dynamic_stack 0
		.amdhsa_enable_private_segment 0
		.amdhsa_system_sgpr_workgroup_id_x 1
		.amdhsa_system_sgpr_workgroup_id_y 0
		.amdhsa_system_sgpr_workgroup_id_z 0
		.amdhsa_system_sgpr_workgroup_info 0
		.amdhsa_system_vgpr_workitem_id 0
		.amdhsa_next_free_vgpr 1
		.amdhsa_next_free_sgpr 0
		.amdhsa_accum_offset 4
		.amdhsa_reserve_vcc 0
		.amdhsa_float_round_mode_32 0
		.amdhsa_float_round_mode_16_64 0
		.amdhsa_float_denorm_mode_32 3
		.amdhsa_float_denorm_mode_16_64 3
		.amdhsa_dx10_clamp 1
		.amdhsa_ieee_mode 1
		.amdhsa_fp16_overflow 0
		.amdhsa_tg_split 0
		.amdhsa_exception_fp_ieee_invalid_op 0
		.amdhsa_exception_fp_denorm_src 0
		.amdhsa_exception_fp_ieee_div_zero 0
		.amdhsa_exception_fp_ieee_overflow 0
		.amdhsa_exception_fp_ieee_underflow 0
		.amdhsa_exception_fp_ieee_inexact 0
		.amdhsa_exception_int_div_zero 0
	.end_amdhsa_kernel
	.section	.text._ZN7rocprim17ROCPRIM_400000_NS6detail17trampoline_kernelINS0_14default_configENS1_35adjacent_difference_config_selectorILb0ElEEZNS1_24adjacent_difference_implIS3_Lb0ELb0EPlS7_ZN2at6native12_GLOBAL__N_124unique_dim_cuda_templateImEESt5tupleIJNS8_6TensorESD_SD_EERKSD_lbbbEUlllE1_EE10hipError_tPvRmT2_T3_mT4_P12ihipStream_tbEUlT_E_NS1_11comp_targetILNS1_3genE4ELNS1_11target_archE910ELNS1_3gpuE8ELNS1_3repE0EEENS1_30default_config_static_selectorELNS0_4arch9wavefront6targetE1EEEvT1_,"axG",@progbits,_ZN7rocprim17ROCPRIM_400000_NS6detail17trampoline_kernelINS0_14default_configENS1_35adjacent_difference_config_selectorILb0ElEEZNS1_24adjacent_difference_implIS3_Lb0ELb0EPlS7_ZN2at6native12_GLOBAL__N_124unique_dim_cuda_templateImEESt5tupleIJNS8_6TensorESD_SD_EERKSD_lbbbEUlllE1_EE10hipError_tPvRmT2_T3_mT4_P12ihipStream_tbEUlT_E_NS1_11comp_targetILNS1_3genE4ELNS1_11target_archE910ELNS1_3gpuE8ELNS1_3repE0EEENS1_30default_config_static_selectorELNS0_4arch9wavefront6targetE1EEEvT1_,comdat
.Lfunc_end1652:
	.size	_ZN7rocprim17ROCPRIM_400000_NS6detail17trampoline_kernelINS0_14default_configENS1_35adjacent_difference_config_selectorILb0ElEEZNS1_24adjacent_difference_implIS3_Lb0ELb0EPlS7_ZN2at6native12_GLOBAL__N_124unique_dim_cuda_templateImEESt5tupleIJNS8_6TensorESD_SD_EERKSD_lbbbEUlllE1_EE10hipError_tPvRmT2_T3_mT4_P12ihipStream_tbEUlT_E_NS1_11comp_targetILNS1_3genE4ELNS1_11target_archE910ELNS1_3gpuE8ELNS1_3repE0EEENS1_30default_config_static_selectorELNS0_4arch9wavefront6targetE1EEEvT1_, .Lfunc_end1652-_ZN7rocprim17ROCPRIM_400000_NS6detail17trampoline_kernelINS0_14default_configENS1_35adjacent_difference_config_selectorILb0ElEEZNS1_24adjacent_difference_implIS3_Lb0ELb0EPlS7_ZN2at6native12_GLOBAL__N_124unique_dim_cuda_templateImEESt5tupleIJNS8_6TensorESD_SD_EERKSD_lbbbEUlllE1_EE10hipError_tPvRmT2_T3_mT4_P12ihipStream_tbEUlT_E_NS1_11comp_targetILNS1_3genE4ELNS1_11target_archE910ELNS1_3gpuE8ELNS1_3repE0EEENS1_30default_config_static_selectorELNS0_4arch9wavefront6targetE1EEEvT1_
                                        ; -- End function
	.section	.AMDGPU.csdata,"",@progbits
; Kernel info:
; codeLenInByte = 0
; NumSgprs: 6
; NumVgprs: 0
; NumAgprs: 0
; TotalNumVgprs: 0
; ScratchSize: 0
; MemoryBound: 0
; FloatMode: 240
; IeeeMode: 1
; LDSByteSize: 0 bytes/workgroup (compile time only)
; SGPRBlocks: 0
; VGPRBlocks: 0
; NumSGPRsForWavesPerEU: 6
; NumVGPRsForWavesPerEU: 1
; AccumOffset: 4
; Occupancy: 8
; WaveLimiterHint : 0
; COMPUTE_PGM_RSRC2:SCRATCH_EN: 0
; COMPUTE_PGM_RSRC2:USER_SGPR: 2
; COMPUTE_PGM_RSRC2:TRAP_HANDLER: 0
; COMPUTE_PGM_RSRC2:TGID_X_EN: 1
; COMPUTE_PGM_RSRC2:TGID_Y_EN: 0
; COMPUTE_PGM_RSRC2:TGID_Z_EN: 0
; COMPUTE_PGM_RSRC2:TIDIG_COMP_CNT: 0
; COMPUTE_PGM_RSRC3_GFX90A:ACCUM_OFFSET: 0
; COMPUTE_PGM_RSRC3_GFX90A:TG_SPLIT: 0
	.section	.text._ZN7rocprim17ROCPRIM_400000_NS6detail17trampoline_kernelINS0_14default_configENS1_35adjacent_difference_config_selectorILb0ElEEZNS1_24adjacent_difference_implIS3_Lb0ELb0EPlS7_ZN2at6native12_GLOBAL__N_124unique_dim_cuda_templateImEESt5tupleIJNS8_6TensorESD_SD_EERKSD_lbbbEUlllE1_EE10hipError_tPvRmT2_T3_mT4_P12ihipStream_tbEUlT_E_NS1_11comp_targetILNS1_3genE3ELNS1_11target_archE908ELNS1_3gpuE7ELNS1_3repE0EEENS1_30default_config_static_selectorELNS0_4arch9wavefront6targetE1EEEvT1_,"axG",@progbits,_ZN7rocprim17ROCPRIM_400000_NS6detail17trampoline_kernelINS0_14default_configENS1_35adjacent_difference_config_selectorILb0ElEEZNS1_24adjacent_difference_implIS3_Lb0ELb0EPlS7_ZN2at6native12_GLOBAL__N_124unique_dim_cuda_templateImEESt5tupleIJNS8_6TensorESD_SD_EERKSD_lbbbEUlllE1_EE10hipError_tPvRmT2_T3_mT4_P12ihipStream_tbEUlT_E_NS1_11comp_targetILNS1_3genE3ELNS1_11target_archE908ELNS1_3gpuE7ELNS1_3repE0EEENS1_30default_config_static_selectorELNS0_4arch9wavefront6targetE1EEEvT1_,comdat
	.globl	_ZN7rocprim17ROCPRIM_400000_NS6detail17trampoline_kernelINS0_14default_configENS1_35adjacent_difference_config_selectorILb0ElEEZNS1_24adjacent_difference_implIS3_Lb0ELb0EPlS7_ZN2at6native12_GLOBAL__N_124unique_dim_cuda_templateImEESt5tupleIJNS8_6TensorESD_SD_EERKSD_lbbbEUlllE1_EE10hipError_tPvRmT2_T3_mT4_P12ihipStream_tbEUlT_E_NS1_11comp_targetILNS1_3genE3ELNS1_11target_archE908ELNS1_3gpuE7ELNS1_3repE0EEENS1_30default_config_static_selectorELNS0_4arch9wavefront6targetE1EEEvT1_ ; -- Begin function _ZN7rocprim17ROCPRIM_400000_NS6detail17trampoline_kernelINS0_14default_configENS1_35adjacent_difference_config_selectorILb0ElEEZNS1_24adjacent_difference_implIS3_Lb0ELb0EPlS7_ZN2at6native12_GLOBAL__N_124unique_dim_cuda_templateImEESt5tupleIJNS8_6TensorESD_SD_EERKSD_lbbbEUlllE1_EE10hipError_tPvRmT2_T3_mT4_P12ihipStream_tbEUlT_E_NS1_11comp_targetILNS1_3genE3ELNS1_11target_archE908ELNS1_3gpuE7ELNS1_3repE0EEENS1_30default_config_static_selectorELNS0_4arch9wavefront6targetE1EEEvT1_
	.p2align	8
	.type	_ZN7rocprim17ROCPRIM_400000_NS6detail17trampoline_kernelINS0_14default_configENS1_35adjacent_difference_config_selectorILb0ElEEZNS1_24adjacent_difference_implIS3_Lb0ELb0EPlS7_ZN2at6native12_GLOBAL__N_124unique_dim_cuda_templateImEESt5tupleIJNS8_6TensorESD_SD_EERKSD_lbbbEUlllE1_EE10hipError_tPvRmT2_T3_mT4_P12ihipStream_tbEUlT_E_NS1_11comp_targetILNS1_3genE3ELNS1_11target_archE908ELNS1_3gpuE7ELNS1_3repE0EEENS1_30default_config_static_selectorELNS0_4arch9wavefront6targetE1EEEvT1_,@function
_ZN7rocprim17ROCPRIM_400000_NS6detail17trampoline_kernelINS0_14default_configENS1_35adjacent_difference_config_selectorILb0ElEEZNS1_24adjacent_difference_implIS3_Lb0ELb0EPlS7_ZN2at6native12_GLOBAL__N_124unique_dim_cuda_templateImEESt5tupleIJNS8_6TensorESD_SD_EERKSD_lbbbEUlllE1_EE10hipError_tPvRmT2_T3_mT4_P12ihipStream_tbEUlT_E_NS1_11comp_targetILNS1_3genE3ELNS1_11target_archE908ELNS1_3gpuE7ELNS1_3repE0EEENS1_30default_config_static_selectorELNS0_4arch9wavefront6targetE1EEEvT1_: ; @_ZN7rocprim17ROCPRIM_400000_NS6detail17trampoline_kernelINS0_14default_configENS1_35adjacent_difference_config_selectorILb0ElEEZNS1_24adjacent_difference_implIS3_Lb0ELb0EPlS7_ZN2at6native12_GLOBAL__N_124unique_dim_cuda_templateImEESt5tupleIJNS8_6TensorESD_SD_EERKSD_lbbbEUlllE1_EE10hipError_tPvRmT2_T3_mT4_P12ihipStream_tbEUlT_E_NS1_11comp_targetILNS1_3genE3ELNS1_11target_archE908ELNS1_3gpuE7ELNS1_3repE0EEENS1_30default_config_static_selectorELNS0_4arch9wavefront6targetE1EEEvT1_
; %bb.0:
	.section	.rodata,"a",@progbits
	.p2align	6, 0x0
	.amdhsa_kernel _ZN7rocprim17ROCPRIM_400000_NS6detail17trampoline_kernelINS0_14default_configENS1_35adjacent_difference_config_selectorILb0ElEEZNS1_24adjacent_difference_implIS3_Lb0ELb0EPlS7_ZN2at6native12_GLOBAL__N_124unique_dim_cuda_templateImEESt5tupleIJNS8_6TensorESD_SD_EERKSD_lbbbEUlllE1_EE10hipError_tPvRmT2_T3_mT4_P12ihipStream_tbEUlT_E_NS1_11comp_targetILNS1_3genE3ELNS1_11target_archE908ELNS1_3gpuE7ELNS1_3repE0EEENS1_30default_config_static_selectorELNS0_4arch9wavefront6targetE1EEEvT1_
		.amdhsa_group_segment_fixed_size 0
		.amdhsa_private_segment_fixed_size 0
		.amdhsa_kernarg_size 64
		.amdhsa_user_sgpr_count 2
		.amdhsa_user_sgpr_dispatch_ptr 0
		.amdhsa_user_sgpr_queue_ptr 0
		.amdhsa_user_sgpr_kernarg_segment_ptr 1
		.amdhsa_user_sgpr_dispatch_id 0
		.amdhsa_user_sgpr_kernarg_preload_length 0
		.amdhsa_user_sgpr_kernarg_preload_offset 0
		.amdhsa_user_sgpr_private_segment_size 0
		.amdhsa_uses_dynamic_stack 0
		.amdhsa_enable_private_segment 0
		.amdhsa_system_sgpr_workgroup_id_x 1
		.amdhsa_system_sgpr_workgroup_id_y 0
		.amdhsa_system_sgpr_workgroup_id_z 0
		.amdhsa_system_sgpr_workgroup_info 0
		.amdhsa_system_vgpr_workitem_id 0
		.amdhsa_next_free_vgpr 1
		.amdhsa_next_free_sgpr 0
		.amdhsa_accum_offset 4
		.amdhsa_reserve_vcc 0
		.amdhsa_float_round_mode_32 0
		.amdhsa_float_round_mode_16_64 0
		.amdhsa_float_denorm_mode_32 3
		.amdhsa_float_denorm_mode_16_64 3
		.amdhsa_dx10_clamp 1
		.amdhsa_ieee_mode 1
		.amdhsa_fp16_overflow 0
		.amdhsa_tg_split 0
		.amdhsa_exception_fp_ieee_invalid_op 0
		.amdhsa_exception_fp_denorm_src 0
		.amdhsa_exception_fp_ieee_div_zero 0
		.amdhsa_exception_fp_ieee_overflow 0
		.amdhsa_exception_fp_ieee_underflow 0
		.amdhsa_exception_fp_ieee_inexact 0
		.amdhsa_exception_int_div_zero 0
	.end_amdhsa_kernel
	.section	.text._ZN7rocprim17ROCPRIM_400000_NS6detail17trampoline_kernelINS0_14default_configENS1_35adjacent_difference_config_selectorILb0ElEEZNS1_24adjacent_difference_implIS3_Lb0ELb0EPlS7_ZN2at6native12_GLOBAL__N_124unique_dim_cuda_templateImEESt5tupleIJNS8_6TensorESD_SD_EERKSD_lbbbEUlllE1_EE10hipError_tPvRmT2_T3_mT4_P12ihipStream_tbEUlT_E_NS1_11comp_targetILNS1_3genE3ELNS1_11target_archE908ELNS1_3gpuE7ELNS1_3repE0EEENS1_30default_config_static_selectorELNS0_4arch9wavefront6targetE1EEEvT1_,"axG",@progbits,_ZN7rocprim17ROCPRIM_400000_NS6detail17trampoline_kernelINS0_14default_configENS1_35adjacent_difference_config_selectorILb0ElEEZNS1_24adjacent_difference_implIS3_Lb0ELb0EPlS7_ZN2at6native12_GLOBAL__N_124unique_dim_cuda_templateImEESt5tupleIJNS8_6TensorESD_SD_EERKSD_lbbbEUlllE1_EE10hipError_tPvRmT2_T3_mT4_P12ihipStream_tbEUlT_E_NS1_11comp_targetILNS1_3genE3ELNS1_11target_archE908ELNS1_3gpuE7ELNS1_3repE0EEENS1_30default_config_static_selectorELNS0_4arch9wavefront6targetE1EEEvT1_,comdat
.Lfunc_end1653:
	.size	_ZN7rocprim17ROCPRIM_400000_NS6detail17trampoline_kernelINS0_14default_configENS1_35adjacent_difference_config_selectorILb0ElEEZNS1_24adjacent_difference_implIS3_Lb0ELb0EPlS7_ZN2at6native12_GLOBAL__N_124unique_dim_cuda_templateImEESt5tupleIJNS8_6TensorESD_SD_EERKSD_lbbbEUlllE1_EE10hipError_tPvRmT2_T3_mT4_P12ihipStream_tbEUlT_E_NS1_11comp_targetILNS1_3genE3ELNS1_11target_archE908ELNS1_3gpuE7ELNS1_3repE0EEENS1_30default_config_static_selectorELNS0_4arch9wavefront6targetE1EEEvT1_, .Lfunc_end1653-_ZN7rocprim17ROCPRIM_400000_NS6detail17trampoline_kernelINS0_14default_configENS1_35adjacent_difference_config_selectorILb0ElEEZNS1_24adjacent_difference_implIS3_Lb0ELb0EPlS7_ZN2at6native12_GLOBAL__N_124unique_dim_cuda_templateImEESt5tupleIJNS8_6TensorESD_SD_EERKSD_lbbbEUlllE1_EE10hipError_tPvRmT2_T3_mT4_P12ihipStream_tbEUlT_E_NS1_11comp_targetILNS1_3genE3ELNS1_11target_archE908ELNS1_3gpuE7ELNS1_3repE0EEENS1_30default_config_static_selectorELNS0_4arch9wavefront6targetE1EEEvT1_
                                        ; -- End function
	.section	.AMDGPU.csdata,"",@progbits
; Kernel info:
; codeLenInByte = 0
; NumSgprs: 6
; NumVgprs: 0
; NumAgprs: 0
; TotalNumVgprs: 0
; ScratchSize: 0
; MemoryBound: 0
; FloatMode: 240
; IeeeMode: 1
; LDSByteSize: 0 bytes/workgroup (compile time only)
; SGPRBlocks: 0
; VGPRBlocks: 0
; NumSGPRsForWavesPerEU: 6
; NumVGPRsForWavesPerEU: 1
; AccumOffset: 4
; Occupancy: 8
; WaveLimiterHint : 0
; COMPUTE_PGM_RSRC2:SCRATCH_EN: 0
; COMPUTE_PGM_RSRC2:USER_SGPR: 2
; COMPUTE_PGM_RSRC2:TRAP_HANDLER: 0
; COMPUTE_PGM_RSRC2:TGID_X_EN: 1
; COMPUTE_PGM_RSRC2:TGID_Y_EN: 0
; COMPUTE_PGM_RSRC2:TGID_Z_EN: 0
; COMPUTE_PGM_RSRC2:TIDIG_COMP_CNT: 0
; COMPUTE_PGM_RSRC3_GFX90A:ACCUM_OFFSET: 0
; COMPUTE_PGM_RSRC3_GFX90A:TG_SPLIT: 0
	.section	.text._ZN7rocprim17ROCPRIM_400000_NS6detail17trampoline_kernelINS0_14default_configENS1_35adjacent_difference_config_selectorILb0ElEEZNS1_24adjacent_difference_implIS3_Lb0ELb0EPlS7_ZN2at6native12_GLOBAL__N_124unique_dim_cuda_templateImEESt5tupleIJNS8_6TensorESD_SD_EERKSD_lbbbEUlllE1_EE10hipError_tPvRmT2_T3_mT4_P12ihipStream_tbEUlT_E_NS1_11comp_targetILNS1_3genE2ELNS1_11target_archE906ELNS1_3gpuE6ELNS1_3repE0EEENS1_30default_config_static_selectorELNS0_4arch9wavefront6targetE1EEEvT1_,"axG",@progbits,_ZN7rocprim17ROCPRIM_400000_NS6detail17trampoline_kernelINS0_14default_configENS1_35adjacent_difference_config_selectorILb0ElEEZNS1_24adjacent_difference_implIS3_Lb0ELb0EPlS7_ZN2at6native12_GLOBAL__N_124unique_dim_cuda_templateImEESt5tupleIJNS8_6TensorESD_SD_EERKSD_lbbbEUlllE1_EE10hipError_tPvRmT2_T3_mT4_P12ihipStream_tbEUlT_E_NS1_11comp_targetILNS1_3genE2ELNS1_11target_archE906ELNS1_3gpuE6ELNS1_3repE0EEENS1_30default_config_static_selectorELNS0_4arch9wavefront6targetE1EEEvT1_,comdat
	.globl	_ZN7rocprim17ROCPRIM_400000_NS6detail17trampoline_kernelINS0_14default_configENS1_35adjacent_difference_config_selectorILb0ElEEZNS1_24adjacent_difference_implIS3_Lb0ELb0EPlS7_ZN2at6native12_GLOBAL__N_124unique_dim_cuda_templateImEESt5tupleIJNS8_6TensorESD_SD_EERKSD_lbbbEUlllE1_EE10hipError_tPvRmT2_T3_mT4_P12ihipStream_tbEUlT_E_NS1_11comp_targetILNS1_3genE2ELNS1_11target_archE906ELNS1_3gpuE6ELNS1_3repE0EEENS1_30default_config_static_selectorELNS0_4arch9wavefront6targetE1EEEvT1_ ; -- Begin function _ZN7rocprim17ROCPRIM_400000_NS6detail17trampoline_kernelINS0_14default_configENS1_35adjacent_difference_config_selectorILb0ElEEZNS1_24adjacent_difference_implIS3_Lb0ELb0EPlS7_ZN2at6native12_GLOBAL__N_124unique_dim_cuda_templateImEESt5tupleIJNS8_6TensorESD_SD_EERKSD_lbbbEUlllE1_EE10hipError_tPvRmT2_T3_mT4_P12ihipStream_tbEUlT_E_NS1_11comp_targetILNS1_3genE2ELNS1_11target_archE906ELNS1_3gpuE6ELNS1_3repE0EEENS1_30default_config_static_selectorELNS0_4arch9wavefront6targetE1EEEvT1_
	.p2align	8
	.type	_ZN7rocprim17ROCPRIM_400000_NS6detail17trampoline_kernelINS0_14default_configENS1_35adjacent_difference_config_selectorILb0ElEEZNS1_24adjacent_difference_implIS3_Lb0ELb0EPlS7_ZN2at6native12_GLOBAL__N_124unique_dim_cuda_templateImEESt5tupleIJNS8_6TensorESD_SD_EERKSD_lbbbEUlllE1_EE10hipError_tPvRmT2_T3_mT4_P12ihipStream_tbEUlT_E_NS1_11comp_targetILNS1_3genE2ELNS1_11target_archE906ELNS1_3gpuE6ELNS1_3repE0EEENS1_30default_config_static_selectorELNS0_4arch9wavefront6targetE1EEEvT1_,@function
_ZN7rocprim17ROCPRIM_400000_NS6detail17trampoline_kernelINS0_14default_configENS1_35adjacent_difference_config_selectorILb0ElEEZNS1_24adjacent_difference_implIS3_Lb0ELb0EPlS7_ZN2at6native12_GLOBAL__N_124unique_dim_cuda_templateImEESt5tupleIJNS8_6TensorESD_SD_EERKSD_lbbbEUlllE1_EE10hipError_tPvRmT2_T3_mT4_P12ihipStream_tbEUlT_E_NS1_11comp_targetILNS1_3genE2ELNS1_11target_archE906ELNS1_3gpuE6ELNS1_3repE0EEENS1_30default_config_static_selectorELNS0_4arch9wavefront6targetE1EEEvT1_: ; @_ZN7rocprim17ROCPRIM_400000_NS6detail17trampoline_kernelINS0_14default_configENS1_35adjacent_difference_config_selectorILb0ElEEZNS1_24adjacent_difference_implIS3_Lb0ELb0EPlS7_ZN2at6native12_GLOBAL__N_124unique_dim_cuda_templateImEESt5tupleIJNS8_6TensorESD_SD_EERKSD_lbbbEUlllE1_EE10hipError_tPvRmT2_T3_mT4_P12ihipStream_tbEUlT_E_NS1_11comp_targetILNS1_3genE2ELNS1_11target_archE906ELNS1_3gpuE6ELNS1_3repE0EEENS1_30default_config_static_selectorELNS0_4arch9wavefront6targetE1EEEvT1_
; %bb.0:
	.section	.rodata,"a",@progbits
	.p2align	6, 0x0
	.amdhsa_kernel _ZN7rocprim17ROCPRIM_400000_NS6detail17trampoline_kernelINS0_14default_configENS1_35adjacent_difference_config_selectorILb0ElEEZNS1_24adjacent_difference_implIS3_Lb0ELb0EPlS7_ZN2at6native12_GLOBAL__N_124unique_dim_cuda_templateImEESt5tupleIJNS8_6TensorESD_SD_EERKSD_lbbbEUlllE1_EE10hipError_tPvRmT2_T3_mT4_P12ihipStream_tbEUlT_E_NS1_11comp_targetILNS1_3genE2ELNS1_11target_archE906ELNS1_3gpuE6ELNS1_3repE0EEENS1_30default_config_static_selectorELNS0_4arch9wavefront6targetE1EEEvT1_
		.amdhsa_group_segment_fixed_size 0
		.amdhsa_private_segment_fixed_size 0
		.amdhsa_kernarg_size 64
		.amdhsa_user_sgpr_count 2
		.amdhsa_user_sgpr_dispatch_ptr 0
		.amdhsa_user_sgpr_queue_ptr 0
		.amdhsa_user_sgpr_kernarg_segment_ptr 1
		.amdhsa_user_sgpr_dispatch_id 0
		.amdhsa_user_sgpr_kernarg_preload_length 0
		.amdhsa_user_sgpr_kernarg_preload_offset 0
		.amdhsa_user_sgpr_private_segment_size 0
		.amdhsa_uses_dynamic_stack 0
		.amdhsa_enable_private_segment 0
		.amdhsa_system_sgpr_workgroup_id_x 1
		.amdhsa_system_sgpr_workgroup_id_y 0
		.amdhsa_system_sgpr_workgroup_id_z 0
		.amdhsa_system_sgpr_workgroup_info 0
		.amdhsa_system_vgpr_workitem_id 0
		.amdhsa_next_free_vgpr 1
		.amdhsa_next_free_sgpr 0
		.amdhsa_accum_offset 4
		.amdhsa_reserve_vcc 0
		.amdhsa_float_round_mode_32 0
		.amdhsa_float_round_mode_16_64 0
		.amdhsa_float_denorm_mode_32 3
		.amdhsa_float_denorm_mode_16_64 3
		.amdhsa_dx10_clamp 1
		.amdhsa_ieee_mode 1
		.amdhsa_fp16_overflow 0
		.amdhsa_tg_split 0
		.amdhsa_exception_fp_ieee_invalid_op 0
		.amdhsa_exception_fp_denorm_src 0
		.amdhsa_exception_fp_ieee_div_zero 0
		.amdhsa_exception_fp_ieee_overflow 0
		.amdhsa_exception_fp_ieee_underflow 0
		.amdhsa_exception_fp_ieee_inexact 0
		.amdhsa_exception_int_div_zero 0
	.end_amdhsa_kernel
	.section	.text._ZN7rocprim17ROCPRIM_400000_NS6detail17trampoline_kernelINS0_14default_configENS1_35adjacent_difference_config_selectorILb0ElEEZNS1_24adjacent_difference_implIS3_Lb0ELb0EPlS7_ZN2at6native12_GLOBAL__N_124unique_dim_cuda_templateImEESt5tupleIJNS8_6TensorESD_SD_EERKSD_lbbbEUlllE1_EE10hipError_tPvRmT2_T3_mT4_P12ihipStream_tbEUlT_E_NS1_11comp_targetILNS1_3genE2ELNS1_11target_archE906ELNS1_3gpuE6ELNS1_3repE0EEENS1_30default_config_static_selectorELNS0_4arch9wavefront6targetE1EEEvT1_,"axG",@progbits,_ZN7rocprim17ROCPRIM_400000_NS6detail17trampoline_kernelINS0_14default_configENS1_35adjacent_difference_config_selectorILb0ElEEZNS1_24adjacent_difference_implIS3_Lb0ELb0EPlS7_ZN2at6native12_GLOBAL__N_124unique_dim_cuda_templateImEESt5tupleIJNS8_6TensorESD_SD_EERKSD_lbbbEUlllE1_EE10hipError_tPvRmT2_T3_mT4_P12ihipStream_tbEUlT_E_NS1_11comp_targetILNS1_3genE2ELNS1_11target_archE906ELNS1_3gpuE6ELNS1_3repE0EEENS1_30default_config_static_selectorELNS0_4arch9wavefront6targetE1EEEvT1_,comdat
.Lfunc_end1654:
	.size	_ZN7rocprim17ROCPRIM_400000_NS6detail17trampoline_kernelINS0_14default_configENS1_35adjacent_difference_config_selectorILb0ElEEZNS1_24adjacent_difference_implIS3_Lb0ELb0EPlS7_ZN2at6native12_GLOBAL__N_124unique_dim_cuda_templateImEESt5tupleIJNS8_6TensorESD_SD_EERKSD_lbbbEUlllE1_EE10hipError_tPvRmT2_T3_mT4_P12ihipStream_tbEUlT_E_NS1_11comp_targetILNS1_3genE2ELNS1_11target_archE906ELNS1_3gpuE6ELNS1_3repE0EEENS1_30default_config_static_selectorELNS0_4arch9wavefront6targetE1EEEvT1_, .Lfunc_end1654-_ZN7rocprim17ROCPRIM_400000_NS6detail17trampoline_kernelINS0_14default_configENS1_35adjacent_difference_config_selectorILb0ElEEZNS1_24adjacent_difference_implIS3_Lb0ELb0EPlS7_ZN2at6native12_GLOBAL__N_124unique_dim_cuda_templateImEESt5tupleIJNS8_6TensorESD_SD_EERKSD_lbbbEUlllE1_EE10hipError_tPvRmT2_T3_mT4_P12ihipStream_tbEUlT_E_NS1_11comp_targetILNS1_3genE2ELNS1_11target_archE906ELNS1_3gpuE6ELNS1_3repE0EEENS1_30default_config_static_selectorELNS0_4arch9wavefront6targetE1EEEvT1_
                                        ; -- End function
	.section	.AMDGPU.csdata,"",@progbits
; Kernel info:
; codeLenInByte = 0
; NumSgprs: 6
; NumVgprs: 0
; NumAgprs: 0
; TotalNumVgprs: 0
; ScratchSize: 0
; MemoryBound: 0
; FloatMode: 240
; IeeeMode: 1
; LDSByteSize: 0 bytes/workgroup (compile time only)
; SGPRBlocks: 0
; VGPRBlocks: 0
; NumSGPRsForWavesPerEU: 6
; NumVGPRsForWavesPerEU: 1
; AccumOffset: 4
; Occupancy: 8
; WaveLimiterHint : 0
; COMPUTE_PGM_RSRC2:SCRATCH_EN: 0
; COMPUTE_PGM_RSRC2:USER_SGPR: 2
; COMPUTE_PGM_RSRC2:TRAP_HANDLER: 0
; COMPUTE_PGM_RSRC2:TGID_X_EN: 1
; COMPUTE_PGM_RSRC2:TGID_Y_EN: 0
; COMPUTE_PGM_RSRC2:TGID_Z_EN: 0
; COMPUTE_PGM_RSRC2:TIDIG_COMP_CNT: 0
; COMPUTE_PGM_RSRC3_GFX90A:ACCUM_OFFSET: 0
; COMPUTE_PGM_RSRC3_GFX90A:TG_SPLIT: 0
	.section	.text._ZN7rocprim17ROCPRIM_400000_NS6detail17trampoline_kernelINS0_14default_configENS1_35adjacent_difference_config_selectorILb0ElEEZNS1_24adjacent_difference_implIS3_Lb0ELb0EPlS7_ZN2at6native12_GLOBAL__N_124unique_dim_cuda_templateImEESt5tupleIJNS8_6TensorESD_SD_EERKSD_lbbbEUlllE1_EE10hipError_tPvRmT2_T3_mT4_P12ihipStream_tbEUlT_E_NS1_11comp_targetILNS1_3genE9ELNS1_11target_archE1100ELNS1_3gpuE3ELNS1_3repE0EEENS1_30default_config_static_selectorELNS0_4arch9wavefront6targetE1EEEvT1_,"axG",@progbits,_ZN7rocprim17ROCPRIM_400000_NS6detail17trampoline_kernelINS0_14default_configENS1_35adjacent_difference_config_selectorILb0ElEEZNS1_24adjacent_difference_implIS3_Lb0ELb0EPlS7_ZN2at6native12_GLOBAL__N_124unique_dim_cuda_templateImEESt5tupleIJNS8_6TensorESD_SD_EERKSD_lbbbEUlllE1_EE10hipError_tPvRmT2_T3_mT4_P12ihipStream_tbEUlT_E_NS1_11comp_targetILNS1_3genE9ELNS1_11target_archE1100ELNS1_3gpuE3ELNS1_3repE0EEENS1_30default_config_static_selectorELNS0_4arch9wavefront6targetE1EEEvT1_,comdat
	.globl	_ZN7rocprim17ROCPRIM_400000_NS6detail17trampoline_kernelINS0_14default_configENS1_35adjacent_difference_config_selectorILb0ElEEZNS1_24adjacent_difference_implIS3_Lb0ELb0EPlS7_ZN2at6native12_GLOBAL__N_124unique_dim_cuda_templateImEESt5tupleIJNS8_6TensorESD_SD_EERKSD_lbbbEUlllE1_EE10hipError_tPvRmT2_T3_mT4_P12ihipStream_tbEUlT_E_NS1_11comp_targetILNS1_3genE9ELNS1_11target_archE1100ELNS1_3gpuE3ELNS1_3repE0EEENS1_30default_config_static_selectorELNS0_4arch9wavefront6targetE1EEEvT1_ ; -- Begin function _ZN7rocprim17ROCPRIM_400000_NS6detail17trampoline_kernelINS0_14default_configENS1_35adjacent_difference_config_selectorILb0ElEEZNS1_24adjacent_difference_implIS3_Lb0ELb0EPlS7_ZN2at6native12_GLOBAL__N_124unique_dim_cuda_templateImEESt5tupleIJNS8_6TensorESD_SD_EERKSD_lbbbEUlllE1_EE10hipError_tPvRmT2_T3_mT4_P12ihipStream_tbEUlT_E_NS1_11comp_targetILNS1_3genE9ELNS1_11target_archE1100ELNS1_3gpuE3ELNS1_3repE0EEENS1_30default_config_static_selectorELNS0_4arch9wavefront6targetE1EEEvT1_
	.p2align	8
	.type	_ZN7rocprim17ROCPRIM_400000_NS6detail17trampoline_kernelINS0_14default_configENS1_35adjacent_difference_config_selectorILb0ElEEZNS1_24adjacent_difference_implIS3_Lb0ELb0EPlS7_ZN2at6native12_GLOBAL__N_124unique_dim_cuda_templateImEESt5tupleIJNS8_6TensorESD_SD_EERKSD_lbbbEUlllE1_EE10hipError_tPvRmT2_T3_mT4_P12ihipStream_tbEUlT_E_NS1_11comp_targetILNS1_3genE9ELNS1_11target_archE1100ELNS1_3gpuE3ELNS1_3repE0EEENS1_30default_config_static_selectorELNS0_4arch9wavefront6targetE1EEEvT1_,@function
_ZN7rocprim17ROCPRIM_400000_NS6detail17trampoline_kernelINS0_14default_configENS1_35adjacent_difference_config_selectorILb0ElEEZNS1_24adjacent_difference_implIS3_Lb0ELb0EPlS7_ZN2at6native12_GLOBAL__N_124unique_dim_cuda_templateImEESt5tupleIJNS8_6TensorESD_SD_EERKSD_lbbbEUlllE1_EE10hipError_tPvRmT2_T3_mT4_P12ihipStream_tbEUlT_E_NS1_11comp_targetILNS1_3genE9ELNS1_11target_archE1100ELNS1_3gpuE3ELNS1_3repE0EEENS1_30default_config_static_selectorELNS0_4arch9wavefront6targetE1EEEvT1_: ; @_ZN7rocprim17ROCPRIM_400000_NS6detail17trampoline_kernelINS0_14default_configENS1_35adjacent_difference_config_selectorILb0ElEEZNS1_24adjacent_difference_implIS3_Lb0ELb0EPlS7_ZN2at6native12_GLOBAL__N_124unique_dim_cuda_templateImEESt5tupleIJNS8_6TensorESD_SD_EERKSD_lbbbEUlllE1_EE10hipError_tPvRmT2_T3_mT4_P12ihipStream_tbEUlT_E_NS1_11comp_targetILNS1_3genE9ELNS1_11target_archE1100ELNS1_3gpuE3ELNS1_3repE0EEENS1_30default_config_static_selectorELNS0_4arch9wavefront6targetE1EEEvT1_
; %bb.0:
	.section	.rodata,"a",@progbits
	.p2align	6, 0x0
	.amdhsa_kernel _ZN7rocprim17ROCPRIM_400000_NS6detail17trampoline_kernelINS0_14default_configENS1_35adjacent_difference_config_selectorILb0ElEEZNS1_24adjacent_difference_implIS3_Lb0ELb0EPlS7_ZN2at6native12_GLOBAL__N_124unique_dim_cuda_templateImEESt5tupleIJNS8_6TensorESD_SD_EERKSD_lbbbEUlllE1_EE10hipError_tPvRmT2_T3_mT4_P12ihipStream_tbEUlT_E_NS1_11comp_targetILNS1_3genE9ELNS1_11target_archE1100ELNS1_3gpuE3ELNS1_3repE0EEENS1_30default_config_static_selectorELNS0_4arch9wavefront6targetE1EEEvT1_
		.amdhsa_group_segment_fixed_size 0
		.amdhsa_private_segment_fixed_size 0
		.amdhsa_kernarg_size 64
		.amdhsa_user_sgpr_count 2
		.amdhsa_user_sgpr_dispatch_ptr 0
		.amdhsa_user_sgpr_queue_ptr 0
		.amdhsa_user_sgpr_kernarg_segment_ptr 1
		.amdhsa_user_sgpr_dispatch_id 0
		.amdhsa_user_sgpr_kernarg_preload_length 0
		.amdhsa_user_sgpr_kernarg_preload_offset 0
		.amdhsa_user_sgpr_private_segment_size 0
		.amdhsa_uses_dynamic_stack 0
		.amdhsa_enable_private_segment 0
		.amdhsa_system_sgpr_workgroup_id_x 1
		.amdhsa_system_sgpr_workgroup_id_y 0
		.amdhsa_system_sgpr_workgroup_id_z 0
		.amdhsa_system_sgpr_workgroup_info 0
		.amdhsa_system_vgpr_workitem_id 0
		.amdhsa_next_free_vgpr 1
		.amdhsa_next_free_sgpr 0
		.amdhsa_accum_offset 4
		.amdhsa_reserve_vcc 0
		.amdhsa_float_round_mode_32 0
		.amdhsa_float_round_mode_16_64 0
		.amdhsa_float_denorm_mode_32 3
		.amdhsa_float_denorm_mode_16_64 3
		.amdhsa_dx10_clamp 1
		.amdhsa_ieee_mode 1
		.amdhsa_fp16_overflow 0
		.amdhsa_tg_split 0
		.amdhsa_exception_fp_ieee_invalid_op 0
		.amdhsa_exception_fp_denorm_src 0
		.amdhsa_exception_fp_ieee_div_zero 0
		.amdhsa_exception_fp_ieee_overflow 0
		.amdhsa_exception_fp_ieee_underflow 0
		.amdhsa_exception_fp_ieee_inexact 0
		.amdhsa_exception_int_div_zero 0
	.end_amdhsa_kernel
	.section	.text._ZN7rocprim17ROCPRIM_400000_NS6detail17trampoline_kernelINS0_14default_configENS1_35adjacent_difference_config_selectorILb0ElEEZNS1_24adjacent_difference_implIS3_Lb0ELb0EPlS7_ZN2at6native12_GLOBAL__N_124unique_dim_cuda_templateImEESt5tupleIJNS8_6TensorESD_SD_EERKSD_lbbbEUlllE1_EE10hipError_tPvRmT2_T3_mT4_P12ihipStream_tbEUlT_E_NS1_11comp_targetILNS1_3genE9ELNS1_11target_archE1100ELNS1_3gpuE3ELNS1_3repE0EEENS1_30default_config_static_selectorELNS0_4arch9wavefront6targetE1EEEvT1_,"axG",@progbits,_ZN7rocprim17ROCPRIM_400000_NS6detail17trampoline_kernelINS0_14default_configENS1_35adjacent_difference_config_selectorILb0ElEEZNS1_24adjacent_difference_implIS3_Lb0ELb0EPlS7_ZN2at6native12_GLOBAL__N_124unique_dim_cuda_templateImEESt5tupleIJNS8_6TensorESD_SD_EERKSD_lbbbEUlllE1_EE10hipError_tPvRmT2_T3_mT4_P12ihipStream_tbEUlT_E_NS1_11comp_targetILNS1_3genE9ELNS1_11target_archE1100ELNS1_3gpuE3ELNS1_3repE0EEENS1_30default_config_static_selectorELNS0_4arch9wavefront6targetE1EEEvT1_,comdat
.Lfunc_end1655:
	.size	_ZN7rocprim17ROCPRIM_400000_NS6detail17trampoline_kernelINS0_14default_configENS1_35adjacent_difference_config_selectorILb0ElEEZNS1_24adjacent_difference_implIS3_Lb0ELb0EPlS7_ZN2at6native12_GLOBAL__N_124unique_dim_cuda_templateImEESt5tupleIJNS8_6TensorESD_SD_EERKSD_lbbbEUlllE1_EE10hipError_tPvRmT2_T3_mT4_P12ihipStream_tbEUlT_E_NS1_11comp_targetILNS1_3genE9ELNS1_11target_archE1100ELNS1_3gpuE3ELNS1_3repE0EEENS1_30default_config_static_selectorELNS0_4arch9wavefront6targetE1EEEvT1_, .Lfunc_end1655-_ZN7rocprim17ROCPRIM_400000_NS6detail17trampoline_kernelINS0_14default_configENS1_35adjacent_difference_config_selectorILb0ElEEZNS1_24adjacent_difference_implIS3_Lb0ELb0EPlS7_ZN2at6native12_GLOBAL__N_124unique_dim_cuda_templateImEESt5tupleIJNS8_6TensorESD_SD_EERKSD_lbbbEUlllE1_EE10hipError_tPvRmT2_T3_mT4_P12ihipStream_tbEUlT_E_NS1_11comp_targetILNS1_3genE9ELNS1_11target_archE1100ELNS1_3gpuE3ELNS1_3repE0EEENS1_30default_config_static_selectorELNS0_4arch9wavefront6targetE1EEEvT1_
                                        ; -- End function
	.section	.AMDGPU.csdata,"",@progbits
; Kernel info:
; codeLenInByte = 0
; NumSgprs: 6
; NumVgprs: 0
; NumAgprs: 0
; TotalNumVgprs: 0
; ScratchSize: 0
; MemoryBound: 0
; FloatMode: 240
; IeeeMode: 1
; LDSByteSize: 0 bytes/workgroup (compile time only)
; SGPRBlocks: 0
; VGPRBlocks: 0
; NumSGPRsForWavesPerEU: 6
; NumVGPRsForWavesPerEU: 1
; AccumOffset: 4
; Occupancy: 8
; WaveLimiterHint : 0
; COMPUTE_PGM_RSRC2:SCRATCH_EN: 0
; COMPUTE_PGM_RSRC2:USER_SGPR: 2
; COMPUTE_PGM_RSRC2:TRAP_HANDLER: 0
; COMPUTE_PGM_RSRC2:TGID_X_EN: 1
; COMPUTE_PGM_RSRC2:TGID_Y_EN: 0
; COMPUTE_PGM_RSRC2:TGID_Z_EN: 0
; COMPUTE_PGM_RSRC2:TIDIG_COMP_CNT: 0
; COMPUTE_PGM_RSRC3_GFX90A:ACCUM_OFFSET: 0
; COMPUTE_PGM_RSRC3_GFX90A:TG_SPLIT: 0
	.section	.text._ZN7rocprim17ROCPRIM_400000_NS6detail17trampoline_kernelINS0_14default_configENS1_35adjacent_difference_config_selectorILb0ElEEZNS1_24adjacent_difference_implIS3_Lb0ELb0EPlS7_ZN2at6native12_GLOBAL__N_124unique_dim_cuda_templateImEESt5tupleIJNS8_6TensorESD_SD_EERKSD_lbbbEUlllE1_EE10hipError_tPvRmT2_T3_mT4_P12ihipStream_tbEUlT_E_NS1_11comp_targetILNS1_3genE8ELNS1_11target_archE1030ELNS1_3gpuE2ELNS1_3repE0EEENS1_30default_config_static_selectorELNS0_4arch9wavefront6targetE1EEEvT1_,"axG",@progbits,_ZN7rocprim17ROCPRIM_400000_NS6detail17trampoline_kernelINS0_14default_configENS1_35adjacent_difference_config_selectorILb0ElEEZNS1_24adjacent_difference_implIS3_Lb0ELb0EPlS7_ZN2at6native12_GLOBAL__N_124unique_dim_cuda_templateImEESt5tupleIJNS8_6TensorESD_SD_EERKSD_lbbbEUlllE1_EE10hipError_tPvRmT2_T3_mT4_P12ihipStream_tbEUlT_E_NS1_11comp_targetILNS1_3genE8ELNS1_11target_archE1030ELNS1_3gpuE2ELNS1_3repE0EEENS1_30default_config_static_selectorELNS0_4arch9wavefront6targetE1EEEvT1_,comdat
	.globl	_ZN7rocprim17ROCPRIM_400000_NS6detail17trampoline_kernelINS0_14default_configENS1_35adjacent_difference_config_selectorILb0ElEEZNS1_24adjacent_difference_implIS3_Lb0ELb0EPlS7_ZN2at6native12_GLOBAL__N_124unique_dim_cuda_templateImEESt5tupleIJNS8_6TensorESD_SD_EERKSD_lbbbEUlllE1_EE10hipError_tPvRmT2_T3_mT4_P12ihipStream_tbEUlT_E_NS1_11comp_targetILNS1_3genE8ELNS1_11target_archE1030ELNS1_3gpuE2ELNS1_3repE0EEENS1_30default_config_static_selectorELNS0_4arch9wavefront6targetE1EEEvT1_ ; -- Begin function _ZN7rocprim17ROCPRIM_400000_NS6detail17trampoline_kernelINS0_14default_configENS1_35adjacent_difference_config_selectorILb0ElEEZNS1_24adjacent_difference_implIS3_Lb0ELb0EPlS7_ZN2at6native12_GLOBAL__N_124unique_dim_cuda_templateImEESt5tupleIJNS8_6TensorESD_SD_EERKSD_lbbbEUlllE1_EE10hipError_tPvRmT2_T3_mT4_P12ihipStream_tbEUlT_E_NS1_11comp_targetILNS1_3genE8ELNS1_11target_archE1030ELNS1_3gpuE2ELNS1_3repE0EEENS1_30default_config_static_selectorELNS0_4arch9wavefront6targetE1EEEvT1_
	.p2align	8
	.type	_ZN7rocprim17ROCPRIM_400000_NS6detail17trampoline_kernelINS0_14default_configENS1_35adjacent_difference_config_selectorILb0ElEEZNS1_24adjacent_difference_implIS3_Lb0ELb0EPlS7_ZN2at6native12_GLOBAL__N_124unique_dim_cuda_templateImEESt5tupleIJNS8_6TensorESD_SD_EERKSD_lbbbEUlllE1_EE10hipError_tPvRmT2_T3_mT4_P12ihipStream_tbEUlT_E_NS1_11comp_targetILNS1_3genE8ELNS1_11target_archE1030ELNS1_3gpuE2ELNS1_3repE0EEENS1_30default_config_static_selectorELNS0_4arch9wavefront6targetE1EEEvT1_,@function
_ZN7rocprim17ROCPRIM_400000_NS6detail17trampoline_kernelINS0_14default_configENS1_35adjacent_difference_config_selectorILb0ElEEZNS1_24adjacent_difference_implIS3_Lb0ELb0EPlS7_ZN2at6native12_GLOBAL__N_124unique_dim_cuda_templateImEESt5tupleIJNS8_6TensorESD_SD_EERKSD_lbbbEUlllE1_EE10hipError_tPvRmT2_T3_mT4_P12ihipStream_tbEUlT_E_NS1_11comp_targetILNS1_3genE8ELNS1_11target_archE1030ELNS1_3gpuE2ELNS1_3repE0EEENS1_30default_config_static_selectorELNS0_4arch9wavefront6targetE1EEEvT1_: ; @_ZN7rocprim17ROCPRIM_400000_NS6detail17trampoline_kernelINS0_14default_configENS1_35adjacent_difference_config_selectorILb0ElEEZNS1_24adjacent_difference_implIS3_Lb0ELb0EPlS7_ZN2at6native12_GLOBAL__N_124unique_dim_cuda_templateImEESt5tupleIJNS8_6TensorESD_SD_EERKSD_lbbbEUlllE1_EE10hipError_tPvRmT2_T3_mT4_P12ihipStream_tbEUlT_E_NS1_11comp_targetILNS1_3genE8ELNS1_11target_archE1030ELNS1_3gpuE2ELNS1_3repE0EEENS1_30default_config_static_selectorELNS0_4arch9wavefront6targetE1EEEvT1_
; %bb.0:
	.section	.rodata,"a",@progbits
	.p2align	6, 0x0
	.amdhsa_kernel _ZN7rocprim17ROCPRIM_400000_NS6detail17trampoline_kernelINS0_14default_configENS1_35adjacent_difference_config_selectorILb0ElEEZNS1_24adjacent_difference_implIS3_Lb0ELb0EPlS7_ZN2at6native12_GLOBAL__N_124unique_dim_cuda_templateImEESt5tupleIJNS8_6TensorESD_SD_EERKSD_lbbbEUlllE1_EE10hipError_tPvRmT2_T3_mT4_P12ihipStream_tbEUlT_E_NS1_11comp_targetILNS1_3genE8ELNS1_11target_archE1030ELNS1_3gpuE2ELNS1_3repE0EEENS1_30default_config_static_selectorELNS0_4arch9wavefront6targetE1EEEvT1_
		.amdhsa_group_segment_fixed_size 0
		.amdhsa_private_segment_fixed_size 0
		.amdhsa_kernarg_size 64
		.amdhsa_user_sgpr_count 2
		.amdhsa_user_sgpr_dispatch_ptr 0
		.amdhsa_user_sgpr_queue_ptr 0
		.amdhsa_user_sgpr_kernarg_segment_ptr 1
		.amdhsa_user_sgpr_dispatch_id 0
		.amdhsa_user_sgpr_kernarg_preload_length 0
		.amdhsa_user_sgpr_kernarg_preload_offset 0
		.amdhsa_user_sgpr_private_segment_size 0
		.amdhsa_uses_dynamic_stack 0
		.amdhsa_enable_private_segment 0
		.amdhsa_system_sgpr_workgroup_id_x 1
		.amdhsa_system_sgpr_workgroup_id_y 0
		.amdhsa_system_sgpr_workgroup_id_z 0
		.amdhsa_system_sgpr_workgroup_info 0
		.amdhsa_system_vgpr_workitem_id 0
		.amdhsa_next_free_vgpr 1
		.amdhsa_next_free_sgpr 0
		.amdhsa_accum_offset 4
		.amdhsa_reserve_vcc 0
		.amdhsa_float_round_mode_32 0
		.amdhsa_float_round_mode_16_64 0
		.amdhsa_float_denorm_mode_32 3
		.amdhsa_float_denorm_mode_16_64 3
		.amdhsa_dx10_clamp 1
		.amdhsa_ieee_mode 1
		.amdhsa_fp16_overflow 0
		.amdhsa_tg_split 0
		.amdhsa_exception_fp_ieee_invalid_op 0
		.amdhsa_exception_fp_denorm_src 0
		.amdhsa_exception_fp_ieee_div_zero 0
		.amdhsa_exception_fp_ieee_overflow 0
		.amdhsa_exception_fp_ieee_underflow 0
		.amdhsa_exception_fp_ieee_inexact 0
		.amdhsa_exception_int_div_zero 0
	.end_amdhsa_kernel
	.section	.text._ZN7rocprim17ROCPRIM_400000_NS6detail17trampoline_kernelINS0_14default_configENS1_35adjacent_difference_config_selectorILb0ElEEZNS1_24adjacent_difference_implIS3_Lb0ELb0EPlS7_ZN2at6native12_GLOBAL__N_124unique_dim_cuda_templateImEESt5tupleIJNS8_6TensorESD_SD_EERKSD_lbbbEUlllE1_EE10hipError_tPvRmT2_T3_mT4_P12ihipStream_tbEUlT_E_NS1_11comp_targetILNS1_3genE8ELNS1_11target_archE1030ELNS1_3gpuE2ELNS1_3repE0EEENS1_30default_config_static_selectorELNS0_4arch9wavefront6targetE1EEEvT1_,"axG",@progbits,_ZN7rocprim17ROCPRIM_400000_NS6detail17trampoline_kernelINS0_14default_configENS1_35adjacent_difference_config_selectorILb0ElEEZNS1_24adjacent_difference_implIS3_Lb0ELb0EPlS7_ZN2at6native12_GLOBAL__N_124unique_dim_cuda_templateImEESt5tupleIJNS8_6TensorESD_SD_EERKSD_lbbbEUlllE1_EE10hipError_tPvRmT2_T3_mT4_P12ihipStream_tbEUlT_E_NS1_11comp_targetILNS1_3genE8ELNS1_11target_archE1030ELNS1_3gpuE2ELNS1_3repE0EEENS1_30default_config_static_selectorELNS0_4arch9wavefront6targetE1EEEvT1_,comdat
.Lfunc_end1656:
	.size	_ZN7rocprim17ROCPRIM_400000_NS6detail17trampoline_kernelINS0_14default_configENS1_35adjacent_difference_config_selectorILb0ElEEZNS1_24adjacent_difference_implIS3_Lb0ELb0EPlS7_ZN2at6native12_GLOBAL__N_124unique_dim_cuda_templateImEESt5tupleIJNS8_6TensorESD_SD_EERKSD_lbbbEUlllE1_EE10hipError_tPvRmT2_T3_mT4_P12ihipStream_tbEUlT_E_NS1_11comp_targetILNS1_3genE8ELNS1_11target_archE1030ELNS1_3gpuE2ELNS1_3repE0EEENS1_30default_config_static_selectorELNS0_4arch9wavefront6targetE1EEEvT1_, .Lfunc_end1656-_ZN7rocprim17ROCPRIM_400000_NS6detail17trampoline_kernelINS0_14default_configENS1_35adjacent_difference_config_selectorILb0ElEEZNS1_24adjacent_difference_implIS3_Lb0ELb0EPlS7_ZN2at6native12_GLOBAL__N_124unique_dim_cuda_templateImEESt5tupleIJNS8_6TensorESD_SD_EERKSD_lbbbEUlllE1_EE10hipError_tPvRmT2_T3_mT4_P12ihipStream_tbEUlT_E_NS1_11comp_targetILNS1_3genE8ELNS1_11target_archE1030ELNS1_3gpuE2ELNS1_3repE0EEENS1_30default_config_static_selectorELNS0_4arch9wavefront6targetE1EEEvT1_
                                        ; -- End function
	.section	.AMDGPU.csdata,"",@progbits
; Kernel info:
; codeLenInByte = 0
; NumSgprs: 6
; NumVgprs: 0
; NumAgprs: 0
; TotalNumVgprs: 0
; ScratchSize: 0
; MemoryBound: 0
; FloatMode: 240
; IeeeMode: 1
; LDSByteSize: 0 bytes/workgroup (compile time only)
; SGPRBlocks: 0
; VGPRBlocks: 0
; NumSGPRsForWavesPerEU: 6
; NumVGPRsForWavesPerEU: 1
; AccumOffset: 4
; Occupancy: 8
; WaveLimiterHint : 0
; COMPUTE_PGM_RSRC2:SCRATCH_EN: 0
; COMPUTE_PGM_RSRC2:USER_SGPR: 2
; COMPUTE_PGM_RSRC2:TRAP_HANDLER: 0
; COMPUTE_PGM_RSRC2:TGID_X_EN: 1
; COMPUTE_PGM_RSRC2:TGID_Y_EN: 0
; COMPUTE_PGM_RSRC2:TGID_Z_EN: 0
; COMPUTE_PGM_RSRC2:TIDIG_COMP_CNT: 0
; COMPUTE_PGM_RSRC3_GFX90A:ACCUM_OFFSET: 0
; COMPUTE_PGM_RSRC3_GFX90A:TG_SPLIT: 0
	.section	.text._ZN7rocprim17ROCPRIM_400000_NS6detail17trampoline_kernelINS0_14default_configENS1_25transform_config_selectorIlLb0EEEZNS1_14transform_implILb0ES3_S5_NS0_18transform_iteratorINS0_17counting_iteratorImlEEZNS1_24adjacent_difference_implIS3_Lb1ELb0EPlSB_ZN2at6native12_GLOBAL__N_124unique_dim_cuda_templateImEESt5tupleIJNSC_6TensorESH_SH_EERKSH_lbbbEUlllE1_EE10hipError_tPvRmT2_T3_mT4_P12ihipStream_tbEUlmE_lEESB_NS0_8identityIvEEEESM_SP_SQ_mSR_ST_bEUlT_E_NS1_11comp_targetILNS1_3genE0ELNS1_11target_archE4294967295ELNS1_3gpuE0ELNS1_3repE0EEENS1_30default_config_static_selectorELNS0_4arch9wavefront6targetE1EEEvT1_,"axG",@progbits,_ZN7rocprim17ROCPRIM_400000_NS6detail17trampoline_kernelINS0_14default_configENS1_25transform_config_selectorIlLb0EEEZNS1_14transform_implILb0ES3_S5_NS0_18transform_iteratorINS0_17counting_iteratorImlEEZNS1_24adjacent_difference_implIS3_Lb1ELb0EPlSB_ZN2at6native12_GLOBAL__N_124unique_dim_cuda_templateImEESt5tupleIJNSC_6TensorESH_SH_EERKSH_lbbbEUlllE1_EE10hipError_tPvRmT2_T3_mT4_P12ihipStream_tbEUlmE_lEESB_NS0_8identityIvEEEESM_SP_SQ_mSR_ST_bEUlT_E_NS1_11comp_targetILNS1_3genE0ELNS1_11target_archE4294967295ELNS1_3gpuE0ELNS1_3repE0EEENS1_30default_config_static_selectorELNS0_4arch9wavefront6targetE1EEEvT1_,comdat
	.globl	_ZN7rocprim17ROCPRIM_400000_NS6detail17trampoline_kernelINS0_14default_configENS1_25transform_config_selectorIlLb0EEEZNS1_14transform_implILb0ES3_S5_NS0_18transform_iteratorINS0_17counting_iteratorImlEEZNS1_24adjacent_difference_implIS3_Lb1ELb0EPlSB_ZN2at6native12_GLOBAL__N_124unique_dim_cuda_templateImEESt5tupleIJNSC_6TensorESH_SH_EERKSH_lbbbEUlllE1_EE10hipError_tPvRmT2_T3_mT4_P12ihipStream_tbEUlmE_lEESB_NS0_8identityIvEEEESM_SP_SQ_mSR_ST_bEUlT_E_NS1_11comp_targetILNS1_3genE0ELNS1_11target_archE4294967295ELNS1_3gpuE0ELNS1_3repE0EEENS1_30default_config_static_selectorELNS0_4arch9wavefront6targetE1EEEvT1_ ; -- Begin function _ZN7rocprim17ROCPRIM_400000_NS6detail17trampoline_kernelINS0_14default_configENS1_25transform_config_selectorIlLb0EEEZNS1_14transform_implILb0ES3_S5_NS0_18transform_iteratorINS0_17counting_iteratorImlEEZNS1_24adjacent_difference_implIS3_Lb1ELb0EPlSB_ZN2at6native12_GLOBAL__N_124unique_dim_cuda_templateImEESt5tupleIJNSC_6TensorESH_SH_EERKSH_lbbbEUlllE1_EE10hipError_tPvRmT2_T3_mT4_P12ihipStream_tbEUlmE_lEESB_NS0_8identityIvEEEESM_SP_SQ_mSR_ST_bEUlT_E_NS1_11comp_targetILNS1_3genE0ELNS1_11target_archE4294967295ELNS1_3gpuE0ELNS1_3repE0EEENS1_30default_config_static_selectorELNS0_4arch9wavefront6targetE1EEEvT1_
	.p2align	8
	.type	_ZN7rocprim17ROCPRIM_400000_NS6detail17trampoline_kernelINS0_14default_configENS1_25transform_config_selectorIlLb0EEEZNS1_14transform_implILb0ES3_S5_NS0_18transform_iteratorINS0_17counting_iteratorImlEEZNS1_24adjacent_difference_implIS3_Lb1ELb0EPlSB_ZN2at6native12_GLOBAL__N_124unique_dim_cuda_templateImEESt5tupleIJNSC_6TensorESH_SH_EERKSH_lbbbEUlllE1_EE10hipError_tPvRmT2_T3_mT4_P12ihipStream_tbEUlmE_lEESB_NS0_8identityIvEEEESM_SP_SQ_mSR_ST_bEUlT_E_NS1_11comp_targetILNS1_3genE0ELNS1_11target_archE4294967295ELNS1_3gpuE0ELNS1_3repE0EEENS1_30default_config_static_selectorELNS0_4arch9wavefront6targetE1EEEvT1_,@function
_ZN7rocprim17ROCPRIM_400000_NS6detail17trampoline_kernelINS0_14default_configENS1_25transform_config_selectorIlLb0EEEZNS1_14transform_implILb0ES3_S5_NS0_18transform_iteratorINS0_17counting_iteratorImlEEZNS1_24adjacent_difference_implIS3_Lb1ELb0EPlSB_ZN2at6native12_GLOBAL__N_124unique_dim_cuda_templateImEESt5tupleIJNSC_6TensorESH_SH_EERKSH_lbbbEUlllE1_EE10hipError_tPvRmT2_T3_mT4_P12ihipStream_tbEUlmE_lEESB_NS0_8identityIvEEEESM_SP_SQ_mSR_ST_bEUlT_E_NS1_11comp_targetILNS1_3genE0ELNS1_11target_archE4294967295ELNS1_3gpuE0ELNS1_3repE0EEENS1_30default_config_static_selectorELNS0_4arch9wavefront6targetE1EEEvT1_: ; @_ZN7rocprim17ROCPRIM_400000_NS6detail17trampoline_kernelINS0_14default_configENS1_25transform_config_selectorIlLb0EEEZNS1_14transform_implILb0ES3_S5_NS0_18transform_iteratorINS0_17counting_iteratorImlEEZNS1_24adjacent_difference_implIS3_Lb1ELb0EPlSB_ZN2at6native12_GLOBAL__N_124unique_dim_cuda_templateImEESt5tupleIJNSC_6TensorESH_SH_EERKSH_lbbbEUlllE1_EE10hipError_tPvRmT2_T3_mT4_P12ihipStream_tbEUlmE_lEESB_NS0_8identityIvEEEESM_SP_SQ_mSR_ST_bEUlT_E_NS1_11comp_targetILNS1_3genE0ELNS1_11target_archE4294967295ELNS1_3gpuE0ELNS1_3repE0EEENS1_30default_config_static_selectorELNS0_4arch9wavefront6targetE1EEEvT1_
; %bb.0:
	.section	.rodata,"a",@progbits
	.p2align	6, 0x0
	.amdhsa_kernel _ZN7rocprim17ROCPRIM_400000_NS6detail17trampoline_kernelINS0_14default_configENS1_25transform_config_selectorIlLb0EEEZNS1_14transform_implILb0ES3_S5_NS0_18transform_iteratorINS0_17counting_iteratorImlEEZNS1_24adjacent_difference_implIS3_Lb1ELb0EPlSB_ZN2at6native12_GLOBAL__N_124unique_dim_cuda_templateImEESt5tupleIJNSC_6TensorESH_SH_EERKSH_lbbbEUlllE1_EE10hipError_tPvRmT2_T3_mT4_P12ihipStream_tbEUlmE_lEESB_NS0_8identityIvEEEESM_SP_SQ_mSR_ST_bEUlT_E_NS1_11comp_targetILNS1_3genE0ELNS1_11target_archE4294967295ELNS1_3gpuE0ELNS1_3repE0EEENS1_30default_config_static_selectorELNS0_4arch9wavefront6targetE1EEEvT1_
		.amdhsa_group_segment_fixed_size 0
		.amdhsa_private_segment_fixed_size 0
		.amdhsa_kernarg_size 56
		.amdhsa_user_sgpr_count 2
		.amdhsa_user_sgpr_dispatch_ptr 0
		.amdhsa_user_sgpr_queue_ptr 0
		.amdhsa_user_sgpr_kernarg_segment_ptr 1
		.amdhsa_user_sgpr_dispatch_id 0
		.amdhsa_user_sgpr_kernarg_preload_length 0
		.amdhsa_user_sgpr_kernarg_preload_offset 0
		.amdhsa_user_sgpr_private_segment_size 0
		.amdhsa_uses_dynamic_stack 0
		.amdhsa_enable_private_segment 0
		.amdhsa_system_sgpr_workgroup_id_x 1
		.amdhsa_system_sgpr_workgroup_id_y 0
		.amdhsa_system_sgpr_workgroup_id_z 0
		.amdhsa_system_sgpr_workgroup_info 0
		.amdhsa_system_vgpr_workitem_id 0
		.amdhsa_next_free_vgpr 1
		.amdhsa_next_free_sgpr 0
		.amdhsa_accum_offset 4
		.amdhsa_reserve_vcc 0
		.amdhsa_float_round_mode_32 0
		.amdhsa_float_round_mode_16_64 0
		.amdhsa_float_denorm_mode_32 3
		.amdhsa_float_denorm_mode_16_64 3
		.amdhsa_dx10_clamp 1
		.amdhsa_ieee_mode 1
		.amdhsa_fp16_overflow 0
		.amdhsa_tg_split 0
		.amdhsa_exception_fp_ieee_invalid_op 0
		.amdhsa_exception_fp_denorm_src 0
		.amdhsa_exception_fp_ieee_div_zero 0
		.amdhsa_exception_fp_ieee_overflow 0
		.amdhsa_exception_fp_ieee_underflow 0
		.amdhsa_exception_fp_ieee_inexact 0
		.amdhsa_exception_int_div_zero 0
	.end_amdhsa_kernel
	.section	.text._ZN7rocprim17ROCPRIM_400000_NS6detail17trampoline_kernelINS0_14default_configENS1_25transform_config_selectorIlLb0EEEZNS1_14transform_implILb0ES3_S5_NS0_18transform_iteratorINS0_17counting_iteratorImlEEZNS1_24adjacent_difference_implIS3_Lb1ELb0EPlSB_ZN2at6native12_GLOBAL__N_124unique_dim_cuda_templateImEESt5tupleIJNSC_6TensorESH_SH_EERKSH_lbbbEUlllE1_EE10hipError_tPvRmT2_T3_mT4_P12ihipStream_tbEUlmE_lEESB_NS0_8identityIvEEEESM_SP_SQ_mSR_ST_bEUlT_E_NS1_11comp_targetILNS1_3genE0ELNS1_11target_archE4294967295ELNS1_3gpuE0ELNS1_3repE0EEENS1_30default_config_static_selectorELNS0_4arch9wavefront6targetE1EEEvT1_,"axG",@progbits,_ZN7rocprim17ROCPRIM_400000_NS6detail17trampoline_kernelINS0_14default_configENS1_25transform_config_selectorIlLb0EEEZNS1_14transform_implILb0ES3_S5_NS0_18transform_iteratorINS0_17counting_iteratorImlEEZNS1_24adjacent_difference_implIS3_Lb1ELb0EPlSB_ZN2at6native12_GLOBAL__N_124unique_dim_cuda_templateImEESt5tupleIJNSC_6TensorESH_SH_EERKSH_lbbbEUlllE1_EE10hipError_tPvRmT2_T3_mT4_P12ihipStream_tbEUlmE_lEESB_NS0_8identityIvEEEESM_SP_SQ_mSR_ST_bEUlT_E_NS1_11comp_targetILNS1_3genE0ELNS1_11target_archE4294967295ELNS1_3gpuE0ELNS1_3repE0EEENS1_30default_config_static_selectorELNS0_4arch9wavefront6targetE1EEEvT1_,comdat
.Lfunc_end1657:
	.size	_ZN7rocprim17ROCPRIM_400000_NS6detail17trampoline_kernelINS0_14default_configENS1_25transform_config_selectorIlLb0EEEZNS1_14transform_implILb0ES3_S5_NS0_18transform_iteratorINS0_17counting_iteratorImlEEZNS1_24adjacent_difference_implIS3_Lb1ELb0EPlSB_ZN2at6native12_GLOBAL__N_124unique_dim_cuda_templateImEESt5tupleIJNSC_6TensorESH_SH_EERKSH_lbbbEUlllE1_EE10hipError_tPvRmT2_T3_mT4_P12ihipStream_tbEUlmE_lEESB_NS0_8identityIvEEEESM_SP_SQ_mSR_ST_bEUlT_E_NS1_11comp_targetILNS1_3genE0ELNS1_11target_archE4294967295ELNS1_3gpuE0ELNS1_3repE0EEENS1_30default_config_static_selectorELNS0_4arch9wavefront6targetE1EEEvT1_, .Lfunc_end1657-_ZN7rocprim17ROCPRIM_400000_NS6detail17trampoline_kernelINS0_14default_configENS1_25transform_config_selectorIlLb0EEEZNS1_14transform_implILb0ES3_S5_NS0_18transform_iteratorINS0_17counting_iteratorImlEEZNS1_24adjacent_difference_implIS3_Lb1ELb0EPlSB_ZN2at6native12_GLOBAL__N_124unique_dim_cuda_templateImEESt5tupleIJNSC_6TensorESH_SH_EERKSH_lbbbEUlllE1_EE10hipError_tPvRmT2_T3_mT4_P12ihipStream_tbEUlmE_lEESB_NS0_8identityIvEEEESM_SP_SQ_mSR_ST_bEUlT_E_NS1_11comp_targetILNS1_3genE0ELNS1_11target_archE4294967295ELNS1_3gpuE0ELNS1_3repE0EEENS1_30default_config_static_selectorELNS0_4arch9wavefront6targetE1EEEvT1_
                                        ; -- End function
	.section	.AMDGPU.csdata,"",@progbits
; Kernel info:
; codeLenInByte = 0
; NumSgprs: 6
; NumVgprs: 0
; NumAgprs: 0
; TotalNumVgprs: 0
; ScratchSize: 0
; MemoryBound: 0
; FloatMode: 240
; IeeeMode: 1
; LDSByteSize: 0 bytes/workgroup (compile time only)
; SGPRBlocks: 0
; VGPRBlocks: 0
; NumSGPRsForWavesPerEU: 6
; NumVGPRsForWavesPerEU: 1
; AccumOffset: 4
; Occupancy: 8
; WaveLimiterHint : 0
; COMPUTE_PGM_RSRC2:SCRATCH_EN: 0
; COMPUTE_PGM_RSRC2:USER_SGPR: 2
; COMPUTE_PGM_RSRC2:TRAP_HANDLER: 0
; COMPUTE_PGM_RSRC2:TGID_X_EN: 1
; COMPUTE_PGM_RSRC2:TGID_Y_EN: 0
; COMPUTE_PGM_RSRC2:TGID_Z_EN: 0
; COMPUTE_PGM_RSRC2:TIDIG_COMP_CNT: 0
; COMPUTE_PGM_RSRC3_GFX90A:ACCUM_OFFSET: 0
; COMPUTE_PGM_RSRC3_GFX90A:TG_SPLIT: 0
	.section	.text._ZN7rocprim17ROCPRIM_400000_NS6detail17trampoline_kernelINS0_14default_configENS1_25transform_config_selectorIlLb0EEEZNS1_14transform_implILb0ES3_S5_NS0_18transform_iteratorINS0_17counting_iteratorImlEEZNS1_24adjacent_difference_implIS3_Lb1ELb0EPlSB_ZN2at6native12_GLOBAL__N_124unique_dim_cuda_templateImEESt5tupleIJNSC_6TensorESH_SH_EERKSH_lbbbEUlllE1_EE10hipError_tPvRmT2_T3_mT4_P12ihipStream_tbEUlmE_lEESB_NS0_8identityIvEEEESM_SP_SQ_mSR_ST_bEUlT_E_NS1_11comp_targetILNS1_3genE5ELNS1_11target_archE942ELNS1_3gpuE9ELNS1_3repE0EEENS1_30default_config_static_selectorELNS0_4arch9wavefront6targetE1EEEvT1_,"axG",@progbits,_ZN7rocprim17ROCPRIM_400000_NS6detail17trampoline_kernelINS0_14default_configENS1_25transform_config_selectorIlLb0EEEZNS1_14transform_implILb0ES3_S5_NS0_18transform_iteratorINS0_17counting_iteratorImlEEZNS1_24adjacent_difference_implIS3_Lb1ELb0EPlSB_ZN2at6native12_GLOBAL__N_124unique_dim_cuda_templateImEESt5tupleIJNSC_6TensorESH_SH_EERKSH_lbbbEUlllE1_EE10hipError_tPvRmT2_T3_mT4_P12ihipStream_tbEUlmE_lEESB_NS0_8identityIvEEEESM_SP_SQ_mSR_ST_bEUlT_E_NS1_11comp_targetILNS1_3genE5ELNS1_11target_archE942ELNS1_3gpuE9ELNS1_3repE0EEENS1_30default_config_static_selectorELNS0_4arch9wavefront6targetE1EEEvT1_,comdat
	.globl	_ZN7rocprim17ROCPRIM_400000_NS6detail17trampoline_kernelINS0_14default_configENS1_25transform_config_selectorIlLb0EEEZNS1_14transform_implILb0ES3_S5_NS0_18transform_iteratorINS0_17counting_iteratorImlEEZNS1_24adjacent_difference_implIS3_Lb1ELb0EPlSB_ZN2at6native12_GLOBAL__N_124unique_dim_cuda_templateImEESt5tupleIJNSC_6TensorESH_SH_EERKSH_lbbbEUlllE1_EE10hipError_tPvRmT2_T3_mT4_P12ihipStream_tbEUlmE_lEESB_NS0_8identityIvEEEESM_SP_SQ_mSR_ST_bEUlT_E_NS1_11comp_targetILNS1_3genE5ELNS1_11target_archE942ELNS1_3gpuE9ELNS1_3repE0EEENS1_30default_config_static_selectorELNS0_4arch9wavefront6targetE1EEEvT1_ ; -- Begin function _ZN7rocprim17ROCPRIM_400000_NS6detail17trampoline_kernelINS0_14default_configENS1_25transform_config_selectorIlLb0EEEZNS1_14transform_implILb0ES3_S5_NS0_18transform_iteratorINS0_17counting_iteratorImlEEZNS1_24adjacent_difference_implIS3_Lb1ELb0EPlSB_ZN2at6native12_GLOBAL__N_124unique_dim_cuda_templateImEESt5tupleIJNSC_6TensorESH_SH_EERKSH_lbbbEUlllE1_EE10hipError_tPvRmT2_T3_mT4_P12ihipStream_tbEUlmE_lEESB_NS0_8identityIvEEEESM_SP_SQ_mSR_ST_bEUlT_E_NS1_11comp_targetILNS1_3genE5ELNS1_11target_archE942ELNS1_3gpuE9ELNS1_3repE0EEENS1_30default_config_static_selectorELNS0_4arch9wavefront6targetE1EEEvT1_
	.p2align	8
	.type	_ZN7rocprim17ROCPRIM_400000_NS6detail17trampoline_kernelINS0_14default_configENS1_25transform_config_selectorIlLb0EEEZNS1_14transform_implILb0ES3_S5_NS0_18transform_iteratorINS0_17counting_iteratorImlEEZNS1_24adjacent_difference_implIS3_Lb1ELb0EPlSB_ZN2at6native12_GLOBAL__N_124unique_dim_cuda_templateImEESt5tupleIJNSC_6TensorESH_SH_EERKSH_lbbbEUlllE1_EE10hipError_tPvRmT2_T3_mT4_P12ihipStream_tbEUlmE_lEESB_NS0_8identityIvEEEESM_SP_SQ_mSR_ST_bEUlT_E_NS1_11comp_targetILNS1_3genE5ELNS1_11target_archE942ELNS1_3gpuE9ELNS1_3repE0EEENS1_30default_config_static_selectorELNS0_4arch9wavefront6targetE1EEEvT1_,@function
_ZN7rocprim17ROCPRIM_400000_NS6detail17trampoline_kernelINS0_14default_configENS1_25transform_config_selectorIlLb0EEEZNS1_14transform_implILb0ES3_S5_NS0_18transform_iteratorINS0_17counting_iteratorImlEEZNS1_24adjacent_difference_implIS3_Lb1ELb0EPlSB_ZN2at6native12_GLOBAL__N_124unique_dim_cuda_templateImEESt5tupleIJNSC_6TensorESH_SH_EERKSH_lbbbEUlllE1_EE10hipError_tPvRmT2_T3_mT4_P12ihipStream_tbEUlmE_lEESB_NS0_8identityIvEEEESM_SP_SQ_mSR_ST_bEUlT_E_NS1_11comp_targetILNS1_3genE5ELNS1_11target_archE942ELNS1_3gpuE9ELNS1_3repE0EEENS1_30default_config_static_selectorELNS0_4arch9wavefront6targetE1EEEvT1_: ; @_ZN7rocprim17ROCPRIM_400000_NS6detail17trampoline_kernelINS0_14default_configENS1_25transform_config_selectorIlLb0EEEZNS1_14transform_implILb0ES3_S5_NS0_18transform_iteratorINS0_17counting_iteratorImlEEZNS1_24adjacent_difference_implIS3_Lb1ELb0EPlSB_ZN2at6native12_GLOBAL__N_124unique_dim_cuda_templateImEESt5tupleIJNSC_6TensorESH_SH_EERKSH_lbbbEUlllE1_EE10hipError_tPvRmT2_T3_mT4_P12ihipStream_tbEUlmE_lEESB_NS0_8identityIvEEEESM_SP_SQ_mSR_ST_bEUlT_E_NS1_11comp_targetILNS1_3genE5ELNS1_11target_archE942ELNS1_3gpuE9ELNS1_3repE0EEENS1_30default_config_static_selectorELNS0_4arch9wavefront6targetE1EEEvT1_
; %bb.0:
	s_load_dwordx4 s[8:11], s[0:1], 0x18
	s_load_dwordx2 s[12:13], s[0:1], 0x28
	s_load_dwordx4 s[4:7], s[0:1], 0x0
	s_load_dword s14, s[0:1], 0x10
	s_load_dword s3, s[0:1], 0x38
	s_waitcnt lgkmcnt(0)
	s_lshl_b64 s[0:1], s[8:9], 3
	s_add_u32 s11, s12, s0
	s_addc_u32 s16, s13, s1
	s_lshl_b32 s12, s2, 10
	s_add_i32 s3, s3, -1
	s_add_u32 s0, s4, s12
	s_addc_u32 s1, s5, 0
	s_add_u32 s4, s0, s8
	s_addc_u32 s5, s1, s9
	s_mov_b32 s13, 0
	s_cmp_lg_u32 s2, s3
	v_lshlrev_b32_e32 v6, 3, v0
	s_cbranch_scc0 .LBB1658_2
; %bb.1:
	v_mov_b32_e32 v1, 0
	v_lshl_add_u64 v[2:3], s[4:5], 0, v[0:1]
	v_mad_u64_u32 v[4:5], s[0:1], v2, s14, 0
	v_mov_b32_e32 v2, v5
	v_mad_u64_u32 v[2:3], s[0:1], v3, s14, v[2:3]
	s_mov_b32 s15, s13
	v_mov_b32_e32 v5, v2
	v_lshl_add_u64 v[2:3], v[4:5], 3, s[6:7]
	s_lshl_b64 s[0:1], s[14:15], 12
	global_load_dwordx2 v[10:11], v[2:3], off
	v_lshl_add_u64 v[2:3], v[2:3], 0, s[0:1]
	global_load_dwordx2 v[4:5], v[2:3], off
	s_lshl_b64 s[2:3], s[12:13], 3
	s_add_u32 s2, s11, s2
	v_mov_b32_e32 v7, v1
	s_addc_u32 s3, s16, s3
	v_lshl_add_u64 v[8:9], s[2:3], 0, v[6:7]
	s_waitcnt vmcnt(1)
	global_store_dwordx2 v6, v[10:11], s[2:3]
	s_mov_b64 s[2:3], -1
	s_cbranch_execz .LBB1658_3
	s_branch .LBB1658_12
.LBB1658_2:
	s_mov_b64 s[2:3], 0
                                        ; implicit-def: $vgpr4_vgpr5
                                        ; implicit-def: $vgpr8_vgpr9
.LBB1658_3:
	s_sub_i32 s8, s10, s12
	v_cmp_gt_u32_e32 vcc, s8, v0
                                        ; implicit-def: $vgpr2_vgpr3_vgpr4_vgpr5
	s_and_saveexec_b64 s[0:1], vcc
	s_cbranch_execz .LBB1658_5
; %bb.4:
	v_mov_b32_e32 v1, 0
	v_lshl_add_u64 v[2:3], s[4:5], 0, v[0:1]
	s_waitcnt vmcnt(1)
	v_mad_u64_u32 v[4:5], s[18:19], v2, s14, 0
	v_mov_b32_e32 v2, v5
	v_mad_u64_u32 v[2:3], s[18:19], v3, s14, v[2:3]
	v_mov_b32_e32 v5, v2
	v_lshl_add_u64 v[2:3], v[4:5], 3, s[6:7]
	global_load_dwordx2 v[2:3], v[2:3], off
.LBB1658_5:
	s_or_b64 exec, exec, s[0:1]
	v_or_b32_e32 v0, 0x200, v0
	v_cmp_gt_u32_e64 s[0:1], s8, v0
	s_and_saveexec_b64 s[8:9], s[0:1]
	s_cbranch_execz .LBB1658_7
; %bb.6:
	v_mov_b32_e32 v1, 0
	v_lshl_add_u64 v[0:1], s[4:5], 0, v[0:1]
	s_waitcnt vmcnt(1)
	v_mad_u64_u32 v[4:5], s[4:5], v0, s14, 0
	v_mov_b32_e32 v0, v5
	v_mad_u64_u32 v[0:1], s[4:5], v1, s14, v[0:1]
	v_mov_b32_e32 v5, v0
	v_lshl_add_u64 v[0:1], v[4:5], 3, s[6:7]
	global_load_dwordx2 v[4:5], v[0:1], off
.LBB1658_7:
	s_or_b64 exec, exec, s[8:9]
	s_lshl_b64 s[4:5], s[12:13], 3
	s_add_u32 s4, s11, s4
	s_addc_u32 s5, s16, s5
	v_mov_b32_e32 v7, 0
	v_lshl_add_u64 v[8:9], s[4:5], 0, v[6:7]
	s_and_saveexec_b64 s[4:5], vcc
	s_cbranch_execz .LBB1658_9
; %bb.8:
	s_waitcnt vmcnt(0)
	global_store_dwordx2 v[8:9], v[2:3], off
.LBB1658_9:
	s_or_b64 exec, exec, s[4:5]
	s_and_saveexec_b64 s[4:5], s[0:1]
; %bb.10:
	s_or_b64 s[2:3], s[2:3], exec
; %bb.11:
	s_or_b64 exec, exec, s[4:5]
.LBB1658_12:
	s_and_saveexec_b64 s[0:1], s[2:3]
	s_cbranch_execnz .LBB1658_14
; %bb.13:
	s_endpgm
.LBB1658_14:
	v_add_co_u32_e32 v0, vcc, 0x1000, v8
	s_nop 1
	v_addc_co_u32_e32 v1, vcc, 0, v9, vcc
	s_waitcnt vmcnt(0)
	global_store_dwordx2 v[0:1], v[4:5], off
	s_endpgm
	.section	.rodata,"a",@progbits
	.p2align	6, 0x0
	.amdhsa_kernel _ZN7rocprim17ROCPRIM_400000_NS6detail17trampoline_kernelINS0_14default_configENS1_25transform_config_selectorIlLb0EEEZNS1_14transform_implILb0ES3_S5_NS0_18transform_iteratorINS0_17counting_iteratorImlEEZNS1_24adjacent_difference_implIS3_Lb1ELb0EPlSB_ZN2at6native12_GLOBAL__N_124unique_dim_cuda_templateImEESt5tupleIJNSC_6TensorESH_SH_EERKSH_lbbbEUlllE1_EE10hipError_tPvRmT2_T3_mT4_P12ihipStream_tbEUlmE_lEESB_NS0_8identityIvEEEESM_SP_SQ_mSR_ST_bEUlT_E_NS1_11comp_targetILNS1_3genE5ELNS1_11target_archE942ELNS1_3gpuE9ELNS1_3repE0EEENS1_30default_config_static_selectorELNS0_4arch9wavefront6targetE1EEEvT1_
		.amdhsa_group_segment_fixed_size 0
		.amdhsa_private_segment_fixed_size 0
		.amdhsa_kernarg_size 312
		.amdhsa_user_sgpr_count 2
		.amdhsa_user_sgpr_dispatch_ptr 0
		.amdhsa_user_sgpr_queue_ptr 0
		.amdhsa_user_sgpr_kernarg_segment_ptr 1
		.amdhsa_user_sgpr_dispatch_id 0
		.amdhsa_user_sgpr_kernarg_preload_length 0
		.amdhsa_user_sgpr_kernarg_preload_offset 0
		.amdhsa_user_sgpr_private_segment_size 0
		.amdhsa_uses_dynamic_stack 0
		.amdhsa_enable_private_segment 0
		.amdhsa_system_sgpr_workgroup_id_x 1
		.amdhsa_system_sgpr_workgroup_id_y 0
		.amdhsa_system_sgpr_workgroup_id_z 0
		.amdhsa_system_sgpr_workgroup_info 0
		.amdhsa_system_vgpr_workitem_id 0
		.amdhsa_next_free_vgpr 12
		.amdhsa_next_free_sgpr 20
		.amdhsa_accum_offset 12
		.amdhsa_reserve_vcc 1
		.amdhsa_float_round_mode_32 0
		.amdhsa_float_round_mode_16_64 0
		.amdhsa_float_denorm_mode_32 3
		.amdhsa_float_denorm_mode_16_64 3
		.amdhsa_dx10_clamp 1
		.amdhsa_ieee_mode 1
		.amdhsa_fp16_overflow 0
		.amdhsa_tg_split 0
		.amdhsa_exception_fp_ieee_invalid_op 0
		.amdhsa_exception_fp_denorm_src 0
		.amdhsa_exception_fp_ieee_div_zero 0
		.amdhsa_exception_fp_ieee_overflow 0
		.amdhsa_exception_fp_ieee_underflow 0
		.amdhsa_exception_fp_ieee_inexact 0
		.amdhsa_exception_int_div_zero 0
	.end_amdhsa_kernel
	.section	.text._ZN7rocprim17ROCPRIM_400000_NS6detail17trampoline_kernelINS0_14default_configENS1_25transform_config_selectorIlLb0EEEZNS1_14transform_implILb0ES3_S5_NS0_18transform_iteratorINS0_17counting_iteratorImlEEZNS1_24adjacent_difference_implIS3_Lb1ELb0EPlSB_ZN2at6native12_GLOBAL__N_124unique_dim_cuda_templateImEESt5tupleIJNSC_6TensorESH_SH_EERKSH_lbbbEUlllE1_EE10hipError_tPvRmT2_T3_mT4_P12ihipStream_tbEUlmE_lEESB_NS0_8identityIvEEEESM_SP_SQ_mSR_ST_bEUlT_E_NS1_11comp_targetILNS1_3genE5ELNS1_11target_archE942ELNS1_3gpuE9ELNS1_3repE0EEENS1_30default_config_static_selectorELNS0_4arch9wavefront6targetE1EEEvT1_,"axG",@progbits,_ZN7rocprim17ROCPRIM_400000_NS6detail17trampoline_kernelINS0_14default_configENS1_25transform_config_selectorIlLb0EEEZNS1_14transform_implILb0ES3_S5_NS0_18transform_iteratorINS0_17counting_iteratorImlEEZNS1_24adjacent_difference_implIS3_Lb1ELb0EPlSB_ZN2at6native12_GLOBAL__N_124unique_dim_cuda_templateImEESt5tupleIJNSC_6TensorESH_SH_EERKSH_lbbbEUlllE1_EE10hipError_tPvRmT2_T3_mT4_P12ihipStream_tbEUlmE_lEESB_NS0_8identityIvEEEESM_SP_SQ_mSR_ST_bEUlT_E_NS1_11comp_targetILNS1_3genE5ELNS1_11target_archE942ELNS1_3gpuE9ELNS1_3repE0EEENS1_30default_config_static_selectorELNS0_4arch9wavefront6targetE1EEEvT1_,comdat
.Lfunc_end1658:
	.size	_ZN7rocprim17ROCPRIM_400000_NS6detail17trampoline_kernelINS0_14default_configENS1_25transform_config_selectorIlLb0EEEZNS1_14transform_implILb0ES3_S5_NS0_18transform_iteratorINS0_17counting_iteratorImlEEZNS1_24adjacent_difference_implIS3_Lb1ELb0EPlSB_ZN2at6native12_GLOBAL__N_124unique_dim_cuda_templateImEESt5tupleIJNSC_6TensorESH_SH_EERKSH_lbbbEUlllE1_EE10hipError_tPvRmT2_T3_mT4_P12ihipStream_tbEUlmE_lEESB_NS0_8identityIvEEEESM_SP_SQ_mSR_ST_bEUlT_E_NS1_11comp_targetILNS1_3genE5ELNS1_11target_archE942ELNS1_3gpuE9ELNS1_3repE0EEENS1_30default_config_static_selectorELNS0_4arch9wavefront6targetE1EEEvT1_, .Lfunc_end1658-_ZN7rocprim17ROCPRIM_400000_NS6detail17trampoline_kernelINS0_14default_configENS1_25transform_config_selectorIlLb0EEEZNS1_14transform_implILb0ES3_S5_NS0_18transform_iteratorINS0_17counting_iteratorImlEEZNS1_24adjacent_difference_implIS3_Lb1ELb0EPlSB_ZN2at6native12_GLOBAL__N_124unique_dim_cuda_templateImEESt5tupleIJNSC_6TensorESH_SH_EERKSH_lbbbEUlllE1_EE10hipError_tPvRmT2_T3_mT4_P12ihipStream_tbEUlmE_lEESB_NS0_8identityIvEEEESM_SP_SQ_mSR_ST_bEUlT_E_NS1_11comp_targetILNS1_3genE5ELNS1_11target_archE942ELNS1_3gpuE9ELNS1_3repE0EEENS1_30default_config_static_selectorELNS0_4arch9wavefront6targetE1EEEvT1_
                                        ; -- End function
	.section	.AMDGPU.csdata,"",@progbits
; Kernel info:
; codeLenInByte = 488
; NumSgprs: 26
; NumVgprs: 12
; NumAgprs: 0
; TotalNumVgprs: 12
; ScratchSize: 0
; MemoryBound: 0
; FloatMode: 240
; IeeeMode: 1
; LDSByteSize: 0 bytes/workgroup (compile time only)
; SGPRBlocks: 3
; VGPRBlocks: 1
; NumSGPRsForWavesPerEU: 26
; NumVGPRsForWavesPerEU: 12
; AccumOffset: 12
; Occupancy: 8
; WaveLimiterHint : 0
; COMPUTE_PGM_RSRC2:SCRATCH_EN: 0
; COMPUTE_PGM_RSRC2:USER_SGPR: 2
; COMPUTE_PGM_RSRC2:TRAP_HANDLER: 0
; COMPUTE_PGM_RSRC2:TGID_X_EN: 1
; COMPUTE_PGM_RSRC2:TGID_Y_EN: 0
; COMPUTE_PGM_RSRC2:TGID_Z_EN: 0
; COMPUTE_PGM_RSRC2:TIDIG_COMP_CNT: 0
; COMPUTE_PGM_RSRC3_GFX90A:ACCUM_OFFSET: 2
; COMPUTE_PGM_RSRC3_GFX90A:TG_SPLIT: 0
	.section	.text._ZN7rocprim17ROCPRIM_400000_NS6detail17trampoline_kernelINS0_14default_configENS1_25transform_config_selectorIlLb0EEEZNS1_14transform_implILb0ES3_S5_NS0_18transform_iteratorINS0_17counting_iteratorImlEEZNS1_24adjacent_difference_implIS3_Lb1ELb0EPlSB_ZN2at6native12_GLOBAL__N_124unique_dim_cuda_templateImEESt5tupleIJNSC_6TensorESH_SH_EERKSH_lbbbEUlllE1_EE10hipError_tPvRmT2_T3_mT4_P12ihipStream_tbEUlmE_lEESB_NS0_8identityIvEEEESM_SP_SQ_mSR_ST_bEUlT_E_NS1_11comp_targetILNS1_3genE4ELNS1_11target_archE910ELNS1_3gpuE8ELNS1_3repE0EEENS1_30default_config_static_selectorELNS0_4arch9wavefront6targetE1EEEvT1_,"axG",@progbits,_ZN7rocprim17ROCPRIM_400000_NS6detail17trampoline_kernelINS0_14default_configENS1_25transform_config_selectorIlLb0EEEZNS1_14transform_implILb0ES3_S5_NS0_18transform_iteratorINS0_17counting_iteratorImlEEZNS1_24adjacent_difference_implIS3_Lb1ELb0EPlSB_ZN2at6native12_GLOBAL__N_124unique_dim_cuda_templateImEESt5tupleIJNSC_6TensorESH_SH_EERKSH_lbbbEUlllE1_EE10hipError_tPvRmT2_T3_mT4_P12ihipStream_tbEUlmE_lEESB_NS0_8identityIvEEEESM_SP_SQ_mSR_ST_bEUlT_E_NS1_11comp_targetILNS1_3genE4ELNS1_11target_archE910ELNS1_3gpuE8ELNS1_3repE0EEENS1_30default_config_static_selectorELNS0_4arch9wavefront6targetE1EEEvT1_,comdat
	.globl	_ZN7rocprim17ROCPRIM_400000_NS6detail17trampoline_kernelINS0_14default_configENS1_25transform_config_selectorIlLb0EEEZNS1_14transform_implILb0ES3_S5_NS0_18transform_iteratorINS0_17counting_iteratorImlEEZNS1_24adjacent_difference_implIS3_Lb1ELb0EPlSB_ZN2at6native12_GLOBAL__N_124unique_dim_cuda_templateImEESt5tupleIJNSC_6TensorESH_SH_EERKSH_lbbbEUlllE1_EE10hipError_tPvRmT2_T3_mT4_P12ihipStream_tbEUlmE_lEESB_NS0_8identityIvEEEESM_SP_SQ_mSR_ST_bEUlT_E_NS1_11comp_targetILNS1_3genE4ELNS1_11target_archE910ELNS1_3gpuE8ELNS1_3repE0EEENS1_30default_config_static_selectorELNS0_4arch9wavefront6targetE1EEEvT1_ ; -- Begin function _ZN7rocprim17ROCPRIM_400000_NS6detail17trampoline_kernelINS0_14default_configENS1_25transform_config_selectorIlLb0EEEZNS1_14transform_implILb0ES3_S5_NS0_18transform_iteratorINS0_17counting_iteratorImlEEZNS1_24adjacent_difference_implIS3_Lb1ELb0EPlSB_ZN2at6native12_GLOBAL__N_124unique_dim_cuda_templateImEESt5tupleIJNSC_6TensorESH_SH_EERKSH_lbbbEUlllE1_EE10hipError_tPvRmT2_T3_mT4_P12ihipStream_tbEUlmE_lEESB_NS0_8identityIvEEEESM_SP_SQ_mSR_ST_bEUlT_E_NS1_11comp_targetILNS1_3genE4ELNS1_11target_archE910ELNS1_3gpuE8ELNS1_3repE0EEENS1_30default_config_static_selectorELNS0_4arch9wavefront6targetE1EEEvT1_
	.p2align	8
	.type	_ZN7rocprim17ROCPRIM_400000_NS6detail17trampoline_kernelINS0_14default_configENS1_25transform_config_selectorIlLb0EEEZNS1_14transform_implILb0ES3_S5_NS0_18transform_iteratorINS0_17counting_iteratorImlEEZNS1_24adjacent_difference_implIS3_Lb1ELb0EPlSB_ZN2at6native12_GLOBAL__N_124unique_dim_cuda_templateImEESt5tupleIJNSC_6TensorESH_SH_EERKSH_lbbbEUlllE1_EE10hipError_tPvRmT2_T3_mT4_P12ihipStream_tbEUlmE_lEESB_NS0_8identityIvEEEESM_SP_SQ_mSR_ST_bEUlT_E_NS1_11comp_targetILNS1_3genE4ELNS1_11target_archE910ELNS1_3gpuE8ELNS1_3repE0EEENS1_30default_config_static_selectorELNS0_4arch9wavefront6targetE1EEEvT1_,@function
_ZN7rocprim17ROCPRIM_400000_NS6detail17trampoline_kernelINS0_14default_configENS1_25transform_config_selectorIlLb0EEEZNS1_14transform_implILb0ES3_S5_NS0_18transform_iteratorINS0_17counting_iteratorImlEEZNS1_24adjacent_difference_implIS3_Lb1ELb0EPlSB_ZN2at6native12_GLOBAL__N_124unique_dim_cuda_templateImEESt5tupleIJNSC_6TensorESH_SH_EERKSH_lbbbEUlllE1_EE10hipError_tPvRmT2_T3_mT4_P12ihipStream_tbEUlmE_lEESB_NS0_8identityIvEEEESM_SP_SQ_mSR_ST_bEUlT_E_NS1_11comp_targetILNS1_3genE4ELNS1_11target_archE910ELNS1_3gpuE8ELNS1_3repE0EEENS1_30default_config_static_selectorELNS0_4arch9wavefront6targetE1EEEvT1_: ; @_ZN7rocprim17ROCPRIM_400000_NS6detail17trampoline_kernelINS0_14default_configENS1_25transform_config_selectorIlLb0EEEZNS1_14transform_implILb0ES3_S5_NS0_18transform_iteratorINS0_17counting_iteratorImlEEZNS1_24adjacent_difference_implIS3_Lb1ELb0EPlSB_ZN2at6native12_GLOBAL__N_124unique_dim_cuda_templateImEESt5tupleIJNSC_6TensorESH_SH_EERKSH_lbbbEUlllE1_EE10hipError_tPvRmT2_T3_mT4_P12ihipStream_tbEUlmE_lEESB_NS0_8identityIvEEEESM_SP_SQ_mSR_ST_bEUlT_E_NS1_11comp_targetILNS1_3genE4ELNS1_11target_archE910ELNS1_3gpuE8ELNS1_3repE0EEENS1_30default_config_static_selectorELNS0_4arch9wavefront6targetE1EEEvT1_
; %bb.0:
	.section	.rodata,"a",@progbits
	.p2align	6, 0x0
	.amdhsa_kernel _ZN7rocprim17ROCPRIM_400000_NS6detail17trampoline_kernelINS0_14default_configENS1_25transform_config_selectorIlLb0EEEZNS1_14transform_implILb0ES3_S5_NS0_18transform_iteratorINS0_17counting_iteratorImlEEZNS1_24adjacent_difference_implIS3_Lb1ELb0EPlSB_ZN2at6native12_GLOBAL__N_124unique_dim_cuda_templateImEESt5tupleIJNSC_6TensorESH_SH_EERKSH_lbbbEUlllE1_EE10hipError_tPvRmT2_T3_mT4_P12ihipStream_tbEUlmE_lEESB_NS0_8identityIvEEEESM_SP_SQ_mSR_ST_bEUlT_E_NS1_11comp_targetILNS1_3genE4ELNS1_11target_archE910ELNS1_3gpuE8ELNS1_3repE0EEENS1_30default_config_static_selectorELNS0_4arch9wavefront6targetE1EEEvT1_
		.amdhsa_group_segment_fixed_size 0
		.amdhsa_private_segment_fixed_size 0
		.amdhsa_kernarg_size 56
		.amdhsa_user_sgpr_count 2
		.amdhsa_user_sgpr_dispatch_ptr 0
		.amdhsa_user_sgpr_queue_ptr 0
		.amdhsa_user_sgpr_kernarg_segment_ptr 1
		.amdhsa_user_sgpr_dispatch_id 0
		.amdhsa_user_sgpr_kernarg_preload_length 0
		.amdhsa_user_sgpr_kernarg_preload_offset 0
		.amdhsa_user_sgpr_private_segment_size 0
		.amdhsa_uses_dynamic_stack 0
		.amdhsa_enable_private_segment 0
		.amdhsa_system_sgpr_workgroup_id_x 1
		.amdhsa_system_sgpr_workgroup_id_y 0
		.amdhsa_system_sgpr_workgroup_id_z 0
		.amdhsa_system_sgpr_workgroup_info 0
		.amdhsa_system_vgpr_workitem_id 0
		.amdhsa_next_free_vgpr 1
		.amdhsa_next_free_sgpr 0
		.amdhsa_accum_offset 4
		.amdhsa_reserve_vcc 0
		.amdhsa_float_round_mode_32 0
		.amdhsa_float_round_mode_16_64 0
		.amdhsa_float_denorm_mode_32 3
		.amdhsa_float_denorm_mode_16_64 3
		.amdhsa_dx10_clamp 1
		.amdhsa_ieee_mode 1
		.amdhsa_fp16_overflow 0
		.amdhsa_tg_split 0
		.amdhsa_exception_fp_ieee_invalid_op 0
		.amdhsa_exception_fp_denorm_src 0
		.amdhsa_exception_fp_ieee_div_zero 0
		.amdhsa_exception_fp_ieee_overflow 0
		.amdhsa_exception_fp_ieee_underflow 0
		.amdhsa_exception_fp_ieee_inexact 0
		.amdhsa_exception_int_div_zero 0
	.end_amdhsa_kernel
	.section	.text._ZN7rocprim17ROCPRIM_400000_NS6detail17trampoline_kernelINS0_14default_configENS1_25transform_config_selectorIlLb0EEEZNS1_14transform_implILb0ES3_S5_NS0_18transform_iteratorINS0_17counting_iteratorImlEEZNS1_24adjacent_difference_implIS3_Lb1ELb0EPlSB_ZN2at6native12_GLOBAL__N_124unique_dim_cuda_templateImEESt5tupleIJNSC_6TensorESH_SH_EERKSH_lbbbEUlllE1_EE10hipError_tPvRmT2_T3_mT4_P12ihipStream_tbEUlmE_lEESB_NS0_8identityIvEEEESM_SP_SQ_mSR_ST_bEUlT_E_NS1_11comp_targetILNS1_3genE4ELNS1_11target_archE910ELNS1_3gpuE8ELNS1_3repE0EEENS1_30default_config_static_selectorELNS0_4arch9wavefront6targetE1EEEvT1_,"axG",@progbits,_ZN7rocprim17ROCPRIM_400000_NS6detail17trampoline_kernelINS0_14default_configENS1_25transform_config_selectorIlLb0EEEZNS1_14transform_implILb0ES3_S5_NS0_18transform_iteratorINS0_17counting_iteratorImlEEZNS1_24adjacent_difference_implIS3_Lb1ELb0EPlSB_ZN2at6native12_GLOBAL__N_124unique_dim_cuda_templateImEESt5tupleIJNSC_6TensorESH_SH_EERKSH_lbbbEUlllE1_EE10hipError_tPvRmT2_T3_mT4_P12ihipStream_tbEUlmE_lEESB_NS0_8identityIvEEEESM_SP_SQ_mSR_ST_bEUlT_E_NS1_11comp_targetILNS1_3genE4ELNS1_11target_archE910ELNS1_3gpuE8ELNS1_3repE0EEENS1_30default_config_static_selectorELNS0_4arch9wavefront6targetE1EEEvT1_,comdat
.Lfunc_end1659:
	.size	_ZN7rocprim17ROCPRIM_400000_NS6detail17trampoline_kernelINS0_14default_configENS1_25transform_config_selectorIlLb0EEEZNS1_14transform_implILb0ES3_S5_NS0_18transform_iteratorINS0_17counting_iteratorImlEEZNS1_24adjacent_difference_implIS3_Lb1ELb0EPlSB_ZN2at6native12_GLOBAL__N_124unique_dim_cuda_templateImEESt5tupleIJNSC_6TensorESH_SH_EERKSH_lbbbEUlllE1_EE10hipError_tPvRmT2_T3_mT4_P12ihipStream_tbEUlmE_lEESB_NS0_8identityIvEEEESM_SP_SQ_mSR_ST_bEUlT_E_NS1_11comp_targetILNS1_3genE4ELNS1_11target_archE910ELNS1_3gpuE8ELNS1_3repE0EEENS1_30default_config_static_selectorELNS0_4arch9wavefront6targetE1EEEvT1_, .Lfunc_end1659-_ZN7rocprim17ROCPRIM_400000_NS6detail17trampoline_kernelINS0_14default_configENS1_25transform_config_selectorIlLb0EEEZNS1_14transform_implILb0ES3_S5_NS0_18transform_iteratorINS0_17counting_iteratorImlEEZNS1_24adjacent_difference_implIS3_Lb1ELb0EPlSB_ZN2at6native12_GLOBAL__N_124unique_dim_cuda_templateImEESt5tupleIJNSC_6TensorESH_SH_EERKSH_lbbbEUlllE1_EE10hipError_tPvRmT2_T3_mT4_P12ihipStream_tbEUlmE_lEESB_NS0_8identityIvEEEESM_SP_SQ_mSR_ST_bEUlT_E_NS1_11comp_targetILNS1_3genE4ELNS1_11target_archE910ELNS1_3gpuE8ELNS1_3repE0EEENS1_30default_config_static_selectorELNS0_4arch9wavefront6targetE1EEEvT1_
                                        ; -- End function
	.section	.AMDGPU.csdata,"",@progbits
; Kernel info:
; codeLenInByte = 0
; NumSgprs: 6
; NumVgprs: 0
; NumAgprs: 0
; TotalNumVgprs: 0
; ScratchSize: 0
; MemoryBound: 0
; FloatMode: 240
; IeeeMode: 1
; LDSByteSize: 0 bytes/workgroup (compile time only)
; SGPRBlocks: 0
; VGPRBlocks: 0
; NumSGPRsForWavesPerEU: 6
; NumVGPRsForWavesPerEU: 1
; AccumOffset: 4
; Occupancy: 8
; WaveLimiterHint : 0
; COMPUTE_PGM_RSRC2:SCRATCH_EN: 0
; COMPUTE_PGM_RSRC2:USER_SGPR: 2
; COMPUTE_PGM_RSRC2:TRAP_HANDLER: 0
; COMPUTE_PGM_RSRC2:TGID_X_EN: 1
; COMPUTE_PGM_RSRC2:TGID_Y_EN: 0
; COMPUTE_PGM_RSRC2:TGID_Z_EN: 0
; COMPUTE_PGM_RSRC2:TIDIG_COMP_CNT: 0
; COMPUTE_PGM_RSRC3_GFX90A:ACCUM_OFFSET: 0
; COMPUTE_PGM_RSRC3_GFX90A:TG_SPLIT: 0
	.section	.text._ZN7rocprim17ROCPRIM_400000_NS6detail17trampoline_kernelINS0_14default_configENS1_25transform_config_selectorIlLb0EEEZNS1_14transform_implILb0ES3_S5_NS0_18transform_iteratorINS0_17counting_iteratorImlEEZNS1_24adjacent_difference_implIS3_Lb1ELb0EPlSB_ZN2at6native12_GLOBAL__N_124unique_dim_cuda_templateImEESt5tupleIJNSC_6TensorESH_SH_EERKSH_lbbbEUlllE1_EE10hipError_tPvRmT2_T3_mT4_P12ihipStream_tbEUlmE_lEESB_NS0_8identityIvEEEESM_SP_SQ_mSR_ST_bEUlT_E_NS1_11comp_targetILNS1_3genE3ELNS1_11target_archE908ELNS1_3gpuE7ELNS1_3repE0EEENS1_30default_config_static_selectorELNS0_4arch9wavefront6targetE1EEEvT1_,"axG",@progbits,_ZN7rocprim17ROCPRIM_400000_NS6detail17trampoline_kernelINS0_14default_configENS1_25transform_config_selectorIlLb0EEEZNS1_14transform_implILb0ES3_S5_NS0_18transform_iteratorINS0_17counting_iteratorImlEEZNS1_24adjacent_difference_implIS3_Lb1ELb0EPlSB_ZN2at6native12_GLOBAL__N_124unique_dim_cuda_templateImEESt5tupleIJNSC_6TensorESH_SH_EERKSH_lbbbEUlllE1_EE10hipError_tPvRmT2_T3_mT4_P12ihipStream_tbEUlmE_lEESB_NS0_8identityIvEEEESM_SP_SQ_mSR_ST_bEUlT_E_NS1_11comp_targetILNS1_3genE3ELNS1_11target_archE908ELNS1_3gpuE7ELNS1_3repE0EEENS1_30default_config_static_selectorELNS0_4arch9wavefront6targetE1EEEvT1_,comdat
	.globl	_ZN7rocprim17ROCPRIM_400000_NS6detail17trampoline_kernelINS0_14default_configENS1_25transform_config_selectorIlLb0EEEZNS1_14transform_implILb0ES3_S5_NS0_18transform_iteratorINS0_17counting_iteratorImlEEZNS1_24adjacent_difference_implIS3_Lb1ELb0EPlSB_ZN2at6native12_GLOBAL__N_124unique_dim_cuda_templateImEESt5tupleIJNSC_6TensorESH_SH_EERKSH_lbbbEUlllE1_EE10hipError_tPvRmT2_T3_mT4_P12ihipStream_tbEUlmE_lEESB_NS0_8identityIvEEEESM_SP_SQ_mSR_ST_bEUlT_E_NS1_11comp_targetILNS1_3genE3ELNS1_11target_archE908ELNS1_3gpuE7ELNS1_3repE0EEENS1_30default_config_static_selectorELNS0_4arch9wavefront6targetE1EEEvT1_ ; -- Begin function _ZN7rocprim17ROCPRIM_400000_NS6detail17trampoline_kernelINS0_14default_configENS1_25transform_config_selectorIlLb0EEEZNS1_14transform_implILb0ES3_S5_NS0_18transform_iteratorINS0_17counting_iteratorImlEEZNS1_24adjacent_difference_implIS3_Lb1ELb0EPlSB_ZN2at6native12_GLOBAL__N_124unique_dim_cuda_templateImEESt5tupleIJNSC_6TensorESH_SH_EERKSH_lbbbEUlllE1_EE10hipError_tPvRmT2_T3_mT4_P12ihipStream_tbEUlmE_lEESB_NS0_8identityIvEEEESM_SP_SQ_mSR_ST_bEUlT_E_NS1_11comp_targetILNS1_3genE3ELNS1_11target_archE908ELNS1_3gpuE7ELNS1_3repE0EEENS1_30default_config_static_selectorELNS0_4arch9wavefront6targetE1EEEvT1_
	.p2align	8
	.type	_ZN7rocprim17ROCPRIM_400000_NS6detail17trampoline_kernelINS0_14default_configENS1_25transform_config_selectorIlLb0EEEZNS1_14transform_implILb0ES3_S5_NS0_18transform_iteratorINS0_17counting_iteratorImlEEZNS1_24adjacent_difference_implIS3_Lb1ELb0EPlSB_ZN2at6native12_GLOBAL__N_124unique_dim_cuda_templateImEESt5tupleIJNSC_6TensorESH_SH_EERKSH_lbbbEUlllE1_EE10hipError_tPvRmT2_T3_mT4_P12ihipStream_tbEUlmE_lEESB_NS0_8identityIvEEEESM_SP_SQ_mSR_ST_bEUlT_E_NS1_11comp_targetILNS1_3genE3ELNS1_11target_archE908ELNS1_3gpuE7ELNS1_3repE0EEENS1_30default_config_static_selectorELNS0_4arch9wavefront6targetE1EEEvT1_,@function
_ZN7rocprim17ROCPRIM_400000_NS6detail17trampoline_kernelINS0_14default_configENS1_25transform_config_selectorIlLb0EEEZNS1_14transform_implILb0ES3_S5_NS0_18transform_iteratorINS0_17counting_iteratorImlEEZNS1_24adjacent_difference_implIS3_Lb1ELb0EPlSB_ZN2at6native12_GLOBAL__N_124unique_dim_cuda_templateImEESt5tupleIJNSC_6TensorESH_SH_EERKSH_lbbbEUlllE1_EE10hipError_tPvRmT2_T3_mT4_P12ihipStream_tbEUlmE_lEESB_NS0_8identityIvEEEESM_SP_SQ_mSR_ST_bEUlT_E_NS1_11comp_targetILNS1_3genE3ELNS1_11target_archE908ELNS1_3gpuE7ELNS1_3repE0EEENS1_30default_config_static_selectorELNS0_4arch9wavefront6targetE1EEEvT1_: ; @_ZN7rocprim17ROCPRIM_400000_NS6detail17trampoline_kernelINS0_14default_configENS1_25transform_config_selectorIlLb0EEEZNS1_14transform_implILb0ES3_S5_NS0_18transform_iteratorINS0_17counting_iteratorImlEEZNS1_24adjacent_difference_implIS3_Lb1ELb0EPlSB_ZN2at6native12_GLOBAL__N_124unique_dim_cuda_templateImEESt5tupleIJNSC_6TensorESH_SH_EERKSH_lbbbEUlllE1_EE10hipError_tPvRmT2_T3_mT4_P12ihipStream_tbEUlmE_lEESB_NS0_8identityIvEEEESM_SP_SQ_mSR_ST_bEUlT_E_NS1_11comp_targetILNS1_3genE3ELNS1_11target_archE908ELNS1_3gpuE7ELNS1_3repE0EEENS1_30default_config_static_selectorELNS0_4arch9wavefront6targetE1EEEvT1_
; %bb.0:
	.section	.rodata,"a",@progbits
	.p2align	6, 0x0
	.amdhsa_kernel _ZN7rocprim17ROCPRIM_400000_NS6detail17trampoline_kernelINS0_14default_configENS1_25transform_config_selectorIlLb0EEEZNS1_14transform_implILb0ES3_S5_NS0_18transform_iteratorINS0_17counting_iteratorImlEEZNS1_24adjacent_difference_implIS3_Lb1ELb0EPlSB_ZN2at6native12_GLOBAL__N_124unique_dim_cuda_templateImEESt5tupleIJNSC_6TensorESH_SH_EERKSH_lbbbEUlllE1_EE10hipError_tPvRmT2_T3_mT4_P12ihipStream_tbEUlmE_lEESB_NS0_8identityIvEEEESM_SP_SQ_mSR_ST_bEUlT_E_NS1_11comp_targetILNS1_3genE3ELNS1_11target_archE908ELNS1_3gpuE7ELNS1_3repE0EEENS1_30default_config_static_selectorELNS0_4arch9wavefront6targetE1EEEvT1_
		.amdhsa_group_segment_fixed_size 0
		.amdhsa_private_segment_fixed_size 0
		.amdhsa_kernarg_size 56
		.amdhsa_user_sgpr_count 2
		.amdhsa_user_sgpr_dispatch_ptr 0
		.amdhsa_user_sgpr_queue_ptr 0
		.amdhsa_user_sgpr_kernarg_segment_ptr 1
		.amdhsa_user_sgpr_dispatch_id 0
		.amdhsa_user_sgpr_kernarg_preload_length 0
		.amdhsa_user_sgpr_kernarg_preload_offset 0
		.amdhsa_user_sgpr_private_segment_size 0
		.amdhsa_uses_dynamic_stack 0
		.amdhsa_enable_private_segment 0
		.amdhsa_system_sgpr_workgroup_id_x 1
		.amdhsa_system_sgpr_workgroup_id_y 0
		.amdhsa_system_sgpr_workgroup_id_z 0
		.amdhsa_system_sgpr_workgroup_info 0
		.amdhsa_system_vgpr_workitem_id 0
		.amdhsa_next_free_vgpr 1
		.amdhsa_next_free_sgpr 0
		.amdhsa_accum_offset 4
		.amdhsa_reserve_vcc 0
		.amdhsa_float_round_mode_32 0
		.amdhsa_float_round_mode_16_64 0
		.amdhsa_float_denorm_mode_32 3
		.amdhsa_float_denorm_mode_16_64 3
		.amdhsa_dx10_clamp 1
		.amdhsa_ieee_mode 1
		.amdhsa_fp16_overflow 0
		.amdhsa_tg_split 0
		.amdhsa_exception_fp_ieee_invalid_op 0
		.amdhsa_exception_fp_denorm_src 0
		.amdhsa_exception_fp_ieee_div_zero 0
		.amdhsa_exception_fp_ieee_overflow 0
		.amdhsa_exception_fp_ieee_underflow 0
		.amdhsa_exception_fp_ieee_inexact 0
		.amdhsa_exception_int_div_zero 0
	.end_amdhsa_kernel
	.section	.text._ZN7rocprim17ROCPRIM_400000_NS6detail17trampoline_kernelINS0_14default_configENS1_25transform_config_selectorIlLb0EEEZNS1_14transform_implILb0ES3_S5_NS0_18transform_iteratorINS0_17counting_iteratorImlEEZNS1_24adjacent_difference_implIS3_Lb1ELb0EPlSB_ZN2at6native12_GLOBAL__N_124unique_dim_cuda_templateImEESt5tupleIJNSC_6TensorESH_SH_EERKSH_lbbbEUlllE1_EE10hipError_tPvRmT2_T3_mT4_P12ihipStream_tbEUlmE_lEESB_NS0_8identityIvEEEESM_SP_SQ_mSR_ST_bEUlT_E_NS1_11comp_targetILNS1_3genE3ELNS1_11target_archE908ELNS1_3gpuE7ELNS1_3repE0EEENS1_30default_config_static_selectorELNS0_4arch9wavefront6targetE1EEEvT1_,"axG",@progbits,_ZN7rocprim17ROCPRIM_400000_NS6detail17trampoline_kernelINS0_14default_configENS1_25transform_config_selectorIlLb0EEEZNS1_14transform_implILb0ES3_S5_NS0_18transform_iteratorINS0_17counting_iteratorImlEEZNS1_24adjacent_difference_implIS3_Lb1ELb0EPlSB_ZN2at6native12_GLOBAL__N_124unique_dim_cuda_templateImEESt5tupleIJNSC_6TensorESH_SH_EERKSH_lbbbEUlllE1_EE10hipError_tPvRmT2_T3_mT4_P12ihipStream_tbEUlmE_lEESB_NS0_8identityIvEEEESM_SP_SQ_mSR_ST_bEUlT_E_NS1_11comp_targetILNS1_3genE3ELNS1_11target_archE908ELNS1_3gpuE7ELNS1_3repE0EEENS1_30default_config_static_selectorELNS0_4arch9wavefront6targetE1EEEvT1_,comdat
.Lfunc_end1660:
	.size	_ZN7rocprim17ROCPRIM_400000_NS6detail17trampoline_kernelINS0_14default_configENS1_25transform_config_selectorIlLb0EEEZNS1_14transform_implILb0ES3_S5_NS0_18transform_iteratorINS0_17counting_iteratorImlEEZNS1_24adjacent_difference_implIS3_Lb1ELb0EPlSB_ZN2at6native12_GLOBAL__N_124unique_dim_cuda_templateImEESt5tupleIJNSC_6TensorESH_SH_EERKSH_lbbbEUlllE1_EE10hipError_tPvRmT2_T3_mT4_P12ihipStream_tbEUlmE_lEESB_NS0_8identityIvEEEESM_SP_SQ_mSR_ST_bEUlT_E_NS1_11comp_targetILNS1_3genE3ELNS1_11target_archE908ELNS1_3gpuE7ELNS1_3repE0EEENS1_30default_config_static_selectorELNS0_4arch9wavefront6targetE1EEEvT1_, .Lfunc_end1660-_ZN7rocprim17ROCPRIM_400000_NS6detail17trampoline_kernelINS0_14default_configENS1_25transform_config_selectorIlLb0EEEZNS1_14transform_implILb0ES3_S5_NS0_18transform_iteratorINS0_17counting_iteratorImlEEZNS1_24adjacent_difference_implIS3_Lb1ELb0EPlSB_ZN2at6native12_GLOBAL__N_124unique_dim_cuda_templateImEESt5tupleIJNSC_6TensorESH_SH_EERKSH_lbbbEUlllE1_EE10hipError_tPvRmT2_T3_mT4_P12ihipStream_tbEUlmE_lEESB_NS0_8identityIvEEEESM_SP_SQ_mSR_ST_bEUlT_E_NS1_11comp_targetILNS1_3genE3ELNS1_11target_archE908ELNS1_3gpuE7ELNS1_3repE0EEENS1_30default_config_static_selectorELNS0_4arch9wavefront6targetE1EEEvT1_
                                        ; -- End function
	.section	.AMDGPU.csdata,"",@progbits
; Kernel info:
; codeLenInByte = 0
; NumSgprs: 6
; NumVgprs: 0
; NumAgprs: 0
; TotalNumVgprs: 0
; ScratchSize: 0
; MemoryBound: 0
; FloatMode: 240
; IeeeMode: 1
; LDSByteSize: 0 bytes/workgroup (compile time only)
; SGPRBlocks: 0
; VGPRBlocks: 0
; NumSGPRsForWavesPerEU: 6
; NumVGPRsForWavesPerEU: 1
; AccumOffset: 4
; Occupancy: 8
; WaveLimiterHint : 0
; COMPUTE_PGM_RSRC2:SCRATCH_EN: 0
; COMPUTE_PGM_RSRC2:USER_SGPR: 2
; COMPUTE_PGM_RSRC2:TRAP_HANDLER: 0
; COMPUTE_PGM_RSRC2:TGID_X_EN: 1
; COMPUTE_PGM_RSRC2:TGID_Y_EN: 0
; COMPUTE_PGM_RSRC2:TGID_Z_EN: 0
; COMPUTE_PGM_RSRC2:TIDIG_COMP_CNT: 0
; COMPUTE_PGM_RSRC3_GFX90A:ACCUM_OFFSET: 0
; COMPUTE_PGM_RSRC3_GFX90A:TG_SPLIT: 0
	.section	.text._ZN7rocprim17ROCPRIM_400000_NS6detail17trampoline_kernelINS0_14default_configENS1_25transform_config_selectorIlLb0EEEZNS1_14transform_implILb0ES3_S5_NS0_18transform_iteratorINS0_17counting_iteratorImlEEZNS1_24adjacent_difference_implIS3_Lb1ELb0EPlSB_ZN2at6native12_GLOBAL__N_124unique_dim_cuda_templateImEESt5tupleIJNSC_6TensorESH_SH_EERKSH_lbbbEUlllE1_EE10hipError_tPvRmT2_T3_mT4_P12ihipStream_tbEUlmE_lEESB_NS0_8identityIvEEEESM_SP_SQ_mSR_ST_bEUlT_E_NS1_11comp_targetILNS1_3genE2ELNS1_11target_archE906ELNS1_3gpuE6ELNS1_3repE0EEENS1_30default_config_static_selectorELNS0_4arch9wavefront6targetE1EEEvT1_,"axG",@progbits,_ZN7rocprim17ROCPRIM_400000_NS6detail17trampoline_kernelINS0_14default_configENS1_25transform_config_selectorIlLb0EEEZNS1_14transform_implILb0ES3_S5_NS0_18transform_iteratorINS0_17counting_iteratorImlEEZNS1_24adjacent_difference_implIS3_Lb1ELb0EPlSB_ZN2at6native12_GLOBAL__N_124unique_dim_cuda_templateImEESt5tupleIJNSC_6TensorESH_SH_EERKSH_lbbbEUlllE1_EE10hipError_tPvRmT2_T3_mT4_P12ihipStream_tbEUlmE_lEESB_NS0_8identityIvEEEESM_SP_SQ_mSR_ST_bEUlT_E_NS1_11comp_targetILNS1_3genE2ELNS1_11target_archE906ELNS1_3gpuE6ELNS1_3repE0EEENS1_30default_config_static_selectorELNS0_4arch9wavefront6targetE1EEEvT1_,comdat
	.globl	_ZN7rocprim17ROCPRIM_400000_NS6detail17trampoline_kernelINS0_14default_configENS1_25transform_config_selectorIlLb0EEEZNS1_14transform_implILb0ES3_S5_NS0_18transform_iteratorINS0_17counting_iteratorImlEEZNS1_24adjacent_difference_implIS3_Lb1ELb0EPlSB_ZN2at6native12_GLOBAL__N_124unique_dim_cuda_templateImEESt5tupleIJNSC_6TensorESH_SH_EERKSH_lbbbEUlllE1_EE10hipError_tPvRmT2_T3_mT4_P12ihipStream_tbEUlmE_lEESB_NS0_8identityIvEEEESM_SP_SQ_mSR_ST_bEUlT_E_NS1_11comp_targetILNS1_3genE2ELNS1_11target_archE906ELNS1_3gpuE6ELNS1_3repE0EEENS1_30default_config_static_selectorELNS0_4arch9wavefront6targetE1EEEvT1_ ; -- Begin function _ZN7rocprim17ROCPRIM_400000_NS6detail17trampoline_kernelINS0_14default_configENS1_25transform_config_selectorIlLb0EEEZNS1_14transform_implILb0ES3_S5_NS0_18transform_iteratorINS0_17counting_iteratorImlEEZNS1_24adjacent_difference_implIS3_Lb1ELb0EPlSB_ZN2at6native12_GLOBAL__N_124unique_dim_cuda_templateImEESt5tupleIJNSC_6TensorESH_SH_EERKSH_lbbbEUlllE1_EE10hipError_tPvRmT2_T3_mT4_P12ihipStream_tbEUlmE_lEESB_NS0_8identityIvEEEESM_SP_SQ_mSR_ST_bEUlT_E_NS1_11comp_targetILNS1_3genE2ELNS1_11target_archE906ELNS1_3gpuE6ELNS1_3repE0EEENS1_30default_config_static_selectorELNS0_4arch9wavefront6targetE1EEEvT1_
	.p2align	8
	.type	_ZN7rocprim17ROCPRIM_400000_NS6detail17trampoline_kernelINS0_14default_configENS1_25transform_config_selectorIlLb0EEEZNS1_14transform_implILb0ES3_S5_NS0_18transform_iteratorINS0_17counting_iteratorImlEEZNS1_24adjacent_difference_implIS3_Lb1ELb0EPlSB_ZN2at6native12_GLOBAL__N_124unique_dim_cuda_templateImEESt5tupleIJNSC_6TensorESH_SH_EERKSH_lbbbEUlllE1_EE10hipError_tPvRmT2_T3_mT4_P12ihipStream_tbEUlmE_lEESB_NS0_8identityIvEEEESM_SP_SQ_mSR_ST_bEUlT_E_NS1_11comp_targetILNS1_3genE2ELNS1_11target_archE906ELNS1_3gpuE6ELNS1_3repE0EEENS1_30default_config_static_selectorELNS0_4arch9wavefront6targetE1EEEvT1_,@function
_ZN7rocprim17ROCPRIM_400000_NS6detail17trampoline_kernelINS0_14default_configENS1_25transform_config_selectorIlLb0EEEZNS1_14transform_implILb0ES3_S5_NS0_18transform_iteratorINS0_17counting_iteratorImlEEZNS1_24adjacent_difference_implIS3_Lb1ELb0EPlSB_ZN2at6native12_GLOBAL__N_124unique_dim_cuda_templateImEESt5tupleIJNSC_6TensorESH_SH_EERKSH_lbbbEUlllE1_EE10hipError_tPvRmT2_T3_mT4_P12ihipStream_tbEUlmE_lEESB_NS0_8identityIvEEEESM_SP_SQ_mSR_ST_bEUlT_E_NS1_11comp_targetILNS1_3genE2ELNS1_11target_archE906ELNS1_3gpuE6ELNS1_3repE0EEENS1_30default_config_static_selectorELNS0_4arch9wavefront6targetE1EEEvT1_: ; @_ZN7rocprim17ROCPRIM_400000_NS6detail17trampoline_kernelINS0_14default_configENS1_25transform_config_selectorIlLb0EEEZNS1_14transform_implILb0ES3_S5_NS0_18transform_iteratorINS0_17counting_iteratorImlEEZNS1_24adjacent_difference_implIS3_Lb1ELb0EPlSB_ZN2at6native12_GLOBAL__N_124unique_dim_cuda_templateImEESt5tupleIJNSC_6TensorESH_SH_EERKSH_lbbbEUlllE1_EE10hipError_tPvRmT2_T3_mT4_P12ihipStream_tbEUlmE_lEESB_NS0_8identityIvEEEESM_SP_SQ_mSR_ST_bEUlT_E_NS1_11comp_targetILNS1_3genE2ELNS1_11target_archE906ELNS1_3gpuE6ELNS1_3repE0EEENS1_30default_config_static_selectorELNS0_4arch9wavefront6targetE1EEEvT1_
; %bb.0:
	.section	.rodata,"a",@progbits
	.p2align	6, 0x0
	.amdhsa_kernel _ZN7rocprim17ROCPRIM_400000_NS6detail17trampoline_kernelINS0_14default_configENS1_25transform_config_selectorIlLb0EEEZNS1_14transform_implILb0ES3_S5_NS0_18transform_iteratorINS0_17counting_iteratorImlEEZNS1_24adjacent_difference_implIS3_Lb1ELb0EPlSB_ZN2at6native12_GLOBAL__N_124unique_dim_cuda_templateImEESt5tupleIJNSC_6TensorESH_SH_EERKSH_lbbbEUlllE1_EE10hipError_tPvRmT2_T3_mT4_P12ihipStream_tbEUlmE_lEESB_NS0_8identityIvEEEESM_SP_SQ_mSR_ST_bEUlT_E_NS1_11comp_targetILNS1_3genE2ELNS1_11target_archE906ELNS1_3gpuE6ELNS1_3repE0EEENS1_30default_config_static_selectorELNS0_4arch9wavefront6targetE1EEEvT1_
		.amdhsa_group_segment_fixed_size 0
		.amdhsa_private_segment_fixed_size 0
		.amdhsa_kernarg_size 56
		.amdhsa_user_sgpr_count 2
		.amdhsa_user_sgpr_dispatch_ptr 0
		.amdhsa_user_sgpr_queue_ptr 0
		.amdhsa_user_sgpr_kernarg_segment_ptr 1
		.amdhsa_user_sgpr_dispatch_id 0
		.amdhsa_user_sgpr_kernarg_preload_length 0
		.amdhsa_user_sgpr_kernarg_preload_offset 0
		.amdhsa_user_sgpr_private_segment_size 0
		.amdhsa_uses_dynamic_stack 0
		.amdhsa_enable_private_segment 0
		.amdhsa_system_sgpr_workgroup_id_x 1
		.amdhsa_system_sgpr_workgroup_id_y 0
		.amdhsa_system_sgpr_workgroup_id_z 0
		.amdhsa_system_sgpr_workgroup_info 0
		.amdhsa_system_vgpr_workitem_id 0
		.amdhsa_next_free_vgpr 1
		.amdhsa_next_free_sgpr 0
		.amdhsa_accum_offset 4
		.amdhsa_reserve_vcc 0
		.amdhsa_float_round_mode_32 0
		.amdhsa_float_round_mode_16_64 0
		.amdhsa_float_denorm_mode_32 3
		.amdhsa_float_denorm_mode_16_64 3
		.amdhsa_dx10_clamp 1
		.amdhsa_ieee_mode 1
		.amdhsa_fp16_overflow 0
		.amdhsa_tg_split 0
		.amdhsa_exception_fp_ieee_invalid_op 0
		.amdhsa_exception_fp_denorm_src 0
		.amdhsa_exception_fp_ieee_div_zero 0
		.amdhsa_exception_fp_ieee_overflow 0
		.amdhsa_exception_fp_ieee_underflow 0
		.amdhsa_exception_fp_ieee_inexact 0
		.amdhsa_exception_int_div_zero 0
	.end_amdhsa_kernel
	.section	.text._ZN7rocprim17ROCPRIM_400000_NS6detail17trampoline_kernelINS0_14default_configENS1_25transform_config_selectorIlLb0EEEZNS1_14transform_implILb0ES3_S5_NS0_18transform_iteratorINS0_17counting_iteratorImlEEZNS1_24adjacent_difference_implIS3_Lb1ELb0EPlSB_ZN2at6native12_GLOBAL__N_124unique_dim_cuda_templateImEESt5tupleIJNSC_6TensorESH_SH_EERKSH_lbbbEUlllE1_EE10hipError_tPvRmT2_T3_mT4_P12ihipStream_tbEUlmE_lEESB_NS0_8identityIvEEEESM_SP_SQ_mSR_ST_bEUlT_E_NS1_11comp_targetILNS1_3genE2ELNS1_11target_archE906ELNS1_3gpuE6ELNS1_3repE0EEENS1_30default_config_static_selectorELNS0_4arch9wavefront6targetE1EEEvT1_,"axG",@progbits,_ZN7rocprim17ROCPRIM_400000_NS6detail17trampoline_kernelINS0_14default_configENS1_25transform_config_selectorIlLb0EEEZNS1_14transform_implILb0ES3_S5_NS0_18transform_iteratorINS0_17counting_iteratorImlEEZNS1_24adjacent_difference_implIS3_Lb1ELb0EPlSB_ZN2at6native12_GLOBAL__N_124unique_dim_cuda_templateImEESt5tupleIJNSC_6TensorESH_SH_EERKSH_lbbbEUlllE1_EE10hipError_tPvRmT2_T3_mT4_P12ihipStream_tbEUlmE_lEESB_NS0_8identityIvEEEESM_SP_SQ_mSR_ST_bEUlT_E_NS1_11comp_targetILNS1_3genE2ELNS1_11target_archE906ELNS1_3gpuE6ELNS1_3repE0EEENS1_30default_config_static_selectorELNS0_4arch9wavefront6targetE1EEEvT1_,comdat
.Lfunc_end1661:
	.size	_ZN7rocprim17ROCPRIM_400000_NS6detail17trampoline_kernelINS0_14default_configENS1_25transform_config_selectorIlLb0EEEZNS1_14transform_implILb0ES3_S5_NS0_18transform_iteratorINS0_17counting_iteratorImlEEZNS1_24adjacent_difference_implIS3_Lb1ELb0EPlSB_ZN2at6native12_GLOBAL__N_124unique_dim_cuda_templateImEESt5tupleIJNSC_6TensorESH_SH_EERKSH_lbbbEUlllE1_EE10hipError_tPvRmT2_T3_mT4_P12ihipStream_tbEUlmE_lEESB_NS0_8identityIvEEEESM_SP_SQ_mSR_ST_bEUlT_E_NS1_11comp_targetILNS1_3genE2ELNS1_11target_archE906ELNS1_3gpuE6ELNS1_3repE0EEENS1_30default_config_static_selectorELNS0_4arch9wavefront6targetE1EEEvT1_, .Lfunc_end1661-_ZN7rocprim17ROCPRIM_400000_NS6detail17trampoline_kernelINS0_14default_configENS1_25transform_config_selectorIlLb0EEEZNS1_14transform_implILb0ES3_S5_NS0_18transform_iteratorINS0_17counting_iteratorImlEEZNS1_24adjacent_difference_implIS3_Lb1ELb0EPlSB_ZN2at6native12_GLOBAL__N_124unique_dim_cuda_templateImEESt5tupleIJNSC_6TensorESH_SH_EERKSH_lbbbEUlllE1_EE10hipError_tPvRmT2_T3_mT4_P12ihipStream_tbEUlmE_lEESB_NS0_8identityIvEEEESM_SP_SQ_mSR_ST_bEUlT_E_NS1_11comp_targetILNS1_3genE2ELNS1_11target_archE906ELNS1_3gpuE6ELNS1_3repE0EEENS1_30default_config_static_selectorELNS0_4arch9wavefront6targetE1EEEvT1_
                                        ; -- End function
	.section	.AMDGPU.csdata,"",@progbits
; Kernel info:
; codeLenInByte = 0
; NumSgprs: 6
; NumVgprs: 0
; NumAgprs: 0
; TotalNumVgprs: 0
; ScratchSize: 0
; MemoryBound: 0
; FloatMode: 240
; IeeeMode: 1
; LDSByteSize: 0 bytes/workgroup (compile time only)
; SGPRBlocks: 0
; VGPRBlocks: 0
; NumSGPRsForWavesPerEU: 6
; NumVGPRsForWavesPerEU: 1
; AccumOffset: 4
; Occupancy: 8
; WaveLimiterHint : 0
; COMPUTE_PGM_RSRC2:SCRATCH_EN: 0
; COMPUTE_PGM_RSRC2:USER_SGPR: 2
; COMPUTE_PGM_RSRC2:TRAP_HANDLER: 0
; COMPUTE_PGM_RSRC2:TGID_X_EN: 1
; COMPUTE_PGM_RSRC2:TGID_Y_EN: 0
; COMPUTE_PGM_RSRC2:TGID_Z_EN: 0
; COMPUTE_PGM_RSRC2:TIDIG_COMP_CNT: 0
; COMPUTE_PGM_RSRC3_GFX90A:ACCUM_OFFSET: 0
; COMPUTE_PGM_RSRC3_GFX90A:TG_SPLIT: 0
	.section	.text._ZN7rocprim17ROCPRIM_400000_NS6detail17trampoline_kernelINS0_14default_configENS1_25transform_config_selectorIlLb0EEEZNS1_14transform_implILb0ES3_S5_NS0_18transform_iteratorINS0_17counting_iteratorImlEEZNS1_24adjacent_difference_implIS3_Lb1ELb0EPlSB_ZN2at6native12_GLOBAL__N_124unique_dim_cuda_templateImEESt5tupleIJNSC_6TensorESH_SH_EERKSH_lbbbEUlllE1_EE10hipError_tPvRmT2_T3_mT4_P12ihipStream_tbEUlmE_lEESB_NS0_8identityIvEEEESM_SP_SQ_mSR_ST_bEUlT_E_NS1_11comp_targetILNS1_3genE10ELNS1_11target_archE1201ELNS1_3gpuE5ELNS1_3repE0EEENS1_30default_config_static_selectorELNS0_4arch9wavefront6targetE1EEEvT1_,"axG",@progbits,_ZN7rocprim17ROCPRIM_400000_NS6detail17trampoline_kernelINS0_14default_configENS1_25transform_config_selectorIlLb0EEEZNS1_14transform_implILb0ES3_S5_NS0_18transform_iteratorINS0_17counting_iteratorImlEEZNS1_24adjacent_difference_implIS3_Lb1ELb0EPlSB_ZN2at6native12_GLOBAL__N_124unique_dim_cuda_templateImEESt5tupleIJNSC_6TensorESH_SH_EERKSH_lbbbEUlllE1_EE10hipError_tPvRmT2_T3_mT4_P12ihipStream_tbEUlmE_lEESB_NS0_8identityIvEEEESM_SP_SQ_mSR_ST_bEUlT_E_NS1_11comp_targetILNS1_3genE10ELNS1_11target_archE1201ELNS1_3gpuE5ELNS1_3repE0EEENS1_30default_config_static_selectorELNS0_4arch9wavefront6targetE1EEEvT1_,comdat
	.globl	_ZN7rocprim17ROCPRIM_400000_NS6detail17trampoline_kernelINS0_14default_configENS1_25transform_config_selectorIlLb0EEEZNS1_14transform_implILb0ES3_S5_NS0_18transform_iteratorINS0_17counting_iteratorImlEEZNS1_24adjacent_difference_implIS3_Lb1ELb0EPlSB_ZN2at6native12_GLOBAL__N_124unique_dim_cuda_templateImEESt5tupleIJNSC_6TensorESH_SH_EERKSH_lbbbEUlllE1_EE10hipError_tPvRmT2_T3_mT4_P12ihipStream_tbEUlmE_lEESB_NS0_8identityIvEEEESM_SP_SQ_mSR_ST_bEUlT_E_NS1_11comp_targetILNS1_3genE10ELNS1_11target_archE1201ELNS1_3gpuE5ELNS1_3repE0EEENS1_30default_config_static_selectorELNS0_4arch9wavefront6targetE1EEEvT1_ ; -- Begin function _ZN7rocprim17ROCPRIM_400000_NS6detail17trampoline_kernelINS0_14default_configENS1_25transform_config_selectorIlLb0EEEZNS1_14transform_implILb0ES3_S5_NS0_18transform_iteratorINS0_17counting_iteratorImlEEZNS1_24adjacent_difference_implIS3_Lb1ELb0EPlSB_ZN2at6native12_GLOBAL__N_124unique_dim_cuda_templateImEESt5tupleIJNSC_6TensorESH_SH_EERKSH_lbbbEUlllE1_EE10hipError_tPvRmT2_T3_mT4_P12ihipStream_tbEUlmE_lEESB_NS0_8identityIvEEEESM_SP_SQ_mSR_ST_bEUlT_E_NS1_11comp_targetILNS1_3genE10ELNS1_11target_archE1201ELNS1_3gpuE5ELNS1_3repE0EEENS1_30default_config_static_selectorELNS0_4arch9wavefront6targetE1EEEvT1_
	.p2align	8
	.type	_ZN7rocprim17ROCPRIM_400000_NS6detail17trampoline_kernelINS0_14default_configENS1_25transform_config_selectorIlLb0EEEZNS1_14transform_implILb0ES3_S5_NS0_18transform_iteratorINS0_17counting_iteratorImlEEZNS1_24adjacent_difference_implIS3_Lb1ELb0EPlSB_ZN2at6native12_GLOBAL__N_124unique_dim_cuda_templateImEESt5tupleIJNSC_6TensorESH_SH_EERKSH_lbbbEUlllE1_EE10hipError_tPvRmT2_T3_mT4_P12ihipStream_tbEUlmE_lEESB_NS0_8identityIvEEEESM_SP_SQ_mSR_ST_bEUlT_E_NS1_11comp_targetILNS1_3genE10ELNS1_11target_archE1201ELNS1_3gpuE5ELNS1_3repE0EEENS1_30default_config_static_selectorELNS0_4arch9wavefront6targetE1EEEvT1_,@function
_ZN7rocprim17ROCPRIM_400000_NS6detail17trampoline_kernelINS0_14default_configENS1_25transform_config_selectorIlLb0EEEZNS1_14transform_implILb0ES3_S5_NS0_18transform_iteratorINS0_17counting_iteratorImlEEZNS1_24adjacent_difference_implIS3_Lb1ELb0EPlSB_ZN2at6native12_GLOBAL__N_124unique_dim_cuda_templateImEESt5tupleIJNSC_6TensorESH_SH_EERKSH_lbbbEUlllE1_EE10hipError_tPvRmT2_T3_mT4_P12ihipStream_tbEUlmE_lEESB_NS0_8identityIvEEEESM_SP_SQ_mSR_ST_bEUlT_E_NS1_11comp_targetILNS1_3genE10ELNS1_11target_archE1201ELNS1_3gpuE5ELNS1_3repE0EEENS1_30default_config_static_selectorELNS0_4arch9wavefront6targetE1EEEvT1_: ; @_ZN7rocprim17ROCPRIM_400000_NS6detail17trampoline_kernelINS0_14default_configENS1_25transform_config_selectorIlLb0EEEZNS1_14transform_implILb0ES3_S5_NS0_18transform_iteratorINS0_17counting_iteratorImlEEZNS1_24adjacent_difference_implIS3_Lb1ELb0EPlSB_ZN2at6native12_GLOBAL__N_124unique_dim_cuda_templateImEESt5tupleIJNSC_6TensorESH_SH_EERKSH_lbbbEUlllE1_EE10hipError_tPvRmT2_T3_mT4_P12ihipStream_tbEUlmE_lEESB_NS0_8identityIvEEEESM_SP_SQ_mSR_ST_bEUlT_E_NS1_11comp_targetILNS1_3genE10ELNS1_11target_archE1201ELNS1_3gpuE5ELNS1_3repE0EEENS1_30default_config_static_selectorELNS0_4arch9wavefront6targetE1EEEvT1_
; %bb.0:
	.section	.rodata,"a",@progbits
	.p2align	6, 0x0
	.amdhsa_kernel _ZN7rocprim17ROCPRIM_400000_NS6detail17trampoline_kernelINS0_14default_configENS1_25transform_config_selectorIlLb0EEEZNS1_14transform_implILb0ES3_S5_NS0_18transform_iteratorINS0_17counting_iteratorImlEEZNS1_24adjacent_difference_implIS3_Lb1ELb0EPlSB_ZN2at6native12_GLOBAL__N_124unique_dim_cuda_templateImEESt5tupleIJNSC_6TensorESH_SH_EERKSH_lbbbEUlllE1_EE10hipError_tPvRmT2_T3_mT4_P12ihipStream_tbEUlmE_lEESB_NS0_8identityIvEEEESM_SP_SQ_mSR_ST_bEUlT_E_NS1_11comp_targetILNS1_3genE10ELNS1_11target_archE1201ELNS1_3gpuE5ELNS1_3repE0EEENS1_30default_config_static_selectorELNS0_4arch9wavefront6targetE1EEEvT1_
		.amdhsa_group_segment_fixed_size 0
		.amdhsa_private_segment_fixed_size 0
		.amdhsa_kernarg_size 56
		.amdhsa_user_sgpr_count 2
		.amdhsa_user_sgpr_dispatch_ptr 0
		.amdhsa_user_sgpr_queue_ptr 0
		.amdhsa_user_sgpr_kernarg_segment_ptr 1
		.amdhsa_user_sgpr_dispatch_id 0
		.amdhsa_user_sgpr_kernarg_preload_length 0
		.amdhsa_user_sgpr_kernarg_preload_offset 0
		.amdhsa_user_sgpr_private_segment_size 0
		.amdhsa_uses_dynamic_stack 0
		.amdhsa_enable_private_segment 0
		.amdhsa_system_sgpr_workgroup_id_x 1
		.amdhsa_system_sgpr_workgroup_id_y 0
		.amdhsa_system_sgpr_workgroup_id_z 0
		.amdhsa_system_sgpr_workgroup_info 0
		.amdhsa_system_vgpr_workitem_id 0
		.amdhsa_next_free_vgpr 1
		.amdhsa_next_free_sgpr 0
		.amdhsa_accum_offset 4
		.amdhsa_reserve_vcc 0
		.amdhsa_float_round_mode_32 0
		.amdhsa_float_round_mode_16_64 0
		.amdhsa_float_denorm_mode_32 3
		.amdhsa_float_denorm_mode_16_64 3
		.amdhsa_dx10_clamp 1
		.amdhsa_ieee_mode 1
		.amdhsa_fp16_overflow 0
		.amdhsa_tg_split 0
		.amdhsa_exception_fp_ieee_invalid_op 0
		.amdhsa_exception_fp_denorm_src 0
		.amdhsa_exception_fp_ieee_div_zero 0
		.amdhsa_exception_fp_ieee_overflow 0
		.amdhsa_exception_fp_ieee_underflow 0
		.amdhsa_exception_fp_ieee_inexact 0
		.amdhsa_exception_int_div_zero 0
	.end_amdhsa_kernel
	.section	.text._ZN7rocprim17ROCPRIM_400000_NS6detail17trampoline_kernelINS0_14default_configENS1_25transform_config_selectorIlLb0EEEZNS1_14transform_implILb0ES3_S5_NS0_18transform_iteratorINS0_17counting_iteratorImlEEZNS1_24adjacent_difference_implIS3_Lb1ELb0EPlSB_ZN2at6native12_GLOBAL__N_124unique_dim_cuda_templateImEESt5tupleIJNSC_6TensorESH_SH_EERKSH_lbbbEUlllE1_EE10hipError_tPvRmT2_T3_mT4_P12ihipStream_tbEUlmE_lEESB_NS0_8identityIvEEEESM_SP_SQ_mSR_ST_bEUlT_E_NS1_11comp_targetILNS1_3genE10ELNS1_11target_archE1201ELNS1_3gpuE5ELNS1_3repE0EEENS1_30default_config_static_selectorELNS0_4arch9wavefront6targetE1EEEvT1_,"axG",@progbits,_ZN7rocprim17ROCPRIM_400000_NS6detail17trampoline_kernelINS0_14default_configENS1_25transform_config_selectorIlLb0EEEZNS1_14transform_implILb0ES3_S5_NS0_18transform_iteratorINS0_17counting_iteratorImlEEZNS1_24adjacent_difference_implIS3_Lb1ELb0EPlSB_ZN2at6native12_GLOBAL__N_124unique_dim_cuda_templateImEESt5tupleIJNSC_6TensorESH_SH_EERKSH_lbbbEUlllE1_EE10hipError_tPvRmT2_T3_mT4_P12ihipStream_tbEUlmE_lEESB_NS0_8identityIvEEEESM_SP_SQ_mSR_ST_bEUlT_E_NS1_11comp_targetILNS1_3genE10ELNS1_11target_archE1201ELNS1_3gpuE5ELNS1_3repE0EEENS1_30default_config_static_selectorELNS0_4arch9wavefront6targetE1EEEvT1_,comdat
.Lfunc_end1662:
	.size	_ZN7rocprim17ROCPRIM_400000_NS6detail17trampoline_kernelINS0_14default_configENS1_25transform_config_selectorIlLb0EEEZNS1_14transform_implILb0ES3_S5_NS0_18transform_iteratorINS0_17counting_iteratorImlEEZNS1_24adjacent_difference_implIS3_Lb1ELb0EPlSB_ZN2at6native12_GLOBAL__N_124unique_dim_cuda_templateImEESt5tupleIJNSC_6TensorESH_SH_EERKSH_lbbbEUlllE1_EE10hipError_tPvRmT2_T3_mT4_P12ihipStream_tbEUlmE_lEESB_NS0_8identityIvEEEESM_SP_SQ_mSR_ST_bEUlT_E_NS1_11comp_targetILNS1_3genE10ELNS1_11target_archE1201ELNS1_3gpuE5ELNS1_3repE0EEENS1_30default_config_static_selectorELNS0_4arch9wavefront6targetE1EEEvT1_, .Lfunc_end1662-_ZN7rocprim17ROCPRIM_400000_NS6detail17trampoline_kernelINS0_14default_configENS1_25transform_config_selectorIlLb0EEEZNS1_14transform_implILb0ES3_S5_NS0_18transform_iteratorINS0_17counting_iteratorImlEEZNS1_24adjacent_difference_implIS3_Lb1ELb0EPlSB_ZN2at6native12_GLOBAL__N_124unique_dim_cuda_templateImEESt5tupleIJNSC_6TensorESH_SH_EERKSH_lbbbEUlllE1_EE10hipError_tPvRmT2_T3_mT4_P12ihipStream_tbEUlmE_lEESB_NS0_8identityIvEEEESM_SP_SQ_mSR_ST_bEUlT_E_NS1_11comp_targetILNS1_3genE10ELNS1_11target_archE1201ELNS1_3gpuE5ELNS1_3repE0EEENS1_30default_config_static_selectorELNS0_4arch9wavefront6targetE1EEEvT1_
                                        ; -- End function
	.section	.AMDGPU.csdata,"",@progbits
; Kernel info:
; codeLenInByte = 0
; NumSgprs: 6
; NumVgprs: 0
; NumAgprs: 0
; TotalNumVgprs: 0
; ScratchSize: 0
; MemoryBound: 0
; FloatMode: 240
; IeeeMode: 1
; LDSByteSize: 0 bytes/workgroup (compile time only)
; SGPRBlocks: 0
; VGPRBlocks: 0
; NumSGPRsForWavesPerEU: 6
; NumVGPRsForWavesPerEU: 1
; AccumOffset: 4
; Occupancy: 8
; WaveLimiterHint : 0
; COMPUTE_PGM_RSRC2:SCRATCH_EN: 0
; COMPUTE_PGM_RSRC2:USER_SGPR: 2
; COMPUTE_PGM_RSRC2:TRAP_HANDLER: 0
; COMPUTE_PGM_RSRC2:TGID_X_EN: 1
; COMPUTE_PGM_RSRC2:TGID_Y_EN: 0
; COMPUTE_PGM_RSRC2:TGID_Z_EN: 0
; COMPUTE_PGM_RSRC2:TIDIG_COMP_CNT: 0
; COMPUTE_PGM_RSRC3_GFX90A:ACCUM_OFFSET: 0
; COMPUTE_PGM_RSRC3_GFX90A:TG_SPLIT: 0
	.section	.text._ZN7rocprim17ROCPRIM_400000_NS6detail17trampoline_kernelINS0_14default_configENS1_25transform_config_selectorIlLb0EEEZNS1_14transform_implILb0ES3_S5_NS0_18transform_iteratorINS0_17counting_iteratorImlEEZNS1_24adjacent_difference_implIS3_Lb1ELb0EPlSB_ZN2at6native12_GLOBAL__N_124unique_dim_cuda_templateImEESt5tupleIJNSC_6TensorESH_SH_EERKSH_lbbbEUlllE1_EE10hipError_tPvRmT2_T3_mT4_P12ihipStream_tbEUlmE_lEESB_NS0_8identityIvEEEESM_SP_SQ_mSR_ST_bEUlT_E_NS1_11comp_targetILNS1_3genE10ELNS1_11target_archE1200ELNS1_3gpuE4ELNS1_3repE0EEENS1_30default_config_static_selectorELNS0_4arch9wavefront6targetE1EEEvT1_,"axG",@progbits,_ZN7rocprim17ROCPRIM_400000_NS6detail17trampoline_kernelINS0_14default_configENS1_25transform_config_selectorIlLb0EEEZNS1_14transform_implILb0ES3_S5_NS0_18transform_iteratorINS0_17counting_iteratorImlEEZNS1_24adjacent_difference_implIS3_Lb1ELb0EPlSB_ZN2at6native12_GLOBAL__N_124unique_dim_cuda_templateImEESt5tupleIJNSC_6TensorESH_SH_EERKSH_lbbbEUlllE1_EE10hipError_tPvRmT2_T3_mT4_P12ihipStream_tbEUlmE_lEESB_NS0_8identityIvEEEESM_SP_SQ_mSR_ST_bEUlT_E_NS1_11comp_targetILNS1_3genE10ELNS1_11target_archE1200ELNS1_3gpuE4ELNS1_3repE0EEENS1_30default_config_static_selectorELNS0_4arch9wavefront6targetE1EEEvT1_,comdat
	.globl	_ZN7rocprim17ROCPRIM_400000_NS6detail17trampoline_kernelINS0_14default_configENS1_25transform_config_selectorIlLb0EEEZNS1_14transform_implILb0ES3_S5_NS0_18transform_iteratorINS0_17counting_iteratorImlEEZNS1_24adjacent_difference_implIS3_Lb1ELb0EPlSB_ZN2at6native12_GLOBAL__N_124unique_dim_cuda_templateImEESt5tupleIJNSC_6TensorESH_SH_EERKSH_lbbbEUlllE1_EE10hipError_tPvRmT2_T3_mT4_P12ihipStream_tbEUlmE_lEESB_NS0_8identityIvEEEESM_SP_SQ_mSR_ST_bEUlT_E_NS1_11comp_targetILNS1_3genE10ELNS1_11target_archE1200ELNS1_3gpuE4ELNS1_3repE0EEENS1_30default_config_static_selectorELNS0_4arch9wavefront6targetE1EEEvT1_ ; -- Begin function _ZN7rocprim17ROCPRIM_400000_NS6detail17trampoline_kernelINS0_14default_configENS1_25transform_config_selectorIlLb0EEEZNS1_14transform_implILb0ES3_S5_NS0_18transform_iteratorINS0_17counting_iteratorImlEEZNS1_24adjacent_difference_implIS3_Lb1ELb0EPlSB_ZN2at6native12_GLOBAL__N_124unique_dim_cuda_templateImEESt5tupleIJNSC_6TensorESH_SH_EERKSH_lbbbEUlllE1_EE10hipError_tPvRmT2_T3_mT4_P12ihipStream_tbEUlmE_lEESB_NS0_8identityIvEEEESM_SP_SQ_mSR_ST_bEUlT_E_NS1_11comp_targetILNS1_3genE10ELNS1_11target_archE1200ELNS1_3gpuE4ELNS1_3repE0EEENS1_30default_config_static_selectorELNS0_4arch9wavefront6targetE1EEEvT1_
	.p2align	8
	.type	_ZN7rocprim17ROCPRIM_400000_NS6detail17trampoline_kernelINS0_14default_configENS1_25transform_config_selectorIlLb0EEEZNS1_14transform_implILb0ES3_S5_NS0_18transform_iteratorINS0_17counting_iteratorImlEEZNS1_24adjacent_difference_implIS3_Lb1ELb0EPlSB_ZN2at6native12_GLOBAL__N_124unique_dim_cuda_templateImEESt5tupleIJNSC_6TensorESH_SH_EERKSH_lbbbEUlllE1_EE10hipError_tPvRmT2_T3_mT4_P12ihipStream_tbEUlmE_lEESB_NS0_8identityIvEEEESM_SP_SQ_mSR_ST_bEUlT_E_NS1_11comp_targetILNS1_3genE10ELNS1_11target_archE1200ELNS1_3gpuE4ELNS1_3repE0EEENS1_30default_config_static_selectorELNS0_4arch9wavefront6targetE1EEEvT1_,@function
_ZN7rocprim17ROCPRIM_400000_NS6detail17trampoline_kernelINS0_14default_configENS1_25transform_config_selectorIlLb0EEEZNS1_14transform_implILb0ES3_S5_NS0_18transform_iteratorINS0_17counting_iteratorImlEEZNS1_24adjacent_difference_implIS3_Lb1ELb0EPlSB_ZN2at6native12_GLOBAL__N_124unique_dim_cuda_templateImEESt5tupleIJNSC_6TensorESH_SH_EERKSH_lbbbEUlllE1_EE10hipError_tPvRmT2_T3_mT4_P12ihipStream_tbEUlmE_lEESB_NS0_8identityIvEEEESM_SP_SQ_mSR_ST_bEUlT_E_NS1_11comp_targetILNS1_3genE10ELNS1_11target_archE1200ELNS1_3gpuE4ELNS1_3repE0EEENS1_30default_config_static_selectorELNS0_4arch9wavefront6targetE1EEEvT1_: ; @_ZN7rocprim17ROCPRIM_400000_NS6detail17trampoline_kernelINS0_14default_configENS1_25transform_config_selectorIlLb0EEEZNS1_14transform_implILb0ES3_S5_NS0_18transform_iteratorINS0_17counting_iteratorImlEEZNS1_24adjacent_difference_implIS3_Lb1ELb0EPlSB_ZN2at6native12_GLOBAL__N_124unique_dim_cuda_templateImEESt5tupleIJNSC_6TensorESH_SH_EERKSH_lbbbEUlllE1_EE10hipError_tPvRmT2_T3_mT4_P12ihipStream_tbEUlmE_lEESB_NS0_8identityIvEEEESM_SP_SQ_mSR_ST_bEUlT_E_NS1_11comp_targetILNS1_3genE10ELNS1_11target_archE1200ELNS1_3gpuE4ELNS1_3repE0EEENS1_30default_config_static_selectorELNS0_4arch9wavefront6targetE1EEEvT1_
; %bb.0:
	.section	.rodata,"a",@progbits
	.p2align	6, 0x0
	.amdhsa_kernel _ZN7rocprim17ROCPRIM_400000_NS6detail17trampoline_kernelINS0_14default_configENS1_25transform_config_selectorIlLb0EEEZNS1_14transform_implILb0ES3_S5_NS0_18transform_iteratorINS0_17counting_iteratorImlEEZNS1_24adjacent_difference_implIS3_Lb1ELb0EPlSB_ZN2at6native12_GLOBAL__N_124unique_dim_cuda_templateImEESt5tupleIJNSC_6TensorESH_SH_EERKSH_lbbbEUlllE1_EE10hipError_tPvRmT2_T3_mT4_P12ihipStream_tbEUlmE_lEESB_NS0_8identityIvEEEESM_SP_SQ_mSR_ST_bEUlT_E_NS1_11comp_targetILNS1_3genE10ELNS1_11target_archE1200ELNS1_3gpuE4ELNS1_3repE0EEENS1_30default_config_static_selectorELNS0_4arch9wavefront6targetE1EEEvT1_
		.amdhsa_group_segment_fixed_size 0
		.amdhsa_private_segment_fixed_size 0
		.amdhsa_kernarg_size 56
		.amdhsa_user_sgpr_count 2
		.amdhsa_user_sgpr_dispatch_ptr 0
		.amdhsa_user_sgpr_queue_ptr 0
		.amdhsa_user_sgpr_kernarg_segment_ptr 1
		.amdhsa_user_sgpr_dispatch_id 0
		.amdhsa_user_sgpr_kernarg_preload_length 0
		.amdhsa_user_sgpr_kernarg_preload_offset 0
		.amdhsa_user_sgpr_private_segment_size 0
		.amdhsa_uses_dynamic_stack 0
		.amdhsa_enable_private_segment 0
		.amdhsa_system_sgpr_workgroup_id_x 1
		.amdhsa_system_sgpr_workgroup_id_y 0
		.amdhsa_system_sgpr_workgroup_id_z 0
		.amdhsa_system_sgpr_workgroup_info 0
		.amdhsa_system_vgpr_workitem_id 0
		.amdhsa_next_free_vgpr 1
		.amdhsa_next_free_sgpr 0
		.amdhsa_accum_offset 4
		.amdhsa_reserve_vcc 0
		.amdhsa_float_round_mode_32 0
		.amdhsa_float_round_mode_16_64 0
		.amdhsa_float_denorm_mode_32 3
		.amdhsa_float_denorm_mode_16_64 3
		.amdhsa_dx10_clamp 1
		.amdhsa_ieee_mode 1
		.amdhsa_fp16_overflow 0
		.amdhsa_tg_split 0
		.amdhsa_exception_fp_ieee_invalid_op 0
		.amdhsa_exception_fp_denorm_src 0
		.amdhsa_exception_fp_ieee_div_zero 0
		.amdhsa_exception_fp_ieee_overflow 0
		.amdhsa_exception_fp_ieee_underflow 0
		.amdhsa_exception_fp_ieee_inexact 0
		.amdhsa_exception_int_div_zero 0
	.end_amdhsa_kernel
	.section	.text._ZN7rocprim17ROCPRIM_400000_NS6detail17trampoline_kernelINS0_14default_configENS1_25transform_config_selectorIlLb0EEEZNS1_14transform_implILb0ES3_S5_NS0_18transform_iteratorINS0_17counting_iteratorImlEEZNS1_24adjacent_difference_implIS3_Lb1ELb0EPlSB_ZN2at6native12_GLOBAL__N_124unique_dim_cuda_templateImEESt5tupleIJNSC_6TensorESH_SH_EERKSH_lbbbEUlllE1_EE10hipError_tPvRmT2_T3_mT4_P12ihipStream_tbEUlmE_lEESB_NS0_8identityIvEEEESM_SP_SQ_mSR_ST_bEUlT_E_NS1_11comp_targetILNS1_3genE10ELNS1_11target_archE1200ELNS1_3gpuE4ELNS1_3repE0EEENS1_30default_config_static_selectorELNS0_4arch9wavefront6targetE1EEEvT1_,"axG",@progbits,_ZN7rocprim17ROCPRIM_400000_NS6detail17trampoline_kernelINS0_14default_configENS1_25transform_config_selectorIlLb0EEEZNS1_14transform_implILb0ES3_S5_NS0_18transform_iteratorINS0_17counting_iteratorImlEEZNS1_24adjacent_difference_implIS3_Lb1ELb0EPlSB_ZN2at6native12_GLOBAL__N_124unique_dim_cuda_templateImEESt5tupleIJNSC_6TensorESH_SH_EERKSH_lbbbEUlllE1_EE10hipError_tPvRmT2_T3_mT4_P12ihipStream_tbEUlmE_lEESB_NS0_8identityIvEEEESM_SP_SQ_mSR_ST_bEUlT_E_NS1_11comp_targetILNS1_3genE10ELNS1_11target_archE1200ELNS1_3gpuE4ELNS1_3repE0EEENS1_30default_config_static_selectorELNS0_4arch9wavefront6targetE1EEEvT1_,comdat
.Lfunc_end1663:
	.size	_ZN7rocprim17ROCPRIM_400000_NS6detail17trampoline_kernelINS0_14default_configENS1_25transform_config_selectorIlLb0EEEZNS1_14transform_implILb0ES3_S5_NS0_18transform_iteratorINS0_17counting_iteratorImlEEZNS1_24adjacent_difference_implIS3_Lb1ELb0EPlSB_ZN2at6native12_GLOBAL__N_124unique_dim_cuda_templateImEESt5tupleIJNSC_6TensorESH_SH_EERKSH_lbbbEUlllE1_EE10hipError_tPvRmT2_T3_mT4_P12ihipStream_tbEUlmE_lEESB_NS0_8identityIvEEEESM_SP_SQ_mSR_ST_bEUlT_E_NS1_11comp_targetILNS1_3genE10ELNS1_11target_archE1200ELNS1_3gpuE4ELNS1_3repE0EEENS1_30default_config_static_selectorELNS0_4arch9wavefront6targetE1EEEvT1_, .Lfunc_end1663-_ZN7rocprim17ROCPRIM_400000_NS6detail17trampoline_kernelINS0_14default_configENS1_25transform_config_selectorIlLb0EEEZNS1_14transform_implILb0ES3_S5_NS0_18transform_iteratorINS0_17counting_iteratorImlEEZNS1_24adjacent_difference_implIS3_Lb1ELb0EPlSB_ZN2at6native12_GLOBAL__N_124unique_dim_cuda_templateImEESt5tupleIJNSC_6TensorESH_SH_EERKSH_lbbbEUlllE1_EE10hipError_tPvRmT2_T3_mT4_P12ihipStream_tbEUlmE_lEESB_NS0_8identityIvEEEESM_SP_SQ_mSR_ST_bEUlT_E_NS1_11comp_targetILNS1_3genE10ELNS1_11target_archE1200ELNS1_3gpuE4ELNS1_3repE0EEENS1_30default_config_static_selectorELNS0_4arch9wavefront6targetE1EEEvT1_
                                        ; -- End function
	.section	.AMDGPU.csdata,"",@progbits
; Kernel info:
; codeLenInByte = 0
; NumSgprs: 6
; NumVgprs: 0
; NumAgprs: 0
; TotalNumVgprs: 0
; ScratchSize: 0
; MemoryBound: 0
; FloatMode: 240
; IeeeMode: 1
; LDSByteSize: 0 bytes/workgroup (compile time only)
; SGPRBlocks: 0
; VGPRBlocks: 0
; NumSGPRsForWavesPerEU: 6
; NumVGPRsForWavesPerEU: 1
; AccumOffset: 4
; Occupancy: 8
; WaveLimiterHint : 0
; COMPUTE_PGM_RSRC2:SCRATCH_EN: 0
; COMPUTE_PGM_RSRC2:USER_SGPR: 2
; COMPUTE_PGM_RSRC2:TRAP_HANDLER: 0
; COMPUTE_PGM_RSRC2:TGID_X_EN: 1
; COMPUTE_PGM_RSRC2:TGID_Y_EN: 0
; COMPUTE_PGM_RSRC2:TGID_Z_EN: 0
; COMPUTE_PGM_RSRC2:TIDIG_COMP_CNT: 0
; COMPUTE_PGM_RSRC3_GFX90A:ACCUM_OFFSET: 0
; COMPUTE_PGM_RSRC3_GFX90A:TG_SPLIT: 0
	.section	.text._ZN7rocprim17ROCPRIM_400000_NS6detail17trampoline_kernelINS0_14default_configENS1_25transform_config_selectorIlLb0EEEZNS1_14transform_implILb0ES3_S5_NS0_18transform_iteratorINS0_17counting_iteratorImlEEZNS1_24adjacent_difference_implIS3_Lb1ELb0EPlSB_ZN2at6native12_GLOBAL__N_124unique_dim_cuda_templateImEESt5tupleIJNSC_6TensorESH_SH_EERKSH_lbbbEUlllE1_EE10hipError_tPvRmT2_T3_mT4_P12ihipStream_tbEUlmE_lEESB_NS0_8identityIvEEEESM_SP_SQ_mSR_ST_bEUlT_E_NS1_11comp_targetILNS1_3genE9ELNS1_11target_archE1100ELNS1_3gpuE3ELNS1_3repE0EEENS1_30default_config_static_selectorELNS0_4arch9wavefront6targetE1EEEvT1_,"axG",@progbits,_ZN7rocprim17ROCPRIM_400000_NS6detail17trampoline_kernelINS0_14default_configENS1_25transform_config_selectorIlLb0EEEZNS1_14transform_implILb0ES3_S5_NS0_18transform_iteratorINS0_17counting_iteratorImlEEZNS1_24adjacent_difference_implIS3_Lb1ELb0EPlSB_ZN2at6native12_GLOBAL__N_124unique_dim_cuda_templateImEESt5tupleIJNSC_6TensorESH_SH_EERKSH_lbbbEUlllE1_EE10hipError_tPvRmT2_T3_mT4_P12ihipStream_tbEUlmE_lEESB_NS0_8identityIvEEEESM_SP_SQ_mSR_ST_bEUlT_E_NS1_11comp_targetILNS1_3genE9ELNS1_11target_archE1100ELNS1_3gpuE3ELNS1_3repE0EEENS1_30default_config_static_selectorELNS0_4arch9wavefront6targetE1EEEvT1_,comdat
	.globl	_ZN7rocprim17ROCPRIM_400000_NS6detail17trampoline_kernelINS0_14default_configENS1_25transform_config_selectorIlLb0EEEZNS1_14transform_implILb0ES3_S5_NS0_18transform_iteratorINS0_17counting_iteratorImlEEZNS1_24adjacent_difference_implIS3_Lb1ELb0EPlSB_ZN2at6native12_GLOBAL__N_124unique_dim_cuda_templateImEESt5tupleIJNSC_6TensorESH_SH_EERKSH_lbbbEUlllE1_EE10hipError_tPvRmT2_T3_mT4_P12ihipStream_tbEUlmE_lEESB_NS0_8identityIvEEEESM_SP_SQ_mSR_ST_bEUlT_E_NS1_11comp_targetILNS1_3genE9ELNS1_11target_archE1100ELNS1_3gpuE3ELNS1_3repE0EEENS1_30default_config_static_selectorELNS0_4arch9wavefront6targetE1EEEvT1_ ; -- Begin function _ZN7rocprim17ROCPRIM_400000_NS6detail17trampoline_kernelINS0_14default_configENS1_25transform_config_selectorIlLb0EEEZNS1_14transform_implILb0ES3_S5_NS0_18transform_iteratorINS0_17counting_iteratorImlEEZNS1_24adjacent_difference_implIS3_Lb1ELb0EPlSB_ZN2at6native12_GLOBAL__N_124unique_dim_cuda_templateImEESt5tupleIJNSC_6TensorESH_SH_EERKSH_lbbbEUlllE1_EE10hipError_tPvRmT2_T3_mT4_P12ihipStream_tbEUlmE_lEESB_NS0_8identityIvEEEESM_SP_SQ_mSR_ST_bEUlT_E_NS1_11comp_targetILNS1_3genE9ELNS1_11target_archE1100ELNS1_3gpuE3ELNS1_3repE0EEENS1_30default_config_static_selectorELNS0_4arch9wavefront6targetE1EEEvT1_
	.p2align	8
	.type	_ZN7rocprim17ROCPRIM_400000_NS6detail17trampoline_kernelINS0_14default_configENS1_25transform_config_selectorIlLb0EEEZNS1_14transform_implILb0ES3_S5_NS0_18transform_iteratorINS0_17counting_iteratorImlEEZNS1_24adjacent_difference_implIS3_Lb1ELb0EPlSB_ZN2at6native12_GLOBAL__N_124unique_dim_cuda_templateImEESt5tupleIJNSC_6TensorESH_SH_EERKSH_lbbbEUlllE1_EE10hipError_tPvRmT2_T3_mT4_P12ihipStream_tbEUlmE_lEESB_NS0_8identityIvEEEESM_SP_SQ_mSR_ST_bEUlT_E_NS1_11comp_targetILNS1_3genE9ELNS1_11target_archE1100ELNS1_3gpuE3ELNS1_3repE0EEENS1_30default_config_static_selectorELNS0_4arch9wavefront6targetE1EEEvT1_,@function
_ZN7rocprim17ROCPRIM_400000_NS6detail17trampoline_kernelINS0_14default_configENS1_25transform_config_selectorIlLb0EEEZNS1_14transform_implILb0ES3_S5_NS0_18transform_iteratorINS0_17counting_iteratorImlEEZNS1_24adjacent_difference_implIS3_Lb1ELb0EPlSB_ZN2at6native12_GLOBAL__N_124unique_dim_cuda_templateImEESt5tupleIJNSC_6TensorESH_SH_EERKSH_lbbbEUlllE1_EE10hipError_tPvRmT2_T3_mT4_P12ihipStream_tbEUlmE_lEESB_NS0_8identityIvEEEESM_SP_SQ_mSR_ST_bEUlT_E_NS1_11comp_targetILNS1_3genE9ELNS1_11target_archE1100ELNS1_3gpuE3ELNS1_3repE0EEENS1_30default_config_static_selectorELNS0_4arch9wavefront6targetE1EEEvT1_: ; @_ZN7rocprim17ROCPRIM_400000_NS6detail17trampoline_kernelINS0_14default_configENS1_25transform_config_selectorIlLb0EEEZNS1_14transform_implILb0ES3_S5_NS0_18transform_iteratorINS0_17counting_iteratorImlEEZNS1_24adjacent_difference_implIS3_Lb1ELb0EPlSB_ZN2at6native12_GLOBAL__N_124unique_dim_cuda_templateImEESt5tupleIJNSC_6TensorESH_SH_EERKSH_lbbbEUlllE1_EE10hipError_tPvRmT2_T3_mT4_P12ihipStream_tbEUlmE_lEESB_NS0_8identityIvEEEESM_SP_SQ_mSR_ST_bEUlT_E_NS1_11comp_targetILNS1_3genE9ELNS1_11target_archE1100ELNS1_3gpuE3ELNS1_3repE0EEENS1_30default_config_static_selectorELNS0_4arch9wavefront6targetE1EEEvT1_
; %bb.0:
	.section	.rodata,"a",@progbits
	.p2align	6, 0x0
	.amdhsa_kernel _ZN7rocprim17ROCPRIM_400000_NS6detail17trampoline_kernelINS0_14default_configENS1_25transform_config_selectorIlLb0EEEZNS1_14transform_implILb0ES3_S5_NS0_18transform_iteratorINS0_17counting_iteratorImlEEZNS1_24adjacent_difference_implIS3_Lb1ELb0EPlSB_ZN2at6native12_GLOBAL__N_124unique_dim_cuda_templateImEESt5tupleIJNSC_6TensorESH_SH_EERKSH_lbbbEUlllE1_EE10hipError_tPvRmT2_T3_mT4_P12ihipStream_tbEUlmE_lEESB_NS0_8identityIvEEEESM_SP_SQ_mSR_ST_bEUlT_E_NS1_11comp_targetILNS1_3genE9ELNS1_11target_archE1100ELNS1_3gpuE3ELNS1_3repE0EEENS1_30default_config_static_selectorELNS0_4arch9wavefront6targetE1EEEvT1_
		.amdhsa_group_segment_fixed_size 0
		.amdhsa_private_segment_fixed_size 0
		.amdhsa_kernarg_size 56
		.amdhsa_user_sgpr_count 2
		.amdhsa_user_sgpr_dispatch_ptr 0
		.amdhsa_user_sgpr_queue_ptr 0
		.amdhsa_user_sgpr_kernarg_segment_ptr 1
		.amdhsa_user_sgpr_dispatch_id 0
		.amdhsa_user_sgpr_kernarg_preload_length 0
		.amdhsa_user_sgpr_kernarg_preload_offset 0
		.amdhsa_user_sgpr_private_segment_size 0
		.amdhsa_uses_dynamic_stack 0
		.amdhsa_enable_private_segment 0
		.amdhsa_system_sgpr_workgroup_id_x 1
		.amdhsa_system_sgpr_workgroup_id_y 0
		.amdhsa_system_sgpr_workgroup_id_z 0
		.amdhsa_system_sgpr_workgroup_info 0
		.amdhsa_system_vgpr_workitem_id 0
		.amdhsa_next_free_vgpr 1
		.amdhsa_next_free_sgpr 0
		.amdhsa_accum_offset 4
		.amdhsa_reserve_vcc 0
		.amdhsa_float_round_mode_32 0
		.amdhsa_float_round_mode_16_64 0
		.amdhsa_float_denorm_mode_32 3
		.amdhsa_float_denorm_mode_16_64 3
		.amdhsa_dx10_clamp 1
		.amdhsa_ieee_mode 1
		.amdhsa_fp16_overflow 0
		.amdhsa_tg_split 0
		.amdhsa_exception_fp_ieee_invalid_op 0
		.amdhsa_exception_fp_denorm_src 0
		.amdhsa_exception_fp_ieee_div_zero 0
		.amdhsa_exception_fp_ieee_overflow 0
		.amdhsa_exception_fp_ieee_underflow 0
		.amdhsa_exception_fp_ieee_inexact 0
		.amdhsa_exception_int_div_zero 0
	.end_amdhsa_kernel
	.section	.text._ZN7rocprim17ROCPRIM_400000_NS6detail17trampoline_kernelINS0_14default_configENS1_25transform_config_selectorIlLb0EEEZNS1_14transform_implILb0ES3_S5_NS0_18transform_iteratorINS0_17counting_iteratorImlEEZNS1_24adjacent_difference_implIS3_Lb1ELb0EPlSB_ZN2at6native12_GLOBAL__N_124unique_dim_cuda_templateImEESt5tupleIJNSC_6TensorESH_SH_EERKSH_lbbbEUlllE1_EE10hipError_tPvRmT2_T3_mT4_P12ihipStream_tbEUlmE_lEESB_NS0_8identityIvEEEESM_SP_SQ_mSR_ST_bEUlT_E_NS1_11comp_targetILNS1_3genE9ELNS1_11target_archE1100ELNS1_3gpuE3ELNS1_3repE0EEENS1_30default_config_static_selectorELNS0_4arch9wavefront6targetE1EEEvT1_,"axG",@progbits,_ZN7rocprim17ROCPRIM_400000_NS6detail17trampoline_kernelINS0_14default_configENS1_25transform_config_selectorIlLb0EEEZNS1_14transform_implILb0ES3_S5_NS0_18transform_iteratorINS0_17counting_iteratorImlEEZNS1_24adjacent_difference_implIS3_Lb1ELb0EPlSB_ZN2at6native12_GLOBAL__N_124unique_dim_cuda_templateImEESt5tupleIJNSC_6TensorESH_SH_EERKSH_lbbbEUlllE1_EE10hipError_tPvRmT2_T3_mT4_P12ihipStream_tbEUlmE_lEESB_NS0_8identityIvEEEESM_SP_SQ_mSR_ST_bEUlT_E_NS1_11comp_targetILNS1_3genE9ELNS1_11target_archE1100ELNS1_3gpuE3ELNS1_3repE0EEENS1_30default_config_static_selectorELNS0_4arch9wavefront6targetE1EEEvT1_,comdat
.Lfunc_end1664:
	.size	_ZN7rocprim17ROCPRIM_400000_NS6detail17trampoline_kernelINS0_14default_configENS1_25transform_config_selectorIlLb0EEEZNS1_14transform_implILb0ES3_S5_NS0_18transform_iteratorINS0_17counting_iteratorImlEEZNS1_24adjacent_difference_implIS3_Lb1ELb0EPlSB_ZN2at6native12_GLOBAL__N_124unique_dim_cuda_templateImEESt5tupleIJNSC_6TensorESH_SH_EERKSH_lbbbEUlllE1_EE10hipError_tPvRmT2_T3_mT4_P12ihipStream_tbEUlmE_lEESB_NS0_8identityIvEEEESM_SP_SQ_mSR_ST_bEUlT_E_NS1_11comp_targetILNS1_3genE9ELNS1_11target_archE1100ELNS1_3gpuE3ELNS1_3repE0EEENS1_30default_config_static_selectorELNS0_4arch9wavefront6targetE1EEEvT1_, .Lfunc_end1664-_ZN7rocprim17ROCPRIM_400000_NS6detail17trampoline_kernelINS0_14default_configENS1_25transform_config_selectorIlLb0EEEZNS1_14transform_implILb0ES3_S5_NS0_18transform_iteratorINS0_17counting_iteratorImlEEZNS1_24adjacent_difference_implIS3_Lb1ELb0EPlSB_ZN2at6native12_GLOBAL__N_124unique_dim_cuda_templateImEESt5tupleIJNSC_6TensorESH_SH_EERKSH_lbbbEUlllE1_EE10hipError_tPvRmT2_T3_mT4_P12ihipStream_tbEUlmE_lEESB_NS0_8identityIvEEEESM_SP_SQ_mSR_ST_bEUlT_E_NS1_11comp_targetILNS1_3genE9ELNS1_11target_archE1100ELNS1_3gpuE3ELNS1_3repE0EEENS1_30default_config_static_selectorELNS0_4arch9wavefront6targetE1EEEvT1_
                                        ; -- End function
	.section	.AMDGPU.csdata,"",@progbits
; Kernel info:
; codeLenInByte = 0
; NumSgprs: 6
; NumVgprs: 0
; NumAgprs: 0
; TotalNumVgprs: 0
; ScratchSize: 0
; MemoryBound: 0
; FloatMode: 240
; IeeeMode: 1
; LDSByteSize: 0 bytes/workgroup (compile time only)
; SGPRBlocks: 0
; VGPRBlocks: 0
; NumSGPRsForWavesPerEU: 6
; NumVGPRsForWavesPerEU: 1
; AccumOffset: 4
; Occupancy: 8
; WaveLimiterHint : 0
; COMPUTE_PGM_RSRC2:SCRATCH_EN: 0
; COMPUTE_PGM_RSRC2:USER_SGPR: 2
; COMPUTE_PGM_RSRC2:TRAP_HANDLER: 0
; COMPUTE_PGM_RSRC2:TGID_X_EN: 1
; COMPUTE_PGM_RSRC2:TGID_Y_EN: 0
; COMPUTE_PGM_RSRC2:TGID_Z_EN: 0
; COMPUTE_PGM_RSRC2:TIDIG_COMP_CNT: 0
; COMPUTE_PGM_RSRC3_GFX90A:ACCUM_OFFSET: 0
; COMPUTE_PGM_RSRC3_GFX90A:TG_SPLIT: 0
	.section	.text._ZN7rocprim17ROCPRIM_400000_NS6detail17trampoline_kernelINS0_14default_configENS1_25transform_config_selectorIlLb0EEEZNS1_14transform_implILb0ES3_S5_NS0_18transform_iteratorINS0_17counting_iteratorImlEEZNS1_24adjacent_difference_implIS3_Lb1ELb0EPlSB_ZN2at6native12_GLOBAL__N_124unique_dim_cuda_templateImEESt5tupleIJNSC_6TensorESH_SH_EERKSH_lbbbEUlllE1_EE10hipError_tPvRmT2_T3_mT4_P12ihipStream_tbEUlmE_lEESB_NS0_8identityIvEEEESM_SP_SQ_mSR_ST_bEUlT_E_NS1_11comp_targetILNS1_3genE8ELNS1_11target_archE1030ELNS1_3gpuE2ELNS1_3repE0EEENS1_30default_config_static_selectorELNS0_4arch9wavefront6targetE1EEEvT1_,"axG",@progbits,_ZN7rocprim17ROCPRIM_400000_NS6detail17trampoline_kernelINS0_14default_configENS1_25transform_config_selectorIlLb0EEEZNS1_14transform_implILb0ES3_S5_NS0_18transform_iteratorINS0_17counting_iteratorImlEEZNS1_24adjacent_difference_implIS3_Lb1ELb0EPlSB_ZN2at6native12_GLOBAL__N_124unique_dim_cuda_templateImEESt5tupleIJNSC_6TensorESH_SH_EERKSH_lbbbEUlllE1_EE10hipError_tPvRmT2_T3_mT4_P12ihipStream_tbEUlmE_lEESB_NS0_8identityIvEEEESM_SP_SQ_mSR_ST_bEUlT_E_NS1_11comp_targetILNS1_3genE8ELNS1_11target_archE1030ELNS1_3gpuE2ELNS1_3repE0EEENS1_30default_config_static_selectorELNS0_4arch9wavefront6targetE1EEEvT1_,comdat
	.globl	_ZN7rocprim17ROCPRIM_400000_NS6detail17trampoline_kernelINS0_14default_configENS1_25transform_config_selectorIlLb0EEEZNS1_14transform_implILb0ES3_S5_NS0_18transform_iteratorINS0_17counting_iteratorImlEEZNS1_24adjacent_difference_implIS3_Lb1ELb0EPlSB_ZN2at6native12_GLOBAL__N_124unique_dim_cuda_templateImEESt5tupleIJNSC_6TensorESH_SH_EERKSH_lbbbEUlllE1_EE10hipError_tPvRmT2_T3_mT4_P12ihipStream_tbEUlmE_lEESB_NS0_8identityIvEEEESM_SP_SQ_mSR_ST_bEUlT_E_NS1_11comp_targetILNS1_3genE8ELNS1_11target_archE1030ELNS1_3gpuE2ELNS1_3repE0EEENS1_30default_config_static_selectorELNS0_4arch9wavefront6targetE1EEEvT1_ ; -- Begin function _ZN7rocprim17ROCPRIM_400000_NS6detail17trampoline_kernelINS0_14default_configENS1_25transform_config_selectorIlLb0EEEZNS1_14transform_implILb0ES3_S5_NS0_18transform_iteratorINS0_17counting_iteratorImlEEZNS1_24adjacent_difference_implIS3_Lb1ELb0EPlSB_ZN2at6native12_GLOBAL__N_124unique_dim_cuda_templateImEESt5tupleIJNSC_6TensorESH_SH_EERKSH_lbbbEUlllE1_EE10hipError_tPvRmT2_T3_mT4_P12ihipStream_tbEUlmE_lEESB_NS0_8identityIvEEEESM_SP_SQ_mSR_ST_bEUlT_E_NS1_11comp_targetILNS1_3genE8ELNS1_11target_archE1030ELNS1_3gpuE2ELNS1_3repE0EEENS1_30default_config_static_selectorELNS0_4arch9wavefront6targetE1EEEvT1_
	.p2align	8
	.type	_ZN7rocprim17ROCPRIM_400000_NS6detail17trampoline_kernelINS0_14default_configENS1_25transform_config_selectorIlLb0EEEZNS1_14transform_implILb0ES3_S5_NS0_18transform_iteratorINS0_17counting_iteratorImlEEZNS1_24adjacent_difference_implIS3_Lb1ELb0EPlSB_ZN2at6native12_GLOBAL__N_124unique_dim_cuda_templateImEESt5tupleIJNSC_6TensorESH_SH_EERKSH_lbbbEUlllE1_EE10hipError_tPvRmT2_T3_mT4_P12ihipStream_tbEUlmE_lEESB_NS0_8identityIvEEEESM_SP_SQ_mSR_ST_bEUlT_E_NS1_11comp_targetILNS1_3genE8ELNS1_11target_archE1030ELNS1_3gpuE2ELNS1_3repE0EEENS1_30default_config_static_selectorELNS0_4arch9wavefront6targetE1EEEvT1_,@function
_ZN7rocprim17ROCPRIM_400000_NS6detail17trampoline_kernelINS0_14default_configENS1_25transform_config_selectorIlLb0EEEZNS1_14transform_implILb0ES3_S5_NS0_18transform_iteratorINS0_17counting_iteratorImlEEZNS1_24adjacent_difference_implIS3_Lb1ELb0EPlSB_ZN2at6native12_GLOBAL__N_124unique_dim_cuda_templateImEESt5tupleIJNSC_6TensorESH_SH_EERKSH_lbbbEUlllE1_EE10hipError_tPvRmT2_T3_mT4_P12ihipStream_tbEUlmE_lEESB_NS0_8identityIvEEEESM_SP_SQ_mSR_ST_bEUlT_E_NS1_11comp_targetILNS1_3genE8ELNS1_11target_archE1030ELNS1_3gpuE2ELNS1_3repE0EEENS1_30default_config_static_selectorELNS0_4arch9wavefront6targetE1EEEvT1_: ; @_ZN7rocprim17ROCPRIM_400000_NS6detail17trampoline_kernelINS0_14default_configENS1_25transform_config_selectorIlLb0EEEZNS1_14transform_implILb0ES3_S5_NS0_18transform_iteratorINS0_17counting_iteratorImlEEZNS1_24adjacent_difference_implIS3_Lb1ELb0EPlSB_ZN2at6native12_GLOBAL__N_124unique_dim_cuda_templateImEESt5tupleIJNSC_6TensorESH_SH_EERKSH_lbbbEUlllE1_EE10hipError_tPvRmT2_T3_mT4_P12ihipStream_tbEUlmE_lEESB_NS0_8identityIvEEEESM_SP_SQ_mSR_ST_bEUlT_E_NS1_11comp_targetILNS1_3genE8ELNS1_11target_archE1030ELNS1_3gpuE2ELNS1_3repE0EEENS1_30default_config_static_selectorELNS0_4arch9wavefront6targetE1EEEvT1_
; %bb.0:
	.section	.rodata,"a",@progbits
	.p2align	6, 0x0
	.amdhsa_kernel _ZN7rocprim17ROCPRIM_400000_NS6detail17trampoline_kernelINS0_14default_configENS1_25transform_config_selectorIlLb0EEEZNS1_14transform_implILb0ES3_S5_NS0_18transform_iteratorINS0_17counting_iteratorImlEEZNS1_24adjacent_difference_implIS3_Lb1ELb0EPlSB_ZN2at6native12_GLOBAL__N_124unique_dim_cuda_templateImEESt5tupleIJNSC_6TensorESH_SH_EERKSH_lbbbEUlllE1_EE10hipError_tPvRmT2_T3_mT4_P12ihipStream_tbEUlmE_lEESB_NS0_8identityIvEEEESM_SP_SQ_mSR_ST_bEUlT_E_NS1_11comp_targetILNS1_3genE8ELNS1_11target_archE1030ELNS1_3gpuE2ELNS1_3repE0EEENS1_30default_config_static_selectorELNS0_4arch9wavefront6targetE1EEEvT1_
		.amdhsa_group_segment_fixed_size 0
		.amdhsa_private_segment_fixed_size 0
		.amdhsa_kernarg_size 56
		.amdhsa_user_sgpr_count 2
		.amdhsa_user_sgpr_dispatch_ptr 0
		.amdhsa_user_sgpr_queue_ptr 0
		.amdhsa_user_sgpr_kernarg_segment_ptr 1
		.amdhsa_user_sgpr_dispatch_id 0
		.amdhsa_user_sgpr_kernarg_preload_length 0
		.amdhsa_user_sgpr_kernarg_preload_offset 0
		.amdhsa_user_sgpr_private_segment_size 0
		.amdhsa_uses_dynamic_stack 0
		.amdhsa_enable_private_segment 0
		.amdhsa_system_sgpr_workgroup_id_x 1
		.amdhsa_system_sgpr_workgroup_id_y 0
		.amdhsa_system_sgpr_workgroup_id_z 0
		.amdhsa_system_sgpr_workgroup_info 0
		.amdhsa_system_vgpr_workitem_id 0
		.amdhsa_next_free_vgpr 1
		.amdhsa_next_free_sgpr 0
		.amdhsa_accum_offset 4
		.amdhsa_reserve_vcc 0
		.amdhsa_float_round_mode_32 0
		.amdhsa_float_round_mode_16_64 0
		.amdhsa_float_denorm_mode_32 3
		.amdhsa_float_denorm_mode_16_64 3
		.amdhsa_dx10_clamp 1
		.amdhsa_ieee_mode 1
		.amdhsa_fp16_overflow 0
		.amdhsa_tg_split 0
		.amdhsa_exception_fp_ieee_invalid_op 0
		.amdhsa_exception_fp_denorm_src 0
		.amdhsa_exception_fp_ieee_div_zero 0
		.amdhsa_exception_fp_ieee_overflow 0
		.amdhsa_exception_fp_ieee_underflow 0
		.amdhsa_exception_fp_ieee_inexact 0
		.amdhsa_exception_int_div_zero 0
	.end_amdhsa_kernel
	.section	.text._ZN7rocprim17ROCPRIM_400000_NS6detail17trampoline_kernelINS0_14default_configENS1_25transform_config_selectorIlLb0EEEZNS1_14transform_implILb0ES3_S5_NS0_18transform_iteratorINS0_17counting_iteratorImlEEZNS1_24adjacent_difference_implIS3_Lb1ELb0EPlSB_ZN2at6native12_GLOBAL__N_124unique_dim_cuda_templateImEESt5tupleIJNSC_6TensorESH_SH_EERKSH_lbbbEUlllE1_EE10hipError_tPvRmT2_T3_mT4_P12ihipStream_tbEUlmE_lEESB_NS0_8identityIvEEEESM_SP_SQ_mSR_ST_bEUlT_E_NS1_11comp_targetILNS1_3genE8ELNS1_11target_archE1030ELNS1_3gpuE2ELNS1_3repE0EEENS1_30default_config_static_selectorELNS0_4arch9wavefront6targetE1EEEvT1_,"axG",@progbits,_ZN7rocprim17ROCPRIM_400000_NS6detail17trampoline_kernelINS0_14default_configENS1_25transform_config_selectorIlLb0EEEZNS1_14transform_implILb0ES3_S5_NS0_18transform_iteratorINS0_17counting_iteratorImlEEZNS1_24adjacent_difference_implIS3_Lb1ELb0EPlSB_ZN2at6native12_GLOBAL__N_124unique_dim_cuda_templateImEESt5tupleIJNSC_6TensorESH_SH_EERKSH_lbbbEUlllE1_EE10hipError_tPvRmT2_T3_mT4_P12ihipStream_tbEUlmE_lEESB_NS0_8identityIvEEEESM_SP_SQ_mSR_ST_bEUlT_E_NS1_11comp_targetILNS1_3genE8ELNS1_11target_archE1030ELNS1_3gpuE2ELNS1_3repE0EEENS1_30default_config_static_selectorELNS0_4arch9wavefront6targetE1EEEvT1_,comdat
.Lfunc_end1665:
	.size	_ZN7rocprim17ROCPRIM_400000_NS6detail17trampoline_kernelINS0_14default_configENS1_25transform_config_selectorIlLb0EEEZNS1_14transform_implILb0ES3_S5_NS0_18transform_iteratorINS0_17counting_iteratorImlEEZNS1_24adjacent_difference_implIS3_Lb1ELb0EPlSB_ZN2at6native12_GLOBAL__N_124unique_dim_cuda_templateImEESt5tupleIJNSC_6TensorESH_SH_EERKSH_lbbbEUlllE1_EE10hipError_tPvRmT2_T3_mT4_P12ihipStream_tbEUlmE_lEESB_NS0_8identityIvEEEESM_SP_SQ_mSR_ST_bEUlT_E_NS1_11comp_targetILNS1_3genE8ELNS1_11target_archE1030ELNS1_3gpuE2ELNS1_3repE0EEENS1_30default_config_static_selectorELNS0_4arch9wavefront6targetE1EEEvT1_, .Lfunc_end1665-_ZN7rocprim17ROCPRIM_400000_NS6detail17trampoline_kernelINS0_14default_configENS1_25transform_config_selectorIlLb0EEEZNS1_14transform_implILb0ES3_S5_NS0_18transform_iteratorINS0_17counting_iteratorImlEEZNS1_24adjacent_difference_implIS3_Lb1ELb0EPlSB_ZN2at6native12_GLOBAL__N_124unique_dim_cuda_templateImEESt5tupleIJNSC_6TensorESH_SH_EERKSH_lbbbEUlllE1_EE10hipError_tPvRmT2_T3_mT4_P12ihipStream_tbEUlmE_lEESB_NS0_8identityIvEEEESM_SP_SQ_mSR_ST_bEUlT_E_NS1_11comp_targetILNS1_3genE8ELNS1_11target_archE1030ELNS1_3gpuE2ELNS1_3repE0EEENS1_30default_config_static_selectorELNS0_4arch9wavefront6targetE1EEEvT1_
                                        ; -- End function
	.section	.AMDGPU.csdata,"",@progbits
; Kernel info:
; codeLenInByte = 0
; NumSgprs: 6
; NumVgprs: 0
; NumAgprs: 0
; TotalNumVgprs: 0
; ScratchSize: 0
; MemoryBound: 0
; FloatMode: 240
; IeeeMode: 1
; LDSByteSize: 0 bytes/workgroup (compile time only)
; SGPRBlocks: 0
; VGPRBlocks: 0
; NumSGPRsForWavesPerEU: 6
; NumVGPRsForWavesPerEU: 1
; AccumOffset: 4
; Occupancy: 8
; WaveLimiterHint : 0
; COMPUTE_PGM_RSRC2:SCRATCH_EN: 0
; COMPUTE_PGM_RSRC2:USER_SGPR: 2
; COMPUTE_PGM_RSRC2:TRAP_HANDLER: 0
; COMPUTE_PGM_RSRC2:TGID_X_EN: 1
; COMPUTE_PGM_RSRC2:TGID_Y_EN: 0
; COMPUTE_PGM_RSRC2:TGID_Z_EN: 0
; COMPUTE_PGM_RSRC2:TIDIG_COMP_CNT: 0
; COMPUTE_PGM_RSRC3_GFX90A:ACCUM_OFFSET: 0
; COMPUTE_PGM_RSRC3_GFX90A:TG_SPLIT: 0
	.section	.text._ZN7rocprim17ROCPRIM_400000_NS6detail17trampoline_kernelINS0_14default_configENS1_35adjacent_difference_config_selectorILb1ElEEZNS1_24adjacent_difference_implIS3_Lb1ELb0EPlS7_ZN2at6native12_GLOBAL__N_124unique_dim_cuda_templateImEESt5tupleIJNS8_6TensorESD_SD_EERKSD_lbbbEUlllE1_EE10hipError_tPvRmT2_T3_mT4_P12ihipStream_tbEUlT_E_NS1_11comp_targetILNS1_3genE0ELNS1_11target_archE4294967295ELNS1_3gpuE0ELNS1_3repE0EEENS1_30default_config_static_selectorELNS0_4arch9wavefront6targetE1EEEvT1_,"axG",@progbits,_ZN7rocprim17ROCPRIM_400000_NS6detail17trampoline_kernelINS0_14default_configENS1_35adjacent_difference_config_selectorILb1ElEEZNS1_24adjacent_difference_implIS3_Lb1ELb0EPlS7_ZN2at6native12_GLOBAL__N_124unique_dim_cuda_templateImEESt5tupleIJNS8_6TensorESD_SD_EERKSD_lbbbEUlllE1_EE10hipError_tPvRmT2_T3_mT4_P12ihipStream_tbEUlT_E_NS1_11comp_targetILNS1_3genE0ELNS1_11target_archE4294967295ELNS1_3gpuE0ELNS1_3repE0EEENS1_30default_config_static_selectorELNS0_4arch9wavefront6targetE1EEEvT1_,comdat
	.globl	_ZN7rocprim17ROCPRIM_400000_NS6detail17trampoline_kernelINS0_14default_configENS1_35adjacent_difference_config_selectorILb1ElEEZNS1_24adjacent_difference_implIS3_Lb1ELb0EPlS7_ZN2at6native12_GLOBAL__N_124unique_dim_cuda_templateImEESt5tupleIJNS8_6TensorESD_SD_EERKSD_lbbbEUlllE1_EE10hipError_tPvRmT2_T3_mT4_P12ihipStream_tbEUlT_E_NS1_11comp_targetILNS1_3genE0ELNS1_11target_archE4294967295ELNS1_3gpuE0ELNS1_3repE0EEENS1_30default_config_static_selectorELNS0_4arch9wavefront6targetE1EEEvT1_ ; -- Begin function _ZN7rocprim17ROCPRIM_400000_NS6detail17trampoline_kernelINS0_14default_configENS1_35adjacent_difference_config_selectorILb1ElEEZNS1_24adjacent_difference_implIS3_Lb1ELb0EPlS7_ZN2at6native12_GLOBAL__N_124unique_dim_cuda_templateImEESt5tupleIJNS8_6TensorESD_SD_EERKSD_lbbbEUlllE1_EE10hipError_tPvRmT2_T3_mT4_P12ihipStream_tbEUlT_E_NS1_11comp_targetILNS1_3genE0ELNS1_11target_archE4294967295ELNS1_3gpuE0ELNS1_3repE0EEENS1_30default_config_static_selectorELNS0_4arch9wavefront6targetE1EEEvT1_
	.p2align	8
	.type	_ZN7rocprim17ROCPRIM_400000_NS6detail17trampoline_kernelINS0_14default_configENS1_35adjacent_difference_config_selectorILb1ElEEZNS1_24adjacent_difference_implIS3_Lb1ELb0EPlS7_ZN2at6native12_GLOBAL__N_124unique_dim_cuda_templateImEESt5tupleIJNS8_6TensorESD_SD_EERKSD_lbbbEUlllE1_EE10hipError_tPvRmT2_T3_mT4_P12ihipStream_tbEUlT_E_NS1_11comp_targetILNS1_3genE0ELNS1_11target_archE4294967295ELNS1_3gpuE0ELNS1_3repE0EEENS1_30default_config_static_selectorELNS0_4arch9wavefront6targetE1EEEvT1_,@function
_ZN7rocprim17ROCPRIM_400000_NS6detail17trampoline_kernelINS0_14default_configENS1_35adjacent_difference_config_selectorILb1ElEEZNS1_24adjacent_difference_implIS3_Lb1ELb0EPlS7_ZN2at6native12_GLOBAL__N_124unique_dim_cuda_templateImEESt5tupleIJNS8_6TensorESD_SD_EERKSD_lbbbEUlllE1_EE10hipError_tPvRmT2_T3_mT4_P12ihipStream_tbEUlT_E_NS1_11comp_targetILNS1_3genE0ELNS1_11target_archE4294967295ELNS1_3gpuE0ELNS1_3repE0EEENS1_30default_config_static_selectorELNS0_4arch9wavefront6targetE1EEEvT1_: ; @_ZN7rocprim17ROCPRIM_400000_NS6detail17trampoline_kernelINS0_14default_configENS1_35adjacent_difference_config_selectorILb1ElEEZNS1_24adjacent_difference_implIS3_Lb1ELb0EPlS7_ZN2at6native12_GLOBAL__N_124unique_dim_cuda_templateImEESt5tupleIJNS8_6TensorESD_SD_EERKSD_lbbbEUlllE1_EE10hipError_tPvRmT2_T3_mT4_P12ihipStream_tbEUlT_E_NS1_11comp_targetILNS1_3genE0ELNS1_11target_archE4294967295ELNS1_3gpuE0ELNS1_3repE0EEENS1_30default_config_static_selectorELNS0_4arch9wavefront6targetE1EEEvT1_
; %bb.0:
	.section	.rodata,"a",@progbits
	.p2align	6, 0x0
	.amdhsa_kernel _ZN7rocprim17ROCPRIM_400000_NS6detail17trampoline_kernelINS0_14default_configENS1_35adjacent_difference_config_selectorILb1ElEEZNS1_24adjacent_difference_implIS3_Lb1ELb0EPlS7_ZN2at6native12_GLOBAL__N_124unique_dim_cuda_templateImEESt5tupleIJNS8_6TensorESD_SD_EERKSD_lbbbEUlllE1_EE10hipError_tPvRmT2_T3_mT4_P12ihipStream_tbEUlT_E_NS1_11comp_targetILNS1_3genE0ELNS1_11target_archE4294967295ELNS1_3gpuE0ELNS1_3repE0EEENS1_30default_config_static_selectorELNS0_4arch9wavefront6targetE1EEEvT1_
		.amdhsa_group_segment_fixed_size 0
		.amdhsa_private_segment_fixed_size 0
		.amdhsa_kernarg_size 64
		.amdhsa_user_sgpr_count 2
		.amdhsa_user_sgpr_dispatch_ptr 0
		.amdhsa_user_sgpr_queue_ptr 0
		.amdhsa_user_sgpr_kernarg_segment_ptr 1
		.amdhsa_user_sgpr_dispatch_id 0
		.amdhsa_user_sgpr_kernarg_preload_length 0
		.amdhsa_user_sgpr_kernarg_preload_offset 0
		.amdhsa_user_sgpr_private_segment_size 0
		.amdhsa_uses_dynamic_stack 0
		.amdhsa_enable_private_segment 0
		.amdhsa_system_sgpr_workgroup_id_x 1
		.amdhsa_system_sgpr_workgroup_id_y 0
		.amdhsa_system_sgpr_workgroup_id_z 0
		.amdhsa_system_sgpr_workgroup_info 0
		.amdhsa_system_vgpr_workitem_id 0
		.amdhsa_next_free_vgpr 1
		.amdhsa_next_free_sgpr 0
		.amdhsa_accum_offset 4
		.amdhsa_reserve_vcc 0
		.amdhsa_float_round_mode_32 0
		.amdhsa_float_round_mode_16_64 0
		.amdhsa_float_denorm_mode_32 3
		.amdhsa_float_denorm_mode_16_64 3
		.amdhsa_dx10_clamp 1
		.amdhsa_ieee_mode 1
		.amdhsa_fp16_overflow 0
		.amdhsa_tg_split 0
		.amdhsa_exception_fp_ieee_invalid_op 0
		.amdhsa_exception_fp_denorm_src 0
		.amdhsa_exception_fp_ieee_div_zero 0
		.amdhsa_exception_fp_ieee_overflow 0
		.amdhsa_exception_fp_ieee_underflow 0
		.amdhsa_exception_fp_ieee_inexact 0
		.amdhsa_exception_int_div_zero 0
	.end_amdhsa_kernel
	.section	.text._ZN7rocprim17ROCPRIM_400000_NS6detail17trampoline_kernelINS0_14default_configENS1_35adjacent_difference_config_selectorILb1ElEEZNS1_24adjacent_difference_implIS3_Lb1ELb0EPlS7_ZN2at6native12_GLOBAL__N_124unique_dim_cuda_templateImEESt5tupleIJNS8_6TensorESD_SD_EERKSD_lbbbEUlllE1_EE10hipError_tPvRmT2_T3_mT4_P12ihipStream_tbEUlT_E_NS1_11comp_targetILNS1_3genE0ELNS1_11target_archE4294967295ELNS1_3gpuE0ELNS1_3repE0EEENS1_30default_config_static_selectorELNS0_4arch9wavefront6targetE1EEEvT1_,"axG",@progbits,_ZN7rocprim17ROCPRIM_400000_NS6detail17trampoline_kernelINS0_14default_configENS1_35adjacent_difference_config_selectorILb1ElEEZNS1_24adjacent_difference_implIS3_Lb1ELb0EPlS7_ZN2at6native12_GLOBAL__N_124unique_dim_cuda_templateImEESt5tupleIJNS8_6TensorESD_SD_EERKSD_lbbbEUlllE1_EE10hipError_tPvRmT2_T3_mT4_P12ihipStream_tbEUlT_E_NS1_11comp_targetILNS1_3genE0ELNS1_11target_archE4294967295ELNS1_3gpuE0ELNS1_3repE0EEENS1_30default_config_static_selectorELNS0_4arch9wavefront6targetE1EEEvT1_,comdat
.Lfunc_end1666:
	.size	_ZN7rocprim17ROCPRIM_400000_NS6detail17trampoline_kernelINS0_14default_configENS1_35adjacent_difference_config_selectorILb1ElEEZNS1_24adjacent_difference_implIS3_Lb1ELb0EPlS7_ZN2at6native12_GLOBAL__N_124unique_dim_cuda_templateImEESt5tupleIJNS8_6TensorESD_SD_EERKSD_lbbbEUlllE1_EE10hipError_tPvRmT2_T3_mT4_P12ihipStream_tbEUlT_E_NS1_11comp_targetILNS1_3genE0ELNS1_11target_archE4294967295ELNS1_3gpuE0ELNS1_3repE0EEENS1_30default_config_static_selectorELNS0_4arch9wavefront6targetE1EEEvT1_, .Lfunc_end1666-_ZN7rocprim17ROCPRIM_400000_NS6detail17trampoline_kernelINS0_14default_configENS1_35adjacent_difference_config_selectorILb1ElEEZNS1_24adjacent_difference_implIS3_Lb1ELb0EPlS7_ZN2at6native12_GLOBAL__N_124unique_dim_cuda_templateImEESt5tupleIJNS8_6TensorESD_SD_EERKSD_lbbbEUlllE1_EE10hipError_tPvRmT2_T3_mT4_P12ihipStream_tbEUlT_E_NS1_11comp_targetILNS1_3genE0ELNS1_11target_archE4294967295ELNS1_3gpuE0ELNS1_3repE0EEENS1_30default_config_static_selectorELNS0_4arch9wavefront6targetE1EEEvT1_
                                        ; -- End function
	.section	.AMDGPU.csdata,"",@progbits
; Kernel info:
; codeLenInByte = 0
; NumSgprs: 6
; NumVgprs: 0
; NumAgprs: 0
; TotalNumVgprs: 0
; ScratchSize: 0
; MemoryBound: 0
; FloatMode: 240
; IeeeMode: 1
; LDSByteSize: 0 bytes/workgroup (compile time only)
; SGPRBlocks: 0
; VGPRBlocks: 0
; NumSGPRsForWavesPerEU: 6
; NumVGPRsForWavesPerEU: 1
; AccumOffset: 4
; Occupancy: 8
; WaveLimiterHint : 0
; COMPUTE_PGM_RSRC2:SCRATCH_EN: 0
; COMPUTE_PGM_RSRC2:USER_SGPR: 2
; COMPUTE_PGM_RSRC2:TRAP_HANDLER: 0
; COMPUTE_PGM_RSRC2:TGID_X_EN: 1
; COMPUTE_PGM_RSRC2:TGID_Y_EN: 0
; COMPUTE_PGM_RSRC2:TGID_Z_EN: 0
; COMPUTE_PGM_RSRC2:TIDIG_COMP_CNT: 0
; COMPUTE_PGM_RSRC3_GFX90A:ACCUM_OFFSET: 0
; COMPUTE_PGM_RSRC3_GFX90A:TG_SPLIT: 0
	.section	.text._ZN7rocprim17ROCPRIM_400000_NS6detail17trampoline_kernelINS0_14default_configENS1_35adjacent_difference_config_selectorILb1ElEEZNS1_24adjacent_difference_implIS3_Lb1ELb0EPlS7_ZN2at6native12_GLOBAL__N_124unique_dim_cuda_templateImEESt5tupleIJNS8_6TensorESD_SD_EERKSD_lbbbEUlllE1_EE10hipError_tPvRmT2_T3_mT4_P12ihipStream_tbEUlT_E_NS1_11comp_targetILNS1_3genE10ELNS1_11target_archE1201ELNS1_3gpuE5ELNS1_3repE0EEENS1_30default_config_static_selectorELNS0_4arch9wavefront6targetE1EEEvT1_,"axG",@progbits,_ZN7rocprim17ROCPRIM_400000_NS6detail17trampoline_kernelINS0_14default_configENS1_35adjacent_difference_config_selectorILb1ElEEZNS1_24adjacent_difference_implIS3_Lb1ELb0EPlS7_ZN2at6native12_GLOBAL__N_124unique_dim_cuda_templateImEESt5tupleIJNS8_6TensorESD_SD_EERKSD_lbbbEUlllE1_EE10hipError_tPvRmT2_T3_mT4_P12ihipStream_tbEUlT_E_NS1_11comp_targetILNS1_3genE10ELNS1_11target_archE1201ELNS1_3gpuE5ELNS1_3repE0EEENS1_30default_config_static_selectorELNS0_4arch9wavefront6targetE1EEEvT1_,comdat
	.globl	_ZN7rocprim17ROCPRIM_400000_NS6detail17trampoline_kernelINS0_14default_configENS1_35adjacent_difference_config_selectorILb1ElEEZNS1_24adjacent_difference_implIS3_Lb1ELb0EPlS7_ZN2at6native12_GLOBAL__N_124unique_dim_cuda_templateImEESt5tupleIJNS8_6TensorESD_SD_EERKSD_lbbbEUlllE1_EE10hipError_tPvRmT2_T3_mT4_P12ihipStream_tbEUlT_E_NS1_11comp_targetILNS1_3genE10ELNS1_11target_archE1201ELNS1_3gpuE5ELNS1_3repE0EEENS1_30default_config_static_selectorELNS0_4arch9wavefront6targetE1EEEvT1_ ; -- Begin function _ZN7rocprim17ROCPRIM_400000_NS6detail17trampoline_kernelINS0_14default_configENS1_35adjacent_difference_config_selectorILb1ElEEZNS1_24adjacent_difference_implIS3_Lb1ELb0EPlS7_ZN2at6native12_GLOBAL__N_124unique_dim_cuda_templateImEESt5tupleIJNS8_6TensorESD_SD_EERKSD_lbbbEUlllE1_EE10hipError_tPvRmT2_T3_mT4_P12ihipStream_tbEUlT_E_NS1_11comp_targetILNS1_3genE10ELNS1_11target_archE1201ELNS1_3gpuE5ELNS1_3repE0EEENS1_30default_config_static_selectorELNS0_4arch9wavefront6targetE1EEEvT1_
	.p2align	8
	.type	_ZN7rocprim17ROCPRIM_400000_NS6detail17trampoline_kernelINS0_14default_configENS1_35adjacent_difference_config_selectorILb1ElEEZNS1_24adjacent_difference_implIS3_Lb1ELb0EPlS7_ZN2at6native12_GLOBAL__N_124unique_dim_cuda_templateImEESt5tupleIJNS8_6TensorESD_SD_EERKSD_lbbbEUlllE1_EE10hipError_tPvRmT2_T3_mT4_P12ihipStream_tbEUlT_E_NS1_11comp_targetILNS1_3genE10ELNS1_11target_archE1201ELNS1_3gpuE5ELNS1_3repE0EEENS1_30default_config_static_selectorELNS0_4arch9wavefront6targetE1EEEvT1_,@function
_ZN7rocprim17ROCPRIM_400000_NS6detail17trampoline_kernelINS0_14default_configENS1_35adjacent_difference_config_selectorILb1ElEEZNS1_24adjacent_difference_implIS3_Lb1ELb0EPlS7_ZN2at6native12_GLOBAL__N_124unique_dim_cuda_templateImEESt5tupleIJNS8_6TensorESD_SD_EERKSD_lbbbEUlllE1_EE10hipError_tPvRmT2_T3_mT4_P12ihipStream_tbEUlT_E_NS1_11comp_targetILNS1_3genE10ELNS1_11target_archE1201ELNS1_3gpuE5ELNS1_3repE0EEENS1_30default_config_static_selectorELNS0_4arch9wavefront6targetE1EEEvT1_: ; @_ZN7rocprim17ROCPRIM_400000_NS6detail17trampoline_kernelINS0_14default_configENS1_35adjacent_difference_config_selectorILb1ElEEZNS1_24adjacent_difference_implIS3_Lb1ELb0EPlS7_ZN2at6native12_GLOBAL__N_124unique_dim_cuda_templateImEESt5tupleIJNS8_6TensorESD_SD_EERKSD_lbbbEUlllE1_EE10hipError_tPvRmT2_T3_mT4_P12ihipStream_tbEUlT_E_NS1_11comp_targetILNS1_3genE10ELNS1_11target_archE1201ELNS1_3gpuE5ELNS1_3repE0EEENS1_30default_config_static_selectorELNS0_4arch9wavefront6targetE1EEEvT1_
; %bb.0:
	.section	.rodata,"a",@progbits
	.p2align	6, 0x0
	.amdhsa_kernel _ZN7rocprim17ROCPRIM_400000_NS6detail17trampoline_kernelINS0_14default_configENS1_35adjacent_difference_config_selectorILb1ElEEZNS1_24adjacent_difference_implIS3_Lb1ELb0EPlS7_ZN2at6native12_GLOBAL__N_124unique_dim_cuda_templateImEESt5tupleIJNS8_6TensorESD_SD_EERKSD_lbbbEUlllE1_EE10hipError_tPvRmT2_T3_mT4_P12ihipStream_tbEUlT_E_NS1_11comp_targetILNS1_3genE10ELNS1_11target_archE1201ELNS1_3gpuE5ELNS1_3repE0EEENS1_30default_config_static_selectorELNS0_4arch9wavefront6targetE1EEEvT1_
		.amdhsa_group_segment_fixed_size 0
		.amdhsa_private_segment_fixed_size 0
		.amdhsa_kernarg_size 64
		.amdhsa_user_sgpr_count 2
		.amdhsa_user_sgpr_dispatch_ptr 0
		.amdhsa_user_sgpr_queue_ptr 0
		.amdhsa_user_sgpr_kernarg_segment_ptr 1
		.amdhsa_user_sgpr_dispatch_id 0
		.amdhsa_user_sgpr_kernarg_preload_length 0
		.amdhsa_user_sgpr_kernarg_preload_offset 0
		.amdhsa_user_sgpr_private_segment_size 0
		.amdhsa_uses_dynamic_stack 0
		.amdhsa_enable_private_segment 0
		.amdhsa_system_sgpr_workgroup_id_x 1
		.amdhsa_system_sgpr_workgroup_id_y 0
		.amdhsa_system_sgpr_workgroup_id_z 0
		.amdhsa_system_sgpr_workgroup_info 0
		.amdhsa_system_vgpr_workitem_id 0
		.amdhsa_next_free_vgpr 1
		.amdhsa_next_free_sgpr 0
		.amdhsa_accum_offset 4
		.amdhsa_reserve_vcc 0
		.amdhsa_float_round_mode_32 0
		.amdhsa_float_round_mode_16_64 0
		.amdhsa_float_denorm_mode_32 3
		.amdhsa_float_denorm_mode_16_64 3
		.amdhsa_dx10_clamp 1
		.amdhsa_ieee_mode 1
		.amdhsa_fp16_overflow 0
		.amdhsa_tg_split 0
		.amdhsa_exception_fp_ieee_invalid_op 0
		.amdhsa_exception_fp_denorm_src 0
		.amdhsa_exception_fp_ieee_div_zero 0
		.amdhsa_exception_fp_ieee_overflow 0
		.amdhsa_exception_fp_ieee_underflow 0
		.amdhsa_exception_fp_ieee_inexact 0
		.amdhsa_exception_int_div_zero 0
	.end_amdhsa_kernel
	.section	.text._ZN7rocprim17ROCPRIM_400000_NS6detail17trampoline_kernelINS0_14default_configENS1_35adjacent_difference_config_selectorILb1ElEEZNS1_24adjacent_difference_implIS3_Lb1ELb0EPlS7_ZN2at6native12_GLOBAL__N_124unique_dim_cuda_templateImEESt5tupleIJNS8_6TensorESD_SD_EERKSD_lbbbEUlllE1_EE10hipError_tPvRmT2_T3_mT4_P12ihipStream_tbEUlT_E_NS1_11comp_targetILNS1_3genE10ELNS1_11target_archE1201ELNS1_3gpuE5ELNS1_3repE0EEENS1_30default_config_static_selectorELNS0_4arch9wavefront6targetE1EEEvT1_,"axG",@progbits,_ZN7rocprim17ROCPRIM_400000_NS6detail17trampoline_kernelINS0_14default_configENS1_35adjacent_difference_config_selectorILb1ElEEZNS1_24adjacent_difference_implIS3_Lb1ELb0EPlS7_ZN2at6native12_GLOBAL__N_124unique_dim_cuda_templateImEESt5tupleIJNS8_6TensorESD_SD_EERKSD_lbbbEUlllE1_EE10hipError_tPvRmT2_T3_mT4_P12ihipStream_tbEUlT_E_NS1_11comp_targetILNS1_3genE10ELNS1_11target_archE1201ELNS1_3gpuE5ELNS1_3repE0EEENS1_30default_config_static_selectorELNS0_4arch9wavefront6targetE1EEEvT1_,comdat
.Lfunc_end1667:
	.size	_ZN7rocprim17ROCPRIM_400000_NS6detail17trampoline_kernelINS0_14default_configENS1_35adjacent_difference_config_selectorILb1ElEEZNS1_24adjacent_difference_implIS3_Lb1ELb0EPlS7_ZN2at6native12_GLOBAL__N_124unique_dim_cuda_templateImEESt5tupleIJNS8_6TensorESD_SD_EERKSD_lbbbEUlllE1_EE10hipError_tPvRmT2_T3_mT4_P12ihipStream_tbEUlT_E_NS1_11comp_targetILNS1_3genE10ELNS1_11target_archE1201ELNS1_3gpuE5ELNS1_3repE0EEENS1_30default_config_static_selectorELNS0_4arch9wavefront6targetE1EEEvT1_, .Lfunc_end1667-_ZN7rocprim17ROCPRIM_400000_NS6detail17trampoline_kernelINS0_14default_configENS1_35adjacent_difference_config_selectorILb1ElEEZNS1_24adjacent_difference_implIS3_Lb1ELb0EPlS7_ZN2at6native12_GLOBAL__N_124unique_dim_cuda_templateImEESt5tupleIJNS8_6TensorESD_SD_EERKSD_lbbbEUlllE1_EE10hipError_tPvRmT2_T3_mT4_P12ihipStream_tbEUlT_E_NS1_11comp_targetILNS1_3genE10ELNS1_11target_archE1201ELNS1_3gpuE5ELNS1_3repE0EEENS1_30default_config_static_selectorELNS0_4arch9wavefront6targetE1EEEvT1_
                                        ; -- End function
	.section	.AMDGPU.csdata,"",@progbits
; Kernel info:
; codeLenInByte = 0
; NumSgprs: 6
; NumVgprs: 0
; NumAgprs: 0
; TotalNumVgprs: 0
; ScratchSize: 0
; MemoryBound: 0
; FloatMode: 240
; IeeeMode: 1
; LDSByteSize: 0 bytes/workgroup (compile time only)
; SGPRBlocks: 0
; VGPRBlocks: 0
; NumSGPRsForWavesPerEU: 6
; NumVGPRsForWavesPerEU: 1
; AccumOffset: 4
; Occupancy: 8
; WaveLimiterHint : 0
; COMPUTE_PGM_RSRC2:SCRATCH_EN: 0
; COMPUTE_PGM_RSRC2:USER_SGPR: 2
; COMPUTE_PGM_RSRC2:TRAP_HANDLER: 0
; COMPUTE_PGM_RSRC2:TGID_X_EN: 1
; COMPUTE_PGM_RSRC2:TGID_Y_EN: 0
; COMPUTE_PGM_RSRC2:TGID_Z_EN: 0
; COMPUTE_PGM_RSRC2:TIDIG_COMP_CNT: 0
; COMPUTE_PGM_RSRC3_GFX90A:ACCUM_OFFSET: 0
; COMPUTE_PGM_RSRC3_GFX90A:TG_SPLIT: 0
	.section	.text._ZN7rocprim17ROCPRIM_400000_NS6detail17trampoline_kernelINS0_14default_configENS1_35adjacent_difference_config_selectorILb1ElEEZNS1_24adjacent_difference_implIS3_Lb1ELb0EPlS7_ZN2at6native12_GLOBAL__N_124unique_dim_cuda_templateImEESt5tupleIJNS8_6TensorESD_SD_EERKSD_lbbbEUlllE1_EE10hipError_tPvRmT2_T3_mT4_P12ihipStream_tbEUlT_E_NS1_11comp_targetILNS1_3genE5ELNS1_11target_archE942ELNS1_3gpuE9ELNS1_3repE0EEENS1_30default_config_static_selectorELNS0_4arch9wavefront6targetE1EEEvT1_,"axG",@progbits,_ZN7rocprim17ROCPRIM_400000_NS6detail17trampoline_kernelINS0_14default_configENS1_35adjacent_difference_config_selectorILb1ElEEZNS1_24adjacent_difference_implIS3_Lb1ELb0EPlS7_ZN2at6native12_GLOBAL__N_124unique_dim_cuda_templateImEESt5tupleIJNS8_6TensorESD_SD_EERKSD_lbbbEUlllE1_EE10hipError_tPvRmT2_T3_mT4_P12ihipStream_tbEUlT_E_NS1_11comp_targetILNS1_3genE5ELNS1_11target_archE942ELNS1_3gpuE9ELNS1_3repE0EEENS1_30default_config_static_selectorELNS0_4arch9wavefront6targetE1EEEvT1_,comdat
	.globl	_ZN7rocprim17ROCPRIM_400000_NS6detail17trampoline_kernelINS0_14default_configENS1_35adjacent_difference_config_selectorILb1ElEEZNS1_24adjacent_difference_implIS3_Lb1ELb0EPlS7_ZN2at6native12_GLOBAL__N_124unique_dim_cuda_templateImEESt5tupleIJNS8_6TensorESD_SD_EERKSD_lbbbEUlllE1_EE10hipError_tPvRmT2_T3_mT4_P12ihipStream_tbEUlT_E_NS1_11comp_targetILNS1_3genE5ELNS1_11target_archE942ELNS1_3gpuE9ELNS1_3repE0EEENS1_30default_config_static_selectorELNS0_4arch9wavefront6targetE1EEEvT1_ ; -- Begin function _ZN7rocprim17ROCPRIM_400000_NS6detail17trampoline_kernelINS0_14default_configENS1_35adjacent_difference_config_selectorILb1ElEEZNS1_24adjacent_difference_implIS3_Lb1ELb0EPlS7_ZN2at6native12_GLOBAL__N_124unique_dim_cuda_templateImEESt5tupleIJNS8_6TensorESD_SD_EERKSD_lbbbEUlllE1_EE10hipError_tPvRmT2_T3_mT4_P12ihipStream_tbEUlT_E_NS1_11comp_targetILNS1_3genE5ELNS1_11target_archE942ELNS1_3gpuE9ELNS1_3repE0EEENS1_30default_config_static_selectorELNS0_4arch9wavefront6targetE1EEEvT1_
	.p2align	8
	.type	_ZN7rocprim17ROCPRIM_400000_NS6detail17trampoline_kernelINS0_14default_configENS1_35adjacent_difference_config_selectorILb1ElEEZNS1_24adjacent_difference_implIS3_Lb1ELb0EPlS7_ZN2at6native12_GLOBAL__N_124unique_dim_cuda_templateImEESt5tupleIJNS8_6TensorESD_SD_EERKSD_lbbbEUlllE1_EE10hipError_tPvRmT2_T3_mT4_P12ihipStream_tbEUlT_E_NS1_11comp_targetILNS1_3genE5ELNS1_11target_archE942ELNS1_3gpuE9ELNS1_3repE0EEENS1_30default_config_static_selectorELNS0_4arch9wavefront6targetE1EEEvT1_,@function
_ZN7rocprim17ROCPRIM_400000_NS6detail17trampoline_kernelINS0_14default_configENS1_35adjacent_difference_config_selectorILb1ElEEZNS1_24adjacent_difference_implIS3_Lb1ELb0EPlS7_ZN2at6native12_GLOBAL__N_124unique_dim_cuda_templateImEESt5tupleIJNS8_6TensorESD_SD_EERKSD_lbbbEUlllE1_EE10hipError_tPvRmT2_T3_mT4_P12ihipStream_tbEUlT_E_NS1_11comp_targetILNS1_3genE5ELNS1_11target_archE942ELNS1_3gpuE9ELNS1_3repE0EEENS1_30default_config_static_selectorELNS0_4arch9wavefront6targetE1EEEvT1_: ; @_ZN7rocprim17ROCPRIM_400000_NS6detail17trampoline_kernelINS0_14default_configENS1_35adjacent_difference_config_selectorILb1ElEEZNS1_24adjacent_difference_implIS3_Lb1ELb0EPlS7_ZN2at6native12_GLOBAL__N_124unique_dim_cuda_templateImEESt5tupleIJNS8_6TensorESD_SD_EERKSD_lbbbEUlllE1_EE10hipError_tPvRmT2_T3_mT4_P12ihipStream_tbEUlT_E_NS1_11comp_targetILNS1_3genE5ELNS1_11target_archE942ELNS1_3gpuE9ELNS1_3repE0EEENS1_30default_config_static_selectorELNS0_4arch9wavefront6targetE1EEEvT1_
; %bb.0:
	s_load_dwordx16 s[4:19], s[0:1], 0x0
	s_mov_b32 s1, 0x545d15a0
	v_bfrev_b32_e32 v1, 4
	s_movk_i32 s0, 0xb00
	s_mul_i32 s20, s2, 0xb00
	s_waitcnt lgkmcnt(0)
	s_lshl_b64 s[6:7], s[6:7], 3
	s_add_u32 s30, s4, s6
	s_addc_u32 s31, s5, s7
	s_add_u32 s1, 0x74, s1
	s_addc_u32 s4, 0, 0
	v_add_co_u32_e32 v1, vcc, s1, v1
	s_cmp_lg_u64 vcc, 0
	v_readfirstlane_b32 s5, v1
	s_addc_u32 s1, s4, 0x1745d1
	s_mul_hi_u32 s21, s5, 0xfffff500
	s_mul_i32 s4, s1, 0xfffff500
	s_sub_i32 s21, s21, s5
	s_add_i32 s21, s21, s4
	s_mul_i32 s23, s5, 0xfffff500
	s_mul_hi_u32 s4, s5, s21
	s_mul_i32 s22, s5, s21
	s_mul_hi_u32 s5, s5, s23
	s_add_u32 s5, s5, s22
	s_addc_u32 s4, 0, s4
	s_mul_hi_u32 s24, s1, s23
	s_mul_i32 s23, s1, s23
	s_add_u32 s5, s5, s23
	s_mul_hi_u32 s22, s1, s21
	s_addc_u32 s4, s4, s24
	s_addc_u32 s5, s22, 0
	s_mul_i32 s21, s1, s21
	s_add_u32 s4, s4, s21
	s_addc_u32 s5, 0, s5
	v_add_co_u32_e32 v1, vcc, s4, v1
	s_cmp_lg_u64 vcc, 0
	s_addc_u32 s1, s1, s5
	v_readfirstlane_b32 s21, v1
	s_mul_i32 s5, s10, s1
	s_mul_hi_u32 s22, s10, s21
	s_mul_hi_u32 s4, s10, s1
	s_add_u32 s5, s22, s5
	s_addc_u32 s4, 0, s4
	s_mul_hi_u32 s23, s11, s21
	s_mul_i32 s21, s11, s21
	s_add_u32 s5, s5, s21
	s_mul_hi_u32 s22, s11, s1
	s_addc_u32 s4, s4, s23
	s_addc_u32 s5, s22, 0
	s_mul_i32 s1, s11, s1
	s_add_u32 s1, s4, s1
	s_addc_u32 s4, 0, s5
	s_add_u32 s5, s1, 1
	s_addc_u32 s21, s4, 0
	s_add_u32 s22, s1, 2
	s_mul_i32 s24, s4, 0xb00
	s_mul_hi_u32 s25, s1, 0xb00
	s_addc_u32 s23, s4, 0
	s_add_i32 s25, s25, s24
	s_mul_i32 s24, s1, 0xb00
	v_mov_b32_e32 v1, s24
	v_sub_co_u32_e32 v1, vcc, s10, v1
	s_cmp_lg_u64 vcc, 0
	s_subb_u32 s24, s11, s25
	v_subrev_co_u32_e32 v2, vcc, s0, v1
	s_cmp_lg_u64 vcc, 0
	s_subb_u32 s0, s24, 0
	v_readfirstlane_b32 s25, v2
	s_cmpk_gt_u32 s25, 0xaff
	s_cselect_b32 s25, -1, 0
	s_cmp_eq_u32 s0, 0
	s_cselect_b32 s0, s25, -1
	s_cmp_lg_u32 s0, 0
	s_cselect_b32 s0, s22, s5
	s_cselect_b32 s5, s23, s21
	v_readfirstlane_b32 s21, v1
	s_cmpk_gt_u32 s21, 0xaff
	s_cselect_b32 s21, -1, 0
	s_cmp_eq_u32 s24, 0
	s_cselect_b32 s21, s21, -1
	s_cmp_lg_u32 s21, 0
	s_cselect_b32 s5, s5, s4
	s_cselect_b32 s4, s0, s1
	s_mul_i32 s0, s5, 0xb00
	s_mul_hi_u32 s1, s4, 0xb00
	s_add_i32 s1, s1, s0
	s_mul_i32 s0, s4, 0xb00
	s_sub_u32 s0, s10, s0
	s_subb_u32 s1, s11, s1
	s_cmp_lg_u64 s[0:1], 0
	s_cselect_b64 s[0:1], -1, 0
	v_cndmask_b32_e64 v1, 0, 1, s[0:1]
	s_mov_b32 s3, 0
	v_readfirstlane_b32 s0, v1
	s_add_u32 s4, s4, s0
	s_addc_u32 s5, s5, 0
	s_add_u32 s24, s18, s2
	s_addc_u32 s25, s19, 0
	s_add_u32 s26, s4, -1
	s_addc_u32 s27, s5, -1
	v_mov_b64_e32 v[2:3], s[26:27]
	v_cmp_ge_u64_e64 s[0:1], s[24:25], v[2:3]
	s_mov_b64 s[22:23], -1
	s_and_b64 vcc, exec, s[0:1]
	s_mul_i32 s11, s26, 0xfffff500
	s_cbranch_vccz .LBB1668_24
; %bb.1:
	s_mov_b32 s21, s3
	s_add_i32 s33, s11, s10
	s_lshl_b64 s[22:23], s[20:21], 3
	s_add_u32 s22, s30, s22
	s_addc_u32 s23, s31, s23
	v_cmp_gt_u32_e32 vcc, s33, v0
                                        ; implicit-def: $vgpr2_vgpr3_vgpr4_vgpr5_vgpr6_vgpr7_vgpr8_vgpr9_vgpr10_vgpr11_vgpr12_vgpr13_vgpr14_vgpr15_vgpr16_vgpr17_vgpr18_vgpr19_vgpr20_vgpr21_vgpr22_vgpr23_vgpr24_vgpr25_vgpr26_vgpr27_vgpr28_vgpr29_vgpr30_vgpr31_vgpr32_vgpr33
	s_and_saveexec_b64 s[28:29], vcc
	s_cbranch_execz .LBB1668_3
; %bb.2:
	v_lshlrev_b32_e32 v1, 3, v0
	global_load_dwordx2 v[2:3], v1, s[22:23]
.LBB1668_3:
	s_or_b64 exec, exec, s[28:29]
	v_or_b32_e32 v1, 0x100, v0
	v_cmp_gt_u32_e32 vcc, s33, v1
	s_and_saveexec_b64 s[28:29], vcc
	s_cbranch_execz .LBB1668_5
; %bb.4:
	v_lshlrev_b32_e32 v1, 3, v0
	global_load_dwordx2 v[4:5], v1, s[22:23] offset:2048
.LBB1668_5:
	s_or_b64 exec, exec, s[28:29]
	v_or_b32_e32 v1, 0x200, v0
	v_cmp_gt_u32_e32 vcc, s33, v1
	s_and_saveexec_b64 s[28:29], vcc
	s_cbranch_execz .LBB1668_7
; %bb.6:
	v_lshlrev_b32_e32 v1, 3, v1
	global_load_dwordx2 v[6:7], v1, s[22:23]
.LBB1668_7:
	s_or_b64 exec, exec, s[28:29]
	v_or_b32_e32 v1, 0x300, v0
	v_cmp_gt_u32_e32 vcc, s33, v1
	s_and_saveexec_b64 s[28:29], vcc
	s_cbranch_execz .LBB1668_9
; %bb.8:
	v_lshlrev_b32_e32 v1, 3, v1
	global_load_dwordx2 v[8:9], v1, s[22:23]
.LBB1668_9:
	;; [unrolled: 9-line block ×9, first 2 shown]
	s_or_b64 exec, exec, s[28:29]
	v_lshlrev_b32_e32 v1, 3, v0
	s_mov_b64 s[22:23], 0
	s_waitcnt vmcnt(0)
	ds_write2st64_b64 v1, v[2:3], v[4:5] offset1:4
	ds_write2st64_b64 v1, v[6:7], v[8:9] offset0:8 offset1:12
	ds_write2st64_b64 v1, v[10:11], v[12:13] offset0:16 offset1:20
	;; [unrolled: 1-line block ×4, first 2 shown]
	ds_write_b64 v1, v[22:23] offset:20480
	s_waitcnt lgkmcnt(0)
	s_barrier
.LBB1668_24:
	s_and_b64 vcc, exec, s[22:23]
	v_lshlrev_b32_e32 v40, 3, v0
	s_cbranch_vccz .LBB1668_26
; %bb.25:
	s_mov_b32 s21, 0
	s_lshl_b64 s[22:23], s[20:21], 3
	s_add_u32 s22, s30, s22
	s_addc_u32 s23, s31, s23
	v_mov_b32_e32 v41, 0
	v_lshl_add_u64 v[2:3], s[22:23], 0, v[40:41]
	v_add_co_u32_e32 v8, vcc, 0x1000, v2
	global_load_dwordx2 v[4:5], v40, s[22:23]
	global_load_dwordx2 v[6:7], v40, s[22:23] offset:2048
	v_addc_co_u32_e32 v9, vcc, 0, v3, vcc
	v_add_co_u32_e32 v10, vcc, 0x2000, v2
	s_nop 1
	v_addc_co_u32_e32 v11, vcc, 0, v3, vcc
	global_load_dwordx2 v[12:13], v[8:9], off
	global_load_dwordx2 v[14:15], v[8:9], off offset:2048
	global_load_dwordx2 v[16:17], v[10:11], off
	global_load_dwordx2 v[18:19], v[10:11], off offset:2048
	v_add_co_u32_e32 v8, vcc, 0x3000, v2
	s_nop 1
	v_addc_co_u32_e32 v9, vcc, 0, v3, vcc
	v_add_co_u32_e32 v10, vcc, 0x4000, v2
	s_nop 1
	v_addc_co_u32_e32 v11, vcc, 0, v3, vcc
	global_load_dwordx2 v[20:21], v[8:9], off
	global_load_dwordx2 v[22:23], v[8:9], off offset:2048
	global_load_dwordx2 v[24:25], v[10:11], off
	global_load_dwordx2 v[26:27], v[10:11], off offset:2048
	v_add_co_u32_e32 v2, vcc, 0x5000, v2
	s_nop 1
	v_addc_co_u32_e32 v3, vcc, 0, v3, vcc
	global_load_dwordx2 v[2:3], v[2:3], off
	s_waitcnt vmcnt(9)
	ds_write2st64_b64 v40, v[4:5], v[6:7] offset1:4
	s_waitcnt vmcnt(7)
	ds_write2st64_b64 v40, v[12:13], v[14:15] offset0:8 offset1:12
	s_waitcnt vmcnt(5)
	ds_write2st64_b64 v40, v[16:17], v[18:19] offset0:16 offset1:20
	;; [unrolled: 2-line block ×4, first 2 shown]
	s_waitcnt vmcnt(0)
	ds_write_b64 v40, v[2:3] offset:20480
	s_waitcnt lgkmcnt(0)
	s_barrier
.LBB1668_26:
	v_mul_u32_u24_e32 v1, 11, v0
	v_lshlrev_b32_e32 v1, 3, v1
	ds_read2_b64 v[2:5], v1 offset1:1
	ds_read2_b64 v[6:9], v1 offset0:2 offset1:3
	ds_read2_b64 v[10:13], v1 offset0:4 offset1:5
	;; [unrolled: 1-line block ×4, first 2 shown]
	ds_read_b64 v[36:37], v1 offset:80
	s_cmp_eq_u64 s[24:25], 0
	s_mov_b64 s[22:23], 0
	s_waitcnt lgkmcnt(0)
	s_barrier
	s_cbranch_scc1 .LBB1668_35
; %bb.27:
	s_lshl_b64 s[18:19], s[18:19], 3
	s_add_u32 s16, s16, s18
	s_addc_u32 s17, s17, s19
	s_lshl_b64 s[2:3], s[2:3], 3
	s_add_u32 s2, s16, s2
	s_addc_u32 s3, s17, s3
	s_add_u32 s2, s2, -8
	s_addc_u32 s3, s3, -1
	s_load_dwordx2 s[16:17], s[2:3], 0x0
	s_cmp_lg_u64 s[24:25], s[26:27]
	s_cbranch_scc0 .LBB1668_36
; %bb.28:
	v_mul_lo_u32 v1, v21, s12
	v_mul_lo_u32 v24, v20, s13
	v_mad_u64_u32 v[22:23], s[22:23], v20, s12, 0
	v_mov_b64_e32 v[38:39], 0
	v_cmp_lt_i64_e64 s[2:3], s[12:13], 1
	v_add3_u32 v23, v23, v24, v1
	v_cmp_gt_i64_e64 s[18:19], s[12:13], 0
	s_and_b64 vcc, exec, s[2:3]
	v_lshl_add_u64 v[22:23], v[22:23], 3, s[14:15]
	v_mov_b64_e32 v[42:43], v[38:39]
	ds_write_b64 v40, v[36:37]
	s_cbranch_vccnz .LBB1668_40
; %bb.29:
	v_mul_lo_u32 v1, v37, s12
	v_mul_lo_u32 v26, v36, s13
	v_mad_u64_u32 v[24:25], s[2:3], v36, s12, 0
	v_add3_u32 v25, v25, v26, v1
	v_lshl_add_u64 v[26:27], v[24:25], 3, s[14:15]
	global_load_dwordx2 v[24:25], v[26:27], off
	global_load_dwordx2 v[28:29], v[22:23], off
	v_mov_b64_e32 v[42:43], 1
	s_waitcnt vmcnt(0)
	v_cmp_eq_u64_e32 vcc, v[24:25], v[28:29]
	s_and_saveexec_b64 s[2:3], vcc
	s_cbranch_execz .LBB1668_39
; %bb.30:
	s_add_u32 s22, s12, -1
	v_lshl_add_u64 v[24:25], v[22:23], 0, 8
	v_lshl_add_u64 v[26:27], v[26:27], 0, 8
	s_addc_u32 s23, s13, -1
	s_mov_b64 s[26:27], 0
	s_mov_b64 s[30:31], 0
                                        ; implicit-def: $sgpr28_sgpr29
	s_branch .LBB1668_33
.LBB1668_31:                            ;   in Loop: Header=BB1668_33 Depth=1
	global_load_dwordx2 v[28:29], v[26:27], off
	global_load_dwordx2 v[30:31], v[24:25], off
	s_add_u32 s30, s30, 1
	s_addc_u32 s31, s31, 0
	s_andn2_b64 s[28:29], s[28:29], exec
	v_lshl_add_u64 v[24:25], v[24:25], 0, 8
	v_lshl_add_u64 v[26:27], v[26:27], 0, 8
	s_waitcnt vmcnt(0)
	v_cmp_ne_u64_e32 vcc, v[28:29], v[30:31]
	s_and_b64 s[34:35], vcc, exec
	s_or_b64 s[28:29], s[28:29], s[34:35]
.LBB1668_32:                            ;   in Loop: Header=BB1668_33 Depth=1
	s_and_b64 s[34:35], exec, s[28:29]
	s_or_b64 s[26:27], s[34:35], s[26:27]
	v_mov_b64_e32 v[28:29], s[30:31]
	s_andn2_b64 exec, exec, s[26:27]
	s_cbranch_execz .LBB1668_38
.LBB1668_33:                            ; =>This Inner Loop Header: Depth=1
	s_or_b64 s[28:29], s[28:29], exec
	s_cmp_eq_u64 s[22:23], s[30:31]
	s_cbranch_scc0 .LBB1668_31
; %bb.34:                               ;   in Loop: Header=BB1668_33 Depth=1
                                        ; implicit-def: $vgpr24_vgpr25
                                        ; implicit-def: $vgpr26_vgpr27
	s_mov_b64 s[30:31], s[12:13]
	s_branch .LBB1668_32
.LBB1668_35:
                                        ; implicit-def: $vgpr22_vgpr23_vgpr24_vgpr25
                                        ; implicit-def: $sgpr18_sgpr19
                                        ; implicit-def: $vgpr42_vgpr43
                                        ; implicit-def: $vgpr44_vgpr45
                                        ; implicit-def: $vgpr38_vgpr39
                                        ; implicit-def: $vgpr58_vgpr59
                                        ; implicit-def: $vgpr56_vgpr57
                                        ; implicit-def: $vgpr54_vgpr55
                                        ; implicit-def: $vgpr52_vgpr53
                                        ; implicit-def: $vgpr50_vgpr51
                                        ; implicit-def: $vgpr48_vgpr49
                                        ; implicit-def: $vgpr46_vgpr47
                                        ; implicit-def: $vgpr60_vgpr61
                                        ; implicit-def: $vgpr68_vgpr69
                                        ; implicit-def: $vgpr62_vgpr63
                                        ; implicit-def: $vgpr64_vgpr65
                                        ; implicit-def: $vgpr66_vgpr67
                                        ; implicit-def: $vgpr24_vgpr25_vgpr26_vgpr27
                                        ; implicit-def: $vgpr28_vgpr29_vgpr30_vgpr31
                                        ; implicit-def: $vgpr32_vgpr33_vgpr34_vgpr35
	s_cbranch_execnz .LBB1668_259
	s_branch .LBB1668_488
.LBB1668_36:
                                        ; implicit-def: $sgpr18_sgpr19
                                        ; implicit-def: $vgpr42_vgpr43
                                        ; implicit-def: $vgpr44_vgpr45
                                        ; implicit-def: $vgpr38_vgpr39
                                        ; implicit-def: $vgpr58_vgpr59
                                        ; implicit-def: $vgpr56_vgpr57
                                        ; implicit-def: $vgpr54_vgpr55
                                        ; implicit-def: $vgpr52_vgpr53
                                        ; implicit-def: $vgpr50_vgpr51
                                        ; implicit-def: $vgpr48_vgpr49
                                        ; implicit-def: $vgpr46_vgpr47
	s_cbranch_execnz .LBB1668_134
.LBB1668_37:
                                        ; implicit-def: $vgpr22_vgpr23_vgpr24_vgpr25
                                        ; implicit-def: $vgpr60_vgpr61
                                        ; implicit-def: $vgpr68_vgpr69
                                        ; implicit-def: $vgpr62_vgpr63
                                        ; implicit-def: $vgpr64_vgpr65
                                        ; implicit-def: $vgpr66_vgpr67
                                        ; implicit-def: $vgpr28_vgpr29_vgpr30_vgpr31
                                        ; implicit-def: $vgpr32_vgpr33_vgpr34_vgpr35
                                        ; implicit-def: $vgpr24_vgpr25_vgpr26_vgpr27
	s_branch .LBB1668_488
.LBB1668_38:
	s_or_b64 exec, exec, s[26:27]
	v_cmp_gt_i64_e32 vcc, s[12:13], v[28:29]
	s_mov_b32 s21, 0
	v_mov_b32_e32 v43, s21
	v_cndmask_b32_e64 v42, 0, 1, vcc
.LBB1668_39:
	s_or_b64 exec, exec, s[2:3]
.LBB1668_40:
	v_mul_lo_u32 v1, v19, s12
	v_mul_lo_u32 v26, v18, s13
	v_mad_u64_u32 v[24:25], s[2:3], v18, s12, 0
	v_add3_u32 v25, v25, v26, v1
	v_cndmask_b32_e64 v1, 0, 1, s[18:19]
	v_cmp_ne_u32_e64 s[2:3], 1, v1
	s_andn2_b64 vcc, exec, s[18:19]
	v_lshl_add_u64 v[24:25], v[24:25], 3, s[14:15]
	v_mov_b64_e32 v[44:45], v[38:39]
	s_cbranch_vccnz .LBB1668_49
; %bb.41:
	global_load_dwordx2 v[26:27], v[22:23], off
	global_load_dwordx2 v[28:29], v[24:25], off
	v_mov_b64_e32 v[44:45], 1
	s_waitcnt vmcnt(0)
	v_cmp_eq_u64_e32 vcc, v[26:27], v[28:29]
	s_and_saveexec_b64 s[18:19], vcc
	s_cbranch_execz .LBB1668_48
; %bb.42:
	s_add_u32 s22, s12, -1
	v_lshl_add_u64 v[26:27], v[24:25], 0, 8
	v_lshl_add_u64 v[22:23], v[22:23], 0, 8
	s_addc_u32 s23, s13, -1
	s_mov_b64 s[26:27], 0
	s_mov_b64 s[30:31], 0
                                        ; implicit-def: $sgpr28_sgpr29
	s_branch .LBB1668_45
.LBB1668_43:                            ;   in Loop: Header=BB1668_45 Depth=1
	global_load_dwordx2 v[28:29], v[22:23], off
	global_load_dwordx2 v[30:31], v[26:27], off
	s_add_u32 s30, s30, 1
	s_addc_u32 s31, s31, 0
	s_andn2_b64 s[28:29], s[28:29], exec
	v_lshl_add_u64 v[26:27], v[26:27], 0, 8
	v_lshl_add_u64 v[22:23], v[22:23], 0, 8
	s_waitcnt vmcnt(0)
	v_cmp_ne_u64_e32 vcc, v[28:29], v[30:31]
	s_and_b64 s[34:35], vcc, exec
	s_or_b64 s[28:29], s[28:29], s[34:35]
.LBB1668_44:                            ;   in Loop: Header=BB1668_45 Depth=1
	s_and_b64 s[34:35], exec, s[28:29]
	s_or_b64 s[26:27], s[34:35], s[26:27]
	v_mov_b64_e32 v[28:29], s[30:31]
	s_andn2_b64 exec, exec, s[26:27]
	s_cbranch_execz .LBB1668_47
.LBB1668_45:                            ; =>This Inner Loop Header: Depth=1
	s_or_b64 s[28:29], s[28:29], exec
	s_cmp_eq_u64 s[22:23], s[30:31]
	s_cbranch_scc0 .LBB1668_43
; %bb.46:                               ;   in Loop: Header=BB1668_45 Depth=1
                                        ; implicit-def: $vgpr26_vgpr27
                                        ; implicit-def: $vgpr22_vgpr23
	s_mov_b64 s[30:31], s[12:13]
	s_branch .LBB1668_44
.LBB1668_47:
	s_or_b64 exec, exec, s[26:27]
	v_cmp_gt_i64_e32 vcc, s[12:13], v[28:29]
	s_mov_b32 s21, 0
	v_mov_b32_e32 v45, s21
	v_cndmask_b32_e64 v44, 0, 1, vcc
.LBB1668_48:
	s_or_b64 exec, exec, s[18:19]
.LBB1668_49:
	v_mul_lo_u32 v1, v17, s12
	v_mul_lo_u32 v26, v16, s13
	v_mad_u64_u32 v[22:23], s[18:19], v16, s12, 0
	v_add3_u32 v23, v23, v26, v1
	s_and_b64 vcc, exec, s[2:3]
	v_lshl_add_u64 v[22:23], v[22:23], 3, s[14:15]
	s_cbranch_vccnz .LBB1668_58
; %bb.50:
	global_load_dwordx2 v[26:27], v[24:25], off
	global_load_dwordx2 v[28:29], v[22:23], off
	v_mov_b64_e32 v[38:39], 1
	s_waitcnt vmcnt(0)
	v_cmp_eq_u64_e32 vcc, v[26:27], v[28:29]
	s_and_saveexec_b64 s[18:19], vcc
	s_cbranch_execz .LBB1668_57
; %bb.51:
	s_add_u32 s22, s12, -1
	v_lshl_add_u64 v[26:27], v[22:23], 0, 8
	v_lshl_add_u64 v[24:25], v[24:25], 0, 8
	s_addc_u32 s23, s13, -1
	s_mov_b64 s[26:27], 0
	s_mov_b64 s[30:31], 0
                                        ; implicit-def: $sgpr28_sgpr29
	s_branch .LBB1668_54
.LBB1668_52:                            ;   in Loop: Header=BB1668_54 Depth=1
	global_load_dwordx2 v[28:29], v[24:25], off
	global_load_dwordx2 v[30:31], v[26:27], off
	s_add_u32 s30, s30, 1
	s_addc_u32 s31, s31, 0
	s_andn2_b64 s[28:29], s[28:29], exec
	v_lshl_add_u64 v[26:27], v[26:27], 0, 8
	v_lshl_add_u64 v[24:25], v[24:25], 0, 8
	s_waitcnt vmcnt(0)
	v_cmp_ne_u64_e32 vcc, v[28:29], v[30:31]
	s_and_b64 s[34:35], vcc, exec
	s_or_b64 s[28:29], s[28:29], s[34:35]
.LBB1668_53:                            ;   in Loop: Header=BB1668_54 Depth=1
	s_and_b64 s[34:35], exec, s[28:29]
	s_or_b64 s[26:27], s[34:35], s[26:27]
	v_mov_b64_e32 v[28:29], s[30:31]
	s_andn2_b64 exec, exec, s[26:27]
	s_cbranch_execz .LBB1668_56
.LBB1668_54:                            ; =>This Inner Loop Header: Depth=1
	s_or_b64 s[28:29], s[28:29], exec
	s_cmp_eq_u64 s[22:23], s[30:31]
	s_cbranch_scc0 .LBB1668_52
; %bb.55:                               ;   in Loop: Header=BB1668_54 Depth=1
                                        ; implicit-def: $vgpr26_vgpr27
                                        ; implicit-def: $vgpr24_vgpr25
	s_mov_b64 s[30:31], s[12:13]
	s_branch .LBB1668_53
.LBB1668_56:
	s_or_b64 exec, exec, s[26:27]
	v_cmp_gt_i64_e32 vcc, s[12:13], v[28:29]
	s_mov_b32 s21, 0
	v_mov_b32_e32 v39, s21
	v_cndmask_b32_e64 v38, 0, 1, vcc
.LBB1668_57:
	s_or_b64 exec, exec, s[18:19]
.LBB1668_58:
	v_mul_lo_u32 v1, v15, s12
	v_mul_lo_u32 v26, v14, s13
	v_mad_u64_u32 v[24:25], s[18:19], v14, s12, 0
	v_add3_u32 v25, v25, v26, v1
	v_mov_b64_e32 v[48:49], 0
	s_and_b64 vcc, exec, s[2:3]
	v_lshl_add_u64 v[24:25], v[24:25], 3, s[14:15]
	v_mov_b64_e32 v[46:47], v[48:49]
	s_cbranch_vccnz .LBB1668_67
; %bb.59:
	global_load_dwordx2 v[26:27], v[22:23], off
	global_load_dwordx2 v[28:29], v[24:25], off
	v_mov_b64_e32 v[46:47], 1
	s_waitcnt vmcnt(0)
	v_cmp_eq_u64_e32 vcc, v[26:27], v[28:29]
	s_and_saveexec_b64 s[18:19], vcc
	s_cbranch_execz .LBB1668_66
; %bb.60:
	s_add_u32 s22, s12, -1
	v_lshl_add_u64 v[26:27], v[24:25], 0, 8
	v_lshl_add_u64 v[22:23], v[22:23], 0, 8
	s_addc_u32 s23, s13, -1
	s_mov_b64 s[26:27], 0
	s_mov_b64 s[30:31], 0
                                        ; implicit-def: $sgpr28_sgpr29
	s_branch .LBB1668_63
.LBB1668_61:                            ;   in Loop: Header=BB1668_63 Depth=1
	global_load_dwordx2 v[28:29], v[22:23], off
	global_load_dwordx2 v[30:31], v[26:27], off
	s_add_u32 s30, s30, 1
	s_addc_u32 s31, s31, 0
	s_andn2_b64 s[28:29], s[28:29], exec
	v_lshl_add_u64 v[26:27], v[26:27], 0, 8
	v_lshl_add_u64 v[22:23], v[22:23], 0, 8
	s_waitcnt vmcnt(0)
	v_cmp_ne_u64_e32 vcc, v[28:29], v[30:31]
	s_and_b64 s[34:35], vcc, exec
	s_or_b64 s[28:29], s[28:29], s[34:35]
.LBB1668_62:                            ;   in Loop: Header=BB1668_63 Depth=1
	s_and_b64 s[34:35], exec, s[28:29]
	s_or_b64 s[26:27], s[34:35], s[26:27]
	v_mov_b64_e32 v[28:29], s[30:31]
	s_andn2_b64 exec, exec, s[26:27]
	s_cbranch_execz .LBB1668_65
.LBB1668_63:                            ; =>This Inner Loop Header: Depth=1
	s_or_b64 s[28:29], s[28:29], exec
	s_cmp_eq_u64 s[22:23], s[30:31]
	s_cbranch_scc0 .LBB1668_61
; %bb.64:                               ;   in Loop: Header=BB1668_63 Depth=1
                                        ; implicit-def: $vgpr26_vgpr27
                                        ; implicit-def: $vgpr22_vgpr23
	s_mov_b64 s[30:31], s[12:13]
	s_branch .LBB1668_62
.LBB1668_65:
	s_or_b64 exec, exec, s[26:27]
	v_cmp_gt_i64_e32 vcc, s[12:13], v[28:29]
	s_mov_b32 s21, 0
	v_mov_b32_e32 v47, s21
	v_cndmask_b32_e64 v46, 0, 1, vcc
.LBB1668_66:
	s_or_b64 exec, exec, s[18:19]
.LBB1668_67:
	v_mul_lo_u32 v1, v13, s12
	v_mul_lo_u32 v26, v12, s13
	v_mad_u64_u32 v[22:23], s[18:19], v12, s12, 0
	v_add3_u32 v23, v23, v26, v1
	s_and_b64 vcc, exec, s[2:3]
	v_lshl_add_u64 v[22:23], v[22:23], 3, s[14:15]
	s_cbranch_vccnz .LBB1668_76
; %bb.68:
	global_load_dwordx2 v[26:27], v[24:25], off
	global_load_dwordx2 v[28:29], v[22:23], off
	v_mov_b64_e32 v[48:49], 1
	s_waitcnt vmcnt(0)
	v_cmp_eq_u64_e32 vcc, v[26:27], v[28:29]
	s_and_saveexec_b64 s[18:19], vcc
	s_cbranch_execz .LBB1668_75
; %bb.69:
	s_add_u32 s22, s12, -1
	v_lshl_add_u64 v[26:27], v[22:23], 0, 8
	v_lshl_add_u64 v[24:25], v[24:25], 0, 8
	s_addc_u32 s23, s13, -1
	s_mov_b64 s[26:27], 0
	s_mov_b64 s[30:31], 0
                                        ; implicit-def: $sgpr28_sgpr29
	s_branch .LBB1668_72
.LBB1668_70:                            ;   in Loop: Header=BB1668_72 Depth=1
	global_load_dwordx2 v[28:29], v[24:25], off
	global_load_dwordx2 v[30:31], v[26:27], off
	s_add_u32 s30, s30, 1
	s_addc_u32 s31, s31, 0
	s_andn2_b64 s[28:29], s[28:29], exec
	v_lshl_add_u64 v[26:27], v[26:27], 0, 8
	v_lshl_add_u64 v[24:25], v[24:25], 0, 8
	s_waitcnt vmcnt(0)
	v_cmp_ne_u64_e32 vcc, v[28:29], v[30:31]
	s_and_b64 s[34:35], vcc, exec
	s_or_b64 s[28:29], s[28:29], s[34:35]
.LBB1668_71:                            ;   in Loop: Header=BB1668_72 Depth=1
	s_and_b64 s[34:35], exec, s[28:29]
	s_or_b64 s[26:27], s[34:35], s[26:27]
	v_mov_b64_e32 v[28:29], s[30:31]
	s_andn2_b64 exec, exec, s[26:27]
	s_cbranch_execz .LBB1668_74
.LBB1668_72:                            ; =>This Inner Loop Header: Depth=1
	s_or_b64 s[28:29], s[28:29], exec
	s_cmp_eq_u64 s[22:23], s[30:31]
	s_cbranch_scc0 .LBB1668_70
; %bb.73:                               ;   in Loop: Header=BB1668_72 Depth=1
                                        ; implicit-def: $vgpr26_vgpr27
                                        ; implicit-def: $vgpr24_vgpr25
	s_mov_b64 s[30:31], s[12:13]
	s_branch .LBB1668_71
.LBB1668_74:
	s_or_b64 exec, exec, s[26:27]
	v_cmp_gt_i64_e32 vcc, s[12:13], v[28:29]
	s_mov_b32 s21, 0
	v_mov_b32_e32 v49, s21
	v_cndmask_b32_e64 v48, 0, 1, vcc
.LBB1668_75:
	s_or_b64 exec, exec, s[18:19]
.LBB1668_76:
	v_mul_lo_u32 v1, v11, s12
	v_mul_lo_u32 v26, v10, s13
	v_mad_u64_u32 v[24:25], s[18:19], v10, s12, 0
	v_add3_u32 v25, v25, v26, v1
	v_mov_b64_e32 v[52:53], 0
	s_and_b64 vcc, exec, s[2:3]
	v_lshl_add_u64 v[24:25], v[24:25], 3, s[14:15]
	v_mov_b64_e32 v[50:51], v[52:53]
	s_cbranch_vccnz .LBB1668_85
; %bb.77:
	global_load_dwordx2 v[26:27], v[22:23], off
	global_load_dwordx2 v[28:29], v[24:25], off
	v_mov_b64_e32 v[50:51], 1
	s_waitcnt vmcnt(0)
	v_cmp_eq_u64_e32 vcc, v[26:27], v[28:29]
	s_and_saveexec_b64 s[18:19], vcc
	s_cbranch_execz .LBB1668_84
; %bb.78:
	s_add_u32 s22, s12, -1
	v_lshl_add_u64 v[26:27], v[24:25], 0, 8
	v_lshl_add_u64 v[22:23], v[22:23], 0, 8
	s_addc_u32 s23, s13, -1
	s_mov_b64 s[26:27], 0
	s_mov_b64 s[30:31], 0
                                        ; implicit-def: $sgpr28_sgpr29
	s_branch .LBB1668_81
.LBB1668_79:                            ;   in Loop: Header=BB1668_81 Depth=1
	global_load_dwordx2 v[28:29], v[22:23], off
	global_load_dwordx2 v[30:31], v[26:27], off
	s_add_u32 s30, s30, 1
	s_addc_u32 s31, s31, 0
	s_andn2_b64 s[28:29], s[28:29], exec
	v_lshl_add_u64 v[26:27], v[26:27], 0, 8
	v_lshl_add_u64 v[22:23], v[22:23], 0, 8
	s_waitcnt vmcnt(0)
	v_cmp_ne_u64_e32 vcc, v[28:29], v[30:31]
	s_and_b64 s[34:35], vcc, exec
	s_or_b64 s[28:29], s[28:29], s[34:35]
.LBB1668_80:                            ;   in Loop: Header=BB1668_81 Depth=1
	s_and_b64 s[34:35], exec, s[28:29]
	s_or_b64 s[26:27], s[34:35], s[26:27]
	v_mov_b64_e32 v[28:29], s[30:31]
	s_andn2_b64 exec, exec, s[26:27]
	s_cbranch_execz .LBB1668_83
.LBB1668_81:                            ; =>This Inner Loop Header: Depth=1
	s_or_b64 s[28:29], s[28:29], exec
	s_cmp_eq_u64 s[22:23], s[30:31]
	s_cbranch_scc0 .LBB1668_79
; %bb.82:                               ;   in Loop: Header=BB1668_81 Depth=1
                                        ; implicit-def: $vgpr26_vgpr27
                                        ; implicit-def: $vgpr22_vgpr23
	s_mov_b64 s[30:31], s[12:13]
	s_branch .LBB1668_80
.LBB1668_83:
	s_or_b64 exec, exec, s[26:27]
	v_cmp_gt_i64_e32 vcc, s[12:13], v[28:29]
	s_mov_b32 s21, 0
	v_mov_b32_e32 v51, s21
	v_cndmask_b32_e64 v50, 0, 1, vcc
.LBB1668_84:
	s_or_b64 exec, exec, s[18:19]
.LBB1668_85:
	v_mul_lo_u32 v1, v9, s12
	v_mul_lo_u32 v26, v8, s13
	v_mad_u64_u32 v[22:23], s[18:19], v8, s12, 0
	v_add3_u32 v23, v23, v26, v1
	s_and_b64 vcc, exec, s[2:3]
	v_lshl_add_u64 v[22:23], v[22:23], 3, s[14:15]
	s_cbranch_vccnz .LBB1668_94
; %bb.86:
	global_load_dwordx2 v[26:27], v[24:25], off
	global_load_dwordx2 v[28:29], v[22:23], off
	v_mov_b64_e32 v[52:53], 1
	s_waitcnt vmcnt(0)
	v_cmp_eq_u64_e32 vcc, v[26:27], v[28:29]
	s_and_saveexec_b64 s[18:19], vcc
	s_cbranch_execz .LBB1668_93
; %bb.87:
	s_add_u32 s22, s12, -1
	v_lshl_add_u64 v[26:27], v[22:23], 0, 8
	v_lshl_add_u64 v[24:25], v[24:25], 0, 8
	s_addc_u32 s23, s13, -1
	s_mov_b64 s[26:27], 0
	s_mov_b64 s[30:31], 0
                                        ; implicit-def: $sgpr28_sgpr29
	s_branch .LBB1668_90
.LBB1668_88:                            ;   in Loop: Header=BB1668_90 Depth=1
	global_load_dwordx2 v[28:29], v[24:25], off
	global_load_dwordx2 v[30:31], v[26:27], off
	s_add_u32 s30, s30, 1
	s_addc_u32 s31, s31, 0
	s_andn2_b64 s[28:29], s[28:29], exec
	v_lshl_add_u64 v[26:27], v[26:27], 0, 8
	v_lshl_add_u64 v[24:25], v[24:25], 0, 8
	s_waitcnt vmcnt(0)
	v_cmp_ne_u64_e32 vcc, v[28:29], v[30:31]
	s_and_b64 s[34:35], vcc, exec
	s_or_b64 s[28:29], s[28:29], s[34:35]
.LBB1668_89:                            ;   in Loop: Header=BB1668_90 Depth=1
	s_and_b64 s[34:35], exec, s[28:29]
	s_or_b64 s[26:27], s[34:35], s[26:27]
	v_mov_b64_e32 v[28:29], s[30:31]
	s_andn2_b64 exec, exec, s[26:27]
	s_cbranch_execz .LBB1668_92
.LBB1668_90:                            ; =>This Inner Loop Header: Depth=1
	s_or_b64 s[28:29], s[28:29], exec
	s_cmp_eq_u64 s[22:23], s[30:31]
	s_cbranch_scc0 .LBB1668_88
; %bb.91:                               ;   in Loop: Header=BB1668_90 Depth=1
                                        ; implicit-def: $vgpr26_vgpr27
                                        ; implicit-def: $vgpr24_vgpr25
	s_mov_b64 s[30:31], s[12:13]
	s_branch .LBB1668_89
.LBB1668_92:
	s_or_b64 exec, exec, s[26:27]
	v_cmp_gt_i64_e32 vcc, s[12:13], v[28:29]
	s_mov_b32 s21, 0
	v_mov_b32_e32 v53, s21
	v_cndmask_b32_e64 v52, 0, 1, vcc
.LBB1668_93:
	s_or_b64 exec, exec, s[18:19]
.LBB1668_94:
	v_mul_lo_u32 v1, v7, s12
	v_mul_lo_u32 v26, v6, s13
	v_mad_u64_u32 v[24:25], s[18:19], v6, s12, 0
	v_add3_u32 v25, v25, v26, v1
	v_mov_b64_e32 v[56:57], 0
	s_and_b64 vcc, exec, s[2:3]
	v_lshl_add_u64 v[24:25], v[24:25], 3, s[14:15]
	v_mov_b64_e32 v[54:55], v[56:57]
	s_cbranch_vccnz .LBB1668_103
; %bb.95:
	global_load_dwordx2 v[26:27], v[22:23], off
	global_load_dwordx2 v[28:29], v[24:25], off
	v_mov_b64_e32 v[54:55], 1
	s_waitcnt vmcnt(0)
	v_cmp_eq_u64_e32 vcc, v[26:27], v[28:29]
	s_and_saveexec_b64 s[18:19], vcc
	s_cbranch_execz .LBB1668_102
; %bb.96:
	s_add_u32 s22, s12, -1
	v_lshl_add_u64 v[26:27], v[24:25], 0, 8
	v_lshl_add_u64 v[22:23], v[22:23], 0, 8
	s_addc_u32 s23, s13, -1
	s_mov_b64 s[26:27], 0
	s_mov_b64 s[30:31], 0
                                        ; implicit-def: $sgpr28_sgpr29
	s_branch .LBB1668_99
.LBB1668_97:                            ;   in Loop: Header=BB1668_99 Depth=1
	global_load_dwordx2 v[28:29], v[22:23], off
	global_load_dwordx2 v[30:31], v[26:27], off
	s_add_u32 s30, s30, 1
	s_addc_u32 s31, s31, 0
	s_andn2_b64 s[28:29], s[28:29], exec
	v_lshl_add_u64 v[26:27], v[26:27], 0, 8
	v_lshl_add_u64 v[22:23], v[22:23], 0, 8
	s_waitcnt vmcnt(0)
	v_cmp_ne_u64_e32 vcc, v[28:29], v[30:31]
	s_and_b64 s[34:35], vcc, exec
	s_or_b64 s[28:29], s[28:29], s[34:35]
.LBB1668_98:                            ;   in Loop: Header=BB1668_99 Depth=1
	s_and_b64 s[34:35], exec, s[28:29]
	s_or_b64 s[26:27], s[34:35], s[26:27]
	v_mov_b64_e32 v[28:29], s[30:31]
	s_andn2_b64 exec, exec, s[26:27]
	s_cbranch_execz .LBB1668_101
.LBB1668_99:                            ; =>This Inner Loop Header: Depth=1
	s_or_b64 s[28:29], s[28:29], exec
	s_cmp_eq_u64 s[22:23], s[30:31]
	s_cbranch_scc0 .LBB1668_97
; %bb.100:                              ;   in Loop: Header=BB1668_99 Depth=1
                                        ; implicit-def: $vgpr26_vgpr27
                                        ; implicit-def: $vgpr22_vgpr23
	s_mov_b64 s[30:31], s[12:13]
	s_branch .LBB1668_98
.LBB1668_101:
	s_or_b64 exec, exec, s[26:27]
	v_cmp_gt_i64_e32 vcc, s[12:13], v[28:29]
	s_mov_b32 s21, 0
	v_mov_b32_e32 v55, s21
	v_cndmask_b32_e64 v54, 0, 1, vcc
.LBB1668_102:
	s_or_b64 exec, exec, s[18:19]
.LBB1668_103:
	v_mul_lo_u32 v1, v5, s12
	v_mul_lo_u32 v26, v4, s13
	v_mad_u64_u32 v[22:23], s[18:19], v4, s12, 0
	v_add3_u32 v23, v23, v26, v1
	s_and_b64 vcc, exec, s[2:3]
	v_lshl_add_u64 v[22:23], v[22:23], 3, s[14:15]
	s_cbranch_vccnz .LBB1668_112
; %bb.104:
	global_load_dwordx2 v[26:27], v[24:25], off
	global_load_dwordx2 v[28:29], v[22:23], off
	v_mov_b64_e32 v[56:57], 1
	s_waitcnt vmcnt(0)
	v_cmp_eq_u64_e32 vcc, v[26:27], v[28:29]
	s_and_saveexec_b64 s[18:19], vcc
	s_cbranch_execz .LBB1668_111
; %bb.105:
	s_add_u32 s22, s12, -1
	v_lshl_add_u64 v[26:27], v[22:23], 0, 8
	v_lshl_add_u64 v[24:25], v[24:25], 0, 8
	s_addc_u32 s23, s13, -1
	s_mov_b64 s[26:27], 0
	s_mov_b64 s[30:31], 0
                                        ; implicit-def: $sgpr28_sgpr29
	s_branch .LBB1668_108
.LBB1668_106:                           ;   in Loop: Header=BB1668_108 Depth=1
	global_load_dwordx2 v[28:29], v[24:25], off
	global_load_dwordx2 v[30:31], v[26:27], off
	s_add_u32 s30, s30, 1
	s_addc_u32 s31, s31, 0
	s_andn2_b64 s[28:29], s[28:29], exec
	v_lshl_add_u64 v[26:27], v[26:27], 0, 8
	v_lshl_add_u64 v[24:25], v[24:25], 0, 8
	s_waitcnt vmcnt(0)
	v_cmp_ne_u64_e32 vcc, v[28:29], v[30:31]
	s_and_b64 s[34:35], vcc, exec
	s_or_b64 s[28:29], s[28:29], s[34:35]
.LBB1668_107:                           ;   in Loop: Header=BB1668_108 Depth=1
	s_and_b64 s[34:35], exec, s[28:29]
	s_or_b64 s[26:27], s[34:35], s[26:27]
	v_mov_b64_e32 v[28:29], s[30:31]
	s_andn2_b64 exec, exec, s[26:27]
	s_cbranch_execz .LBB1668_110
.LBB1668_108:                           ; =>This Inner Loop Header: Depth=1
	s_or_b64 s[28:29], s[28:29], exec
	s_cmp_eq_u64 s[22:23], s[30:31]
	s_cbranch_scc0 .LBB1668_106
; %bb.109:                              ;   in Loop: Header=BB1668_108 Depth=1
                                        ; implicit-def: $vgpr26_vgpr27
                                        ; implicit-def: $vgpr24_vgpr25
	s_mov_b64 s[30:31], s[12:13]
	s_branch .LBB1668_107
.LBB1668_110:
	s_or_b64 exec, exec, s[26:27]
	v_cmp_gt_i64_e32 vcc, s[12:13], v[28:29]
	s_mov_b32 s21, 0
	v_mov_b32_e32 v57, s21
	v_cndmask_b32_e64 v56, 0, 1, vcc
.LBB1668_111:
	s_or_b64 exec, exec, s[18:19]
.LBB1668_112:
	s_and_b64 vcc, exec, s[2:3]
	s_cbranch_vccnz .LBB1668_119
; %bb.113:
	v_mul_lo_u32 v1, v3, s12
	v_mul_lo_u32 v26, v2, s13
	v_mad_u64_u32 v[24:25], s[18:19], v2, s12, 0
	v_add3_u32 v25, v25, v26, v1
	v_lshl_add_u64 v[24:25], v[24:25], 3, s[14:15]
	global_load_dwordx2 v[26:27], v[22:23], off
	global_load_dwordx2 v[28:29], v[24:25], off
	v_mov_b64_e32 v[58:59], 1
	s_waitcnt vmcnt(0)
	v_cmp_eq_u64_e32 vcc, v[26:27], v[28:29]
	s_and_saveexec_b64 s[18:19], vcc
	s_cbranch_execz .LBB1668_121
; %bb.114:
	s_add_u32 s22, s12, -1
	v_lshl_add_u64 v[24:25], v[24:25], 0, 8
	v_lshl_add_u64 v[22:23], v[22:23], 0, 8
	s_addc_u32 s23, s13, -1
	s_mov_b64 s[26:27], 0
	s_mov_b64 s[30:31], 0
                                        ; implicit-def: $sgpr28_sgpr29
	s_branch .LBB1668_117
.LBB1668_115:                           ;   in Loop: Header=BB1668_117 Depth=1
	global_load_dwordx2 v[26:27], v[22:23], off
	global_load_dwordx2 v[28:29], v[24:25], off
	s_add_u32 s30, s30, 1
	s_addc_u32 s31, s31, 0
	s_andn2_b64 s[28:29], s[28:29], exec
	v_lshl_add_u64 v[24:25], v[24:25], 0, 8
	v_lshl_add_u64 v[22:23], v[22:23], 0, 8
	s_waitcnt vmcnt(0)
	v_cmp_ne_u64_e32 vcc, v[26:27], v[28:29]
	s_and_b64 s[34:35], vcc, exec
	s_or_b64 s[28:29], s[28:29], s[34:35]
.LBB1668_116:                           ;   in Loop: Header=BB1668_117 Depth=1
	s_and_b64 s[34:35], exec, s[28:29]
	s_or_b64 s[26:27], s[34:35], s[26:27]
	v_mov_b64_e32 v[26:27], s[30:31]
	s_andn2_b64 exec, exec, s[26:27]
	s_cbranch_execz .LBB1668_120
.LBB1668_117:                           ; =>This Inner Loop Header: Depth=1
	s_or_b64 s[28:29], s[28:29], exec
	s_cmp_eq_u64 s[22:23], s[30:31]
	s_cbranch_scc0 .LBB1668_115
; %bb.118:                              ;   in Loop: Header=BB1668_117 Depth=1
                                        ; implicit-def: $vgpr24_vgpr25
                                        ; implicit-def: $vgpr22_vgpr23
	s_mov_b64 s[30:31], s[12:13]
	s_branch .LBB1668_116
.LBB1668_119:
	v_mov_b64_e32 v[58:59], 0
	s_branch .LBB1668_122
.LBB1668_120:
	s_or_b64 exec, exec, s[26:27]
	v_cmp_gt_i64_e32 vcc, s[12:13], v[26:27]
	s_mov_b32 s21, 0
	v_mov_b32_e32 v59, s21
	v_cndmask_b32_e64 v58, 0, 1, vcc
.LBB1668_121:
	s_or_b64 exec, exec, s[18:19]
.LBB1668_122:
	v_cmp_ne_u32_e32 vcc, 0, v0
	s_waitcnt lgkmcnt(0)
	v_mov_b64_e32 v[22:23], s[16:17]
	s_barrier
	s_and_saveexec_b64 s[18:19], vcc
	s_cbranch_execz .LBB1668_124
; %bb.123:
	v_add_u32_e32 v1, -8, v40
	ds_read_b64 v[22:23], v1
.LBB1668_124:
	s_or_b64 exec, exec, s[18:19]
	s_mov_b64 s[26:27], 0
	s_and_b64 vcc, exec, s[2:3]
	s_mov_b64 s[18:19], 0
	s_cbranch_vccnz .LBB1668_133
; %bb.125:
	v_mul_lo_u32 v1, v3, s12
	v_mul_lo_u32 v26, v2, s13
	v_mad_u64_u32 v[24:25], s[2:3], v2, s12, 0
	v_add3_u32 v25, v25, v26, v1
	s_waitcnt lgkmcnt(0)
	v_mul_lo_u32 v1, v23, s12
	v_mul_lo_u32 v26, v22, s13
	v_mad_u64_u32 v[22:23], s[2:3], v22, s12, 0
	v_add3_u32 v23, v23, v26, v1
	v_lshl_add_u64 v[24:25], v[24:25], 3, s[14:15]
	v_lshl_add_u64 v[22:23], v[22:23], 3, s[14:15]
	global_load_dwordx2 v[26:27], v[24:25], off
	global_load_dwordx2 v[28:29], v[22:23], off
	s_mov_b64 s[18:19], -1
	s_waitcnt vmcnt(0)
	v_cmp_eq_u64_e32 vcc, v[26:27], v[28:29]
	s_and_saveexec_b64 s[2:3], vcc
	s_cbranch_execz .LBB1668_132
; %bb.126:
	s_add_u32 s18, s12, -1
	v_lshl_add_u64 v[22:23], v[22:23], 0, 8
	v_lshl_add_u64 v[24:25], v[24:25], 0, 8
	s_addc_u32 s19, s13, -1
	s_mov_b64 s[22:23], 0
	s_mov_b64 s[30:31], 0
                                        ; implicit-def: $sgpr28_sgpr29
	s_branch .LBB1668_129
.LBB1668_127:                           ;   in Loop: Header=BB1668_129 Depth=1
	global_load_dwordx2 v[26:27], v[24:25], off
	global_load_dwordx2 v[28:29], v[22:23], off
	s_add_u32 s30, s30, 1
	s_addc_u32 s31, s31, 0
	s_andn2_b64 s[28:29], s[28:29], exec
	v_lshl_add_u64 v[22:23], v[22:23], 0, 8
	v_lshl_add_u64 v[24:25], v[24:25], 0, 8
	s_waitcnt vmcnt(0)
	v_cmp_ne_u64_e32 vcc, v[26:27], v[28:29]
	s_and_b64 s[34:35], vcc, exec
	s_or_b64 s[28:29], s[28:29], s[34:35]
.LBB1668_128:                           ;   in Loop: Header=BB1668_129 Depth=1
	s_and_b64 s[34:35], exec, s[28:29]
	s_or_b64 s[22:23], s[34:35], s[22:23]
	v_mov_b64_e32 v[26:27], s[30:31]
	s_andn2_b64 exec, exec, s[22:23]
	s_cbranch_execz .LBB1668_131
.LBB1668_129:                           ; =>This Inner Loop Header: Depth=1
	s_or_b64 s[28:29], s[28:29], exec
	s_cmp_eq_u64 s[18:19], s[30:31]
	s_cbranch_scc0 .LBB1668_127
; %bb.130:                              ;   in Loop: Header=BB1668_129 Depth=1
                                        ; implicit-def: $vgpr22_vgpr23
                                        ; implicit-def: $vgpr24_vgpr25
	s_mov_b64 s[30:31], s[12:13]
	s_branch .LBB1668_128
.LBB1668_131:
	s_or_b64 exec, exec, s[22:23]
	v_cmp_gt_i64_e32 vcc, s[12:13], v[26:27]
	s_orn2_b64 s[18:19], vcc, exec
.LBB1668_132:
	s_or_b64 exec, exec, s[2:3]
.LBB1668_133:
	s_mov_b64 s[22:23], -1
	s_and_b64 vcc, exec, s[26:27]
	s_cbranch_vccz .LBB1668_37
.LBB1668_134:
	s_mul_i32 s21, s24, 0xfffff500
	s_add_i32 s21, s21, s10
	s_waitcnt lgkmcnt(0)
	v_mad_u32_u24 v22, v0, 11, 10
	v_cmp_gt_i64_e64 s[2:3], s[12:13], 0
	v_cmp_gt_u32_e32 vcc, s21, v22
	v_mul_u32_u24_e32 v1, 11, v0
	v_cndmask_b32_e64 v22, 0, 1, s[2:3]
	v_cmp_ne_u32_e64 s[2:3], 1, v22
	v_mov_b64_e32 v[42:43], v[36:37]
	ds_write_b64 v40, v[36:37]
	s_and_saveexec_b64 s[18:19], vcc
	s_cbranch_execz .LBB1668_145
; %bb.135:
	s_and_b64 vcc, exec, s[2:3]
	s_cbranch_vccnz .LBB1668_142
; %bb.136:
	v_mul_lo_u32 v24, v37, s12
	v_mul_lo_u32 v25, v36, s13
	v_mad_u64_u32 v[22:23], s[24:25], v36, s12, 0
	v_add3_u32 v23, v23, v25, v24
	v_mul_lo_u32 v24, v21, s12
	v_mul_lo_u32 v25, v20, s13
	v_mad_u64_u32 v[26:27], s[24:25], v20, s12, 0
	v_add3_u32 v27, v27, v25, v24
	v_lshl_add_u64 v[24:25], v[22:23], 3, s[14:15]
	v_lshl_add_u64 v[22:23], v[26:27], 3, s[14:15]
	global_load_dwordx2 v[26:27], v[24:25], off
	global_load_dwordx2 v[28:29], v[22:23], off
	v_mov_b64_e32 v[42:43], 1
	s_waitcnt vmcnt(0)
	v_cmp_eq_u64_e32 vcc, v[26:27], v[28:29]
	s_and_saveexec_b64 s[24:25], vcc
	s_cbranch_execz .LBB1668_144
; %bb.137:
	s_add_u32 s26, s12, -1
	v_lshl_add_u64 v[22:23], v[22:23], 0, 8
	v_lshl_add_u64 v[24:25], v[24:25], 0, 8
	s_addc_u32 s27, s13, -1
	s_mov_b64 s[28:29], 0
	s_mov_b64 s[34:35], 0
                                        ; implicit-def: $sgpr30_sgpr31
	s_branch .LBB1668_140
.LBB1668_138:                           ;   in Loop: Header=BB1668_140 Depth=1
	global_load_dwordx2 v[26:27], v[24:25], off
	global_load_dwordx2 v[28:29], v[22:23], off
	s_add_u32 s34, s34, 1
	s_addc_u32 s35, s35, 0
	s_andn2_b64 s[30:31], s[30:31], exec
	v_lshl_add_u64 v[22:23], v[22:23], 0, 8
	v_lshl_add_u64 v[24:25], v[24:25], 0, 8
	s_waitcnt vmcnt(0)
	v_cmp_ne_u64_e32 vcc, v[26:27], v[28:29]
	s_and_b64 s[36:37], vcc, exec
	s_or_b64 s[30:31], s[30:31], s[36:37]
.LBB1668_139:                           ;   in Loop: Header=BB1668_140 Depth=1
	s_and_b64 s[36:37], exec, s[30:31]
	s_or_b64 s[28:29], s[36:37], s[28:29]
	v_mov_b64_e32 v[26:27], s[34:35]
	s_andn2_b64 exec, exec, s[28:29]
	s_cbranch_execz .LBB1668_143
.LBB1668_140:                           ; =>This Inner Loop Header: Depth=1
	s_or_b64 s[30:31], s[30:31], exec
	s_cmp_eq_u64 s[26:27], s[34:35]
	s_cbranch_scc0 .LBB1668_138
; %bb.141:                              ;   in Loop: Header=BB1668_140 Depth=1
                                        ; implicit-def: $vgpr22_vgpr23
                                        ; implicit-def: $vgpr24_vgpr25
	s_mov_b64 s[34:35], s[12:13]
	s_branch .LBB1668_139
.LBB1668_142:
	v_mov_b64_e32 v[42:43], 0
	s_branch .LBB1668_145
.LBB1668_143:
	s_or_b64 exec, exec, s[28:29]
	v_cmp_gt_i64_e32 vcc, s[12:13], v[26:27]
	s_mov_b32 s26, 0
	v_mov_b32_e32 v43, s26
	v_cndmask_b32_e64 v42, 0, 1, vcc
.LBB1668_144:
	s_or_b64 exec, exec, s[24:25]
.LBB1668_145:
	s_or_b64 exec, exec, s[18:19]
	v_add_u32_e32 v22, 9, v1
	v_cmp_gt_u32_e32 vcc, s21, v22
	v_mov_b64_e32 v[44:45], v[20:21]
	s_and_saveexec_b64 s[18:19], vcc
	s_cbranch_execz .LBB1668_156
; %bb.146:
	s_and_b64 vcc, exec, s[2:3]
	s_cbranch_vccnz .LBB1668_153
; %bb.147:
	v_mul_lo_u32 v24, v21, s12
	v_mul_lo_u32 v25, v20, s13
	v_mad_u64_u32 v[22:23], s[24:25], v20, s12, 0
	v_add3_u32 v23, v23, v25, v24
	v_mul_lo_u32 v24, v19, s12
	v_mul_lo_u32 v25, v18, s13
	v_mad_u64_u32 v[26:27], s[24:25], v18, s12, 0
	v_add3_u32 v27, v27, v25, v24
	v_lshl_add_u64 v[24:25], v[22:23], 3, s[14:15]
	v_lshl_add_u64 v[22:23], v[26:27], 3, s[14:15]
	global_load_dwordx2 v[26:27], v[24:25], off
	global_load_dwordx2 v[28:29], v[22:23], off
	v_mov_b64_e32 v[44:45], 1
	s_waitcnt vmcnt(0)
	v_cmp_eq_u64_e32 vcc, v[26:27], v[28:29]
	s_and_saveexec_b64 s[24:25], vcc
	s_cbranch_execz .LBB1668_155
; %bb.148:
	s_add_u32 s26, s12, -1
	v_lshl_add_u64 v[22:23], v[22:23], 0, 8
	v_lshl_add_u64 v[24:25], v[24:25], 0, 8
	s_addc_u32 s27, s13, -1
	s_mov_b64 s[28:29], 0
	s_mov_b64 s[34:35], 0
                                        ; implicit-def: $sgpr30_sgpr31
	s_branch .LBB1668_151
.LBB1668_149:                           ;   in Loop: Header=BB1668_151 Depth=1
	global_load_dwordx2 v[26:27], v[24:25], off
	global_load_dwordx2 v[28:29], v[22:23], off
	s_add_u32 s34, s34, 1
	s_addc_u32 s35, s35, 0
	s_andn2_b64 s[30:31], s[30:31], exec
	v_lshl_add_u64 v[22:23], v[22:23], 0, 8
	v_lshl_add_u64 v[24:25], v[24:25], 0, 8
	s_waitcnt vmcnt(0)
	v_cmp_ne_u64_e32 vcc, v[26:27], v[28:29]
	s_and_b64 s[36:37], vcc, exec
	s_or_b64 s[30:31], s[30:31], s[36:37]
.LBB1668_150:                           ;   in Loop: Header=BB1668_151 Depth=1
	s_and_b64 s[36:37], exec, s[30:31]
	s_or_b64 s[28:29], s[36:37], s[28:29]
	v_mov_b64_e32 v[26:27], s[34:35]
	s_andn2_b64 exec, exec, s[28:29]
	s_cbranch_execz .LBB1668_154
.LBB1668_151:                           ; =>This Inner Loop Header: Depth=1
	s_or_b64 s[30:31], s[30:31], exec
	s_cmp_eq_u64 s[26:27], s[34:35]
	s_cbranch_scc0 .LBB1668_149
; %bb.152:                              ;   in Loop: Header=BB1668_151 Depth=1
                                        ; implicit-def: $vgpr22_vgpr23
                                        ; implicit-def: $vgpr24_vgpr25
	s_mov_b64 s[34:35], s[12:13]
	s_branch .LBB1668_150
.LBB1668_153:
	v_mov_b64_e32 v[44:45], 0
	s_branch .LBB1668_156
.LBB1668_154:
	s_or_b64 exec, exec, s[28:29]
	v_cmp_gt_i64_e32 vcc, s[12:13], v[26:27]
	s_mov_b32 s26, 0
	v_mov_b32_e32 v45, s26
	v_cndmask_b32_e64 v44, 0, 1, vcc
.LBB1668_155:
	s_or_b64 exec, exec, s[24:25]
.LBB1668_156:
	s_or_b64 exec, exec, s[18:19]
	v_add_u32_e32 v22, 8, v1
	v_cmp_gt_u32_e32 vcc, s21, v22
	v_mov_b64_e32 v[38:39], v[18:19]
	s_and_saveexec_b64 s[18:19], vcc
	s_cbranch_execz .LBB1668_167
; %bb.157:
	s_and_b64 vcc, exec, s[2:3]
	s_cbranch_vccnz .LBB1668_164
; %bb.158:
	v_mul_lo_u32 v24, v19, s12
	v_mul_lo_u32 v25, v18, s13
	v_mad_u64_u32 v[22:23], s[24:25], v18, s12, 0
	v_add3_u32 v23, v23, v25, v24
	v_mul_lo_u32 v24, v17, s12
	v_mul_lo_u32 v25, v16, s13
	v_mad_u64_u32 v[26:27], s[24:25], v16, s12, 0
	v_add3_u32 v27, v27, v25, v24
	v_lshl_add_u64 v[24:25], v[22:23], 3, s[14:15]
	v_lshl_add_u64 v[22:23], v[26:27], 3, s[14:15]
	global_load_dwordx2 v[26:27], v[24:25], off
	global_load_dwordx2 v[28:29], v[22:23], off
	v_mov_b64_e32 v[38:39], 1
	s_waitcnt vmcnt(0)
	v_cmp_eq_u64_e32 vcc, v[26:27], v[28:29]
	s_and_saveexec_b64 s[24:25], vcc
	s_cbranch_execz .LBB1668_166
; %bb.159:
	s_add_u32 s26, s12, -1
	v_lshl_add_u64 v[22:23], v[22:23], 0, 8
	v_lshl_add_u64 v[24:25], v[24:25], 0, 8
	s_addc_u32 s27, s13, -1
	s_mov_b64 s[28:29], 0
	s_mov_b64 s[34:35], 0
                                        ; implicit-def: $sgpr30_sgpr31
	s_branch .LBB1668_162
.LBB1668_160:                           ;   in Loop: Header=BB1668_162 Depth=1
	global_load_dwordx2 v[26:27], v[24:25], off
	global_load_dwordx2 v[28:29], v[22:23], off
	s_add_u32 s34, s34, 1
	s_addc_u32 s35, s35, 0
	s_andn2_b64 s[30:31], s[30:31], exec
	v_lshl_add_u64 v[22:23], v[22:23], 0, 8
	v_lshl_add_u64 v[24:25], v[24:25], 0, 8
	s_waitcnt vmcnt(0)
	v_cmp_ne_u64_e32 vcc, v[26:27], v[28:29]
	s_and_b64 s[36:37], vcc, exec
	s_or_b64 s[30:31], s[30:31], s[36:37]
.LBB1668_161:                           ;   in Loop: Header=BB1668_162 Depth=1
	s_and_b64 s[36:37], exec, s[30:31]
	s_or_b64 s[28:29], s[36:37], s[28:29]
	v_mov_b64_e32 v[26:27], s[34:35]
	s_andn2_b64 exec, exec, s[28:29]
	s_cbranch_execz .LBB1668_165
.LBB1668_162:                           ; =>This Inner Loop Header: Depth=1
	s_or_b64 s[30:31], s[30:31], exec
	s_cmp_eq_u64 s[26:27], s[34:35]
	s_cbranch_scc0 .LBB1668_160
; %bb.163:                              ;   in Loop: Header=BB1668_162 Depth=1
                                        ; implicit-def: $vgpr22_vgpr23
                                        ; implicit-def: $vgpr24_vgpr25
	s_mov_b64 s[34:35], s[12:13]
	s_branch .LBB1668_161
.LBB1668_164:
	v_mov_b64_e32 v[38:39], 0
	s_branch .LBB1668_167
.LBB1668_165:
	s_or_b64 exec, exec, s[28:29]
	v_cmp_gt_i64_e32 vcc, s[12:13], v[26:27]
	s_mov_b32 s26, 0
	v_mov_b32_e32 v39, s26
	v_cndmask_b32_e64 v38, 0, 1, vcc
.LBB1668_166:
	s_or_b64 exec, exec, s[24:25]
.LBB1668_167:
	s_or_b64 exec, exec, s[18:19]
	v_add_u32_e32 v22, 7, v1
	v_cmp_gt_u32_e32 vcc, s21, v22
	v_mov_b64_e32 v[46:47], v[16:17]
	s_and_saveexec_b64 s[18:19], vcc
	s_cbranch_execz .LBB1668_178
; %bb.168:
	s_and_b64 vcc, exec, s[2:3]
	s_cbranch_vccnz .LBB1668_175
; %bb.169:
	v_mul_lo_u32 v24, v17, s12
	v_mul_lo_u32 v25, v16, s13
	v_mad_u64_u32 v[22:23], s[24:25], v16, s12, 0
	v_add3_u32 v23, v23, v25, v24
	v_mul_lo_u32 v24, v15, s12
	v_mul_lo_u32 v25, v14, s13
	v_mad_u64_u32 v[26:27], s[24:25], v14, s12, 0
	v_add3_u32 v27, v27, v25, v24
	v_lshl_add_u64 v[24:25], v[22:23], 3, s[14:15]
	v_lshl_add_u64 v[22:23], v[26:27], 3, s[14:15]
	global_load_dwordx2 v[26:27], v[24:25], off
	global_load_dwordx2 v[28:29], v[22:23], off
	v_mov_b64_e32 v[46:47], 1
	s_waitcnt vmcnt(0)
	v_cmp_eq_u64_e32 vcc, v[26:27], v[28:29]
	s_and_saveexec_b64 s[24:25], vcc
	s_cbranch_execz .LBB1668_177
; %bb.170:
	s_add_u32 s26, s12, -1
	v_lshl_add_u64 v[22:23], v[22:23], 0, 8
	v_lshl_add_u64 v[24:25], v[24:25], 0, 8
	s_addc_u32 s27, s13, -1
	s_mov_b64 s[28:29], 0
	s_mov_b64 s[34:35], 0
                                        ; implicit-def: $sgpr30_sgpr31
	s_branch .LBB1668_173
.LBB1668_171:                           ;   in Loop: Header=BB1668_173 Depth=1
	global_load_dwordx2 v[26:27], v[24:25], off
	global_load_dwordx2 v[28:29], v[22:23], off
	s_add_u32 s34, s34, 1
	s_addc_u32 s35, s35, 0
	s_andn2_b64 s[30:31], s[30:31], exec
	v_lshl_add_u64 v[22:23], v[22:23], 0, 8
	v_lshl_add_u64 v[24:25], v[24:25], 0, 8
	s_waitcnt vmcnt(0)
	v_cmp_ne_u64_e32 vcc, v[26:27], v[28:29]
	s_and_b64 s[36:37], vcc, exec
	s_or_b64 s[30:31], s[30:31], s[36:37]
.LBB1668_172:                           ;   in Loop: Header=BB1668_173 Depth=1
	s_and_b64 s[36:37], exec, s[30:31]
	s_or_b64 s[28:29], s[36:37], s[28:29]
	v_mov_b64_e32 v[26:27], s[34:35]
	s_andn2_b64 exec, exec, s[28:29]
	s_cbranch_execz .LBB1668_176
.LBB1668_173:                           ; =>This Inner Loop Header: Depth=1
	s_or_b64 s[30:31], s[30:31], exec
	s_cmp_eq_u64 s[26:27], s[34:35]
	s_cbranch_scc0 .LBB1668_171
; %bb.174:                              ;   in Loop: Header=BB1668_173 Depth=1
                                        ; implicit-def: $vgpr22_vgpr23
                                        ; implicit-def: $vgpr24_vgpr25
	s_mov_b64 s[34:35], s[12:13]
	s_branch .LBB1668_172
.LBB1668_175:
	v_mov_b64_e32 v[46:47], 0
	s_branch .LBB1668_178
.LBB1668_176:
	s_or_b64 exec, exec, s[28:29]
	v_cmp_gt_i64_e32 vcc, s[12:13], v[26:27]
	s_mov_b32 s26, 0
	v_mov_b32_e32 v47, s26
	v_cndmask_b32_e64 v46, 0, 1, vcc
.LBB1668_177:
	s_or_b64 exec, exec, s[24:25]
.LBB1668_178:
	s_or_b64 exec, exec, s[18:19]
	v_add_u32_e32 v22, 6, v1
	v_cmp_gt_u32_e32 vcc, s21, v22
	v_mov_b64_e32 v[48:49], v[14:15]
	s_and_saveexec_b64 s[18:19], vcc
	s_cbranch_execz .LBB1668_189
; %bb.179:
	s_and_b64 vcc, exec, s[2:3]
	s_cbranch_vccnz .LBB1668_186
; %bb.180:
	v_mul_lo_u32 v24, v15, s12
	v_mul_lo_u32 v25, v14, s13
	v_mad_u64_u32 v[22:23], s[24:25], v14, s12, 0
	v_add3_u32 v23, v23, v25, v24
	v_mul_lo_u32 v24, v13, s12
	v_mul_lo_u32 v25, v12, s13
	v_mad_u64_u32 v[26:27], s[24:25], v12, s12, 0
	v_add3_u32 v27, v27, v25, v24
	v_lshl_add_u64 v[24:25], v[22:23], 3, s[14:15]
	v_lshl_add_u64 v[22:23], v[26:27], 3, s[14:15]
	global_load_dwordx2 v[26:27], v[24:25], off
	global_load_dwordx2 v[28:29], v[22:23], off
	v_mov_b64_e32 v[48:49], 1
	s_waitcnt vmcnt(0)
	v_cmp_eq_u64_e32 vcc, v[26:27], v[28:29]
	s_and_saveexec_b64 s[24:25], vcc
	s_cbranch_execz .LBB1668_188
; %bb.181:
	s_add_u32 s26, s12, -1
	v_lshl_add_u64 v[22:23], v[22:23], 0, 8
	v_lshl_add_u64 v[24:25], v[24:25], 0, 8
	s_addc_u32 s27, s13, -1
	s_mov_b64 s[28:29], 0
	s_mov_b64 s[34:35], 0
                                        ; implicit-def: $sgpr30_sgpr31
	s_branch .LBB1668_184
.LBB1668_182:                           ;   in Loop: Header=BB1668_184 Depth=1
	global_load_dwordx2 v[26:27], v[24:25], off
	global_load_dwordx2 v[28:29], v[22:23], off
	s_add_u32 s34, s34, 1
	s_addc_u32 s35, s35, 0
	s_andn2_b64 s[30:31], s[30:31], exec
	v_lshl_add_u64 v[22:23], v[22:23], 0, 8
	v_lshl_add_u64 v[24:25], v[24:25], 0, 8
	s_waitcnt vmcnt(0)
	v_cmp_ne_u64_e32 vcc, v[26:27], v[28:29]
	s_and_b64 s[36:37], vcc, exec
	s_or_b64 s[30:31], s[30:31], s[36:37]
.LBB1668_183:                           ;   in Loop: Header=BB1668_184 Depth=1
	s_and_b64 s[36:37], exec, s[30:31]
	s_or_b64 s[28:29], s[36:37], s[28:29]
	v_mov_b64_e32 v[26:27], s[34:35]
	s_andn2_b64 exec, exec, s[28:29]
	s_cbranch_execz .LBB1668_187
.LBB1668_184:                           ; =>This Inner Loop Header: Depth=1
	s_or_b64 s[30:31], s[30:31], exec
	s_cmp_eq_u64 s[26:27], s[34:35]
	s_cbranch_scc0 .LBB1668_182
; %bb.185:                              ;   in Loop: Header=BB1668_184 Depth=1
                                        ; implicit-def: $vgpr22_vgpr23
                                        ; implicit-def: $vgpr24_vgpr25
	s_mov_b64 s[34:35], s[12:13]
	s_branch .LBB1668_183
.LBB1668_186:
	v_mov_b64_e32 v[48:49], 0
	s_branch .LBB1668_189
.LBB1668_187:
	s_or_b64 exec, exec, s[28:29]
	v_cmp_gt_i64_e32 vcc, s[12:13], v[26:27]
	s_mov_b32 s26, 0
	v_mov_b32_e32 v49, s26
	v_cndmask_b32_e64 v48, 0, 1, vcc
.LBB1668_188:
	s_or_b64 exec, exec, s[24:25]
.LBB1668_189:
	s_or_b64 exec, exec, s[18:19]
	v_add_u32_e32 v22, 5, v1
	v_cmp_gt_u32_e32 vcc, s21, v22
	v_mov_b64_e32 v[50:51], v[12:13]
	s_and_saveexec_b64 s[18:19], vcc
	s_cbranch_execz .LBB1668_200
; %bb.190:
	s_and_b64 vcc, exec, s[2:3]
	s_cbranch_vccnz .LBB1668_197
; %bb.191:
	v_mul_lo_u32 v24, v13, s12
	v_mul_lo_u32 v25, v12, s13
	v_mad_u64_u32 v[22:23], s[24:25], v12, s12, 0
	v_add3_u32 v23, v23, v25, v24
	v_mul_lo_u32 v24, v11, s12
	v_mul_lo_u32 v25, v10, s13
	v_mad_u64_u32 v[26:27], s[24:25], v10, s12, 0
	v_add3_u32 v27, v27, v25, v24
	v_lshl_add_u64 v[24:25], v[22:23], 3, s[14:15]
	v_lshl_add_u64 v[22:23], v[26:27], 3, s[14:15]
	global_load_dwordx2 v[26:27], v[24:25], off
	global_load_dwordx2 v[28:29], v[22:23], off
	v_mov_b64_e32 v[50:51], 1
	s_waitcnt vmcnt(0)
	v_cmp_eq_u64_e32 vcc, v[26:27], v[28:29]
	s_and_saveexec_b64 s[24:25], vcc
	s_cbranch_execz .LBB1668_199
; %bb.192:
	s_add_u32 s26, s12, -1
	v_lshl_add_u64 v[22:23], v[22:23], 0, 8
	v_lshl_add_u64 v[24:25], v[24:25], 0, 8
	s_addc_u32 s27, s13, -1
	s_mov_b64 s[28:29], 0
	s_mov_b64 s[34:35], 0
                                        ; implicit-def: $sgpr30_sgpr31
	s_branch .LBB1668_195
.LBB1668_193:                           ;   in Loop: Header=BB1668_195 Depth=1
	global_load_dwordx2 v[26:27], v[24:25], off
	global_load_dwordx2 v[28:29], v[22:23], off
	s_add_u32 s34, s34, 1
	s_addc_u32 s35, s35, 0
	s_andn2_b64 s[30:31], s[30:31], exec
	v_lshl_add_u64 v[22:23], v[22:23], 0, 8
	v_lshl_add_u64 v[24:25], v[24:25], 0, 8
	s_waitcnt vmcnt(0)
	v_cmp_ne_u64_e32 vcc, v[26:27], v[28:29]
	s_and_b64 s[36:37], vcc, exec
	s_or_b64 s[30:31], s[30:31], s[36:37]
.LBB1668_194:                           ;   in Loop: Header=BB1668_195 Depth=1
	s_and_b64 s[36:37], exec, s[30:31]
	s_or_b64 s[28:29], s[36:37], s[28:29]
	v_mov_b64_e32 v[26:27], s[34:35]
	s_andn2_b64 exec, exec, s[28:29]
	s_cbranch_execz .LBB1668_198
.LBB1668_195:                           ; =>This Inner Loop Header: Depth=1
	s_or_b64 s[30:31], s[30:31], exec
	s_cmp_eq_u64 s[26:27], s[34:35]
	s_cbranch_scc0 .LBB1668_193
; %bb.196:                              ;   in Loop: Header=BB1668_195 Depth=1
                                        ; implicit-def: $vgpr22_vgpr23
                                        ; implicit-def: $vgpr24_vgpr25
	s_mov_b64 s[34:35], s[12:13]
	s_branch .LBB1668_194
.LBB1668_197:
	v_mov_b64_e32 v[50:51], 0
	s_branch .LBB1668_200
.LBB1668_198:
	s_or_b64 exec, exec, s[28:29]
	v_cmp_gt_i64_e32 vcc, s[12:13], v[26:27]
	s_mov_b32 s26, 0
	v_mov_b32_e32 v51, s26
	v_cndmask_b32_e64 v50, 0, 1, vcc
.LBB1668_199:
	s_or_b64 exec, exec, s[24:25]
.LBB1668_200:
	s_or_b64 exec, exec, s[18:19]
	v_add_u32_e32 v22, 4, v1
	v_cmp_gt_u32_e32 vcc, s21, v22
	v_mov_b64_e32 v[52:53], v[10:11]
	s_and_saveexec_b64 s[18:19], vcc
	s_cbranch_execz .LBB1668_211
; %bb.201:
	s_and_b64 vcc, exec, s[2:3]
	s_cbranch_vccnz .LBB1668_208
; %bb.202:
	v_mul_lo_u32 v24, v11, s12
	v_mul_lo_u32 v25, v10, s13
	v_mad_u64_u32 v[22:23], s[24:25], v10, s12, 0
	v_add3_u32 v23, v23, v25, v24
	v_mul_lo_u32 v24, v9, s12
	v_mul_lo_u32 v25, v8, s13
	v_mad_u64_u32 v[26:27], s[24:25], v8, s12, 0
	v_add3_u32 v27, v27, v25, v24
	v_lshl_add_u64 v[24:25], v[22:23], 3, s[14:15]
	v_lshl_add_u64 v[22:23], v[26:27], 3, s[14:15]
	global_load_dwordx2 v[26:27], v[24:25], off
	global_load_dwordx2 v[28:29], v[22:23], off
	v_mov_b64_e32 v[52:53], 1
	s_waitcnt vmcnt(0)
	v_cmp_eq_u64_e32 vcc, v[26:27], v[28:29]
	s_and_saveexec_b64 s[24:25], vcc
	s_cbranch_execz .LBB1668_210
; %bb.203:
	s_add_u32 s26, s12, -1
	v_lshl_add_u64 v[22:23], v[22:23], 0, 8
	v_lshl_add_u64 v[24:25], v[24:25], 0, 8
	s_addc_u32 s27, s13, -1
	s_mov_b64 s[28:29], 0
	s_mov_b64 s[34:35], 0
                                        ; implicit-def: $sgpr30_sgpr31
	s_branch .LBB1668_206
.LBB1668_204:                           ;   in Loop: Header=BB1668_206 Depth=1
	global_load_dwordx2 v[26:27], v[24:25], off
	global_load_dwordx2 v[28:29], v[22:23], off
	s_add_u32 s34, s34, 1
	s_addc_u32 s35, s35, 0
	s_andn2_b64 s[30:31], s[30:31], exec
	v_lshl_add_u64 v[22:23], v[22:23], 0, 8
	v_lshl_add_u64 v[24:25], v[24:25], 0, 8
	s_waitcnt vmcnt(0)
	v_cmp_ne_u64_e32 vcc, v[26:27], v[28:29]
	s_and_b64 s[36:37], vcc, exec
	s_or_b64 s[30:31], s[30:31], s[36:37]
.LBB1668_205:                           ;   in Loop: Header=BB1668_206 Depth=1
	s_and_b64 s[36:37], exec, s[30:31]
	s_or_b64 s[28:29], s[36:37], s[28:29]
	v_mov_b64_e32 v[26:27], s[34:35]
	s_andn2_b64 exec, exec, s[28:29]
	s_cbranch_execz .LBB1668_209
.LBB1668_206:                           ; =>This Inner Loop Header: Depth=1
	s_or_b64 s[30:31], s[30:31], exec
	s_cmp_eq_u64 s[26:27], s[34:35]
	s_cbranch_scc0 .LBB1668_204
; %bb.207:                              ;   in Loop: Header=BB1668_206 Depth=1
                                        ; implicit-def: $vgpr22_vgpr23
                                        ; implicit-def: $vgpr24_vgpr25
	s_mov_b64 s[34:35], s[12:13]
	s_branch .LBB1668_205
.LBB1668_208:
	v_mov_b64_e32 v[52:53], 0
	s_branch .LBB1668_211
.LBB1668_209:
	s_or_b64 exec, exec, s[28:29]
	v_cmp_gt_i64_e32 vcc, s[12:13], v[26:27]
	s_mov_b32 s26, 0
	v_mov_b32_e32 v53, s26
	v_cndmask_b32_e64 v52, 0, 1, vcc
.LBB1668_210:
	s_or_b64 exec, exec, s[24:25]
.LBB1668_211:
	s_or_b64 exec, exec, s[18:19]
	v_add_u32_e32 v22, 3, v1
	v_cmp_gt_u32_e32 vcc, s21, v22
	v_mov_b64_e32 v[54:55], v[8:9]
	s_and_saveexec_b64 s[18:19], vcc
	s_cbranch_execz .LBB1668_222
; %bb.212:
	s_and_b64 vcc, exec, s[2:3]
	s_cbranch_vccnz .LBB1668_219
; %bb.213:
	v_mul_lo_u32 v24, v9, s12
	v_mul_lo_u32 v25, v8, s13
	v_mad_u64_u32 v[22:23], s[24:25], v8, s12, 0
	v_add3_u32 v23, v23, v25, v24
	v_mul_lo_u32 v24, v7, s12
	v_mul_lo_u32 v25, v6, s13
	v_mad_u64_u32 v[26:27], s[24:25], v6, s12, 0
	v_add3_u32 v27, v27, v25, v24
	v_lshl_add_u64 v[24:25], v[22:23], 3, s[14:15]
	v_lshl_add_u64 v[22:23], v[26:27], 3, s[14:15]
	global_load_dwordx2 v[26:27], v[24:25], off
	global_load_dwordx2 v[28:29], v[22:23], off
	v_mov_b64_e32 v[54:55], 1
	s_waitcnt vmcnt(0)
	v_cmp_eq_u64_e32 vcc, v[26:27], v[28:29]
	s_and_saveexec_b64 s[24:25], vcc
	s_cbranch_execz .LBB1668_221
; %bb.214:
	s_add_u32 s26, s12, -1
	v_lshl_add_u64 v[22:23], v[22:23], 0, 8
	v_lshl_add_u64 v[24:25], v[24:25], 0, 8
	s_addc_u32 s27, s13, -1
	s_mov_b64 s[28:29], 0
	s_mov_b64 s[34:35], 0
                                        ; implicit-def: $sgpr30_sgpr31
	s_branch .LBB1668_217
.LBB1668_215:                           ;   in Loop: Header=BB1668_217 Depth=1
	global_load_dwordx2 v[26:27], v[24:25], off
	global_load_dwordx2 v[28:29], v[22:23], off
	s_add_u32 s34, s34, 1
	s_addc_u32 s35, s35, 0
	s_andn2_b64 s[30:31], s[30:31], exec
	v_lshl_add_u64 v[22:23], v[22:23], 0, 8
	v_lshl_add_u64 v[24:25], v[24:25], 0, 8
	s_waitcnt vmcnt(0)
	v_cmp_ne_u64_e32 vcc, v[26:27], v[28:29]
	s_and_b64 s[36:37], vcc, exec
	s_or_b64 s[30:31], s[30:31], s[36:37]
.LBB1668_216:                           ;   in Loop: Header=BB1668_217 Depth=1
	s_and_b64 s[36:37], exec, s[30:31]
	s_or_b64 s[28:29], s[36:37], s[28:29]
	v_mov_b64_e32 v[26:27], s[34:35]
	s_andn2_b64 exec, exec, s[28:29]
	s_cbranch_execz .LBB1668_220
.LBB1668_217:                           ; =>This Inner Loop Header: Depth=1
	s_or_b64 s[30:31], s[30:31], exec
	s_cmp_eq_u64 s[26:27], s[34:35]
	s_cbranch_scc0 .LBB1668_215
; %bb.218:                              ;   in Loop: Header=BB1668_217 Depth=1
                                        ; implicit-def: $vgpr22_vgpr23
                                        ; implicit-def: $vgpr24_vgpr25
	s_mov_b64 s[34:35], s[12:13]
	s_branch .LBB1668_216
.LBB1668_219:
	v_mov_b64_e32 v[54:55], 0
	s_branch .LBB1668_222
.LBB1668_220:
	s_or_b64 exec, exec, s[28:29]
	v_cmp_gt_i64_e32 vcc, s[12:13], v[26:27]
	s_mov_b32 s26, 0
	v_mov_b32_e32 v55, s26
	v_cndmask_b32_e64 v54, 0, 1, vcc
.LBB1668_221:
	s_or_b64 exec, exec, s[24:25]
.LBB1668_222:
	s_or_b64 exec, exec, s[18:19]
	v_add_u32_e32 v22, 2, v1
	v_cmp_gt_u32_e32 vcc, s21, v22
	v_mov_b64_e32 v[56:57], v[6:7]
	s_and_saveexec_b64 s[18:19], vcc
	s_cbranch_execz .LBB1668_233
; %bb.223:
	s_and_b64 vcc, exec, s[2:3]
	s_cbranch_vccnz .LBB1668_230
; %bb.224:
	v_mul_lo_u32 v24, v7, s12
	v_mul_lo_u32 v25, v6, s13
	v_mad_u64_u32 v[22:23], s[24:25], v6, s12, 0
	v_add3_u32 v23, v23, v25, v24
	v_mul_lo_u32 v24, v5, s12
	v_mul_lo_u32 v25, v4, s13
	v_mad_u64_u32 v[26:27], s[24:25], v4, s12, 0
	v_add3_u32 v27, v27, v25, v24
	v_lshl_add_u64 v[24:25], v[22:23], 3, s[14:15]
	v_lshl_add_u64 v[22:23], v[26:27], 3, s[14:15]
	global_load_dwordx2 v[26:27], v[24:25], off
	global_load_dwordx2 v[28:29], v[22:23], off
	v_mov_b64_e32 v[56:57], 1
	s_waitcnt vmcnt(0)
	v_cmp_eq_u64_e32 vcc, v[26:27], v[28:29]
	s_and_saveexec_b64 s[24:25], vcc
	s_cbranch_execz .LBB1668_232
; %bb.225:
	s_add_u32 s26, s12, -1
	v_lshl_add_u64 v[22:23], v[22:23], 0, 8
	v_lshl_add_u64 v[24:25], v[24:25], 0, 8
	s_addc_u32 s27, s13, -1
	s_mov_b64 s[28:29], 0
	s_mov_b64 s[34:35], 0
                                        ; implicit-def: $sgpr30_sgpr31
	s_branch .LBB1668_228
.LBB1668_226:                           ;   in Loop: Header=BB1668_228 Depth=1
	global_load_dwordx2 v[26:27], v[24:25], off
	global_load_dwordx2 v[28:29], v[22:23], off
	s_add_u32 s34, s34, 1
	s_addc_u32 s35, s35, 0
	s_andn2_b64 s[30:31], s[30:31], exec
	v_lshl_add_u64 v[22:23], v[22:23], 0, 8
	v_lshl_add_u64 v[24:25], v[24:25], 0, 8
	s_waitcnt vmcnt(0)
	v_cmp_ne_u64_e32 vcc, v[26:27], v[28:29]
	s_and_b64 s[36:37], vcc, exec
	s_or_b64 s[30:31], s[30:31], s[36:37]
.LBB1668_227:                           ;   in Loop: Header=BB1668_228 Depth=1
	s_and_b64 s[36:37], exec, s[30:31]
	s_or_b64 s[28:29], s[36:37], s[28:29]
	v_mov_b64_e32 v[26:27], s[34:35]
	s_andn2_b64 exec, exec, s[28:29]
	s_cbranch_execz .LBB1668_231
.LBB1668_228:                           ; =>This Inner Loop Header: Depth=1
	s_or_b64 s[30:31], s[30:31], exec
	s_cmp_eq_u64 s[26:27], s[34:35]
	s_cbranch_scc0 .LBB1668_226
; %bb.229:                              ;   in Loop: Header=BB1668_228 Depth=1
                                        ; implicit-def: $vgpr22_vgpr23
                                        ; implicit-def: $vgpr24_vgpr25
	s_mov_b64 s[34:35], s[12:13]
	s_branch .LBB1668_227
.LBB1668_230:
	v_mov_b64_e32 v[56:57], 0
	s_branch .LBB1668_233
.LBB1668_231:
	s_or_b64 exec, exec, s[28:29]
	v_cmp_gt_i64_e32 vcc, s[12:13], v[26:27]
	s_mov_b32 s26, 0
	v_mov_b32_e32 v57, s26
	v_cndmask_b32_e64 v56, 0, 1, vcc
.LBB1668_232:
	s_or_b64 exec, exec, s[24:25]
.LBB1668_233:
	s_or_b64 exec, exec, s[18:19]
	v_add_u32_e32 v22, 1, v1
	v_cmp_gt_u32_e32 vcc, s21, v22
	v_mov_b64_e32 v[58:59], v[4:5]
	s_and_saveexec_b64 s[18:19], vcc
	s_cbranch_execz .LBB1668_244
; %bb.234:
	s_and_b64 vcc, exec, s[2:3]
	s_cbranch_vccnz .LBB1668_241
; %bb.235:
	v_mul_lo_u32 v24, v5, s12
	v_mul_lo_u32 v25, v4, s13
	v_mad_u64_u32 v[22:23], s[24:25], v4, s12, 0
	v_add3_u32 v23, v23, v25, v24
	v_mul_lo_u32 v24, v3, s12
	v_mul_lo_u32 v25, v2, s13
	v_mad_u64_u32 v[26:27], s[24:25], v2, s12, 0
	v_add3_u32 v27, v27, v25, v24
	v_lshl_add_u64 v[24:25], v[22:23], 3, s[14:15]
	v_lshl_add_u64 v[22:23], v[26:27], 3, s[14:15]
	global_load_dwordx2 v[26:27], v[24:25], off
	global_load_dwordx2 v[28:29], v[22:23], off
	v_mov_b64_e32 v[58:59], 1
	s_waitcnt vmcnt(0)
	v_cmp_eq_u64_e32 vcc, v[26:27], v[28:29]
	s_and_saveexec_b64 s[24:25], vcc
	s_cbranch_execz .LBB1668_243
; %bb.236:
	s_add_u32 s26, s12, -1
	v_lshl_add_u64 v[22:23], v[22:23], 0, 8
	v_lshl_add_u64 v[24:25], v[24:25], 0, 8
	s_addc_u32 s27, s13, -1
	s_mov_b64 s[28:29], 0
	s_mov_b64 s[34:35], 0
                                        ; implicit-def: $sgpr30_sgpr31
	s_branch .LBB1668_239
.LBB1668_237:                           ;   in Loop: Header=BB1668_239 Depth=1
	global_load_dwordx2 v[26:27], v[24:25], off
	global_load_dwordx2 v[28:29], v[22:23], off
	s_add_u32 s34, s34, 1
	s_addc_u32 s35, s35, 0
	s_andn2_b64 s[30:31], s[30:31], exec
	v_lshl_add_u64 v[22:23], v[22:23], 0, 8
	v_lshl_add_u64 v[24:25], v[24:25], 0, 8
	s_waitcnt vmcnt(0)
	v_cmp_ne_u64_e32 vcc, v[26:27], v[28:29]
	s_and_b64 s[36:37], vcc, exec
	s_or_b64 s[30:31], s[30:31], s[36:37]
.LBB1668_238:                           ;   in Loop: Header=BB1668_239 Depth=1
	s_and_b64 s[36:37], exec, s[30:31]
	s_or_b64 s[28:29], s[36:37], s[28:29]
	v_mov_b64_e32 v[26:27], s[34:35]
	s_andn2_b64 exec, exec, s[28:29]
	s_cbranch_execz .LBB1668_242
.LBB1668_239:                           ; =>This Inner Loop Header: Depth=1
	s_or_b64 s[30:31], s[30:31], exec
	s_cmp_eq_u64 s[26:27], s[34:35]
	s_cbranch_scc0 .LBB1668_237
; %bb.240:                              ;   in Loop: Header=BB1668_239 Depth=1
                                        ; implicit-def: $vgpr22_vgpr23
                                        ; implicit-def: $vgpr24_vgpr25
	s_mov_b64 s[34:35], s[12:13]
	s_branch .LBB1668_238
.LBB1668_241:
	v_mov_b64_e32 v[58:59], 0
	s_branch .LBB1668_244
.LBB1668_242:
	s_or_b64 exec, exec, s[28:29]
	v_cmp_gt_i64_e32 vcc, s[12:13], v[26:27]
	s_mov_b32 s26, 0
	v_mov_b32_e32 v59, s26
	v_cndmask_b32_e64 v58, 0, 1, vcc
.LBB1668_243:
	s_or_b64 exec, exec, s[24:25]
.LBB1668_244:
	s_or_b64 exec, exec, s[18:19]
	v_cmp_ne_u32_e32 vcc, 0, v0
	v_mov_b64_e32 v[22:23], s[16:17]
	s_waitcnt lgkmcnt(0)
	s_barrier
	s_and_saveexec_b64 s[16:17], vcc
	s_cbranch_execz .LBB1668_246
; %bb.245:
	v_add_u32_e32 v22, -8, v40
	ds_read_b64 v[22:23], v22
.LBB1668_246:
	s_or_b64 exec, exec, s[16:17]
	v_cmp_gt_u32_e32 vcc, s21, v1
                                        ; implicit-def: $sgpr18_sgpr19
	s_and_saveexec_b64 s[16:17], vcc
	s_cbranch_execz .LBB1668_258
; %bb.247:
	s_and_b64 vcc, exec, s[2:3]
	s_cbranch_vccnz .LBB1668_254
; %bb.248:
	v_mul_lo_u32 v1, v3, s12
	v_mul_lo_u32 v26, v2, s13
	v_mad_u64_u32 v[24:25], s[2:3], v2, s12, 0
	v_add3_u32 v25, v25, v26, v1
	s_waitcnt lgkmcnt(0)
	v_mul_lo_u32 v1, v23, s12
	v_mul_lo_u32 v26, v22, s13
	v_mad_u64_u32 v[22:23], s[2:3], v22, s12, 0
	v_add3_u32 v23, v23, v26, v1
	v_lshl_add_u64 v[24:25], v[24:25], 3, s[14:15]
	v_lshl_add_u64 v[22:23], v[22:23], 3, s[14:15]
	global_load_dwordx2 v[26:27], v[24:25], off
	global_load_dwordx2 v[28:29], v[22:23], off
	s_mov_b64 s[18:19], -1
	s_waitcnt vmcnt(0)
	v_cmp_eq_u64_e32 vcc, v[26:27], v[28:29]
	s_and_saveexec_b64 s[2:3], vcc
	s_cbranch_execz .LBB1668_256
; %bb.249:
	s_add_u32 s18, s12, -1
	v_lshl_add_u64 v[22:23], v[22:23], 0, 8
	v_lshl_add_u64 v[24:25], v[24:25], 0, 8
	s_addc_u32 s19, s13, -1
	s_mov_b64 s[24:25], 0
	s_mov_b64 s[28:29], 0
                                        ; implicit-def: $sgpr26_sgpr27
	s_branch .LBB1668_252
.LBB1668_250:                           ;   in Loop: Header=BB1668_252 Depth=1
	global_load_dwordx2 v[26:27], v[24:25], off
	global_load_dwordx2 v[28:29], v[22:23], off
	s_add_u32 s28, s28, 1
	s_addc_u32 s29, s29, 0
	s_andn2_b64 s[26:27], s[26:27], exec
	v_lshl_add_u64 v[22:23], v[22:23], 0, 8
	v_lshl_add_u64 v[24:25], v[24:25], 0, 8
	s_waitcnt vmcnt(0)
	v_cmp_ne_u64_e32 vcc, v[26:27], v[28:29]
	s_and_b64 s[30:31], vcc, exec
	s_or_b64 s[26:27], s[26:27], s[30:31]
.LBB1668_251:                           ;   in Loop: Header=BB1668_252 Depth=1
	s_and_b64 s[30:31], exec, s[26:27]
	s_or_b64 s[24:25], s[30:31], s[24:25]
	v_mov_b64_e32 v[26:27], s[28:29]
	s_andn2_b64 exec, exec, s[24:25]
	s_cbranch_execz .LBB1668_255
.LBB1668_252:                           ; =>This Inner Loop Header: Depth=1
	s_or_b64 s[26:27], s[26:27], exec
	s_cmp_eq_u64 s[18:19], s[28:29]
	s_cbranch_scc0 .LBB1668_250
; %bb.253:                              ;   in Loop: Header=BB1668_252 Depth=1
                                        ; implicit-def: $vgpr22_vgpr23
                                        ; implicit-def: $vgpr24_vgpr25
	s_mov_b64 s[28:29], s[12:13]
	s_branch .LBB1668_251
.LBB1668_254:
	s_mov_b64 s[18:19], 0
	s_branch .LBB1668_257
.LBB1668_255:
	s_or_b64 exec, exec, s[24:25]
	v_cmp_gt_i64_e32 vcc, s[12:13], v[26:27]
	s_orn2_b64 s[18:19], vcc, exec
.LBB1668_256:
	s_or_b64 exec, exec, s[2:3]
.LBB1668_257:
	s_and_b64 s[18:19], s[18:19], exec
	s_or_b64 s[22:23], s[22:23], exec
.LBB1668_258:
	s_or_b64 exec, exec, s[16:17]
	v_mov_b64_e32 v[60:61], v[44:45]
	s_waitcnt lgkmcnt(0)
	v_mov_b64_e32 v[22:23], v[38:39]
	v_mov_b64_e32 v[68:69], v[58:59]
	;; [unrolled: 1-line block ×8, first 2 shown]
	s_branch .LBB1668_488
.LBB1668_259:
	s_cmp_lg_u64 s[4:5], 1
	s_cbranch_scc0 .LBB1668_267
; %bb.260:
	v_mul_lo_u32 v1, v21, s12
	v_mul_lo_u32 v24, v20, s13
	s_waitcnt lgkmcnt(0)
	v_mad_u64_u32 v[22:23], s[16:17], v20, s12, 0
	v_mov_b64_e32 v[38:39], 0
	v_cmp_lt_i64_e64 s[2:3], s[12:13], 1
	v_add3_u32 v23, v23, v24, v1
	v_cmp_gt_i64_e64 s[4:5], s[12:13], 0
	s_and_b64 vcc, exec, s[2:3]
	v_lshl_add_u64 v[22:23], v[22:23], 3, s[14:15]
	v_mov_b64_e32 v[42:43], v[38:39]
	ds_write_b64 v40, v[36:37]
	s_cbranch_vccnz .LBB1668_270
; %bb.261:
	v_mul_lo_u32 v1, v37, s12
	v_mul_lo_u32 v26, v36, s13
	v_mad_u64_u32 v[24:25], s[2:3], v36, s12, 0
	v_add3_u32 v25, v25, v26, v1
	v_lshl_add_u64 v[26:27], v[24:25], 3, s[14:15]
	global_load_dwordx2 v[24:25], v[26:27], off
	global_load_dwordx2 v[28:29], v[22:23], off
	v_mov_b64_e32 v[42:43], 1
	s_waitcnt vmcnt(0)
	v_cmp_eq_u64_e32 vcc, v[24:25], v[28:29]
	s_and_saveexec_b64 s[2:3], vcc
	s_cbranch_execz .LBB1668_269
; %bb.262:
	s_add_u32 s16, s12, -1
	v_lshl_add_u64 v[24:25], v[22:23], 0, 8
	v_lshl_add_u64 v[26:27], v[26:27], 0, 8
	s_addc_u32 s17, s13, -1
	s_mov_b64 s[18:19], 0
	s_mov_b64 s[26:27], 0
                                        ; implicit-def: $sgpr24_sgpr25
	s_branch .LBB1668_265
.LBB1668_263:                           ;   in Loop: Header=BB1668_265 Depth=1
	global_load_dwordx2 v[28:29], v[26:27], off
	global_load_dwordx2 v[30:31], v[24:25], off
	s_add_u32 s26, s26, 1
	s_addc_u32 s27, s27, 0
	s_andn2_b64 s[24:25], s[24:25], exec
	v_lshl_add_u64 v[24:25], v[24:25], 0, 8
	v_lshl_add_u64 v[26:27], v[26:27], 0, 8
	s_waitcnt vmcnt(0)
	v_cmp_ne_u64_e32 vcc, v[28:29], v[30:31]
	s_and_b64 s[28:29], vcc, exec
	s_or_b64 s[24:25], s[24:25], s[28:29]
.LBB1668_264:                           ;   in Loop: Header=BB1668_265 Depth=1
	s_and_b64 s[28:29], exec, s[24:25]
	s_or_b64 s[18:19], s[28:29], s[18:19]
	v_mov_b64_e32 v[28:29], s[26:27]
	s_andn2_b64 exec, exec, s[18:19]
	s_cbranch_execz .LBB1668_268
.LBB1668_265:                           ; =>This Inner Loop Header: Depth=1
	s_or_b64 s[24:25], s[24:25], exec
	s_cmp_eq_u64 s[16:17], s[26:27]
	s_cbranch_scc0 .LBB1668_263
; %bb.266:                              ;   in Loop: Header=BB1668_265 Depth=1
                                        ; implicit-def: $vgpr24_vgpr25
                                        ; implicit-def: $vgpr26_vgpr27
	s_mov_b64 s[26:27], s[12:13]
	s_branch .LBB1668_264
.LBB1668_267:
                                        ; implicit-def: $vgpr22_vgpr23_vgpr24_vgpr25
                                        ; implicit-def: $sgpr18_sgpr19
                                        ; implicit-def: $vgpr42_vgpr43
                                        ; implicit-def: $vgpr44_vgpr45
                                        ; implicit-def: $vgpr38_vgpr39
                                        ; implicit-def: $vgpr58_vgpr59
                                        ; implicit-def: $vgpr56_vgpr57
                                        ; implicit-def: $vgpr54_vgpr55
                                        ; implicit-def: $vgpr52_vgpr53
                                        ; implicit-def: $vgpr50_vgpr51
                                        ; implicit-def: $vgpr48_vgpr49
                                        ; implicit-def: $vgpr46_vgpr47
                                        ; implicit-def: $vgpr60_vgpr61
                                        ; implicit-def: $vgpr68_vgpr69
                                        ; implicit-def: $vgpr62_vgpr63
                                        ; implicit-def: $vgpr64_vgpr65
                                        ; implicit-def: $vgpr66_vgpr67
                                        ; implicit-def: $vgpr24_vgpr25_vgpr26_vgpr27
                                        ; implicit-def: $vgpr28_vgpr29_vgpr30_vgpr31
                                        ; implicit-def: $vgpr32_vgpr33_vgpr34_vgpr35
	s_cbranch_execnz .LBB1668_365
	s_branch .LBB1668_488
.LBB1668_268:
	s_or_b64 exec, exec, s[18:19]
	v_cmp_gt_i64_e32 vcc, s[12:13], v[28:29]
	s_mov_b32 s16, 0
	v_mov_b32_e32 v43, s16
	v_cndmask_b32_e64 v42, 0, 1, vcc
.LBB1668_269:
	s_or_b64 exec, exec, s[2:3]
.LBB1668_270:
	v_mul_lo_u32 v1, v19, s12
	v_mul_lo_u32 v26, v18, s13
	v_mad_u64_u32 v[24:25], s[2:3], v18, s12, 0
	v_add3_u32 v25, v25, v26, v1
	v_cndmask_b32_e64 v1, 0, 1, s[4:5]
	v_cmp_ne_u32_e64 s[2:3], 1, v1
	s_andn2_b64 vcc, exec, s[4:5]
	v_lshl_add_u64 v[24:25], v[24:25], 3, s[14:15]
	v_mov_b64_e32 v[44:45], v[38:39]
	s_cbranch_vccnz .LBB1668_279
; %bb.271:
	global_load_dwordx2 v[26:27], v[22:23], off
	global_load_dwordx2 v[28:29], v[24:25], off
	v_mov_b64_e32 v[44:45], 1
	s_waitcnt vmcnt(0)
	v_cmp_eq_u64_e32 vcc, v[26:27], v[28:29]
	s_and_saveexec_b64 s[4:5], vcc
	s_cbranch_execz .LBB1668_278
; %bb.272:
	s_add_u32 s16, s12, -1
	v_lshl_add_u64 v[26:27], v[24:25], 0, 8
	v_lshl_add_u64 v[22:23], v[22:23], 0, 8
	s_addc_u32 s17, s13, -1
	s_mov_b64 s[18:19], 0
	s_mov_b64 s[26:27], 0
                                        ; implicit-def: $sgpr24_sgpr25
	s_branch .LBB1668_275
.LBB1668_273:                           ;   in Loop: Header=BB1668_275 Depth=1
	global_load_dwordx2 v[28:29], v[22:23], off
	global_load_dwordx2 v[30:31], v[26:27], off
	s_add_u32 s26, s26, 1
	s_addc_u32 s27, s27, 0
	s_andn2_b64 s[24:25], s[24:25], exec
	v_lshl_add_u64 v[26:27], v[26:27], 0, 8
	v_lshl_add_u64 v[22:23], v[22:23], 0, 8
	s_waitcnt vmcnt(0)
	v_cmp_ne_u64_e32 vcc, v[28:29], v[30:31]
	s_and_b64 s[28:29], vcc, exec
	s_or_b64 s[24:25], s[24:25], s[28:29]
.LBB1668_274:                           ;   in Loop: Header=BB1668_275 Depth=1
	s_and_b64 s[28:29], exec, s[24:25]
	s_or_b64 s[18:19], s[28:29], s[18:19]
	v_mov_b64_e32 v[28:29], s[26:27]
	s_andn2_b64 exec, exec, s[18:19]
	s_cbranch_execz .LBB1668_277
.LBB1668_275:                           ; =>This Inner Loop Header: Depth=1
	s_or_b64 s[24:25], s[24:25], exec
	s_cmp_eq_u64 s[16:17], s[26:27]
	s_cbranch_scc0 .LBB1668_273
; %bb.276:                              ;   in Loop: Header=BB1668_275 Depth=1
                                        ; implicit-def: $vgpr26_vgpr27
                                        ; implicit-def: $vgpr22_vgpr23
	s_mov_b64 s[26:27], s[12:13]
	s_branch .LBB1668_274
.LBB1668_277:
	s_or_b64 exec, exec, s[18:19]
	v_cmp_gt_i64_e32 vcc, s[12:13], v[28:29]
	s_mov_b32 s16, 0
	v_mov_b32_e32 v45, s16
	v_cndmask_b32_e64 v44, 0, 1, vcc
.LBB1668_278:
	s_or_b64 exec, exec, s[4:5]
.LBB1668_279:
	v_mul_lo_u32 v1, v17, s12
	v_mul_lo_u32 v26, v16, s13
	v_mad_u64_u32 v[22:23], s[4:5], v16, s12, 0
	v_add3_u32 v23, v23, v26, v1
	s_and_b64 vcc, exec, s[2:3]
	v_lshl_add_u64 v[22:23], v[22:23], 3, s[14:15]
	s_cbranch_vccnz .LBB1668_288
; %bb.280:
	global_load_dwordx2 v[26:27], v[24:25], off
	global_load_dwordx2 v[28:29], v[22:23], off
	v_mov_b64_e32 v[38:39], 1
	s_waitcnt vmcnt(0)
	v_cmp_eq_u64_e32 vcc, v[26:27], v[28:29]
	s_and_saveexec_b64 s[4:5], vcc
	s_cbranch_execz .LBB1668_287
; %bb.281:
	s_add_u32 s16, s12, -1
	v_lshl_add_u64 v[26:27], v[22:23], 0, 8
	v_lshl_add_u64 v[24:25], v[24:25], 0, 8
	s_addc_u32 s17, s13, -1
	s_mov_b64 s[18:19], 0
	s_mov_b64 s[26:27], 0
                                        ; implicit-def: $sgpr24_sgpr25
	s_branch .LBB1668_284
.LBB1668_282:                           ;   in Loop: Header=BB1668_284 Depth=1
	global_load_dwordx2 v[28:29], v[24:25], off
	global_load_dwordx2 v[30:31], v[26:27], off
	s_add_u32 s26, s26, 1
	s_addc_u32 s27, s27, 0
	s_andn2_b64 s[24:25], s[24:25], exec
	v_lshl_add_u64 v[26:27], v[26:27], 0, 8
	v_lshl_add_u64 v[24:25], v[24:25], 0, 8
	s_waitcnt vmcnt(0)
	v_cmp_ne_u64_e32 vcc, v[28:29], v[30:31]
	s_and_b64 s[28:29], vcc, exec
	s_or_b64 s[24:25], s[24:25], s[28:29]
.LBB1668_283:                           ;   in Loop: Header=BB1668_284 Depth=1
	s_and_b64 s[28:29], exec, s[24:25]
	s_or_b64 s[18:19], s[28:29], s[18:19]
	v_mov_b64_e32 v[28:29], s[26:27]
	s_andn2_b64 exec, exec, s[18:19]
	s_cbranch_execz .LBB1668_286
.LBB1668_284:                           ; =>This Inner Loop Header: Depth=1
	s_or_b64 s[24:25], s[24:25], exec
	s_cmp_eq_u64 s[16:17], s[26:27]
	s_cbranch_scc0 .LBB1668_282
; %bb.285:                              ;   in Loop: Header=BB1668_284 Depth=1
                                        ; implicit-def: $vgpr26_vgpr27
                                        ; implicit-def: $vgpr24_vgpr25
	s_mov_b64 s[26:27], s[12:13]
	s_branch .LBB1668_283
.LBB1668_286:
	s_or_b64 exec, exec, s[18:19]
	v_cmp_gt_i64_e32 vcc, s[12:13], v[28:29]
	s_mov_b32 s16, 0
	v_mov_b32_e32 v39, s16
	v_cndmask_b32_e64 v38, 0, 1, vcc
.LBB1668_287:
	s_or_b64 exec, exec, s[4:5]
.LBB1668_288:
	v_mul_lo_u32 v1, v15, s12
	v_mul_lo_u32 v26, v14, s13
	v_mad_u64_u32 v[24:25], s[4:5], v14, s12, 0
	v_add3_u32 v25, v25, v26, v1
	v_mov_b64_e32 v[48:49], 0
	s_and_b64 vcc, exec, s[2:3]
	v_lshl_add_u64 v[24:25], v[24:25], 3, s[14:15]
	v_mov_b64_e32 v[46:47], v[48:49]
	s_cbranch_vccnz .LBB1668_297
; %bb.289:
	global_load_dwordx2 v[26:27], v[22:23], off
	global_load_dwordx2 v[28:29], v[24:25], off
	v_mov_b64_e32 v[46:47], 1
	s_waitcnt vmcnt(0)
	v_cmp_eq_u64_e32 vcc, v[26:27], v[28:29]
	s_and_saveexec_b64 s[4:5], vcc
	s_cbranch_execz .LBB1668_296
; %bb.290:
	s_add_u32 s16, s12, -1
	v_lshl_add_u64 v[26:27], v[24:25], 0, 8
	v_lshl_add_u64 v[22:23], v[22:23], 0, 8
	s_addc_u32 s17, s13, -1
	s_mov_b64 s[18:19], 0
	s_mov_b64 s[26:27], 0
                                        ; implicit-def: $sgpr24_sgpr25
	s_branch .LBB1668_293
.LBB1668_291:                           ;   in Loop: Header=BB1668_293 Depth=1
	global_load_dwordx2 v[28:29], v[22:23], off
	global_load_dwordx2 v[30:31], v[26:27], off
	s_add_u32 s26, s26, 1
	s_addc_u32 s27, s27, 0
	s_andn2_b64 s[24:25], s[24:25], exec
	v_lshl_add_u64 v[26:27], v[26:27], 0, 8
	v_lshl_add_u64 v[22:23], v[22:23], 0, 8
	s_waitcnt vmcnt(0)
	v_cmp_ne_u64_e32 vcc, v[28:29], v[30:31]
	s_and_b64 s[28:29], vcc, exec
	s_or_b64 s[24:25], s[24:25], s[28:29]
.LBB1668_292:                           ;   in Loop: Header=BB1668_293 Depth=1
	s_and_b64 s[28:29], exec, s[24:25]
	s_or_b64 s[18:19], s[28:29], s[18:19]
	v_mov_b64_e32 v[28:29], s[26:27]
	s_andn2_b64 exec, exec, s[18:19]
	s_cbranch_execz .LBB1668_295
.LBB1668_293:                           ; =>This Inner Loop Header: Depth=1
	s_or_b64 s[24:25], s[24:25], exec
	s_cmp_eq_u64 s[16:17], s[26:27]
	s_cbranch_scc0 .LBB1668_291
; %bb.294:                              ;   in Loop: Header=BB1668_293 Depth=1
                                        ; implicit-def: $vgpr26_vgpr27
                                        ; implicit-def: $vgpr22_vgpr23
	s_mov_b64 s[26:27], s[12:13]
	s_branch .LBB1668_292
.LBB1668_295:
	s_or_b64 exec, exec, s[18:19]
	v_cmp_gt_i64_e32 vcc, s[12:13], v[28:29]
	s_mov_b32 s16, 0
	v_mov_b32_e32 v47, s16
	v_cndmask_b32_e64 v46, 0, 1, vcc
.LBB1668_296:
	s_or_b64 exec, exec, s[4:5]
.LBB1668_297:
	v_mul_lo_u32 v1, v13, s12
	v_mul_lo_u32 v26, v12, s13
	v_mad_u64_u32 v[22:23], s[4:5], v12, s12, 0
	v_add3_u32 v23, v23, v26, v1
	s_and_b64 vcc, exec, s[2:3]
	v_lshl_add_u64 v[22:23], v[22:23], 3, s[14:15]
	s_cbranch_vccnz .LBB1668_306
; %bb.298:
	global_load_dwordx2 v[26:27], v[24:25], off
	global_load_dwordx2 v[28:29], v[22:23], off
	v_mov_b64_e32 v[48:49], 1
	s_waitcnt vmcnt(0)
	v_cmp_eq_u64_e32 vcc, v[26:27], v[28:29]
	s_and_saveexec_b64 s[4:5], vcc
	s_cbranch_execz .LBB1668_305
; %bb.299:
	s_add_u32 s16, s12, -1
	v_lshl_add_u64 v[26:27], v[22:23], 0, 8
	v_lshl_add_u64 v[24:25], v[24:25], 0, 8
	s_addc_u32 s17, s13, -1
	s_mov_b64 s[18:19], 0
	s_mov_b64 s[26:27], 0
                                        ; implicit-def: $sgpr24_sgpr25
	s_branch .LBB1668_302
.LBB1668_300:                           ;   in Loop: Header=BB1668_302 Depth=1
	global_load_dwordx2 v[28:29], v[24:25], off
	global_load_dwordx2 v[30:31], v[26:27], off
	s_add_u32 s26, s26, 1
	s_addc_u32 s27, s27, 0
	s_andn2_b64 s[24:25], s[24:25], exec
	v_lshl_add_u64 v[26:27], v[26:27], 0, 8
	v_lshl_add_u64 v[24:25], v[24:25], 0, 8
	s_waitcnt vmcnt(0)
	v_cmp_ne_u64_e32 vcc, v[28:29], v[30:31]
	s_and_b64 s[28:29], vcc, exec
	s_or_b64 s[24:25], s[24:25], s[28:29]
.LBB1668_301:                           ;   in Loop: Header=BB1668_302 Depth=1
	s_and_b64 s[28:29], exec, s[24:25]
	s_or_b64 s[18:19], s[28:29], s[18:19]
	v_mov_b64_e32 v[28:29], s[26:27]
	s_andn2_b64 exec, exec, s[18:19]
	s_cbranch_execz .LBB1668_304
.LBB1668_302:                           ; =>This Inner Loop Header: Depth=1
	s_or_b64 s[24:25], s[24:25], exec
	s_cmp_eq_u64 s[16:17], s[26:27]
	s_cbranch_scc0 .LBB1668_300
; %bb.303:                              ;   in Loop: Header=BB1668_302 Depth=1
                                        ; implicit-def: $vgpr26_vgpr27
                                        ; implicit-def: $vgpr24_vgpr25
	s_mov_b64 s[26:27], s[12:13]
	s_branch .LBB1668_301
.LBB1668_304:
	s_or_b64 exec, exec, s[18:19]
	v_cmp_gt_i64_e32 vcc, s[12:13], v[28:29]
	s_mov_b32 s16, 0
	v_mov_b32_e32 v49, s16
	v_cndmask_b32_e64 v48, 0, 1, vcc
.LBB1668_305:
	s_or_b64 exec, exec, s[4:5]
.LBB1668_306:
	v_mul_lo_u32 v1, v11, s12
	v_mul_lo_u32 v26, v10, s13
	v_mad_u64_u32 v[24:25], s[4:5], v10, s12, 0
	v_add3_u32 v25, v25, v26, v1
	v_mov_b64_e32 v[52:53], 0
	s_and_b64 vcc, exec, s[2:3]
	v_lshl_add_u64 v[24:25], v[24:25], 3, s[14:15]
	v_mov_b64_e32 v[50:51], v[52:53]
	s_cbranch_vccnz .LBB1668_315
; %bb.307:
	global_load_dwordx2 v[26:27], v[22:23], off
	global_load_dwordx2 v[28:29], v[24:25], off
	v_mov_b64_e32 v[50:51], 1
	s_waitcnt vmcnt(0)
	v_cmp_eq_u64_e32 vcc, v[26:27], v[28:29]
	s_and_saveexec_b64 s[4:5], vcc
	s_cbranch_execz .LBB1668_314
; %bb.308:
	s_add_u32 s16, s12, -1
	v_lshl_add_u64 v[26:27], v[24:25], 0, 8
	v_lshl_add_u64 v[22:23], v[22:23], 0, 8
	s_addc_u32 s17, s13, -1
	s_mov_b64 s[18:19], 0
	s_mov_b64 s[26:27], 0
                                        ; implicit-def: $sgpr24_sgpr25
	s_branch .LBB1668_311
.LBB1668_309:                           ;   in Loop: Header=BB1668_311 Depth=1
	global_load_dwordx2 v[28:29], v[22:23], off
	global_load_dwordx2 v[30:31], v[26:27], off
	s_add_u32 s26, s26, 1
	s_addc_u32 s27, s27, 0
	s_andn2_b64 s[24:25], s[24:25], exec
	v_lshl_add_u64 v[26:27], v[26:27], 0, 8
	v_lshl_add_u64 v[22:23], v[22:23], 0, 8
	s_waitcnt vmcnt(0)
	v_cmp_ne_u64_e32 vcc, v[28:29], v[30:31]
	s_and_b64 s[28:29], vcc, exec
	s_or_b64 s[24:25], s[24:25], s[28:29]
.LBB1668_310:                           ;   in Loop: Header=BB1668_311 Depth=1
	s_and_b64 s[28:29], exec, s[24:25]
	s_or_b64 s[18:19], s[28:29], s[18:19]
	v_mov_b64_e32 v[28:29], s[26:27]
	s_andn2_b64 exec, exec, s[18:19]
	s_cbranch_execz .LBB1668_313
.LBB1668_311:                           ; =>This Inner Loop Header: Depth=1
	s_or_b64 s[24:25], s[24:25], exec
	s_cmp_eq_u64 s[16:17], s[26:27]
	s_cbranch_scc0 .LBB1668_309
; %bb.312:                              ;   in Loop: Header=BB1668_311 Depth=1
                                        ; implicit-def: $vgpr26_vgpr27
                                        ; implicit-def: $vgpr22_vgpr23
	s_mov_b64 s[26:27], s[12:13]
	s_branch .LBB1668_310
.LBB1668_313:
	s_or_b64 exec, exec, s[18:19]
	v_cmp_gt_i64_e32 vcc, s[12:13], v[28:29]
	s_mov_b32 s16, 0
	v_mov_b32_e32 v51, s16
	v_cndmask_b32_e64 v50, 0, 1, vcc
.LBB1668_314:
	s_or_b64 exec, exec, s[4:5]
.LBB1668_315:
	v_mul_lo_u32 v1, v9, s12
	v_mul_lo_u32 v26, v8, s13
	v_mad_u64_u32 v[22:23], s[4:5], v8, s12, 0
	v_add3_u32 v23, v23, v26, v1
	s_and_b64 vcc, exec, s[2:3]
	v_lshl_add_u64 v[22:23], v[22:23], 3, s[14:15]
	s_cbranch_vccnz .LBB1668_324
; %bb.316:
	global_load_dwordx2 v[26:27], v[24:25], off
	global_load_dwordx2 v[28:29], v[22:23], off
	v_mov_b64_e32 v[52:53], 1
	s_waitcnt vmcnt(0)
	v_cmp_eq_u64_e32 vcc, v[26:27], v[28:29]
	s_and_saveexec_b64 s[4:5], vcc
	s_cbranch_execz .LBB1668_323
; %bb.317:
	s_add_u32 s16, s12, -1
	v_lshl_add_u64 v[26:27], v[22:23], 0, 8
	v_lshl_add_u64 v[24:25], v[24:25], 0, 8
	s_addc_u32 s17, s13, -1
	s_mov_b64 s[18:19], 0
	s_mov_b64 s[26:27], 0
                                        ; implicit-def: $sgpr24_sgpr25
	s_branch .LBB1668_320
.LBB1668_318:                           ;   in Loop: Header=BB1668_320 Depth=1
	global_load_dwordx2 v[28:29], v[24:25], off
	global_load_dwordx2 v[30:31], v[26:27], off
	s_add_u32 s26, s26, 1
	s_addc_u32 s27, s27, 0
	s_andn2_b64 s[24:25], s[24:25], exec
	v_lshl_add_u64 v[26:27], v[26:27], 0, 8
	v_lshl_add_u64 v[24:25], v[24:25], 0, 8
	s_waitcnt vmcnt(0)
	v_cmp_ne_u64_e32 vcc, v[28:29], v[30:31]
	s_and_b64 s[28:29], vcc, exec
	s_or_b64 s[24:25], s[24:25], s[28:29]
.LBB1668_319:                           ;   in Loop: Header=BB1668_320 Depth=1
	s_and_b64 s[28:29], exec, s[24:25]
	s_or_b64 s[18:19], s[28:29], s[18:19]
	v_mov_b64_e32 v[28:29], s[26:27]
	s_andn2_b64 exec, exec, s[18:19]
	s_cbranch_execz .LBB1668_322
.LBB1668_320:                           ; =>This Inner Loop Header: Depth=1
	s_or_b64 s[24:25], s[24:25], exec
	s_cmp_eq_u64 s[16:17], s[26:27]
	s_cbranch_scc0 .LBB1668_318
; %bb.321:                              ;   in Loop: Header=BB1668_320 Depth=1
                                        ; implicit-def: $vgpr26_vgpr27
                                        ; implicit-def: $vgpr24_vgpr25
	s_mov_b64 s[26:27], s[12:13]
	s_branch .LBB1668_319
.LBB1668_322:
	s_or_b64 exec, exec, s[18:19]
	v_cmp_gt_i64_e32 vcc, s[12:13], v[28:29]
	s_mov_b32 s16, 0
	v_mov_b32_e32 v53, s16
	v_cndmask_b32_e64 v52, 0, 1, vcc
.LBB1668_323:
	s_or_b64 exec, exec, s[4:5]
.LBB1668_324:
	v_mul_lo_u32 v1, v7, s12
	v_mul_lo_u32 v26, v6, s13
	v_mad_u64_u32 v[24:25], s[4:5], v6, s12, 0
	v_add3_u32 v25, v25, v26, v1
	v_mov_b64_e32 v[56:57], 0
	s_and_b64 vcc, exec, s[2:3]
	v_lshl_add_u64 v[24:25], v[24:25], 3, s[14:15]
	v_mov_b64_e32 v[54:55], v[56:57]
	s_cbranch_vccnz .LBB1668_333
; %bb.325:
	global_load_dwordx2 v[26:27], v[22:23], off
	global_load_dwordx2 v[28:29], v[24:25], off
	v_mov_b64_e32 v[54:55], 1
	s_waitcnt vmcnt(0)
	v_cmp_eq_u64_e32 vcc, v[26:27], v[28:29]
	s_and_saveexec_b64 s[4:5], vcc
	s_cbranch_execz .LBB1668_332
; %bb.326:
	s_add_u32 s16, s12, -1
	v_lshl_add_u64 v[26:27], v[24:25], 0, 8
	v_lshl_add_u64 v[22:23], v[22:23], 0, 8
	s_addc_u32 s17, s13, -1
	s_mov_b64 s[18:19], 0
	s_mov_b64 s[26:27], 0
                                        ; implicit-def: $sgpr24_sgpr25
	s_branch .LBB1668_329
.LBB1668_327:                           ;   in Loop: Header=BB1668_329 Depth=1
	global_load_dwordx2 v[28:29], v[22:23], off
	global_load_dwordx2 v[30:31], v[26:27], off
	s_add_u32 s26, s26, 1
	s_addc_u32 s27, s27, 0
	s_andn2_b64 s[24:25], s[24:25], exec
	v_lshl_add_u64 v[26:27], v[26:27], 0, 8
	v_lshl_add_u64 v[22:23], v[22:23], 0, 8
	s_waitcnt vmcnt(0)
	v_cmp_ne_u64_e32 vcc, v[28:29], v[30:31]
	s_and_b64 s[28:29], vcc, exec
	s_or_b64 s[24:25], s[24:25], s[28:29]
.LBB1668_328:                           ;   in Loop: Header=BB1668_329 Depth=1
	s_and_b64 s[28:29], exec, s[24:25]
	s_or_b64 s[18:19], s[28:29], s[18:19]
	v_mov_b64_e32 v[28:29], s[26:27]
	s_andn2_b64 exec, exec, s[18:19]
	s_cbranch_execz .LBB1668_331
.LBB1668_329:                           ; =>This Inner Loop Header: Depth=1
	s_or_b64 s[24:25], s[24:25], exec
	s_cmp_eq_u64 s[16:17], s[26:27]
	s_cbranch_scc0 .LBB1668_327
; %bb.330:                              ;   in Loop: Header=BB1668_329 Depth=1
                                        ; implicit-def: $vgpr26_vgpr27
                                        ; implicit-def: $vgpr22_vgpr23
	s_mov_b64 s[26:27], s[12:13]
	s_branch .LBB1668_328
.LBB1668_331:
	s_or_b64 exec, exec, s[18:19]
	v_cmp_gt_i64_e32 vcc, s[12:13], v[28:29]
	s_mov_b32 s16, 0
	v_mov_b32_e32 v55, s16
	v_cndmask_b32_e64 v54, 0, 1, vcc
.LBB1668_332:
	s_or_b64 exec, exec, s[4:5]
.LBB1668_333:
	v_mul_lo_u32 v1, v5, s12
	v_mul_lo_u32 v26, v4, s13
	v_mad_u64_u32 v[22:23], s[4:5], v4, s12, 0
	v_add3_u32 v23, v23, v26, v1
	s_and_b64 vcc, exec, s[2:3]
	v_lshl_add_u64 v[22:23], v[22:23], 3, s[14:15]
	s_cbranch_vccnz .LBB1668_342
; %bb.334:
	global_load_dwordx2 v[26:27], v[24:25], off
	global_load_dwordx2 v[28:29], v[22:23], off
	v_mov_b64_e32 v[56:57], 1
	s_waitcnt vmcnt(0)
	v_cmp_eq_u64_e32 vcc, v[26:27], v[28:29]
	s_and_saveexec_b64 s[4:5], vcc
	s_cbranch_execz .LBB1668_341
; %bb.335:
	s_add_u32 s16, s12, -1
	v_lshl_add_u64 v[26:27], v[22:23], 0, 8
	v_lshl_add_u64 v[24:25], v[24:25], 0, 8
	s_addc_u32 s17, s13, -1
	s_mov_b64 s[18:19], 0
	s_mov_b64 s[26:27], 0
                                        ; implicit-def: $sgpr24_sgpr25
	s_branch .LBB1668_338
.LBB1668_336:                           ;   in Loop: Header=BB1668_338 Depth=1
	global_load_dwordx2 v[28:29], v[24:25], off
	global_load_dwordx2 v[30:31], v[26:27], off
	s_add_u32 s26, s26, 1
	s_addc_u32 s27, s27, 0
	s_andn2_b64 s[24:25], s[24:25], exec
	v_lshl_add_u64 v[26:27], v[26:27], 0, 8
	v_lshl_add_u64 v[24:25], v[24:25], 0, 8
	s_waitcnt vmcnt(0)
	v_cmp_ne_u64_e32 vcc, v[28:29], v[30:31]
	s_and_b64 s[28:29], vcc, exec
	s_or_b64 s[24:25], s[24:25], s[28:29]
.LBB1668_337:                           ;   in Loop: Header=BB1668_338 Depth=1
	s_and_b64 s[28:29], exec, s[24:25]
	s_or_b64 s[18:19], s[28:29], s[18:19]
	v_mov_b64_e32 v[28:29], s[26:27]
	s_andn2_b64 exec, exec, s[18:19]
	s_cbranch_execz .LBB1668_340
.LBB1668_338:                           ; =>This Inner Loop Header: Depth=1
	s_or_b64 s[24:25], s[24:25], exec
	s_cmp_eq_u64 s[16:17], s[26:27]
	s_cbranch_scc0 .LBB1668_336
; %bb.339:                              ;   in Loop: Header=BB1668_338 Depth=1
                                        ; implicit-def: $vgpr26_vgpr27
                                        ; implicit-def: $vgpr24_vgpr25
	s_mov_b64 s[26:27], s[12:13]
	s_branch .LBB1668_337
.LBB1668_340:
	s_or_b64 exec, exec, s[18:19]
	v_cmp_gt_i64_e32 vcc, s[12:13], v[28:29]
	s_mov_b32 s16, 0
	v_mov_b32_e32 v57, s16
	v_cndmask_b32_e64 v56, 0, 1, vcc
.LBB1668_341:
	s_or_b64 exec, exec, s[4:5]
.LBB1668_342:
	s_and_b64 vcc, exec, s[2:3]
	s_cbranch_vccnz .LBB1668_349
; %bb.343:
	v_mul_lo_u32 v1, v3, s12
	v_mul_lo_u32 v26, v2, s13
	v_mad_u64_u32 v[24:25], s[4:5], v2, s12, 0
	v_add3_u32 v25, v25, v26, v1
	v_lshl_add_u64 v[24:25], v[24:25], 3, s[14:15]
	global_load_dwordx2 v[26:27], v[22:23], off
	global_load_dwordx2 v[28:29], v[24:25], off
	v_mov_b64_e32 v[58:59], 1
	s_waitcnt vmcnt(0)
	v_cmp_eq_u64_e32 vcc, v[26:27], v[28:29]
	s_and_saveexec_b64 s[4:5], vcc
	s_cbranch_execz .LBB1668_351
; %bb.344:
	s_add_u32 s16, s12, -1
	v_lshl_add_u64 v[24:25], v[24:25], 0, 8
	v_lshl_add_u64 v[22:23], v[22:23], 0, 8
	s_addc_u32 s17, s13, -1
	s_mov_b64 s[18:19], 0
	s_mov_b64 s[26:27], 0
                                        ; implicit-def: $sgpr24_sgpr25
	s_branch .LBB1668_347
.LBB1668_345:                           ;   in Loop: Header=BB1668_347 Depth=1
	global_load_dwordx2 v[26:27], v[22:23], off
	global_load_dwordx2 v[28:29], v[24:25], off
	s_add_u32 s26, s26, 1
	s_addc_u32 s27, s27, 0
	s_andn2_b64 s[24:25], s[24:25], exec
	v_lshl_add_u64 v[24:25], v[24:25], 0, 8
	v_lshl_add_u64 v[22:23], v[22:23], 0, 8
	s_waitcnt vmcnt(0)
	v_cmp_ne_u64_e32 vcc, v[26:27], v[28:29]
	s_and_b64 s[28:29], vcc, exec
	s_or_b64 s[24:25], s[24:25], s[28:29]
.LBB1668_346:                           ;   in Loop: Header=BB1668_347 Depth=1
	s_and_b64 s[28:29], exec, s[24:25]
	s_or_b64 s[18:19], s[28:29], s[18:19]
	v_mov_b64_e32 v[26:27], s[26:27]
	s_andn2_b64 exec, exec, s[18:19]
	s_cbranch_execz .LBB1668_350
.LBB1668_347:                           ; =>This Inner Loop Header: Depth=1
	s_or_b64 s[24:25], s[24:25], exec
	s_cmp_eq_u64 s[16:17], s[26:27]
	s_cbranch_scc0 .LBB1668_345
; %bb.348:                              ;   in Loop: Header=BB1668_347 Depth=1
                                        ; implicit-def: $vgpr24_vgpr25
                                        ; implicit-def: $vgpr22_vgpr23
	s_mov_b64 s[26:27], s[12:13]
	s_branch .LBB1668_346
.LBB1668_349:
	v_mov_b64_e32 v[58:59], 0
	s_branch .LBB1668_352
.LBB1668_350:
	s_or_b64 exec, exec, s[18:19]
	v_cmp_gt_i64_e32 vcc, s[12:13], v[26:27]
	s_mov_b32 s16, 0
	v_mov_b32_e32 v59, s16
	v_cndmask_b32_e64 v58, 0, 1, vcc
.LBB1668_351:
	s_or_b64 exec, exec, s[4:5]
.LBB1668_352:
	v_cmp_ne_u32_e32 vcc, 0, v0
	s_waitcnt lgkmcnt(0)
	s_barrier
	s_waitcnt lgkmcnt(0)
                                        ; implicit-def: $sgpr18_sgpr19
	s_and_saveexec_b64 s[4:5], vcc
	s_cbranch_execz .LBB1668_364
; %bb.353:
	s_and_b64 vcc, exec, s[2:3]
	s_cbranch_vccnz .LBB1668_360
; %bb.354:
	v_add_u32_e32 v22, -8, v40
	ds_read_b64 v[22:23], v22
	v_mul_lo_u32 v1, v3, s12
	v_mul_lo_u32 v26, v2, s13
	v_mad_u64_u32 v[24:25], s[2:3], v2, s12, 0
	v_add3_u32 v25, v25, v26, v1
	s_waitcnt lgkmcnt(0)
	v_mul_lo_u32 v1, v23, s12
	v_mul_lo_u32 v26, v22, s13
	v_mad_u64_u32 v[22:23], s[2:3], v22, s12, 0
	v_add3_u32 v23, v23, v26, v1
	v_lshl_add_u64 v[24:25], v[24:25], 3, s[14:15]
	v_lshl_add_u64 v[22:23], v[22:23], 3, s[14:15]
	global_load_dwordx2 v[26:27], v[24:25], off
	global_load_dwordx2 v[28:29], v[22:23], off
	s_mov_b64 s[16:17], -1
	s_waitcnt vmcnt(0)
	v_cmp_eq_u64_e32 vcc, v[26:27], v[28:29]
	s_and_saveexec_b64 s[2:3], vcc
	s_cbranch_execz .LBB1668_362
; %bb.355:
	s_add_u32 s16, s12, -1
	v_lshl_add_u64 v[22:23], v[22:23], 0, 8
	v_lshl_add_u64 v[24:25], v[24:25], 0, 8
	s_addc_u32 s17, s13, -1
	s_mov_b64 s[18:19], 0
	s_mov_b64 s[26:27], 0
                                        ; implicit-def: $sgpr24_sgpr25
	s_branch .LBB1668_358
.LBB1668_356:                           ;   in Loop: Header=BB1668_358 Depth=1
	global_load_dwordx2 v[26:27], v[24:25], off
	global_load_dwordx2 v[28:29], v[22:23], off
	s_add_u32 s26, s26, 1
	s_addc_u32 s27, s27, 0
	s_andn2_b64 s[24:25], s[24:25], exec
	v_lshl_add_u64 v[22:23], v[22:23], 0, 8
	v_lshl_add_u64 v[24:25], v[24:25], 0, 8
	s_waitcnt vmcnt(0)
	v_cmp_ne_u64_e32 vcc, v[26:27], v[28:29]
	s_and_b64 s[28:29], vcc, exec
	s_or_b64 s[24:25], s[24:25], s[28:29]
.LBB1668_357:                           ;   in Loop: Header=BB1668_358 Depth=1
	s_and_b64 s[28:29], exec, s[24:25]
	s_or_b64 s[18:19], s[28:29], s[18:19]
	v_mov_b64_e32 v[26:27], s[26:27]
	s_andn2_b64 exec, exec, s[18:19]
	s_cbranch_execz .LBB1668_361
.LBB1668_358:                           ; =>This Inner Loop Header: Depth=1
	s_or_b64 s[24:25], s[24:25], exec
	s_cmp_eq_u64 s[16:17], s[26:27]
	s_cbranch_scc0 .LBB1668_356
; %bb.359:                              ;   in Loop: Header=BB1668_358 Depth=1
                                        ; implicit-def: $vgpr22_vgpr23
                                        ; implicit-def: $vgpr24_vgpr25
	s_mov_b64 s[26:27], s[12:13]
	s_branch .LBB1668_357
.LBB1668_360:
	s_mov_b64 s[16:17], 0
	s_branch .LBB1668_363
.LBB1668_361:
	s_or_b64 exec, exec, s[18:19]
	v_cmp_gt_i64_e32 vcc, s[12:13], v[26:27]
	s_orn2_b64 s[16:17], vcc, exec
.LBB1668_362:
	s_or_b64 exec, exec, s[2:3]
.LBB1668_363:
	s_and_b64 s[18:19], s[16:17], exec
	s_or_b64 s[22:23], s[22:23], exec
.LBB1668_364:
	s_or_b64 exec, exec, s[4:5]
	v_mov_b64_e32 v[60:61], v[44:45]
	v_mov_b64_e32 v[22:23], v[38:39]
	;; [unrolled: 1-line block ×9, first 2 shown]
	s_branch .LBB1668_488
.LBB1668_365:
	s_waitcnt lgkmcnt(0)
	v_mad_u32_u24 v22, v0, 11, 10
	v_cmp_gt_i64_e64 s[2:3], s[12:13], 0
	v_cmp_gt_u32_e32 vcc, s10, v22
	v_mul_u32_u24_e32 v1, 11, v0
	v_cndmask_b32_e64 v22, 0, 1, s[2:3]
	v_cmp_ne_u32_e64 s[2:3], 1, v22
	ds_write_b64 v40, v[36:37]
	s_and_saveexec_b64 s[4:5], vcc
	s_cbranch_execz .LBB1668_376
; %bb.366:
	s_and_b64 vcc, exec, s[2:3]
	s_cbranch_vccnz .LBB1668_373
; %bb.367:
	v_mul_lo_u32 v24, v37, s12
	v_mul_lo_u32 v25, v36, s13
	v_mad_u64_u32 v[22:23], s[16:17], v36, s12, 0
	v_add3_u32 v23, v23, v25, v24
	v_mul_lo_u32 v24, v21, s12
	v_mul_lo_u32 v25, v20, s13
	v_mad_u64_u32 v[26:27], s[16:17], v20, s12, 0
	v_add3_u32 v27, v27, v25, v24
	v_lshl_add_u64 v[24:25], v[22:23], 3, s[14:15]
	v_lshl_add_u64 v[22:23], v[26:27], 3, s[14:15]
	global_load_dwordx2 v[26:27], v[24:25], off
	global_load_dwordx2 v[28:29], v[22:23], off
	v_mov_b64_e32 v[36:37], 1
	s_waitcnt vmcnt(0)
	v_cmp_eq_u64_e32 vcc, v[26:27], v[28:29]
	s_and_saveexec_b64 s[16:17], vcc
	s_cbranch_execz .LBB1668_375
; %bb.368:
	s_add_u32 s18, s12, -1
	v_lshl_add_u64 v[22:23], v[22:23], 0, 8
	v_lshl_add_u64 v[24:25], v[24:25], 0, 8
	s_addc_u32 s19, s13, -1
	s_mov_b64 s[24:25], 0
	s_mov_b64 s[28:29], 0
                                        ; implicit-def: $sgpr26_sgpr27
	s_branch .LBB1668_371
.LBB1668_369:                           ;   in Loop: Header=BB1668_371 Depth=1
	global_load_dwordx2 v[26:27], v[24:25], off
	global_load_dwordx2 v[28:29], v[22:23], off
	s_add_u32 s28, s28, 1
	s_addc_u32 s29, s29, 0
	s_andn2_b64 s[26:27], s[26:27], exec
	v_lshl_add_u64 v[22:23], v[22:23], 0, 8
	v_lshl_add_u64 v[24:25], v[24:25], 0, 8
	s_waitcnt vmcnt(0)
	v_cmp_ne_u64_e32 vcc, v[26:27], v[28:29]
	s_and_b64 s[30:31], vcc, exec
	s_or_b64 s[26:27], s[26:27], s[30:31]
.LBB1668_370:                           ;   in Loop: Header=BB1668_371 Depth=1
	s_and_b64 s[30:31], exec, s[26:27]
	s_or_b64 s[24:25], s[30:31], s[24:25]
	v_mov_b64_e32 v[26:27], s[28:29]
	s_andn2_b64 exec, exec, s[24:25]
	s_cbranch_execz .LBB1668_374
.LBB1668_371:                           ; =>This Inner Loop Header: Depth=1
	s_or_b64 s[26:27], s[26:27], exec
	s_cmp_eq_u64 s[18:19], s[28:29]
	s_cbranch_scc0 .LBB1668_369
; %bb.372:                              ;   in Loop: Header=BB1668_371 Depth=1
                                        ; implicit-def: $vgpr22_vgpr23
                                        ; implicit-def: $vgpr24_vgpr25
	s_mov_b64 s[28:29], s[12:13]
	s_branch .LBB1668_370
.LBB1668_373:
	v_mov_b64_e32 v[36:37], 0
	s_branch .LBB1668_376
.LBB1668_374:
	s_or_b64 exec, exec, s[24:25]
	v_cmp_gt_i64_e32 vcc, s[12:13], v[26:27]
	s_mov_b32 s18, 0
	v_mov_b32_e32 v37, s18
	v_cndmask_b32_e64 v36, 0, 1, vcc
.LBB1668_375:
	s_or_b64 exec, exec, s[16:17]
.LBB1668_376:
	s_or_b64 exec, exec, s[4:5]
	v_add_u32_e32 v22, 9, v1
	v_cmp_gt_u32_e32 vcc, s10, v22
	s_and_saveexec_b64 s[4:5], vcc
	s_cbranch_execz .LBB1668_387
; %bb.377:
	s_and_b64 vcc, exec, s[2:3]
	s_cbranch_vccnz .LBB1668_384
; %bb.378:
	v_mul_lo_u32 v22, v21, s12
	v_mul_lo_u32 v23, v20, s13
	v_mad_u64_u32 v[20:21], s[16:17], v20, s12, 0
	v_add3_u32 v21, v21, v23, v22
	v_mul_lo_u32 v22, v19, s12
	v_mul_lo_u32 v23, v18, s13
	v_mad_u64_u32 v[24:25], s[16:17], v18, s12, 0
	v_add3_u32 v25, v25, v23, v22
	v_lshl_add_u64 v[22:23], v[20:21], 3, s[14:15]
	v_lshl_add_u64 v[24:25], v[24:25], 3, s[14:15]
	global_load_dwordx2 v[20:21], v[22:23], off
	global_load_dwordx2 v[26:27], v[24:25], off
	s_waitcnt vmcnt(0)
	v_cmp_eq_u64_e32 vcc, v[20:21], v[26:27]
	v_mov_b64_e32 v[20:21], 1
	s_and_saveexec_b64 s[16:17], vcc
	s_cbranch_execz .LBB1668_386
; %bb.379:
	s_add_u32 s18, s12, -1
	v_lshl_add_u64 v[20:21], v[24:25], 0, 8
	v_lshl_add_u64 v[22:23], v[22:23], 0, 8
	s_addc_u32 s19, s13, -1
	s_mov_b64 s[24:25], 0
	s_mov_b64 s[28:29], 0
                                        ; implicit-def: $sgpr26_sgpr27
	s_branch .LBB1668_382
.LBB1668_380:                           ;   in Loop: Header=BB1668_382 Depth=1
	global_load_dwordx2 v[24:25], v[22:23], off
	global_load_dwordx2 v[26:27], v[20:21], off
	s_add_u32 s28, s28, 1
	s_addc_u32 s29, s29, 0
	s_andn2_b64 s[26:27], s[26:27], exec
	v_lshl_add_u64 v[20:21], v[20:21], 0, 8
	v_lshl_add_u64 v[22:23], v[22:23], 0, 8
	s_waitcnt vmcnt(0)
	v_cmp_ne_u64_e32 vcc, v[24:25], v[26:27]
	s_and_b64 s[30:31], vcc, exec
	s_or_b64 s[26:27], s[26:27], s[30:31]
.LBB1668_381:                           ;   in Loop: Header=BB1668_382 Depth=1
	s_and_b64 s[30:31], exec, s[26:27]
	s_or_b64 s[24:25], s[30:31], s[24:25]
	v_mov_b64_e32 v[24:25], s[28:29]
	s_andn2_b64 exec, exec, s[24:25]
	s_cbranch_execz .LBB1668_385
.LBB1668_382:                           ; =>This Inner Loop Header: Depth=1
	s_or_b64 s[26:27], s[26:27], exec
	s_cmp_eq_u64 s[18:19], s[28:29]
	s_cbranch_scc0 .LBB1668_380
; %bb.383:                              ;   in Loop: Header=BB1668_382 Depth=1
                                        ; implicit-def: $vgpr20_vgpr21
                                        ; implicit-def: $vgpr22_vgpr23
	s_mov_b64 s[28:29], s[12:13]
	s_branch .LBB1668_381
.LBB1668_384:
	v_mov_b64_e32 v[20:21], 0
	s_branch .LBB1668_387
.LBB1668_385:
	s_or_b64 exec, exec, s[24:25]
	v_cmp_gt_i64_e32 vcc, s[12:13], v[24:25]
	s_mov_b32 s18, 0
	v_mov_b32_e32 v21, s18
	v_cndmask_b32_e64 v20, 0, 1, vcc
.LBB1668_386:
	s_or_b64 exec, exec, s[16:17]
.LBB1668_387:
	s_or_b64 exec, exec, s[4:5]
	v_add_u32_e32 v22, 8, v1
	v_cmp_gt_u32_e32 vcc, s10, v22
	s_and_saveexec_b64 s[4:5], vcc
	s_cbranch_execz .LBB1668_398
; %bb.388:
	s_and_b64 vcc, exec, s[2:3]
	s_cbranch_vccnz .LBB1668_395
; %bb.389:
	v_mul_lo_u32 v22, v19, s12
	v_mul_lo_u32 v23, v18, s13
	v_mad_u64_u32 v[18:19], s[16:17], v18, s12, 0
	v_add3_u32 v19, v19, v23, v22
	v_mul_lo_u32 v22, v17, s12
	v_mul_lo_u32 v23, v16, s13
	v_mad_u64_u32 v[24:25], s[16:17], v16, s12, 0
	v_add3_u32 v25, v25, v23, v22
	v_lshl_add_u64 v[22:23], v[18:19], 3, s[14:15]
	v_lshl_add_u64 v[24:25], v[24:25], 3, s[14:15]
	global_load_dwordx2 v[18:19], v[22:23], off
	global_load_dwordx2 v[26:27], v[24:25], off
	s_waitcnt vmcnt(0)
	v_cmp_eq_u64_e32 vcc, v[18:19], v[26:27]
	v_mov_b64_e32 v[18:19], 1
	s_and_saveexec_b64 s[16:17], vcc
	s_cbranch_execz .LBB1668_397
; %bb.390:
	s_add_u32 s18, s12, -1
	v_lshl_add_u64 v[18:19], v[24:25], 0, 8
	v_lshl_add_u64 v[22:23], v[22:23], 0, 8
	s_addc_u32 s19, s13, -1
	s_mov_b64 s[24:25], 0
	s_mov_b64 s[28:29], 0
                                        ; implicit-def: $sgpr26_sgpr27
	s_branch .LBB1668_393
.LBB1668_391:                           ;   in Loop: Header=BB1668_393 Depth=1
	global_load_dwordx2 v[24:25], v[22:23], off
	global_load_dwordx2 v[26:27], v[18:19], off
	s_add_u32 s28, s28, 1
	s_addc_u32 s29, s29, 0
	s_andn2_b64 s[26:27], s[26:27], exec
	v_lshl_add_u64 v[18:19], v[18:19], 0, 8
	v_lshl_add_u64 v[22:23], v[22:23], 0, 8
	s_waitcnt vmcnt(0)
	v_cmp_ne_u64_e32 vcc, v[24:25], v[26:27]
	s_and_b64 s[30:31], vcc, exec
	s_or_b64 s[26:27], s[26:27], s[30:31]
.LBB1668_392:                           ;   in Loop: Header=BB1668_393 Depth=1
	s_and_b64 s[30:31], exec, s[26:27]
	s_or_b64 s[24:25], s[30:31], s[24:25]
	v_mov_b64_e32 v[24:25], s[28:29]
	s_andn2_b64 exec, exec, s[24:25]
	s_cbranch_execz .LBB1668_396
.LBB1668_393:                           ; =>This Inner Loop Header: Depth=1
	s_or_b64 s[26:27], s[26:27], exec
	s_cmp_eq_u64 s[18:19], s[28:29]
	s_cbranch_scc0 .LBB1668_391
; %bb.394:                              ;   in Loop: Header=BB1668_393 Depth=1
                                        ; implicit-def: $vgpr18_vgpr19
                                        ; implicit-def: $vgpr22_vgpr23
	s_mov_b64 s[28:29], s[12:13]
	s_branch .LBB1668_392
.LBB1668_395:
	v_mov_b64_e32 v[18:19], 0
	s_branch .LBB1668_398
.LBB1668_396:
	s_or_b64 exec, exec, s[24:25]
	v_cmp_gt_i64_e32 vcc, s[12:13], v[24:25]
	s_mov_b32 s18, 0
	v_mov_b32_e32 v19, s18
	v_cndmask_b32_e64 v18, 0, 1, vcc
.LBB1668_397:
	s_or_b64 exec, exec, s[16:17]
.LBB1668_398:
	s_or_b64 exec, exec, s[4:5]
	v_add_u32_e32 v22, 7, v1
	v_cmp_gt_u32_e32 vcc, s10, v22
	s_and_saveexec_b64 s[4:5], vcc
	s_cbranch_execz .LBB1668_409
; %bb.399:
	s_and_b64 vcc, exec, s[2:3]
	s_cbranch_vccnz .LBB1668_406
; %bb.400:
	v_mul_lo_u32 v22, v17, s12
	v_mul_lo_u32 v23, v16, s13
	v_mad_u64_u32 v[16:17], s[16:17], v16, s12, 0
	v_add3_u32 v17, v17, v23, v22
	v_mul_lo_u32 v22, v15, s12
	v_mul_lo_u32 v23, v14, s13
	v_mad_u64_u32 v[24:25], s[16:17], v14, s12, 0
	v_add3_u32 v25, v25, v23, v22
	v_lshl_add_u64 v[22:23], v[16:17], 3, s[14:15]
	v_lshl_add_u64 v[24:25], v[24:25], 3, s[14:15]
	global_load_dwordx2 v[16:17], v[22:23], off
	global_load_dwordx2 v[26:27], v[24:25], off
	s_waitcnt vmcnt(0)
	v_cmp_eq_u64_e32 vcc, v[16:17], v[26:27]
	v_mov_b64_e32 v[16:17], 1
	s_and_saveexec_b64 s[16:17], vcc
	s_cbranch_execz .LBB1668_408
; %bb.401:
	s_add_u32 s18, s12, -1
	v_lshl_add_u64 v[16:17], v[24:25], 0, 8
	v_lshl_add_u64 v[22:23], v[22:23], 0, 8
	s_addc_u32 s19, s13, -1
	s_mov_b64 s[24:25], 0
	s_mov_b64 s[28:29], 0
                                        ; implicit-def: $sgpr26_sgpr27
	s_branch .LBB1668_404
.LBB1668_402:                           ;   in Loop: Header=BB1668_404 Depth=1
	global_load_dwordx2 v[24:25], v[22:23], off
	global_load_dwordx2 v[26:27], v[16:17], off
	s_add_u32 s28, s28, 1
	s_addc_u32 s29, s29, 0
	s_andn2_b64 s[26:27], s[26:27], exec
	v_lshl_add_u64 v[16:17], v[16:17], 0, 8
	v_lshl_add_u64 v[22:23], v[22:23], 0, 8
	s_waitcnt vmcnt(0)
	v_cmp_ne_u64_e32 vcc, v[24:25], v[26:27]
	s_and_b64 s[30:31], vcc, exec
	s_or_b64 s[26:27], s[26:27], s[30:31]
.LBB1668_403:                           ;   in Loop: Header=BB1668_404 Depth=1
	s_and_b64 s[30:31], exec, s[26:27]
	s_or_b64 s[24:25], s[30:31], s[24:25]
	v_mov_b64_e32 v[24:25], s[28:29]
	s_andn2_b64 exec, exec, s[24:25]
	s_cbranch_execz .LBB1668_407
.LBB1668_404:                           ; =>This Inner Loop Header: Depth=1
	s_or_b64 s[26:27], s[26:27], exec
	s_cmp_eq_u64 s[18:19], s[28:29]
	s_cbranch_scc0 .LBB1668_402
; %bb.405:                              ;   in Loop: Header=BB1668_404 Depth=1
                                        ; implicit-def: $vgpr16_vgpr17
                                        ; implicit-def: $vgpr22_vgpr23
	s_mov_b64 s[28:29], s[12:13]
	s_branch .LBB1668_403
.LBB1668_406:
	v_mov_b64_e32 v[16:17], 0
	s_branch .LBB1668_409
.LBB1668_407:
	s_or_b64 exec, exec, s[24:25]
	v_cmp_gt_i64_e32 vcc, s[12:13], v[24:25]
	s_mov_b32 s18, 0
	v_mov_b32_e32 v17, s18
	v_cndmask_b32_e64 v16, 0, 1, vcc
.LBB1668_408:
	s_or_b64 exec, exec, s[16:17]
.LBB1668_409:
	s_or_b64 exec, exec, s[4:5]
	v_add_u32_e32 v22, 6, v1
	v_cmp_gt_u32_e32 vcc, s10, v22
	s_and_saveexec_b64 s[4:5], vcc
	s_cbranch_execz .LBB1668_420
; %bb.410:
	s_and_b64 vcc, exec, s[2:3]
	s_cbranch_vccnz .LBB1668_417
; %bb.411:
	v_mul_lo_u32 v22, v15, s12
	v_mul_lo_u32 v23, v14, s13
	v_mad_u64_u32 v[14:15], s[16:17], v14, s12, 0
	v_add3_u32 v15, v15, v23, v22
	v_mul_lo_u32 v22, v13, s12
	v_mul_lo_u32 v23, v12, s13
	v_mad_u64_u32 v[24:25], s[16:17], v12, s12, 0
	v_add3_u32 v25, v25, v23, v22
	v_lshl_add_u64 v[22:23], v[14:15], 3, s[14:15]
	v_lshl_add_u64 v[24:25], v[24:25], 3, s[14:15]
	global_load_dwordx2 v[14:15], v[22:23], off
	global_load_dwordx2 v[26:27], v[24:25], off
	s_waitcnt vmcnt(0)
	v_cmp_eq_u64_e32 vcc, v[14:15], v[26:27]
	v_mov_b64_e32 v[14:15], 1
	s_and_saveexec_b64 s[16:17], vcc
	s_cbranch_execz .LBB1668_419
; %bb.412:
	s_add_u32 s18, s12, -1
	v_lshl_add_u64 v[14:15], v[24:25], 0, 8
	v_lshl_add_u64 v[22:23], v[22:23], 0, 8
	s_addc_u32 s19, s13, -1
	s_mov_b64 s[24:25], 0
	s_mov_b64 s[28:29], 0
                                        ; implicit-def: $sgpr26_sgpr27
	s_branch .LBB1668_415
.LBB1668_413:                           ;   in Loop: Header=BB1668_415 Depth=1
	global_load_dwordx2 v[24:25], v[22:23], off
	global_load_dwordx2 v[26:27], v[14:15], off
	s_add_u32 s28, s28, 1
	s_addc_u32 s29, s29, 0
	s_andn2_b64 s[26:27], s[26:27], exec
	v_lshl_add_u64 v[14:15], v[14:15], 0, 8
	v_lshl_add_u64 v[22:23], v[22:23], 0, 8
	s_waitcnt vmcnt(0)
	v_cmp_ne_u64_e32 vcc, v[24:25], v[26:27]
	s_and_b64 s[30:31], vcc, exec
	s_or_b64 s[26:27], s[26:27], s[30:31]
.LBB1668_414:                           ;   in Loop: Header=BB1668_415 Depth=1
	s_and_b64 s[30:31], exec, s[26:27]
	s_or_b64 s[24:25], s[30:31], s[24:25]
	v_mov_b64_e32 v[24:25], s[28:29]
	s_andn2_b64 exec, exec, s[24:25]
	s_cbranch_execz .LBB1668_418
.LBB1668_415:                           ; =>This Inner Loop Header: Depth=1
	s_or_b64 s[26:27], s[26:27], exec
	s_cmp_eq_u64 s[18:19], s[28:29]
	s_cbranch_scc0 .LBB1668_413
; %bb.416:                              ;   in Loop: Header=BB1668_415 Depth=1
                                        ; implicit-def: $vgpr14_vgpr15
                                        ; implicit-def: $vgpr22_vgpr23
	s_mov_b64 s[28:29], s[12:13]
	s_branch .LBB1668_414
.LBB1668_417:
	v_mov_b64_e32 v[14:15], 0
	s_branch .LBB1668_420
.LBB1668_418:
	s_or_b64 exec, exec, s[24:25]
	v_cmp_gt_i64_e32 vcc, s[12:13], v[24:25]
	s_mov_b32 s18, 0
	v_mov_b32_e32 v15, s18
	v_cndmask_b32_e64 v14, 0, 1, vcc
.LBB1668_419:
	s_or_b64 exec, exec, s[16:17]
.LBB1668_420:
	s_or_b64 exec, exec, s[4:5]
	v_add_u32_e32 v22, 5, v1
	v_cmp_gt_u32_e32 vcc, s10, v22
	s_and_saveexec_b64 s[4:5], vcc
	s_cbranch_execz .LBB1668_431
; %bb.421:
	s_and_b64 vcc, exec, s[2:3]
	s_cbranch_vccnz .LBB1668_428
; %bb.422:
	v_mul_lo_u32 v22, v13, s12
	v_mul_lo_u32 v23, v12, s13
	v_mad_u64_u32 v[12:13], s[16:17], v12, s12, 0
	v_add3_u32 v13, v13, v23, v22
	v_mul_lo_u32 v22, v11, s12
	v_mul_lo_u32 v23, v10, s13
	v_mad_u64_u32 v[24:25], s[16:17], v10, s12, 0
	v_add3_u32 v25, v25, v23, v22
	v_lshl_add_u64 v[22:23], v[12:13], 3, s[14:15]
	v_lshl_add_u64 v[24:25], v[24:25], 3, s[14:15]
	global_load_dwordx2 v[12:13], v[22:23], off
	global_load_dwordx2 v[26:27], v[24:25], off
	s_waitcnt vmcnt(0)
	v_cmp_eq_u64_e32 vcc, v[12:13], v[26:27]
	v_mov_b64_e32 v[12:13], 1
	s_and_saveexec_b64 s[16:17], vcc
	s_cbranch_execz .LBB1668_430
; %bb.423:
	s_add_u32 s18, s12, -1
	v_lshl_add_u64 v[12:13], v[24:25], 0, 8
	v_lshl_add_u64 v[22:23], v[22:23], 0, 8
	s_addc_u32 s19, s13, -1
	s_mov_b64 s[24:25], 0
	s_mov_b64 s[28:29], 0
                                        ; implicit-def: $sgpr26_sgpr27
	s_branch .LBB1668_426
.LBB1668_424:                           ;   in Loop: Header=BB1668_426 Depth=1
	global_load_dwordx2 v[24:25], v[22:23], off
	global_load_dwordx2 v[26:27], v[12:13], off
	s_add_u32 s28, s28, 1
	s_addc_u32 s29, s29, 0
	s_andn2_b64 s[26:27], s[26:27], exec
	v_lshl_add_u64 v[12:13], v[12:13], 0, 8
	v_lshl_add_u64 v[22:23], v[22:23], 0, 8
	s_waitcnt vmcnt(0)
	v_cmp_ne_u64_e32 vcc, v[24:25], v[26:27]
	s_and_b64 s[30:31], vcc, exec
	s_or_b64 s[26:27], s[26:27], s[30:31]
.LBB1668_425:                           ;   in Loop: Header=BB1668_426 Depth=1
	s_and_b64 s[30:31], exec, s[26:27]
	s_or_b64 s[24:25], s[30:31], s[24:25]
	v_mov_b64_e32 v[24:25], s[28:29]
	s_andn2_b64 exec, exec, s[24:25]
	s_cbranch_execz .LBB1668_429
.LBB1668_426:                           ; =>This Inner Loop Header: Depth=1
	s_or_b64 s[26:27], s[26:27], exec
	s_cmp_eq_u64 s[18:19], s[28:29]
	s_cbranch_scc0 .LBB1668_424
; %bb.427:                              ;   in Loop: Header=BB1668_426 Depth=1
                                        ; implicit-def: $vgpr12_vgpr13
                                        ; implicit-def: $vgpr22_vgpr23
	s_mov_b64 s[28:29], s[12:13]
	s_branch .LBB1668_425
.LBB1668_428:
	v_mov_b64_e32 v[12:13], 0
	s_branch .LBB1668_431
.LBB1668_429:
	s_or_b64 exec, exec, s[24:25]
	v_cmp_gt_i64_e32 vcc, s[12:13], v[24:25]
	s_mov_b32 s18, 0
	v_mov_b32_e32 v13, s18
	v_cndmask_b32_e64 v12, 0, 1, vcc
.LBB1668_430:
	s_or_b64 exec, exec, s[16:17]
.LBB1668_431:
	s_or_b64 exec, exec, s[4:5]
	v_add_u32_e32 v22, 4, v1
	v_cmp_gt_u32_e32 vcc, s10, v22
	s_and_saveexec_b64 s[4:5], vcc
	s_cbranch_execz .LBB1668_442
; %bb.432:
	s_and_b64 vcc, exec, s[2:3]
	s_cbranch_vccnz .LBB1668_439
; %bb.433:
	v_mul_lo_u32 v22, v11, s12
	v_mul_lo_u32 v23, v10, s13
	v_mad_u64_u32 v[10:11], s[16:17], v10, s12, 0
	v_add3_u32 v11, v11, v23, v22
	v_mul_lo_u32 v22, v9, s12
	v_mul_lo_u32 v23, v8, s13
	v_mad_u64_u32 v[24:25], s[16:17], v8, s12, 0
	v_add3_u32 v25, v25, v23, v22
	v_lshl_add_u64 v[22:23], v[10:11], 3, s[14:15]
	v_lshl_add_u64 v[24:25], v[24:25], 3, s[14:15]
	global_load_dwordx2 v[10:11], v[22:23], off
	global_load_dwordx2 v[26:27], v[24:25], off
	s_waitcnt vmcnt(0)
	v_cmp_eq_u64_e32 vcc, v[10:11], v[26:27]
	v_mov_b64_e32 v[10:11], 1
	s_and_saveexec_b64 s[16:17], vcc
	s_cbranch_execz .LBB1668_441
; %bb.434:
	s_add_u32 s18, s12, -1
	v_lshl_add_u64 v[10:11], v[24:25], 0, 8
	v_lshl_add_u64 v[22:23], v[22:23], 0, 8
	s_addc_u32 s19, s13, -1
	s_mov_b64 s[24:25], 0
	s_mov_b64 s[28:29], 0
                                        ; implicit-def: $sgpr26_sgpr27
	s_branch .LBB1668_437
.LBB1668_435:                           ;   in Loop: Header=BB1668_437 Depth=1
	global_load_dwordx2 v[24:25], v[22:23], off
	global_load_dwordx2 v[26:27], v[10:11], off
	s_add_u32 s28, s28, 1
	s_addc_u32 s29, s29, 0
	s_andn2_b64 s[26:27], s[26:27], exec
	v_lshl_add_u64 v[10:11], v[10:11], 0, 8
	v_lshl_add_u64 v[22:23], v[22:23], 0, 8
	s_waitcnt vmcnt(0)
	v_cmp_ne_u64_e32 vcc, v[24:25], v[26:27]
	s_and_b64 s[30:31], vcc, exec
	s_or_b64 s[26:27], s[26:27], s[30:31]
.LBB1668_436:                           ;   in Loop: Header=BB1668_437 Depth=1
	s_and_b64 s[30:31], exec, s[26:27]
	s_or_b64 s[24:25], s[30:31], s[24:25]
	v_mov_b64_e32 v[24:25], s[28:29]
	s_andn2_b64 exec, exec, s[24:25]
	s_cbranch_execz .LBB1668_440
.LBB1668_437:                           ; =>This Inner Loop Header: Depth=1
	s_or_b64 s[26:27], s[26:27], exec
	s_cmp_eq_u64 s[18:19], s[28:29]
	s_cbranch_scc0 .LBB1668_435
; %bb.438:                              ;   in Loop: Header=BB1668_437 Depth=1
                                        ; implicit-def: $vgpr10_vgpr11
                                        ; implicit-def: $vgpr22_vgpr23
	s_mov_b64 s[28:29], s[12:13]
	s_branch .LBB1668_436
.LBB1668_439:
	v_mov_b64_e32 v[10:11], 0
	s_branch .LBB1668_442
.LBB1668_440:
	s_or_b64 exec, exec, s[24:25]
	v_cmp_gt_i64_e32 vcc, s[12:13], v[24:25]
	s_mov_b32 s18, 0
	v_mov_b32_e32 v11, s18
	v_cndmask_b32_e64 v10, 0, 1, vcc
.LBB1668_441:
	s_or_b64 exec, exec, s[16:17]
.LBB1668_442:
	s_or_b64 exec, exec, s[4:5]
	v_add_u32_e32 v22, 3, v1
	v_cmp_gt_u32_e32 vcc, s10, v22
	s_and_saveexec_b64 s[4:5], vcc
	s_cbranch_execz .LBB1668_453
; %bb.443:
	s_and_b64 vcc, exec, s[2:3]
	s_cbranch_vccnz .LBB1668_450
; %bb.444:
	v_mul_lo_u32 v22, v9, s12
	v_mul_lo_u32 v23, v8, s13
	v_mad_u64_u32 v[8:9], s[16:17], v8, s12, 0
	v_add3_u32 v9, v9, v23, v22
	v_mul_lo_u32 v22, v7, s12
	v_mul_lo_u32 v23, v6, s13
	v_mad_u64_u32 v[24:25], s[16:17], v6, s12, 0
	v_add3_u32 v25, v25, v23, v22
	v_lshl_add_u64 v[22:23], v[8:9], 3, s[14:15]
	v_lshl_add_u64 v[24:25], v[24:25], 3, s[14:15]
	global_load_dwordx2 v[8:9], v[22:23], off
	global_load_dwordx2 v[26:27], v[24:25], off
	s_waitcnt vmcnt(0)
	v_cmp_eq_u64_e32 vcc, v[8:9], v[26:27]
	v_mov_b64_e32 v[8:9], 1
	s_and_saveexec_b64 s[16:17], vcc
	s_cbranch_execz .LBB1668_452
; %bb.445:
	s_add_u32 s18, s12, -1
	v_lshl_add_u64 v[8:9], v[24:25], 0, 8
	v_lshl_add_u64 v[22:23], v[22:23], 0, 8
	s_addc_u32 s19, s13, -1
	s_mov_b64 s[24:25], 0
	s_mov_b64 s[28:29], 0
                                        ; implicit-def: $sgpr26_sgpr27
	s_branch .LBB1668_448
.LBB1668_446:                           ;   in Loop: Header=BB1668_448 Depth=1
	global_load_dwordx2 v[24:25], v[22:23], off
	global_load_dwordx2 v[26:27], v[8:9], off
	s_add_u32 s28, s28, 1
	s_addc_u32 s29, s29, 0
	s_andn2_b64 s[26:27], s[26:27], exec
	v_lshl_add_u64 v[8:9], v[8:9], 0, 8
	v_lshl_add_u64 v[22:23], v[22:23], 0, 8
	s_waitcnt vmcnt(0)
	v_cmp_ne_u64_e32 vcc, v[24:25], v[26:27]
	s_and_b64 s[30:31], vcc, exec
	s_or_b64 s[26:27], s[26:27], s[30:31]
.LBB1668_447:                           ;   in Loop: Header=BB1668_448 Depth=1
	s_and_b64 s[30:31], exec, s[26:27]
	s_or_b64 s[24:25], s[30:31], s[24:25]
	v_mov_b64_e32 v[24:25], s[28:29]
	s_andn2_b64 exec, exec, s[24:25]
	s_cbranch_execz .LBB1668_451
.LBB1668_448:                           ; =>This Inner Loop Header: Depth=1
	s_or_b64 s[26:27], s[26:27], exec
	s_cmp_eq_u64 s[18:19], s[28:29]
	s_cbranch_scc0 .LBB1668_446
; %bb.449:                              ;   in Loop: Header=BB1668_448 Depth=1
                                        ; implicit-def: $vgpr8_vgpr9
                                        ; implicit-def: $vgpr22_vgpr23
	s_mov_b64 s[28:29], s[12:13]
	s_branch .LBB1668_447
.LBB1668_450:
	v_mov_b64_e32 v[8:9], 0
	s_branch .LBB1668_453
.LBB1668_451:
	s_or_b64 exec, exec, s[24:25]
	v_cmp_gt_i64_e32 vcc, s[12:13], v[24:25]
	s_mov_b32 s18, 0
	v_mov_b32_e32 v9, s18
	v_cndmask_b32_e64 v8, 0, 1, vcc
.LBB1668_452:
	s_or_b64 exec, exec, s[16:17]
.LBB1668_453:
	s_or_b64 exec, exec, s[4:5]
	v_add_u32_e32 v22, 2, v1
	v_cmp_gt_u32_e32 vcc, s10, v22
	s_and_saveexec_b64 s[4:5], vcc
	s_cbranch_execz .LBB1668_464
; %bb.454:
	s_and_b64 vcc, exec, s[2:3]
	s_cbranch_vccnz .LBB1668_461
; %bb.455:
	v_mul_lo_u32 v22, v7, s12
	v_mul_lo_u32 v23, v6, s13
	v_mad_u64_u32 v[6:7], s[16:17], v6, s12, 0
	v_add3_u32 v7, v7, v23, v22
	v_mul_lo_u32 v22, v5, s12
	v_mul_lo_u32 v23, v4, s13
	v_mad_u64_u32 v[24:25], s[16:17], v4, s12, 0
	v_add3_u32 v25, v25, v23, v22
	v_lshl_add_u64 v[22:23], v[6:7], 3, s[14:15]
	v_lshl_add_u64 v[24:25], v[24:25], 3, s[14:15]
	global_load_dwordx2 v[6:7], v[22:23], off
	global_load_dwordx2 v[26:27], v[24:25], off
	s_waitcnt vmcnt(0)
	v_cmp_eq_u64_e32 vcc, v[6:7], v[26:27]
	v_mov_b64_e32 v[6:7], 1
	s_and_saveexec_b64 s[16:17], vcc
	s_cbranch_execz .LBB1668_463
; %bb.456:
	s_add_u32 s18, s12, -1
	v_lshl_add_u64 v[6:7], v[24:25], 0, 8
	v_lshl_add_u64 v[22:23], v[22:23], 0, 8
	s_addc_u32 s19, s13, -1
	s_mov_b64 s[24:25], 0
	s_mov_b64 s[28:29], 0
                                        ; implicit-def: $sgpr26_sgpr27
	s_branch .LBB1668_459
.LBB1668_457:                           ;   in Loop: Header=BB1668_459 Depth=1
	global_load_dwordx2 v[24:25], v[22:23], off
	global_load_dwordx2 v[26:27], v[6:7], off
	s_add_u32 s28, s28, 1
	s_addc_u32 s29, s29, 0
	s_andn2_b64 s[26:27], s[26:27], exec
	v_lshl_add_u64 v[6:7], v[6:7], 0, 8
	v_lshl_add_u64 v[22:23], v[22:23], 0, 8
	s_waitcnt vmcnt(0)
	v_cmp_ne_u64_e32 vcc, v[24:25], v[26:27]
	s_and_b64 s[30:31], vcc, exec
	s_or_b64 s[26:27], s[26:27], s[30:31]
.LBB1668_458:                           ;   in Loop: Header=BB1668_459 Depth=1
	s_and_b64 s[30:31], exec, s[26:27]
	s_or_b64 s[24:25], s[30:31], s[24:25]
	v_mov_b64_e32 v[24:25], s[28:29]
	s_andn2_b64 exec, exec, s[24:25]
	s_cbranch_execz .LBB1668_462
.LBB1668_459:                           ; =>This Inner Loop Header: Depth=1
	s_or_b64 s[26:27], s[26:27], exec
	s_cmp_eq_u64 s[18:19], s[28:29]
	s_cbranch_scc0 .LBB1668_457
; %bb.460:                              ;   in Loop: Header=BB1668_459 Depth=1
                                        ; implicit-def: $vgpr6_vgpr7
                                        ; implicit-def: $vgpr22_vgpr23
	s_mov_b64 s[28:29], s[12:13]
	s_branch .LBB1668_458
.LBB1668_461:
	v_mov_b64_e32 v[6:7], 0
	s_branch .LBB1668_464
.LBB1668_462:
	s_or_b64 exec, exec, s[24:25]
	v_cmp_gt_i64_e32 vcc, s[12:13], v[24:25]
	s_mov_b32 s18, 0
	v_mov_b32_e32 v7, s18
	v_cndmask_b32_e64 v6, 0, 1, vcc
.LBB1668_463:
	s_or_b64 exec, exec, s[16:17]
.LBB1668_464:
	s_or_b64 exec, exec, s[4:5]
	v_add_u32_e32 v22, 1, v1
	v_cmp_gt_u32_e32 vcc, s10, v22
	s_and_saveexec_b64 s[4:5], vcc
	s_cbranch_execz .LBB1668_475
; %bb.465:
	s_and_b64 vcc, exec, s[2:3]
	s_cbranch_vccnz .LBB1668_472
; %bb.466:
	v_mul_lo_u32 v22, v5, s12
	v_mul_lo_u32 v23, v4, s13
	v_mad_u64_u32 v[4:5], s[16:17], v4, s12, 0
	v_add3_u32 v5, v5, v23, v22
	v_mul_lo_u32 v22, v3, s12
	v_mul_lo_u32 v23, v2, s13
	v_mad_u64_u32 v[24:25], s[16:17], v2, s12, 0
	v_add3_u32 v25, v25, v23, v22
	v_lshl_add_u64 v[22:23], v[4:5], 3, s[14:15]
	v_lshl_add_u64 v[24:25], v[24:25], 3, s[14:15]
	global_load_dwordx2 v[4:5], v[22:23], off
	global_load_dwordx2 v[26:27], v[24:25], off
	s_waitcnt vmcnt(0)
	v_cmp_eq_u64_e32 vcc, v[4:5], v[26:27]
	v_mov_b64_e32 v[4:5], 1
	s_and_saveexec_b64 s[16:17], vcc
	s_cbranch_execz .LBB1668_474
; %bb.467:
	s_add_u32 s18, s12, -1
	v_lshl_add_u64 v[4:5], v[24:25], 0, 8
	v_lshl_add_u64 v[22:23], v[22:23], 0, 8
	s_addc_u32 s19, s13, -1
	s_mov_b64 s[24:25], 0
	s_mov_b64 s[28:29], 0
                                        ; implicit-def: $sgpr26_sgpr27
	s_branch .LBB1668_470
.LBB1668_468:                           ;   in Loop: Header=BB1668_470 Depth=1
	global_load_dwordx2 v[24:25], v[22:23], off
	global_load_dwordx2 v[26:27], v[4:5], off
	s_add_u32 s28, s28, 1
	s_addc_u32 s29, s29, 0
	s_andn2_b64 s[26:27], s[26:27], exec
	v_lshl_add_u64 v[4:5], v[4:5], 0, 8
	v_lshl_add_u64 v[22:23], v[22:23], 0, 8
	s_waitcnt vmcnt(0)
	v_cmp_ne_u64_e32 vcc, v[24:25], v[26:27]
	s_and_b64 s[30:31], vcc, exec
	s_or_b64 s[26:27], s[26:27], s[30:31]
.LBB1668_469:                           ;   in Loop: Header=BB1668_470 Depth=1
	s_and_b64 s[30:31], exec, s[26:27]
	s_or_b64 s[24:25], s[30:31], s[24:25]
	v_mov_b64_e32 v[24:25], s[28:29]
	s_andn2_b64 exec, exec, s[24:25]
	s_cbranch_execz .LBB1668_473
.LBB1668_470:                           ; =>This Inner Loop Header: Depth=1
	s_or_b64 s[26:27], s[26:27], exec
	s_cmp_eq_u64 s[18:19], s[28:29]
	s_cbranch_scc0 .LBB1668_468
; %bb.471:                              ;   in Loop: Header=BB1668_470 Depth=1
                                        ; implicit-def: $vgpr4_vgpr5
                                        ; implicit-def: $vgpr22_vgpr23
	s_mov_b64 s[28:29], s[12:13]
	s_branch .LBB1668_469
.LBB1668_472:
	v_mov_b64_e32 v[4:5], 0
	s_branch .LBB1668_475
.LBB1668_473:
	s_or_b64 exec, exec, s[24:25]
	v_cmp_gt_i64_e32 vcc, s[12:13], v[24:25]
	s_mov_b32 s18, 0
	v_mov_b32_e32 v5, s18
	v_cndmask_b32_e64 v4, 0, 1, vcc
.LBB1668_474:
	s_or_b64 exec, exec, s[16:17]
.LBB1668_475:
	s_or_b64 exec, exec, s[4:5]
	v_cmp_ne_u32_e32 vcc, 0, v0
	v_cmp_gt_u32_e64 s[4:5], s10, v1
	s_and_b64 s[16:17], vcc, s[4:5]
	s_waitcnt lgkmcnt(0)
	s_barrier
	s_waitcnt lgkmcnt(0)
                                        ; implicit-def: $sgpr18_sgpr19
	s_and_saveexec_b64 s[4:5], s[16:17]
	s_cbranch_execz .LBB1668_487
; %bb.476:
	s_and_b64 vcc, exec, s[2:3]
	s_cbranch_vccnz .LBB1668_483
; %bb.477:
	v_mul_lo_u32 v1, v3, s12
	v_add_u32_e32 v3, -8, v40
	ds_read_b64 v[22:23], v3
	v_mul_lo_u32 v24, v2, s13
	v_mad_u64_u32 v[2:3], s[2:3], v2, s12, 0
	v_add3_u32 v3, v3, v24, v1
	s_waitcnt lgkmcnt(0)
	v_mul_lo_u32 v1, v23, s12
	v_mul_lo_u32 v23, v22, s13
	v_mad_u64_u32 v[24:25], s[2:3], v22, s12, 0
	v_add3_u32 v25, v25, v23, v1
	v_lshl_add_u64 v[22:23], v[2:3], 3, s[14:15]
	v_lshl_add_u64 v[2:3], v[24:25], 3, s[14:15]
	global_load_dwordx2 v[24:25], v[22:23], off
	global_load_dwordx2 v[26:27], v[2:3], off
	s_mov_b64 s[14:15], -1
	s_waitcnt vmcnt(0)
	v_cmp_eq_u64_e32 vcc, v[24:25], v[26:27]
	s_and_saveexec_b64 s[2:3], vcc
	s_cbranch_execz .LBB1668_485
; %bb.478:
	s_add_u32 s14, s12, -1
	v_lshl_add_u64 v[2:3], v[2:3], 0, 8
	v_lshl_add_u64 v[22:23], v[22:23], 0, 8
	s_addc_u32 s15, s13, -1
	s_mov_b64 s[16:17], 0
	s_mov_b64 s[24:25], 0
                                        ; implicit-def: $sgpr18_sgpr19
	s_branch .LBB1668_481
.LBB1668_479:                           ;   in Loop: Header=BB1668_481 Depth=1
	global_load_dwordx2 v[24:25], v[22:23], off
	global_load_dwordx2 v[26:27], v[2:3], off
	s_add_u32 s24, s24, 1
	s_addc_u32 s25, s25, 0
	s_andn2_b64 s[18:19], s[18:19], exec
	v_lshl_add_u64 v[2:3], v[2:3], 0, 8
	v_lshl_add_u64 v[22:23], v[22:23], 0, 8
	s_waitcnt vmcnt(0)
	v_cmp_ne_u64_e32 vcc, v[24:25], v[26:27]
	s_and_b64 s[26:27], vcc, exec
	s_or_b64 s[18:19], s[18:19], s[26:27]
.LBB1668_480:                           ;   in Loop: Header=BB1668_481 Depth=1
	s_and_b64 s[26:27], exec, s[18:19]
	s_or_b64 s[16:17], s[26:27], s[16:17]
	v_mov_b64_e32 v[24:25], s[24:25]
	s_andn2_b64 exec, exec, s[16:17]
	s_cbranch_execz .LBB1668_484
.LBB1668_481:                           ; =>This Inner Loop Header: Depth=1
	s_or_b64 s[18:19], s[18:19], exec
	s_cmp_eq_u64 s[14:15], s[24:25]
	s_cbranch_scc0 .LBB1668_479
; %bb.482:                              ;   in Loop: Header=BB1668_481 Depth=1
                                        ; implicit-def: $vgpr2_vgpr3
                                        ; implicit-def: $vgpr22_vgpr23
	s_mov_b64 s[24:25], s[12:13]
	s_branch .LBB1668_480
.LBB1668_483:
	s_mov_b64 s[14:15], 0
	s_branch .LBB1668_486
.LBB1668_484:
	s_or_b64 exec, exec, s[16:17]
	v_cmp_gt_i64_e32 vcc, s[12:13], v[24:25]
	s_orn2_b64 s[14:15], vcc, exec
.LBB1668_485:
	s_or_b64 exec, exec, s[2:3]
.LBB1668_486:
	s_and_b64 s[18:19], s[14:15], exec
	s_or_b64 s[22:23], s[22:23], exec
.LBB1668_487:
	s_or_b64 exec, exec, s[4:5]
	v_mov_b64_e32 v[42:43], v[36:37]
	v_mov_b64_e32 v[44:45], v[20:21]
	v_mov_b64_e32 v[38:39], v[18:19]
	v_mov_b64_e32 v[58:59], v[4:5]
	v_mov_b64_e32 v[56:57], v[6:7]
	v_mov_b64_e32 v[54:55], v[8:9]
	v_mov_b64_e32 v[52:53], v[10:11]
	v_mov_b64_e32 v[50:51], v[12:13]
	v_mov_b64_e32 v[48:49], v[14:15]
	v_mov_b64_e32 v[46:47], v[16:17]
	v_mov_b64_e32 v[60:61], v[20:21]
	v_mov_b64_e32 v[22:23], v[18:19]
	v_mov_b64_e32 v[68:69], v[4:5]
	v_mov_b64_e32 v[62:63], v[6:7]
	v_mov_b64_e32 v[34:35], v[8:9]
	v_mov_b64_e32 v[64:65], v[10:11]
	v_mov_b64_e32 v[30:31], v[12:13]
	v_mov_b64_e32 v[66:67], v[14:15]
	v_mov_b64_e32 v[26:27], v[16:17]
.LBB1668_488:
	s_and_saveexec_b64 s[2:3], s[22:23]
	s_cbranch_execz .LBB1668_490
; %bb.489:
	s_mov_b32 s4, 0
	v_cndmask_b32_e64 v2, 0, 1, s[18:19]
	v_mov_b32_e32 v3, s4
	v_mov_b64_e32 v[26:27], v[46:47]
	v_mov_b64_e32 v[66:67], v[48:49]
	;; [unrolled: 1-line block ×7, first 2 shown]
	s_waitcnt lgkmcnt(0)
	v_mov_b64_e32 v[22:23], v[38:39]
	v_mov_b64_e32 v[60:61], v[44:45]
.LBB1668_490:
	s_or_b64 exec, exec, s[2:3]
	s_add_u32 s4, s8, s6
	s_addc_u32 s5, s9, s7
	s_and_b64 vcc, exec, s[0:1]
	s_waitcnt lgkmcnt(0)
	s_barrier
	s_cbranch_vccz .LBB1668_512
; %bb.491:
	s_movk_i32 s2, 0x58
	v_mul_u32_u24_e32 v1, 0x58, v0
	v_mov_b32_e32 v4, v68
	v_mov_b32_e32 v5, v69
	v_mul_i32_i24_e32 v24, 0xffffffb0, v0
	ds_write2_b64 v1, v[2:3], v[4:5] offset1:1
	ds_write2_b64 v1, v[62:63], v[34:35] offset0:2 offset1:3
	ds_write2_b64 v1, v[64:65], v[30:31] offset0:4 offset1:5
	;; [unrolled: 1-line block ×4, first 2 shown]
	ds_write_b64 v1, v[42:43] offset:80
	v_mad_u32_u24 v4, v0, s2, v24
	s_waitcnt lgkmcnt(0)
	s_barrier
	ds_read2st64_b64 v[36:39], v4 offset0:4 offset1:8
	ds_read2st64_b64 v[16:19], v4 offset0:12 offset1:16
	ds_read2st64_b64 v[12:15], v4 offset0:20 offset1:24
	ds_read2st64_b64 v[8:11], v4 offset0:28 offset1:32
	ds_read2st64_b64 v[4:7], v4 offset0:36 offset1:40
	s_mov_b32 s21, 0
	s_add_i32 s11, s11, s10
	s_lshl_b64 s[0:1], s[20:21], 3
	s_add_u32 s0, s4, s0
	s_addc_u32 s1, s5, s1
	v_mov_b32_e32 v41, 0
	v_lshl_add_u64 v[20:21], s[0:1], 0, v[40:41]
	v_cmp_gt_u32_e32 vcc, s11, v0
	s_and_saveexec_b64 s[0:1], vcc
	s_cbranch_execz .LBB1668_493
; %bb.492:
	v_add_u32_e32 v1, v1, v24
	ds_read_b64 v[24:25], v1
	s_waitcnt lgkmcnt(0)
	global_store_dwordx2 v[20:21], v[24:25], off
.LBB1668_493:
	s_or_b64 exec, exec, s[0:1]
	v_or_b32_e32 v1, 0x100, v0
	v_cmp_gt_u32_e32 vcc, s11, v1
	s_and_saveexec_b64 s[0:1], vcc
	s_cbranch_execz .LBB1668_495
; %bb.494:
	s_waitcnt lgkmcnt(4)
	global_store_dwordx2 v[20:21], v[36:37], off offset:2048
.LBB1668_495:
	s_or_b64 exec, exec, s[0:1]
	v_or_b32_e32 v1, 0x200, v0
	v_cmp_gt_u32_e32 vcc, s11, v1
	s_and_saveexec_b64 s[0:1], vcc
	s_cbranch_execz .LBB1668_497
; %bb.496:
	v_add_co_u32_e32 v24, vcc, 0x1000, v20
	s_nop 1
	v_addc_co_u32_e32 v25, vcc, 0, v21, vcc
	s_waitcnt lgkmcnt(4)
	global_store_dwordx2 v[24:25], v[38:39], off
.LBB1668_497:
	s_or_b64 exec, exec, s[0:1]
	v_or_b32_e32 v1, 0x300, v0
	v_cmp_gt_u32_e32 vcc, s11, v1
	s_and_saveexec_b64 s[0:1], vcc
	s_cbranch_execz .LBB1668_499
; %bb.498:
	v_add_co_u32_e32 v24, vcc, 0x1000, v20
	s_nop 1
	v_addc_co_u32_e32 v25, vcc, 0, v21, vcc
	s_waitcnt lgkmcnt(3)
	global_store_dwordx2 v[24:25], v[16:17], off offset:2048
.LBB1668_499:
	s_or_b64 exec, exec, s[0:1]
	v_or_b32_e32 v1, 0x400, v0
	v_cmp_gt_u32_e32 vcc, s11, v1
	s_and_saveexec_b64 s[0:1], vcc
	s_cbranch_execz .LBB1668_501
; %bb.500:
	s_waitcnt lgkmcnt(3)
	v_add_co_u32_e32 v16, vcc, 0x2000, v20
	s_nop 1
	v_addc_co_u32_e32 v17, vcc, 0, v21, vcc
	global_store_dwordx2 v[16:17], v[18:19], off
.LBB1668_501:
	s_or_b64 exec, exec, s[0:1]
	v_or_b32_e32 v1, 0x500, v0
	v_cmp_gt_u32_e32 vcc, s11, v1
	s_and_saveexec_b64 s[0:1], vcc
	s_cbranch_execz .LBB1668_503
; %bb.502:
	s_waitcnt lgkmcnt(3)
	v_add_co_u32_e32 v16, vcc, 0x2000, v20
	s_nop 1
	v_addc_co_u32_e32 v17, vcc, 0, v21, vcc
	s_waitcnt lgkmcnt(2)
	global_store_dwordx2 v[16:17], v[12:13], off offset:2048
.LBB1668_503:
	s_or_b64 exec, exec, s[0:1]
	v_or_b32_e32 v1, 0x600, v0
	v_cmp_gt_u32_e32 vcc, s11, v1
	s_and_saveexec_b64 s[0:1], vcc
	s_cbranch_execz .LBB1668_505
; %bb.504:
	s_waitcnt lgkmcnt(2)
	v_add_co_u32_e32 v12, vcc, 0x3000, v20
	s_nop 1
	v_addc_co_u32_e32 v13, vcc, 0, v21, vcc
	global_store_dwordx2 v[12:13], v[14:15], off
.LBB1668_505:
	s_or_b64 exec, exec, s[0:1]
	v_or_b32_e32 v1, 0x700, v0
	v_cmp_gt_u32_e32 vcc, s11, v1
	s_and_saveexec_b64 s[0:1], vcc
	s_cbranch_execz .LBB1668_507
; %bb.506:
	s_waitcnt lgkmcnt(2)
	v_add_co_u32_e32 v12, vcc, 0x3000, v20
	s_nop 1
	v_addc_co_u32_e32 v13, vcc, 0, v21, vcc
	s_waitcnt lgkmcnt(1)
	global_store_dwordx2 v[12:13], v[8:9], off offset:2048
.LBB1668_507:
	;; [unrolled: 25-line block ×3, first 2 shown]
	s_or_b64 exec, exec, s[0:1]
	v_or_b32_e32 v1, 0xa00, v0
	v_cmp_gt_u32_e64 s[0:1], s11, v1
	s_branch .LBB1668_514
.LBB1668_512:
	s_mov_b64 s[0:1], 0
                                        ; implicit-def: $vgpr6_vgpr7
                                        ; implicit-def: $vgpr20_vgpr21
	s_cbranch_execz .LBB1668_514
; %bb.513:
	s_mov_b32 s21, 0
	s_lshl_b64 s[2:3], s[20:21], 3
	v_mul_u32_u24_e32 v1, 0x58, v0
	s_add_u32 s2, s4, s2
	s_movk_i32 s4, 0x58
	ds_write2_b64 v1, v[2:3], v[68:69] offset1:1
	ds_write2_b64 v1, v[62:63], v[34:35] offset0:2 offset1:3
	ds_write2_b64 v1, v[64:65], v[30:31] offset0:4 offset1:5
	;; [unrolled: 1-line block ×4, first 2 shown]
	ds_write_b64 v1, v[42:43] offset:80
	v_mul_i32_i24_e32 v1, 0xffffffb0, v0
	s_addc_u32 s3, s5, s3
	s_waitcnt lgkmcnt(6)
	v_mad_u32_u24 v4, v0, s4, v1
	v_mov_b32_e32 v41, 0
	s_waitcnt lgkmcnt(0)
	s_barrier
	ds_read2st64_b64 v[0:3], v4 offset1:4
	ds_read2st64_b64 v[8:11], v4 offset0:8 offset1:12
	ds_read2st64_b64 v[12:15], v4 offset0:16 offset1:20
	;; [unrolled: 1-line block ×4, first 2 shown]
	ds_read_b64 v[6:7], v4 offset:20480
	v_lshl_add_u64 v[20:21], s[2:3], 0, v[40:41]
	s_waitcnt lgkmcnt(5)
	global_store_dwordx2 v40, v[0:1], s[2:3]
	global_store_dwordx2 v40, v[2:3], s[2:3] offset:2048
	s_movk_i32 s2, 0x1000
	v_add_co_u32_e32 v0, vcc, s2, v20
	s_movk_i32 s2, 0x2000
	s_nop 0
	v_addc_co_u32_e32 v1, vcc, 0, v21, vcc
	v_add_co_u32_e32 v2, vcc, s2, v20
	s_or_b64 s[0:1], s[0:1], exec
	s_nop 0
	v_addc_co_u32_e32 v3, vcc, 0, v21, vcc
	s_waitcnt lgkmcnt(4)
	global_store_dwordx2 v[2:3], v[8:9], off offset:-4096
	global_store_dwordx2 v[0:1], v[10:11], off offset:2048
	s_waitcnt lgkmcnt(3)
	global_store_dwordx2 v[2:3], v[12:13], off
	global_store_dwordx2 v[2:3], v[14:15], off offset:2048
	v_add_co_u32_e32 v0, vcc, 0x3000, v20
	s_nop 1
	v_addc_co_u32_e32 v1, vcc, 0, v21, vcc
	s_waitcnt lgkmcnt(2)
	global_store_dwordx2 v[0:1], v[16:17], off
	global_store_dwordx2 v[0:1], v[18:19], off offset:2048
	v_add_co_u32_e32 v0, vcc, 0x4000, v20
	s_nop 1
	v_addc_co_u32_e32 v1, vcc, 0, v21, vcc
	s_waitcnt lgkmcnt(1)
	global_store_dwordx2 v[0:1], v[22:23], off
	global_store_dwordx2 v[0:1], v[24:25], off offset:2048
.LBB1668_514:
	s_and_saveexec_b64 s[2:3], s[0:1]
	s_cbranch_execnz .LBB1668_516
; %bb.515:
	s_endpgm
.LBB1668_516:
	v_add_co_u32_e32 v0, vcc, 0x5000, v20
	s_nop 1
	v_addc_co_u32_e32 v1, vcc, 0, v21, vcc
	s_waitcnt lgkmcnt(0)
	global_store_dwordx2 v[0:1], v[6:7], off
	s_endpgm
	.section	.rodata,"a",@progbits
	.p2align	6, 0x0
	.amdhsa_kernel _ZN7rocprim17ROCPRIM_400000_NS6detail17trampoline_kernelINS0_14default_configENS1_35adjacent_difference_config_selectorILb1ElEEZNS1_24adjacent_difference_implIS3_Lb1ELb0EPlS7_ZN2at6native12_GLOBAL__N_124unique_dim_cuda_templateImEESt5tupleIJNS8_6TensorESD_SD_EERKSD_lbbbEUlllE1_EE10hipError_tPvRmT2_T3_mT4_P12ihipStream_tbEUlT_E_NS1_11comp_targetILNS1_3genE5ELNS1_11target_archE942ELNS1_3gpuE9ELNS1_3repE0EEENS1_30default_config_static_selectorELNS0_4arch9wavefront6targetE1EEEvT1_
		.amdhsa_group_segment_fixed_size 22528
		.amdhsa_private_segment_fixed_size 0
		.amdhsa_kernarg_size 64
		.amdhsa_user_sgpr_count 2
		.amdhsa_user_sgpr_dispatch_ptr 0
		.amdhsa_user_sgpr_queue_ptr 0
		.amdhsa_user_sgpr_kernarg_segment_ptr 1
		.amdhsa_user_sgpr_dispatch_id 0
		.amdhsa_user_sgpr_kernarg_preload_length 0
		.amdhsa_user_sgpr_kernarg_preload_offset 0
		.amdhsa_user_sgpr_private_segment_size 0
		.amdhsa_uses_dynamic_stack 0
		.amdhsa_enable_private_segment 0
		.amdhsa_system_sgpr_workgroup_id_x 1
		.amdhsa_system_sgpr_workgroup_id_y 0
		.amdhsa_system_sgpr_workgroup_id_z 0
		.amdhsa_system_sgpr_workgroup_info 0
		.amdhsa_system_vgpr_workitem_id 0
		.amdhsa_next_free_vgpr 70
		.amdhsa_next_free_sgpr 38
		.amdhsa_accum_offset 72
		.amdhsa_reserve_vcc 1
		.amdhsa_float_round_mode_32 0
		.amdhsa_float_round_mode_16_64 0
		.amdhsa_float_denorm_mode_32 3
		.amdhsa_float_denorm_mode_16_64 3
		.amdhsa_dx10_clamp 1
		.amdhsa_ieee_mode 1
		.amdhsa_fp16_overflow 0
		.amdhsa_tg_split 0
		.amdhsa_exception_fp_ieee_invalid_op 0
		.amdhsa_exception_fp_denorm_src 0
		.amdhsa_exception_fp_ieee_div_zero 0
		.amdhsa_exception_fp_ieee_overflow 0
		.amdhsa_exception_fp_ieee_underflow 0
		.amdhsa_exception_fp_ieee_inexact 0
		.amdhsa_exception_int_div_zero 0
	.end_amdhsa_kernel
	.section	.text._ZN7rocprim17ROCPRIM_400000_NS6detail17trampoline_kernelINS0_14default_configENS1_35adjacent_difference_config_selectorILb1ElEEZNS1_24adjacent_difference_implIS3_Lb1ELb0EPlS7_ZN2at6native12_GLOBAL__N_124unique_dim_cuda_templateImEESt5tupleIJNS8_6TensorESD_SD_EERKSD_lbbbEUlllE1_EE10hipError_tPvRmT2_T3_mT4_P12ihipStream_tbEUlT_E_NS1_11comp_targetILNS1_3genE5ELNS1_11target_archE942ELNS1_3gpuE9ELNS1_3repE0EEENS1_30default_config_static_selectorELNS0_4arch9wavefront6targetE1EEEvT1_,"axG",@progbits,_ZN7rocprim17ROCPRIM_400000_NS6detail17trampoline_kernelINS0_14default_configENS1_35adjacent_difference_config_selectorILb1ElEEZNS1_24adjacent_difference_implIS3_Lb1ELb0EPlS7_ZN2at6native12_GLOBAL__N_124unique_dim_cuda_templateImEESt5tupleIJNS8_6TensorESD_SD_EERKSD_lbbbEUlllE1_EE10hipError_tPvRmT2_T3_mT4_P12ihipStream_tbEUlT_E_NS1_11comp_targetILNS1_3genE5ELNS1_11target_archE942ELNS1_3gpuE9ELNS1_3repE0EEENS1_30default_config_static_selectorELNS0_4arch9wavefront6targetE1EEEvT1_,comdat
.Lfunc_end1668:
	.size	_ZN7rocprim17ROCPRIM_400000_NS6detail17trampoline_kernelINS0_14default_configENS1_35adjacent_difference_config_selectorILb1ElEEZNS1_24adjacent_difference_implIS3_Lb1ELb0EPlS7_ZN2at6native12_GLOBAL__N_124unique_dim_cuda_templateImEESt5tupleIJNS8_6TensorESD_SD_EERKSD_lbbbEUlllE1_EE10hipError_tPvRmT2_T3_mT4_P12ihipStream_tbEUlT_E_NS1_11comp_targetILNS1_3genE5ELNS1_11target_archE942ELNS1_3gpuE9ELNS1_3repE0EEENS1_30default_config_static_selectorELNS0_4arch9wavefront6targetE1EEEvT1_, .Lfunc_end1668-_ZN7rocprim17ROCPRIM_400000_NS6detail17trampoline_kernelINS0_14default_configENS1_35adjacent_difference_config_selectorILb1ElEEZNS1_24adjacent_difference_implIS3_Lb1ELb0EPlS7_ZN2at6native12_GLOBAL__N_124unique_dim_cuda_templateImEESt5tupleIJNS8_6TensorESD_SD_EERKSD_lbbbEUlllE1_EE10hipError_tPvRmT2_T3_mT4_P12ihipStream_tbEUlT_E_NS1_11comp_targetILNS1_3genE5ELNS1_11target_archE942ELNS1_3gpuE9ELNS1_3repE0EEENS1_30default_config_static_selectorELNS0_4arch9wavefront6targetE1EEEvT1_
                                        ; -- End function
	.section	.AMDGPU.csdata,"",@progbits
; Kernel info:
; codeLenInByte = 15780
; NumSgprs: 44
; NumVgprs: 70
; NumAgprs: 0
; TotalNumVgprs: 70
; ScratchSize: 0
; MemoryBound: 1
; FloatMode: 240
; IeeeMode: 1
; LDSByteSize: 22528 bytes/workgroup (compile time only)
; SGPRBlocks: 5
; VGPRBlocks: 8
; NumSGPRsForWavesPerEU: 44
; NumVGPRsForWavesPerEU: 70
; AccumOffset: 72
; Occupancy: 2
; WaveLimiterHint : 1
; COMPUTE_PGM_RSRC2:SCRATCH_EN: 0
; COMPUTE_PGM_RSRC2:USER_SGPR: 2
; COMPUTE_PGM_RSRC2:TRAP_HANDLER: 0
; COMPUTE_PGM_RSRC2:TGID_X_EN: 1
; COMPUTE_PGM_RSRC2:TGID_Y_EN: 0
; COMPUTE_PGM_RSRC2:TGID_Z_EN: 0
; COMPUTE_PGM_RSRC2:TIDIG_COMP_CNT: 0
; COMPUTE_PGM_RSRC3_GFX90A:ACCUM_OFFSET: 17
; COMPUTE_PGM_RSRC3_GFX90A:TG_SPLIT: 0
	.section	.text._ZN7rocprim17ROCPRIM_400000_NS6detail17trampoline_kernelINS0_14default_configENS1_35adjacent_difference_config_selectorILb1ElEEZNS1_24adjacent_difference_implIS3_Lb1ELb0EPlS7_ZN2at6native12_GLOBAL__N_124unique_dim_cuda_templateImEESt5tupleIJNS8_6TensorESD_SD_EERKSD_lbbbEUlllE1_EE10hipError_tPvRmT2_T3_mT4_P12ihipStream_tbEUlT_E_NS1_11comp_targetILNS1_3genE4ELNS1_11target_archE910ELNS1_3gpuE8ELNS1_3repE0EEENS1_30default_config_static_selectorELNS0_4arch9wavefront6targetE1EEEvT1_,"axG",@progbits,_ZN7rocprim17ROCPRIM_400000_NS6detail17trampoline_kernelINS0_14default_configENS1_35adjacent_difference_config_selectorILb1ElEEZNS1_24adjacent_difference_implIS3_Lb1ELb0EPlS7_ZN2at6native12_GLOBAL__N_124unique_dim_cuda_templateImEESt5tupleIJNS8_6TensorESD_SD_EERKSD_lbbbEUlllE1_EE10hipError_tPvRmT2_T3_mT4_P12ihipStream_tbEUlT_E_NS1_11comp_targetILNS1_3genE4ELNS1_11target_archE910ELNS1_3gpuE8ELNS1_3repE0EEENS1_30default_config_static_selectorELNS0_4arch9wavefront6targetE1EEEvT1_,comdat
	.globl	_ZN7rocprim17ROCPRIM_400000_NS6detail17trampoline_kernelINS0_14default_configENS1_35adjacent_difference_config_selectorILb1ElEEZNS1_24adjacent_difference_implIS3_Lb1ELb0EPlS7_ZN2at6native12_GLOBAL__N_124unique_dim_cuda_templateImEESt5tupleIJNS8_6TensorESD_SD_EERKSD_lbbbEUlllE1_EE10hipError_tPvRmT2_T3_mT4_P12ihipStream_tbEUlT_E_NS1_11comp_targetILNS1_3genE4ELNS1_11target_archE910ELNS1_3gpuE8ELNS1_3repE0EEENS1_30default_config_static_selectorELNS0_4arch9wavefront6targetE1EEEvT1_ ; -- Begin function _ZN7rocprim17ROCPRIM_400000_NS6detail17trampoline_kernelINS0_14default_configENS1_35adjacent_difference_config_selectorILb1ElEEZNS1_24adjacent_difference_implIS3_Lb1ELb0EPlS7_ZN2at6native12_GLOBAL__N_124unique_dim_cuda_templateImEESt5tupleIJNS8_6TensorESD_SD_EERKSD_lbbbEUlllE1_EE10hipError_tPvRmT2_T3_mT4_P12ihipStream_tbEUlT_E_NS1_11comp_targetILNS1_3genE4ELNS1_11target_archE910ELNS1_3gpuE8ELNS1_3repE0EEENS1_30default_config_static_selectorELNS0_4arch9wavefront6targetE1EEEvT1_
	.p2align	8
	.type	_ZN7rocprim17ROCPRIM_400000_NS6detail17trampoline_kernelINS0_14default_configENS1_35adjacent_difference_config_selectorILb1ElEEZNS1_24adjacent_difference_implIS3_Lb1ELb0EPlS7_ZN2at6native12_GLOBAL__N_124unique_dim_cuda_templateImEESt5tupleIJNS8_6TensorESD_SD_EERKSD_lbbbEUlllE1_EE10hipError_tPvRmT2_T3_mT4_P12ihipStream_tbEUlT_E_NS1_11comp_targetILNS1_3genE4ELNS1_11target_archE910ELNS1_3gpuE8ELNS1_3repE0EEENS1_30default_config_static_selectorELNS0_4arch9wavefront6targetE1EEEvT1_,@function
_ZN7rocprim17ROCPRIM_400000_NS6detail17trampoline_kernelINS0_14default_configENS1_35adjacent_difference_config_selectorILb1ElEEZNS1_24adjacent_difference_implIS3_Lb1ELb0EPlS7_ZN2at6native12_GLOBAL__N_124unique_dim_cuda_templateImEESt5tupleIJNS8_6TensorESD_SD_EERKSD_lbbbEUlllE1_EE10hipError_tPvRmT2_T3_mT4_P12ihipStream_tbEUlT_E_NS1_11comp_targetILNS1_3genE4ELNS1_11target_archE910ELNS1_3gpuE8ELNS1_3repE0EEENS1_30default_config_static_selectorELNS0_4arch9wavefront6targetE1EEEvT1_: ; @_ZN7rocprim17ROCPRIM_400000_NS6detail17trampoline_kernelINS0_14default_configENS1_35adjacent_difference_config_selectorILb1ElEEZNS1_24adjacent_difference_implIS3_Lb1ELb0EPlS7_ZN2at6native12_GLOBAL__N_124unique_dim_cuda_templateImEESt5tupleIJNS8_6TensorESD_SD_EERKSD_lbbbEUlllE1_EE10hipError_tPvRmT2_T3_mT4_P12ihipStream_tbEUlT_E_NS1_11comp_targetILNS1_3genE4ELNS1_11target_archE910ELNS1_3gpuE8ELNS1_3repE0EEENS1_30default_config_static_selectorELNS0_4arch9wavefront6targetE1EEEvT1_
; %bb.0:
	.section	.rodata,"a",@progbits
	.p2align	6, 0x0
	.amdhsa_kernel _ZN7rocprim17ROCPRIM_400000_NS6detail17trampoline_kernelINS0_14default_configENS1_35adjacent_difference_config_selectorILb1ElEEZNS1_24adjacent_difference_implIS3_Lb1ELb0EPlS7_ZN2at6native12_GLOBAL__N_124unique_dim_cuda_templateImEESt5tupleIJNS8_6TensorESD_SD_EERKSD_lbbbEUlllE1_EE10hipError_tPvRmT2_T3_mT4_P12ihipStream_tbEUlT_E_NS1_11comp_targetILNS1_3genE4ELNS1_11target_archE910ELNS1_3gpuE8ELNS1_3repE0EEENS1_30default_config_static_selectorELNS0_4arch9wavefront6targetE1EEEvT1_
		.amdhsa_group_segment_fixed_size 0
		.amdhsa_private_segment_fixed_size 0
		.amdhsa_kernarg_size 64
		.amdhsa_user_sgpr_count 2
		.amdhsa_user_sgpr_dispatch_ptr 0
		.amdhsa_user_sgpr_queue_ptr 0
		.amdhsa_user_sgpr_kernarg_segment_ptr 1
		.amdhsa_user_sgpr_dispatch_id 0
		.amdhsa_user_sgpr_kernarg_preload_length 0
		.amdhsa_user_sgpr_kernarg_preload_offset 0
		.amdhsa_user_sgpr_private_segment_size 0
		.amdhsa_uses_dynamic_stack 0
		.amdhsa_enable_private_segment 0
		.amdhsa_system_sgpr_workgroup_id_x 1
		.amdhsa_system_sgpr_workgroup_id_y 0
		.amdhsa_system_sgpr_workgroup_id_z 0
		.amdhsa_system_sgpr_workgroup_info 0
		.amdhsa_system_vgpr_workitem_id 0
		.amdhsa_next_free_vgpr 1
		.amdhsa_next_free_sgpr 0
		.amdhsa_accum_offset 4
		.amdhsa_reserve_vcc 0
		.amdhsa_float_round_mode_32 0
		.amdhsa_float_round_mode_16_64 0
		.amdhsa_float_denorm_mode_32 3
		.amdhsa_float_denorm_mode_16_64 3
		.amdhsa_dx10_clamp 1
		.amdhsa_ieee_mode 1
		.amdhsa_fp16_overflow 0
		.amdhsa_tg_split 0
		.amdhsa_exception_fp_ieee_invalid_op 0
		.amdhsa_exception_fp_denorm_src 0
		.amdhsa_exception_fp_ieee_div_zero 0
		.amdhsa_exception_fp_ieee_overflow 0
		.amdhsa_exception_fp_ieee_underflow 0
		.amdhsa_exception_fp_ieee_inexact 0
		.amdhsa_exception_int_div_zero 0
	.end_amdhsa_kernel
	.section	.text._ZN7rocprim17ROCPRIM_400000_NS6detail17trampoline_kernelINS0_14default_configENS1_35adjacent_difference_config_selectorILb1ElEEZNS1_24adjacent_difference_implIS3_Lb1ELb0EPlS7_ZN2at6native12_GLOBAL__N_124unique_dim_cuda_templateImEESt5tupleIJNS8_6TensorESD_SD_EERKSD_lbbbEUlllE1_EE10hipError_tPvRmT2_T3_mT4_P12ihipStream_tbEUlT_E_NS1_11comp_targetILNS1_3genE4ELNS1_11target_archE910ELNS1_3gpuE8ELNS1_3repE0EEENS1_30default_config_static_selectorELNS0_4arch9wavefront6targetE1EEEvT1_,"axG",@progbits,_ZN7rocprim17ROCPRIM_400000_NS6detail17trampoline_kernelINS0_14default_configENS1_35adjacent_difference_config_selectorILb1ElEEZNS1_24adjacent_difference_implIS3_Lb1ELb0EPlS7_ZN2at6native12_GLOBAL__N_124unique_dim_cuda_templateImEESt5tupleIJNS8_6TensorESD_SD_EERKSD_lbbbEUlllE1_EE10hipError_tPvRmT2_T3_mT4_P12ihipStream_tbEUlT_E_NS1_11comp_targetILNS1_3genE4ELNS1_11target_archE910ELNS1_3gpuE8ELNS1_3repE0EEENS1_30default_config_static_selectorELNS0_4arch9wavefront6targetE1EEEvT1_,comdat
.Lfunc_end1669:
	.size	_ZN7rocprim17ROCPRIM_400000_NS6detail17trampoline_kernelINS0_14default_configENS1_35adjacent_difference_config_selectorILb1ElEEZNS1_24adjacent_difference_implIS3_Lb1ELb0EPlS7_ZN2at6native12_GLOBAL__N_124unique_dim_cuda_templateImEESt5tupleIJNS8_6TensorESD_SD_EERKSD_lbbbEUlllE1_EE10hipError_tPvRmT2_T3_mT4_P12ihipStream_tbEUlT_E_NS1_11comp_targetILNS1_3genE4ELNS1_11target_archE910ELNS1_3gpuE8ELNS1_3repE0EEENS1_30default_config_static_selectorELNS0_4arch9wavefront6targetE1EEEvT1_, .Lfunc_end1669-_ZN7rocprim17ROCPRIM_400000_NS6detail17trampoline_kernelINS0_14default_configENS1_35adjacent_difference_config_selectorILb1ElEEZNS1_24adjacent_difference_implIS3_Lb1ELb0EPlS7_ZN2at6native12_GLOBAL__N_124unique_dim_cuda_templateImEESt5tupleIJNS8_6TensorESD_SD_EERKSD_lbbbEUlllE1_EE10hipError_tPvRmT2_T3_mT4_P12ihipStream_tbEUlT_E_NS1_11comp_targetILNS1_3genE4ELNS1_11target_archE910ELNS1_3gpuE8ELNS1_3repE0EEENS1_30default_config_static_selectorELNS0_4arch9wavefront6targetE1EEEvT1_
                                        ; -- End function
	.section	.AMDGPU.csdata,"",@progbits
; Kernel info:
; codeLenInByte = 0
; NumSgprs: 6
; NumVgprs: 0
; NumAgprs: 0
; TotalNumVgprs: 0
; ScratchSize: 0
; MemoryBound: 0
; FloatMode: 240
; IeeeMode: 1
; LDSByteSize: 0 bytes/workgroup (compile time only)
; SGPRBlocks: 0
; VGPRBlocks: 0
; NumSGPRsForWavesPerEU: 6
; NumVGPRsForWavesPerEU: 1
; AccumOffset: 4
; Occupancy: 8
; WaveLimiterHint : 0
; COMPUTE_PGM_RSRC2:SCRATCH_EN: 0
; COMPUTE_PGM_RSRC2:USER_SGPR: 2
; COMPUTE_PGM_RSRC2:TRAP_HANDLER: 0
; COMPUTE_PGM_RSRC2:TGID_X_EN: 1
; COMPUTE_PGM_RSRC2:TGID_Y_EN: 0
; COMPUTE_PGM_RSRC2:TGID_Z_EN: 0
; COMPUTE_PGM_RSRC2:TIDIG_COMP_CNT: 0
; COMPUTE_PGM_RSRC3_GFX90A:ACCUM_OFFSET: 0
; COMPUTE_PGM_RSRC3_GFX90A:TG_SPLIT: 0
	.section	.text._ZN7rocprim17ROCPRIM_400000_NS6detail17trampoline_kernelINS0_14default_configENS1_35adjacent_difference_config_selectorILb1ElEEZNS1_24adjacent_difference_implIS3_Lb1ELb0EPlS7_ZN2at6native12_GLOBAL__N_124unique_dim_cuda_templateImEESt5tupleIJNS8_6TensorESD_SD_EERKSD_lbbbEUlllE1_EE10hipError_tPvRmT2_T3_mT4_P12ihipStream_tbEUlT_E_NS1_11comp_targetILNS1_3genE3ELNS1_11target_archE908ELNS1_3gpuE7ELNS1_3repE0EEENS1_30default_config_static_selectorELNS0_4arch9wavefront6targetE1EEEvT1_,"axG",@progbits,_ZN7rocprim17ROCPRIM_400000_NS6detail17trampoline_kernelINS0_14default_configENS1_35adjacent_difference_config_selectorILb1ElEEZNS1_24adjacent_difference_implIS3_Lb1ELb0EPlS7_ZN2at6native12_GLOBAL__N_124unique_dim_cuda_templateImEESt5tupleIJNS8_6TensorESD_SD_EERKSD_lbbbEUlllE1_EE10hipError_tPvRmT2_T3_mT4_P12ihipStream_tbEUlT_E_NS1_11comp_targetILNS1_3genE3ELNS1_11target_archE908ELNS1_3gpuE7ELNS1_3repE0EEENS1_30default_config_static_selectorELNS0_4arch9wavefront6targetE1EEEvT1_,comdat
	.globl	_ZN7rocprim17ROCPRIM_400000_NS6detail17trampoline_kernelINS0_14default_configENS1_35adjacent_difference_config_selectorILb1ElEEZNS1_24adjacent_difference_implIS3_Lb1ELb0EPlS7_ZN2at6native12_GLOBAL__N_124unique_dim_cuda_templateImEESt5tupleIJNS8_6TensorESD_SD_EERKSD_lbbbEUlllE1_EE10hipError_tPvRmT2_T3_mT4_P12ihipStream_tbEUlT_E_NS1_11comp_targetILNS1_3genE3ELNS1_11target_archE908ELNS1_3gpuE7ELNS1_3repE0EEENS1_30default_config_static_selectorELNS0_4arch9wavefront6targetE1EEEvT1_ ; -- Begin function _ZN7rocprim17ROCPRIM_400000_NS6detail17trampoline_kernelINS0_14default_configENS1_35adjacent_difference_config_selectorILb1ElEEZNS1_24adjacent_difference_implIS3_Lb1ELb0EPlS7_ZN2at6native12_GLOBAL__N_124unique_dim_cuda_templateImEESt5tupleIJNS8_6TensorESD_SD_EERKSD_lbbbEUlllE1_EE10hipError_tPvRmT2_T3_mT4_P12ihipStream_tbEUlT_E_NS1_11comp_targetILNS1_3genE3ELNS1_11target_archE908ELNS1_3gpuE7ELNS1_3repE0EEENS1_30default_config_static_selectorELNS0_4arch9wavefront6targetE1EEEvT1_
	.p2align	8
	.type	_ZN7rocprim17ROCPRIM_400000_NS6detail17trampoline_kernelINS0_14default_configENS1_35adjacent_difference_config_selectorILb1ElEEZNS1_24adjacent_difference_implIS3_Lb1ELb0EPlS7_ZN2at6native12_GLOBAL__N_124unique_dim_cuda_templateImEESt5tupleIJNS8_6TensorESD_SD_EERKSD_lbbbEUlllE1_EE10hipError_tPvRmT2_T3_mT4_P12ihipStream_tbEUlT_E_NS1_11comp_targetILNS1_3genE3ELNS1_11target_archE908ELNS1_3gpuE7ELNS1_3repE0EEENS1_30default_config_static_selectorELNS0_4arch9wavefront6targetE1EEEvT1_,@function
_ZN7rocprim17ROCPRIM_400000_NS6detail17trampoline_kernelINS0_14default_configENS1_35adjacent_difference_config_selectorILb1ElEEZNS1_24adjacent_difference_implIS3_Lb1ELb0EPlS7_ZN2at6native12_GLOBAL__N_124unique_dim_cuda_templateImEESt5tupleIJNS8_6TensorESD_SD_EERKSD_lbbbEUlllE1_EE10hipError_tPvRmT2_T3_mT4_P12ihipStream_tbEUlT_E_NS1_11comp_targetILNS1_3genE3ELNS1_11target_archE908ELNS1_3gpuE7ELNS1_3repE0EEENS1_30default_config_static_selectorELNS0_4arch9wavefront6targetE1EEEvT1_: ; @_ZN7rocprim17ROCPRIM_400000_NS6detail17trampoline_kernelINS0_14default_configENS1_35adjacent_difference_config_selectorILb1ElEEZNS1_24adjacent_difference_implIS3_Lb1ELb0EPlS7_ZN2at6native12_GLOBAL__N_124unique_dim_cuda_templateImEESt5tupleIJNS8_6TensorESD_SD_EERKSD_lbbbEUlllE1_EE10hipError_tPvRmT2_T3_mT4_P12ihipStream_tbEUlT_E_NS1_11comp_targetILNS1_3genE3ELNS1_11target_archE908ELNS1_3gpuE7ELNS1_3repE0EEENS1_30default_config_static_selectorELNS0_4arch9wavefront6targetE1EEEvT1_
; %bb.0:
	.section	.rodata,"a",@progbits
	.p2align	6, 0x0
	.amdhsa_kernel _ZN7rocprim17ROCPRIM_400000_NS6detail17trampoline_kernelINS0_14default_configENS1_35adjacent_difference_config_selectorILb1ElEEZNS1_24adjacent_difference_implIS3_Lb1ELb0EPlS7_ZN2at6native12_GLOBAL__N_124unique_dim_cuda_templateImEESt5tupleIJNS8_6TensorESD_SD_EERKSD_lbbbEUlllE1_EE10hipError_tPvRmT2_T3_mT4_P12ihipStream_tbEUlT_E_NS1_11comp_targetILNS1_3genE3ELNS1_11target_archE908ELNS1_3gpuE7ELNS1_3repE0EEENS1_30default_config_static_selectorELNS0_4arch9wavefront6targetE1EEEvT1_
		.amdhsa_group_segment_fixed_size 0
		.amdhsa_private_segment_fixed_size 0
		.amdhsa_kernarg_size 64
		.amdhsa_user_sgpr_count 2
		.amdhsa_user_sgpr_dispatch_ptr 0
		.amdhsa_user_sgpr_queue_ptr 0
		.amdhsa_user_sgpr_kernarg_segment_ptr 1
		.amdhsa_user_sgpr_dispatch_id 0
		.amdhsa_user_sgpr_kernarg_preload_length 0
		.amdhsa_user_sgpr_kernarg_preload_offset 0
		.amdhsa_user_sgpr_private_segment_size 0
		.amdhsa_uses_dynamic_stack 0
		.amdhsa_enable_private_segment 0
		.amdhsa_system_sgpr_workgroup_id_x 1
		.amdhsa_system_sgpr_workgroup_id_y 0
		.amdhsa_system_sgpr_workgroup_id_z 0
		.amdhsa_system_sgpr_workgroup_info 0
		.amdhsa_system_vgpr_workitem_id 0
		.amdhsa_next_free_vgpr 1
		.amdhsa_next_free_sgpr 0
		.amdhsa_accum_offset 4
		.amdhsa_reserve_vcc 0
		.amdhsa_float_round_mode_32 0
		.amdhsa_float_round_mode_16_64 0
		.amdhsa_float_denorm_mode_32 3
		.amdhsa_float_denorm_mode_16_64 3
		.amdhsa_dx10_clamp 1
		.amdhsa_ieee_mode 1
		.amdhsa_fp16_overflow 0
		.amdhsa_tg_split 0
		.amdhsa_exception_fp_ieee_invalid_op 0
		.amdhsa_exception_fp_denorm_src 0
		.amdhsa_exception_fp_ieee_div_zero 0
		.amdhsa_exception_fp_ieee_overflow 0
		.amdhsa_exception_fp_ieee_underflow 0
		.amdhsa_exception_fp_ieee_inexact 0
		.amdhsa_exception_int_div_zero 0
	.end_amdhsa_kernel
	.section	.text._ZN7rocprim17ROCPRIM_400000_NS6detail17trampoline_kernelINS0_14default_configENS1_35adjacent_difference_config_selectorILb1ElEEZNS1_24adjacent_difference_implIS3_Lb1ELb0EPlS7_ZN2at6native12_GLOBAL__N_124unique_dim_cuda_templateImEESt5tupleIJNS8_6TensorESD_SD_EERKSD_lbbbEUlllE1_EE10hipError_tPvRmT2_T3_mT4_P12ihipStream_tbEUlT_E_NS1_11comp_targetILNS1_3genE3ELNS1_11target_archE908ELNS1_3gpuE7ELNS1_3repE0EEENS1_30default_config_static_selectorELNS0_4arch9wavefront6targetE1EEEvT1_,"axG",@progbits,_ZN7rocprim17ROCPRIM_400000_NS6detail17trampoline_kernelINS0_14default_configENS1_35adjacent_difference_config_selectorILb1ElEEZNS1_24adjacent_difference_implIS3_Lb1ELb0EPlS7_ZN2at6native12_GLOBAL__N_124unique_dim_cuda_templateImEESt5tupleIJNS8_6TensorESD_SD_EERKSD_lbbbEUlllE1_EE10hipError_tPvRmT2_T3_mT4_P12ihipStream_tbEUlT_E_NS1_11comp_targetILNS1_3genE3ELNS1_11target_archE908ELNS1_3gpuE7ELNS1_3repE0EEENS1_30default_config_static_selectorELNS0_4arch9wavefront6targetE1EEEvT1_,comdat
.Lfunc_end1670:
	.size	_ZN7rocprim17ROCPRIM_400000_NS6detail17trampoline_kernelINS0_14default_configENS1_35adjacent_difference_config_selectorILb1ElEEZNS1_24adjacent_difference_implIS3_Lb1ELb0EPlS7_ZN2at6native12_GLOBAL__N_124unique_dim_cuda_templateImEESt5tupleIJNS8_6TensorESD_SD_EERKSD_lbbbEUlllE1_EE10hipError_tPvRmT2_T3_mT4_P12ihipStream_tbEUlT_E_NS1_11comp_targetILNS1_3genE3ELNS1_11target_archE908ELNS1_3gpuE7ELNS1_3repE0EEENS1_30default_config_static_selectorELNS0_4arch9wavefront6targetE1EEEvT1_, .Lfunc_end1670-_ZN7rocprim17ROCPRIM_400000_NS6detail17trampoline_kernelINS0_14default_configENS1_35adjacent_difference_config_selectorILb1ElEEZNS1_24adjacent_difference_implIS3_Lb1ELb0EPlS7_ZN2at6native12_GLOBAL__N_124unique_dim_cuda_templateImEESt5tupleIJNS8_6TensorESD_SD_EERKSD_lbbbEUlllE1_EE10hipError_tPvRmT2_T3_mT4_P12ihipStream_tbEUlT_E_NS1_11comp_targetILNS1_3genE3ELNS1_11target_archE908ELNS1_3gpuE7ELNS1_3repE0EEENS1_30default_config_static_selectorELNS0_4arch9wavefront6targetE1EEEvT1_
                                        ; -- End function
	.section	.AMDGPU.csdata,"",@progbits
; Kernel info:
; codeLenInByte = 0
; NumSgprs: 6
; NumVgprs: 0
; NumAgprs: 0
; TotalNumVgprs: 0
; ScratchSize: 0
; MemoryBound: 0
; FloatMode: 240
; IeeeMode: 1
; LDSByteSize: 0 bytes/workgroup (compile time only)
; SGPRBlocks: 0
; VGPRBlocks: 0
; NumSGPRsForWavesPerEU: 6
; NumVGPRsForWavesPerEU: 1
; AccumOffset: 4
; Occupancy: 8
; WaveLimiterHint : 0
; COMPUTE_PGM_RSRC2:SCRATCH_EN: 0
; COMPUTE_PGM_RSRC2:USER_SGPR: 2
; COMPUTE_PGM_RSRC2:TRAP_HANDLER: 0
; COMPUTE_PGM_RSRC2:TGID_X_EN: 1
; COMPUTE_PGM_RSRC2:TGID_Y_EN: 0
; COMPUTE_PGM_RSRC2:TGID_Z_EN: 0
; COMPUTE_PGM_RSRC2:TIDIG_COMP_CNT: 0
; COMPUTE_PGM_RSRC3_GFX90A:ACCUM_OFFSET: 0
; COMPUTE_PGM_RSRC3_GFX90A:TG_SPLIT: 0
	.section	.text._ZN7rocprim17ROCPRIM_400000_NS6detail17trampoline_kernelINS0_14default_configENS1_35adjacent_difference_config_selectorILb1ElEEZNS1_24adjacent_difference_implIS3_Lb1ELb0EPlS7_ZN2at6native12_GLOBAL__N_124unique_dim_cuda_templateImEESt5tupleIJNS8_6TensorESD_SD_EERKSD_lbbbEUlllE1_EE10hipError_tPvRmT2_T3_mT4_P12ihipStream_tbEUlT_E_NS1_11comp_targetILNS1_3genE2ELNS1_11target_archE906ELNS1_3gpuE6ELNS1_3repE0EEENS1_30default_config_static_selectorELNS0_4arch9wavefront6targetE1EEEvT1_,"axG",@progbits,_ZN7rocprim17ROCPRIM_400000_NS6detail17trampoline_kernelINS0_14default_configENS1_35adjacent_difference_config_selectorILb1ElEEZNS1_24adjacent_difference_implIS3_Lb1ELb0EPlS7_ZN2at6native12_GLOBAL__N_124unique_dim_cuda_templateImEESt5tupleIJNS8_6TensorESD_SD_EERKSD_lbbbEUlllE1_EE10hipError_tPvRmT2_T3_mT4_P12ihipStream_tbEUlT_E_NS1_11comp_targetILNS1_3genE2ELNS1_11target_archE906ELNS1_3gpuE6ELNS1_3repE0EEENS1_30default_config_static_selectorELNS0_4arch9wavefront6targetE1EEEvT1_,comdat
	.globl	_ZN7rocprim17ROCPRIM_400000_NS6detail17trampoline_kernelINS0_14default_configENS1_35adjacent_difference_config_selectorILb1ElEEZNS1_24adjacent_difference_implIS3_Lb1ELb0EPlS7_ZN2at6native12_GLOBAL__N_124unique_dim_cuda_templateImEESt5tupleIJNS8_6TensorESD_SD_EERKSD_lbbbEUlllE1_EE10hipError_tPvRmT2_T3_mT4_P12ihipStream_tbEUlT_E_NS1_11comp_targetILNS1_3genE2ELNS1_11target_archE906ELNS1_3gpuE6ELNS1_3repE0EEENS1_30default_config_static_selectorELNS0_4arch9wavefront6targetE1EEEvT1_ ; -- Begin function _ZN7rocprim17ROCPRIM_400000_NS6detail17trampoline_kernelINS0_14default_configENS1_35adjacent_difference_config_selectorILb1ElEEZNS1_24adjacent_difference_implIS3_Lb1ELb0EPlS7_ZN2at6native12_GLOBAL__N_124unique_dim_cuda_templateImEESt5tupleIJNS8_6TensorESD_SD_EERKSD_lbbbEUlllE1_EE10hipError_tPvRmT2_T3_mT4_P12ihipStream_tbEUlT_E_NS1_11comp_targetILNS1_3genE2ELNS1_11target_archE906ELNS1_3gpuE6ELNS1_3repE0EEENS1_30default_config_static_selectorELNS0_4arch9wavefront6targetE1EEEvT1_
	.p2align	8
	.type	_ZN7rocprim17ROCPRIM_400000_NS6detail17trampoline_kernelINS0_14default_configENS1_35adjacent_difference_config_selectorILb1ElEEZNS1_24adjacent_difference_implIS3_Lb1ELb0EPlS7_ZN2at6native12_GLOBAL__N_124unique_dim_cuda_templateImEESt5tupleIJNS8_6TensorESD_SD_EERKSD_lbbbEUlllE1_EE10hipError_tPvRmT2_T3_mT4_P12ihipStream_tbEUlT_E_NS1_11comp_targetILNS1_3genE2ELNS1_11target_archE906ELNS1_3gpuE6ELNS1_3repE0EEENS1_30default_config_static_selectorELNS0_4arch9wavefront6targetE1EEEvT1_,@function
_ZN7rocprim17ROCPRIM_400000_NS6detail17trampoline_kernelINS0_14default_configENS1_35adjacent_difference_config_selectorILb1ElEEZNS1_24adjacent_difference_implIS3_Lb1ELb0EPlS7_ZN2at6native12_GLOBAL__N_124unique_dim_cuda_templateImEESt5tupleIJNS8_6TensorESD_SD_EERKSD_lbbbEUlllE1_EE10hipError_tPvRmT2_T3_mT4_P12ihipStream_tbEUlT_E_NS1_11comp_targetILNS1_3genE2ELNS1_11target_archE906ELNS1_3gpuE6ELNS1_3repE0EEENS1_30default_config_static_selectorELNS0_4arch9wavefront6targetE1EEEvT1_: ; @_ZN7rocprim17ROCPRIM_400000_NS6detail17trampoline_kernelINS0_14default_configENS1_35adjacent_difference_config_selectorILb1ElEEZNS1_24adjacent_difference_implIS3_Lb1ELb0EPlS7_ZN2at6native12_GLOBAL__N_124unique_dim_cuda_templateImEESt5tupleIJNS8_6TensorESD_SD_EERKSD_lbbbEUlllE1_EE10hipError_tPvRmT2_T3_mT4_P12ihipStream_tbEUlT_E_NS1_11comp_targetILNS1_3genE2ELNS1_11target_archE906ELNS1_3gpuE6ELNS1_3repE0EEENS1_30default_config_static_selectorELNS0_4arch9wavefront6targetE1EEEvT1_
; %bb.0:
	.section	.rodata,"a",@progbits
	.p2align	6, 0x0
	.amdhsa_kernel _ZN7rocprim17ROCPRIM_400000_NS6detail17trampoline_kernelINS0_14default_configENS1_35adjacent_difference_config_selectorILb1ElEEZNS1_24adjacent_difference_implIS3_Lb1ELb0EPlS7_ZN2at6native12_GLOBAL__N_124unique_dim_cuda_templateImEESt5tupleIJNS8_6TensorESD_SD_EERKSD_lbbbEUlllE1_EE10hipError_tPvRmT2_T3_mT4_P12ihipStream_tbEUlT_E_NS1_11comp_targetILNS1_3genE2ELNS1_11target_archE906ELNS1_3gpuE6ELNS1_3repE0EEENS1_30default_config_static_selectorELNS0_4arch9wavefront6targetE1EEEvT1_
		.amdhsa_group_segment_fixed_size 0
		.amdhsa_private_segment_fixed_size 0
		.amdhsa_kernarg_size 64
		.amdhsa_user_sgpr_count 2
		.amdhsa_user_sgpr_dispatch_ptr 0
		.amdhsa_user_sgpr_queue_ptr 0
		.amdhsa_user_sgpr_kernarg_segment_ptr 1
		.amdhsa_user_sgpr_dispatch_id 0
		.amdhsa_user_sgpr_kernarg_preload_length 0
		.amdhsa_user_sgpr_kernarg_preload_offset 0
		.amdhsa_user_sgpr_private_segment_size 0
		.amdhsa_uses_dynamic_stack 0
		.amdhsa_enable_private_segment 0
		.amdhsa_system_sgpr_workgroup_id_x 1
		.amdhsa_system_sgpr_workgroup_id_y 0
		.amdhsa_system_sgpr_workgroup_id_z 0
		.amdhsa_system_sgpr_workgroup_info 0
		.amdhsa_system_vgpr_workitem_id 0
		.amdhsa_next_free_vgpr 1
		.amdhsa_next_free_sgpr 0
		.amdhsa_accum_offset 4
		.amdhsa_reserve_vcc 0
		.amdhsa_float_round_mode_32 0
		.amdhsa_float_round_mode_16_64 0
		.amdhsa_float_denorm_mode_32 3
		.amdhsa_float_denorm_mode_16_64 3
		.amdhsa_dx10_clamp 1
		.amdhsa_ieee_mode 1
		.amdhsa_fp16_overflow 0
		.amdhsa_tg_split 0
		.amdhsa_exception_fp_ieee_invalid_op 0
		.amdhsa_exception_fp_denorm_src 0
		.amdhsa_exception_fp_ieee_div_zero 0
		.amdhsa_exception_fp_ieee_overflow 0
		.amdhsa_exception_fp_ieee_underflow 0
		.amdhsa_exception_fp_ieee_inexact 0
		.amdhsa_exception_int_div_zero 0
	.end_amdhsa_kernel
	.section	.text._ZN7rocprim17ROCPRIM_400000_NS6detail17trampoline_kernelINS0_14default_configENS1_35adjacent_difference_config_selectorILb1ElEEZNS1_24adjacent_difference_implIS3_Lb1ELb0EPlS7_ZN2at6native12_GLOBAL__N_124unique_dim_cuda_templateImEESt5tupleIJNS8_6TensorESD_SD_EERKSD_lbbbEUlllE1_EE10hipError_tPvRmT2_T3_mT4_P12ihipStream_tbEUlT_E_NS1_11comp_targetILNS1_3genE2ELNS1_11target_archE906ELNS1_3gpuE6ELNS1_3repE0EEENS1_30default_config_static_selectorELNS0_4arch9wavefront6targetE1EEEvT1_,"axG",@progbits,_ZN7rocprim17ROCPRIM_400000_NS6detail17trampoline_kernelINS0_14default_configENS1_35adjacent_difference_config_selectorILb1ElEEZNS1_24adjacent_difference_implIS3_Lb1ELb0EPlS7_ZN2at6native12_GLOBAL__N_124unique_dim_cuda_templateImEESt5tupleIJNS8_6TensorESD_SD_EERKSD_lbbbEUlllE1_EE10hipError_tPvRmT2_T3_mT4_P12ihipStream_tbEUlT_E_NS1_11comp_targetILNS1_3genE2ELNS1_11target_archE906ELNS1_3gpuE6ELNS1_3repE0EEENS1_30default_config_static_selectorELNS0_4arch9wavefront6targetE1EEEvT1_,comdat
.Lfunc_end1671:
	.size	_ZN7rocprim17ROCPRIM_400000_NS6detail17trampoline_kernelINS0_14default_configENS1_35adjacent_difference_config_selectorILb1ElEEZNS1_24adjacent_difference_implIS3_Lb1ELb0EPlS7_ZN2at6native12_GLOBAL__N_124unique_dim_cuda_templateImEESt5tupleIJNS8_6TensorESD_SD_EERKSD_lbbbEUlllE1_EE10hipError_tPvRmT2_T3_mT4_P12ihipStream_tbEUlT_E_NS1_11comp_targetILNS1_3genE2ELNS1_11target_archE906ELNS1_3gpuE6ELNS1_3repE0EEENS1_30default_config_static_selectorELNS0_4arch9wavefront6targetE1EEEvT1_, .Lfunc_end1671-_ZN7rocprim17ROCPRIM_400000_NS6detail17trampoline_kernelINS0_14default_configENS1_35adjacent_difference_config_selectorILb1ElEEZNS1_24adjacent_difference_implIS3_Lb1ELb0EPlS7_ZN2at6native12_GLOBAL__N_124unique_dim_cuda_templateImEESt5tupleIJNS8_6TensorESD_SD_EERKSD_lbbbEUlllE1_EE10hipError_tPvRmT2_T3_mT4_P12ihipStream_tbEUlT_E_NS1_11comp_targetILNS1_3genE2ELNS1_11target_archE906ELNS1_3gpuE6ELNS1_3repE0EEENS1_30default_config_static_selectorELNS0_4arch9wavefront6targetE1EEEvT1_
                                        ; -- End function
	.section	.AMDGPU.csdata,"",@progbits
; Kernel info:
; codeLenInByte = 0
; NumSgprs: 6
; NumVgprs: 0
; NumAgprs: 0
; TotalNumVgprs: 0
; ScratchSize: 0
; MemoryBound: 0
; FloatMode: 240
; IeeeMode: 1
; LDSByteSize: 0 bytes/workgroup (compile time only)
; SGPRBlocks: 0
; VGPRBlocks: 0
; NumSGPRsForWavesPerEU: 6
; NumVGPRsForWavesPerEU: 1
; AccumOffset: 4
; Occupancy: 8
; WaveLimiterHint : 0
; COMPUTE_PGM_RSRC2:SCRATCH_EN: 0
; COMPUTE_PGM_RSRC2:USER_SGPR: 2
; COMPUTE_PGM_RSRC2:TRAP_HANDLER: 0
; COMPUTE_PGM_RSRC2:TGID_X_EN: 1
; COMPUTE_PGM_RSRC2:TGID_Y_EN: 0
; COMPUTE_PGM_RSRC2:TGID_Z_EN: 0
; COMPUTE_PGM_RSRC2:TIDIG_COMP_CNT: 0
; COMPUTE_PGM_RSRC3_GFX90A:ACCUM_OFFSET: 0
; COMPUTE_PGM_RSRC3_GFX90A:TG_SPLIT: 0
	.section	.text._ZN7rocprim17ROCPRIM_400000_NS6detail17trampoline_kernelINS0_14default_configENS1_35adjacent_difference_config_selectorILb1ElEEZNS1_24adjacent_difference_implIS3_Lb1ELb0EPlS7_ZN2at6native12_GLOBAL__N_124unique_dim_cuda_templateImEESt5tupleIJNS8_6TensorESD_SD_EERKSD_lbbbEUlllE1_EE10hipError_tPvRmT2_T3_mT4_P12ihipStream_tbEUlT_E_NS1_11comp_targetILNS1_3genE9ELNS1_11target_archE1100ELNS1_3gpuE3ELNS1_3repE0EEENS1_30default_config_static_selectorELNS0_4arch9wavefront6targetE1EEEvT1_,"axG",@progbits,_ZN7rocprim17ROCPRIM_400000_NS6detail17trampoline_kernelINS0_14default_configENS1_35adjacent_difference_config_selectorILb1ElEEZNS1_24adjacent_difference_implIS3_Lb1ELb0EPlS7_ZN2at6native12_GLOBAL__N_124unique_dim_cuda_templateImEESt5tupleIJNS8_6TensorESD_SD_EERKSD_lbbbEUlllE1_EE10hipError_tPvRmT2_T3_mT4_P12ihipStream_tbEUlT_E_NS1_11comp_targetILNS1_3genE9ELNS1_11target_archE1100ELNS1_3gpuE3ELNS1_3repE0EEENS1_30default_config_static_selectorELNS0_4arch9wavefront6targetE1EEEvT1_,comdat
	.globl	_ZN7rocprim17ROCPRIM_400000_NS6detail17trampoline_kernelINS0_14default_configENS1_35adjacent_difference_config_selectorILb1ElEEZNS1_24adjacent_difference_implIS3_Lb1ELb0EPlS7_ZN2at6native12_GLOBAL__N_124unique_dim_cuda_templateImEESt5tupleIJNS8_6TensorESD_SD_EERKSD_lbbbEUlllE1_EE10hipError_tPvRmT2_T3_mT4_P12ihipStream_tbEUlT_E_NS1_11comp_targetILNS1_3genE9ELNS1_11target_archE1100ELNS1_3gpuE3ELNS1_3repE0EEENS1_30default_config_static_selectorELNS0_4arch9wavefront6targetE1EEEvT1_ ; -- Begin function _ZN7rocprim17ROCPRIM_400000_NS6detail17trampoline_kernelINS0_14default_configENS1_35adjacent_difference_config_selectorILb1ElEEZNS1_24adjacent_difference_implIS3_Lb1ELb0EPlS7_ZN2at6native12_GLOBAL__N_124unique_dim_cuda_templateImEESt5tupleIJNS8_6TensorESD_SD_EERKSD_lbbbEUlllE1_EE10hipError_tPvRmT2_T3_mT4_P12ihipStream_tbEUlT_E_NS1_11comp_targetILNS1_3genE9ELNS1_11target_archE1100ELNS1_3gpuE3ELNS1_3repE0EEENS1_30default_config_static_selectorELNS0_4arch9wavefront6targetE1EEEvT1_
	.p2align	8
	.type	_ZN7rocprim17ROCPRIM_400000_NS6detail17trampoline_kernelINS0_14default_configENS1_35adjacent_difference_config_selectorILb1ElEEZNS1_24adjacent_difference_implIS3_Lb1ELb0EPlS7_ZN2at6native12_GLOBAL__N_124unique_dim_cuda_templateImEESt5tupleIJNS8_6TensorESD_SD_EERKSD_lbbbEUlllE1_EE10hipError_tPvRmT2_T3_mT4_P12ihipStream_tbEUlT_E_NS1_11comp_targetILNS1_3genE9ELNS1_11target_archE1100ELNS1_3gpuE3ELNS1_3repE0EEENS1_30default_config_static_selectorELNS0_4arch9wavefront6targetE1EEEvT1_,@function
_ZN7rocprim17ROCPRIM_400000_NS6detail17trampoline_kernelINS0_14default_configENS1_35adjacent_difference_config_selectorILb1ElEEZNS1_24adjacent_difference_implIS3_Lb1ELb0EPlS7_ZN2at6native12_GLOBAL__N_124unique_dim_cuda_templateImEESt5tupleIJNS8_6TensorESD_SD_EERKSD_lbbbEUlllE1_EE10hipError_tPvRmT2_T3_mT4_P12ihipStream_tbEUlT_E_NS1_11comp_targetILNS1_3genE9ELNS1_11target_archE1100ELNS1_3gpuE3ELNS1_3repE0EEENS1_30default_config_static_selectorELNS0_4arch9wavefront6targetE1EEEvT1_: ; @_ZN7rocprim17ROCPRIM_400000_NS6detail17trampoline_kernelINS0_14default_configENS1_35adjacent_difference_config_selectorILb1ElEEZNS1_24adjacent_difference_implIS3_Lb1ELb0EPlS7_ZN2at6native12_GLOBAL__N_124unique_dim_cuda_templateImEESt5tupleIJNS8_6TensorESD_SD_EERKSD_lbbbEUlllE1_EE10hipError_tPvRmT2_T3_mT4_P12ihipStream_tbEUlT_E_NS1_11comp_targetILNS1_3genE9ELNS1_11target_archE1100ELNS1_3gpuE3ELNS1_3repE0EEENS1_30default_config_static_selectorELNS0_4arch9wavefront6targetE1EEEvT1_
; %bb.0:
	.section	.rodata,"a",@progbits
	.p2align	6, 0x0
	.amdhsa_kernel _ZN7rocprim17ROCPRIM_400000_NS6detail17trampoline_kernelINS0_14default_configENS1_35adjacent_difference_config_selectorILb1ElEEZNS1_24adjacent_difference_implIS3_Lb1ELb0EPlS7_ZN2at6native12_GLOBAL__N_124unique_dim_cuda_templateImEESt5tupleIJNS8_6TensorESD_SD_EERKSD_lbbbEUlllE1_EE10hipError_tPvRmT2_T3_mT4_P12ihipStream_tbEUlT_E_NS1_11comp_targetILNS1_3genE9ELNS1_11target_archE1100ELNS1_3gpuE3ELNS1_3repE0EEENS1_30default_config_static_selectorELNS0_4arch9wavefront6targetE1EEEvT1_
		.amdhsa_group_segment_fixed_size 0
		.amdhsa_private_segment_fixed_size 0
		.amdhsa_kernarg_size 64
		.amdhsa_user_sgpr_count 2
		.amdhsa_user_sgpr_dispatch_ptr 0
		.amdhsa_user_sgpr_queue_ptr 0
		.amdhsa_user_sgpr_kernarg_segment_ptr 1
		.amdhsa_user_sgpr_dispatch_id 0
		.amdhsa_user_sgpr_kernarg_preload_length 0
		.amdhsa_user_sgpr_kernarg_preload_offset 0
		.amdhsa_user_sgpr_private_segment_size 0
		.amdhsa_uses_dynamic_stack 0
		.amdhsa_enable_private_segment 0
		.amdhsa_system_sgpr_workgroup_id_x 1
		.amdhsa_system_sgpr_workgroup_id_y 0
		.amdhsa_system_sgpr_workgroup_id_z 0
		.amdhsa_system_sgpr_workgroup_info 0
		.amdhsa_system_vgpr_workitem_id 0
		.amdhsa_next_free_vgpr 1
		.amdhsa_next_free_sgpr 0
		.amdhsa_accum_offset 4
		.amdhsa_reserve_vcc 0
		.amdhsa_float_round_mode_32 0
		.amdhsa_float_round_mode_16_64 0
		.amdhsa_float_denorm_mode_32 3
		.amdhsa_float_denorm_mode_16_64 3
		.amdhsa_dx10_clamp 1
		.amdhsa_ieee_mode 1
		.amdhsa_fp16_overflow 0
		.amdhsa_tg_split 0
		.amdhsa_exception_fp_ieee_invalid_op 0
		.amdhsa_exception_fp_denorm_src 0
		.amdhsa_exception_fp_ieee_div_zero 0
		.amdhsa_exception_fp_ieee_overflow 0
		.amdhsa_exception_fp_ieee_underflow 0
		.amdhsa_exception_fp_ieee_inexact 0
		.amdhsa_exception_int_div_zero 0
	.end_amdhsa_kernel
	.section	.text._ZN7rocprim17ROCPRIM_400000_NS6detail17trampoline_kernelINS0_14default_configENS1_35adjacent_difference_config_selectorILb1ElEEZNS1_24adjacent_difference_implIS3_Lb1ELb0EPlS7_ZN2at6native12_GLOBAL__N_124unique_dim_cuda_templateImEESt5tupleIJNS8_6TensorESD_SD_EERKSD_lbbbEUlllE1_EE10hipError_tPvRmT2_T3_mT4_P12ihipStream_tbEUlT_E_NS1_11comp_targetILNS1_3genE9ELNS1_11target_archE1100ELNS1_3gpuE3ELNS1_3repE0EEENS1_30default_config_static_selectorELNS0_4arch9wavefront6targetE1EEEvT1_,"axG",@progbits,_ZN7rocprim17ROCPRIM_400000_NS6detail17trampoline_kernelINS0_14default_configENS1_35adjacent_difference_config_selectorILb1ElEEZNS1_24adjacent_difference_implIS3_Lb1ELb0EPlS7_ZN2at6native12_GLOBAL__N_124unique_dim_cuda_templateImEESt5tupleIJNS8_6TensorESD_SD_EERKSD_lbbbEUlllE1_EE10hipError_tPvRmT2_T3_mT4_P12ihipStream_tbEUlT_E_NS1_11comp_targetILNS1_3genE9ELNS1_11target_archE1100ELNS1_3gpuE3ELNS1_3repE0EEENS1_30default_config_static_selectorELNS0_4arch9wavefront6targetE1EEEvT1_,comdat
.Lfunc_end1672:
	.size	_ZN7rocprim17ROCPRIM_400000_NS6detail17trampoline_kernelINS0_14default_configENS1_35adjacent_difference_config_selectorILb1ElEEZNS1_24adjacent_difference_implIS3_Lb1ELb0EPlS7_ZN2at6native12_GLOBAL__N_124unique_dim_cuda_templateImEESt5tupleIJNS8_6TensorESD_SD_EERKSD_lbbbEUlllE1_EE10hipError_tPvRmT2_T3_mT4_P12ihipStream_tbEUlT_E_NS1_11comp_targetILNS1_3genE9ELNS1_11target_archE1100ELNS1_3gpuE3ELNS1_3repE0EEENS1_30default_config_static_selectorELNS0_4arch9wavefront6targetE1EEEvT1_, .Lfunc_end1672-_ZN7rocprim17ROCPRIM_400000_NS6detail17trampoline_kernelINS0_14default_configENS1_35adjacent_difference_config_selectorILb1ElEEZNS1_24adjacent_difference_implIS3_Lb1ELb0EPlS7_ZN2at6native12_GLOBAL__N_124unique_dim_cuda_templateImEESt5tupleIJNS8_6TensorESD_SD_EERKSD_lbbbEUlllE1_EE10hipError_tPvRmT2_T3_mT4_P12ihipStream_tbEUlT_E_NS1_11comp_targetILNS1_3genE9ELNS1_11target_archE1100ELNS1_3gpuE3ELNS1_3repE0EEENS1_30default_config_static_selectorELNS0_4arch9wavefront6targetE1EEEvT1_
                                        ; -- End function
	.section	.AMDGPU.csdata,"",@progbits
; Kernel info:
; codeLenInByte = 0
; NumSgprs: 6
; NumVgprs: 0
; NumAgprs: 0
; TotalNumVgprs: 0
; ScratchSize: 0
; MemoryBound: 0
; FloatMode: 240
; IeeeMode: 1
; LDSByteSize: 0 bytes/workgroup (compile time only)
; SGPRBlocks: 0
; VGPRBlocks: 0
; NumSGPRsForWavesPerEU: 6
; NumVGPRsForWavesPerEU: 1
; AccumOffset: 4
; Occupancy: 8
; WaveLimiterHint : 0
; COMPUTE_PGM_RSRC2:SCRATCH_EN: 0
; COMPUTE_PGM_RSRC2:USER_SGPR: 2
; COMPUTE_PGM_RSRC2:TRAP_HANDLER: 0
; COMPUTE_PGM_RSRC2:TGID_X_EN: 1
; COMPUTE_PGM_RSRC2:TGID_Y_EN: 0
; COMPUTE_PGM_RSRC2:TGID_Z_EN: 0
; COMPUTE_PGM_RSRC2:TIDIG_COMP_CNT: 0
; COMPUTE_PGM_RSRC3_GFX90A:ACCUM_OFFSET: 0
; COMPUTE_PGM_RSRC3_GFX90A:TG_SPLIT: 0
	.section	.text._ZN7rocprim17ROCPRIM_400000_NS6detail17trampoline_kernelINS0_14default_configENS1_35adjacent_difference_config_selectorILb1ElEEZNS1_24adjacent_difference_implIS3_Lb1ELb0EPlS7_ZN2at6native12_GLOBAL__N_124unique_dim_cuda_templateImEESt5tupleIJNS8_6TensorESD_SD_EERKSD_lbbbEUlllE1_EE10hipError_tPvRmT2_T3_mT4_P12ihipStream_tbEUlT_E_NS1_11comp_targetILNS1_3genE8ELNS1_11target_archE1030ELNS1_3gpuE2ELNS1_3repE0EEENS1_30default_config_static_selectorELNS0_4arch9wavefront6targetE1EEEvT1_,"axG",@progbits,_ZN7rocprim17ROCPRIM_400000_NS6detail17trampoline_kernelINS0_14default_configENS1_35adjacent_difference_config_selectorILb1ElEEZNS1_24adjacent_difference_implIS3_Lb1ELb0EPlS7_ZN2at6native12_GLOBAL__N_124unique_dim_cuda_templateImEESt5tupleIJNS8_6TensorESD_SD_EERKSD_lbbbEUlllE1_EE10hipError_tPvRmT2_T3_mT4_P12ihipStream_tbEUlT_E_NS1_11comp_targetILNS1_3genE8ELNS1_11target_archE1030ELNS1_3gpuE2ELNS1_3repE0EEENS1_30default_config_static_selectorELNS0_4arch9wavefront6targetE1EEEvT1_,comdat
	.globl	_ZN7rocprim17ROCPRIM_400000_NS6detail17trampoline_kernelINS0_14default_configENS1_35adjacent_difference_config_selectorILb1ElEEZNS1_24adjacent_difference_implIS3_Lb1ELb0EPlS7_ZN2at6native12_GLOBAL__N_124unique_dim_cuda_templateImEESt5tupleIJNS8_6TensorESD_SD_EERKSD_lbbbEUlllE1_EE10hipError_tPvRmT2_T3_mT4_P12ihipStream_tbEUlT_E_NS1_11comp_targetILNS1_3genE8ELNS1_11target_archE1030ELNS1_3gpuE2ELNS1_3repE0EEENS1_30default_config_static_selectorELNS0_4arch9wavefront6targetE1EEEvT1_ ; -- Begin function _ZN7rocprim17ROCPRIM_400000_NS6detail17trampoline_kernelINS0_14default_configENS1_35adjacent_difference_config_selectorILb1ElEEZNS1_24adjacent_difference_implIS3_Lb1ELb0EPlS7_ZN2at6native12_GLOBAL__N_124unique_dim_cuda_templateImEESt5tupleIJNS8_6TensorESD_SD_EERKSD_lbbbEUlllE1_EE10hipError_tPvRmT2_T3_mT4_P12ihipStream_tbEUlT_E_NS1_11comp_targetILNS1_3genE8ELNS1_11target_archE1030ELNS1_3gpuE2ELNS1_3repE0EEENS1_30default_config_static_selectorELNS0_4arch9wavefront6targetE1EEEvT1_
	.p2align	8
	.type	_ZN7rocprim17ROCPRIM_400000_NS6detail17trampoline_kernelINS0_14default_configENS1_35adjacent_difference_config_selectorILb1ElEEZNS1_24adjacent_difference_implIS3_Lb1ELb0EPlS7_ZN2at6native12_GLOBAL__N_124unique_dim_cuda_templateImEESt5tupleIJNS8_6TensorESD_SD_EERKSD_lbbbEUlllE1_EE10hipError_tPvRmT2_T3_mT4_P12ihipStream_tbEUlT_E_NS1_11comp_targetILNS1_3genE8ELNS1_11target_archE1030ELNS1_3gpuE2ELNS1_3repE0EEENS1_30default_config_static_selectorELNS0_4arch9wavefront6targetE1EEEvT1_,@function
_ZN7rocprim17ROCPRIM_400000_NS6detail17trampoline_kernelINS0_14default_configENS1_35adjacent_difference_config_selectorILb1ElEEZNS1_24adjacent_difference_implIS3_Lb1ELb0EPlS7_ZN2at6native12_GLOBAL__N_124unique_dim_cuda_templateImEESt5tupleIJNS8_6TensorESD_SD_EERKSD_lbbbEUlllE1_EE10hipError_tPvRmT2_T3_mT4_P12ihipStream_tbEUlT_E_NS1_11comp_targetILNS1_3genE8ELNS1_11target_archE1030ELNS1_3gpuE2ELNS1_3repE0EEENS1_30default_config_static_selectorELNS0_4arch9wavefront6targetE1EEEvT1_: ; @_ZN7rocprim17ROCPRIM_400000_NS6detail17trampoline_kernelINS0_14default_configENS1_35adjacent_difference_config_selectorILb1ElEEZNS1_24adjacent_difference_implIS3_Lb1ELb0EPlS7_ZN2at6native12_GLOBAL__N_124unique_dim_cuda_templateImEESt5tupleIJNS8_6TensorESD_SD_EERKSD_lbbbEUlllE1_EE10hipError_tPvRmT2_T3_mT4_P12ihipStream_tbEUlT_E_NS1_11comp_targetILNS1_3genE8ELNS1_11target_archE1030ELNS1_3gpuE2ELNS1_3repE0EEENS1_30default_config_static_selectorELNS0_4arch9wavefront6targetE1EEEvT1_
; %bb.0:
	.section	.rodata,"a",@progbits
	.p2align	6, 0x0
	.amdhsa_kernel _ZN7rocprim17ROCPRIM_400000_NS6detail17trampoline_kernelINS0_14default_configENS1_35adjacent_difference_config_selectorILb1ElEEZNS1_24adjacent_difference_implIS3_Lb1ELb0EPlS7_ZN2at6native12_GLOBAL__N_124unique_dim_cuda_templateImEESt5tupleIJNS8_6TensorESD_SD_EERKSD_lbbbEUlllE1_EE10hipError_tPvRmT2_T3_mT4_P12ihipStream_tbEUlT_E_NS1_11comp_targetILNS1_3genE8ELNS1_11target_archE1030ELNS1_3gpuE2ELNS1_3repE0EEENS1_30default_config_static_selectorELNS0_4arch9wavefront6targetE1EEEvT1_
		.amdhsa_group_segment_fixed_size 0
		.amdhsa_private_segment_fixed_size 0
		.amdhsa_kernarg_size 64
		.amdhsa_user_sgpr_count 2
		.amdhsa_user_sgpr_dispatch_ptr 0
		.amdhsa_user_sgpr_queue_ptr 0
		.amdhsa_user_sgpr_kernarg_segment_ptr 1
		.amdhsa_user_sgpr_dispatch_id 0
		.amdhsa_user_sgpr_kernarg_preload_length 0
		.amdhsa_user_sgpr_kernarg_preload_offset 0
		.amdhsa_user_sgpr_private_segment_size 0
		.amdhsa_uses_dynamic_stack 0
		.amdhsa_enable_private_segment 0
		.amdhsa_system_sgpr_workgroup_id_x 1
		.amdhsa_system_sgpr_workgroup_id_y 0
		.amdhsa_system_sgpr_workgroup_id_z 0
		.amdhsa_system_sgpr_workgroup_info 0
		.amdhsa_system_vgpr_workitem_id 0
		.amdhsa_next_free_vgpr 1
		.amdhsa_next_free_sgpr 0
		.amdhsa_accum_offset 4
		.amdhsa_reserve_vcc 0
		.amdhsa_float_round_mode_32 0
		.amdhsa_float_round_mode_16_64 0
		.amdhsa_float_denorm_mode_32 3
		.amdhsa_float_denorm_mode_16_64 3
		.amdhsa_dx10_clamp 1
		.amdhsa_ieee_mode 1
		.amdhsa_fp16_overflow 0
		.amdhsa_tg_split 0
		.amdhsa_exception_fp_ieee_invalid_op 0
		.amdhsa_exception_fp_denorm_src 0
		.amdhsa_exception_fp_ieee_div_zero 0
		.amdhsa_exception_fp_ieee_overflow 0
		.amdhsa_exception_fp_ieee_underflow 0
		.amdhsa_exception_fp_ieee_inexact 0
		.amdhsa_exception_int_div_zero 0
	.end_amdhsa_kernel
	.section	.text._ZN7rocprim17ROCPRIM_400000_NS6detail17trampoline_kernelINS0_14default_configENS1_35adjacent_difference_config_selectorILb1ElEEZNS1_24adjacent_difference_implIS3_Lb1ELb0EPlS7_ZN2at6native12_GLOBAL__N_124unique_dim_cuda_templateImEESt5tupleIJNS8_6TensorESD_SD_EERKSD_lbbbEUlllE1_EE10hipError_tPvRmT2_T3_mT4_P12ihipStream_tbEUlT_E_NS1_11comp_targetILNS1_3genE8ELNS1_11target_archE1030ELNS1_3gpuE2ELNS1_3repE0EEENS1_30default_config_static_selectorELNS0_4arch9wavefront6targetE1EEEvT1_,"axG",@progbits,_ZN7rocprim17ROCPRIM_400000_NS6detail17trampoline_kernelINS0_14default_configENS1_35adjacent_difference_config_selectorILb1ElEEZNS1_24adjacent_difference_implIS3_Lb1ELb0EPlS7_ZN2at6native12_GLOBAL__N_124unique_dim_cuda_templateImEESt5tupleIJNS8_6TensorESD_SD_EERKSD_lbbbEUlllE1_EE10hipError_tPvRmT2_T3_mT4_P12ihipStream_tbEUlT_E_NS1_11comp_targetILNS1_3genE8ELNS1_11target_archE1030ELNS1_3gpuE2ELNS1_3repE0EEENS1_30default_config_static_selectorELNS0_4arch9wavefront6targetE1EEEvT1_,comdat
.Lfunc_end1673:
	.size	_ZN7rocprim17ROCPRIM_400000_NS6detail17trampoline_kernelINS0_14default_configENS1_35adjacent_difference_config_selectorILb1ElEEZNS1_24adjacent_difference_implIS3_Lb1ELb0EPlS7_ZN2at6native12_GLOBAL__N_124unique_dim_cuda_templateImEESt5tupleIJNS8_6TensorESD_SD_EERKSD_lbbbEUlllE1_EE10hipError_tPvRmT2_T3_mT4_P12ihipStream_tbEUlT_E_NS1_11comp_targetILNS1_3genE8ELNS1_11target_archE1030ELNS1_3gpuE2ELNS1_3repE0EEENS1_30default_config_static_selectorELNS0_4arch9wavefront6targetE1EEEvT1_, .Lfunc_end1673-_ZN7rocprim17ROCPRIM_400000_NS6detail17trampoline_kernelINS0_14default_configENS1_35adjacent_difference_config_selectorILb1ElEEZNS1_24adjacent_difference_implIS3_Lb1ELb0EPlS7_ZN2at6native12_GLOBAL__N_124unique_dim_cuda_templateImEESt5tupleIJNS8_6TensorESD_SD_EERKSD_lbbbEUlllE1_EE10hipError_tPvRmT2_T3_mT4_P12ihipStream_tbEUlT_E_NS1_11comp_targetILNS1_3genE8ELNS1_11target_archE1030ELNS1_3gpuE2ELNS1_3repE0EEENS1_30default_config_static_selectorELNS0_4arch9wavefront6targetE1EEEvT1_
                                        ; -- End function
	.section	.AMDGPU.csdata,"",@progbits
; Kernel info:
; codeLenInByte = 0
; NumSgprs: 6
; NumVgprs: 0
; NumAgprs: 0
; TotalNumVgprs: 0
; ScratchSize: 0
; MemoryBound: 0
; FloatMode: 240
; IeeeMode: 1
; LDSByteSize: 0 bytes/workgroup (compile time only)
; SGPRBlocks: 0
; VGPRBlocks: 0
; NumSGPRsForWavesPerEU: 6
; NumVGPRsForWavesPerEU: 1
; AccumOffset: 4
; Occupancy: 8
; WaveLimiterHint : 0
; COMPUTE_PGM_RSRC2:SCRATCH_EN: 0
; COMPUTE_PGM_RSRC2:USER_SGPR: 2
; COMPUTE_PGM_RSRC2:TRAP_HANDLER: 0
; COMPUTE_PGM_RSRC2:TGID_X_EN: 1
; COMPUTE_PGM_RSRC2:TGID_Y_EN: 0
; COMPUTE_PGM_RSRC2:TGID_Z_EN: 0
; COMPUTE_PGM_RSRC2:TIDIG_COMP_CNT: 0
; COMPUTE_PGM_RSRC3_GFX90A:ACCUM_OFFSET: 0
; COMPUTE_PGM_RSRC3_GFX90A:TG_SPLIT: 0
	.section	.text._ZN7rocprim17ROCPRIM_400000_NS6detail17trampoline_kernelINS0_14default_configENS1_25partition_config_selectorILNS1_17partition_subalgoE8ElNS0_10empty_typeEbEEZZNS1_14partition_implILS5_8ELb0ES3_jPlPS6_PKS6_NS0_5tupleIJS9_S6_EEENSD_IJSA_SA_EEENS0_18inequality_wrapperIZN2at6native12_GLOBAL__N_124unique_dim_cuda_templateImEESt5tupleIJNSH_6TensorESM_SM_EERKSM_lbbbEUlllE0_EEPmJS6_EEE10hipError_tPvRmT3_T4_T5_T6_T7_T9_mT8_P12ihipStream_tbDpT10_ENKUlT_T0_E_clISt17integral_constantIbLb0EES1C_EEDaS17_S18_EUlS17_E_NS1_11comp_targetILNS1_3genE0ELNS1_11target_archE4294967295ELNS1_3gpuE0ELNS1_3repE0EEENS1_30default_config_static_selectorELNS0_4arch9wavefront6targetE1EEEvT1_,"axG",@progbits,_ZN7rocprim17ROCPRIM_400000_NS6detail17trampoline_kernelINS0_14default_configENS1_25partition_config_selectorILNS1_17partition_subalgoE8ElNS0_10empty_typeEbEEZZNS1_14partition_implILS5_8ELb0ES3_jPlPS6_PKS6_NS0_5tupleIJS9_S6_EEENSD_IJSA_SA_EEENS0_18inequality_wrapperIZN2at6native12_GLOBAL__N_124unique_dim_cuda_templateImEESt5tupleIJNSH_6TensorESM_SM_EERKSM_lbbbEUlllE0_EEPmJS6_EEE10hipError_tPvRmT3_T4_T5_T6_T7_T9_mT8_P12ihipStream_tbDpT10_ENKUlT_T0_E_clISt17integral_constantIbLb0EES1C_EEDaS17_S18_EUlS17_E_NS1_11comp_targetILNS1_3genE0ELNS1_11target_archE4294967295ELNS1_3gpuE0ELNS1_3repE0EEENS1_30default_config_static_selectorELNS0_4arch9wavefront6targetE1EEEvT1_,comdat
	.globl	_ZN7rocprim17ROCPRIM_400000_NS6detail17trampoline_kernelINS0_14default_configENS1_25partition_config_selectorILNS1_17partition_subalgoE8ElNS0_10empty_typeEbEEZZNS1_14partition_implILS5_8ELb0ES3_jPlPS6_PKS6_NS0_5tupleIJS9_S6_EEENSD_IJSA_SA_EEENS0_18inequality_wrapperIZN2at6native12_GLOBAL__N_124unique_dim_cuda_templateImEESt5tupleIJNSH_6TensorESM_SM_EERKSM_lbbbEUlllE0_EEPmJS6_EEE10hipError_tPvRmT3_T4_T5_T6_T7_T9_mT8_P12ihipStream_tbDpT10_ENKUlT_T0_E_clISt17integral_constantIbLb0EES1C_EEDaS17_S18_EUlS17_E_NS1_11comp_targetILNS1_3genE0ELNS1_11target_archE4294967295ELNS1_3gpuE0ELNS1_3repE0EEENS1_30default_config_static_selectorELNS0_4arch9wavefront6targetE1EEEvT1_ ; -- Begin function _ZN7rocprim17ROCPRIM_400000_NS6detail17trampoline_kernelINS0_14default_configENS1_25partition_config_selectorILNS1_17partition_subalgoE8ElNS0_10empty_typeEbEEZZNS1_14partition_implILS5_8ELb0ES3_jPlPS6_PKS6_NS0_5tupleIJS9_S6_EEENSD_IJSA_SA_EEENS0_18inequality_wrapperIZN2at6native12_GLOBAL__N_124unique_dim_cuda_templateImEESt5tupleIJNSH_6TensorESM_SM_EERKSM_lbbbEUlllE0_EEPmJS6_EEE10hipError_tPvRmT3_T4_T5_T6_T7_T9_mT8_P12ihipStream_tbDpT10_ENKUlT_T0_E_clISt17integral_constantIbLb0EES1C_EEDaS17_S18_EUlS17_E_NS1_11comp_targetILNS1_3genE0ELNS1_11target_archE4294967295ELNS1_3gpuE0ELNS1_3repE0EEENS1_30default_config_static_selectorELNS0_4arch9wavefront6targetE1EEEvT1_
	.p2align	8
	.type	_ZN7rocprim17ROCPRIM_400000_NS6detail17trampoline_kernelINS0_14default_configENS1_25partition_config_selectorILNS1_17partition_subalgoE8ElNS0_10empty_typeEbEEZZNS1_14partition_implILS5_8ELb0ES3_jPlPS6_PKS6_NS0_5tupleIJS9_S6_EEENSD_IJSA_SA_EEENS0_18inequality_wrapperIZN2at6native12_GLOBAL__N_124unique_dim_cuda_templateImEESt5tupleIJNSH_6TensorESM_SM_EERKSM_lbbbEUlllE0_EEPmJS6_EEE10hipError_tPvRmT3_T4_T5_T6_T7_T9_mT8_P12ihipStream_tbDpT10_ENKUlT_T0_E_clISt17integral_constantIbLb0EES1C_EEDaS17_S18_EUlS17_E_NS1_11comp_targetILNS1_3genE0ELNS1_11target_archE4294967295ELNS1_3gpuE0ELNS1_3repE0EEENS1_30default_config_static_selectorELNS0_4arch9wavefront6targetE1EEEvT1_,@function
_ZN7rocprim17ROCPRIM_400000_NS6detail17trampoline_kernelINS0_14default_configENS1_25partition_config_selectorILNS1_17partition_subalgoE8ElNS0_10empty_typeEbEEZZNS1_14partition_implILS5_8ELb0ES3_jPlPS6_PKS6_NS0_5tupleIJS9_S6_EEENSD_IJSA_SA_EEENS0_18inequality_wrapperIZN2at6native12_GLOBAL__N_124unique_dim_cuda_templateImEESt5tupleIJNSH_6TensorESM_SM_EERKSM_lbbbEUlllE0_EEPmJS6_EEE10hipError_tPvRmT3_T4_T5_T6_T7_T9_mT8_P12ihipStream_tbDpT10_ENKUlT_T0_E_clISt17integral_constantIbLb0EES1C_EEDaS17_S18_EUlS17_E_NS1_11comp_targetILNS1_3genE0ELNS1_11target_archE4294967295ELNS1_3gpuE0ELNS1_3repE0EEENS1_30default_config_static_selectorELNS0_4arch9wavefront6targetE1EEEvT1_: ; @_ZN7rocprim17ROCPRIM_400000_NS6detail17trampoline_kernelINS0_14default_configENS1_25partition_config_selectorILNS1_17partition_subalgoE8ElNS0_10empty_typeEbEEZZNS1_14partition_implILS5_8ELb0ES3_jPlPS6_PKS6_NS0_5tupleIJS9_S6_EEENSD_IJSA_SA_EEENS0_18inequality_wrapperIZN2at6native12_GLOBAL__N_124unique_dim_cuda_templateImEESt5tupleIJNSH_6TensorESM_SM_EERKSM_lbbbEUlllE0_EEPmJS6_EEE10hipError_tPvRmT3_T4_T5_T6_T7_T9_mT8_P12ihipStream_tbDpT10_ENKUlT_T0_E_clISt17integral_constantIbLb0EES1C_EEDaS17_S18_EUlS17_E_NS1_11comp_targetILNS1_3genE0ELNS1_11target_archE4294967295ELNS1_3gpuE0ELNS1_3repE0EEENS1_30default_config_static_selectorELNS0_4arch9wavefront6targetE1EEEvT1_
; %bb.0:
	.section	.rodata,"a",@progbits
	.p2align	6, 0x0
	.amdhsa_kernel _ZN7rocprim17ROCPRIM_400000_NS6detail17trampoline_kernelINS0_14default_configENS1_25partition_config_selectorILNS1_17partition_subalgoE8ElNS0_10empty_typeEbEEZZNS1_14partition_implILS5_8ELb0ES3_jPlPS6_PKS6_NS0_5tupleIJS9_S6_EEENSD_IJSA_SA_EEENS0_18inequality_wrapperIZN2at6native12_GLOBAL__N_124unique_dim_cuda_templateImEESt5tupleIJNSH_6TensorESM_SM_EERKSM_lbbbEUlllE0_EEPmJS6_EEE10hipError_tPvRmT3_T4_T5_T6_T7_T9_mT8_P12ihipStream_tbDpT10_ENKUlT_T0_E_clISt17integral_constantIbLb0EES1C_EEDaS17_S18_EUlS17_E_NS1_11comp_targetILNS1_3genE0ELNS1_11target_archE4294967295ELNS1_3gpuE0ELNS1_3repE0EEENS1_30default_config_static_selectorELNS0_4arch9wavefront6targetE1EEEvT1_
		.amdhsa_group_segment_fixed_size 0
		.amdhsa_private_segment_fixed_size 0
		.amdhsa_kernarg_size 120
		.amdhsa_user_sgpr_count 2
		.amdhsa_user_sgpr_dispatch_ptr 0
		.amdhsa_user_sgpr_queue_ptr 0
		.amdhsa_user_sgpr_kernarg_segment_ptr 1
		.amdhsa_user_sgpr_dispatch_id 0
		.amdhsa_user_sgpr_kernarg_preload_length 0
		.amdhsa_user_sgpr_kernarg_preload_offset 0
		.amdhsa_user_sgpr_private_segment_size 0
		.amdhsa_uses_dynamic_stack 0
		.amdhsa_enable_private_segment 0
		.amdhsa_system_sgpr_workgroup_id_x 1
		.amdhsa_system_sgpr_workgroup_id_y 0
		.amdhsa_system_sgpr_workgroup_id_z 0
		.amdhsa_system_sgpr_workgroup_info 0
		.amdhsa_system_vgpr_workitem_id 0
		.amdhsa_next_free_vgpr 1
		.amdhsa_next_free_sgpr 0
		.amdhsa_accum_offset 4
		.amdhsa_reserve_vcc 0
		.amdhsa_float_round_mode_32 0
		.amdhsa_float_round_mode_16_64 0
		.amdhsa_float_denorm_mode_32 3
		.amdhsa_float_denorm_mode_16_64 3
		.amdhsa_dx10_clamp 1
		.amdhsa_ieee_mode 1
		.amdhsa_fp16_overflow 0
		.amdhsa_tg_split 0
		.amdhsa_exception_fp_ieee_invalid_op 0
		.amdhsa_exception_fp_denorm_src 0
		.amdhsa_exception_fp_ieee_div_zero 0
		.amdhsa_exception_fp_ieee_overflow 0
		.amdhsa_exception_fp_ieee_underflow 0
		.amdhsa_exception_fp_ieee_inexact 0
		.amdhsa_exception_int_div_zero 0
	.end_amdhsa_kernel
	.section	.text._ZN7rocprim17ROCPRIM_400000_NS6detail17trampoline_kernelINS0_14default_configENS1_25partition_config_selectorILNS1_17partition_subalgoE8ElNS0_10empty_typeEbEEZZNS1_14partition_implILS5_8ELb0ES3_jPlPS6_PKS6_NS0_5tupleIJS9_S6_EEENSD_IJSA_SA_EEENS0_18inequality_wrapperIZN2at6native12_GLOBAL__N_124unique_dim_cuda_templateImEESt5tupleIJNSH_6TensorESM_SM_EERKSM_lbbbEUlllE0_EEPmJS6_EEE10hipError_tPvRmT3_T4_T5_T6_T7_T9_mT8_P12ihipStream_tbDpT10_ENKUlT_T0_E_clISt17integral_constantIbLb0EES1C_EEDaS17_S18_EUlS17_E_NS1_11comp_targetILNS1_3genE0ELNS1_11target_archE4294967295ELNS1_3gpuE0ELNS1_3repE0EEENS1_30default_config_static_selectorELNS0_4arch9wavefront6targetE1EEEvT1_,"axG",@progbits,_ZN7rocprim17ROCPRIM_400000_NS6detail17trampoline_kernelINS0_14default_configENS1_25partition_config_selectorILNS1_17partition_subalgoE8ElNS0_10empty_typeEbEEZZNS1_14partition_implILS5_8ELb0ES3_jPlPS6_PKS6_NS0_5tupleIJS9_S6_EEENSD_IJSA_SA_EEENS0_18inequality_wrapperIZN2at6native12_GLOBAL__N_124unique_dim_cuda_templateImEESt5tupleIJNSH_6TensorESM_SM_EERKSM_lbbbEUlllE0_EEPmJS6_EEE10hipError_tPvRmT3_T4_T5_T6_T7_T9_mT8_P12ihipStream_tbDpT10_ENKUlT_T0_E_clISt17integral_constantIbLb0EES1C_EEDaS17_S18_EUlS17_E_NS1_11comp_targetILNS1_3genE0ELNS1_11target_archE4294967295ELNS1_3gpuE0ELNS1_3repE0EEENS1_30default_config_static_selectorELNS0_4arch9wavefront6targetE1EEEvT1_,comdat
.Lfunc_end1674:
	.size	_ZN7rocprim17ROCPRIM_400000_NS6detail17trampoline_kernelINS0_14default_configENS1_25partition_config_selectorILNS1_17partition_subalgoE8ElNS0_10empty_typeEbEEZZNS1_14partition_implILS5_8ELb0ES3_jPlPS6_PKS6_NS0_5tupleIJS9_S6_EEENSD_IJSA_SA_EEENS0_18inequality_wrapperIZN2at6native12_GLOBAL__N_124unique_dim_cuda_templateImEESt5tupleIJNSH_6TensorESM_SM_EERKSM_lbbbEUlllE0_EEPmJS6_EEE10hipError_tPvRmT3_T4_T5_T6_T7_T9_mT8_P12ihipStream_tbDpT10_ENKUlT_T0_E_clISt17integral_constantIbLb0EES1C_EEDaS17_S18_EUlS17_E_NS1_11comp_targetILNS1_3genE0ELNS1_11target_archE4294967295ELNS1_3gpuE0ELNS1_3repE0EEENS1_30default_config_static_selectorELNS0_4arch9wavefront6targetE1EEEvT1_, .Lfunc_end1674-_ZN7rocprim17ROCPRIM_400000_NS6detail17trampoline_kernelINS0_14default_configENS1_25partition_config_selectorILNS1_17partition_subalgoE8ElNS0_10empty_typeEbEEZZNS1_14partition_implILS5_8ELb0ES3_jPlPS6_PKS6_NS0_5tupleIJS9_S6_EEENSD_IJSA_SA_EEENS0_18inequality_wrapperIZN2at6native12_GLOBAL__N_124unique_dim_cuda_templateImEESt5tupleIJNSH_6TensorESM_SM_EERKSM_lbbbEUlllE0_EEPmJS6_EEE10hipError_tPvRmT3_T4_T5_T6_T7_T9_mT8_P12ihipStream_tbDpT10_ENKUlT_T0_E_clISt17integral_constantIbLb0EES1C_EEDaS17_S18_EUlS17_E_NS1_11comp_targetILNS1_3genE0ELNS1_11target_archE4294967295ELNS1_3gpuE0ELNS1_3repE0EEENS1_30default_config_static_selectorELNS0_4arch9wavefront6targetE1EEEvT1_
                                        ; -- End function
	.section	.AMDGPU.csdata,"",@progbits
; Kernel info:
; codeLenInByte = 0
; NumSgprs: 6
; NumVgprs: 0
; NumAgprs: 0
; TotalNumVgprs: 0
; ScratchSize: 0
; MemoryBound: 0
; FloatMode: 240
; IeeeMode: 1
; LDSByteSize: 0 bytes/workgroup (compile time only)
; SGPRBlocks: 0
; VGPRBlocks: 0
; NumSGPRsForWavesPerEU: 6
; NumVGPRsForWavesPerEU: 1
; AccumOffset: 4
; Occupancy: 8
; WaveLimiterHint : 0
; COMPUTE_PGM_RSRC2:SCRATCH_EN: 0
; COMPUTE_PGM_RSRC2:USER_SGPR: 2
; COMPUTE_PGM_RSRC2:TRAP_HANDLER: 0
; COMPUTE_PGM_RSRC2:TGID_X_EN: 1
; COMPUTE_PGM_RSRC2:TGID_Y_EN: 0
; COMPUTE_PGM_RSRC2:TGID_Z_EN: 0
; COMPUTE_PGM_RSRC2:TIDIG_COMP_CNT: 0
; COMPUTE_PGM_RSRC3_GFX90A:ACCUM_OFFSET: 0
; COMPUTE_PGM_RSRC3_GFX90A:TG_SPLIT: 0
	.section	.text._ZN7rocprim17ROCPRIM_400000_NS6detail17trampoline_kernelINS0_14default_configENS1_25partition_config_selectorILNS1_17partition_subalgoE8ElNS0_10empty_typeEbEEZZNS1_14partition_implILS5_8ELb0ES3_jPlPS6_PKS6_NS0_5tupleIJS9_S6_EEENSD_IJSA_SA_EEENS0_18inequality_wrapperIZN2at6native12_GLOBAL__N_124unique_dim_cuda_templateImEESt5tupleIJNSH_6TensorESM_SM_EERKSM_lbbbEUlllE0_EEPmJS6_EEE10hipError_tPvRmT3_T4_T5_T6_T7_T9_mT8_P12ihipStream_tbDpT10_ENKUlT_T0_E_clISt17integral_constantIbLb0EES1C_EEDaS17_S18_EUlS17_E_NS1_11comp_targetILNS1_3genE5ELNS1_11target_archE942ELNS1_3gpuE9ELNS1_3repE0EEENS1_30default_config_static_selectorELNS0_4arch9wavefront6targetE1EEEvT1_,"axG",@progbits,_ZN7rocprim17ROCPRIM_400000_NS6detail17trampoline_kernelINS0_14default_configENS1_25partition_config_selectorILNS1_17partition_subalgoE8ElNS0_10empty_typeEbEEZZNS1_14partition_implILS5_8ELb0ES3_jPlPS6_PKS6_NS0_5tupleIJS9_S6_EEENSD_IJSA_SA_EEENS0_18inequality_wrapperIZN2at6native12_GLOBAL__N_124unique_dim_cuda_templateImEESt5tupleIJNSH_6TensorESM_SM_EERKSM_lbbbEUlllE0_EEPmJS6_EEE10hipError_tPvRmT3_T4_T5_T6_T7_T9_mT8_P12ihipStream_tbDpT10_ENKUlT_T0_E_clISt17integral_constantIbLb0EES1C_EEDaS17_S18_EUlS17_E_NS1_11comp_targetILNS1_3genE5ELNS1_11target_archE942ELNS1_3gpuE9ELNS1_3repE0EEENS1_30default_config_static_selectorELNS0_4arch9wavefront6targetE1EEEvT1_,comdat
	.globl	_ZN7rocprim17ROCPRIM_400000_NS6detail17trampoline_kernelINS0_14default_configENS1_25partition_config_selectorILNS1_17partition_subalgoE8ElNS0_10empty_typeEbEEZZNS1_14partition_implILS5_8ELb0ES3_jPlPS6_PKS6_NS0_5tupleIJS9_S6_EEENSD_IJSA_SA_EEENS0_18inequality_wrapperIZN2at6native12_GLOBAL__N_124unique_dim_cuda_templateImEESt5tupleIJNSH_6TensorESM_SM_EERKSM_lbbbEUlllE0_EEPmJS6_EEE10hipError_tPvRmT3_T4_T5_T6_T7_T9_mT8_P12ihipStream_tbDpT10_ENKUlT_T0_E_clISt17integral_constantIbLb0EES1C_EEDaS17_S18_EUlS17_E_NS1_11comp_targetILNS1_3genE5ELNS1_11target_archE942ELNS1_3gpuE9ELNS1_3repE0EEENS1_30default_config_static_selectorELNS0_4arch9wavefront6targetE1EEEvT1_ ; -- Begin function _ZN7rocprim17ROCPRIM_400000_NS6detail17trampoline_kernelINS0_14default_configENS1_25partition_config_selectorILNS1_17partition_subalgoE8ElNS0_10empty_typeEbEEZZNS1_14partition_implILS5_8ELb0ES3_jPlPS6_PKS6_NS0_5tupleIJS9_S6_EEENSD_IJSA_SA_EEENS0_18inequality_wrapperIZN2at6native12_GLOBAL__N_124unique_dim_cuda_templateImEESt5tupleIJNSH_6TensorESM_SM_EERKSM_lbbbEUlllE0_EEPmJS6_EEE10hipError_tPvRmT3_T4_T5_T6_T7_T9_mT8_P12ihipStream_tbDpT10_ENKUlT_T0_E_clISt17integral_constantIbLb0EES1C_EEDaS17_S18_EUlS17_E_NS1_11comp_targetILNS1_3genE5ELNS1_11target_archE942ELNS1_3gpuE9ELNS1_3repE0EEENS1_30default_config_static_selectorELNS0_4arch9wavefront6targetE1EEEvT1_
	.p2align	8
	.type	_ZN7rocprim17ROCPRIM_400000_NS6detail17trampoline_kernelINS0_14default_configENS1_25partition_config_selectorILNS1_17partition_subalgoE8ElNS0_10empty_typeEbEEZZNS1_14partition_implILS5_8ELb0ES3_jPlPS6_PKS6_NS0_5tupleIJS9_S6_EEENSD_IJSA_SA_EEENS0_18inequality_wrapperIZN2at6native12_GLOBAL__N_124unique_dim_cuda_templateImEESt5tupleIJNSH_6TensorESM_SM_EERKSM_lbbbEUlllE0_EEPmJS6_EEE10hipError_tPvRmT3_T4_T5_T6_T7_T9_mT8_P12ihipStream_tbDpT10_ENKUlT_T0_E_clISt17integral_constantIbLb0EES1C_EEDaS17_S18_EUlS17_E_NS1_11comp_targetILNS1_3genE5ELNS1_11target_archE942ELNS1_3gpuE9ELNS1_3repE0EEENS1_30default_config_static_selectorELNS0_4arch9wavefront6targetE1EEEvT1_,@function
_ZN7rocprim17ROCPRIM_400000_NS6detail17trampoline_kernelINS0_14default_configENS1_25partition_config_selectorILNS1_17partition_subalgoE8ElNS0_10empty_typeEbEEZZNS1_14partition_implILS5_8ELb0ES3_jPlPS6_PKS6_NS0_5tupleIJS9_S6_EEENSD_IJSA_SA_EEENS0_18inequality_wrapperIZN2at6native12_GLOBAL__N_124unique_dim_cuda_templateImEESt5tupleIJNSH_6TensorESM_SM_EERKSM_lbbbEUlllE0_EEPmJS6_EEE10hipError_tPvRmT3_T4_T5_T6_T7_T9_mT8_P12ihipStream_tbDpT10_ENKUlT_T0_E_clISt17integral_constantIbLb0EES1C_EEDaS17_S18_EUlS17_E_NS1_11comp_targetILNS1_3genE5ELNS1_11target_archE942ELNS1_3gpuE9ELNS1_3repE0EEENS1_30default_config_static_selectorELNS0_4arch9wavefront6targetE1EEEvT1_: ; @_ZN7rocprim17ROCPRIM_400000_NS6detail17trampoline_kernelINS0_14default_configENS1_25partition_config_selectorILNS1_17partition_subalgoE8ElNS0_10empty_typeEbEEZZNS1_14partition_implILS5_8ELb0ES3_jPlPS6_PKS6_NS0_5tupleIJS9_S6_EEENSD_IJSA_SA_EEENS0_18inequality_wrapperIZN2at6native12_GLOBAL__N_124unique_dim_cuda_templateImEESt5tupleIJNSH_6TensorESM_SM_EERKSM_lbbbEUlllE0_EEPmJS6_EEE10hipError_tPvRmT3_T4_T5_T6_T7_T9_mT8_P12ihipStream_tbDpT10_ENKUlT_T0_E_clISt17integral_constantIbLb0EES1C_EEDaS17_S18_EUlS17_E_NS1_11comp_targetILNS1_3genE5ELNS1_11target_archE942ELNS1_3gpuE9ELNS1_3repE0EEENS1_30default_config_static_selectorELNS0_4arch9wavefront6targetE1EEEvT1_
; %bb.0:
	s_load_dwordx8 s[20:27], s[0:1], 0x40
	s_load_dwordx4 s[4:7], s[0:1], 0x8
	s_load_dwordx4 s[28:31], s[0:1], 0x60
	s_load_dword s3, s[0:1], 0x70
	s_waitcnt lgkmcnt(0)
	v_mov_b32_e32 v2, s24
	s_lshl_b64 s[8:9], s[6:7], 3
	s_add_u32 s12, s4, s8
	s_mul_i32 s8, s3, 0xe00
	s_addc_u32 s13, s5, s9
	s_add_i32 s10, s3, -1
	s_add_i32 s3, s8, s6
	s_sub_i32 s3, s24, s3
	s_add_u32 s8, s6, s8
	s_addc_u32 s9, s7, 0
	v_mov_b32_e32 v3, s25
	s_cmp_eq_u32 s2, s10
	s_load_dwordx2 s[22:23], s[22:23], 0x0
	v_cmp_ge_u64_e32 vcc, s[8:9], v[2:3]
	s_cselect_b64 s[24:25], -1, 0
	s_mul_i32 s4, s2, 0xe00
	s_mov_b32 s5, 0
	s_and_b64 s[8:9], s[24:25], vcc
	s_xor_b64 s[34:35], s[8:9], -1
	s_lshl_b64 s[4:5], s[4:5], 3
	s_add_u32 s4, s12, s4
	s_mov_b64 s[10:11], -1
	s_addc_u32 s5, s13, s5
	s_and_b64 vcc, exec, s[34:35]
	s_cbranch_vccz .LBB1675_2
; %bb.1:
	v_lshlrev_b32_e32 v2, 3, v0
	v_mov_b32_e32 v3, 0
	v_lshl_add_u64 v[4:5], s[4:5], 0, v[2:3]
	v_add_co_u32_e32 v8, vcc, 0x1000, v4
	global_load_dwordx2 v[6:7], v2, s[4:5]
	s_nop 0
	v_addc_co_u32_e32 v9, vcc, 0, v5, vcc
	v_add_co_u32_e32 v10, vcc, 0x2000, v4
	s_mov_b64 s[10:11], 0
	s_nop 0
	v_addc_co_u32_e32 v11, vcc, 0, v5, vcc
	v_add_co_u32_e32 v12, vcc, 0x3000, v4
	s_nop 1
	v_addc_co_u32_e32 v13, vcc, 0, v5, vcc
	v_add_co_u32_e32 v14, vcc, 0x4000, v4
	s_nop 1
	v_addc_co_u32_e32 v15, vcc, 0, v5, vcc
	global_load_dwordx2 v[16:17], v[8:9], off
	global_load_dwordx2 v[18:19], v[10:11], off
	;; [unrolled: 1-line block ×4, first 2 shown]
	v_add_co_u32_e32 v8, vcc, 0x5000, v4
	s_nop 1
	v_addc_co_u32_e32 v9, vcc, 0, v5, vcc
	v_add_co_u32_e32 v4, vcc, 0x6000, v4
	global_load_dwordx2 v[8:9], v[8:9], off
	s_nop 0
	v_addc_co_u32_e32 v5, vcc, 0, v5, vcc
	global_load_dwordx2 v[4:5], v[4:5], off
	s_waitcnt vmcnt(5)
	ds_write2st64_b64 v2, v[6:7], v[16:17] offset1:8
	s_waitcnt vmcnt(3)
	ds_write2st64_b64 v2, v[18:19], v[20:21] offset0:16 offset1:24
	s_waitcnt vmcnt(1)
	ds_write2st64_b64 v2, v[22:23], v[8:9] offset0:32 offset1:40
	s_waitcnt vmcnt(0)
	ds_write_b64 v2, v[4:5] offset:24576
	s_waitcnt lgkmcnt(0)
	s_barrier
.LBB1675_2:
	s_andn2_b64 vcc, exec, s[10:11]
	s_addk_i32 s3, 0xe00
	s_cbranch_vccnz .LBB1675_18
; %bb.3:
	v_cmp_gt_u32_e32 vcc, s3, v0
                                        ; implicit-def: $vgpr2_vgpr3_vgpr4_vgpr5_vgpr6_vgpr7_vgpr8_vgpr9_vgpr10_vgpr11_vgpr12_vgpr13_vgpr14_vgpr15_vgpr16_vgpr17
	s_and_saveexec_b64 s[10:11], vcc
	s_cbranch_execz .LBB1675_5
; %bb.4:
	v_lshlrev_b32_e32 v1, 3, v0
	global_load_dwordx2 v[2:3], v1, s[4:5]
.LBB1675_5:
	s_or_b64 exec, exec, s[10:11]
	v_or_b32_e32 v1, 0x200, v0
	v_cmp_gt_u32_e32 vcc, s3, v1
	s_and_saveexec_b64 s[10:11], vcc
	s_cbranch_execz .LBB1675_7
; %bb.6:
	v_lshlrev_b32_e32 v1, 3, v1
	global_load_dwordx2 v[4:5], v1, s[4:5]
.LBB1675_7:
	s_or_b64 exec, exec, s[10:11]
	v_or_b32_e32 v1, 0x400, v0
	v_cmp_gt_u32_e32 vcc, s3, v1
	;; [unrolled: 9-line block ×6, first 2 shown]
	s_and_saveexec_b64 s[10:11], vcc
	s_cbranch_execz .LBB1675_17
; %bb.16:
	v_lshlrev_b32_e32 v1, 3, v1
	global_load_dwordx2 v[14:15], v1, s[4:5]
.LBB1675_17:
	s_or_b64 exec, exec, s[10:11]
	v_lshlrev_b32_e32 v1, 3, v0
	s_waitcnt vmcnt(0)
	ds_write2st64_b64 v1, v[2:3], v[4:5] offset1:8
	ds_write2st64_b64 v1, v[6:7], v[8:9] offset0:16 offset1:24
	ds_write2st64_b64 v1, v[10:11], v[12:13] offset0:32 offset1:40
	ds_write_b64 v1, v[14:15] offset:24576
	s_waitcnt lgkmcnt(0)
	s_barrier
.LBB1675_18:
	v_mul_u32_u24_e32 v1, 7, v0
	v_lshlrev_b32_e32 v30, 3, v1
	s_waitcnt lgkmcnt(0)
	ds_read2_b64 v[10:13], v30 offset1:1
	ds_read2_b64 v[6:9], v30 offset0:2 offset1:3
	ds_read2_b64 v[2:5], v30 offset0:4 offset1:5
	ds_read_b64 v[14:15], v30 offset:48
	s_cmp_lg_u32 s2, 0
	s_cselect_b64 s[16:17], -1, 0
	s_cmp_lg_u64 s[6:7], 0
	s_cselect_b64 s[6:7], -1, 0
	s_or_b64 s[6:7], s[16:17], s[6:7]
	v_mad_u32_u24 v25, v0, 7, 1
	v_mad_u32_u24 v24, v0, 7, 2
	;; [unrolled: 1-line block ×6, first 2 shown]
	s_mov_b64 s[10:11], 0
	s_and_b64 vcc, exec, s[6:7]
	v_cmp_gt_i64_e64 s[12:13], s[26:27], 0
	s_waitcnt lgkmcnt(0)
	s_barrier
	s_cbranch_vccz .LBB1675_27
; %bb.19:
	s_add_u32 s4, s4, -8
	s_addc_u32 s5, s5, -1
	s_load_dwordx2 s[6:7], s[4:5], 0x0
	v_cndmask_b32_e64 v16, 0, 1, s[12:13]
	v_lshlrev_b32_e32 v31, 3, v0
	s_and_b64 vcc, exec, s[34:35]
	v_cmp_ne_u32_e64 s[4:5], 1, v16
	ds_write_b64 v31, v[14:15]
	s_cbranch_vccz .LBB1675_29
; %bb.20:
	v_mul_lo_u32 v18, v5, s26
	v_mul_lo_u32 v19, v4, s27
	v_mad_u64_u32 v[16:17], s[12:13], v4, s26, 0
	v_add3_u32 v17, v17, v19, v18
	s_and_b64 vcc, exec, s[4:5]
	v_lshl_add_u64 v[16:17], v[16:17], 3, s[28:29]
	s_cbranch_vccnz .LBB1675_32
; %bb.21:
	v_mul_lo_u32 v20, v15, s26
	v_mul_lo_u32 v21, v14, s27
	v_mad_u64_u32 v[18:19], s[10:11], v14, s26, 0
	v_add3_u32 v19, v19, v21, v20
	v_lshl_add_u64 v[18:19], v[18:19], 3, s[28:29]
	global_load_dwordx2 v[20:21], v[16:17], off
	global_load_dwordx2 v[22:23], v[18:19], off
	s_mov_b64 s[10:11], -1
	s_waitcnt vmcnt(0)
	v_cmp_eq_u64_e32 vcc, v[20:21], v[22:23]
	s_and_saveexec_b64 s[12:13], vcc
	s_cbranch_execz .LBB1675_31
; %bb.22:
	s_add_u32 s10, s26, -1
	v_lshl_add_u64 v[18:19], v[18:19], 0, 8
	v_lshl_add_u64 v[20:21], v[16:17], 0, 8
	s_addc_u32 s11, s27, -1
	s_mov_b64 s[14:15], 0
	s_mov_b64 s[36:37], 0
                                        ; implicit-def: $sgpr18_sgpr19
	s_branch .LBB1675_25
.LBB1675_23:                            ;   in Loop: Header=BB1675_25 Depth=1
	global_load_dwordx2 v[22:23], v[20:21], off
	global_load_dwordx2 v[32:33], v[18:19], off
	s_add_u32 s36, s36, 1
	s_addc_u32 s37, s37, 0
	s_andn2_b64 s[18:19], s[18:19], exec
	v_lshl_add_u64 v[18:19], v[18:19], 0, 8
	v_lshl_add_u64 v[20:21], v[20:21], 0, 8
	s_waitcnt vmcnt(0)
	v_cmp_ne_u64_e32 vcc, v[22:23], v[32:33]
	s_and_b64 s[38:39], vcc, exec
	s_or_b64 s[18:19], s[18:19], s[38:39]
.LBB1675_24:                            ;   in Loop: Header=BB1675_25 Depth=1
	s_and_b64 s[38:39], exec, s[18:19]
	s_or_b64 s[14:15], s[38:39], s[14:15]
	v_mov_b64_e32 v[22:23], s[36:37]
	s_andn2_b64 exec, exec, s[14:15]
	s_cbranch_execz .LBB1675_30
.LBB1675_25:                            ; =>This Inner Loop Header: Depth=1
	s_or_b64 s[18:19], s[18:19], exec
	s_cmp_eq_u64 s[10:11], s[36:37]
	s_cbranch_scc0 .LBB1675_23
; %bb.26:                               ;   in Loop: Header=BB1675_25 Depth=1
                                        ; implicit-def: $vgpr18_vgpr19
                                        ; implicit-def: $vgpr20_vgpr21
	s_mov_b64 s[36:37], s[26:27]
	s_branch .LBB1675_24
.LBB1675_27:
                                        ; implicit-def: $sgpr18_sgpr19
                                        ; implicit-def: $vgpr34
                                        ; implicit-def: $vgpr33
                                        ; implicit-def: $vgpr32
                                        ; implicit-def: $vgpr20
	s_branch .LBB1675_170
.LBB1675_28:
                                        ; implicit-def: $vgpr16_vgpr17
	s_branch .LBB1675_318
.LBB1675_29:
                                        ; implicit-def: $sgpr18_sgpr19
                                        ; implicit-def: $vgpr34
                                        ; implicit-def: $vgpr33
                                        ; implicit-def: $vgpr32
                                        ; implicit-def: $vgpr20
	s_cbranch_execnz .LBB1675_89
	s_branch .LBB1675_169
.LBB1675_30:
	s_or_b64 exec, exec, s[14:15]
	v_cmp_gt_i64_e32 vcc, s[26:27], v[22:23]
	s_orn2_b64 s[10:11], vcc, exec
.LBB1675_31:
	s_or_b64 exec, exec, s[12:13]
.LBB1675_32:
	v_mul_lo_u32 v20, v3, s26
	v_mul_lo_u32 v21, v2, s27
	v_mad_u64_u32 v[18:19], s[12:13], v2, s26, 0
	v_add3_u32 v19, v19, v21, v20
	s_mov_b64 s[12:13], 0
	s_and_b64 vcc, exec, s[4:5]
	v_lshl_add_u64 v[18:19], v[18:19], 3, s[28:29]
	s_mov_b64 s[14:15], 0
	s_cbranch_vccnz .LBB1675_41
; %bb.33:
	global_load_dwordx2 v[20:21], v[18:19], off
	global_load_dwordx2 v[22:23], v[16:17], off
	s_mov_b64 s[14:15], -1
	s_waitcnt vmcnt(0)
	v_cmp_eq_u64_e32 vcc, v[20:21], v[22:23]
	s_and_saveexec_b64 s[18:19], vcc
	s_cbranch_execz .LBB1675_40
; %bb.34:
	s_add_u32 s14, s26, -1
	v_lshl_add_u64 v[16:17], v[16:17], 0, 8
	v_lshl_add_u64 v[20:21], v[18:19], 0, 8
	s_addc_u32 s15, s27, -1
	s_mov_b64 s[36:37], 0
	s_mov_b64 s[40:41], 0
                                        ; implicit-def: $sgpr38_sgpr39
	s_branch .LBB1675_37
.LBB1675_35:                            ;   in Loop: Header=BB1675_37 Depth=1
	global_load_dwordx2 v[22:23], v[20:21], off
	global_load_dwordx2 v[32:33], v[16:17], off
	s_add_u32 s40, s40, 1
	s_addc_u32 s41, s41, 0
	s_andn2_b64 s[38:39], s[38:39], exec
	v_lshl_add_u64 v[16:17], v[16:17], 0, 8
	v_lshl_add_u64 v[20:21], v[20:21], 0, 8
	s_waitcnt vmcnt(0)
	v_cmp_ne_u64_e32 vcc, v[22:23], v[32:33]
	s_and_b64 s[42:43], vcc, exec
	s_or_b64 s[38:39], s[38:39], s[42:43]
.LBB1675_36:                            ;   in Loop: Header=BB1675_37 Depth=1
	s_and_b64 s[42:43], exec, s[38:39]
	s_or_b64 s[36:37], s[42:43], s[36:37]
	v_mov_b64_e32 v[22:23], s[40:41]
	s_andn2_b64 exec, exec, s[36:37]
	s_cbranch_execz .LBB1675_39
.LBB1675_37:                            ; =>This Inner Loop Header: Depth=1
	s_or_b64 s[38:39], s[38:39], exec
	s_cmp_eq_u64 s[14:15], s[40:41]
	s_cbranch_scc0 .LBB1675_35
; %bb.38:                               ;   in Loop: Header=BB1675_37 Depth=1
                                        ; implicit-def: $vgpr16_vgpr17
                                        ; implicit-def: $vgpr20_vgpr21
	s_mov_b64 s[40:41], s[26:27]
	s_branch .LBB1675_36
.LBB1675_39:
	s_or_b64 exec, exec, s[36:37]
	v_cmp_gt_i64_e32 vcc, s[26:27], v[22:23]
	s_orn2_b64 s[14:15], vcc, exec
.LBB1675_40:
	s_or_b64 exec, exec, s[18:19]
.LBB1675_41:
	v_mul_lo_u32 v20, v9, s26
	v_mul_lo_u32 v21, v8, s27
	v_mad_u64_u32 v[16:17], s[18:19], v8, s26, 0
	v_add3_u32 v17, v17, v21, v20
	s_and_b64 vcc, exec, s[4:5]
	v_lshl_add_u64 v[16:17], v[16:17], 3, s[28:29]
	s_cbranch_vccnz .LBB1675_50
; %bb.42:
	global_load_dwordx2 v[20:21], v[16:17], off
	global_load_dwordx2 v[22:23], v[18:19], off
	s_mov_b64 s[12:13], -1
	s_waitcnt vmcnt(0)
	v_cmp_eq_u64_e32 vcc, v[20:21], v[22:23]
	s_and_saveexec_b64 s[18:19], vcc
	s_cbranch_execz .LBB1675_49
; %bb.43:
	s_add_u32 s12, s26, -1
	v_lshl_add_u64 v[18:19], v[18:19], 0, 8
	v_lshl_add_u64 v[20:21], v[16:17], 0, 8
	s_addc_u32 s13, s27, -1
	s_mov_b64 s[36:37], 0
	s_mov_b64 s[40:41], 0
                                        ; implicit-def: $sgpr38_sgpr39
	s_branch .LBB1675_46
.LBB1675_44:                            ;   in Loop: Header=BB1675_46 Depth=1
	global_load_dwordx2 v[22:23], v[20:21], off
	global_load_dwordx2 v[32:33], v[18:19], off
	s_add_u32 s40, s40, 1
	s_addc_u32 s41, s41, 0
	s_andn2_b64 s[38:39], s[38:39], exec
	v_lshl_add_u64 v[18:19], v[18:19], 0, 8
	v_lshl_add_u64 v[20:21], v[20:21], 0, 8
	s_waitcnt vmcnt(0)
	v_cmp_ne_u64_e32 vcc, v[22:23], v[32:33]
	s_and_b64 s[42:43], vcc, exec
	s_or_b64 s[38:39], s[38:39], s[42:43]
.LBB1675_45:                            ;   in Loop: Header=BB1675_46 Depth=1
	s_and_b64 s[42:43], exec, s[38:39]
	s_or_b64 s[36:37], s[42:43], s[36:37]
	v_mov_b64_e32 v[22:23], s[40:41]
	s_andn2_b64 exec, exec, s[36:37]
	s_cbranch_execz .LBB1675_48
.LBB1675_46:                            ; =>This Inner Loop Header: Depth=1
	s_or_b64 s[38:39], s[38:39], exec
	s_cmp_eq_u64 s[12:13], s[40:41]
	s_cbranch_scc0 .LBB1675_44
; %bb.47:                               ;   in Loop: Header=BB1675_46 Depth=1
                                        ; implicit-def: $vgpr18_vgpr19
                                        ; implicit-def: $vgpr20_vgpr21
	s_mov_b64 s[40:41], s[26:27]
	s_branch .LBB1675_45
.LBB1675_48:
	s_or_b64 exec, exec, s[36:37]
	v_cmp_gt_i64_e32 vcc, s[26:27], v[22:23]
	s_orn2_b64 s[12:13], vcc, exec
.LBB1675_49:
	s_or_b64 exec, exec, s[18:19]
.LBB1675_50:
	v_mul_lo_u32 v20, v7, s26
	v_mul_lo_u32 v21, v6, s27
	v_mad_u64_u32 v[18:19], s[18:19], v6, s26, 0
	v_add3_u32 v19, v19, v21, v20
	s_mov_b64 s[18:19], 0
	s_and_b64 vcc, exec, s[4:5]
	v_lshl_add_u64 v[20:21], v[18:19], 3, s[28:29]
	s_mov_b64 s[36:37], 0
	s_cbranch_vccnz .LBB1675_59
; %bb.51:
	global_load_dwordx2 v[18:19], v[20:21], off
	global_load_dwordx2 v[22:23], v[16:17], off
	s_mov_b64 s[36:37], -1
	s_waitcnt vmcnt(0)
	v_cmp_eq_u64_e32 vcc, v[18:19], v[22:23]
	s_and_saveexec_b64 s[38:39], vcc
	s_cbranch_execz .LBB1675_58
; %bb.52:
	s_add_u32 s36, s26, -1
	v_lshl_add_u64 v[16:17], v[16:17], 0, 8
	v_lshl_add_u64 v[18:19], v[20:21], 0, 8
	s_addc_u32 s37, s27, -1
	s_mov_b64 s[40:41], 0
	s_mov_b64 s[44:45], 0
                                        ; implicit-def: $sgpr42_sgpr43
	s_branch .LBB1675_55
.LBB1675_53:                            ;   in Loop: Header=BB1675_55 Depth=1
	global_load_dwordx2 v[22:23], v[18:19], off
	global_load_dwordx2 v[32:33], v[16:17], off
	s_add_u32 s44, s44, 1
	s_addc_u32 s45, s45, 0
	s_andn2_b64 s[42:43], s[42:43], exec
	v_lshl_add_u64 v[16:17], v[16:17], 0, 8
	v_lshl_add_u64 v[18:19], v[18:19], 0, 8
	s_waitcnt vmcnt(0)
	v_cmp_ne_u64_e32 vcc, v[22:23], v[32:33]
	s_and_b64 s[46:47], vcc, exec
	s_or_b64 s[42:43], s[42:43], s[46:47]
.LBB1675_54:                            ;   in Loop: Header=BB1675_55 Depth=1
	s_and_b64 s[46:47], exec, s[42:43]
	s_or_b64 s[40:41], s[46:47], s[40:41]
	v_mov_b64_e32 v[22:23], s[44:45]
	s_andn2_b64 exec, exec, s[40:41]
	s_cbranch_execz .LBB1675_57
.LBB1675_55:                            ; =>This Inner Loop Header: Depth=1
	s_or_b64 s[42:43], s[42:43], exec
	s_cmp_eq_u64 s[36:37], s[44:45]
	s_cbranch_scc0 .LBB1675_53
; %bb.56:                               ;   in Loop: Header=BB1675_55 Depth=1
                                        ; implicit-def: $vgpr16_vgpr17
                                        ; implicit-def: $vgpr18_vgpr19
	s_mov_b64 s[44:45], s[26:27]
	s_branch .LBB1675_54
.LBB1675_57:
	s_or_b64 exec, exec, s[40:41]
	v_cmp_gt_i64_e32 vcc, s[26:27], v[22:23]
	s_orn2_b64 s[36:37], vcc, exec
.LBB1675_58:
	s_or_b64 exec, exec, s[38:39]
.LBB1675_59:
	v_mul_lo_u32 v18, v13, s26
	v_mul_lo_u32 v19, v12, s27
	v_mad_u64_u32 v[16:17], s[38:39], v12, s26, 0
	v_add3_u32 v17, v17, v19, v18
	s_and_b64 vcc, exec, s[4:5]
	v_lshl_add_u64 v[18:19], v[16:17], 3, s[28:29]
	s_cbranch_vccnz .LBB1675_68
; %bb.60:
	global_load_dwordx2 v[16:17], v[18:19], off
	global_load_dwordx2 v[22:23], v[20:21], off
	s_mov_b64 s[18:19], -1
	s_waitcnt vmcnt(0)
	v_cmp_eq_u64_e32 vcc, v[16:17], v[22:23]
	s_and_saveexec_b64 s[38:39], vcc
	s_cbranch_execz .LBB1675_67
; %bb.61:
	s_add_u32 s18, s26, -1
	v_lshl_add_u64 v[16:17], v[20:21], 0, 8
	v_lshl_add_u64 v[20:21], v[18:19], 0, 8
	s_addc_u32 s19, s27, -1
	s_mov_b64 s[40:41], 0
	s_mov_b64 s[44:45], 0
                                        ; implicit-def: $sgpr42_sgpr43
	s_branch .LBB1675_64
.LBB1675_62:                            ;   in Loop: Header=BB1675_64 Depth=1
	global_load_dwordx2 v[22:23], v[20:21], off
	global_load_dwordx2 v[32:33], v[16:17], off
	s_add_u32 s44, s44, 1
	s_addc_u32 s45, s45, 0
	s_andn2_b64 s[42:43], s[42:43], exec
	v_lshl_add_u64 v[16:17], v[16:17], 0, 8
	v_lshl_add_u64 v[20:21], v[20:21], 0, 8
	s_waitcnt vmcnt(0)
	v_cmp_ne_u64_e32 vcc, v[22:23], v[32:33]
	s_and_b64 s[46:47], vcc, exec
	s_or_b64 s[42:43], s[42:43], s[46:47]
.LBB1675_63:                            ;   in Loop: Header=BB1675_64 Depth=1
	s_and_b64 s[46:47], exec, s[42:43]
	s_or_b64 s[40:41], s[46:47], s[40:41]
	v_mov_b64_e32 v[22:23], s[44:45]
	s_andn2_b64 exec, exec, s[40:41]
	s_cbranch_execz .LBB1675_66
.LBB1675_64:                            ; =>This Inner Loop Header: Depth=1
	s_or_b64 s[42:43], s[42:43], exec
	s_cmp_eq_u64 s[18:19], s[44:45]
	s_cbranch_scc0 .LBB1675_62
; %bb.65:                               ;   in Loop: Header=BB1675_64 Depth=1
                                        ; implicit-def: $vgpr16_vgpr17
                                        ; implicit-def: $vgpr20_vgpr21
	s_mov_b64 s[44:45], s[26:27]
	s_branch .LBB1675_63
.LBB1675_66:
	s_or_b64 exec, exec, s[40:41]
	v_cmp_gt_i64_e32 vcc, s[26:27], v[22:23]
	s_orn2_b64 s[18:19], vcc, exec
.LBB1675_67:
	s_or_b64 exec, exec, s[38:39]
.LBB1675_68:
	v_mul_lo_u32 v20, v11, s26
	v_mul_lo_u32 v21, v10, s27
	v_mad_u64_u32 v[16:17], s[38:39], v10, s26, 0
	v_add3_u32 v17, v17, v21, v20
	s_mov_b64 s[40:41], 0
	s_and_b64 vcc, exec, s[4:5]
	v_lshl_add_u64 v[16:17], v[16:17], 3, s[28:29]
	s_cbranch_vccnz .LBB1675_77
; %bb.69:
	global_load_dwordx2 v[20:21], v[16:17], off
	global_load_dwordx2 v[22:23], v[18:19], off
	s_mov_b64 s[40:41], -1
	s_waitcnt vmcnt(0)
	v_cmp_eq_u64_e32 vcc, v[20:21], v[22:23]
	s_and_saveexec_b64 s[38:39], vcc
	s_cbranch_execz .LBB1675_76
; %bb.70:
	s_add_u32 s40, s26, -1
	v_lshl_add_u64 v[18:19], v[18:19], 0, 8
	v_lshl_add_u64 v[20:21], v[16:17], 0, 8
	s_addc_u32 s41, s27, -1
	s_mov_b64 s[42:43], 0
	s_mov_b64 s[46:47], 0
                                        ; implicit-def: $sgpr44_sgpr45
	s_branch .LBB1675_73
.LBB1675_71:                            ;   in Loop: Header=BB1675_73 Depth=1
	global_load_dwordx2 v[22:23], v[20:21], off
	global_load_dwordx2 v[32:33], v[18:19], off
	s_add_u32 s46, s46, 1
	s_addc_u32 s47, s47, 0
	s_andn2_b64 s[44:45], s[44:45], exec
	v_lshl_add_u64 v[18:19], v[18:19], 0, 8
	v_lshl_add_u64 v[20:21], v[20:21], 0, 8
	s_waitcnt vmcnt(0)
	v_cmp_ne_u64_e32 vcc, v[22:23], v[32:33]
	s_and_b64 s[48:49], vcc, exec
	s_or_b64 s[44:45], s[44:45], s[48:49]
.LBB1675_72:                            ;   in Loop: Header=BB1675_73 Depth=1
	s_and_b64 s[48:49], exec, s[44:45]
	s_or_b64 s[42:43], s[48:49], s[42:43]
	v_mov_b64_e32 v[22:23], s[46:47]
	s_andn2_b64 exec, exec, s[42:43]
	s_cbranch_execz .LBB1675_75
.LBB1675_73:                            ; =>This Inner Loop Header: Depth=1
	s_or_b64 s[44:45], s[44:45], exec
	s_cmp_eq_u64 s[40:41], s[46:47]
	s_cbranch_scc0 .LBB1675_71
; %bb.74:                               ;   in Loop: Header=BB1675_73 Depth=1
                                        ; implicit-def: $vgpr18_vgpr19
                                        ; implicit-def: $vgpr20_vgpr21
	s_mov_b64 s[46:47], s[26:27]
	s_branch .LBB1675_72
.LBB1675_75:
	s_or_b64 exec, exec, s[42:43]
	v_cmp_gt_i64_e32 vcc, s[26:27], v[22:23]
	s_orn2_b64 s[40:41], vcc, exec
.LBB1675_76:
	s_or_b64 exec, exec, s[38:39]
.LBB1675_77:
	v_cmp_ne_u32_e32 vcc, 0, v0
	s_waitcnt lgkmcnt(0)
	v_mov_b64_e32 v[18:19], s[6:7]
	s_barrier
	s_and_saveexec_b64 s[38:39], vcc
	s_cbranch_execz .LBB1675_79
; %bb.78:
	v_add_u32_e32 v18, -8, v31
	ds_read_b64 v[18:19], v18
.LBB1675_79:
	s_or_b64 exec, exec, s[38:39]
	v_cndmask_b32_e64 v21, 0, 1, s[36:37]
	v_cndmask_b32_e64 v20, 0, 1, s[18:19]
	;; [unrolled: 1-line block ×3, first 2 shown]
	v_lshlrev_b16_e32 v21, 8, v21
	v_lshlrev_b16_e32 v22, 8, v22
	v_or_b32_sdwa v23, v20, v21 dst_sel:WORD_1 dst_unused:UNUSED_PAD src0_sel:DWORD src1_sel:DWORD
	s_mov_b64 s[36:37], 0
	s_and_b64 vcc, exec, s[4:5]
	s_mov_b64 s[18:19], 0
	s_cbranch_vccnz .LBB1675_88
; %bb.80:
	s_waitcnt lgkmcnt(0)
	v_mul_lo_u32 v20, v19, s26
	v_mul_lo_u32 v21, v18, s27
	v_mad_u64_u32 v[18:19], s[18:19], v18, s26, 0
	v_add3_u32 v19, v19, v21, v20
	v_lshl_add_u64 v[18:19], v[18:19], 3, s[28:29]
	global_load_dwordx2 v[20:21], v[18:19], off
	global_load_dwordx2 v[32:33], v[16:17], off
	s_mov_b64 s[18:19], -1
	s_waitcnt vmcnt(0)
	v_cmp_eq_u64_e32 vcc, v[20:21], v[32:33]
	s_and_saveexec_b64 s[38:39], vcc
	s_cbranch_execz .LBB1675_87
; %bb.81:
	s_add_u32 s18, s26, -1
	v_lshl_add_u64 v[16:17], v[16:17], 0, 8
	v_lshl_add_u64 v[18:19], v[18:19], 0, 8
	s_addc_u32 s19, s27, -1
	s_mov_b64 s[40:41], 0
	s_mov_b64 s[44:45], 0
                                        ; implicit-def: $sgpr42_sgpr43
	s_branch .LBB1675_84
.LBB1675_82:                            ;   in Loop: Header=BB1675_84 Depth=1
	global_load_dwordx2 v[20:21], v[18:19], off
	global_load_dwordx2 v[32:33], v[16:17], off
	s_add_u32 s44, s44, 1
	s_addc_u32 s45, s45, 0
	s_andn2_b64 s[42:43], s[42:43], exec
	v_lshl_add_u64 v[16:17], v[16:17], 0, 8
	v_lshl_add_u64 v[18:19], v[18:19], 0, 8
	s_waitcnt vmcnt(0)
	v_cmp_ne_u64_e32 vcc, v[20:21], v[32:33]
	s_and_b64 s[46:47], vcc, exec
	s_or_b64 s[42:43], s[42:43], s[46:47]
.LBB1675_83:                            ;   in Loop: Header=BB1675_84 Depth=1
	s_and_b64 s[46:47], exec, s[42:43]
	s_or_b64 s[40:41], s[46:47], s[40:41]
	v_mov_b64_e32 v[20:21], s[44:45]
	s_andn2_b64 exec, exec, s[40:41]
	s_cbranch_execz .LBB1675_86
.LBB1675_84:                            ; =>This Inner Loop Header: Depth=1
	s_or_b64 s[42:43], s[42:43], exec
	s_cmp_eq_u64 s[18:19], s[44:45]
	s_cbranch_scc0 .LBB1675_82
; %bb.85:                               ;   in Loop: Header=BB1675_84 Depth=1
                                        ; implicit-def: $vgpr16_vgpr17
                                        ; implicit-def: $vgpr18_vgpr19
	s_mov_b64 s[44:45], s[26:27]
	s_branch .LBB1675_83
.LBB1675_86:
	s_or_b64 exec, exec, s[40:41]
	v_cmp_gt_i64_e32 vcc, s[26:27], v[20:21]
	s_orn2_b64 s[18:19], vcc, exec
.LBB1675_87:
	s_or_b64 exec, exec, s[38:39]
.LBB1675_88:
	v_cndmask_b32_e64 v32, 0, 1, s[12:13]
	v_cndmask_b32_e64 v33, 0, 1, s[14:15]
	;; [unrolled: 1-line block ×3, first 2 shown]
	v_or_b32_e32 v20, v22, v23
	s_and_b64 vcc, exec, s[36:37]
	s_cbranch_vccz .LBB1675_169
.LBB1675_89:
	v_cmp_gt_u32_e32 vcc, s3, v27
	s_mov_b64 s[12:13], 0
	s_mov_b64 s[10:11], 0
	s_and_saveexec_b64 s[14:15], vcc
	s_cbranch_execz .LBB1675_100
; %bb.90:
	s_and_b64 vcc, exec, s[4:5]
	s_mov_b64 s[18:19], 0
	s_cbranch_vccnz .LBB1675_99
; %bb.91:
	s_waitcnt lgkmcnt(0)
	v_mul_lo_u32 v18, v5, s26
	v_mul_lo_u32 v19, v4, s27
	v_mad_u64_u32 v[16:17], s[10:11], v4, s26, 0
	v_add3_u32 v17, v17, v19, v18
	v_mul_lo_u32 v18, v15, s26
	v_mul_lo_u32 v19, v14, s27
	v_mad_u64_u32 v[20:21], s[10:11], v14, s26, 0
	v_add3_u32 v21, v21, v19, v18
	v_lshl_add_u64 v[18:19], v[16:17], 3, s[28:29]
	v_lshl_add_u64 v[16:17], v[20:21], 3, s[28:29]
	global_load_dwordx2 v[20:21], v[18:19], off
	global_load_dwordx2 v[22:23], v[16:17], off
	s_mov_b64 s[18:19], -1
	s_waitcnt vmcnt(0)
	v_cmp_eq_u64_e32 vcc, v[20:21], v[22:23]
	s_and_saveexec_b64 s[10:11], vcc
	s_cbranch_execz .LBB1675_98
; %bb.92:
	s_add_u32 s18, s26, -1
	v_lshl_add_u64 v[16:17], v[16:17], 0, 8
	v_lshl_add_u64 v[18:19], v[18:19], 0, 8
	s_addc_u32 s19, s27, -1
	s_mov_b64 s[36:37], 0
	s_mov_b64 s[40:41], 0
                                        ; implicit-def: $sgpr38_sgpr39
	s_branch .LBB1675_95
.LBB1675_93:                            ;   in Loop: Header=BB1675_95 Depth=1
	global_load_dwordx2 v[20:21], v[18:19], off
	global_load_dwordx2 v[22:23], v[16:17], off
	s_add_u32 s40, s40, 1
	s_addc_u32 s41, s41, 0
	s_andn2_b64 s[38:39], s[38:39], exec
	v_lshl_add_u64 v[16:17], v[16:17], 0, 8
	v_lshl_add_u64 v[18:19], v[18:19], 0, 8
	s_waitcnt vmcnt(0)
	v_cmp_ne_u64_e32 vcc, v[20:21], v[22:23]
	s_and_b64 s[42:43], vcc, exec
	s_or_b64 s[38:39], s[38:39], s[42:43]
.LBB1675_94:                            ;   in Loop: Header=BB1675_95 Depth=1
	s_and_b64 s[42:43], exec, s[38:39]
	s_or_b64 s[36:37], s[42:43], s[36:37]
	v_mov_b64_e32 v[20:21], s[40:41]
	s_andn2_b64 exec, exec, s[36:37]
	s_cbranch_execz .LBB1675_97
.LBB1675_95:                            ; =>This Inner Loop Header: Depth=1
	s_or_b64 s[38:39], s[38:39], exec
	s_cmp_eq_u64 s[18:19], s[40:41]
	s_cbranch_scc0 .LBB1675_93
; %bb.96:                               ;   in Loop: Header=BB1675_95 Depth=1
                                        ; implicit-def: $vgpr16_vgpr17
                                        ; implicit-def: $vgpr18_vgpr19
	s_mov_b64 s[40:41], s[26:27]
	s_branch .LBB1675_94
.LBB1675_97:
	s_or_b64 exec, exec, s[36:37]
	v_cmp_gt_i64_e32 vcc, s[26:27], v[20:21]
	s_orn2_b64 s[18:19], vcc, exec
.LBB1675_98:
	s_or_b64 exec, exec, s[10:11]
.LBB1675_99:
	s_and_b64 s[10:11], s[18:19], exec
.LBB1675_100:
	s_or_b64 exec, exec, s[14:15]
	v_cmp_gt_u32_e32 vcc, s3, v29
	s_and_saveexec_b64 s[14:15], vcc
	s_cbranch_execz .LBB1675_111
; %bb.101:
	s_and_b64 vcc, exec, s[4:5]
	s_mov_b64 s[18:19], 0
	s_cbranch_vccnz .LBB1675_110
; %bb.102:
	s_waitcnt lgkmcnt(0)
	v_mul_lo_u32 v18, v3, s26
	v_mul_lo_u32 v19, v2, s27
	v_mad_u64_u32 v[16:17], s[12:13], v2, s26, 0
	v_add3_u32 v17, v17, v19, v18
	v_mul_lo_u32 v18, v5, s26
	v_mul_lo_u32 v19, v4, s27
	v_mad_u64_u32 v[20:21], s[12:13], v4, s26, 0
	v_add3_u32 v21, v21, v19, v18
	v_lshl_add_u64 v[18:19], v[16:17], 3, s[28:29]
	v_lshl_add_u64 v[16:17], v[20:21], 3, s[28:29]
	global_load_dwordx2 v[20:21], v[18:19], off
	global_load_dwordx2 v[22:23], v[16:17], off
	s_mov_b64 s[18:19], -1
	s_waitcnt vmcnt(0)
	v_cmp_eq_u64_e32 vcc, v[20:21], v[22:23]
	s_and_saveexec_b64 s[12:13], vcc
	s_cbranch_execz .LBB1675_109
; %bb.103:
	s_add_u32 s18, s26, -1
	v_lshl_add_u64 v[16:17], v[16:17], 0, 8
	v_lshl_add_u64 v[18:19], v[18:19], 0, 8
	s_addc_u32 s19, s27, -1
	s_mov_b64 s[36:37], 0
	s_mov_b64 s[40:41], 0
                                        ; implicit-def: $sgpr38_sgpr39
	s_branch .LBB1675_106
.LBB1675_104:                           ;   in Loop: Header=BB1675_106 Depth=1
	global_load_dwordx2 v[20:21], v[18:19], off
	global_load_dwordx2 v[22:23], v[16:17], off
	s_add_u32 s40, s40, 1
	s_addc_u32 s41, s41, 0
	s_andn2_b64 s[38:39], s[38:39], exec
	v_lshl_add_u64 v[16:17], v[16:17], 0, 8
	v_lshl_add_u64 v[18:19], v[18:19], 0, 8
	s_waitcnt vmcnt(0)
	v_cmp_ne_u64_e32 vcc, v[20:21], v[22:23]
	s_and_b64 s[42:43], vcc, exec
	s_or_b64 s[38:39], s[38:39], s[42:43]
.LBB1675_105:                           ;   in Loop: Header=BB1675_106 Depth=1
	s_and_b64 s[42:43], exec, s[38:39]
	s_or_b64 s[36:37], s[42:43], s[36:37]
	v_mov_b64_e32 v[20:21], s[40:41]
	s_andn2_b64 exec, exec, s[36:37]
	s_cbranch_execz .LBB1675_108
.LBB1675_106:                           ; =>This Inner Loop Header: Depth=1
	s_or_b64 s[38:39], s[38:39], exec
	s_cmp_eq_u64 s[18:19], s[40:41]
	s_cbranch_scc0 .LBB1675_104
; %bb.107:                              ;   in Loop: Header=BB1675_106 Depth=1
                                        ; implicit-def: $vgpr16_vgpr17
                                        ; implicit-def: $vgpr18_vgpr19
	s_mov_b64 s[40:41], s[26:27]
	s_branch .LBB1675_105
.LBB1675_108:
	s_or_b64 exec, exec, s[36:37]
	v_cmp_gt_i64_e32 vcc, s[26:27], v[20:21]
	s_orn2_b64 s[18:19], vcc, exec
.LBB1675_109:
	s_or_b64 exec, exec, s[12:13]
.LBB1675_110:
	s_and_b64 s[12:13], s[18:19], exec
.LBB1675_111:
	s_or_b64 exec, exec, s[14:15]
	v_cmp_gt_u32_e32 vcc, s3, v26
	s_mov_b64 s[18:19], 0
	s_mov_b64 s[14:15], 0
	s_and_saveexec_b64 s[36:37], vcc
	s_cbranch_execz .LBB1675_122
; %bb.112:
	s_and_b64 vcc, exec, s[4:5]
	s_mov_b64 s[38:39], 0
	s_cbranch_vccnz .LBB1675_121
; %bb.113:
	s_waitcnt lgkmcnt(0)
	v_mul_lo_u32 v18, v9, s26
	v_mul_lo_u32 v19, v8, s27
	v_mad_u64_u32 v[16:17], s[14:15], v8, s26, 0
	v_add3_u32 v17, v17, v19, v18
	v_mul_lo_u32 v18, v3, s26
	v_mul_lo_u32 v19, v2, s27
	v_mad_u64_u32 v[20:21], s[14:15], v2, s26, 0
	v_add3_u32 v21, v21, v19, v18
	v_lshl_add_u64 v[18:19], v[16:17], 3, s[28:29]
	v_lshl_add_u64 v[16:17], v[20:21], 3, s[28:29]
	global_load_dwordx2 v[20:21], v[18:19], off
	global_load_dwordx2 v[22:23], v[16:17], off
	s_mov_b64 s[38:39], -1
	s_waitcnt vmcnt(0)
	v_cmp_eq_u64_e32 vcc, v[20:21], v[22:23]
	s_and_saveexec_b64 s[14:15], vcc
	s_cbranch_execz .LBB1675_120
; %bb.114:
	s_add_u32 s38, s26, -1
	v_lshl_add_u64 v[16:17], v[16:17], 0, 8
	v_lshl_add_u64 v[18:19], v[18:19], 0, 8
	s_addc_u32 s39, s27, -1
	s_mov_b64 s[40:41], 0
	s_mov_b64 s[44:45], 0
                                        ; implicit-def: $sgpr42_sgpr43
	s_branch .LBB1675_117
.LBB1675_115:                           ;   in Loop: Header=BB1675_117 Depth=1
	global_load_dwordx2 v[20:21], v[18:19], off
	global_load_dwordx2 v[22:23], v[16:17], off
	s_add_u32 s44, s44, 1
	s_addc_u32 s45, s45, 0
	s_andn2_b64 s[42:43], s[42:43], exec
	v_lshl_add_u64 v[16:17], v[16:17], 0, 8
	v_lshl_add_u64 v[18:19], v[18:19], 0, 8
	s_waitcnt vmcnt(0)
	v_cmp_ne_u64_e32 vcc, v[20:21], v[22:23]
	s_and_b64 s[46:47], vcc, exec
	s_or_b64 s[42:43], s[42:43], s[46:47]
.LBB1675_116:                           ;   in Loop: Header=BB1675_117 Depth=1
	s_and_b64 s[46:47], exec, s[42:43]
	s_or_b64 s[40:41], s[46:47], s[40:41]
	v_mov_b64_e32 v[20:21], s[44:45]
	s_andn2_b64 exec, exec, s[40:41]
	s_cbranch_execz .LBB1675_119
.LBB1675_117:                           ; =>This Inner Loop Header: Depth=1
	s_or_b64 s[42:43], s[42:43], exec
	s_cmp_eq_u64 s[38:39], s[44:45]
	s_cbranch_scc0 .LBB1675_115
; %bb.118:                              ;   in Loop: Header=BB1675_117 Depth=1
                                        ; implicit-def: $vgpr16_vgpr17
                                        ; implicit-def: $vgpr18_vgpr19
	s_mov_b64 s[44:45], s[26:27]
	s_branch .LBB1675_116
.LBB1675_119:
	s_or_b64 exec, exec, s[40:41]
	v_cmp_gt_i64_e32 vcc, s[26:27], v[20:21]
	s_orn2_b64 s[38:39], vcc, exec
.LBB1675_120:
	s_or_b64 exec, exec, s[14:15]
.LBB1675_121:
	s_and_b64 s[14:15], s[38:39], exec
.LBB1675_122:
	s_or_b64 exec, exec, s[36:37]
	v_cmp_gt_u32_e32 vcc, s3, v28
	s_and_saveexec_b64 s[36:37], vcc
	s_cbranch_execz .LBB1675_133
; %bb.123:
	s_and_b64 vcc, exec, s[4:5]
	s_mov_b64 s[38:39], 0
	s_cbranch_vccnz .LBB1675_132
; %bb.124:
	s_waitcnt lgkmcnt(0)
	v_mul_lo_u32 v18, v7, s26
	v_mul_lo_u32 v19, v6, s27
	v_mad_u64_u32 v[16:17], s[18:19], v6, s26, 0
	v_add3_u32 v17, v17, v19, v18
	v_mul_lo_u32 v18, v9, s26
	v_mul_lo_u32 v19, v8, s27
	v_mad_u64_u32 v[20:21], s[18:19], v8, s26, 0
	v_add3_u32 v21, v21, v19, v18
	v_lshl_add_u64 v[18:19], v[16:17], 3, s[28:29]
	v_lshl_add_u64 v[16:17], v[20:21], 3, s[28:29]
	global_load_dwordx2 v[20:21], v[18:19], off
	global_load_dwordx2 v[22:23], v[16:17], off
	s_mov_b64 s[38:39], -1
	s_waitcnt vmcnt(0)
	v_cmp_eq_u64_e32 vcc, v[20:21], v[22:23]
	s_and_saveexec_b64 s[18:19], vcc
	s_cbranch_execz .LBB1675_131
; %bb.125:
	s_add_u32 s38, s26, -1
	v_lshl_add_u64 v[16:17], v[16:17], 0, 8
	v_lshl_add_u64 v[18:19], v[18:19], 0, 8
	s_addc_u32 s39, s27, -1
	s_mov_b64 s[40:41], 0
	s_mov_b64 s[44:45], 0
                                        ; implicit-def: $sgpr42_sgpr43
	s_branch .LBB1675_128
.LBB1675_126:                           ;   in Loop: Header=BB1675_128 Depth=1
	global_load_dwordx2 v[20:21], v[18:19], off
	global_load_dwordx2 v[22:23], v[16:17], off
	s_add_u32 s44, s44, 1
	s_addc_u32 s45, s45, 0
	s_andn2_b64 s[42:43], s[42:43], exec
	v_lshl_add_u64 v[16:17], v[16:17], 0, 8
	v_lshl_add_u64 v[18:19], v[18:19], 0, 8
	s_waitcnt vmcnt(0)
	v_cmp_ne_u64_e32 vcc, v[20:21], v[22:23]
	s_and_b64 s[46:47], vcc, exec
	s_or_b64 s[42:43], s[42:43], s[46:47]
.LBB1675_127:                           ;   in Loop: Header=BB1675_128 Depth=1
	s_and_b64 s[46:47], exec, s[42:43]
	s_or_b64 s[40:41], s[46:47], s[40:41]
	v_mov_b64_e32 v[20:21], s[44:45]
	s_andn2_b64 exec, exec, s[40:41]
	s_cbranch_execz .LBB1675_130
.LBB1675_128:                           ; =>This Inner Loop Header: Depth=1
	s_or_b64 s[42:43], s[42:43], exec
	s_cmp_eq_u64 s[38:39], s[44:45]
	s_cbranch_scc0 .LBB1675_126
; %bb.129:                              ;   in Loop: Header=BB1675_128 Depth=1
                                        ; implicit-def: $vgpr16_vgpr17
                                        ; implicit-def: $vgpr18_vgpr19
	s_mov_b64 s[44:45], s[26:27]
	s_branch .LBB1675_127
.LBB1675_130:
	s_or_b64 exec, exec, s[40:41]
	v_cmp_gt_i64_e32 vcc, s[26:27], v[20:21]
	s_orn2_b64 s[38:39], vcc, exec
.LBB1675_131:
	s_or_b64 exec, exec, s[18:19]
.LBB1675_132:
	s_and_b64 s[18:19], s[38:39], exec
.LBB1675_133:
	s_or_b64 exec, exec, s[36:37]
	v_cmp_gt_u32_e32 vcc, s3, v24
	s_mov_b64 s[36:37], 0
	s_mov_b64 s[38:39], 0
	s_and_saveexec_b64 s[40:41], vcc
	s_cbranch_execz .LBB1675_144
; %bb.134:
	s_and_b64 vcc, exec, s[4:5]
	s_mov_b64 s[42:43], 0
	s_cbranch_vccnz .LBB1675_143
; %bb.135:
	s_waitcnt lgkmcnt(0)
	v_mul_lo_u32 v18, v13, s26
	v_mul_lo_u32 v19, v12, s27
	v_mad_u64_u32 v[16:17], s[38:39], v12, s26, 0
	v_add3_u32 v17, v17, v19, v18
	v_mul_lo_u32 v18, v7, s26
	v_mul_lo_u32 v19, v6, s27
	v_mad_u64_u32 v[20:21], s[38:39], v6, s26, 0
	v_add3_u32 v21, v21, v19, v18
	v_lshl_add_u64 v[18:19], v[16:17], 3, s[28:29]
	v_lshl_add_u64 v[16:17], v[20:21], 3, s[28:29]
	global_load_dwordx2 v[20:21], v[18:19], off
	global_load_dwordx2 v[22:23], v[16:17], off
	s_mov_b64 s[42:43], -1
	s_waitcnt vmcnt(0)
	v_cmp_eq_u64_e32 vcc, v[20:21], v[22:23]
	s_and_saveexec_b64 s[38:39], vcc
	s_cbranch_execz .LBB1675_142
; %bb.136:
	s_add_u32 s42, s26, -1
	v_lshl_add_u64 v[16:17], v[16:17], 0, 8
	v_lshl_add_u64 v[18:19], v[18:19], 0, 8
	s_addc_u32 s43, s27, -1
	s_mov_b64 s[44:45], 0
	s_mov_b64 s[48:49], 0
                                        ; implicit-def: $sgpr46_sgpr47
	s_branch .LBB1675_139
.LBB1675_137:                           ;   in Loop: Header=BB1675_139 Depth=1
	global_load_dwordx2 v[20:21], v[18:19], off
	global_load_dwordx2 v[22:23], v[16:17], off
	s_add_u32 s48, s48, 1
	s_addc_u32 s49, s49, 0
	s_andn2_b64 s[46:47], s[46:47], exec
	v_lshl_add_u64 v[16:17], v[16:17], 0, 8
	v_lshl_add_u64 v[18:19], v[18:19], 0, 8
	s_waitcnt vmcnt(0)
	v_cmp_ne_u64_e32 vcc, v[20:21], v[22:23]
	s_and_b64 s[50:51], vcc, exec
	s_or_b64 s[46:47], s[46:47], s[50:51]
.LBB1675_138:                           ;   in Loop: Header=BB1675_139 Depth=1
	s_and_b64 s[50:51], exec, s[46:47]
	s_or_b64 s[44:45], s[50:51], s[44:45]
	v_mov_b64_e32 v[20:21], s[48:49]
	s_andn2_b64 exec, exec, s[44:45]
	s_cbranch_execz .LBB1675_141
.LBB1675_139:                           ; =>This Inner Loop Header: Depth=1
	s_or_b64 s[46:47], s[46:47], exec
	s_cmp_eq_u64 s[42:43], s[48:49]
	s_cbranch_scc0 .LBB1675_137
; %bb.140:                              ;   in Loop: Header=BB1675_139 Depth=1
                                        ; implicit-def: $vgpr16_vgpr17
                                        ; implicit-def: $vgpr18_vgpr19
	s_mov_b64 s[48:49], s[26:27]
	s_branch .LBB1675_138
.LBB1675_141:
	s_or_b64 exec, exec, s[44:45]
	v_cmp_gt_i64_e32 vcc, s[26:27], v[20:21]
	s_orn2_b64 s[42:43], vcc, exec
.LBB1675_142:
	s_or_b64 exec, exec, s[38:39]
.LBB1675_143:
	s_and_b64 s[38:39], s[42:43], exec
.LBB1675_144:
	s_or_b64 exec, exec, s[40:41]
	v_cmp_gt_u32_e32 vcc, s3, v25
	s_and_saveexec_b64 s[40:41], vcc
	s_cbranch_execz .LBB1675_155
; %bb.145:
	s_and_b64 vcc, exec, s[4:5]
	s_mov_b64 s[42:43], 0
	s_cbranch_vccnz .LBB1675_154
; %bb.146:
	s_waitcnt lgkmcnt(0)
	v_mul_lo_u32 v18, v11, s26
	v_mul_lo_u32 v19, v10, s27
	v_mad_u64_u32 v[16:17], s[36:37], v10, s26, 0
	v_add3_u32 v17, v17, v19, v18
	v_mul_lo_u32 v18, v13, s26
	v_mul_lo_u32 v19, v12, s27
	v_mad_u64_u32 v[20:21], s[36:37], v12, s26, 0
	v_add3_u32 v21, v21, v19, v18
	v_lshl_add_u64 v[18:19], v[16:17], 3, s[28:29]
	v_lshl_add_u64 v[16:17], v[20:21], 3, s[28:29]
	global_load_dwordx2 v[20:21], v[18:19], off
	global_load_dwordx2 v[22:23], v[16:17], off
	s_mov_b64 s[42:43], -1
	s_waitcnt vmcnt(0)
	v_cmp_eq_u64_e32 vcc, v[20:21], v[22:23]
	s_and_saveexec_b64 s[36:37], vcc
	s_cbranch_execz .LBB1675_153
; %bb.147:
	s_add_u32 s42, s26, -1
	v_lshl_add_u64 v[16:17], v[16:17], 0, 8
	v_lshl_add_u64 v[18:19], v[18:19], 0, 8
	s_addc_u32 s43, s27, -1
	s_mov_b64 s[44:45], 0
	s_mov_b64 s[48:49], 0
                                        ; implicit-def: $sgpr46_sgpr47
	s_branch .LBB1675_150
.LBB1675_148:                           ;   in Loop: Header=BB1675_150 Depth=1
	global_load_dwordx2 v[20:21], v[18:19], off
	global_load_dwordx2 v[22:23], v[16:17], off
	s_add_u32 s48, s48, 1
	s_addc_u32 s49, s49, 0
	s_andn2_b64 s[46:47], s[46:47], exec
	v_lshl_add_u64 v[16:17], v[16:17], 0, 8
	v_lshl_add_u64 v[18:19], v[18:19], 0, 8
	s_waitcnt vmcnt(0)
	v_cmp_ne_u64_e32 vcc, v[20:21], v[22:23]
	s_and_b64 s[50:51], vcc, exec
	s_or_b64 s[46:47], s[46:47], s[50:51]
.LBB1675_149:                           ;   in Loop: Header=BB1675_150 Depth=1
	s_and_b64 s[50:51], exec, s[46:47]
	s_or_b64 s[44:45], s[50:51], s[44:45]
	v_mov_b64_e32 v[20:21], s[48:49]
	s_andn2_b64 exec, exec, s[44:45]
	s_cbranch_execz .LBB1675_152
.LBB1675_150:                           ; =>This Inner Loop Header: Depth=1
	s_or_b64 s[46:47], s[46:47], exec
	s_cmp_eq_u64 s[42:43], s[48:49]
	s_cbranch_scc0 .LBB1675_148
; %bb.151:                              ;   in Loop: Header=BB1675_150 Depth=1
                                        ; implicit-def: $vgpr16_vgpr17
                                        ; implicit-def: $vgpr18_vgpr19
	s_mov_b64 s[48:49], s[26:27]
	s_branch .LBB1675_149
.LBB1675_152:
	s_or_b64 exec, exec, s[44:45]
	v_cmp_gt_i64_e32 vcc, s[26:27], v[20:21]
	s_orn2_b64 s[42:43], vcc, exec
.LBB1675_153:
	s_or_b64 exec, exec, s[36:37]
.LBB1675_154:
	s_and_b64 s[36:37], s[42:43], exec
.LBB1675_155:
	s_or_b64 exec, exec, s[40:41]
	v_cmp_ne_u32_e32 vcc, 0, v0
	s_waitcnt lgkmcnt(0)
	v_mov_b64_e32 v[16:17], s[6:7]
	s_barrier
	s_and_saveexec_b64 s[6:7], vcc
	s_cbranch_execz .LBB1675_157
; %bb.156:
	v_add_u32_e32 v16, -8, v31
	ds_read_b64 v[16:17], v16
.LBB1675_157:
	s_or_b64 exec, exec, s[6:7]
	v_cndmask_b32_e64 v19, 0, 1, s[18:19]
	v_cndmask_b32_e64 v18, 0, 1, s[38:39]
	;; [unrolled: 1-line block ×3, first 2 shown]
	v_lshlrev_b16_e32 v19, 8, v19
	v_cmp_gt_u32_e32 vcc, s3, v1
	v_lshlrev_b16_e32 v22, 8, v20
	v_or_b32_sdwa v23, v18, v19 dst_sel:WORD_1 dst_unused:UNUSED_PAD src0_sel:DWORD src1_sel:DWORD
	s_mov_b64 s[18:19], 0
	s_and_saveexec_b64 s[6:7], vcc
	s_cbranch_execz .LBB1675_168
; %bb.158:
	s_and_b64 vcc, exec, s[4:5]
	s_cbranch_vccnz .LBB1675_167
; %bb.159:
	s_waitcnt lgkmcnt(0)
	v_mul_lo_u32 v18, v17, s26
	v_mul_lo_u32 v19, v16, s27
	v_mad_u64_u32 v[16:17], s[4:5], v16, s26, 0
	v_add3_u32 v17, v17, v19, v18
	v_mul_lo_u32 v18, v11, s26
	v_mul_lo_u32 v19, v10, s27
	v_mad_u64_u32 v[20:21], s[4:5], v10, s26, 0
	v_add3_u32 v21, v21, v19, v18
	v_lshl_add_u64 v[18:19], v[16:17], 3, s[28:29]
	v_lshl_add_u64 v[16:17], v[20:21], 3, s[28:29]
	global_load_dwordx2 v[20:21], v[18:19], off
	global_load_dwordx2 v[32:33], v[16:17], off
	s_mov_b64 s[18:19], -1
	s_waitcnt vmcnt(0)
	v_cmp_eq_u64_e32 vcc, v[20:21], v[32:33]
	s_and_saveexec_b64 s[4:5], vcc
	s_cbranch_execz .LBB1675_166
; %bb.160:
	s_add_u32 s18, s26, -1
	v_lshl_add_u64 v[16:17], v[16:17], 0, 8
	v_lshl_add_u64 v[18:19], v[18:19], 0, 8
	s_addc_u32 s19, s27, -1
	s_mov_b64 s[36:37], 0
	s_mov_b64 s[40:41], 0
                                        ; implicit-def: $sgpr38_sgpr39
	s_branch .LBB1675_163
.LBB1675_161:                           ;   in Loop: Header=BB1675_163 Depth=1
	global_load_dwordx2 v[20:21], v[18:19], off
	global_load_dwordx2 v[32:33], v[16:17], off
	s_add_u32 s40, s40, 1
	s_addc_u32 s41, s41, 0
	s_andn2_b64 s[38:39], s[38:39], exec
	v_lshl_add_u64 v[16:17], v[16:17], 0, 8
	v_lshl_add_u64 v[18:19], v[18:19], 0, 8
	s_waitcnt vmcnt(0)
	v_cmp_ne_u64_e32 vcc, v[20:21], v[32:33]
	s_and_b64 s[42:43], vcc, exec
	s_or_b64 s[38:39], s[38:39], s[42:43]
.LBB1675_162:                           ;   in Loop: Header=BB1675_163 Depth=1
	s_and_b64 s[42:43], exec, s[38:39]
	s_or_b64 s[36:37], s[42:43], s[36:37]
	v_mov_b64_e32 v[20:21], s[40:41]
	s_andn2_b64 exec, exec, s[36:37]
	s_cbranch_execz .LBB1675_165
.LBB1675_163:                           ; =>This Inner Loop Header: Depth=1
	s_or_b64 s[38:39], s[38:39], exec
	s_cmp_eq_u64 s[18:19], s[40:41]
	s_cbranch_scc0 .LBB1675_161
; %bb.164:                              ;   in Loop: Header=BB1675_163 Depth=1
                                        ; implicit-def: $vgpr16_vgpr17
                                        ; implicit-def: $vgpr18_vgpr19
	s_mov_b64 s[40:41], s[26:27]
	s_branch .LBB1675_162
.LBB1675_165:
	s_or_b64 exec, exec, s[36:37]
	v_cmp_gt_i64_e32 vcc, s[26:27], v[20:21]
	s_orn2_b64 s[18:19], vcc, exec
.LBB1675_166:
	s_or_b64 exec, exec, s[4:5]
.LBB1675_167:
	s_and_b64 s[18:19], s[18:19], exec
.LBB1675_168:
	s_or_b64 exec, exec, s[6:7]
	v_cndmask_b32_e64 v32, 0, 1, s[14:15]
	v_cndmask_b32_e64 v33, 0, 1, s[12:13]
	;; [unrolled: 1-line block ×3, first 2 shown]
	v_or_b32_e32 v20, v22, v23
.LBB1675_169:
	s_mov_b64 s[10:11], -1
	s_cbranch_execnz .LBB1675_28
.LBB1675_170:
	s_movk_i32 s4, 0xffd0
	v_mad_i32_i24 v30, v0, s4, v30
	s_mov_b64 s[12:13], 0
	s_waitcnt lgkmcnt(0)
	v_cmp_gt_i64_e64 s[6:7], s[26:27], 0
	s_and_b64 vcc, exec, s[34:35]
	ds_write_b64 v30, v[14:15]
	s_cbranch_vccz .LBB1675_178
; %bb.171:
	v_mul_lo_u32 v18, v5, s26
	v_mul_lo_u32 v19, v4, s27
	v_mad_u64_u32 v[16:17], s[4:5], v4, s26, 0
	v_add3_u32 v17, v17, v19, v18
	v_cndmask_b32_e64 v18, 0, 1, s[6:7]
	v_cmp_ne_u32_e64 s[4:5], 1, v18
	s_andn2_b64 vcc, exec, s[6:7]
	v_lshl_add_u64 v[16:17], v[16:17], 3, s[28:29]
	s_cbranch_vccnz .LBB1675_181
; %bb.172:
	v_mul_lo_u32 v20, v15, s26
	v_mul_lo_u32 v21, v14, s27
	v_mad_u64_u32 v[18:19], s[12:13], v14, s26, 0
	v_add3_u32 v19, v19, v21, v20
	v_lshl_add_u64 v[18:19], v[18:19], 3, s[28:29]
	global_load_dwordx2 v[20:21], v[16:17], off
	global_load_dwordx2 v[22:23], v[18:19], off
	s_mov_b64 s[12:13], -1
	s_waitcnt vmcnt(0)
	v_cmp_eq_u64_e32 vcc, v[20:21], v[22:23]
	s_and_saveexec_b64 s[14:15], vcc
	s_cbranch_execz .LBB1675_180
; %bb.173:
	s_add_u32 s12, s26, -1
	v_lshl_add_u64 v[18:19], v[18:19], 0, 8
	v_lshl_add_u64 v[20:21], v[16:17], 0, 8
	s_addc_u32 s13, s27, -1
	s_mov_b64 s[18:19], 0
	s_mov_b64 s[38:39], 0
                                        ; implicit-def: $sgpr36_sgpr37
	s_branch .LBB1675_176
.LBB1675_174:                           ;   in Loop: Header=BB1675_176 Depth=1
	global_load_dwordx2 v[22:23], v[20:21], off
	global_load_dwordx2 v[32:33], v[18:19], off
	s_add_u32 s38, s38, 1
	s_addc_u32 s39, s39, 0
	s_andn2_b64 s[36:37], s[36:37], exec
	v_lshl_add_u64 v[18:19], v[18:19], 0, 8
	v_lshl_add_u64 v[20:21], v[20:21], 0, 8
	s_waitcnt vmcnt(0)
	v_cmp_ne_u64_e32 vcc, v[22:23], v[32:33]
	s_and_b64 s[40:41], vcc, exec
	s_or_b64 s[36:37], s[36:37], s[40:41]
.LBB1675_175:                           ;   in Loop: Header=BB1675_176 Depth=1
	s_and_b64 s[40:41], exec, s[36:37]
	s_or_b64 s[18:19], s[40:41], s[18:19]
	v_mov_b64_e32 v[22:23], s[38:39]
	s_andn2_b64 exec, exec, s[18:19]
	s_cbranch_execz .LBB1675_179
.LBB1675_176:                           ; =>This Inner Loop Header: Depth=1
	s_or_b64 s[36:37], s[36:37], exec
	s_cmp_eq_u64 s[12:13], s[38:39]
	s_cbranch_scc0 .LBB1675_174
; %bb.177:                              ;   in Loop: Header=BB1675_176 Depth=1
                                        ; implicit-def: $vgpr18_vgpr19
                                        ; implicit-def: $vgpr20_vgpr21
	s_mov_b64 s[38:39], s[26:27]
	s_branch .LBB1675_175
.LBB1675_178:
                                        ; implicit-def: $sgpr18_sgpr19
                                        ; implicit-def: $vgpr34
                                        ; implicit-def: $vgpr33
                                        ; implicit-def: $vgpr32
                                        ; implicit-def: $vgpr20
                                        ; implicit-def: $vgpr16_vgpr17
	s_cbranch_execnz .LBB1675_238
	s_branch .LBB1675_318
.LBB1675_179:
	s_or_b64 exec, exec, s[18:19]
	v_cmp_gt_i64_e32 vcc, s[26:27], v[22:23]
	s_orn2_b64 s[12:13], vcc, exec
.LBB1675_180:
	s_or_b64 exec, exec, s[14:15]
.LBB1675_181:
	v_mul_lo_u32 v20, v3, s26
	v_mul_lo_u32 v21, v2, s27
	v_mad_u64_u32 v[18:19], s[14:15], v2, s26, 0
	v_add3_u32 v19, v19, v21, v20
	s_mov_b64 s[14:15], 0
	s_and_b64 vcc, exec, s[4:5]
	v_lshl_add_u64 v[18:19], v[18:19], 3, s[28:29]
	s_mov_b64 s[18:19], 0
	s_cbranch_vccnz .LBB1675_190
; %bb.182:
	global_load_dwordx2 v[20:21], v[18:19], off
	global_load_dwordx2 v[22:23], v[16:17], off
	s_mov_b64 s[18:19], -1
	s_waitcnt vmcnt(0)
	v_cmp_eq_u64_e32 vcc, v[20:21], v[22:23]
	s_and_saveexec_b64 s[36:37], vcc
	s_cbranch_execz .LBB1675_189
; %bb.183:
	s_add_u32 s18, s26, -1
	v_lshl_add_u64 v[16:17], v[16:17], 0, 8
	v_lshl_add_u64 v[20:21], v[18:19], 0, 8
	s_addc_u32 s19, s27, -1
	s_mov_b64 s[38:39], 0
	s_mov_b64 s[42:43], 0
                                        ; implicit-def: $sgpr40_sgpr41
	s_branch .LBB1675_186
.LBB1675_184:                           ;   in Loop: Header=BB1675_186 Depth=1
	global_load_dwordx2 v[22:23], v[20:21], off
	global_load_dwordx2 v[32:33], v[16:17], off
	s_add_u32 s42, s42, 1
	s_addc_u32 s43, s43, 0
	s_andn2_b64 s[40:41], s[40:41], exec
	v_lshl_add_u64 v[16:17], v[16:17], 0, 8
	v_lshl_add_u64 v[20:21], v[20:21], 0, 8
	s_waitcnt vmcnt(0)
	v_cmp_ne_u64_e32 vcc, v[22:23], v[32:33]
	s_and_b64 s[44:45], vcc, exec
	s_or_b64 s[40:41], s[40:41], s[44:45]
.LBB1675_185:                           ;   in Loop: Header=BB1675_186 Depth=1
	s_and_b64 s[44:45], exec, s[40:41]
	s_or_b64 s[38:39], s[44:45], s[38:39]
	v_mov_b64_e32 v[22:23], s[42:43]
	s_andn2_b64 exec, exec, s[38:39]
	s_cbranch_execz .LBB1675_188
.LBB1675_186:                           ; =>This Inner Loop Header: Depth=1
	s_or_b64 s[40:41], s[40:41], exec
	s_cmp_eq_u64 s[18:19], s[42:43]
	s_cbranch_scc0 .LBB1675_184
; %bb.187:                              ;   in Loop: Header=BB1675_186 Depth=1
                                        ; implicit-def: $vgpr16_vgpr17
                                        ; implicit-def: $vgpr20_vgpr21
	s_mov_b64 s[42:43], s[26:27]
	s_branch .LBB1675_185
.LBB1675_188:
	s_or_b64 exec, exec, s[38:39]
	v_cmp_gt_i64_e32 vcc, s[26:27], v[22:23]
	s_orn2_b64 s[18:19], vcc, exec
.LBB1675_189:
	s_or_b64 exec, exec, s[36:37]
.LBB1675_190:
	v_mul_lo_u32 v20, v9, s26
	v_mul_lo_u32 v21, v8, s27
	v_mad_u64_u32 v[16:17], s[36:37], v8, s26, 0
	v_add3_u32 v17, v17, v21, v20
	s_and_b64 vcc, exec, s[4:5]
	v_lshl_add_u64 v[16:17], v[16:17], 3, s[28:29]
	s_cbranch_vccnz .LBB1675_199
; %bb.191:
	global_load_dwordx2 v[20:21], v[16:17], off
	global_load_dwordx2 v[22:23], v[18:19], off
	s_mov_b64 s[14:15], -1
	s_waitcnt vmcnt(0)
	v_cmp_eq_u64_e32 vcc, v[20:21], v[22:23]
	s_and_saveexec_b64 s[36:37], vcc
	s_cbranch_execz .LBB1675_198
; %bb.192:
	s_add_u32 s14, s26, -1
	v_lshl_add_u64 v[18:19], v[18:19], 0, 8
	v_lshl_add_u64 v[20:21], v[16:17], 0, 8
	s_addc_u32 s15, s27, -1
	s_mov_b64 s[38:39], 0
	s_mov_b64 s[42:43], 0
                                        ; implicit-def: $sgpr40_sgpr41
	s_branch .LBB1675_195
.LBB1675_193:                           ;   in Loop: Header=BB1675_195 Depth=1
	global_load_dwordx2 v[22:23], v[20:21], off
	global_load_dwordx2 v[32:33], v[18:19], off
	s_add_u32 s42, s42, 1
	s_addc_u32 s43, s43, 0
	s_andn2_b64 s[40:41], s[40:41], exec
	v_lshl_add_u64 v[18:19], v[18:19], 0, 8
	v_lshl_add_u64 v[20:21], v[20:21], 0, 8
	s_waitcnt vmcnt(0)
	v_cmp_ne_u64_e32 vcc, v[22:23], v[32:33]
	s_and_b64 s[44:45], vcc, exec
	s_or_b64 s[40:41], s[40:41], s[44:45]
.LBB1675_194:                           ;   in Loop: Header=BB1675_195 Depth=1
	s_and_b64 s[44:45], exec, s[40:41]
	s_or_b64 s[38:39], s[44:45], s[38:39]
	v_mov_b64_e32 v[22:23], s[42:43]
	s_andn2_b64 exec, exec, s[38:39]
	s_cbranch_execz .LBB1675_197
.LBB1675_195:                           ; =>This Inner Loop Header: Depth=1
	s_or_b64 s[40:41], s[40:41], exec
	s_cmp_eq_u64 s[14:15], s[42:43]
	s_cbranch_scc0 .LBB1675_193
; %bb.196:                              ;   in Loop: Header=BB1675_195 Depth=1
                                        ; implicit-def: $vgpr18_vgpr19
                                        ; implicit-def: $vgpr20_vgpr21
	s_mov_b64 s[42:43], s[26:27]
	s_branch .LBB1675_194
.LBB1675_197:
	s_or_b64 exec, exec, s[38:39]
	v_cmp_gt_i64_e32 vcc, s[26:27], v[22:23]
	s_orn2_b64 s[14:15], vcc, exec
.LBB1675_198:
	s_or_b64 exec, exec, s[36:37]
.LBB1675_199:
	v_mul_lo_u32 v20, v7, s26
	v_mul_lo_u32 v21, v6, s27
	v_mad_u64_u32 v[18:19], s[36:37], v6, s26, 0
	v_add3_u32 v19, v19, v21, v20
	s_mov_b64 s[36:37], 0
	s_and_b64 vcc, exec, s[4:5]
	v_lshl_add_u64 v[18:19], v[18:19], 3, s[28:29]
	s_mov_b64 s[38:39], 0
	s_cbranch_vccnz .LBB1675_208
; %bb.200:
	global_load_dwordx2 v[20:21], v[18:19], off
	global_load_dwordx2 v[22:23], v[16:17], off
	s_mov_b64 s[38:39], -1
	s_waitcnt vmcnt(0)
	v_cmp_eq_u64_e32 vcc, v[20:21], v[22:23]
	s_and_saveexec_b64 s[40:41], vcc
	s_cbranch_execz .LBB1675_207
; %bb.201:
	s_add_u32 s38, s26, -1
	v_lshl_add_u64 v[16:17], v[16:17], 0, 8
	v_lshl_add_u64 v[20:21], v[18:19], 0, 8
	s_addc_u32 s39, s27, -1
	s_mov_b64 s[42:43], 0
	s_mov_b64 s[46:47], 0
                                        ; implicit-def: $sgpr44_sgpr45
	s_branch .LBB1675_204
.LBB1675_202:                           ;   in Loop: Header=BB1675_204 Depth=1
	global_load_dwordx2 v[22:23], v[20:21], off
	global_load_dwordx2 v[32:33], v[16:17], off
	s_add_u32 s46, s46, 1
	s_addc_u32 s47, s47, 0
	s_andn2_b64 s[44:45], s[44:45], exec
	v_lshl_add_u64 v[16:17], v[16:17], 0, 8
	v_lshl_add_u64 v[20:21], v[20:21], 0, 8
	s_waitcnt vmcnt(0)
	v_cmp_ne_u64_e32 vcc, v[22:23], v[32:33]
	s_and_b64 s[48:49], vcc, exec
	s_or_b64 s[44:45], s[44:45], s[48:49]
.LBB1675_203:                           ;   in Loop: Header=BB1675_204 Depth=1
	s_and_b64 s[48:49], exec, s[44:45]
	s_or_b64 s[42:43], s[48:49], s[42:43]
	v_mov_b64_e32 v[22:23], s[46:47]
	s_andn2_b64 exec, exec, s[42:43]
	s_cbranch_execz .LBB1675_206
.LBB1675_204:                           ; =>This Inner Loop Header: Depth=1
	s_or_b64 s[44:45], s[44:45], exec
	s_cmp_eq_u64 s[38:39], s[46:47]
	s_cbranch_scc0 .LBB1675_202
; %bb.205:                              ;   in Loop: Header=BB1675_204 Depth=1
                                        ; implicit-def: $vgpr16_vgpr17
                                        ; implicit-def: $vgpr20_vgpr21
	s_mov_b64 s[46:47], s[26:27]
	s_branch .LBB1675_203
.LBB1675_206:
	s_or_b64 exec, exec, s[42:43]
	v_cmp_gt_i64_e32 vcc, s[26:27], v[22:23]
	s_orn2_b64 s[38:39], vcc, exec
.LBB1675_207:
	s_or_b64 exec, exec, s[40:41]
.LBB1675_208:
	v_mul_lo_u32 v20, v13, s26
	v_mul_lo_u32 v21, v12, s27
	v_mad_u64_u32 v[16:17], s[40:41], v12, s26, 0
	v_add3_u32 v17, v17, v21, v20
	s_and_b64 vcc, exec, s[4:5]
	v_lshl_add_u64 v[16:17], v[16:17], 3, s[28:29]
	s_cbranch_vccnz .LBB1675_217
; %bb.209:
	global_load_dwordx2 v[20:21], v[16:17], off
	global_load_dwordx2 v[22:23], v[18:19], off
	s_mov_b64 s[36:37], -1
	s_waitcnt vmcnt(0)
	v_cmp_eq_u64_e32 vcc, v[20:21], v[22:23]
	s_and_saveexec_b64 s[40:41], vcc
	s_cbranch_execz .LBB1675_216
; %bb.210:
	s_add_u32 s36, s26, -1
	v_lshl_add_u64 v[18:19], v[18:19], 0, 8
	v_lshl_add_u64 v[20:21], v[16:17], 0, 8
	s_addc_u32 s37, s27, -1
	s_mov_b64 s[42:43], 0
	s_mov_b64 s[46:47], 0
                                        ; implicit-def: $sgpr44_sgpr45
	s_branch .LBB1675_213
.LBB1675_211:                           ;   in Loop: Header=BB1675_213 Depth=1
	global_load_dwordx2 v[22:23], v[20:21], off
	global_load_dwordx2 v[32:33], v[18:19], off
	s_add_u32 s46, s46, 1
	s_addc_u32 s47, s47, 0
	s_andn2_b64 s[44:45], s[44:45], exec
	v_lshl_add_u64 v[18:19], v[18:19], 0, 8
	v_lshl_add_u64 v[20:21], v[20:21], 0, 8
	s_waitcnt vmcnt(0)
	v_cmp_ne_u64_e32 vcc, v[22:23], v[32:33]
	s_and_b64 s[48:49], vcc, exec
	s_or_b64 s[44:45], s[44:45], s[48:49]
.LBB1675_212:                           ;   in Loop: Header=BB1675_213 Depth=1
	s_and_b64 s[48:49], exec, s[44:45]
	s_or_b64 s[42:43], s[48:49], s[42:43]
	v_mov_b64_e32 v[22:23], s[46:47]
	s_andn2_b64 exec, exec, s[42:43]
	s_cbranch_execz .LBB1675_215
.LBB1675_213:                           ; =>This Inner Loop Header: Depth=1
	s_or_b64 s[44:45], s[44:45], exec
	s_cmp_eq_u64 s[36:37], s[46:47]
	s_cbranch_scc0 .LBB1675_211
; %bb.214:                              ;   in Loop: Header=BB1675_213 Depth=1
                                        ; implicit-def: $vgpr18_vgpr19
                                        ; implicit-def: $vgpr20_vgpr21
	s_mov_b64 s[46:47], s[26:27]
	s_branch .LBB1675_212
.LBB1675_215:
	s_or_b64 exec, exec, s[42:43]
	v_cmp_gt_i64_e32 vcc, s[26:27], v[22:23]
	s_orn2_b64 s[36:37], vcc, exec
.LBB1675_216:
	s_or_b64 exec, exec, s[40:41]
.LBB1675_217:
	v_mul_lo_u32 v20, v11, s26
	v_mul_lo_u32 v21, v10, s27
	v_mad_u64_u32 v[18:19], s[40:41], v10, s26, 0
	v_add3_u32 v19, v19, v21, v20
	s_and_b64 vcc, exec, s[4:5]
	s_mov_b64 s[42:43], 0
	s_cbranch_vccnz .LBB1675_226
; %bb.218:
	v_lshl_add_u64 v[20:21], v[18:19], 3, s[28:29]
	global_load_dwordx2 v[22:23], v[20:21], off
	global_load_dwordx2 v[32:33], v[16:17], off
	s_mov_b64 s[42:43], -1
	s_waitcnt vmcnt(0)
	v_cmp_eq_u64_e32 vcc, v[22:23], v[32:33]
	s_and_saveexec_b64 s[40:41], vcc
	s_cbranch_execz .LBB1675_225
; %bb.219:
	s_add_u32 s42, s26, -1
	v_lshl_add_u64 v[16:17], v[16:17], 0, 8
	v_lshl_add_u64 v[20:21], v[20:21], 0, 8
	s_addc_u32 s43, s27, -1
	s_mov_b64 s[44:45], 0
	s_mov_b64 s[48:49], 0
                                        ; implicit-def: $sgpr46_sgpr47
	s_branch .LBB1675_222
.LBB1675_220:                           ;   in Loop: Header=BB1675_222 Depth=1
	global_load_dwordx2 v[22:23], v[20:21], off
	global_load_dwordx2 v[32:33], v[16:17], off
	s_add_u32 s48, s48, 1
	s_addc_u32 s49, s49, 0
	s_andn2_b64 s[46:47], s[46:47], exec
	v_lshl_add_u64 v[16:17], v[16:17], 0, 8
	v_lshl_add_u64 v[20:21], v[20:21], 0, 8
	s_waitcnt vmcnt(0)
	v_cmp_ne_u64_e32 vcc, v[22:23], v[32:33]
	s_and_b64 s[50:51], vcc, exec
	s_or_b64 s[46:47], s[46:47], s[50:51]
.LBB1675_221:                           ;   in Loop: Header=BB1675_222 Depth=1
	s_and_b64 s[50:51], exec, s[46:47]
	s_or_b64 s[44:45], s[50:51], s[44:45]
	v_mov_b64_e32 v[22:23], s[48:49]
	s_andn2_b64 exec, exec, s[44:45]
	s_cbranch_execz .LBB1675_224
.LBB1675_222:                           ; =>This Inner Loop Header: Depth=1
	s_or_b64 s[46:47], s[46:47], exec
	s_cmp_eq_u64 s[42:43], s[48:49]
	s_cbranch_scc0 .LBB1675_220
; %bb.223:                              ;   in Loop: Header=BB1675_222 Depth=1
                                        ; implicit-def: $vgpr16_vgpr17
                                        ; implicit-def: $vgpr20_vgpr21
	s_mov_b64 s[48:49], s[26:27]
	s_branch .LBB1675_221
.LBB1675_224:
	s_or_b64 exec, exec, s[44:45]
	v_cmp_gt_i64_e32 vcc, s[26:27], v[22:23]
	s_orn2_b64 s[42:43], vcc, exec
.LBB1675_225:
	s_or_b64 exec, exec, s[40:41]
.LBB1675_226:
	v_cndmask_b32_e64 v17, 0, 1, s[38:39]
	v_cndmask_b32_e64 v16, 0, 1, s[36:37]
	;; [unrolled: 1-line block ×3, first 2 shown]
	v_lshlrev_b16_e32 v17, 8, v17
	v_cndmask_b32_e64 v32, 0, 1, s[14:15]
	v_cndmask_b32_e64 v20, 0, 1, s[42:43]
	v_or_b32_sdwa v16, v16, v17 dst_sel:WORD_1 dst_unused:UNUSED_PAD src0_sel:DWORD src1_sel:DWORD
	v_lshlrev_b16_e32 v17, 8, v33
	v_lshlrev_b16_e32 v20, 8, v20
	v_or_b32_e32 v17, v32, v17
	v_or_b32_e32 v20, 1, v20
	v_and_b32_e32 v17, 0xffff, v17
	v_cndmask_b32_e64 v34, 0, 1, s[12:13]
	v_or_b32_sdwa v16, v20, v16 dst_sel:DWORD dst_unused:UNUSED_PAD src0_sel:WORD_0 src1_sel:DWORD
	v_lshl_or_b32 v17, v34, 16, v17
	v_cmp_ne_u32_e32 vcc, 0, v0
	s_waitcnt lgkmcnt(0)
	s_barrier
	s_waitcnt lgkmcnt(0)
                                        ; implicit-def: $sgpr18_sgpr19
                                        ; implicit-def: $vgpr20
	s_and_saveexec_b64 s[12:13], vcc
	s_xor_b64 s[12:13], exec, s[12:13]
	s_cbranch_execz .LBB1675_237
; %bb.227:
	s_mov_b32 s33, 0x3020104
	s_and_b64 vcc, exec, s[4:5]
	s_mov_b64 s[14:15], 0
	s_cbranch_vccnz .LBB1675_236
; %bb.228:
	v_add_u32_e32 v17, -8, v30
	ds_read_b64 v[20:21], v17
	v_lshl_add_u64 v[18:19], v[18:19], 3, s[28:29]
	s_mov_b64 s[14:15], -1
	s_waitcnt lgkmcnt(0)
	v_mul_lo_u32 v17, v21, s26
	v_mul_lo_u32 v22, v20, s27
	v_mad_u64_u32 v[20:21], s[4:5], v20, s26, 0
	v_add3_u32 v21, v21, v22, v17
	v_lshl_add_u64 v[20:21], v[20:21], 3, s[28:29]
	global_load_dwordx2 v[22:23], v[20:21], off
	global_load_dwordx2 v[36:37], v[18:19], off
	s_waitcnt vmcnt(0)
	v_cmp_eq_u64_e32 vcc, v[22:23], v[36:37]
	s_and_saveexec_b64 s[4:5], vcc
	s_cbranch_execz .LBB1675_235
; %bb.229:
	s_add_u32 s14, s26, -1
	v_lshl_add_u64 v[18:19], v[18:19], 0, 8
	v_lshl_add_u64 v[20:21], v[20:21], 0, 8
	s_addc_u32 s15, s27, -1
	s_mov_b64 s[18:19], 0
	s_mov_b64 s[38:39], 0
                                        ; implicit-def: $sgpr36_sgpr37
	s_branch .LBB1675_232
.LBB1675_230:                           ;   in Loop: Header=BB1675_232 Depth=1
	global_load_dwordx2 v[22:23], v[20:21], off
	global_load_dwordx2 v[36:37], v[18:19], off
	s_add_u32 s38, s38, 1
	s_addc_u32 s39, s39, 0
	s_andn2_b64 s[36:37], s[36:37], exec
	v_lshl_add_u64 v[18:19], v[18:19], 0, 8
	v_lshl_add_u64 v[20:21], v[20:21], 0, 8
	s_waitcnt vmcnt(0)
	v_cmp_ne_u64_e32 vcc, v[22:23], v[36:37]
	s_and_b64 s[40:41], vcc, exec
	s_or_b64 s[36:37], s[36:37], s[40:41]
.LBB1675_231:                           ;   in Loop: Header=BB1675_232 Depth=1
	s_and_b64 s[40:41], exec, s[36:37]
	s_or_b64 s[18:19], s[40:41], s[18:19]
	v_mov_b64_e32 v[22:23], s[38:39]
	s_andn2_b64 exec, exec, s[18:19]
	s_cbranch_execz .LBB1675_234
.LBB1675_232:                           ; =>This Inner Loop Header: Depth=1
	s_or_b64 s[36:37], s[36:37], exec
	s_cmp_eq_u64 s[14:15], s[38:39]
	s_cbranch_scc0 .LBB1675_230
; %bb.233:                              ;   in Loop: Header=BB1675_232 Depth=1
                                        ; implicit-def: $vgpr18_vgpr19
                                        ; implicit-def: $vgpr20_vgpr21
	s_mov_b64 s[38:39], s[26:27]
	s_branch .LBB1675_231
.LBB1675_234:
	s_or_b64 exec, exec, s[18:19]
	v_cmp_gt_i64_e32 vcc, s[26:27], v[22:23]
	s_orn2_b64 s[14:15], vcc, exec
.LBB1675_235:
	s_or_b64 exec, exec, s[4:5]
.LBB1675_236:
	v_perm_b32 v20, v16, v16, s33
	s_and_b64 s[18:19], s[14:15], exec
	s_or_b64 s[10:11], s[10:11], exec
                                        ; implicit-def: $vgpr16_vgpr17
.LBB1675_237:
	s_or_b64 exec, exec, s[12:13]
	s_branch .LBB1675_318
.LBB1675_238:
	v_cmp_gt_u32_e32 vcc, s3, v27
	s_mov_b64 s[12:13], 0
	s_mov_b64 s[4:5], 0
	s_and_saveexec_b64 s[14:15], vcc
	s_cbranch_execz .LBB1675_249
; %bb.239:
	s_andn2_b64 vcc, exec, s[6:7]
	s_mov_b64 s[18:19], 0
	s_cbranch_vccnz .LBB1675_248
; %bb.240:
	v_mul_lo_u32 v18, v5, s26
	v_mul_lo_u32 v19, v4, s27
	v_mad_u64_u32 v[16:17], s[4:5], v4, s26, 0
	v_add3_u32 v17, v17, v19, v18
	v_mul_lo_u32 v18, v15, s26
	v_mul_lo_u32 v19, v14, s27
	v_mad_u64_u32 v[20:21], s[4:5], v14, s26, 0
	v_add3_u32 v21, v21, v19, v18
	v_lshl_add_u64 v[18:19], v[16:17], 3, s[28:29]
	v_lshl_add_u64 v[16:17], v[20:21], 3, s[28:29]
	global_load_dwordx2 v[20:21], v[18:19], off
	global_load_dwordx2 v[22:23], v[16:17], off
	s_mov_b64 s[18:19], -1
	s_waitcnt vmcnt(0)
	v_cmp_eq_u64_e32 vcc, v[20:21], v[22:23]
	s_and_saveexec_b64 s[4:5], vcc
	s_cbranch_execz .LBB1675_247
; %bb.241:
	s_add_u32 s18, s26, -1
	v_lshl_add_u64 v[16:17], v[16:17], 0, 8
	v_lshl_add_u64 v[18:19], v[18:19], 0, 8
	s_addc_u32 s19, s27, -1
	s_mov_b64 s[36:37], 0
	s_mov_b64 s[40:41], 0
                                        ; implicit-def: $sgpr38_sgpr39
	s_branch .LBB1675_244
.LBB1675_242:                           ;   in Loop: Header=BB1675_244 Depth=1
	global_load_dwordx2 v[20:21], v[18:19], off
	global_load_dwordx2 v[22:23], v[16:17], off
	s_add_u32 s40, s40, 1
	s_addc_u32 s41, s41, 0
	s_andn2_b64 s[38:39], s[38:39], exec
	v_lshl_add_u64 v[16:17], v[16:17], 0, 8
	v_lshl_add_u64 v[18:19], v[18:19], 0, 8
	s_waitcnt vmcnt(0)
	v_cmp_ne_u64_e32 vcc, v[20:21], v[22:23]
	s_and_b64 s[42:43], vcc, exec
	s_or_b64 s[38:39], s[38:39], s[42:43]
.LBB1675_243:                           ;   in Loop: Header=BB1675_244 Depth=1
	s_and_b64 s[42:43], exec, s[38:39]
	s_or_b64 s[36:37], s[42:43], s[36:37]
	v_mov_b64_e32 v[20:21], s[40:41]
	s_andn2_b64 exec, exec, s[36:37]
	s_cbranch_execz .LBB1675_246
.LBB1675_244:                           ; =>This Inner Loop Header: Depth=1
	s_or_b64 s[38:39], s[38:39], exec
	s_cmp_eq_u64 s[18:19], s[40:41]
	s_cbranch_scc0 .LBB1675_242
; %bb.245:                              ;   in Loop: Header=BB1675_244 Depth=1
                                        ; implicit-def: $vgpr16_vgpr17
                                        ; implicit-def: $vgpr18_vgpr19
	s_mov_b64 s[40:41], s[26:27]
	s_branch .LBB1675_243
.LBB1675_246:
	s_or_b64 exec, exec, s[36:37]
	v_cmp_gt_i64_e32 vcc, s[26:27], v[20:21]
	s_orn2_b64 s[18:19], vcc, exec
.LBB1675_247:
	s_or_b64 exec, exec, s[4:5]
.LBB1675_248:
	s_and_b64 s[4:5], s[18:19], exec
.LBB1675_249:
	s_or_b64 exec, exec, s[14:15]
	v_cmp_gt_u32_e32 vcc, s3, v29
	s_and_saveexec_b64 s[14:15], vcc
	s_cbranch_execz .LBB1675_260
; %bb.250:
	s_andn2_b64 vcc, exec, s[6:7]
	s_mov_b64 s[18:19], 0
	s_cbranch_vccnz .LBB1675_259
; %bb.251:
	v_mul_lo_u32 v18, v3, s26
	v_mul_lo_u32 v19, v2, s27
	v_mad_u64_u32 v[16:17], s[12:13], v2, s26, 0
	v_add3_u32 v17, v17, v19, v18
	v_mul_lo_u32 v18, v5, s26
	v_mul_lo_u32 v19, v4, s27
	v_mad_u64_u32 v[20:21], s[12:13], v4, s26, 0
	v_add3_u32 v21, v21, v19, v18
	v_lshl_add_u64 v[18:19], v[16:17], 3, s[28:29]
	v_lshl_add_u64 v[16:17], v[20:21], 3, s[28:29]
	global_load_dwordx2 v[20:21], v[18:19], off
	global_load_dwordx2 v[22:23], v[16:17], off
	s_mov_b64 s[18:19], -1
	s_waitcnt vmcnt(0)
	v_cmp_eq_u64_e32 vcc, v[20:21], v[22:23]
	s_and_saveexec_b64 s[12:13], vcc
	s_cbranch_execz .LBB1675_258
; %bb.252:
	s_add_u32 s18, s26, -1
	v_lshl_add_u64 v[16:17], v[16:17], 0, 8
	v_lshl_add_u64 v[18:19], v[18:19], 0, 8
	s_addc_u32 s19, s27, -1
	s_mov_b64 s[36:37], 0
	s_mov_b64 s[40:41], 0
                                        ; implicit-def: $sgpr38_sgpr39
	s_branch .LBB1675_255
.LBB1675_253:                           ;   in Loop: Header=BB1675_255 Depth=1
	global_load_dwordx2 v[20:21], v[18:19], off
	global_load_dwordx2 v[22:23], v[16:17], off
	s_add_u32 s40, s40, 1
	s_addc_u32 s41, s41, 0
	s_andn2_b64 s[38:39], s[38:39], exec
	v_lshl_add_u64 v[16:17], v[16:17], 0, 8
	v_lshl_add_u64 v[18:19], v[18:19], 0, 8
	s_waitcnt vmcnt(0)
	v_cmp_ne_u64_e32 vcc, v[20:21], v[22:23]
	s_and_b64 s[42:43], vcc, exec
	s_or_b64 s[38:39], s[38:39], s[42:43]
.LBB1675_254:                           ;   in Loop: Header=BB1675_255 Depth=1
	s_and_b64 s[42:43], exec, s[38:39]
	s_or_b64 s[36:37], s[42:43], s[36:37]
	v_mov_b64_e32 v[20:21], s[40:41]
	s_andn2_b64 exec, exec, s[36:37]
	s_cbranch_execz .LBB1675_257
.LBB1675_255:                           ; =>This Inner Loop Header: Depth=1
	s_or_b64 s[38:39], s[38:39], exec
	s_cmp_eq_u64 s[18:19], s[40:41]
	s_cbranch_scc0 .LBB1675_253
; %bb.256:                              ;   in Loop: Header=BB1675_255 Depth=1
                                        ; implicit-def: $vgpr16_vgpr17
                                        ; implicit-def: $vgpr18_vgpr19
	s_mov_b64 s[40:41], s[26:27]
	s_branch .LBB1675_254
.LBB1675_257:
	s_or_b64 exec, exec, s[36:37]
	v_cmp_gt_i64_e32 vcc, s[26:27], v[20:21]
	s_orn2_b64 s[18:19], vcc, exec
.LBB1675_258:
	s_or_b64 exec, exec, s[12:13]
.LBB1675_259:
	s_and_b64 s[12:13], s[18:19], exec
.LBB1675_260:
	s_or_b64 exec, exec, s[14:15]
	v_cmp_gt_u32_e32 vcc, s3, v26
	s_mov_b64 s[18:19], 0
	s_mov_b64 s[14:15], 0
	s_and_saveexec_b64 s[36:37], vcc
	s_cbranch_execz .LBB1675_271
; %bb.261:
	s_andn2_b64 vcc, exec, s[6:7]
	s_mov_b64 s[38:39], 0
	s_cbranch_vccnz .LBB1675_270
; %bb.262:
	v_mul_lo_u32 v18, v9, s26
	v_mul_lo_u32 v19, v8, s27
	v_mad_u64_u32 v[16:17], s[14:15], v8, s26, 0
	v_add3_u32 v17, v17, v19, v18
	v_mul_lo_u32 v18, v3, s26
	v_mul_lo_u32 v19, v2, s27
	v_mad_u64_u32 v[20:21], s[14:15], v2, s26, 0
	v_add3_u32 v21, v21, v19, v18
	v_lshl_add_u64 v[18:19], v[16:17], 3, s[28:29]
	v_lshl_add_u64 v[16:17], v[20:21], 3, s[28:29]
	global_load_dwordx2 v[20:21], v[18:19], off
	global_load_dwordx2 v[22:23], v[16:17], off
	s_mov_b64 s[38:39], -1
	s_waitcnt vmcnt(0)
	v_cmp_eq_u64_e32 vcc, v[20:21], v[22:23]
	s_and_saveexec_b64 s[14:15], vcc
	s_cbranch_execz .LBB1675_269
; %bb.263:
	s_add_u32 s38, s26, -1
	v_lshl_add_u64 v[16:17], v[16:17], 0, 8
	v_lshl_add_u64 v[18:19], v[18:19], 0, 8
	s_addc_u32 s39, s27, -1
	s_mov_b64 s[40:41], 0
	s_mov_b64 s[44:45], 0
                                        ; implicit-def: $sgpr42_sgpr43
	s_branch .LBB1675_266
.LBB1675_264:                           ;   in Loop: Header=BB1675_266 Depth=1
	global_load_dwordx2 v[20:21], v[18:19], off
	global_load_dwordx2 v[22:23], v[16:17], off
	s_add_u32 s44, s44, 1
	s_addc_u32 s45, s45, 0
	s_andn2_b64 s[42:43], s[42:43], exec
	v_lshl_add_u64 v[16:17], v[16:17], 0, 8
	v_lshl_add_u64 v[18:19], v[18:19], 0, 8
	s_waitcnt vmcnt(0)
	v_cmp_ne_u64_e32 vcc, v[20:21], v[22:23]
	s_and_b64 s[46:47], vcc, exec
	s_or_b64 s[42:43], s[42:43], s[46:47]
.LBB1675_265:                           ;   in Loop: Header=BB1675_266 Depth=1
	s_and_b64 s[46:47], exec, s[42:43]
	s_or_b64 s[40:41], s[46:47], s[40:41]
	v_mov_b64_e32 v[20:21], s[44:45]
	s_andn2_b64 exec, exec, s[40:41]
	s_cbranch_execz .LBB1675_268
.LBB1675_266:                           ; =>This Inner Loop Header: Depth=1
	s_or_b64 s[42:43], s[42:43], exec
	s_cmp_eq_u64 s[38:39], s[44:45]
	s_cbranch_scc0 .LBB1675_264
; %bb.267:                              ;   in Loop: Header=BB1675_266 Depth=1
                                        ; implicit-def: $vgpr16_vgpr17
                                        ; implicit-def: $vgpr18_vgpr19
	s_mov_b64 s[44:45], s[26:27]
	s_branch .LBB1675_265
.LBB1675_268:
	s_or_b64 exec, exec, s[40:41]
	v_cmp_gt_i64_e32 vcc, s[26:27], v[20:21]
	s_orn2_b64 s[38:39], vcc, exec
.LBB1675_269:
	s_or_b64 exec, exec, s[14:15]
.LBB1675_270:
	s_and_b64 s[14:15], s[38:39], exec
.LBB1675_271:
	s_or_b64 exec, exec, s[36:37]
	v_cmp_gt_u32_e32 vcc, s3, v28
	s_and_saveexec_b64 s[36:37], vcc
	s_cbranch_execz .LBB1675_282
; %bb.272:
	s_andn2_b64 vcc, exec, s[6:7]
	s_mov_b64 s[38:39], 0
	s_cbranch_vccnz .LBB1675_281
; %bb.273:
	v_mul_lo_u32 v18, v7, s26
	v_mul_lo_u32 v19, v6, s27
	v_mad_u64_u32 v[16:17], s[18:19], v6, s26, 0
	v_add3_u32 v17, v17, v19, v18
	v_mul_lo_u32 v18, v9, s26
	v_mul_lo_u32 v19, v8, s27
	v_mad_u64_u32 v[20:21], s[18:19], v8, s26, 0
	v_add3_u32 v21, v21, v19, v18
	v_lshl_add_u64 v[18:19], v[16:17], 3, s[28:29]
	v_lshl_add_u64 v[16:17], v[20:21], 3, s[28:29]
	global_load_dwordx2 v[20:21], v[18:19], off
	global_load_dwordx2 v[22:23], v[16:17], off
	s_mov_b64 s[38:39], -1
	s_waitcnt vmcnt(0)
	v_cmp_eq_u64_e32 vcc, v[20:21], v[22:23]
	s_and_saveexec_b64 s[18:19], vcc
	s_cbranch_execz .LBB1675_280
; %bb.274:
	s_add_u32 s38, s26, -1
	v_lshl_add_u64 v[16:17], v[16:17], 0, 8
	v_lshl_add_u64 v[18:19], v[18:19], 0, 8
	s_addc_u32 s39, s27, -1
	s_mov_b64 s[40:41], 0
	s_mov_b64 s[44:45], 0
                                        ; implicit-def: $sgpr42_sgpr43
	s_branch .LBB1675_277
.LBB1675_275:                           ;   in Loop: Header=BB1675_277 Depth=1
	global_load_dwordx2 v[20:21], v[18:19], off
	global_load_dwordx2 v[22:23], v[16:17], off
	s_add_u32 s44, s44, 1
	s_addc_u32 s45, s45, 0
	s_andn2_b64 s[42:43], s[42:43], exec
	v_lshl_add_u64 v[16:17], v[16:17], 0, 8
	v_lshl_add_u64 v[18:19], v[18:19], 0, 8
	s_waitcnt vmcnt(0)
	v_cmp_ne_u64_e32 vcc, v[20:21], v[22:23]
	s_and_b64 s[46:47], vcc, exec
	s_or_b64 s[42:43], s[42:43], s[46:47]
.LBB1675_276:                           ;   in Loop: Header=BB1675_277 Depth=1
	s_and_b64 s[46:47], exec, s[42:43]
	s_or_b64 s[40:41], s[46:47], s[40:41]
	v_mov_b64_e32 v[20:21], s[44:45]
	s_andn2_b64 exec, exec, s[40:41]
	s_cbranch_execz .LBB1675_279
.LBB1675_277:                           ; =>This Inner Loop Header: Depth=1
	s_or_b64 s[42:43], s[42:43], exec
	s_cmp_eq_u64 s[38:39], s[44:45]
	s_cbranch_scc0 .LBB1675_275
; %bb.278:                              ;   in Loop: Header=BB1675_277 Depth=1
                                        ; implicit-def: $vgpr16_vgpr17
                                        ; implicit-def: $vgpr18_vgpr19
	s_mov_b64 s[44:45], s[26:27]
	s_branch .LBB1675_276
.LBB1675_279:
	s_or_b64 exec, exec, s[40:41]
	v_cmp_gt_i64_e32 vcc, s[26:27], v[20:21]
	s_orn2_b64 s[38:39], vcc, exec
.LBB1675_280:
	s_or_b64 exec, exec, s[18:19]
.LBB1675_281:
	s_and_b64 s[18:19], s[38:39], exec
.LBB1675_282:
	s_or_b64 exec, exec, s[36:37]
	v_cmp_gt_u32_e32 vcc, s3, v24
	s_mov_b64 s[36:37], 0
	s_mov_b64 s[38:39], 0
	s_and_saveexec_b64 s[40:41], vcc
	s_cbranch_execz .LBB1675_293
; %bb.283:
	s_andn2_b64 vcc, exec, s[6:7]
	s_mov_b64 s[42:43], 0
	s_cbranch_vccnz .LBB1675_292
; %bb.284:
	v_mul_lo_u32 v18, v13, s26
	v_mul_lo_u32 v19, v12, s27
	v_mad_u64_u32 v[16:17], s[38:39], v12, s26, 0
	v_add3_u32 v17, v17, v19, v18
	v_mul_lo_u32 v18, v7, s26
	v_mul_lo_u32 v19, v6, s27
	v_mad_u64_u32 v[20:21], s[38:39], v6, s26, 0
	v_add3_u32 v21, v21, v19, v18
	v_lshl_add_u64 v[18:19], v[16:17], 3, s[28:29]
	v_lshl_add_u64 v[16:17], v[20:21], 3, s[28:29]
	global_load_dwordx2 v[20:21], v[18:19], off
	global_load_dwordx2 v[22:23], v[16:17], off
	s_mov_b64 s[42:43], -1
	s_waitcnt vmcnt(0)
	v_cmp_eq_u64_e32 vcc, v[20:21], v[22:23]
	s_and_saveexec_b64 s[38:39], vcc
	s_cbranch_execz .LBB1675_291
; %bb.285:
	s_add_u32 s42, s26, -1
	v_lshl_add_u64 v[16:17], v[16:17], 0, 8
	v_lshl_add_u64 v[18:19], v[18:19], 0, 8
	s_addc_u32 s43, s27, -1
	s_mov_b64 s[44:45], 0
	s_mov_b64 s[48:49], 0
                                        ; implicit-def: $sgpr46_sgpr47
	s_branch .LBB1675_288
.LBB1675_286:                           ;   in Loop: Header=BB1675_288 Depth=1
	global_load_dwordx2 v[20:21], v[18:19], off
	global_load_dwordx2 v[22:23], v[16:17], off
	s_add_u32 s48, s48, 1
	s_addc_u32 s49, s49, 0
	s_andn2_b64 s[46:47], s[46:47], exec
	v_lshl_add_u64 v[16:17], v[16:17], 0, 8
	v_lshl_add_u64 v[18:19], v[18:19], 0, 8
	s_waitcnt vmcnt(0)
	v_cmp_ne_u64_e32 vcc, v[20:21], v[22:23]
	s_and_b64 s[50:51], vcc, exec
	s_or_b64 s[46:47], s[46:47], s[50:51]
.LBB1675_287:                           ;   in Loop: Header=BB1675_288 Depth=1
	s_and_b64 s[50:51], exec, s[46:47]
	s_or_b64 s[44:45], s[50:51], s[44:45]
	v_mov_b64_e32 v[20:21], s[48:49]
	s_andn2_b64 exec, exec, s[44:45]
	s_cbranch_execz .LBB1675_290
.LBB1675_288:                           ; =>This Inner Loop Header: Depth=1
	s_or_b64 s[46:47], s[46:47], exec
	s_cmp_eq_u64 s[42:43], s[48:49]
	s_cbranch_scc0 .LBB1675_286
; %bb.289:                              ;   in Loop: Header=BB1675_288 Depth=1
                                        ; implicit-def: $vgpr16_vgpr17
                                        ; implicit-def: $vgpr18_vgpr19
	s_mov_b64 s[48:49], s[26:27]
	s_branch .LBB1675_287
.LBB1675_290:
	s_or_b64 exec, exec, s[44:45]
	v_cmp_gt_i64_e32 vcc, s[26:27], v[20:21]
	s_orn2_b64 s[42:43], vcc, exec
.LBB1675_291:
	s_or_b64 exec, exec, s[38:39]
.LBB1675_292:
	s_and_b64 s[38:39], s[42:43], exec
.LBB1675_293:
	s_or_b64 exec, exec, s[40:41]
	v_cmp_gt_u32_e32 vcc, s3, v25
	s_and_saveexec_b64 s[40:41], vcc
	s_cbranch_execz .LBB1675_304
; %bb.294:
	s_andn2_b64 vcc, exec, s[6:7]
	s_mov_b64 s[42:43], 0
	s_cbranch_vccnz .LBB1675_303
; %bb.295:
	v_mul_lo_u32 v18, v11, s26
	v_mul_lo_u32 v19, v10, s27
	v_mad_u64_u32 v[16:17], s[36:37], v10, s26, 0
	v_add3_u32 v17, v17, v19, v18
	v_mul_lo_u32 v18, v13, s26
	v_mul_lo_u32 v19, v12, s27
	v_mad_u64_u32 v[20:21], s[36:37], v12, s26, 0
	v_add3_u32 v21, v21, v19, v18
	v_lshl_add_u64 v[18:19], v[16:17], 3, s[28:29]
	v_lshl_add_u64 v[16:17], v[20:21], 3, s[28:29]
	global_load_dwordx2 v[20:21], v[18:19], off
	global_load_dwordx2 v[22:23], v[16:17], off
	s_mov_b64 s[42:43], -1
	s_waitcnt vmcnt(0)
	v_cmp_eq_u64_e32 vcc, v[20:21], v[22:23]
	s_and_saveexec_b64 s[36:37], vcc
	s_cbranch_execz .LBB1675_302
; %bb.296:
	s_add_u32 s42, s26, -1
	v_lshl_add_u64 v[16:17], v[16:17], 0, 8
	v_lshl_add_u64 v[18:19], v[18:19], 0, 8
	s_addc_u32 s43, s27, -1
	s_mov_b64 s[44:45], 0
	s_mov_b64 s[48:49], 0
                                        ; implicit-def: $sgpr46_sgpr47
	s_branch .LBB1675_299
.LBB1675_297:                           ;   in Loop: Header=BB1675_299 Depth=1
	global_load_dwordx2 v[20:21], v[18:19], off
	global_load_dwordx2 v[22:23], v[16:17], off
	s_add_u32 s48, s48, 1
	s_addc_u32 s49, s49, 0
	s_andn2_b64 s[46:47], s[46:47], exec
	v_lshl_add_u64 v[16:17], v[16:17], 0, 8
	v_lshl_add_u64 v[18:19], v[18:19], 0, 8
	s_waitcnt vmcnt(0)
	v_cmp_ne_u64_e32 vcc, v[20:21], v[22:23]
	s_and_b64 s[50:51], vcc, exec
	s_or_b64 s[46:47], s[46:47], s[50:51]
.LBB1675_298:                           ;   in Loop: Header=BB1675_299 Depth=1
	s_and_b64 s[50:51], exec, s[46:47]
	s_or_b64 s[44:45], s[50:51], s[44:45]
	v_mov_b64_e32 v[20:21], s[48:49]
	s_andn2_b64 exec, exec, s[44:45]
	s_cbranch_execz .LBB1675_301
.LBB1675_299:                           ; =>This Inner Loop Header: Depth=1
	s_or_b64 s[46:47], s[46:47], exec
	s_cmp_eq_u64 s[42:43], s[48:49]
	s_cbranch_scc0 .LBB1675_297
; %bb.300:                              ;   in Loop: Header=BB1675_299 Depth=1
                                        ; implicit-def: $vgpr16_vgpr17
                                        ; implicit-def: $vgpr18_vgpr19
	s_mov_b64 s[48:49], s[26:27]
	s_branch .LBB1675_298
.LBB1675_301:
	s_or_b64 exec, exec, s[44:45]
	v_cmp_gt_i64_e32 vcc, s[26:27], v[20:21]
	s_orn2_b64 s[42:43], vcc, exec
.LBB1675_302:
	s_or_b64 exec, exec, s[36:37]
.LBB1675_303:
	s_and_b64 s[36:37], s[42:43], exec
.LBB1675_304:
	s_or_b64 exec, exec, s[40:41]
	v_cndmask_b32_e64 v17, 0, 1, s[18:19]
	v_cndmask_b32_e64 v16, 0, 1, s[38:39]
	;; [unrolled: 1-line block ×3, first 2 shown]
	v_lshlrev_b16_e32 v17, 8, v17
	v_cndmask_b32_e64 v32, 0, 1, s[14:15]
	v_cndmask_b32_e64 v18, 0, 1, s[36:37]
	v_or_b32_sdwa v16, v16, v17 dst_sel:WORD_1 dst_unused:UNUSED_PAD src0_sel:DWORD src1_sel:DWORD
	v_lshlrev_b16_e32 v17, 8, v33
	v_lshlrev_b16_e32 v18, 8, v18
	v_or_b32_e32 v17, v32, v17
	v_or_b32_e32 v18, 1, v18
	v_and_b32_e32 v17, 0xffff, v17
	v_cndmask_b32_e64 v34, 0, 1, s[4:5]
	v_or_b32_sdwa v16, v18, v16 dst_sel:DWORD dst_unused:UNUSED_PAD src0_sel:WORD_0 src1_sel:DWORD
	v_lshl_or_b32 v17, v34, 16, v17
	v_cmp_ne_u32_e32 vcc, 0, v0
	s_waitcnt lgkmcnt(0)
	s_barrier
	s_waitcnt lgkmcnt(0)
                                        ; implicit-def: $sgpr18_sgpr19
                                        ; implicit-def: $vgpr20
	s_and_saveexec_b64 s[4:5], vcc
	s_cbranch_execz .LBB1675_317
; %bb.305:
	v_cmp_gt_u32_e32 vcc, s3, v1
	s_mov_b32 s33, 0x3020104
	s_mov_b64 s[14:15], 0
	s_and_saveexec_b64 s[12:13], vcc
	s_cbranch_execz .LBB1675_316
; %bb.306:
	s_andn2_b64 vcc, exec, s[6:7]
	s_cbranch_vccnz .LBB1675_315
; %bb.307:
	v_add_u32_e32 v17, -8, v30
	ds_read_b64 v[18:19], v17
	v_mul_lo_u32 v17, v11, s26
	v_mad_u64_u32 v[22:23], s[6:7], v10, s26, 0
	s_mov_b64 s[14:15], -1
	s_waitcnt lgkmcnt(0)
	v_mul_lo_u32 v20, v19, s26
	v_mul_lo_u32 v21, v18, s27
	v_mad_u64_u32 v[18:19], s[6:7], v18, s26, 0
	v_add3_u32 v19, v19, v21, v20
	v_mul_lo_u32 v20, v10, s27
	v_add3_u32 v23, v23, v20, v17
	v_lshl_add_u64 v[20:21], v[18:19], 3, s[28:29]
	v_lshl_add_u64 v[18:19], v[22:23], 3, s[28:29]
	global_load_dwordx2 v[22:23], v[20:21], off
	global_load_dwordx2 v[30:31], v[18:19], off
	s_waitcnt vmcnt(0)
	v_cmp_eq_u64_e32 vcc, v[22:23], v[30:31]
	s_and_saveexec_b64 s[6:7], vcc
	s_cbranch_execz .LBB1675_314
; %bb.308:
	s_add_u32 s14, s26, -1
	v_lshl_add_u64 v[18:19], v[18:19], 0, 8
	v_lshl_add_u64 v[20:21], v[20:21], 0, 8
	s_addc_u32 s15, s27, -1
	s_mov_b64 s[18:19], 0
	s_mov_b64 s[36:37], 0
                                        ; implicit-def: $sgpr28_sgpr29
	s_branch .LBB1675_311
.LBB1675_309:                           ;   in Loop: Header=BB1675_311 Depth=1
	global_load_dwordx2 v[22:23], v[20:21], off
	global_load_dwordx2 v[30:31], v[18:19], off
	s_add_u32 s36, s36, 1
	s_addc_u32 s37, s37, 0
	s_andn2_b64 s[28:29], s[28:29], exec
	v_lshl_add_u64 v[18:19], v[18:19], 0, 8
	v_lshl_add_u64 v[20:21], v[20:21], 0, 8
	s_waitcnt vmcnt(0)
	v_cmp_ne_u64_e32 vcc, v[22:23], v[30:31]
	s_and_b64 s[38:39], vcc, exec
	s_or_b64 s[28:29], s[28:29], s[38:39]
.LBB1675_310:                           ;   in Loop: Header=BB1675_311 Depth=1
	s_and_b64 s[38:39], exec, s[28:29]
	s_or_b64 s[18:19], s[38:39], s[18:19]
	v_mov_b64_e32 v[22:23], s[36:37]
	s_andn2_b64 exec, exec, s[18:19]
	s_cbranch_execz .LBB1675_313
.LBB1675_311:                           ; =>This Inner Loop Header: Depth=1
	s_or_b64 s[28:29], s[28:29], exec
	s_cmp_eq_u64 s[14:15], s[36:37]
	s_cbranch_scc0 .LBB1675_309
; %bb.312:                              ;   in Loop: Header=BB1675_311 Depth=1
                                        ; implicit-def: $vgpr18_vgpr19
                                        ; implicit-def: $vgpr20_vgpr21
	s_mov_b64 s[36:37], s[26:27]
	s_branch .LBB1675_310
.LBB1675_313:
	s_or_b64 exec, exec, s[18:19]
	v_cmp_gt_i64_e32 vcc, s[26:27], v[22:23]
	s_orn2_b64 s[14:15], vcc, exec
.LBB1675_314:
	s_or_b64 exec, exec, s[6:7]
.LBB1675_315:
	s_and_b64 s[14:15], s[14:15], exec
.LBB1675_316:
	s_or_b64 exec, exec, s[12:13]
	v_perm_b32 v20, v16, v16, s33
	s_and_b64 s[18:19], s[14:15], exec
	s_or_b64 s[10:11], s[10:11], exec
                                        ; implicit-def: $vgpr16_vgpr17
.LBB1675_317:
	s_or_b64 exec, exec, s[4:5]
.LBB1675_318:
	s_and_saveexec_b64 s[4:5], s[10:11]
	s_cbranch_execz .LBB1675_320
; %bb.319:
	s_waitcnt lgkmcnt(0)
	v_lshlrev_b16_e32 v17, 8, v33
	v_and_b32_e32 v18, 0xff, v34
	v_or_b32_sdwa v17, v32, v17 dst_sel:DWORD dst_unused:UNUSED_PAD src0_sel:BYTE_0 src1_sel:DWORD
	v_lshlrev_b32_e32 v18, 16, v18
	s_movk_i32 s6, 0xff
	v_or_b32_sdwa v17, v17, v18 dst_sel:DWORD dst_unused:UNUSED_PAD src0_sel:WORD_0 src1_sel:DWORD
	v_lshrrev_b32_e32 v18, 24, v20
	v_lshlrev_b16_e32 v18, 8, v18
	v_and_b32_sdwa v19, v20, s6 dst_sel:DWORD dst_unused:UNUSED_PAD src0_sel:WORD_1 src1_sel:DWORD
	v_or_b32_sdwa v18, v19, v18 dst_sel:WORD_1 dst_unused:UNUSED_PAD src0_sel:DWORD src1_sel:DWORD
	v_mov_b32_e32 v19, 8
	v_cndmask_b32_e64 v16, 0, 1, s[18:19]
	v_lshrrev_b32_sdwa v19, v19, v20 dst_sel:BYTE_1 dst_unused:UNUSED_PAD src0_sel:DWORD src1_sel:DWORD
	s_nop 0
	v_or_b32_e32 v16, v16, v19
	v_or_b32_sdwa v16, v16, v18 dst_sel:DWORD dst_unused:UNUSED_PAD src0_sel:WORD_0 src1_sel:DWORD
.LBB1675_320:
	s_or_b64 exec, exec, s[4:5]
	s_andn2_b64 vcc, exec, s[8:9]
	s_cbranch_vccnz .LBB1675_322
; %bb.321:
	s_waitcnt lgkmcnt(0)
	v_and_b32_e32 v18, 0xffff0000, v16
	v_cmp_gt_u32_e32 vcc, s3, v1
	s_mov_b32 s4, 0x40c0100
	s_nop 0
	v_cndmask_b32_e32 v1, v18, v16, vcc
	v_and_b32_e32 v1, 0xffff00ff, v1
	v_cmp_gt_u32_e32 vcc, s3, v25
	s_nop 1
	v_cndmask_b32_e32 v1, v1, v16, vcc
	v_lshrrev_b32_e32 v18, 24, v1
	v_perm_b32 v1, v18, v1, s4
	v_cmp_gt_u32_e32 vcc, s3, v24
	v_and_b32_e32 v18, 0xffffff00, v17
	s_nop 0
	v_cndmask_b32_e32 v1, v1, v16, vcc
	v_and_b32_e32 v1, 0xffffff, v1
	v_cmp_gt_u32_e32 vcc, s3, v28
	s_nop 1
	v_cndmask_b32_e32 v1, v1, v16, vcc
	v_cmp_gt_u32_e32 vcc, s3, v26
	s_nop 1
	v_cndmask_b32_e32 v18, v18, v17, vcc
	v_and_b32_e32 v18, 0xffff00ff, v18
	v_cndmask_b32_e32 v1, v1, v16, vcc
	v_cmp_gt_u32_e32 vcc, s3, v29
	s_nop 1
	v_cndmask_b32_e32 v18, v18, v17, vcc
	v_lshrrev_b32_e32 v19, 24, v18
	v_cndmask_b32_e32 v1, v1, v16, vcc
	v_perm_b32 v18, v19, v18, s4
	v_cmp_gt_u32_e32 vcc, s3, v27
	s_mov_b32 s3, 0x3020104
	s_nop 0
	v_cndmask_b32_e32 v1, v1, v16, vcc
	v_cndmask_b32_e32 v16, v18, v17, vcc
	v_mov_b32_e32 v17, 8
	v_lshrrev_b32_sdwa v17, v17, v16 dst_sel:BYTE_1 dst_unused:UNUSED_PAD src0_sel:DWORD src1_sel:DWORD
	s_nop 0
	v_or_b32_sdwa v17, v16, v17 dst_sel:DWORD dst_unused:UNUSED_PAD src0_sel:BYTE_0 src1_sel:DWORD
	v_and_b32_e32 v17, 0xffff, v17
	v_bfe_u32 v16, v16, 16, 8
	v_lshl_or_b32 v17, v16, 16, v17
	v_perm_b32 v16, v1, v1, s3
.LBB1675_322:
	s_waitcnt lgkmcnt(0)
	v_and_b32_e32 v1, 0xff, v16
	v_bfe_u32 v29, v16, 8, 8
	v_bfe_u32 v31, v16, 16, 8
	v_alignbit_b32 v18, v17, v16, 24
	v_and_b32_e32 v33, 0xff, v18
	v_and_b32_e32 v35, 0xff, v17
	v_add3_u32 v19, v29, v1, v31
	v_bfe_u32 v36, v17, 8, 8
	v_bfe_u32 v18, v17, 16, 8
	v_add3_u32 v19, v19, v33, v35
	v_add3_u32 v39, v19, v36, v18
	v_mbcnt_lo_u32_b32 v18, -1, 0
	v_mbcnt_hi_u32_b32 v37, -1, v18
	v_and_b32_e32 v18, 15, v37
	v_cmp_eq_u32_e64 s[14:15], 0, v18
	v_cmp_lt_u32_e64 s[12:13], 1, v18
	v_cmp_lt_u32_e64 s[10:11], 3, v18
	;; [unrolled: 1-line block ×3, first 2 shown]
	v_and_b32_e32 v18, 16, v37
	v_cmp_eq_u32_e64 s[6:7], 0, v18
	v_or_b32_e32 v18, 63, v0
	v_cmp_lt_u32_e64 s[18:19], 31, v37
	v_lshrrev_b32_e32 v38, 6, v0
	v_cmp_eq_u32_e64 s[4:5], v18, v0
	s_and_b64 vcc, exec, s[16:17]
	s_barrier
	s_cbranch_vccz .LBB1675_349
; %bb.323:
	v_mov_b32_dpp v18, v39 row_shr:1 row_mask:0xf bank_mask:0xf
	v_cndmask_b32_e64 v18, v18, 0, s[14:15]
	v_add_u32_e32 v18, v18, v39
	s_nop 1
	v_mov_b32_dpp v19, v18 row_shr:2 row_mask:0xf bank_mask:0xf
	v_cndmask_b32_e64 v19, 0, v19, s[12:13]
	v_add_u32_e32 v18, v18, v19
	s_nop 1
	;; [unrolled: 4-line block ×4, first 2 shown]
	v_mov_b32_dpp v19, v18 row_bcast:15 row_mask:0xf bank_mask:0xf
	v_cndmask_b32_e64 v19, v19, 0, s[6:7]
	v_add_u32_e32 v18, v18, v19
	s_nop 1
	v_mov_b32_dpp v19, v18 row_bcast:31 row_mask:0xf bank_mask:0xf
	v_cndmask_b32_e64 v19, 0, v19, s[18:19]
	v_add_u32_e32 v18, v18, v19
	s_and_saveexec_b64 s[16:17], s[4:5]
	s_cbranch_execz .LBB1675_325
; %bb.324:
	v_lshlrev_b32_e32 v19, 2, v38
	ds_write_b32 v19, v18
.LBB1675_325:
	s_or_b64 exec, exec, s[16:17]
	v_cmp_gt_u32_e32 vcc, 8, v0
	s_waitcnt lgkmcnt(0)
	s_barrier
	s_and_saveexec_b64 s[16:17], vcc
	s_cbranch_execz .LBB1675_327
; %bb.326:
	v_lshlrev_b32_e32 v19, 2, v0
	ds_read_b32 v20, v19
	v_and_b32_e32 v21, 7, v37
	v_cmp_ne_u32_e32 vcc, 0, v21
	s_waitcnt lgkmcnt(0)
	v_mov_b32_dpp v22, v20 row_shr:1 row_mask:0xf bank_mask:0xf
	v_cndmask_b32_e32 v22, 0, v22, vcc
	v_add_u32_e32 v20, v22, v20
	v_cmp_lt_u32_e32 vcc, 1, v21
	s_nop 0
	v_mov_b32_dpp v22, v20 row_shr:2 row_mask:0xf bank_mask:0xf
	v_cndmask_b32_e32 v22, 0, v22, vcc
	v_add_u32_e32 v20, v20, v22
	v_cmp_lt_u32_e32 vcc, 3, v21
	s_nop 0
	v_mov_b32_dpp v22, v20 row_shr:4 row_mask:0xf bank_mask:0xf
	v_cndmask_b32_e32 v21, 0, v22, vcc
	v_add_u32_e32 v20, v20, v21
	ds_write_b32 v19, v20
.LBB1675_327:
	s_or_b64 exec, exec, s[16:17]
	v_cmp_gt_u32_e32 vcc, 64, v0
	v_cmp_lt_u32_e64 s[16:17], 63, v0
	s_waitcnt lgkmcnt(0)
	s_barrier
	s_waitcnt lgkmcnt(0)
                                        ; implicit-def: $vgpr28
	s_and_saveexec_b64 s[26:27], s[16:17]
	s_cbranch_execz .LBB1675_329
; %bb.328:
	v_lshl_add_u32 v19, v38, 2, -4
	ds_read_b32 v28, v19
	s_waitcnt lgkmcnt(0)
	v_add_u32_e32 v18, v28, v18
.LBB1675_329:
	s_or_b64 exec, exec, s[26:27]
	v_add_u32_e32 v19, -1, v37
	v_and_b32_e32 v20, 64, v37
	v_cmp_lt_i32_e64 s[16:17], v19, v20
	s_nop 1
	v_cndmask_b32_e64 v19, v19, v37, s[16:17]
	v_lshlrev_b32_e32 v19, 2, v19
	ds_bpermute_b32 v30, v19, v18
	v_cmp_eq_u32_e64 s[16:17], 0, v37
	s_and_saveexec_b64 s[26:27], vcc
	s_cbranch_execz .LBB1675_348
; %bb.330:
	v_mov_b32_e32 v25, 0
	ds_read_b32 v18, v25 offset:28
	s_and_saveexec_b64 s[28:29], s[16:17]
	s_cbranch_execz .LBB1675_332
; %bb.331:
	s_add_i32 s36, s2, 64
	s_mov_b32 s37, 0
	s_lshl_b64 s[36:37], s[36:37], 3
	s_add_u32 s36, s30, s36
	v_mov_b32_e32 v19, 1
	s_addc_u32 s37, s31, s37
	s_waitcnt lgkmcnt(0)
	global_store_dwordx2 v25, v[18:19], s[36:37] sc1
.LBB1675_332:
	s_or_b64 exec, exec, s[28:29]
	v_xad_u32 v20, v37, -1, s2
	v_add_u32_e32 v24, 64, v20
	v_lshl_add_u64 v[26:27], v[24:25], 3, s[30:31]
	global_load_dwordx2 v[22:23], v[26:27], off sc1
	s_waitcnt vmcnt(0)
	v_cmp_eq_u16_sdwa s[36:37], v23, v25 src0_sel:BYTE_0 src1_sel:DWORD
	s_and_saveexec_b64 s[28:29], s[36:37]
	s_cbranch_execz .LBB1675_336
; %bb.333:
	s_mov_b64 s[36:37], 0
	v_mov_b32_e32 v19, 0
.LBB1675_334:                           ; =>This Inner Loop Header: Depth=1
	global_load_dwordx2 v[22:23], v[26:27], off sc1
	s_waitcnt vmcnt(0)
	v_cmp_ne_u16_sdwa s[38:39], v23, v19 src0_sel:BYTE_0 src1_sel:DWORD
	s_or_b64 s[36:37], s[38:39], s[36:37]
	s_andn2_b64 exec, exec, s[36:37]
	s_cbranch_execnz .LBB1675_334
; %bb.335:
	s_or_b64 exec, exec, s[36:37]
.LBB1675_336:
	s_or_b64 exec, exec, s[28:29]
	v_and_b32_e32 v32, 63, v37
	v_mov_b32_e32 v19, 2
	v_cmp_ne_u32_e32 vcc, 63, v32
	v_cmp_eq_u16_sdwa s[28:29], v23, v19 src0_sel:BYTE_0 src1_sel:DWORD
	v_lshlrev_b64 v[24:25], v37, -1
	v_addc_co_u32_e32 v27, vcc, 0, v37, vcc
	v_and_b32_e32 v21, s29, v25
	v_lshlrev_b32_e32 v34, 2, v27
	v_or_b32_e32 v21, 0x80000000, v21
	ds_bpermute_b32 v27, v34, v22
	v_and_b32_e32 v26, s28, v24
	v_ffbl_b32_e32 v21, v21
	v_add_u32_e32 v21, 32, v21
	v_ffbl_b32_e32 v26, v26
	v_min_u32_e32 v21, v26, v21
	v_cmp_lt_u32_e32 vcc, v32, v21
	v_add_u32_e32 v41, 2, v32
	v_add_u32_e32 v43, 4, v32
	s_waitcnt lgkmcnt(0)
	v_cndmask_b32_e32 v26, 0, v27, vcc
	v_cmp_gt_u32_e32 vcc, 62, v32
	v_add_u32_e32 v22, v26, v22
	v_add_u32_e32 v45, 8, v32
	v_cndmask_b32_e64 v26, 0, 1, vcc
	v_lshlrev_b32_e32 v26, 1, v26
	v_add_lshl_u32 v40, v26, v37, 2
	ds_bpermute_b32 v26, v40, v22
	v_cmp_le_u32_e32 vcc, v41, v21
	v_add_u32_e32 v48, 16, v32
	v_add_u32_e32 v50, 32, v32
	s_waitcnt lgkmcnt(0)
	v_cndmask_b32_e32 v26, 0, v26, vcc
	v_cmp_gt_u32_e32 vcc, 60, v32
	v_add_u32_e32 v22, v22, v26
	s_nop 0
	v_cndmask_b32_e64 v26, 0, 1, vcc
	v_lshlrev_b32_e32 v26, 2, v26
	v_add_lshl_u32 v42, v26, v37, 2
	ds_bpermute_b32 v26, v42, v22
	v_cmp_le_u32_e32 vcc, v43, v21
	s_waitcnt lgkmcnt(0)
	s_nop 0
	v_cndmask_b32_e32 v26, 0, v26, vcc
	v_cmp_gt_u32_e32 vcc, 56, v32
	v_add_u32_e32 v22, v22, v26
	s_nop 0
	v_cndmask_b32_e64 v26, 0, 1, vcc
	v_lshlrev_b32_e32 v26, 3, v26
	v_add_lshl_u32 v44, v26, v37, 2
	ds_bpermute_b32 v26, v44, v22
	v_cmp_le_u32_e32 vcc, v45, v21
	s_waitcnt lgkmcnt(0)
	s_nop 0
	;; [unrolled: 11-line block ×4, first 2 shown]
	v_cndmask_b32_e32 v21, 0, v26, vcc
	v_add_u32_e32 v22, v22, v21
	v_mov_b32_e32 v21, 0
	s_branch .LBB1675_338
.LBB1675_337:                           ;   in Loop: Header=BB1675_338 Depth=1
	s_or_b64 exec, exec, s[28:29]
	v_cmp_eq_u16_sdwa s[28:29], v23, v19 src0_sel:BYTE_0 src1_sel:DWORD
	ds_bpermute_b32 v51, v34, v22
	v_subrev_u32_e32 v20, 64, v20
	v_and_b32_e32 v26, s29, v25
	v_or_b32_e32 v26, 0x80000000, v26
	v_and_b32_e32 v27, s28, v24
	v_ffbl_b32_e32 v26, v26
	v_add_u32_e32 v26, 32, v26
	v_ffbl_b32_e32 v27, v27
	v_min_u32_e32 v26, v27, v26
	v_cmp_lt_u32_e32 vcc, v32, v26
	s_waitcnt lgkmcnt(0)
	s_nop 0
	v_cndmask_b32_e32 v27, 0, v51, vcc
	v_add_u32_e32 v22, v27, v22
	ds_bpermute_b32 v27, v40, v22
	v_cmp_le_u32_e32 vcc, v41, v26
	s_waitcnt lgkmcnt(0)
	s_nop 0
	v_cndmask_b32_e32 v27, 0, v27, vcc
	v_add_u32_e32 v22, v22, v27
	ds_bpermute_b32 v27, v42, v22
	v_cmp_le_u32_e32 vcc, v43, v26
	;; [unrolled: 6-line block ×5, first 2 shown]
	s_waitcnt lgkmcnt(0)
	s_nop 0
	v_cndmask_b32_e32 v26, 0, v27, vcc
	v_add3_u32 v22, v26, v46, v22
.LBB1675_338:                           ; =>This Loop Header: Depth=1
                                        ;     Child Loop BB1675_341 Depth 2
	v_cmp_ne_u16_sdwa s[28:29], v23, v19 src0_sel:BYTE_0 src1_sel:DWORD
	v_mov_b32_e32 v46, v22
	s_nop 0
	v_cndmask_b32_e64 v23, 0, 1, s[28:29]
	;;#ASMSTART
	;;#ASMEND
	s_nop 0
	v_cmp_ne_u32_e32 vcc, 0, v23
	s_cmp_lg_u64 vcc, exec
	s_cbranch_scc1 .LBB1675_343
; %bb.339:                              ;   in Loop: Header=BB1675_338 Depth=1
	v_lshl_add_u64 v[26:27], v[20:21], 3, s[30:31]
	global_load_dwordx2 v[22:23], v[26:27], off sc1
	s_waitcnt vmcnt(0)
	v_cmp_eq_u16_sdwa s[36:37], v23, v21 src0_sel:BYTE_0 src1_sel:DWORD
	s_and_saveexec_b64 s[28:29], s[36:37]
	s_cbranch_execz .LBB1675_337
; %bb.340:                              ;   in Loop: Header=BB1675_338 Depth=1
	s_mov_b64 s[36:37], 0
.LBB1675_341:                           ;   Parent Loop BB1675_338 Depth=1
                                        ; =>  This Inner Loop Header: Depth=2
	global_load_dwordx2 v[22:23], v[26:27], off sc1
	s_waitcnt vmcnt(0)
	v_cmp_ne_u16_sdwa s[38:39], v23, v21 src0_sel:BYTE_0 src1_sel:DWORD
	s_or_b64 s[36:37], s[38:39], s[36:37]
	s_andn2_b64 exec, exec, s[36:37]
	s_cbranch_execnz .LBB1675_341
; %bb.342:                              ;   in Loop: Header=BB1675_338 Depth=1
	s_or_b64 exec, exec, s[36:37]
	s_branch .LBB1675_337
.LBB1675_343:                           ;   in Loop: Header=BB1675_338 Depth=1
                                        ; implicit-def: $vgpr22
                                        ; implicit-def: $vgpr23
	s_cbranch_execz .LBB1675_338
; %bb.344:
	s_and_saveexec_b64 s[28:29], s[16:17]
	s_cbranch_execz .LBB1675_346
; %bb.345:
	s_add_i32 s2, s2, 64
	s_mov_b32 s3, 0
	s_lshl_b64 s[2:3], s[2:3], 3
	s_add_u32 s2, s30, s2
	v_add_u32_e32 v20, v46, v18
	v_mov_b32_e32 v21, 2
	s_addc_u32 s3, s31, s3
	v_mov_b32_e32 v19, 0
	global_store_dwordx2 v19, v[20:21], s[2:3] sc1
	s_movk_i32 s2, 0x7000
	v_add_u32_e64 v19, s2, 0
	ds_write2_b32 v19, v18, v46 offset1:2
.LBB1675_346:
	s_or_b64 exec, exec, s[28:29]
	v_cmp_eq_u32_e32 vcc, 0, v0
	s_and_b64 exec, exec, vcc
	s_cbranch_execz .LBB1675_348
; %bb.347:
	v_mov_b32_e32 v18, 0
	ds_write_b32 v18, v46 offset:28
.LBB1675_348:
	s_or_b64 exec, exec, s[26:27]
	v_mov_b32_e32 v18, 0
	s_waitcnt lgkmcnt(0)
	s_barrier
	ds_read_b32 v18, v18 offset:28
	v_cndmask_b32_e64 v19, v30, v28, s[16:17]
	v_cmp_ne_u32_e32 vcc, 0, v0
	s_movk_i32 s2, 0x7000
	s_waitcnt lgkmcnt(0)
	v_cndmask_b32_e32 v19, 0, v19, vcc
	v_add_u32_e32 v34, v18, v19
	v_add_u32_e32 v32, v34, v1
	v_add_u32_e64 v18, s2, 0
	v_add_u32_e32 v30, v32, v29
	s_barrier
	ds_read2_b32 v[18:19], v18 offset1:2
	v_add_u32_e32 v28, v30, v31
	v_add_u32_e32 v26, v28, v33
	;; [unrolled: 1-line block ×4, first 2 shown]
	s_load_dwordx2 s[2:3], s[0:1], 0x28
	v_lshrrev_b64 v[20:21], 24, v[16:17]
	s_branch .LBB1675_359
.LBB1675_349:
                                        ; implicit-def: $vgpr22
                                        ; implicit-def: $vgpr24
                                        ; implicit-def: $vgpr26
                                        ; implicit-def: $vgpr28
                                        ; implicit-def: $vgpr30
                                        ; implicit-def: $vgpr32
                                        ; implicit-def: $vgpr34
                                        ; implicit-def: $vgpr19
	s_load_dwordx2 s[2:3], s[0:1], 0x28
	v_lshrrev_b64 v[20:21], 24, v[16:17]
	s_cbranch_execz .LBB1675_359
; %bb.350:
	s_waitcnt lgkmcnt(0)
	v_mov_b32_dpp v18, v39 row_shr:1 row_mask:0xf bank_mask:0xf
	v_cndmask_b32_e64 v18, v18, 0, s[14:15]
	v_add_u32_e32 v18, v18, v39
	s_nop 1
	v_mov_b32_dpp v19, v18 row_shr:2 row_mask:0xf bank_mask:0xf
	v_cndmask_b32_e64 v19, 0, v19, s[12:13]
	v_add_u32_e32 v18, v18, v19
	s_nop 1
	;; [unrolled: 4-line block ×4, first 2 shown]
	v_mov_b32_dpp v19, v18 row_bcast:15 row_mask:0xf bank_mask:0xf
	v_cndmask_b32_e64 v19, v19, 0, s[6:7]
	v_add_u32_e32 v18, v18, v19
	s_nop 1
	v_mov_b32_dpp v19, v18 row_bcast:31 row_mask:0xf bank_mask:0xf
	v_cndmask_b32_e64 v19, 0, v19, s[18:19]
	v_add_u32_e32 v18, v18, v19
	s_and_saveexec_b64 s[0:1], s[4:5]
	s_cbranch_execz .LBB1675_352
; %bb.351:
	v_lshlrev_b32_e32 v19, 2, v38
	ds_write_b32 v19, v18
.LBB1675_352:
	s_or_b64 exec, exec, s[0:1]
	v_cmp_gt_u32_e32 vcc, 8, v0
	s_waitcnt lgkmcnt(0)
	s_barrier
	s_and_saveexec_b64 s[0:1], vcc
	s_cbranch_execz .LBB1675_354
; %bb.353:
	v_lshlrev_b32_e32 v19, 2, v0
	ds_read_b32 v21, v19
	v_and_b32_e32 v22, 7, v37
	v_cmp_ne_u32_e32 vcc, 0, v22
	s_waitcnt lgkmcnt(0)
	v_mov_b32_dpp v23, v21 row_shr:1 row_mask:0xf bank_mask:0xf
	v_cndmask_b32_e32 v23, 0, v23, vcc
	v_add_u32_e32 v21, v23, v21
	v_cmp_lt_u32_e32 vcc, 1, v22
	s_nop 0
	v_mov_b32_dpp v23, v21 row_shr:2 row_mask:0xf bank_mask:0xf
	v_cndmask_b32_e32 v23, 0, v23, vcc
	v_add_u32_e32 v21, v21, v23
	v_cmp_lt_u32_e32 vcc, 3, v22
	s_nop 0
	v_mov_b32_dpp v23, v21 row_shr:4 row_mask:0xf bank_mask:0xf
	v_cndmask_b32_e32 v22, 0, v23, vcc
	v_add_u32_e32 v21, v21, v22
	ds_write_b32 v19, v21
.LBB1675_354:
	s_or_b64 exec, exec, s[0:1]
	v_cmp_lt_u32_e32 vcc, 63, v0
	v_mov_b32_e32 v19, 0
	v_mov_b32_e32 v21, 0
	s_waitcnt lgkmcnt(0)
	s_barrier
	s_and_saveexec_b64 s[0:1], vcc
	s_cbranch_execz .LBB1675_356
; %bb.355:
	v_lshl_add_u32 v21, v38, 2, -4
	ds_read_b32 v21, v21
.LBB1675_356:
	s_or_b64 exec, exec, s[0:1]
	v_add_u32_e32 v22, -1, v37
	v_and_b32_e32 v23, 64, v37
	v_cmp_lt_i32_e32 vcc, v22, v23
	s_waitcnt lgkmcnt(0)
	v_add_u32_e32 v18, v21, v18
	v_cndmask_b32_e32 v22, v22, v37, vcc
	v_lshlrev_b32_e32 v22, 2, v22
	ds_bpermute_b32 v22, v22, v18
	ds_read_b32 v18, v19 offset:28
	v_cmp_eq_u32_e32 vcc, 0, v0
	s_and_saveexec_b64 s[0:1], vcc
	s_cbranch_execz .LBB1675_358
; %bb.357:
	v_mov_b32_e32 v23, 0
	v_mov_b32_e32 v19, 2
	s_waitcnt lgkmcnt(0)
	global_store_dwordx2 v23, v[18:19], s[30:31] offset:512 sc1
.LBB1675_358:
	s_or_b64 exec, exec, s[0:1]
	v_cmp_eq_u32_e64 s[0:1], 0, v37
	v_mov_b32_e32 v19, 0
	s_waitcnt lgkmcnt(0)
	v_cndmask_b32_e64 v21, v22, v21, s[0:1]
	v_cndmask_b32_e64 v34, v21, 0, vcc
	v_add_u32_e32 v32, v34, v1
	v_add_u32_e32 v30, v32, v29
	;; [unrolled: 1-line block ×6, first 2 shown]
	s_barrier
.LBB1675_359:
	s_movk_i32 s0, 0x201
	s_waitcnt lgkmcnt(0)
	v_cmp_gt_u32_e32 vcc, s0, v18
	v_lshrrev_b32_e32 v21, 8, v16
	v_lshrrev_b32_e32 v1, 8, v17
	s_mov_b64 s[0:1], -1
	s_cbranch_vccnz .LBB1675_363
; %bb.360:
	s_and_b64 vcc, exec, s[0:1]
	s_cbranch_vccnz .LBB1675_385
.LBB1675_361:
	v_cmp_eq_u32_e32 vcc, 0, v0
	s_and_b64 s[0:1], vcc, s[24:25]
	s_and_saveexec_b64 s[2:3], s[0:1]
	s_cbranch_execnz .LBB1675_403
.LBB1675_362:
	s_endpgm
.LBB1675_363:
	v_add_u32_e32 v23, v19, v18
	v_cmp_lt_u32_e32 vcc, v34, v23
	s_or_b64 s[4:5], s[34:35], vcc
	s_and_saveexec_b64 s[0:1], s[4:5]
	s_cbranch_execz .LBB1675_366
; %bb.364:
	v_and_b32_e32 v25, 1, v16
	v_cmp_eq_u32_e32 vcc, 1, v25
	s_and_b64 exec, exec, vcc
	s_cbranch_execz .LBB1675_366
; %bb.365:
	s_lshl_b64 s[4:5], s[22:23], 3
	s_add_u32 s4, s2, s4
	s_addc_u32 s5, s3, s5
	v_mov_b32_e32 v35, 0
	v_lshl_add_u64 v[36:37], v[34:35], 3, s[4:5]
	global_store_dwordx2 v[36:37], v[10:11], off
.LBB1675_366:
	s_or_b64 exec, exec, s[0:1]
	v_cmp_lt_u32_e32 vcc, v32, v23
	s_or_b64 s[4:5], s[34:35], vcc
	s_and_saveexec_b64 s[0:1], s[4:5]
	s_cbranch_execz .LBB1675_369
; %bb.367:
	v_and_b32_e32 v25, 1, v21
	v_cmp_eq_u32_e32 vcc, 1, v25
	s_and_b64 exec, exec, vcc
	s_cbranch_execz .LBB1675_369
; %bb.368:
	s_lshl_b64 s[4:5], s[22:23], 3
	s_add_u32 s4, s2, s4
	s_addc_u32 s5, s3, s5
	v_mov_b32_e32 v33, 0
	v_lshl_add_u64 v[36:37], v[32:33], 3, s[4:5]
	global_store_dwordx2 v[36:37], v[12:13], off
.LBB1675_369:
	s_or_b64 exec, exec, s[0:1]
	v_cmp_lt_u32_e32 vcc, v30, v23
	s_or_b64 s[4:5], s[34:35], vcc
	s_and_saveexec_b64 s[0:1], s[4:5]
	s_cbranch_execz .LBB1675_372
; %bb.370:
	v_mov_b32_e32 v25, 1
	v_and_b32_sdwa v25, v25, v16 dst_sel:DWORD dst_unused:UNUSED_PAD src0_sel:DWORD src1_sel:WORD_1
	v_cmp_eq_u32_e32 vcc, 1, v25
	s_and_b64 exec, exec, vcc
	s_cbranch_execz .LBB1675_372
; %bb.371:
	s_lshl_b64 s[4:5], s[22:23], 3
	s_add_u32 s4, s2, s4
	s_addc_u32 s5, s3, s5
	v_mov_b32_e32 v31, 0
	v_lshl_add_u64 v[36:37], v[30:31], 3, s[4:5]
	global_store_dwordx2 v[36:37], v[6:7], off
.LBB1675_372:
	s_or_b64 exec, exec, s[0:1]
	v_cmp_lt_u32_e32 vcc, v28, v23
	s_or_b64 s[4:5], s[34:35], vcc
	s_and_saveexec_b64 s[0:1], s[4:5]
	s_cbranch_execz .LBB1675_375
; %bb.373:
	v_and_b32_e32 v25, 1, v20
	v_cmp_eq_u32_e32 vcc, 1, v25
	s_and_b64 exec, exec, vcc
	s_cbranch_execz .LBB1675_375
; %bb.374:
	s_lshl_b64 s[4:5], s[22:23], 3
	s_add_u32 s4, s2, s4
	s_addc_u32 s5, s3, s5
	v_mov_b32_e32 v29, 0
	v_lshl_add_u64 v[36:37], v[28:29], 3, s[4:5]
	global_store_dwordx2 v[36:37], v[8:9], off
.LBB1675_375:
	s_or_b64 exec, exec, s[0:1]
	v_cmp_lt_u32_e32 vcc, v26, v23
	s_or_b64 s[4:5], s[34:35], vcc
	s_and_saveexec_b64 s[0:1], s[4:5]
	s_cbranch_execz .LBB1675_378
; %bb.376:
	v_and_b32_e32 v25, 1, v17
	v_cmp_eq_u32_e32 vcc, 1, v25
	s_and_b64 exec, exec, vcc
	s_cbranch_execz .LBB1675_378
; %bb.377:
	s_lshl_b64 s[4:5], s[22:23], 3
	s_add_u32 s4, s2, s4
	s_addc_u32 s5, s3, s5
	v_mov_b32_e32 v27, 0
	v_lshl_add_u64 v[36:37], v[26:27], 3, s[4:5]
	global_store_dwordx2 v[36:37], v[2:3], off
.LBB1675_378:
	;; [unrolled: 18-line block ×3, first 2 shown]
	s_or_b64 exec, exec, s[0:1]
	v_cmp_lt_u32_e32 vcc, v22, v23
	s_or_b64 s[4:5], s[34:35], vcc
	s_and_saveexec_b64 s[0:1], s[4:5]
	s_cbranch_execz .LBB1675_384
; %bb.382:
	v_mov_b32_e32 v23, 1
	v_and_b32_sdwa v23, v23, v17 dst_sel:DWORD dst_unused:UNUSED_PAD src0_sel:DWORD src1_sel:WORD_1
	v_cmp_eq_u32_e32 vcc, 1, v23
	s_and_b64 exec, exec, vcc
	s_cbranch_execz .LBB1675_384
; %bb.383:
	s_lshl_b64 s[4:5], s[22:23], 3
	s_add_u32 s4, s2, s4
	s_addc_u32 s5, s3, s5
	v_mov_b32_e32 v23, 0
	v_lshl_add_u64 v[36:37], v[22:23], 3, s[4:5]
	global_store_dwordx2 v[36:37], v[14:15], off
.LBB1675_384:
	s_or_b64 exec, exec, s[0:1]
	s_branch .LBB1675_361
.LBB1675_385:
	v_and_b32_e32 v23, 1, v16
	v_cmp_eq_u32_e32 vcc, 1, v23
	s_and_saveexec_b64 s[0:1], vcc
	s_cbranch_execz .LBB1675_387
; %bb.386:
	v_sub_u32_e32 v23, v34, v19
	v_lshlrev_b32_e32 v23, 3, v23
	ds_write_b64 v23, v[10:11]
.LBB1675_387:
	s_or_b64 exec, exec, s[0:1]
	v_and_b32_e32 v10, 1, v21
	v_cmp_eq_u32_e32 vcc, 1, v10
	s_and_saveexec_b64 s[0:1], vcc
	s_cbranch_execz .LBB1675_389
; %bb.388:
	v_sub_u32_e32 v10, v32, v19
	v_lshlrev_b32_e32 v10, 3, v10
	ds_write_b64 v10, v[12:13]
.LBB1675_389:
	s_or_b64 exec, exec, s[0:1]
	v_mov_b32_e32 v10, 1
	v_and_b32_sdwa v10, v10, v16 dst_sel:DWORD dst_unused:UNUSED_PAD src0_sel:DWORD src1_sel:WORD_1
	v_cmp_eq_u32_e32 vcc, 1, v10
	s_and_saveexec_b64 s[0:1], vcc
	s_cbranch_execz .LBB1675_391
; %bb.390:
	v_sub_u32_e32 v10, v30, v19
	v_lshlrev_b32_e32 v10, 3, v10
	ds_write_b64 v10, v[6:7]
.LBB1675_391:
	s_or_b64 exec, exec, s[0:1]
	v_and_b32_e32 v6, 1, v20
	v_cmp_eq_u32_e32 vcc, 1, v6
	s_and_saveexec_b64 s[0:1], vcc
	s_cbranch_execz .LBB1675_393
; %bb.392:
	v_sub_u32_e32 v6, v28, v19
	v_lshlrev_b32_e32 v6, 3, v6
	ds_write_b64 v6, v[8:9]
.LBB1675_393:
	s_or_b64 exec, exec, s[0:1]
	v_and_b32_e32 v6, 1, v17
	;; [unrolled: 10-line block ×3, first 2 shown]
	v_cmp_eq_u32_e32 vcc, 1, v1
	s_and_saveexec_b64 s[0:1], vcc
	s_cbranch_execz .LBB1675_397
; %bb.396:
	v_sub_u32_e32 v1, v24, v19
	v_lshlrev_b32_e32 v1, 3, v1
	ds_write_b64 v1, v[4:5]
.LBB1675_397:
	s_or_b64 exec, exec, s[0:1]
	v_mov_b32_e32 v1, 1
	v_and_b32_sdwa v1, v1, v17 dst_sel:DWORD dst_unused:UNUSED_PAD src0_sel:DWORD src1_sel:WORD_1
	v_cmp_eq_u32_e32 vcc, 1, v1
	s_and_saveexec_b64 s[0:1], vcc
	s_cbranch_execz .LBB1675_399
; %bb.398:
	v_sub_u32_e32 v1, v22, v19
	v_lshlrev_b32_e32 v1, 3, v1
	ds_write_b64 v1, v[14:15]
.LBB1675_399:
	s_or_b64 exec, exec, s[0:1]
	v_cmp_lt_u32_e32 vcc, v0, v18
	s_waitcnt lgkmcnt(0)
	s_barrier
	s_and_saveexec_b64 s[0:1], vcc
	s_cbranch_execz .LBB1675_402
; %bb.400:
	v_mov_b32_e32 v5, 0
	v_mov_b32_e32 v4, v19
	s_lshl_b64 s[4:5], s[22:23], 3
	v_lshlrev_b64 v[6:7], 3, v[4:5]
	v_lshl_add_u64 v[6:7], s[4:5], 0, v[6:7]
	v_lshlrev_b32_e32 v2, 3, v0
	v_mov_b32_e32 v3, v5
	v_lshl_add_u64 v[4:5], s[2:3], 0, v[6:7]
	v_lshl_add_u64 v[4:5], v[4:5], 0, v[2:3]
	s_mov_b64 s[2:3], 0
	s_mov_b64 s[4:5], 0x1000
	v_mov_b32_e32 v1, v0
.LBB1675_401:                           ; =>This Inner Loop Header: Depth=1
	ds_read_b64 v[6:7], v2
	v_add_u32_e32 v1, 0x200, v1
	v_cmp_ge_u32_e32 vcc, v1, v18
	v_add_u32_e32 v2, 0x1000, v2
	s_or_b64 s[2:3], vcc, s[2:3]
	s_waitcnt lgkmcnt(0)
	global_store_dwordx2 v[4:5], v[6:7], off
	v_lshl_add_u64 v[4:5], v[4:5], 0, s[4:5]
	s_andn2_b64 exec, exec, s[2:3]
	s_cbranch_execnz .LBB1675_401
.LBB1675_402:
	s_or_b64 exec, exec, s[0:1]
	v_cmp_eq_u32_e32 vcc, 0, v0
	s_and_b64 s[0:1], vcc, s[24:25]
	s_and_saveexec_b64 s[2:3], s[0:1]
	s_cbranch_execz .LBB1675_362
.LBB1675_403:
	v_mov_b32_e32 v1, 0
	v_mov_b32_e32 v0, v18
	v_lshl_add_u64 v[2:3], s[22:23], 0, v[0:1]
	v_mov_b32_e32 v0, v19
	v_lshl_add_u64 v[2:3], v[2:3], 0, v[0:1]
	global_store_dwordx2 v1, v[2:3], s[20:21]
	s_endpgm
	.section	.rodata,"a",@progbits
	.p2align	6, 0x0
	.amdhsa_kernel _ZN7rocprim17ROCPRIM_400000_NS6detail17trampoline_kernelINS0_14default_configENS1_25partition_config_selectorILNS1_17partition_subalgoE8ElNS0_10empty_typeEbEEZZNS1_14partition_implILS5_8ELb0ES3_jPlPS6_PKS6_NS0_5tupleIJS9_S6_EEENSD_IJSA_SA_EEENS0_18inequality_wrapperIZN2at6native12_GLOBAL__N_124unique_dim_cuda_templateImEESt5tupleIJNSH_6TensorESM_SM_EERKSM_lbbbEUlllE0_EEPmJS6_EEE10hipError_tPvRmT3_T4_T5_T6_T7_T9_mT8_P12ihipStream_tbDpT10_ENKUlT_T0_E_clISt17integral_constantIbLb0EES1C_EEDaS17_S18_EUlS17_E_NS1_11comp_targetILNS1_3genE5ELNS1_11target_archE942ELNS1_3gpuE9ELNS1_3repE0EEENS1_30default_config_static_selectorELNS0_4arch9wavefront6targetE1EEEvT1_
		.amdhsa_group_segment_fixed_size 28684
		.amdhsa_private_segment_fixed_size 0
		.amdhsa_kernarg_size 120
		.amdhsa_user_sgpr_count 2
		.amdhsa_user_sgpr_dispatch_ptr 0
		.amdhsa_user_sgpr_queue_ptr 0
		.amdhsa_user_sgpr_kernarg_segment_ptr 1
		.amdhsa_user_sgpr_dispatch_id 0
		.amdhsa_user_sgpr_kernarg_preload_length 0
		.amdhsa_user_sgpr_kernarg_preload_offset 0
		.amdhsa_user_sgpr_private_segment_size 0
		.amdhsa_uses_dynamic_stack 0
		.amdhsa_enable_private_segment 0
		.amdhsa_system_sgpr_workgroup_id_x 1
		.amdhsa_system_sgpr_workgroup_id_y 0
		.amdhsa_system_sgpr_workgroup_id_z 0
		.amdhsa_system_sgpr_workgroup_info 0
		.amdhsa_system_vgpr_workitem_id 0
		.amdhsa_next_free_vgpr 52
		.amdhsa_next_free_sgpr 52
		.amdhsa_accum_offset 52
		.amdhsa_reserve_vcc 1
		.amdhsa_float_round_mode_32 0
		.amdhsa_float_round_mode_16_64 0
		.amdhsa_float_denorm_mode_32 3
		.amdhsa_float_denorm_mode_16_64 3
		.amdhsa_dx10_clamp 1
		.amdhsa_ieee_mode 1
		.amdhsa_fp16_overflow 0
		.amdhsa_tg_split 0
		.amdhsa_exception_fp_ieee_invalid_op 0
		.amdhsa_exception_fp_denorm_src 0
		.amdhsa_exception_fp_ieee_div_zero 0
		.amdhsa_exception_fp_ieee_overflow 0
		.amdhsa_exception_fp_ieee_underflow 0
		.amdhsa_exception_fp_ieee_inexact 0
		.amdhsa_exception_int_div_zero 0
	.end_amdhsa_kernel
	.section	.text._ZN7rocprim17ROCPRIM_400000_NS6detail17trampoline_kernelINS0_14default_configENS1_25partition_config_selectorILNS1_17partition_subalgoE8ElNS0_10empty_typeEbEEZZNS1_14partition_implILS5_8ELb0ES3_jPlPS6_PKS6_NS0_5tupleIJS9_S6_EEENSD_IJSA_SA_EEENS0_18inequality_wrapperIZN2at6native12_GLOBAL__N_124unique_dim_cuda_templateImEESt5tupleIJNSH_6TensorESM_SM_EERKSM_lbbbEUlllE0_EEPmJS6_EEE10hipError_tPvRmT3_T4_T5_T6_T7_T9_mT8_P12ihipStream_tbDpT10_ENKUlT_T0_E_clISt17integral_constantIbLb0EES1C_EEDaS17_S18_EUlS17_E_NS1_11comp_targetILNS1_3genE5ELNS1_11target_archE942ELNS1_3gpuE9ELNS1_3repE0EEENS1_30default_config_static_selectorELNS0_4arch9wavefront6targetE1EEEvT1_,"axG",@progbits,_ZN7rocprim17ROCPRIM_400000_NS6detail17trampoline_kernelINS0_14default_configENS1_25partition_config_selectorILNS1_17partition_subalgoE8ElNS0_10empty_typeEbEEZZNS1_14partition_implILS5_8ELb0ES3_jPlPS6_PKS6_NS0_5tupleIJS9_S6_EEENSD_IJSA_SA_EEENS0_18inequality_wrapperIZN2at6native12_GLOBAL__N_124unique_dim_cuda_templateImEESt5tupleIJNSH_6TensorESM_SM_EERKSM_lbbbEUlllE0_EEPmJS6_EEE10hipError_tPvRmT3_T4_T5_T6_T7_T9_mT8_P12ihipStream_tbDpT10_ENKUlT_T0_E_clISt17integral_constantIbLb0EES1C_EEDaS17_S18_EUlS17_E_NS1_11comp_targetILNS1_3genE5ELNS1_11target_archE942ELNS1_3gpuE9ELNS1_3repE0EEENS1_30default_config_static_selectorELNS0_4arch9wavefront6targetE1EEEvT1_,comdat
.Lfunc_end1675:
	.size	_ZN7rocprim17ROCPRIM_400000_NS6detail17trampoline_kernelINS0_14default_configENS1_25partition_config_selectorILNS1_17partition_subalgoE8ElNS0_10empty_typeEbEEZZNS1_14partition_implILS5_8ELb0ES3_jPlPS6_PKS6_NS0_5tupleIJS9_S6_EEENSD_IJSA_SA_EEENS0_18inequality_wrapperIZN2at6native12_GLOBAL__N_124unique_dim_cuda_templateImEESt5tupleIJNSH_6TensorESM_SM_EERKSM_lbbbEUlllE0_EEPmJS6_EEE10hipError_tPvRmT3_T4_T5_T6_T7_T9_mT8_P12ihipStream_tbDpT10_ENKUlT_T0_E_clISt17integral_constantIbLb0EES1C_EEDaS17_S18_EUlS17_E_NS1_11comp_targetILNS1_3genE5ELNS1_11target_archE942ELNS1_3gpuE9ELNS1_3repE0EEENS1_30default_config_static_selectorELNS0_4arch9wavefront6targetE1EEEvT1_, .Lfunc_end1675-_ZN7rocprim17ROCPRIM_400000_NS6detail17trampoline_kernelINS0_14default_configENS1_25partition_config_selectorILNS1_17partition_subalgoE8ElNS0_10empty_typeEbEEZZNS1_14partition_implILS5_8ELb0ES3_jPlPS6_PKS6_NS0_5tupleIJS9_S6_EEENSD_IJSA_SA_EEENS0_18inequality_wrapperIZN2at6native12_GLOBAL__N_124unique_dim_cuda_templateImEESt5tupleIJNSH_6TensorESM_SM_EERKSM_lbbbEUlllE0_EEPmJS6_EEE10hipError_tPvRmT3_T4_T5_T6_T7_T9_mT8_P12ihipStream_tbDpT10_ENKUlT_T0_E_clISt17integral_constantIbLb0EES1C_EEDaS17_S18_EUlS17_E_NS1_11comp_targetILNS1_3genE5ELNS1_11target_archE942ELNS1_3gpuE9ELNS1_3repE0EEENS1_30default_config_static_selectorELNS0_4arch9wavefront6targetE1EEEvT1_
                                        ; -- End function
	.section	.AMDGPU.csdata,"",@progbits
; Kernel info:
; codeLenInByte = 12836
; NumSgprs: 58
; NumVgprs: 52
; NumAgprs: 0
; TotalNumVgprs: 52
; ScratchSize: 0
; MemoryBound: 1
; FloatMode: 240
; IeeeMode: 1
; LDSByteSize: 28684 bytes/workgroup (compile time only)
; SGPRBlocks: 7
; VGPRBlocks: 6
; NumSGPRsForWavesPerEU: 58
; NumVGPRsForWavesPerEU: 52
; AccumOffset: 52
; Occupancy: 4
; WaveLimiterHint : 1
; COMPUTE_PGM_RSRC2:SCRATCH_EN: 0
; COMPUTE_PGM_RSRC2:USER_SGPR: 2
; COMPUTE_PGM_RSRC2:TRAP_HANDLER: 0
; COMPUTE_PGM_RSRC2:TGID_X_EN: 1
; COMPUTE_PGM_RSRC2:TGID_Y_EN: 0
; COMPUTE_PGM_RSRC2:TGID_Z_EN: 0
; COMPUTE_PGM_RSRC2:TIDIG_COMP_CNT: 0
; COMPUTE_PGM_RSRC3_GFX90A:ACCUM_OFFSET: 12
; COMPUTE_PGM_RSRC3_GFX90A:TG_SPLIT: 0
	.section	.text._ZN7rocprim17ROCPRIM_400000_NS6detail17trampoline_kernelINS0_14default_configENS1_25partition_config_selectorILNS1_17partition_subalgoE8ElNS0_10empty_typeEbEEZZNS1_14partition_implILS5_8ELb0ES3_jPlPS6_PKS6_NS0_5tupleIJS9_S6_EEENSD_IJSA_SA_EEENS0_18inequality_wrapperIZN2at6native12_GLOBAL__N_124unique_dim_cuda_templateImEESt5tupleIJNSH_6TensorESM_SM_EERKSM_lbbbEUlllE0_EEPmJS6_EEE10hipError_tPvRmT3_T4_T5_T6_T7_T9_mT8_P12ihipStream_tbDpT10_ENKUlT_T0_E_clISt17integral_constantIbLb0EES1C_EEDaS17_S18_EUlS17_E_NS1_11comp_targetILNS1_3genE4ELNS1_11target_archE910ELNS1_3gpuE8ELNS1_3repE0EEENS1_30default_config_static_selectorELNS0_4arch9wavefront6targetE1EEEvT1_,"axG",@progbits,_ZN7rocprim17ROCPRIM_400000_NS6detail17trampoline_kernelINS0_14default_configENS1_25partition_config_selectorILNS1_17partition_subalgoE8ElNS0_10empty_typeEbEEZZNS1_14partition_implILS5_8ELb0ES3_jPlPS6_PKS6_NS0_5tupleIJS9_S6_EEENSD_IJSA_SA_EEENS0_18inequality_wrapperIZN2at6native12_GLOBAL__N_124unique_dim_cuda_templateImEESt5tupleIJNSH_6TensorESM_SM_EERKSM_lbbbEUlllE0_EEPmJS6_EEE10hipError_tPvRmT3_T4_T5_T6_T7_T9_mT8_P12ihipStream_tbDpT10_ENKUlT_T0_E_clISt17integral_constantIbLb0EES1C_EEDaS17_S18_EUlS17_E_NS1_11comp_targetILNS1_3genE4ELNS1_11target_archE910ELNS1_3gpuE8ELNS1_3repE0EEENS1_30default_config_static_selectorELNS0_4arch9wavefront6targetE1EEEvT1_,comdat
	.globl	_ZN7rocprim17ROCPRIM_400000_NS6detail17trampoline_kernelINS0_14default_configENS1_25partition_config_selectorILNS1_17partition_subalgoE8ElNS0_10empty_typeEbEEZZNS1_14partition_implILS5_8ELb0ES3_jPlPS6_PKS6_NS0_5tupleIJS9_S6_EEENSD_IJSA_SA_EEENS0_18inequality_wrapperIZN2at6native12_GLOBAL__N_124unique_dim_cuda_templateImEESt5tupleIJNSH_6TensorESM_SM_EERKSM_lbbbEUlllE0_EEPmJS6_EEE10hipError_tPvRmT3_T4_T5_T6_T7_T9_mT8_P12ihipStream_tbDpT10_ENKUlT_T0_E_clISt17integral_constantIbLb0EES1C_EEDaS17_S18_EUlS17_E_NS1_11comp_targetILNS1_3genE4ELNS1_11target_archE910ELNS1_3gpuE8ELNS1_3repE0EEENS1_30default_config_static_selectorELNS0_4arch9wavefront6targetE1EEEvT1_ ; -- Begin function _ZN7rocprim17ROCPRIM_400000_NS6detail17trampoline_kernelINS0_14default_configENS1_25partition_config_selectorILNS1_17partition_subalgoE8ElNS0_10empty_typeEbEEZZNS1_14partition_implILS5_8ELb0ES3_jPlPS6_PKS6_NS0_5tupleIJS9_S6_EEENSD_IJSA_SA_EEENS0_18inequality_wrapperIZN2at6native12_GLOBAL__N_124unique_dim_cuda_templateImEESt5tupleIJNSH_6TensorESM_SM_EERKSM_lbbbEUlllE0_EEPmJS6_EEE10hipError_tPvRmT3_T4_T5_T6_T7_T9_mT8_P12ihipStream_tbDpT10_ENKUlT_T0_E_clISt17integral_constantIbLb0EES1C_EEDaS17_S18_EUlS17_E_NS1_11comp_targetILNS1_3genE4ELNS1_11target_archE910ELNS1_3gpuE8ELNS1_3repE0EEENS1_30default_config_static_selectorELNS0_4arch9wavefront6targetE1EEEvT1_
	.p2align	8
	.type	_ZN7rocprim17ROCPRIM_400000_NS6detail17trampoline_kernelINS0_14default_configENS1_25partition_config_selectorILNS1_17partition_subalgoE8ElNS0_10empty_typeEbEEZZNS1_14partition_implILS5_8ELb0ES3_jPlPS6_PKS6_NS0_5tupleIJS9_S6_EEENSD_IJSA_SA_EEENS0_18inequality_wrapperIZN2at6native12_GLOBAL__N_124unique_dim_cuda_templateImEESt5tupleIJNSH_6TensorESM_SM_EERKSM_lbbbEUlllE0_EEPmJS6_EEE10hipError_tPvRmT3_T4_T5_T6_T7_T9_mT8_P12ihipStream_tbDpT10_ENKUlT_T0_E_clISt17integral_constantIbLb0EES1C_EEDaS17_S18_EUlS17_E_NS1_11comp_targetILNS1_3genE4ELNS1_11target_archE910ELNS1_3gpuE8ELNS1_3repE0EEENS1_30default_config_static_selectorELNS0_4arch9wavefront6targetE1EEEvT1_,@function
_ZN7rocprim17ROCPRIM_400000_NS6detail17trampoline_kernelINS0_14default_configENS1_25partition_config_selectorILNS1_17partition_subalgoE8ElNS0_10empty_typeEbEEZZNS1_14partition_implILS5_8ELb0ES3_jPlPS6_PKS6_NS0_5tupleIJS9_S6_EEENSD_IJSA_SA_EEENS0_18inequality_wrapperIZN2at6native12_GLOBAL__N_124unique_dim_cuda_templateImEESt5tupleIJNSH_6TensorESM_SM_EERKSM_lbbbEUlllE0_EEPmJS6_EEE10hipError_tPvRmT3_T4_T5_T6_T7_T9_mT8_P12ihipStream_tbDpT10_ENKUlT_T0_E_clISt17integral_constantIbLb0EES1C_EEDaS17_S18_EUlS17_E_NS1_11comp_targetILNS1_3genE4ELNS1_11target_archE910ELNS1_3gpuE8ELNS1_3repE0EEENS1_30default_config_static_selectorELNS0_4arch9wavefront6targetE1EEEvT1_: ; @_ZN7rocprim17ROCPRIM_400000_NS6detail17trampoline_kernelINS0_14default_configENS1_25partition_config_selectorILNS1_17partition_subalgoE8ElNS0_10empty_typeEbEEZZNS1_14partition_implILS5_8ELb0ES3_jPlPS6_PKS6_NS0_5tupleIJS9_S6_EEENSD_IJSA_SA_EEENS0_18inequality_wrapperIZN2at6native12_GLOBAL__N_124unique_dim_cuda_templateImEESt5tupleIJNSH_6TensorESM_SM_EERKSM_lbbbEUlllE0_EEPmJS6_EEE10hipError_tPvRmT3_T4_T5_T6_T7_T9_mT8_P12ihipStream_tbDpT10_ENKUlT_T0_E_clISt17integral_constantIbLb0EES1C_EEDaS17_S18_EUlS17_E_NS1_11comp_targetILNS1_3genE4ELNS1_11target_archE910ELNS1_3gpuE8ELNS1_3repE0EEENS1_30default_config_static_selectorELNS0_4arch9wavefront6targetE1EEEvT1_
; %bb.0:
	.section	.rodata,"a",@progbits
	.p2align	6, 0x0
	.amdhsa_kernel _ZN7rocprim17ROCPRIM_400000_NS6detail17trampoline_kernelINS0_14default_configENS1_25partition_config_selectorILNS1_17partition_subalgoE8ElNS0_10empty_typeEbEEZZNS1_14partition_implILS5_8ELb0ES3_jPlPS6_PKS6_NS0_5tupleIJS9_S6_EEENSD_IJSA_SA_EEENS0_18inequality_wrapperIZN2at6native12_GLOBAL__N_124unique_dim_cuda_templateImEESt5tupleIJNSH_6TensorESM_SM_EERKSM_lbbbEUlllE0_EEPmJS6_EEE10hipError_tPvRmT3_T4_T5_T6_T7_T9_mT8_P12ihipStream_tbDpT10_ENKUlT_T0_E_clISt17integral_constantIbLb0EES1C_EEDaS17_S18_EUlS17_E_NS1_11comp_targetILNS1_3genE4ELNS1_11target_archE910ELNS1_3gpuE8ELNS1_3repE0EEENS1_30default_config_static_selectorELNS0_4arch9wavefront6targetE1EEEvT1_
		.amdhsa_group_segment_fixed_size 0
		.amdhsa_private_segment_fixed_size 0
		.amdhsa_kernarg_size 120
		.amdhsa_user_sgpr_count 2
		.amdhsa_user_sgpr_dispatch_ptr 0
		.amdhsa_user_sgpr_queue_ptr 0
		.amdhsa_user_sgpr_kernarg_segment_ptr 1
		.amdhsa_user_sgpr_dispatch_id 0
		.amdhsa_user_sgpr_kernarg_preload_length 0
		.amdhsa_user_sgpr_kernarg_preload_offset 0
		.amdhsa_user_sgpr_private_segment_size 0
		.amdhsa_uses_dynamic_stack 0
		.amdhsa_enable_private_segment 0
		.amdhsa_system_sgpr_workgroup_id_x 1
		.amdhsa_system_sgpr_workgroup_id_y 0
		.amdhsa_system_sgpr_workgroup_id_z 0
		.amdhsa_system_sgpr_workgroup_info 0
		.amdhsa_system_vgpr_workitem_id 0
		.amdhsa_next_free_vgpr 1
		.amdhsa_next_free_sgpr 0
		.amdhsa_accum_offset 4
		.amdhsa_reserve_vcc 0
		.amdhsa_float_round_mode_32 0
		.amdhsa_float_round_mode_16_64 0
		.amdhsa_float_denorm_mode_32 3
		.amdhsa_float_denorm_mode_16_64 3
		.amdhsa_dx10_clamp 1
		.amdhsa_ieee_mode 1
		.amdhsa_fp16_overflow 0
		.amdhsa_tg_split 0
		.amdhsa_exception_fp_ieee_invalid_op 0
		.amdhsa_exception_fp_denorm_src 0
		.amdhsa_exception_fp_ieee_div_zero 0
		.amdhsa_exception_fp_ieee_overflow 0
		.amdhsa_exception_fp_ieee_underflow 0
		.amdhsa_exception_fp_ieee_inexact 0
		.amdhsa_exception_int_div_zero 0
	.end_amdhsa_kernel
	.section	.text._ZN7rocprim17ROCPRIM_400000_NS6detail17trampoline_kernelINS0_14default_configENS1_25partition_config_selectorILNS1_17partition_subalgoE8ElNS0_10empty_typeEbEEZZNS1_14partition_implILS5_8ELb0ES3_jPlPS6_PKS6_NS0_5tupleIJS9_S6_EEENSD_IJSA_SA_EEENS0_18inequality_wrapperIZN2at6native12_GLOBAL__N_124unique_dim_cuda_templateImEESt5tupleIJNSH_6TensorESM_SM_EERKSM_lbbbEUlllE0_EEPmJS6_EEE10hipError_tPvRmT3_T4_T5_T6_T7_T9_mT8_P12ihipStream_tbDpT10_ENKUlT_T0_E_clISt17integral_constantIbLb0EES1C_EEDaS17_S18_EUlS17_E_NS1_11comp_targetILNS1_3genE4ELNS1_11target_archE910ELNS1_3gpuE8ELNS1_3repE0EEENS1_30default_config_static_selectorELNS0_4arch9wavefront6targetE1EEEvT1_,"axG",@progbits,_ZN7rocprim17ROCPRIM_400000_NS6detail17trampoline_kernelINS0_14default_configENS1_25partition_config_selectorILNS1_17partition_subalgoE8ElNS0_10empty_typeEbEEZZNS1_14partition_implILS5_8ELb0ES3_jPlPS6_PKS6_NS0_5tupleIJS9_S6_EEENSD_IJSA_SA_EEENS0_18inequality_wrapperIZN2at6native12_GLOBAL__N_124unique_dim_cuda_templateImEESt5tupleIJNSH_6TensorESM_SM_EERKSM_lbbbEUlllE0_EEPmJS6_EEE10hipError_tPvRmT3_T4_T5_T6_T7_T9_mT8_P12ihipStream_tbDpT10_ENKUlT_T0_E_clISt17integral_constantIbLb0EES1C_EEDaS17_S18_EUlS17_E_NS1_11comp_targetILNS1_3genE4ELNS1_11target_archE910ELNS1_3gpuE8ELNS1_3repE0EEENS1_30default_config_static_selectorELNS0_4arch9wavefront6targetE1EEEvT1_,comdat
.Lfunc_end1676:
	.size	_ZN7rocprim17ROCPRIM_400000_NS6detail17trampoline_kernelINS0_14default_configENS1_25partition_config_selectorILNS1_17partition_subalgoE8ElNS0_10empty_typeEbEEZZNS1_14partition_implILS5_8ELb0ES3_jPlPS6_PKS6_NS0_5tupleIJS9_S6_EEENSD_IJSA_SA_EEENS0_18inequality_wrapperIZN2at6native12_GLOBAL__N_124unique_dim_cuda_templateImEESt5tupleIJNSH_6TensorESM_SM_EERKSM_lbbbEUlllE0_EEPmJS6_EEE10hipError_tPvRmT3_T4_T5_T6_T7_T9_mT8_P12ihipStream_tbDpT10_ENKUlT_T0_E_clISt17integral_constantIbLb0EES1C_EEDaS17_S18_EUlS17_E_NS1_11comp_targetILNS1_3genE4ELNS1_11target_archE910ELNS1_3gpuE8ELNS1_3repE0EEENS1_30default_config_static_selectorELNS0_4arch9wavefront6targetE1EEEvT1_, .Lfunc_end1676-_ZN7rocprim17ROCPRIM_400000_NS6detail17trampoline_kernelINS0_14default_configENS1_25partition_config_selectorILNS1_17partition_subalgoE8ElNS0_10empty_typeEbEEZZNS1_14partition_implILS5_8ELb0ES3_jPlPS6_PKS6_NS0_5tupleIJS9_S6_EEENSD_IJSA_SA_EEENS0_18inequality_wrapperIZN2at6native12_GLOBAL__N_124unique_dim_cuda_templateImEESt5tupleIJNSH_6TensorESM_SM_EERKSM_lbbbEUlllE0_EEPmJS6_EEE10hipError_tPvRmT3_T4_T5_T6_T7_T9_mT8_P12ihipStream_tbDpT10_ENKUlT_T0_E_clISt17integral_constantIbLb0EES1C_EEDaS17_S18_EUlS17_E_NS1_11comp_targetILNS1_3genE4ELNS1_11target_archE910ELNS1_3gpuE8ELNS1_3repE0EEENS1_30default_config_static_selectorELNS0_4arch9wavefront6targetE1EEEvT1_
                                        ; -- End function
	.section	.AMDGPU.csdata,"",@progbits
; Kernel info:
; codeLenInByte = 0
; NumSgprs: 6
; NumVgprs: 0
; NumAgprs: 0
; TotalNumVgprs: 0
; ScratchSize: 0
; MemoryBound: 0
; FloatMode: 240
; IeeeMode: 1
; LDSByteSize: 0 bytes/workgroup (compile time only)
; SGPRBlocks: 0
; VGPRBlocks: 0
; NumSGPRsForWavesPerEU: 6
; NumVGPRsForWavesPerEU: 1
; AccumOffset: 4
; Occupancy: 8
; WaveLimiterHint : 0
; COMPUTE_PGM_RSRC2:SCRATCH_EN: 0
; COMPUTE_PGM_RSRC2:USER_SGPR: 2
; COMPUTE_PGM_RSRC2:TRAP_HANDLER: 0
; COMPUTE_PGM_RSRC2:TGID_X_EN: 1
; COMPUTE_PGM_RSRC2:TGID_Y_EN: 0
; COMPUTE_PGM_RSRC2:TGID_Z_EN: 0
; COMPUTE_PGM_RSRC2:TIDIG_COMP_CNT: 0
; COMPUTE_PGM_RSRC3_GFX90A:ACCUM_OFFSET: 0
; COMPUTE_PGM_RSRC3_GFX90A:TG_SPLIT: 0
	.section	.text._ZN7rocprim17ROCPRIM_400000_NS6detail17trampoline_kernelINS0_14default_configENS1_25partition_config_selectorILNS1_17partition_subalgoE8ElNS0_10empty_typeEbEEZZNS1_14partition_implILS5_8ELb0ES3_jPlPS6_PKS6_NS0_5tupleIJS9_S6_EEENSD_IJSA_SA_EEENS0_18inequality_wrapperIZN2at6native12_GLOBAL__N_124unique_dim_cuda_templateImEESt5tupleIJNSH_6TensorESM_SM_EERKSM_lbbbEUlllE0_EEPmJS6_EEE10hipError_tPvRmT3_T4_T5_T6_T7_T9_mT8_P12ihipStream_tbDpT10_ENKUlT_T0_E_clISt17integral_constantIbLb0EES1C_EEDaS17_S18_EUlS17_E_NS1_11comp_targetILNS1_3genE3ELNS1_11target_archE908ELNS1_3gpuE7ELNS1_3repE0EEENS1_30default_config_static_selectorELNS0_4arch9wavefront6targetE1EEEvT1_,"axG",@progbits,_ZN7rocprim17ROCPRIM_400000_NS6detail17trampoline_kernelINS0_14default_configENS1_25partition_config_selectorILNS1_17partition_subalgoE8ElNS0_10empty_typeEbEEZZNS1_14partition_implILS5_8ELb0ES3_jPlPS6_PKS6_NS0_5tupleIJS9_S6_EEENSD_IJSA_SA_EEENS0_18inequality_wrapperIZN2at6native12_GLOBAL__N_124unique_dim_cuda_templateImEESt5tupleIJNSH_6TensorESM_SM_EERKSM_lbbbEUlllE0_EEPmJS6_EEE10hipError_tPvRmT3_T4_T5_T6_T7_T9_mT8_P12ihipStream_tbDpT10_ENKUlT_T0_E_clISt17integral_constantIbLb0EES1C_EEDaS17_S18_EUlS17_E_NS1_11comp_targetILNS1_3genE3ELNS1_11target_archE908ELNS1_3gpuE7ELNS1_3repE0EEENS1_30default_config_static_selectorELNS0_4arch9wavefront6targetE1EEEvT1_,comdat
	.globl	_ZN7rocprim17ROCPRIM_400000_NS6detail17trampoline_kernelINS0_14default_configENS1_25partition_config_selectorILNS1_17partition_subalgoE8ElNS0_10empty_typeEbEEZZNS1_14partition_implILS5_8ELb0ES3_jPlPS6_PKS6_NS0_5tupleIJS9_S6_EEENSD_IJSA_SA_EEENS0_18inequality_wrapperIZN2at6native12_GLOBAL__N_124unique_dim_cuda_templateImEESt5tupleIJNSH_6TensorESM_SM_EERKSM_lbbbEUlllE0_EEPmJS6_EEE10hipError_tPvRmT3_T4_T5_T6_T7_T9_mT8_P12ihipStream_tbDpT10_ENKUlT_T0_E_clISt17integral_constantIbLb0EES1C_EEDaS17_S18_EUlS17_E_NS1_11comp_targetILNS1_3genE3ELNS1_11target_archE908ELNS1_3gpuE7ELNS1_3repE0EEENS1_30default_config_static_selectorELNS0_4arch9wavefront6targetE1EEEvT1_ ; -- Begin function _ZN7rocprim17ROCPRIM_400000_NS6detail17trampoline_kernelINS0_14default_configENS1_25partition_config_selectorILNS1_17partition_subalgoE8ElNS0_10empty_typeEbEEZZNS1_14partition_implILS5_8ELb0ES3_jPlPS6_PKS6_NS0_5tupleIJS9_S6_EEENSD_IJSA_SA_EEENS0_18inequality_wrapperIZN2at6native12_GLOBAL__N_124unique_dim_cuda_templateImEESt5tupleIJNSH_6TensorESM_SM_EERKSM_lbbbEUlllE0_EEPmJS6_EEE10hipError_tPvRmT3_T4_T5_T6_T7_T9_mT8_P12ihipStream_tbDpT10_ENKUlT_T0_E_clISt17integral_constantIbLb0EES1C_EEDaS17_S18_EUlS17_E_NS1_11comp_targetILNS1_3genE3ELNS1_11target_archE908ELNS1_3gpuE7ELNS1_3repE0EEENS1_30default_config_static_selectorELNS0_4arch9wavefront6targetE1EEEvT1_
	.p2align	8
	.type	_ZN7rocprim17ROCPRIM_400000_NS6detail17trampoline_kernelINS0_14default_configENS1_25partition_config_selectorILNS1_17partition_subalgoE8ElNS0_10empty_typeEbEEZZNS1_14partition_implILS5_8ELb0ES3_jPlPS6_PKS6_NS0_5tupleIJS9_S6_EEENSD_IJSA_SA_EEENS0_18inequality_wrapperIZN2at6native12_GLOBAL__N_124unique_dim_cuda_templateImEESt5tupleIJNSH_6TensorESM_SM_EERKSM_lbbbEUlllE0_EEPmJS6_EEE10hipError_tPvRmT3_T4_T5_T6_T7_T9_mT8_P12ihipStream_tbDpT10_ENKUlT_T0_E_clISt17integral_constantIbLb0EES1C_EEDaS17_S18_EUlS17_E_NS1_11comp_targetILNS1_3genE3ELNS1_11target_archE908ELNS1_3gpuE7ELNS1_3repE0EEENS1_30default_config_static_selectorELNS0_4arch9wavefront6targetE1EEEvT1_,@function
_ZN7rocprim17ROCPRIM_400000_NS6detail17trampoline_kernelINS0_14default_configENS1_25partition_config_selectorILNS1_17partition_subalgoE8ElNS0_10empty_typeEbEEZZNS1_14partition_implILS5_8ELb0ES3_jPlPS6_PKS6_NS0_5tupleIJS9_S6_EEENSD_IJSA_SA_EEENS0_18inequality_wrapperIZN2at6native12_GLOBAL__N_124unique_dim_cuda_templateImEESt5tupleIJNSH_6TensorESM_SM_EERKSM_lbbbEUlllE0_EEPmJS6_EEE10hipError_tPvRmT3_T4_T5_T6_T7_T9_mT8_P12ihipStream_tbDpT10_ENKUlT_T0_E_clISt17integral_constantIbLb0EES1C_EEDaS17_S18_EUlS17_E_NS1_11comp_targetILNS1_3genE3ELNS1_11target_archE908ELNS1_3gpuE7ELNS1_3repE0EEENS1_30default_config_static_selectorELNS0_4arch9wavefront6targetE1EEEvT1_: ; @_ZN7rocprim17ROCPRIM_400000_NS6detail17trampoline_kernelINS0_14default_configENS1_25partition_config_selectorILNS1_17partition_subalgoE8ElNS0_10empty_typeEbEEZZNS1_14partition_implILS5_8ELb0ES3_jPlPS6_PKS6_NS0_5tupleIJS9_S6_EEENSD_IJSA_SA_EEENS0_18inequality_wrapperIZN2at6native12_GLOBAL__N_124unique_dim_cuda_templateImEESt5tupleIJNSH_6TensorESM_SM_EERKSM_lbbbEUlllE0_EEPmJS6_EEE10hipError_tPvRmT3_T4_T5_T6_T7_T9_mT8_P12ihipStream_tbDpT10_ENKUlT_T0_E_clISt17integral_constantIbLb0EES1C_EEDaS17_S18_EUlS17_E_NS1_11comp_targetILNS1_3genE3ELNS1_11target_archE908ELNS1_3gpuE7ELNS1_3repE0EEENS1_30default_config_static_selectorELNS0_4arch9wavefront6targetE1EEEvT1_
; %bb.0:
	.section	.rodata,"a",@progbits
	.p2align	6, 0x0
	.amdhsa_kernel _ZN7rocprim17ROCPRIM_400000_NS6detail17trampoline_kernelINS0_14default_configENS1_25partition_config_selectorILNS1_17partition_subalgoE8ElNS0_10empty_typeEbEEZZNS1_14partition_implILS5_8ELb0ES3_jPlPS6_PKS6_NS0_5tupleIJS9_S6_EEENSD_IJSA_SA_EEENS0_18inequality_wrapperIZN2at6native12_GLOBAL__N_124unique_dim_cuda_templateImEESt5tupleIJNSH_6TensorESM_SM_EERKSM_lbbbEUlllE0_EEPmJS6_EEE10hipError_tPvRmT3_T4_T5_T6_T7_T9_mT8_P12ihipStream_tbDpT10_ENKUlT_T0_E_clISt17integral_constantIbLb0EES1C_EEDaS17_S18_EUlS17_E_NS1_11comp_targetILNS1_3genE3ELNS1_11target_archE908ELNS1_3gpuE7ELNS1_3repE0EEENS1_30default_config_static_selectorELNS0_4arch9wavefront6targetE1EEEvT1_
		.amdhsa_group_segment_fixed_size 0
		.amdhsa_private_segment_fixed_size 0
		.amdhsa_kernarg_size 120
		.amdhsa_user_sgpr_count 2
		.amdhsa_user_sgpr_dispatch_ptr 0
		.amdhsa_user_sgpr_queue_ptr 0
		.amdhsa_user_sgpr_kernarg_segment_ptr 1
		.amdhsa_user_sgpr_dispatch_id 0
		.amdhsa_user_sgpr_kernarg_preload_length 0
		.amdhsa_user_sgpr_kernarg_preload_offset 0
		.amdhsa_user_sgpr_private_segment_size 0
		.amdhsa_uses_dynamic_stack 0
		.amdhsa_enable_private_segment 0
		.amdhsa_system_sgpr_workgroup_id_x 1
		.amdhsa_system_sgpr_workgroup_id_y 0
		.amdhsa_system_sgpr_workgroup_id_z 0
		.amdhsa_system_sgpr_workgroup_info 0
		.amdhsa_system_vgpr_workitem_id 0
		.amdhsa_next_free_vgpr 1
		.amdhsa_next_free_sgpr 0
		.amdhsa_accum_offset 4
		.amdhsa_reserve_vcc 0
		.amdhsa_float_round_mode_32 0
		.amdhsa_float_round_mode_16_64 0
		.amdhsa_float_denorm_mode_32 3
		.amdhsa_float_denorm_mode_16_64 3
		.amdhsa_dx10_clamp 1
		.amdhsa_ieee_mode 1
		.amdhsa_fp16_overflow 0
		.amdhsa_tg_split 0
		.amdhsa_exception_fp_ieee_invalid_op 0
		.amdhsa_exception_fp_denorm_src 0
		.amdhsa_exception_fp_ieee_div_zero 0
		.amdhsa_exception_fp_ieee_overflow 0
		.amdhsa_exception_fp_ieee_underflow 0
		.amdhsa_exception_fp_ieee_inexact 0
		.amdhsa_exception_int_div_zero 0
	.end_amdhsa_kernel
	.section	.text._ZN7rocprim17ROCPRIM_400000_NS6detail17trampoline_kernelINS0_14default_configENS1_25partition_config_selectorILNS1_17partition_subalgoE8ElNS0_10empty_typeEbEEZZNS1_14partition_implILS5_8ELb0ES3_jPlPS6_PKS6_NS0_5tupleIJS9_S6_EEENSD_IJSA_SA_EEENS0_18inequality_wrapperIZN2at6native12_GLOBAL__N_124unique_dim_cuda_templateImEESt5tupleIJNSH_6TensorESM_SM_EERKSM_lbbbEUlllE0_EEPmJS6_EEE10hipError_tPvRmT3_T4_T5_T6_T7_T9_mT8_P12ihipStream_tbDpT10_ENKUlT_T0_E_clISt17integral_constantIbLb0EES1C_EEDaS17_S18_EUlS17_E_NS1_11comp_targetILNS1_3genE3ELNS1_11target_archE908ELNS1_3gpuE7ELNS1_3repE0EEENS1_30default_config_static_selectorELNS0_4arch9wavefront6targetE1EEEvT1_,"axG",@progbits,_ZN7rocprim17ROCPRIM_400000_NS6detail17trampoline_kernelINS0_14default_configENS1_25partition_config_selectorILNS1_17partition_subalgoE8ElNS0_10empty_typeEbEEZZNS1_14partition_implILS5_8ELb0ES3_jPlPS6_PKS6_NS0_5tupleIJS9_S6_EEENSD_IJSA_SA_EEENS0_18inequality_wrapperIZN2at6native12_GLOBAL__N_124unique_dim_cuda_templateImEESt5tupleIJNSH_6TensorESM_SM_EERKSM_lbbbEUlllE0_EEPmJS6_EEE10hipError_tPvRmT3_T4_T5_T6_T7_T9_mT8_P12ihipStream_tbDpT10_ENKUlT_T0_E_clISt17integral_constantIbLb0EES1C_EEDaS17_S18_EUlS17_E_NS1_11comp_targetILNS1_3genE3ELNS1_11target_archE908ELNS1_3gpuE7ELNS1_3repE0EEENS1_30default_config_static_selectorELNS0_4arch9wavefront6targetE1EEEvT1_,comdat
.Lfunc_end1677:
	.size	_ZN7rocprim17ROCPRIM_400000_NS6detail17trampoline_kernelINS0_14default_configENS1_25partition_config_selectorILNS1_17partition_subalgoE8ElNS0_10empty_typeEbEEZZNS1_14partition_implILS5_8ELb0ES3_jPlPS6_PKS6_NS0_5tupleIJS9_S6_EEENSD_IJSA_SA_EEENS0_18inequality_wrapperIZN2at6native12_GLOBAL__N_124unique_dim_cuda_templateImEESt5tupleIJNSH_6TensorESM_SM_EERKSM_lbbbEUlllE0_EEPmJS6_EEE10hipError_tPvRmT3_T4_T5_T6_T7_T9_mT8_P12ihipStream_tbDpT10_ENKUlT_T0_E_clISt17integral_constantIbLb0EES1C_EEDaS17_S18_EUlS17_E_NS1_11comp_targetILNS1_3genE3ELNS1_11target_archE908ELNS1_3gpuE7ELNS1_3repE0EEENS1_30default_config_static_selectorELNS0_4arch9wavefront6targetE1EEEvT1_, .Lfunc_end1677-_ZN7rocprim17ROCPRIM_400000_NS6detail17trampoline_kernelINS0_14default_configENS1_25partition_config_selectorILNS1_17partition_subalgoE8ElNS0_10empty_typeEbEEZZNS1_14partition_implILS5_8ELb0ES3_jPlPS6_PKS6_NS0_5tupleIJS9_S6_EEENSD_IJSA_SA_EEENS0_18inequality_wrapperIZN2at6native12_GLOBAL__N_124unique_dim_cuda_templateImEESt5tupleIJNSH_6TensorESM_SM_EERKSM_lbbbEUlllE0_EEPmJS6_EEE10hipError_tPvRmT3_T4_T5_T6_T7_T9_mT8_P12ihipStream_tbDpT10_ENKUlT_T0_E_clISt17integral_constantIbLb0EES1C_EEDaS17_S18_EUlS17_E_NS1_11comp_targetILNS1_3genE3ELNS1_11target_archE908ELNS1_3gpuE7ELNS1_3repE0EEENS1_30default_config_static_selectorELNS0_4arch9wavefront6targetE1EEEvT1_
                                        ; -- End function
	.section	.AMDGPU.csdata,"",@progbits
; Kernel info:
; codeLenInByte = 0
; NumSgprs: 6
; NumVgprs: 0
; NumAgprs: 0
; TotalNumVgprs: 0
; ScratchSize: 0
; MemoryBound: 0
; FloatMode: 240
; IeeeMode: 1
; LDSByteSize: 0 bytes/workgroup (compile time only)
; SGPRBlocks: 0
; VGPRBlocks: 0
; NumSGPRsForWavesPerEU: 6
; NumVGPRsForWavesPerEU: 1
; AccumOffset: 4
; Occupancy: 8
; WaveLimiterHint : 0
; COMPUTE_PGM_RSRC2:SCRATCH_EN: 0
; COMPUTE_PGM_RSRC2:USER_SGPR: 2
; COMPUTE_PGM_RSRC2:TRAP_HANDLER: 0
; COMPUTE_PGM_RSRC2:TGID_X_EN: 1
; COMPUTE_PGM_RSRC2:TGID_Y_EN: 0
; COMPUTE_PGM_RSRC2:TGID_Z_EN: 0
; COMPUTE_PGM_RSRC2:TIDIG_COMP_CNT: 0
; COMPUTE_PGM_RSRC3_GFX90A:ACCUM_OFFSET: 0
; COMPUTE_PGM_RSRC3_GFX90A:TG_SPLIT: 0
	.section	.text._ZN7rocprim17ROCPRIM_400000_NS6detail17trampoline_kernelINS0_14default_configENS1_25partition_config_selectorILNS1_17partition_subalgoE8ElNS0_10empty_typeEbEEZZNS1_14partition_implILS5_8ELb0ES3_jPlPS6_PKS6_NS0_5tupleIJS9_S6_EEENSD_IJSA_SA_EEENS0_18inequality_wrapperIZN2at6native12_GLOBAL__N_124unique_dim_cuda_templateImEESt5tupleIJNSH_6TensorESM_SM_EERKSM_lbbbEUlllE0_EEPmJS6_EEE10hipError_tPvRmT3_T4_T5_T6_T7_T9_mT8_P12ihipStream_tbDpT10_ENKUlT_T0_E_clISt17integral_constantIbLb0EES1C_EEDaS17_S18_EUlS17_E_NS1_11comp_targetILNS1_3genE2ELNS1_11target_archE906ELNS1_3gpuE6ELNS1_3repE0EEENS1_30default_config_static_selectorELNS0_4arch9wavefront6targetE1EEEvT1_,"axG",@progbits,_ZN7rocprim17ROCPRIM_400000_NS6detail17trampoline_kernelINS0_14default_configENS1_25partition_config_selectorILNS1_17partition_subalgoE8ElNS0_10empty_typeEbEEZZNS1_14partition_implILS5_8ELb0ES3_jPlPS6_PKS6_NS0_5tupleIJS9_S6_EEENSD_IJSA_SA_EEENS0_18inequality_wrapperIZN2at6native12_GLOBAL__N_124unique_dim_cuda_templateImEESt5tupleIJNSH_6TensorESM_SM_EERKSM_lbbbEUlllE0_EEPmJS6_EEE10hipError_tPvRmT3_T4_T5_T6_T7_T9_mT8_P12ihipStream_tbDpT10_ENKUlT_T0_E_clISt17integral_constantIbLb0EES1C_EEDaS17_S18_EUlS17_E_NS1_11comp_targetILNS1_3genE2ELNS1_11target_archE906ELNS1_3gpuE6ELNS1_3repE0EEENS1_30default_config_static_selectorELNS0_4arch9wavefront6targetE1EEEvT1_,comdat
	.globl	_ZN7rocprim17ROCPRIM_400000_NS6detail17trampoline_kernelINS0_14default_configENS1_25partition_config_selectorILNS1_17partition_subalgoE8ElNS0_10empty_typeEbEEZZNS1_14partition_implILS5_8ELb0ES3_jPlPS6_PKS6_NS0_5tupleIJS9_S6_EEENSD_IJSA_SA_EEENS0_18inequality_wrapperIZN2at6native12_GLOBAL__N_124unique_dim_cuda_templateImEESt5tupleIJNSH_6TensorESM_SM_EERKSM_lbbbEUlllE0_EEPmJS6_EEE10hipError_tPvRmT3_T4_T5_T6_T7_T9_mT8_P12ihipStream_tbDpT10_ENKUlT_T0_E_clISt17integral_constantIbLb0EES1C_EEDaS17_S18_EUlS17_E_NS1_11comp_targetILNS1_3genE2ELNS1_11target_archE906ELNS1_3gpuE6ELNS1_3repE0EEENS1_30default_config_static_selectorELNS0_4arch9wavefront6targetE1EEEvT1_ ; -- Begin function _ZN7rocprim17ROCPRIM_400000_NS6detail17trampoline_kernelINS0_14default_configENS1_25partition_config_selectorILNS1_17partition_subalgoE8ElNS0_10empty_typeEbEEZZNS1_14partition_implILS5_8ELb0ES3_jPlPS6_PKS6_NS0_5tupleIJS9_S6_EEENSD_IJSA_SA_EEENS0_18inequality_wrapperIZN2at6native12_GLOBAL__N_124unique_dim_cuda_templateImEESt5tupleIJNSH_6TensorESM_SM_EERKSM_lbbbEUlllE0_EEPmJS6_EEE10hipError_tPvRmT3_T4_T5_T6_T7_T9_mT8_P12ihipStream_tbDpT10_ENKUlT_T0_E_clISt17integral_constantIbLb0EES1C_EEDaS17_S18_EUlS17_E_NS1_11comp_targetILNS1_3genE2ELNS1_11target_archE906ELNS1_3gpuE6ELNS1_3repE0EEENS1_30default_config_static_selectorELNS0_4arch9wavefront6targetE1EEEvT1_
	.p2align	8
	.type	_ZN7rocprim17ROCPRIM_400000_NS6detail17trampoline_kernelINS0_14default_configENS1_25partition_config_selectorILNS1_17partition_subalgoE8ElNS0_10empty_typeEbEEZZNS1_14partition_implILS5_8ELb0ES3_jPlPS6_PKS6_NS0_5tupleIJS9_S6_EEENSD_IJSA_SA_EEENS0_18inequality_wrapperIZN2at6native12_GLOBAL__N_124unique_dim_cuda_templateImEESt5tupleIJNSH_6TensorESM_SM_EERKSM_lbbbEUlllE0_EEPmJS6_EEE10hipError_tPvRmT3_T4_T5_T6_T7_T9_mT8_P12ihipStream_tbDpT10_ENKUlT_T0_E_clISt17integral_constantIbLb0EES1C_EEDaS17_S18_EUlS17_E_NS1_11comp_targetILNS1_3genE2ELNS1_11target_archE906ELNS1_3gpuE6ELNS1_3repE0EEENS1_30default_config_static_selectorELNS0_4arch9wavefront6targetE1EEEvT1_,@function
_ZN7rocprim17ROCPRIM_400000_NS6detail17trampoline_kernelINS0_14default_configENS1_25partition_config_selectorILNS1_17partition_subalgoE8ElNS0_10empty_typeEbEEZZNS1_14partition_implILS5_8ELb0ES3_jPlPS6_PKS6_NS0_5tupleIJS9_S6_EEENSD_IJSA_SA_EEENS0_18inequality_wrapperIZN2at6native12_GLOBAL__N_124unique_dim_cuda_templateImEESt5tupleIJNSH_6TensorESM_SM_EERKSM_lbbbEUlllE0_EEPmJS6_EEE10hipError_tPvRmT3_T4_T5_T6_T7_T9_mT8_P12ihipStream_tbDpT10_ENKUlT_T0_E_clISt17integral_constantIbLb0EES1C_EEDaS17_S18_EUlS17_E_NS1_11comp_targetILNS1_3genE2ELNS1_11target_archE906ELNS1_3gpuE6ELNS1_3repE0EEENS1_30default_config_static_selectorELNS0_4arch9wavefront6targetE1EEEvT1_: ; @_ZN7rocprim17ROCPRIM_400000_NS6detail17trampoline_kernelINS0_14default_configENS1_25partition_config_selectorILNS1_17partition_subalgoE8ElNS0_10empty_typeEbEEZZNS1_14partition_implILS5_8ELb0ES3_jPlPS6_PKS6_NS0_5tupleIJS9_S6_EEENSD_IJSA_SA_EEENS0_18inequality_wrapperIZN2at6native12_GLOBAL__N_124unique_dim_cuda_templateImEESt5tupleIJNSH_6TensorESM_SM_EERKSM_lbbbEUlllE0_EEPmJS6_EEE10hipError_tPvRmT3_T4_T5_T6_T7_T9_mT8_P12ihipStream_tbDpT10_ENKUlT_T0_E_clISt17integral_constantIbLb0EES1C_EEDaS17_S18_EUlS17_E_NS1_11comp_targetILNS1_3genE2ELNS1_11target_archE906ELNS1_3gpuE6ELNS1_3repE0EEENS1_30default_config_static_selectorELNS0_4arch9wavefront6targetE1EEEvT1_
; %bb.0:
	.section	.rodata,"a",@progbits
	.p2align	6, 0x0
	.amdhsa_kernel _ZN7rocprim17ROCPRIM_400000_NS6detail17trampoline_kernelINS0_14default_configENS1_25partition_config_selectorILNS1_17partition_subalgoE8ElNS0_10empty_typeEbEEZZNS1_14partition_implILS5_8ELb0ES3_jPlPS6_PKS6_NS0_5tupleIJS9_S6_EEENSD_IJSA_SA_EEENS0_18inequality_wrapperIZN2at6native12_GLOBAL__N_124unique_dim_cuda_templateImEESt5tupleIJNSH_6TensorESM_SM_EERKSM_lbbbEUlllE0_EEPmJS6_EEE10hipError_tPvRmT3_T4_T5_T6_T7_T9_mT8_P12ihipStream_tbDpT10_ENKUlT_T0_E_clISt17integral_constantIbLb0EES1C_EEDaS17_S18_EUlS17_E_NS1_11comp_targetILNS1_3genE2ELNS1_11target_archE906ELNS1_3gpuE6ELNS1_3repE0EEENS1_30default_config_static_selectorELNS0_4arch9wavefront6targetE1EEEvT1_
		.amdhsa_group_segment_fixed_size 0
		.amdhsa_private_segment_fixed_size 0
		.amdhsa_kernarg_size 120
		.amdhsa_user_sgpr_count 2
		.amdhsa_user_sgpr_dispatch_ptr 0
		.amdhsa_user_sgpr_queue_ptr 0
		.amdhsa_user_sgpr_kernarg_segment_ptr 1
		.amdhsa_user_sgpr_dispatch_id 0
		.amdhsa_user_sgpr_kernarg_preload_length 0
		.amdhsa_user_sgpr_kernarg_preload_offset 0
		.amdhsa_user_sgpr_private_segment_size 0
		.amdhsa_uses_dynamic_stack 0
		.amdhsa_enable_private_segment 0
		.amdhsa_system_sgpr_workgroup_id_x 1
		.amdhsa_system_sgpr_workgroup_id_y 0
		.amdhsa_system_sgpr_workgroup_id_z 0
		.amdhsa_system_sgpr_workgroup_info 0
		.amdhsa_system_vgpr_workitem_id 0
		.amdhsa_next_free_vgpr 1
		.amdhsa_next_free_sgpr 0
		.amdhsa_accum_offset 4
		.amdhsa_reserve_vcc 0
		.amdhsa_float_round_mode_32 0
		.amdhsa_float_round_mode_16_64 0
		.amdhsa_float_denorm_mode_32 3
		.amdhsa_float_denorm_mode_16_64 3
		.amdhsa_dx10_clamp 1
		.amdhsa_ieee_mode 1
		.amdhsa_fp16_overflow 0
		.amdhsa_tg_split 0
		.amdhsa_exception_fp_ieee_invalid_op 0
		.amdhsa_exception_fp_denorm_src 0
		.amdhsa_exception_fp_ieee_div_zero 0
		.amdhsa_exception_fp_ieee_overflow 0
		.amdhsa_exception_fp_ieee_underflow 0
		.amdhsa_exception_fp_ieee_inexact 0
		.amdhsa_exception_int_div_zero 0
	.end_amdhsa_kernel
	.section	.text._ZN7rocprim17ROCPRIM_400000_NS6detail17trampoline_kernelINS0_14default_configENS1_25partition_config_selectorILNS1_17partition_subalgoE8ElNS0_10empty_typeEbEEZZNS1_14partition_implILS5_8ELb0ES3_jPlPS6_PKS6_NS0_5tupleIJS9_S6_EEENSD_IJSA_SA_EEENS0_18inequality_wrapperIZN2at6native12_GLOBAL__N_124unique_dim_cuda_templateImEESt5tupleIJNSH_6TensorESM_SM_EERKSM_lbbbEUlllE0_EEPmJS6_EEE10hipError_tPvRmT3_T4_T5_T6_T7_T9_mT8_P12ihipStream_tbDpT10_ENKUlT_T0_E_clISt17integral_constantIbLb0EES1C_EEDaS17_S18_EUlS17_E_NS1_11comp_targetILNS1_3genE2ELNS1_11target_archE906ELNS1_3gpuE6ELNS1_3repE0EEENS1_30default_config_static_selectorELNS0_4arch9wavefront6targetE1EEEvT1_,"axG",@progbits,_ZN7rocprim17ROCPRIM_400000_NS6detail17trampoline_kernelINS0_14default_configENS1_25partition_config_selectorILNS1_17partition_subalgoE8ElNS0_10empty_typeEbEEZZNS1_14partition_implILS5_8ELb0ES3_jPlPS6_PKS6_NS0_5tupleIJS9_S6_EEENSD_IJSA_SA_EEENS0_18inequality_wrapperIZN2at6native12_GLOBAL__N_124unique_dim_cuda_templateImEESt5tupleIJNSH_6TensorESM_SM_EERKSM_lbbbEUlllE0_EEPmJS6_EEE10hipError_tPvRmT3_T4_T5_T6_T7_T9_mT8_P12ihipStream_tbDpT10_ENKUlT_T0_E_clISt17integral_constantIbLb0EES1C_EEDaS17_S18_EUlS17_E_NS1_11comp_targetILNS1_3genE2ELNS1_11target_archE906ELNS1_3gpuE6ELNS1_3repE0EEENS1_30default_config_static_selectorELNS0_4arch9wavefront6targetE1EEEvT1_,comdat
.Lfunc_end1678:
	.size	_ZN7rocprim17ROCPRIM_400000_NS6detail17trampoline_kernelINS0_14default_configENS1_25partition_config_selectorILNS1_17partition_subalgoE8ElNS0_10empty_typeEbEEZZNS1_14partition_implILS5_8ELb0ES3_jPlPS6_PKS6_NS0_5tupleIJS9_S6_EEENSD_IJSA_SA_EEENS0_18inequality_wrapperIZN2at6native12_GLOBAL__N_124unique_dim_cuda_templateImEESt5tupleIJNSH_6TensorESM_SM_EERKSM_lbbbEUlllE0_EEPmJS6_EEE10hipError_tPvRmT3_T4_T5_T6_T7_T9_mT8_P12ihipStream_tbDpT10_ENKUlT_T0_E_clISt17integral_constantIbLb0EES1C_EEDaS17_S18_EUlS17_E_NS1_11comp_targetILNS1_3genE2ELNS1_11target_archE906ELNS1_3gpuE6ELNS1_3repE0EEENS1_30default_config_static_selectorELNS0_4arch9wavefront6targetE1EEEvT1_, .Lfunc_end1678-_ZN7rocprim17ROCPRIM_400000_NS6detail17trampoline_kernelINS0_14default_configENS1_25partition_config_selectorILNS1_17partition_subalgoE8ElNS0_10empty_typeEbEEZZNS1_14partition_implILS5_8ELb0ES3_jPlPS6_PKS6_NS0_5tupleIJS9_S6_EEENSD_IJSA_SA_EEENS0_18inequality_wrapperIZN2at6native12_GLOBAL__N_124unique_dim_cuda_templateImEESt5tupleIJNSH_6TensorESM_SM_EERKSM_lbbbEUlllE0_EEPmJS6_EEE10hipError_tPvRmT3_T4_T5_T6_T7_T9_mT8_P12ihipStream_tbDpT10_ENKUlT_T0_E_clISt17integral_constantIbLb0EES1C_EEDaS17_S18_EUlS17_E_NS1_11comp_targetILNS1_3genE2ELNS1_11target_archE906ELNS1_3gpuE6ELNS1_3repE0EEENS1_30default_config_static_selectorELNS0_4arch9wavefront6targetE1EEEvT1_
                                        ; -- End function
	.section	.AMDGPU.csdata,"",@progbits
; Kernel info:
; codeLenInByte = 0
; NumSgprs: 6
; NumVgprs: 0
; NumAgprs: 0
; TotalNumVgprs: 0
; ScratchSize: 0
; MemoryBound: 0
; FloatMode: 240
; IeeeMode: 1
; LDSByteSize: 0 bytes/workgroup (compile time only)
; SGPRBlocks: 0
; VGPRBlocks: 0
; NumSGPRsForWavesPerEU: 6
; NumVGPRsForWavesPerEU: 1
; AccumOffset: 4
; Occupancy: 8
; WaveLimiterHint : 0
; COMPUTE_PGM_RSRC2:SCRATCH_EN: 0
; COMPUTE_PGM_RSRC2:USER_SGPR: 2
; COMPUTE_PGM_RSRC2:TRAP_HANDLER: 0
; COMPUTE_PGM_RSRC2:TGID_X_EN: 1
; COMPUTE_PGM_RSRC2:TGID_Y_EN: 0
; COMPUTE_PGM_RSRC2:TGID_Z_EN: 0
; COMPUTE_PGM_RSRC2:TIDIG_COMP_CNT: 0
; COMPUTE_PGM_RSRC3_GFX90A:ACCUM_OFFSET: 0
; COMPUTE_PGM_RSRC3_GFX90A:TG_SPLIT: 0
	.section	.text._ZN7rocprim17ROCPRIM_400000_NS6detail17trampoline_kernelINS0_14default_configENS1_25partition_config_selectorILNS1_17partition_subalgoE8ElNS0_10empty_typeEbEEZZNS1_14partition_implILS5_8ELb0ES3_jPlPS6_PKS6_NS0_5tupleIJS9_S6_EEENSD_IJSA_SA_EEENS0_18inequality_wrapperIZN2at6native12_GLOBAL__N_124unique_dim_cuda_templateImEESt5tupleIJNSH_6TensorESM_SM_EERKSM_lbbbEUlllE0_EEPmJS6_EEE10hipError_tPvRmT3_T4_T5_T6_T7_T9_mT8_P12ihipStream_tbDpT10_ENKUlT_T0_E_clISt17integral_constantIbLb0EES1C_EEDaS17_S18_EUlS17_E_NS1_11comp_targetILNS1_3genE10ELNS1_11target_archE1200ELNS1_3gpuE4ELNS1_3repE0EEENS1_30default_config_static_selectorELNS0_4arch9wavefront6targetE1EEEvT1_,"axG",@progbits,_ZN7rocprim17ROCPRIM_400000_NS6detail17trampoline_kernelINS0_14default_configENS1_25partition_config_selectorILNS1_17partition_subalgoE8ElNS0_10empty_typeEbEEZZNS1_14partition_implILS5_8ELb0ES3_jPlPS6_PKS6_NS0_5tupleIJS9_S6_EEENSD_IJSA_SA_EEENS0_18inequality_wrapperIZN2at6native12_GLOBAL__N_124unique_dim_cuda_templateImEESt5tupleIJNSH_6TensorESM_SM_EERKSM_lbbbEUlllE0_EEPmJS6_EEE10hipError_tPvRmT3_T4_T5_T6_T7_T9_mT8_P12ihipStream_tbDpT10_ENKUlT_T0_E_clISt17integral_constantIbLb0EES1C_EEDaS17_S18_EUlS17_E_NS1_11comp_targetILNS1_3genE10ELNS1_11target_archE1200ELNS1_3gpuE4ELNS1_3repE0EEENS1_30default_config_static_selectorELNS0_4arch9wavefront6targetE1EEEvT1_,comdat
	.globl	_ZN7rocprim17ROCPRIM_400000_NS6detail17trampoline_kernelINS0_14default_configENS1_25partition_config_selectorILNS1_17partition_subalgoE8ElNS0_10empty_typeEbEEZZNS1_14partition_implILS5_8ELb0ES3_jPlPS6_PKS6_NS0_5tupleIJS9_S6_EEENSD_IJSA_SA_EEENS0_18inequality_wrapperIZN2at6native12_GLOBAL__N_124unique_dim_cuda_templateImEESt5tupleIJNSH_6TensorESM_SM_EERKSM_lbbbEUlllE0_EEPmJS6_EEE10hipError_tPvRmT3_T4_T5_T6_T7_T9_mT8_P12ihipStream_tbDpT10_ENKUlT_T0_E_clISt17integral_constantIbLb0EES1C_EEDaS17_S18_EUlS17_E_NS1_11comp_targetILNS1_3genE10ELNS1_11target_archE1200ELNS1_3gpuE4ELNS1_3repE0EEENS1_30default_config_static_selectorELNS0_4arch9wavefront6targetE1EEEvT1_ ; -- Begin function _ZN7rocprim17ROCPRIM_400000_NS6detail17trampoline_kernelINS0_14default_configENS1_25partition_config_selectorILNS1_17partition_subalgoE8ElNS0_10empty_typeEbEEZZNS1_14partition_implILS5_8ELb0ES3_jPlPS6_PKS6_NS0_5tupleIJS9_S6_EEENSD_IJSA_SA_EEENS0_18inequality_wrapperIZN2at6native12_GLOBAL__N_124unique_dim_cuda_templateImEESt5tupleIJNSH_6TensorESM_SM_EERKSM_lbbbEUlllE0_EEPmJS6_EEE10hipError_tPvRmT3_T4_T5_T6_T7_T9_mT8_P12ihipStream_tbDpT10_ENKUlT_T0_E_clISt17integral_constantIbLb0EES1C_EEDaS17_S18_EUlS17_E_NS1_11comp_targetILNS1_3genE10ELNS1_11target_archE1200ELNS1_3gpuE4ELNS1_3repE0EEENS1_30default_config_static_selectorELNS0_4arch9wavefront6targetE1EEEvT1_
	.p2align	8
	.type	_ZN7rocprim17ROCPRIM_400000_NS6detail17trampoline_kernelINS0_14default_configENS1_25partition_config_selectorILNS1_17partition_subalgoE8ElNS0_10empty_typeEbEEZZNS1_14partition_implILS5_8ELb0ES3_jPlPS6_PKS6_NS0_5tupleIJS9_S6_EEENSD_IJSA_SA_EEENS0_18inequality_wrapperIZN2at6native12_GLOBAL__N_124unique_dim_cuda_templateImEESt5tupleIJNSH_6TensorESM_SM_EERKSM_lbbbEUlllE0_EEPmJS6_EEE10hipError_tPvRmT3_T4_T5_T6_T7_T9_mT8_P12ihipStream_tbDpT10_ENKUlT_T0_E_clISt17integral_constantIbLb0EES1C_EEDaS17_S18_EUlS17_E_NS1_11comp_targetILNS1_3genE10ELNS1_11target_archE1200ELNS1_3gpuE4ELNS1_3repE0EEENS1_30default_config_static_selectorELNS0_4arch9wavefront6targetE1EEEvT1_,@function
_ZN7rocprim17ROCPRIM_400000_NS6detail17trampoline_kernelINS0_14default_configENS1_25partition_config_selectorILNS1_17partition_subalgoE8ElNS0_10empty_typeEbEEZZNS1_14partition_implILS5_8ELb0ES3_jPlPS6_PKS6_NS0_5tupleIJS9_S6_EEENSD_IJSA_SA_EEENS0_18inequality_wrapperIZN2at6native12_GLOBAL__N_124unique_dim_cuda_templateImEESt5tupleIJNSH_6TensorESM_SM_EERKSM_lbbbEUlllE0_EEPmJS6_EEE10hipError_tPvRmT3_T4_T5_T6_T7_T9_mT8_P12ihipStream_tbDpT10_ENKUlT_T0_E_clISt17integral_constantIbLb0EES1C_EEDaS17_S18_EUlS17_E_NS1_11comp_targetILNS1_3genE10ELNS1_11target_archE1200ELNS1_3gpuE4ELNS1_3repE0EEENS1_30default_config_static_selectorELNS0_4arch9wavefront6targetE1EEEvT1_: ; @_ZN7rocprim17ROCPRIM_400000_NS6detail17trampoline_kernelINS0_14default_configENS1_25partition_config_selectorILNS1_17partition_subalgoE8ElNS0_10empty_typeEbEEZZNS1_14partition_implILS5_8ELb0ES3_jPlPS6_PKS6_NS0_5tupleIJS9_S6_EEENSD_IJSA_SA_EEENS0_18inequality_wrapperIZN2at6native12_GLOBAL__N_124unique_dim_cuda_templateImEESt5tupleIJNSH_6TensorESM_SM_EERKSM_lbbbEUlllE0_EEPmJS6_EEE10hipError_tPvRmT3_T4_T5_T6_T7_T9_mT8_P12ihipStream_tbDpT10_ENKUlT_T0_E_clISt17integral_constantIbLb0EES1C_EEDaS17_S18_EUlS17_E_NS1_11comp_targetILNS1_3genE10ELNS1_11target_archE1200ELNS1_3gpuE4ELNS1_3repE0EEENS1_30default_config_static_selectorELNS0_4arch9wavefront6targetE1EEEvT1_
; %bb.0:
	.section	.rodata,"a",@progbits
	.p2align	6, 0x0
	.amdhsa_kernel _ZN7rocprim17ROCPRIM_400000_NS6detail17trampoline_kernelINS0_14default_configENS1_25partition_config_selectorILNS1_17partition_subalgoE8ElNS0_10empty_typeEbEEZZNS1_14partition_implILS5_8ELb0ES3_jPlPS6_PKS6_NS0_5tupleIJS9_S6_EEENSD_IJSA_SA_EEENS0_18inequality_wrapperIZN2at6native12_GLOBAL__N_124unique_dim_cuda_templateImEESt5tupleIJNSH_6TensorESM_SM_EERKSM_lbbbEUlllE0_EEPmJS6_EEE10hipError_tPvRmT3_T4_T5_T6_T7_T9_mT8_P12ihipStream_tbDpT10_ENKUlT_T0_E_clISt17integral_constantIbLb0EES1C_EEDaS17_S18_EUlS17_E_NS1_11comp_targetILNS1_3genE10ELNS1_11target_archE1200ELNS1_3gpuE4ELNS1_3repE0EEENS1_30default_config_static_selectorELNS0_4arch9wavefront6targetE1EEEvT1_
		.amdhsa_group_segment_fixed_size 0
		.amdhsa_private_segment_fixed_size 0
		.amdhsa_kernarg_size 120
		.amdhsa_user_sgpr_count 2
		.amdhsa_user_sgpr_dispatch_ptr 0
		.amdhsa_user_sgpr_queue_ptr 0
		.amdhsa_user_sgpr_kernarg_segment_ptr 1
		.amdhsa_user_sgpr_dispatch_id 0
		.amdhsa_user_sgpr_kernarg_preload_length 0
		.amdhsa_user_sgpr_kernarg_preload_offset 0
		.amdhsa_user_sgpr_private_segment_size 0
		.amdhsa_uses_dynamic_stack 0
		.amdhsa_enable_private_segment 0
		.amdhsa_system_sgpr_workgroup_id_x 1
		.amdhsa_system_sgpr_workgroup_id_y 0
		.amdhsa_system_sgpr_workgroup_id_z 0
		.amdhsa_system_sgpr_workgroup_info 0
		.amdhsa_system_vgpr_workitem_id 0
		.amdhsa_next_free_vgpr 1
		.amdhsa_next_free_sgpr 0
		.amdhsa_accum_offset 4
		.amdhsa_reserve_vcc 0
		.amdhsa_float_round_mode_32 0
		.amdhsa_float_round_mode_16_64 0
		.amdhsa_float_denorm_mode_32 3
		.amdhsa_float_denorm_mode_16_64 3
		.amdhsa_dx10_clamp 1
		.amdhsa_ieee_mode 1
		.amdhsa_fp16_overflow 0
		.amdhsa_tg_split 0
		.amdhsa_exception_fp_ieee_invalid_op 0
		.amdhsa_exception_fp_denorm_src 0
		.amdhsa_exception_fp_ieee_div_zero 0
		.amdhsa_exception_fp_ieee_overflow 0
		.amdhsa_exception_fp_ieee_underflow 0
		.amdhsa_exception_fp_ieee_inexact 0
		.amdhsa_exception_int_div_zero 0
	.end_amdhsa_kernel
	.section	.text._ZN7rocprim17ROCPRIM_400000_NS6detail17trampoline_kernelINS0_14default_configENS1_25partition_config_selectorILNS1_17partition_subalgoE8ElNS0_10empty_typeEbEEZZNS1_14partition_implILS5_8ELb0ES3_jPlPS6_PKS6_NS0_5tupleIJS9_S6_EEENSD_IJSA_SA_EEENS0_18inequality_wrapperIZN2at6native12_GLOBAL__N_124unique_dim_cuda_templateImEESt5tupleIJNSH_6TensorESM_SM_EERKSM_lbbbEUlllE0_EEPmJS6_EEE10hipError_tPvRmT3_T4_T5_T6_T7_T9_mT8_P12ihipStream_tbDpT10_ENKUlT_T0_E_clISt17integral_constantIbLb0EES1C_EEDaS17_S18_EUlS17_E_NS1_11comp_targetILNS1_3genE10ELNS1_11target_archE1200ELNS1_3gpuE4ELNS1_3repE0EEENS1_30default_config_static_selectorELNS0_4arch9wavefront6targetE1EEEvT1_,"axG",@progbits,_ZN7rocprim17ROCPRIM_400000_NS6detail17trampoline_kernelINS0_14default_configENS1_25partition_config_selectorILNS1_17partition_subalgoE8ElNS0_10empty_typeEbEEZZNS1_14partition_implILS5_8ELb0ES3_jPlPS6_PKS6_NS0_5tupleIJS9_S6_EEENSD_IJSA_SA_EEENS0_18inequality_wrapperIZN2at6native12_GLOBAL__N_124unique_dim_cuda_templateImEESt5tupleIJNSH_6TensorESM_SM_EERKSM_lbbbEUlllE0_EEPmJS6_EEE10hipError_tPvRmT3_T4_T5_T6_T7_T9_mT8_P12ihipStream_tbDpT10_ENKUlT_T0_E_clISt17integral_constantIbLb0EES1C_EEDaS17_S18_EUlS17_E_NS1_11comp_targetILNS1_3genE10ELNS1_11target_archE1200ELNS1_3gpuE4ELNS1_3repE0EEENS1_30default_config_static_selectorELNS0_4arch9wavefront6targetE1EEEvT1_,comdat
.Lfunc_end1679:
	.size	_ZN7rocprim17ROCPRIM_400000_NS6detail17trampoline_kernelINS0_14default_configENS1_25partition_config_selectorILNS1_17partition_subalgoE8ElNS0_10empty_typeEbEEZZNS1_14partition_implILS5_8ELb0ES3_jPlPS6_PKS6_NS0_5tupleIJS9_S6_EEENSD_IJSA_SA_EEENS0_18inequality_wrapperIZN2at6native12_GLOBAL__N_124unique_dim_cuda_templateImEESt5tupleIJNSH_6TensorESM_SM_EERKSM_lbbbEUlllE0_EEPmJS6_EEE10hipError_tPvRmT3_T4_T5_T6_T7_T9_mT8_P12ihipStream_tbDpT10_ENKUlT_T0_E_clISt17integral_constantIbLb0EES1C_EEDaS17_S18_EUlS17_E_NS1_11comp_targetILNS1_3genE10ELNS1_11target_archE1200ELNS1_3gpuE4ELNS1_3repE0EEENS1_30default_config_static_selectorELNS0_4arch9wavefront6targetE1EEEvT1_, .Lfunc_end1679-_ZN7rocprim17ROCPRIM_400000_NS6detail17trampoline_kernelINS0_14default_configENS1_25partition_config_selectorILNS1_17partition_subalgoE8ElNS0_10empty_typeEbEEZZNS1_14partition_implILS5_8ELb0ES3_jPlPS6_PKS6_NS0_5tupleIJS9_S6_EEENSD_IJSA_SA_EEENS0_18inequality_wrapperIZN2at6native12_GLOBAL__N_124unique_dim_cuda_templateImEESt5tupleIJNSH_6TensorESM_SM_EERKSM_lbbbEUlllE0_EEPmJS6_EEE10hipError_tPvRmT3_T4_T5_T6_T7_T9_mT8_P12ihipStream_tbDpT10_ENKUlT_T0_E_clISt17integral_constantIbLb0EES1C_EEDaS17_S18_EUlS17_E_NS1_11comp_targetILNS1_3genE10ELNS1_11target_archE1200ELNS1_3gpuE4ELNS1_3repE0EEENS1_30default_config_static_selectorELNS0_4arch9wavefront6targetE1EEEvT1_
                                        ; -- End function
	.section	.AMDGPU.csdata,"",@progbits
; Kernel info:
; codeLenInByte = 0
; NumSgprs: 6
; NumVgprs: 0
; NumAgprs: 0
; TotalNumVgprs: 0
; ScratchSize: 0
; MemoryBound: 0
; FloatMode: 240
; IeeeMode: 1
; LDSByteSize: 0 bytes/workgroup (compile time only)
; SGPRBlocks: 0
; VGPRBlocks: 0
; NumSGPRsForWavesPerEU: 6
; NumVGPRsForWavesPerEU: 1
; AccumOffset: 4
; Occupancy: 8
; WaveLimiterHint : 0
; COMPUTE_PGM_RSRC2:SCRATCH_EN: 0
; COMPUTE_PGM_RSRC2:USER_SGPR: 2
; COMPUTE_PGM_RSRC2:TRAP_HANDLER: 0
; COMPUTE_PGM_RSRC2:TGID_X_EN: 1
; COMPUTE_PGM_RSRC2:TGID_Y_EN: 0
; COMPUTE_PGM_RSRC2:TGID_Z_EN: 0
; COMPUTE_PGM_RSRC2:TIDIG_COMP_CNT: 0
; COMPUTE_PGM_RSRC3_GFX90A:ACCUM_OFFSET: 0
; COMPUTE_PGM_RSRC3_GFX90A:TG_SPLIT: 0
	.section	.text._ZN7rocprim17ROCPRIM_400000_NS6detail17trampoline_kernelINS0_14default_configENS1_25partition_config_selectorILNS1_17partition_subalgoE8ElNS0_10empty_typeEbEEZZNS1_14partition_implILS5_8ELb0ES3_jPlPS6_PKS6_NS0_5tupleIJS9_S6_EEENSD_IJSA_SA_EEENS0_18inequality_wrapperIZN2at6native12_GLOBAL__N_124unique_dim_cuda_templateImEESt5tupleIJNSH_6TensorESM_SM_EERKSM_lbbbEUlllE0_EEPmJS6_EEE10hipError_tPvRmT3_T4_T5_T6_T7_T9_mT8_P12ihipStream_tbDpT10_ENKUlT_T0_E_clISt17integral_constantIbLb0EES1C_EEDaS17_S18_EUlS17_E_NS1_11comp_targetILNS1_3genE9ELNS1_11target_archE1100ELNS1_3gpuE3ELNS1_3repE0EEENS1_30default_config_static_selectorELNS0_4arch9wavefront6targetE1EEEvT1_,"axG",@progbits,_ZN7rocprim17ROCPRIM_400000_NS6detail17trampoline_kernelINS0_14default_configENS1_25partition_config_selectorILNS1_17partition_subalgoE8ElNS0_10empty_typeEbEEZZNS1_14partition_implILS5_8ELb0ES3_jPlPS6_PKS6_NS0_5tupleIJS9_S6_EEENSD_IJSA_SA_EEENS0_18inequality_wrapperIZN2at6native12_GLOBAL__N_124unique_dim_cuda_templateImEESt5tupleIJNSH_6TensorESM_SM_EERKSM_lbbbEUlllE0_EEPmJS6_EEE10hipError_tPvRmT3_T4_T5_T6_T7_T9_mT8_P12ihipStream_tbDpT10_ENKUlT_T0_E_clISt17integral_constantIbLb0EES1C_EEDaS17_S18_EUlS17_E_NS1_11comp_targetILNS1_3genE9ELNS1_11target_archE1100ELNS1_3gpuE3ELNS1_3repE0EEENS1_30default_config_static_selectorELNS0_4arch9wavefront6targetE1EEEvT1_,comdat
	.globl	_ZN7rocprim17ROCPRIM_400000_NS6detail17trampoline_kernelINS0_14default_configENS1_25partition_config_selectorILNS1_17partition_subalgoE8ElNS0_10empty_typeEbEEZZNS1_14partition_implILS5_8ELb0ES3_jPlPS6_PKS6_NS0_5tupleIJS9_S6_EEENSD_IJSA_SA_EEENS0_18inequality_wrapperIZN2at6native12_GLOBAL__N_124unique_dim_cuda_templateImEESt5tupleIJNSH_6TensorESM_SM_EERKSM_lbbbEUlllE0_EEPmJS6_EEE10hipError_tPvRmT3_T4_T5_T6_T7_T9_mT8_P12ihipStream_tbDpT10_ENKUlT_T0_E_clISt17integral_constantIbLb0EES1C_EEDaS17_S18_EUlS17_E_NS1_11comp_targetILNS1_3genE9ELNS1_11target_archE1100ELNS1_3gpuE3ELNS1_3repE0EEENS1_30default_config_static_selectorELNS0_4arch9wavefront6targetE1EEEvT1_ ; -- Begin function _ZN7rocprim17ROCPRIM_400000_NS6detail17trampoline_kernelINS0_14default_configENS1_25partition_config_selectorILNS1_17partition_subalgoE8ElNS0_10empty_typeEbEEZZNS1_14partition_implILS5_8ELb0ES3_jPlPS6_PKS6_NS0_5tupleIJS9_S6_EEENSD_IJSA_SA_EEENS0_18inequality_wrapperIZN2at6native12_GLOBAL__N_124unique_dim_cuda_templateImEESt5tupleIJNSH_6TensorESM_SM_EERKSM_lbbbEUlllE0_EEPmJS6_EEE10hipError_tPvRmT3_T4_T5_T6_T7_T9_mT8_P12ihipStream_tbDpT10_ENKUlT_T0_E_clISt17integral_constantIbLb0EES1C_EEDaS17_S18_EUlS17_E_NS1_11comp_targetILNS1_3genE9ELNS1_11target_archE1100ELNS1_3gpuE3ELNS1_3repE0EEENS1_30default_config_static_selectorELNS0_4arch9wavefront6targetE1EEEvT1_
	.p2align	8
	.type	_ZN7rocprim17ROCPRIM_400000_NS6detail17trampoline_kernelINS0_14default_configENS1_25partition_config_selectorILNS1_17partition_subalgoE8ElNS0_10empty_typeEbEEZZNS1_14partition_implILS5_8ELb0ES3_jPlPS6_PKS6_NS0_5tupleIJS9_S6_EEENSD_IJSA_SA_EEENS0_18inequality_wrapperIZN2at6native12_GLOBAL__N_124unique_dim_cuda_templateImEESt5tupleIJNSH_6TensorESM_SM_EERKSM_lbbbEUlllE0_EEPmJS6_EEE10hipError_tPvRmT3_T4_T5_T6_T7_T9_mT8_P12ihipStream_tbDpT10_ENKUlT_T0_E_clISt17integral_constantIbLb0EES1C_EEDaS17_S18_EUlS17_E_NS1_11comp_targetILNS1_3genE9ELNS1_11target_archE1100ELNS1_3gpuE3ELNS1_3repE0EEENS1_30default_config_static_selectorELNS0_4arch9wavefront6targetE1EEEvT1_,@function
_ZN7rocprim17ROCPRIM_400000_NS6detail17trampoline_kernelINS0_14default_configENS1_25partition_config_selectorILNS1_17partition_subalgoE8ElNS0_10empty_typeEbEEZZNS1_14partition_implILS5_8ELb0ES3_jPlPS6_PKS6_NS0_5tupleIJS9_S6_EEENSD_IJSA_SA_EEENS0_18inequality_wrapperIZN2at6native12_GLOBAL__N_124unique_dim_cuda_templateImEESt5tupleIJNSH_6TensorESM_SM_EERKSM_lbbbEUlllE0_EEPmJS6_EEE10hipError_tPvRmT3_T4_T5_T6_T7_T9_mT8_P12ihipStream_tbDpT10_ENKUlT_T0_E_clISt17integral_constantIbLb0EES1C_EEDaS17_S18_EUlS17_E_NS1_11comp_targetILNS1_3genE9ELNS1_11target_archE1100ELNS1_3gpuE3ELNS1_3repE0EEENS1_30default_config_static_selectorELNS0_4arch9wavefront6targetE1EEEvT1_: ; @_ZN7rocprim17ROCPRIM_400000_NS6detail17trampoline_kernelINS0_14default_configENS1_25partition_config_selectorILNS1_17partition_subalgoE8ElNS0_10empty_typeEbEEZZNS1_14partition_implILS5_8ELb0ES3_jPlPS6_PKS6_NS0_5tupleIJS9_S6_EEENSD_IJSA_SA_EEENS0_18inequality_wrapperIZN2at6native12_GLOBAL__N_124unique_dim_cuda_templateImEESt5tupleIJNSH_6TensorESM_SM_EERKSM_lbbbEUlllE0_EEPmJS6_EEE10hipError_tPvRmT3_T4_T5_T6_T7_T9_mT8_P12ihipStream_tbDpT10_ENKUlT_T0_E_clISt17integral_constantIbLb0EES1C_EEDaS17_S18_EUlS17_E_NS1_11comp_targetILNS1_3genE9ELNS1_11target_archE1100ELNS1_3gpuE3ELNS1_3repE0EEENS1_30default_config_static_selectorELNS0_4arch9wavefront6targetE1EEEvT1_
; %bb.0:
	.section	.rodata,"a",@progbits
	.p2align	6, 0x0
	.amdhsa_kernel _ZN7rocprim17ROCPRIM_400000_NS6detail17trampoline_kernelINS0_14default_configENS1_25partition_config_selectorILNS1_17partition_subalgoE8ElNS0_10empty_typeEbEEZZNS1_14partition_implILS5_8ELb0ES3_jPlPS6_PKS6_NS0_5tupleIJS9_S6_EEENSD_IJSA_SA_EEENS0_18inequality_wrapperIZN2at6native12_GLOBAL__N_124unique_dim_cuda_templateImEESt5tupleIJNSH_6TensorESM_SM_EERKSM_lbbbEUlllE0_EEPmJS6_EEE10hipError_tPvRmT3_T4_T5_T6_T7_T9_mT8_P12ihipStream_tbDpT10_ENKUlT_T0_E_clISt17integral_constantIbLb0EES1C_EEDaS17_S18_EUlS17_E_NS1_11comp_targetILNS1_3genE9ELNS1_11target_archE1100ELNS1_3gpuE3ELNS1_3repE0EEENS1_30default_config_static_selectorELNS0_4arch9wavefront6targetE1EEEvT1_
		.amdhsa_group_segment_fixed_size 0
		.amdhsa_private_segment_fixed_size 0
		.amdhsa_kernarg_size 120
		.amdhsa_user_sgpr_count 2
		.amdhsa_user_sgpr_dispatch_ptr 0
		.amdhsa_user_sgpr_queue_ptr 0
		.amdhsa_user_sgpr_kernarg_segment_ptr 1
		.amdhsa_user_sgpr_dispatch_id 0
		.amdhsa_user_sgpr_kernarg_preload_length 0
		.amdhsa_user_sgpr_kernarg_preload_offset 0
		.amdhsa_user_sgpr_private_segment_size 0
		.amdhsa_uses_dynamic_stack 0
		.amdhsa_enable_private_segment 0
		.amdhsa_system_sgpr_workgroup_id_x 1
		.amdhsa_system_sgpr_workgroup_id_y 0
		.amdhsa_system_sgpr_workgroup_id_z 0
		.amdhsa_system_sgpr_workgroup_info 0
		.amdhsa_system_vgpr_workitem_id 0
		.amdhsa_next_free_vgpr 1
		.amdhsa_next_free_sgpr 0
		.amdhsa_accum_offset 4
		.amdhsa_reserve_vcc 0
		.amdhsa_float_round_mode_32 0
		.amdhsa_float_round_mode_16_64 0
		.amdhsa_float_denorm_mode_32 3
		.amdhsa_float_denorm_mode_16_64 3
		.amdhsa_dx10_clamp 1
		.amdhsa_ieee_mode 1
		.amdhsa_fp16_overflow 0
		.amdhsa_tg_split 0
		.amdhsa_exception_fp_ieee_invalid_op 0
		.amdhsa_exception_fp_denorm_src 0
		.amdhsa_exception_fp_ieee_div_zero 0
		.amdhsa_exception_fp_ieee_overflow 0
		.amdhsa_exception_fp_ieee_underflow 0
		.amdhsa_exception_fp_ieee_inexact 0
		.amdhsa_exception_int_div_zero 0
	.end_amdhsa_kernel
	.section	.text._ZN7rocprim17ROCPRIM_400000_NS6detail17trampoline_kernelINS0_14default_configENS1_25partition_config_selectorILNS1_17partition_subalgoE8ElNS0_10empty_typeEbEEZZNS1_14partition_implILS5_8ELb0ES3_jPlPS6_PKS6_NS0_5tupleIJS9_S6_EEENSD_IJSA_SA_EEENS0_18inequality_wrapperIZN2at6native12_GLOBAL__N_124unique_dim_cuda_templateImEESt5tupleIJNSH_6TensorESM_SM_EERKSM_lbbbEUlllE0_EEPmJS6_EEE10hipError_tPvRmT3_T4_T5_T6_T7_T9_mT8_P12ihipStream_tbDpT10_ENKUlT_T0_E_clISt17integral_constantIbLb0EES1C_EEDaS17_S18_EUlS17_E_NS1_11comp_targetILNS1_3genE9ELNS1_11target_archE1100ELNS1_3gpuE3ELNS1_3repE0EEENS1_30default_config_static_selectorELNS0_4arch9wavefront6targetE1EEEvT1_,"axG",@progbits,_ZN7rocprim17ROCPRIM_400000_NS6detail17trampoline_kernelINS0_14default_configENS1_25partition_config_selectorILNS1_17partition_subalgoE8ElNS0_10empty_typeEbEEZZNS1_14partition_implILS5_8ELb0ES3_jPlPS6_PKS6_NS0_5tupleIJS9_S6_EEENSD_IJSA_SA_EEENS0_18inequality_wrapperIZN2at6native12_GLOBAL__N_124unique_dim_cuda_templateImEESt5tupleIJNSH_6TensorESM_SM_EERKSM_lbbbEUlllE0_EEPmJS6_EEE10hipError_tPvRmT3_T4_T5_T6_T7_T9_mT8_P12ihipStream_tbDpT10_ENKUlT_T0_E_clISt17integral_constantIbLb0EES1C_EEDaS17_S18_EUlS17_E_NS1_11comp_targetILNS1_3genE9ELNS1_11target_archE1100ELNS1_3gpuE3ELNS1_3repE0EEENS1_30default_config_static_selectorELNS0_4arch9wavefront6targetE1EEEvT1_,comdat
.Lfunc_end1680:
	.size	_ZN7rocprim17ROCPRIM_400000_NS6detail17trampoline_kernelINS0_14default_configENS1_25partition_config_selectorILNS1_17partition_subalgoE8ElNS0_10empty_typeEbEEZZNS1_14partition_implILS5_8ELb0ES3_jPlPS6_PKS6_NS0_5tupleIJS9_S6_EEENSD_IJSA_SA_EEENS0_18inequality_wrapperIZN2at6native12_GLOBAL__N_124unique_dim_cuda_templateImEESt5tupleIJNSH_6TensorESM_SM_EERKSM_lbbbEUlllE0_EEPmJS6_EEE10hipError_tPvRmT3_T4_T5_T6_T7_T9_mT8_P12ihipStream_tbDpT10_ENKUlT_T0_E_clISt17integral_constantIbLb0EES1C_EEDaS17_S18_EUlS17_E_NS1_11comp_targetILNS1_3genE9ELNS1_11target_archE1100ELNS1_3gpuE3ELNS1_3repE0EEENS1_30default_config_static_selectorELNS0_4arch9wavefront6targetE1EEEvT1_, .Lfunc_end1680-_ZN7rocprim17ROCPRIM_400000_NS6detail17trampoline_kernelINS0_14default_configENS1_25partition_config_selectorILNS1_17partition_subalgoE8ElNS0_10empty_typeEbEEZZNS1_14partition_implILS5_8ELb0ES3_jPlPS6_PKS6_NS0_5tupleIJS9_S6_EEENSD_IJSA_SA_EEENS0_18inequality_wrapperIZN2at6native12_GLOBAL__N_124unique_dim_cuda_templateImEESt5tupleIJNSH_6TensorESM_SM_EERKSM_lbbbEUlllE0_EEPmJS6_EEE10hipError_tPvRmT3_T4_T5_T6_T7_T9_mT8_P12ihipStream_tbDpT10_ENKUlT_T0_E_clISt17integral_constantIbLb0EES1C_EEDaS17_S18_EUlS17_E_NS1_11comp_targetILNS1_3genE9ELNS1_11target_archE1100ELNS1_3gpuE3ELNS1_3repE0EEENS1_30default_config_static_selectorELNS0_4arch9wavefront6targetE1EEEvT1_
                                        ; -- End function
	.section	.AMDGPU.csdata,"",@progbits
; Kernel info:
; codeLenInByte = 0
; NumSgprs: 6
; NumVgprs: 0
; NumAgprs: 0
; TotalNumVgprs: 0
; ScratchSize: 0
; MemoryBound: 0
; FloatMode: 240
; IeeeMode: 1
; LDSByteSize: 0 bytes/workgroup (compile time only)
; SGPRBlocks: 0
; VGPRBlocks: 0
; NumSGPRsForWavesPerEU: 6
; NumVGPRsForWavesPerEU: 1
; AccumOffset: 4
; Occupancy: 8
; WaveLimiterHint : 0
; COMPUTE_PGM_RSRC2:SCRATCH_EN: 0
; COMPUTE_PGM_RSRC2:USER_SGPR: 2
; COMPUTE_PGM_RSRC2:TRAP_HANDLER: 0
; COMPUTE_PGM_RSRC2:TGID_X_EN: 1
; COMPUTE_PGM_RSRC2:TGID_Y_EN: 0
; COMPUTE_PGM_RSRC2:TGID_Z_EN: 0
; COMPUTE_PGM_RSRC2:TIDIG_COMP_CNT: 0
; COMPUTE_PGM_RSRC3_GFX90A:ACCUM_OFFSET: 0
; COMPUTE_PGM_RSRC3_GFX90A:TG_SPLIT: 0
	.section	.text._ZN7rocprim17ROCPRIM_400000_NS6detail17trampoline_kernelINS0_14default_configENS1_25partition_config_selectorILNS1_17partition_subalgoE8ElNS0_10empty_typeEbEEZZNS1_14partition_implILS5_8ELb0ES3_jPlPS6_PKS6_NS0_5tupleIJS9_S6_EEENSD_IJSA_SA_EEENS0_18inequality_wrapperIZN2at6native12_GLOBAL__N_124unique_dim_cuda_templateImEESt5tupleIJNSH_6TensorESM_SM_EERKSM_lbbbEUlllE0_EEPmJS6_EEE10hipError_tPvRmT3_T4_T5_T6_T7_T9_mT8_P12ihipStream_tbDpT10_ENKUlT_T0_E_clISt17integral_constantIbLb0EES1C_EEDaS17_S18_EUlS17_E_NS1_11comp_targetILNS1_3genE8ELNS1_11target_archE1030ELNS1_3gpuE2ELNS1_3repE0EEENS1_30default_config_static_selectorELNS0_4arch9wavefront6targetE1EEEvT1_,"axG",@progbits,_ZN7rocprim17ROCPRIM_400000_NS6detail17trampoline_kernelINS0_14default_configENS1_25partition_config_selectorILNS1_17partition_subalgoE8ElNS0_10empty_typeEbEEZZNS1_14partition_implILS5_8ELb0ES3_jPlPS6_PKS6_NS0_5tupleIJS9_S6_EEENSD_IJSA_SA_EEENS0_18inequality_wrapperIZN2at6native12_GLOBAL__N_124unique_dim_cuda_templateImEESt5tupleIJNSH_6TensorESM_SM_EERKSM_lbbbEUlllE0_EEPmJS6_EEE10hipError_tPvRmT3_T4_T5_T6_T7_T9_mT8_P12ihipStream_tbDpT10_ENKUlT_T0_E_clISt17integral_constantIbLb0EES1C_EEDaS17_S18_EUlS17_E_NS1_11comp_targetILNS1_3genE8ELNS1_11target_archE1030ELNS1_3gpuE2ELNS1_3repE0EEENS1_30default_config_static_selectorELNS0_4arch9wavefront6targetE1EEEvT1_,comdat
	.globl	_ZN7rocprim17ROCPRIM_400000_NS6detail17trampoline_kernelINS0_14default_configENS1_25partition_config_selectorILNS1_17partition_subalgoE8ElNS0_10empty_typeEbEEZZNS1_14partition_implILS5_8ELb0ES3_jPlPS6_PKS6_NS0_5tupleIJS9_S6_EEENSD_IJSA_SA_EEENS0_18inequality_wrapperIZN2at6native12_GLOBAL__N_124unique_dim_cuda_templateImEESt5tupleIJNSH_6TensorESM_SM_EERKSM_lbbbEUlllE0_EEPmJS6_EEE10hipError_tPvRmT3_T4_T5_T6_T7_T9_mT8_P12ihipStream_tbDpT10_ENKUlT_T0_E_clISt17integral_constantIbLb0EES1C_EEDaS17_S18_EUlS17_E_NS1_11comp_targetILNS1_3genE8ELNS1_11target_archE1030ELNS1_3gpuE2ELNS1_3repE0EEENS1_30default_config_static_selectorELNS0_4arch9wavefront6targetE1EEEvT1_ ; -- Begin function _ZN7rocprim17ROCPRIM_400000_NS6detail17trampoline_kernelINS0_14default_configENS1_25partition_config_selectorILNS1_17partition_subalgoE8ElNS0_10empty_typeEbEEZZNS1_14partition_implILS5_8ELb0ES3_jPlPS6_PKS6_NS0_5tupleIJS9_S6_EEENSD_IJSA_SA_EEENS0_18inequality_wrapperIZN2at6native12_GLOBAL__N_124unique_dim_cuda_templateImEESt5tupleIJNSH_6TensorESM_SM_EERKSM_lbbbEUlllE0_EEPmJS6_EEE10hipError_tPvRmT3_T4_T5_T6_T7_T9_mT8_P12ihipStream_tbDpT10_ENKUlT_T0_E_clISt17integral_constantIbLb0EES1C_EEDaS17_S18_EUlS17_E_NS1_11comp_targetILNS1_3genE8ELNS1_11target_archE1030ELNS1_3gpuE2ELNS1_3repE0EEENS1_30default_config_static_selectorELNS0_4arch9wavefront6targetE1EEEvT1_
	.p2align	8
	.type	_ZN7rocprim17ROCPRIM_400000_NS6detail17trampoline_kernelINS0_14default_configENS1_25partition_config_selectorILNS1_17partition_subalgoE8ElNS0_10empty_typeEbEEZZNS1_14partition_implILS5_8ELb0ES3_jPlPS6_PKS6_NS0_5tupleIJS9_S6_EEENSD_IJSA_SA_EEENS0_18inequality_wrapperIZN2at6native12_GLOBAL__N_124unique_dim_cuda_templateImEESt5tupleIJNSH_6TensorESM_SM_EERKSM_lbbbEUlllE0_EEPmJS6_EEE10hipError_tPvRmT3_T4_T5_T6_T7_T9_mT8_P12ihipStream_tbDpT10_ENKUlT_T0_E_clISt17integral_constantIbLb0EES1C_EEDaS17_S18_EUlS17_E_NS1_11comp_targetILNS1_3genE8ELNS1_11target_archE1030ELNS1_3gpuE2ELNS1_3repE0EEENS1_30default_config_static_selectorELNS0_4arch9wavefront6targetE1EEEvT1_,@function
_ZN7rocprim17ROCPRIM_400000_NS6detail17trampoline_kernelINS0_14default_configENS1_25partition_config_selectorILNS1_17partition_subalgoE8ElNS0_10empty_typeEbEEZZNS1_14partition_implILS5_8ELb0ES3_jPlPS6_PKS6_NS0_5tupleIJS9_S6_EEENSD_IJSA_SA_EEENS0_18inequality_wrapperIZN2at6native12_GLOBAL__N_124unique_dim_cuda_templateImEESt5tupleIJNSH_6TensorESM_SM_EERKSM_lbbbEUlllE0_EEPmJS6_EEE10hipError_tPvRmT3_T4_T5_T6_T7_T9_mT8_P12ihipStream_tbDpT10_ENKUlT_T0_E_clISt17integral_constantIbLb0EES1C_EEDaS17_S18_EUlS17_E_NS1_11comp_targetILNS1_3genE8ELNS1_11target_archE1030ELNS1_3gpuE2ELNS1_3repE0EEENS1_30default_config_static_selectorELNS0_4arch9wavefront6targetE1EEEvT1_: ; @_ZN7rocprim17ROCPRIM_400000_NS6detail17trampoline_kernelINS0_14default_configENS1_25partition_config_selectorILNS1_17partition_subalgoE8ElNS0_10empty_typeEbEEZZNS1_14partition_implILS5_8ELb0ES3_jPlPS6_PKS6_NS0_5tupleIJS9_S6_EEENSD_IJSA_SA_EEENS0_18inequality_wrapperIZN2at6native12_GLOBAL__N_124unique_dim_cuda_templateImEESt5tupleIJNSH_6TensorESM_SM_EERKSM_lbbbEUlllE0_EEPmJS6_EEE10hipError_tPvRmT3_T4_T5_T6_T7_T9_mT8_P12ihipStream_tbDpT10_ENKUlT_T0_E_clISt17integral_constantIbLb0EES1C_EEDaS17_S18_EUlS17_E_NS1_11comp_targetILNS1_3genE8ELNS1_11target_archE1030ELNS1_3gpuE2ELNS1_3repE0EEENS1_30default_config_static_selectorELNS0_4arch9wavefront6targetE1EEEvT1_
; %bb.0:
	.section	.rodata,"a",@progbits
	.p2align	6, 0x0
	.amdhsa_kernel _ZN7rocprim17ROCPRIM_400000_NS6detail17trampoline_kernelINS0_14default_configENS1_25partition_config_selectorILNS1_17partition_subalgoE8ElNS0_10empty_typeEbEEZZNS1_14partition_implILS5_8ELb0ES3_jPlPS6_PKS6_NS0_5tupleIJS9_S6_EEENSD_IJSA_SA_EEENS0_18inequality_wrapperIZN2at6native12_GLOBAL__N_124unique_dim_cuda_templateImEESt5tupleIJNSH_6TensorESM_SM_EERKSM_lbbbEUlllE0_EEPmJS6_EEE10hipError_tPvRmT3_T4_T5_T6_T7_T9_mT8_P12ihipStream_tbDpT10_ENKUlT_T0_E_clISt17integral_constantIbLb0EES1C_EEDaS17_S18_EUlS17_E_NS1_11comp_targetILNS1_3genE8ELNS1_11target_archE1030ELNS1_3gpuE2ELNS1_3repE0EEENS1_30default_config_static_selectorELNS0_4arch9wavefront6targetE1EEEvT1_
		.amdhsa_group_segment_fixed_size 0
		.amdhsa_private_segment_fixed_size 0
		.amdhsa_kernarg_size 120
		.amdhsa_user_sgpr_count 2
		.amdhsa_user_sgpr_dispatch_ptr 0
		.amdhsa_user_sgpr_queue_ptr 0
		.amdhsa_user_sgpr_kernarg_segment_ptr 1
		.amdhsa_user_sgpr_dispatch_id 0
		.amdhsa_user_sgpr_kernarg_preload_length 0
		.amdhsa_user_sgpr_kernarg_preload_offset 0
		.amdhsa_user_sgpr_private_segment_size 0
		.amdhsa_uses_dynamic_stack 0
		.amdhsa_enable_private_segment 0
		.amdhsa_system_sgpr_workgroup_id_x 1
		.amdhsa_system_sgpr_workgroup_id_y 0
		.amdhsa_system_sgpr_workgroup_id_z 0
		.amdhsa_system_sgpr_workgroup_info 0
		.amdhsa_system_vgpr_workitem_id 0
		.amdhsa_next_free_vgpr 1
		.amdhsa_next_free_sgpr 0
		.amdhsa_accum_offset 4
		.amdhsa_reserve_vcc 0
		.amdhsa_float_round_mode_32 0
		.amdhsa_float_round_mode_16_64 0
		.amdhsa_float_denorm_mode_32 3
		.amdhsa_float_denorm_mode_16_64 3
		.amdhsa_dx10_clamp 1
		.amdhsa_ieee_mode 1
		.amdhsa_fp16_overflow 0
		.amdhsa_tg_split 0
		.amdhsa_exception_fp_ieee_invalid_op 0
		.amdhsa_exception_fp_denorm_src 0
		.amdhsa_exception_fp_ieee_div_zero 0
		.amdhsa_exception_fp_ieee_overflow 0
		.amdhsa_exception_fp_ieee_underflow 0
		.amdhsa_exception_fp_ieee_inexact 0
		.amdhsa_exception_int_div_zero 0
	.end_amdhsa_kernel
	.section	.text._ZN7rocprim17ROCPRIM_400000_NS6detail17trampoline_kernelINS0_14default_configENS1_25partition_config_selectorILNS1_17partition_subalgoE8ElNS0_10empty_typeEbEEZZNS1_14partition_implILS5_8ELb0ES3_jPlPS6_PKS6_NS0_5tupleIJS9_S6_EEENSD_IJSA_SA_EEENS0_18inequality_wrapperIZN2at6native12_GLOBAL__N_124unique_dim_cuda_templateImEESt5tupleIJNSH_6TensorESM_SM_EERKSM_lbbbEUlllE0_EEPmJS6_EEE10hipError_tPvRmT3_T4_T5_T6_T7_T9_mT8_P12ihipStream_tbDpT10_ENKUlT_T0_E_clISt17integral_constantIbLb0EES1C_EEDaS17_S18_EUlS17_E_NS1_11comp_targetILNS1_3genE8ELNS1_11target_archE1030ELNS1_3gpuE2ELNS1_3repE0EEENS1_30default_config_static_selectorELNS0_4arch9wavefront6targetE1EEEvT1_,"axG",@progbits,_ZN7rocprim17ROCPRIM_400000_NS6detail17trampoline_kernelINS0_14default_configENS1_25partition_config_selectorILNS1_17partition_subalgoE8ElNS0_10empty_typeEbEEZZNS1_14partition_implILS5_8ELb0ES3_jPlPS6_PKS6_NS0_5tupleIJS9_S6_EEENSD_IJSA_SA_EEENS0_18inequality_wrapperIZN2at6native12_GLOBAL__N_124unique_dim_cuda_templateImEESt5tupleIJNSH_6TensorESM_SM_EERKSM_lbbbEUlllE0_EEPmJS6_EEE10hipError_tPvRmT3_T4_T5_T6_T7_T9_mT8_P12ihipStream_tbDpT10_ENKUlT_T0_E_clISt17integral_constantIbLb0EES1C_EEDaS17_S18_EUlS17_E_NS1_11comp_targetILNS1_3genE8ELNS1_11target_archE1030ELNS1_3gpuE2ELNS1_3repE0EEENS1_30default_config_static_selectorELNS0_4arch9wavefront6targetE1EEEvT1_,comdat
.Lfunc_end1681:
	.size	_ZN7rocprim17ROCPRIM_400000_NS6detail17trampoline_kernelINS0_14default_configENS1_25partition_config_selectorILNS1_17partition_subalgoE8ElNS0_10empty_typeEbEEZZNS1_14partition_implILS5_8ELb0ES3_jPlPS6_PKS6_NS0_5tupleIJS9_S6_EEENSD_IJSA_SA_EEENS0_18inequality_wrapperIZN2at6native12_GLOBAL__N_124unique_dim_cuda_templateImEESt5tupleIJNSH_6TensorESM_SM_EERKSM_lbbbEUlllE0_EEPmJS6_EEE10hipError_tPvRmT3_T4_T5_T6_T7_T9_mT8_P12ihipStream_tbDpT10_ENKUlT_T0_E_clISt17integral_constantIbLb0EES1C_EEDaS17_S18_EUlS17_E_NS1_11comp_targetILNS1_3genE8ELNS1_11target_archE1030ELNS1_3gpuE2ELNS1_3repE0EEENS1_30default_config_static_selectorELNS0_4arch9wavefront6targetE1EEEvT1_, .Lfunc_end1681-_ZN7rocprim17ROCPRIM_400000_NS6detail17trampoline_kernelINS0_14default_configENS1_25partition_config_selectorILNS1_17partition_subalgoE8ElNS0_10empty_typeEbEEZZNS1_14partition_implILS5_8ELb0ES3_jPlPS6_PKS6_NS0_5tupleIJS9_S6_EEENSD_IJSA_SA_EEENS0_18inequality_wrapperIZN2at6native12_GLOBAL__N_124unique_dim_cuda_templateImEESt5tupleIJNSH_6TensorESM_SM_EERKSM_lbbbEUlllE0_EEPmJS6_EEE10hipError_tPvRmT3_T4_T5_T6_T7_T9_mT8_P12ihipStream_tbDpT10_ENKUlT_T0_E_clISt17integral_constantIbLb0EES1C_EEDaS17_S18_EUlS17_E_NS1_11comp_targetILNS1_3genE8ELNS1_11target_archE1030ELNS1_3gpuE2ELNS1_3repE0EEENS1_30default_config_static_selectorELNS0_4arch9wavefront6targetE1EEEvT1_
                                        ; -- End function
	.section	.AMDGPU.csdata,"",@progbits
; Kernel info:
; codeLenInByte = 0
; NumSgprs: 6
; NumVgprs: 0
; NumAgprs: 0
; TotalNumVgprs: 0
; ScratchSize: 0
; MemoryBound: 0
; FloatMode: 240
; IeeeMode: 1
; LDSByteSize: 0 bytes/workgroup (compile time only)
; SGPRBlocks: 0
; VGPRBlocks: 0
; NumSGPRsForWavesPerEU: 6
; NumVGPRsForWavesPerEU: 1
; AccumOffset: 4
; Occupancy: 8
; WaveLimiterHint : 0
; COMPUTE_PGM_RSRC2:SCRATCH_EN: 0
; COMPUTE_PGM_RSRC2:USER_SGPR: 2
; COMPUTE_PGM_RSRC2:TRAP_HANDLER: 0
; COMPUTE_PGM_RSRC2:TGID_X_EN: 1
; COMPUTE_PGM_RSRC2:TGID_Y_EN: 0
; COMPUTE_PGM_RSRC2:TGID_Z_EN: 0
; COMPUTE_PGM_RSRC2:TIDIG_COMP_CNT: 0
; COMPUTE_PGM_RSRC3_GFX90A:ACCUM_OFFSET: 0
; COMPUTE_PGM_RSRC3_GFX90A:TG_SPLIT: 0
	.section	.text._ZN7rocprim17ROCPRIM_400000_NS6detail17trampoline_kernelINS0_14default_configENS1_25partition_config_selectorILNS1_17partition_subalgoE8ElNS0_10empty_typeEbEEZZNS1_14partition_implILS5_8ELb0ES3_jPlPS6_PKS6_NS0_5tupleIJS9_S6_EEENSD_IJSA_SA_EEENS0_18inequality_wrapperIZN2at6native12_GLOBAL__N_124unique_dim_cuda_templateImEESt5tupleIJNSH_6TensorESM_SM_EERKSM_lbbbEUlllE0_EEPmJS6_EEE10hipError_tPvRmT3_T4_T5_T6_T7_T9_mT8_P12ihipStream_tbDpT10_ENKUlT_T0_E_clISt17integral_constantIbLb1EES1C_EEDaS17_S18_EUlS17_E_NS1_11comp_targetILNS1_3genE0ELNS1_11target_archE4294967295ELNS1_3gpuE0ELNS1_3repE0EEENS1_30default_config_static_selectorELNS0_4arch9wavefront6targetE1EEEvT1_,"axG",@progbits,_ZN7rocprim17ROCPRIM_400000_NS6detail17trampoline_kernelINS0_14default_configENS1_25partition_config_selectorILNS1_17partition_subalgoE8ElNS0_10empty_typeEbEEZZNS1_14partition_implILS5_8ELb0ES3_jPlPS6_PKS6_NS0_5tupleIJS9_S6_EEENSD_IJSA_SA_EEENS0_18inequality_wrapperIZN2at6native12_GLOBAL__N_124unique_dim_cuda_templateImEESt5tupleIJNSH_6TensorESM_SM_EERKSM_lbbbEUlllE0_EEPmJS6_EEE10hipError_tPvRmT3_T4_T5_T6_T7_T9_mT8_P12ihipStream_tbDpT10_ENKUlT_T0_E_clISt17integral_constantIbLb1EES1C_EEDaS17_S18_EUlS17_E_NS1_11comp_targetILNS1_3genE0ELNS1_11target_archE4294967295ELNS1_3gpuE0ELNS1_3repE0EEENS1_30default_config_static_selectorELNS0_4arch9wavefront6targetE1EEEvT1_,comdat
	.globl	_ZN7rocprim17ROCPRIM_400000_NS6detail17trampoline_kernelINS0_14default_configENS1_25partition_config_selectorILNS1_17partition_subalgoE8ElNS0_10empty_typeEbEEZZNS1_14partition_implILS5_8ELb0ES3_jPlPS6_PKS6_NS0_5tupleIJS9_S6_EEENSD_IJSA_SA_EEENS0_18inequality_wrapperIZN2at6native12_GLOBAL__N_124unique_dim_cuda_templateImEESt5tupleIJNSH_6TensorESM_SM_EERKSM_lbbbEUlllE0_EEPmJS6_EEE10hipError_tPvRmT3_T4_T5_T6_T7_T9_mT8_P12ihipStream_tbDpT10_ENKUlT_T0_E_clISt17integral_constantIbLb1EES1C_EEDaS17_S18_EUlS17_E_NS1_11comp_targetILNS1_3genE0ELNS1_11target_archE4294967295ELNS1_3gpuE0ELNS1_3repE0EEENS1_30default_config_static_selectorELNS0_4arch9wavefront6targetE1EEEvT1_ ; -- Begin function _ZN7rocprim17ROCPRIM_400000_NS6detail17trampoline_kernelINS0_14default_configENS1_25partition_config_selectorILNS1_17partition_subalgoE8ElNS0_10empty_typeEbEEZZNS1_14partition_implILS5_8ELb0ES3_jPlPS6_PKS6_NS0_5tupleIJS9_S6_EEENSD_IJSA_SA_EEENS0_18inequality_wrapperIZN2at6native12_GLOBAL__N_124unique_dim_cuda_templateImEESt5tupleIJNSH_6TensorESM_SM_EERKSM_lbbbEUlllE0_EEPmJS6_EEE10hipError_tPvRmT3_T4_T5_T6_T7_T9_mT8_P12ihipStream_tbDpT10_ENKUlT_T0_E_clISt17integral_constantIbLb1EES1C_EEDaS17_S18_EUlS17_E_NS1_11comp_targetILNS1_3genE0ELNS1_11target_archE4294967295ELNS1_3gpuE0ELNS1_3repE0EEENS1_30default_config_static_selectorELNS0_4arch9wavefront6targetE1EEEvT1_
	.p2align	8
	.type	_ZN7rocprim17ROCPRIM_400000_NS6detail17trampoline_kernelINS0_14default_configENS1_25partition_config_selectorILNS1_17partition_subalgoE8ElNS0_10empty_typeEbEEZZNS1_14partition_implILS5_8ELb0ES3_jPlPS6_PKS6_NS0_5tupleIJS9_S6_EEENSD_IJSA_SA_EEENS0_18inequality_wrapperIZN2at6native12_GLOBAL__N_124unique_dim_cuda_templateImEESt5tupleIJNSH_6TensorESM_SM_EERKSM_lbbbEUlllE0_EEPmJS6_EEE10hipError_tPvRmT3_T4_T5_T6_T7_T9_mT8_P12ihipStream_tbDpT10_ENKUlT_T0_E_clISt17integral_constantIbLb1EES1C_EEDaS17_S18_EUlS17_E_NS1_11comp_targetILNS1_3genE0ELNS1_11target_archE4294967295ELNS1_3gpuE0ELNS1_3repE0EEENS1_30default_config_static_selectorELNS0_4arch9wavefront6targetE1EEEvT1_,@function
_ZN7rocprim17ROCPRIM_400000_NS6detail17trampoline_kernelINS0_14default_configENS1_25partition_config_selectorILNS1_17partition_subalgoE8ElNS0_10empty_typeEbEEZZNS1_14partition_implILS5_8ELb0ES3_jPlPS6_PKS6_NS0_5tupleIJS9_S6_EEENSD_IJSA_SA_EEENS0_18inequality_wrapperIZN2at6native12_GLOBAL__N_124unique_dim_cuda_templateImEESt5tupleIJNSH_6TensorESM_SM_EERKSM_lbbbEUlllE0_EEPmJS6_EEE10hipError_tPvRmT3_T4_T5_T6_T7_T9_mT8_P12ihipStream_tbDpT10_ENKUlT_T0_E_clISt17integral_constantIbLb1EES1C_EEDaS17_S18_EUlS17_E_NS1_11comp_targetILNS1_3genE0ELNS1_11target_archE4294967295ELNS1_3gpuE0ELNS1_3repE0EEENS1_30default_config_static_selectorELNS0_4arch9wavefront6targetE1EEEvT1_: ; @_ZN7rocprim17ROCPRIM_400000_NS6detail17trampoline_kernelINS0_14default_configENS1_25partition_config_selectorILNS1_17partition_subalgoE8ElNS0_10empty_typeEbEEZZNS1_14partition_implILS5_8ELb0ES3_jPlPS6_PKS6_NS0_5tupleIJS9_S6_EEENSD_IJSA_SA_EEENS0_18inequality_wrapperIZN2at6native12_GLOBAL__N_124unique_dim_cuda_templateImEESt5tupleIJNSH_6TensorESM_SM_EERKSM_lbbbEUlllE0_EEPmJS6_EEE10hipError_tPvRmT3_T4_T5_T6_T7_T9_mT8_P12ihipStream_tbDpT10_ENKUlT_T0_E_clISt17integral_constantIbLb1EES1C_EEDaS17_S18_EUlS17_E_NS1_11comp_targetILNS1_3genE0ELNS1_11target_archE4294967295ELNS1_3gpuE0ELNS1_3repE0EEENS1_30default_config_static_selectorELNS0_4arch9wavefront6targetE1EEEvT1_
; %bb.0:
	.section	.rodata,"a",@progbits
	.p2align	6, 0x0
	.amdhsa_kernel _ZN7rocprim17ROCPRIM_400000_NS6detail17trampoline_kernelINS0_14default_configENS1_25partition_config_selectorILNS1_17partition_subalgoE8ElNS0_10empty_typeEbEEZZNS1_14partition_implILS5_8ELb0ES3_jPlPS6_PKS6_NS0_5tupleIJS9_S6_EEENSD_IJSA_SA_EEENS0_18inequality_wrapperIZN2at6native12_GLOBAL__N_124unique_dim_cuda_templateImEESt5tupleIJNSH_6TensorESM_SM_EERKSM_lbbbEUlllE0_EEPmJS6_EEE10hipError_tPvRmT3_T4_T5_T6_T7_T9_mT8_P12ihipStream_tbDpT10_ENKUlT_T0_E_clISt17integral_constantIbLb1EES1C_EEDaS17_S18_EUlS17_E_NS1_11comp_targetILNS1_3genE0ELNS1_11target_archE4294967295ELNS1_3gpuE0ELNS1_3repE0EEENS1_30default_config_static_selectorELNS0_4arch9wavefront6targetE1EEEvT1_
		.amdhsa_group_segment_fixed_size 0
		.amdhsa_private_segment_fixed_size 0
		.amdhsa_kernarg_size 136
		.amdhsa_user_sgpr_count 2
		.amdhsa_user_sgpr_dispatch_ptr 0
		.amdhsa_user_sgpr_queue_ptr 0
		.amdhsa_user_sgpr_kernarg_segment_ptr 1
		.amdhsa_user_sgpr_dispatch_id 0
		.amdhsa_user_sgpr_kernarg_preload_length 0
		.amdhsa_user_sgpr_kernarg_preload_offset 0
		.amdhsa_user_sgpr_private_segment_size 0
		.amdhsa_uses_dynamic_stack 0
		.amdhsa_enable_private_segment 0
		.amdhsa_system_sgpr_workgroup_id_x 1
		.amdhsa_system_sgpr_workgroup_id_y 0
		.amdhsa_system_sgpr_workgroup_id_z 0
		.amdhsa_system_sgpr_workgroup_info 0
		.amdhsa_system_vgpr_workitem_id 0
		.amdhsa_next_free_vgpr 1
		.amdhsa_next_free_sgpr 0
		.amdhsa_accum_offset 4
		.amdhsa_reserve_vcc 0
		.amdhsa_float_round_mode_32 0
		.amdhsa_float_round_mode_16_64 0
		.amdhsa_float_denorm_mode_32 3
		.amdhsa_float_denorm_mode_16_64 3
		.amdhsa_dx10_clamp 1
		.amdhsa_ieee_mode 1
		.amdhsa_fp16_overflow 0
		.amdhsa_tg_split 0
		.amdhsa_exception_fp_ieee_invalid_op 0
		.amdhsa_exception_fp_denorm_src 0
		.amdhsa_exception_fp_ieee_div_zero 0
		.amdhsa_exception_fp_ieee_overflow 0
		.amdhsa_exception_fp_ieee_underflow 0
		.amdhsa_exception_fp_ieee_inexact 0
		.amdhsa_exception_int_div_zero 0
	.end_amdhsa_kernel
	.section	.text._ZN7rocprim17ROCPRIM_400000_NS6detail17trampoline_kernelINS0_14default_configENS1_25partition_config_selectorILNS1_17partition_subalgoE8ElNS0_10empty_typeEbEEZZNS1_14partition_implILS5_8ELb0ES3_jPlPS6_PKS6_NS0_5tupleIJS9_S6_EEENSD_IJSA_SA_EEENS0_18inequality_wrapperIZN2at6native12_GLOBAL__N_124unique_dim_cuda_templateImEESt5tupleIJNSH_6TensorESM_SM_EERKSM_lbbbEUlllE0_EEPmJS6_EEE10hipError_tPvRmT3_T4_T5_T6_T7_T9_mT8_P12ihipStream_tbDpT10_ENKUlT_T0_E_clISt17integral_constantIbLb1EES1C_EEDaS17_S18_EUlS17_E_NS1_11comp_targetILNS1_3genE0ELNS1_11target_archE4294967295ELNS1_3gpuE0ELNS1_3repE0EEENS1_30default_config_static_selectorELNS0_4arch9wavefront6targetE1EEEvT1_,"axG",@progbits,_ZN7rocprim17ROCPRIM_400000_NS6detail17trampoline_kernelINS0_14default_configENS1_25partition_config_selectorILNS1_17partition_subalgoE8ElNS0_10empty_typeEbEEZZNS1_14partition_implILS5_8ELb0ES3_jPlPS6_PKS6_NS0_5tupleIJS9_S6_EEENSD_IJSA_SA_EEENS0_18inequality_wrapperIZN2at6native12_GLOBAL__N_124unique_dim_cuda_templateImEESt5tupleIJNSH_6TensorESM_SM_EERKSM_lbbbEUlllE0_EEPmJS6_EEE10hipError_tPvRmT3_T4_T5_T6_T7_T9_mT8_P12ihipStream_tbDpT10_ENKUlT_T0_E_clISt17integral_constantIbLb1EES1C_EEDaS17_S18_EUlS17_E_NS1_11comp_targetILNS1_3genE0ELNS1_11target_archE4294967295ELNS1_3gpuE0ELNS1_3repE0EEENS1_30default_config_static_selectorELNS0_4arch9wavefront6targetE1EEEvT1_,comdat
.Lfunc_end1682:
	.size	_ZN7rocprim17ROCPRIM_400000_NS6detail17trampoline_kernelINS0_14default_configENS1_25partition_config_selectorILNS1_17partition_subalgoE8ElNS0_10empty_typeEbEEZZNS1_14partition_implILS5_8ELb0ES3_jPlPS6_PKS6_NS0_5tupleIJS9_S6_EEENSD_IJSA_SA_EEENS0_18inequality_wrapperIZN2at6native12_GLOBAL__N_124unique_dim_cuda_templateImEESt5tupleIJNSH_6TensorESM_SM_EERKSM_lbbbEUlllE0_EEPmJS6_EEE10hipError_tPvRmT3_T4_T5_T6_T7_T9_mT8_P12ihipStream_tbDpT10_ENKUlT_T0_E_clISt17integral_constantIbLb1EES1C_EEDaS17_S18_EUlS17_E_NS1_11comp_targetILNS1_3genE0ELNS1_11target_archE4294967295ELNS1_3gpuE0ELNS1_3repE0EEENS1_30default_config_static_selectorELNS0_4arch9wavefront6targetE1EEEvT1_, .Lfunc_end1682-_ZN7rocprim17ROCPRIM_400000_NS6detail17trampoline_kernelINS0_14default_configENS1_25partition_config_selectorILNS1_17partition_subalgoE8ElNS0_10empty_typeEbEEZZNS1_14partition_implILS5_8ELb0ES3_jPlPS6_PKS6_NS0_5tupleIJS9_S6_EEENSD_IJSA_SA_EEENS0_18inequality_wrapperIZN2at6native12_GLOBAL__N_124unique_dim_cuda_templateImEESt5tupleIJNSH_6TensorESM_SM_EERKSM_lbbbEUlllE0_EEPmJS6_EEE10hipError_tPvRmT3_T4_T5_T6_T7_T9_mT8_P12ihipStream_tbDpT10_ENKUlT_T0_E_clISt17integral_constantIbLb1EES1C_EEDaS17_S18_EUlS17_E_NS1_11comp_targetILNS1_3genE0ELNS1_11target_archE4294967295ELNS1_3gpuE0ELNS1_3repE0EEENS1_30default_config_static_selectorELNS0_4arch9wavefront6targetE1EEEvT1_
                                        ; -- End function
	.section	.AMDGPU.csdata,"",@progbits
; Kernel info:
; codeLenInByte = 0
; NumSgprs: 6
; NumVgprs: 0
; NumAgprs: 0
; TotalNumVgprs: 0
; ScratchSize: 0
; MemoryBound: 0
; FloatMode: 240
; IeeeMode: 1
; LDSByteSize: 0 bytes/workgroup (compile time only)
; SGPRBlocks: 0
; VGPRBlocks: 0
; NumSGPRsForWavesPerEU: 6
; NumVGPRsForWavesPerEU: 1
; AccumOffset: 4
; Occupancy: 8
; WaveLimiterHint : 0
; COMPUTE_PGM_RSRC2:SCRATCH_EN: 0
; COMPUTE_PGM_RSRC2:USER_SGPR: 2
; COMPUTE_PGM_RSRC2:TRAP_HANDLER: 0
; COMPUTE_PGM_RSRC2:TGID_X_EN: 1
; COMPUTE_PGM_RSRC2:TGID_Y_EN: 0
; COMPUTE_PGM_RSRC2:TGID_Z_EN: 0
; COMPUTE_PGM_RSRC2:TIDIG_COMP_CNT: 0
; COMPUTE_PGM_RSRC3_GFX90A:ACCUM_OFFSET: 0
; COMPUTE_PGM_RSRC3_GFX90A:TG_SPLIT: 0
	.section	.text._ZN7rocprim17ROCPRIM_400000_NS6detail17trampoline_kernelINS0_14default_configENS1_25partition_config_selectorILNS1_17partition_subalgoE8ElNS0_10empty_typeEbEEZZNS1_14partition_implILS5_8ELb0ES3_jPlPS6_PKS6_NS0_5tupleIJS9_S6_EEENSD_IJSA_SA_EEENS0_18inequality_wrapperIZN2at6native12_GLOBAL__N_124unique_dim_cuda_templateImEESt5tupleIJNSH_6TensorESM_SM_EERKSM_lbbbEUlllE0_EEPmJS6_EEE10hipError_tPvRmT3_T4_T5_T6_T7_T9_mT8_P12ihipStream_tbDpT10_ENKUlT_T0_E_clISt17integral_constantIbLb1EES1C_EEDaS17_S18_EUlS17_E_NS1_11comp_targetILNS1_3genE5ELNS1_11target_archE942ELNS1_3gpuE9ELNS1_3repE0EEENS1_30default_config_static_selectorELNS0_4arch9wavefront6targetE1EEEvT1_,"axG",@progbits,_ZN7rocprim17ROCPRIM_400000_NS6detail17trampoline_kernelINS0_14default_configENS1_25partition_config_selectorILNS1_17partition_subalgoE8ElNS0_10empty_typeEbEEZZNS1_14partition_implILS5_8ELb0ES3_jPlPS6_PKS6_NS0_5tupleIJS9_S6_EEENSD_IJSA_SA_EEENS0_18inequality_wrapperIZN2at6native12_GLOBAL__N_124unique_dim_cuda_templateImEESt5tupleIJNSH_6TensorESM_SM_EERKSM_lbbbEUlllE0_EEPmJS6_EEE10hipError_tPvRmT3_T4_T5_T6_T7_T9_mT8_P12ihipStream_tbDpT10_ENKUlT_T0_E_clISt17integral_constantIbLb1EES1C_EEDaS17_S18_EUlS17_E_NS1_11comp_targetILNS1_3genE5ELNS1_11target_archE942ELNS1_3gpuE9ELNS1_3repE0EEENS1_30default_config_static_selectorELNS0_4arch9wavefront6targetE1EEEvT1_,comdat
	.globl	_ZN7rocprim17ROCPRIM_400000_NS6detail17trampoline_kernelINS0_14default_configENS1_25partition_config_selectorILNS1_17partition_subalgoE8ElNS0_10empty_typeEbEEZZNS1_14partition_implILS5_8ELb0ES3_jPlPS6_PKS6_NS0_5tupleIJS9_S6_EEENSD_IJSA_SA_EEENS0_18inequality_wrapperIZN2at6native12_GLOBAL__N_124unique_dim_cuda_templateImEESt5tupleIJNSH_6TensorESM_SM_EERKSM_lbbbEUlllE0_EEPmJS6_EEE10hipError_tPvRmT3_T4_T5_T6_T7_T9_mT8_P12ihipStream_tbDpT10_ENKUlT_T0_E_clISt17integral_constantIbLb1EES1C_EEDaS17_S18_EUlS17_E_NS1_11comp_targetILNS1_3genE5ELNS1_11target_archE942ELNS1_3gpuE9ELNS1_3repE0EEENS1_30default_config_static_selectorELNS0_4arch9wavefront6targetE1EEEvT1_ ; -- Begin function _ZN7rocprim17ROCPRIM_400000_NS6detail17trampoline_kernelINS0_14default_configENS1_25partition_config_selectorILNS1_17partition_subalgoE8ElNS0_10empty_typeEbEEZZNS1_14partition_implILS5_8ELb0ES3_jPlPS6_PKS6_NS0_5tupleIJS9_S6_EEENSD_IJSA_SA_EEENS0_18inequality_wrapperIZN2at6native12_GLOBAL__N_124unique_dim_cuda_templateImEESt5tupleIJNSH_6TensorESM_SM_EERKSM_lbbbEUlllE0_EEPmJS6_EEE10hipError_tPvRmT3_T4_T5_T6_T7_T9_mT8_P12ihipStream_tbDpT10_ENKUlT_T0_E_clISt17integral_constantIbLb1EES1C_EEDaS17_S18_EUlS17_E_NS1_11comp_targetILNS1_3genE5ELNS1_11target_archE942ELNS1_3gpuE9ELNS1_3repE0EEENS1_30default_config_static_selectorELNS0_4arch9wavefront6targetE1EEEvT1_
	.p2align	8
	.type	_ZN7rocprim17ROCPRIM_400000_NS6detail17trampoline_kernelINS0_14default_configENS1_25partition_config_selectorILNS1_17partition_subalgoE8ElNS0_10empty_typeEbEEZZNS1_14partition_implILS5_8ELb0ES3_jPlPS6_PKS6_NS0_5tupleIJS9_S6_EEENSD_IJSA_SA_EEENS0_18inequality_wrapperIZN2at6native12_GLOBAL__N_124unique_dim_cuda_templateImEESt5tupleIJNSH_6TensorESM_SM_EERKSM_lbbbEUlllE0_EEPmJS6_EEE10hipError_tPvRmT3_T4_T5_T6_T7_T9_mT8_P12ihipStream_tbDpT10_ENKUlT_T0_E_clISt17integral_constantIbLb1EES1C_EEDaS17_S18_EUlS17_E_NS1_11comp_targetILNS1_3genE5ELNS1_11target_archE942ELNS1_3gpuE9ELNS1_3repE0EEENS1_30default_config_static_selectorELNS0_4arch9wavefront6targetE1EEEvT1_,@function
_ZN7rocprim17ROCPRIM_400000_NS6detail17trampoline_kernelINS0_14default_configENS1_25partition_config_selectorILNS1_17partition_subalgoE8ElNS0_10empty_typeEbEEZZNS1_14partition_implILS5_8ELb0ES3_jPlPS6_PKS6_NS0_5tupleIJS9_S6_EEENSD_IJSA_SA_EEENS0_18inequality_wrapperIZN2at6native12_GLOBAL__N_124unique_dim_cuda_templateImEESt5tupleIJNSH_6TensorESM_SM_EERKSM_lbbbEUlllE0_EEPmJS6_EEE10hipError_tPvRmT3_T4_T5_T6_T7_T9_mT8_P12ihipStream_tbDpT10_ENKUlT_T0_E_clISt17integral_constantIbLb1EES1C_EEDaS17_S18_EUlS17_E_NS1_11comp_targetILNS1_3genE5ELNS1_11target_archE942ELNS1_3gpuE9ELNS1_3repE0EEENS1_30default_config_static_selectorELNS0_4arch9wavefront6targetE1EEEvT1_: ; @_ZN7rocprim17ROCPRIM_400000_NS6detail17trampoline_kernelINS0_14default_configENS1_25partition_config_selectorILNS1_17partition_subalgoE8ElNS0_10empty_typeEbEEZZNS1_14partition_implILS5_8ELb0ES3_jPlPS6_PKS6_NS0_5tupleIJS9_S6_EEENSD_IJSA_SA_EEENS0_18inequality_wrapperIZN2at6native12_GLOBAL__N_124unique_dim_cuda_templateImEESt5tupleIJNSH_6TensorESM_SM_EERKSM_lbbbEUlllE0_EEPmJS6_EEE10hipError_tPvRmT3_T4_T5_T6_T7_T9_mT8_P12ihipStream_tbDpT10_ENKUlT_T0_E_clISt17integral_constantIbLb1EES1C_EEDaS17_S18_EUlS17_E_NS1_11comp_targetILNS1_3genE5ELNS1_11target_archE942ELNS1_3gpuE9ELNS1_3repE0EEENS1_30default_config_static_selectorELNS0_4arch9wavefront6targetE1EEEvT1_
; %bb.0:
	s_load_dwordx2 s[34:35], s[0:1], 0x28
	s_load_dwordx8 s[20:27], s[0:1], 0x40
	s_load_dwordx4 s[28:31], s[0:1], 0x60
	v_cmp_ne_u32_e64 s[2:3], 0, v0
	v_cmp_eq_u32_e64 s[18:19], 0, v0
	s_and_saveexec_b64 s[4:5], s[18:19]
	s_cbranch_execz .LBB1683_4
; %bb.1:
	s_mov_b64 s[8:9], exec
	v_mbcnt_lo_u32_b32 v1, s8, 0
	v_mbcnt_hi_u32_b32 v1, s9, v1
	v_cmp_eq_u32_e32 vcc, 0, v1
                                        ; implicit-def: $vgpr2
	s_and_saveexec_b64 s[6:7], vcc
	s_cbranch_execz .LBB1683_3
; %bb.2:
	s_load_dwordx2 s[10:11], s[0:1], 0x78
	s_bcnt1_i32_b64 s8, s[8:9]
	v_mov_b32_e32 v2, 0
	v_mov_b32_e32 v3, s8
	s_waitcnt lgkmcnt(0)
	global_atomic_add v2, v2, v3, s[10:11] sc0
.LBB1683_3:
	s_or_b64 exec, exec, s[6:7]
	s_waitcnt vmcnt(0)
	v_readfirstlane_b32 s6, v2
	v_mov_b32_e32 v2, 0
	s_nop 0
	v_add_u32_e32 v1, s6, v1
	ds_write_b32 v2, v1
.LBB1683_4:
	s_or_b64 exec, exec, s[4:5]
	v_mov_b32_e32 v3, 0
	s_load_dwordx4 s[4:7], s[0:1], 0x8
	s_load_dword s10, s[0:1], 0x70
	s_waitcnt lgkmcnt(0)
	s_barrier
	ds_read_b32 v1, v3
	s_waitcnt lgkmcnt(0)
	s_barrier
	global_load_dwordx2 v[4:5], v3, s[22:23]
	s_lshl_b64 s[0:1], s[6:7], 3
	s_mul_i32 s12, s10, 0xe00
	s_add_u32 s0, s4, s0
	s_addc_u32 s1, s5, s1
	s_add_i32 s4, s12, s6
	s_add_i32 s10, s10, -1
	s_sub_i32 s52, s24, s4
	s_add_u32 s4, s6, s12
	s_movk_i32 s11, 0xe00
	s_addc_u32 s5, s7, 0
	v_readfirstlane_b32 s33, v1
	v_mov_b32_e32 v6, s24
	v_mov_b32_e32 v7, s25
	v_mul_lo_u32 v2, v1, s11
	s_cmp_eq_u32 s33, s10
	v_cmp_ge_u64_e32 vcc, s[4:5], v[6:7]
	v_lshlrev_b64 v[6:7], 3, v[2:3]
	s_cselect_b64 s[24:25], -1, 0
	v_lshl_add_u64 v[18:19], s[0:1], 0, v[6:7]
	s_and_b64 s[0:1], vcc, s[24:25]
	s_xor_b64 s[36:37], s[0:1], -1
	s_mov_b64 s[8:9], -1
	s_and_b64 vcc, exec, s[36:37]
	s_waitcnt vmcnt(0)
	v_readfirstlane_b32 s22, v4
	v_readfirstlane_b32 s23, v5
	s_cbranch_vccz .LBB1683_6
; %bb.5:
	v_lshlrev_b32_e32 v2, 3, v0
	v_lshl_add_u64 v[4:5], v[18:19], 0, v[2:3]
	v_add_co_u32_e32 v8, vcc, 0x1000, v4
	v_readfirstlane_b32 s4, v18
	s_nop 0
	v_addc_co_u32_e32 v9, vcc, 0, v5, vcc
	v_add_co_u32_e32 v10, vcc, 0x2000, v4
	v_readfirstlane_b32 s5, v19
	s_nop 0
	v_addc_co_u32_e32 v11, vcc, 0, v5, vcc
	v_add_co_u32_e32 v12, vcc, 0x3000, v4
	s_mov_b64 s[8:9], 0
	s_nop 0
	v_addc_co_u32_e32 v13, vcc, 0, v5, vcc
	v_add_co_u32_e32 v14, vcc, 0x4000, v4
	global_load_dwordx2 v[6:7], v2, s[4:5]
	s_nop 0
	v_addc_co_u32_e32 v15, vcc, 0, v5, vcc
	global_load_dwordx2 v[16:17], v[8:9], off
	global_load_dwordx2 v[20:21], v[10:11], off
	;; [unrolled: 1-line block ×4, first 2 shown]
	v_add_co_u32_e32 v8, vcc, 0x5000, v4
	s_nop 1
	v_addc_co_u32_e32 v9, vcc, 0, v5, vcc
	v_add_co_u32_e32 v4, vcc, 0x6000, v4
	global_load_dwordx2 v[8:9], v[8:9], off
	s_nop 0
	v_addc_co_u32_e32 v5, vcc, 0, v5, vcc
	global_load_dwordx2 v[4:5], v[4:5], off
	s_waitcnt vmcnt(5)
	ds_write2st64_b64 v2, v[6:7], v[16:17] offset1:8
	s_waitcnt vmcnt(3)
	ds_write2st64_b64 v2, v[20:21], v[22:23] offset0:16 offset1:24
	s_waitcnt vmcnt(1)
	ds_write2st64_b64 v2, v[24:25], v[8:9] offset0:32 offset1:40
	s_waitcnt vmcnt(0)
	ds_write_b64 v2, v[4:5] offset:24576
	s_waitcnt lgkmcnt(0)
	s_barrier
.LBB1683_6:
	s_andn2_b64 vcc, exec, s[8:9]
	s_addk_i32 s52, 0xe00
	s_cbranch_vccnz .LBB1683_22
; %bb.7:
	v_cmp_gt_u32_e32 vcc, s52, v0
                                        ; implicit-def: $vgpr2_vgpr3_vgpr4_vgpr5_vgpr6_vgpr7_vgpr8_vgpr9_vgpr10_vgpr11_vgpr12_vgpr13_vgpr14_vgpr15_vgpr16_vgpr17
	s_and_saveexec_b64 s[4:5], vcc
	s_cbranch_execz .LBB1683_9
; %bb.8:
	v_lshlrev_b32_e32 v1, 3, v0
	v_readfirstlane_b32 s8, v18
	v_readfirstlane_b32 s9, v19
	s_nop 4
	global_load_dwordx2 v[2:3], v1, s[8:9]
.LBB1683_9:
	s_or_b64 exec, exec, s[4:5]
	v_or_b32_e32 v1, 0x200, v0
	v_cmp_gt_u32_e32 vcc, s52, v1
	s_and_saveexec_b64 s[4:5], vcc
	s_cbranch_execz .LBB1683_11
; %bb.10:
	v_lshlrev_b32_e32 v1, 3, v1
	v_readfirstlane_b32 s8, v18
	v_readfirstlane_b32 s9, v19
	s_nop 4
	global_load_dwordx2 v[4:5], v1, s[8:9]
.LBB1683_11:
	s_or_b64 exec, exec, s[4:5]
	v_or_b32_e32 v1, 0x400, v0
	v_cmp_gt_u32_e32 vcc, s52, v1
	s_and_saveexec_b64 s[4:5], vcc
	s_cbranch_execz .LBB1683_13
; %bb.12:
	v_lshlrev_b32_e32 v1, 3, v1
	v_readfirstlane_b32 s8, v18
	v_readfirstlane_b32 s9, v19
	s_nop 4
	global_load_dwordx2 v[6:7], v1, s[8:9]
.LBB1683_13:
	s_or_b64 exec, exec, s[4:5]
	v_or_b32_e32 v1, 0x600, v0
	v_cmp_gt_u32_e32 vcc, s52, v1
	s_and_saveexec_b64 s[4:5], vcc
	s_cbranch_execz .LBB1683_15
; %bb.14:
	v_lshlrev_b32_e32 v1, 3, v1
	v_readfirstlane_b32 s8, v18
	v_readfirstlane_b32 s9, v19
	s_nop 4
	global_load_dwordx2 v[8:9], v1, s[8:9]
.LBB1683_15:
	s_or_b64 exec, exec, s[4:5]
	v_or_b32_e32 v1, 0x800, v0
	v_cmp_gt_u32_e32 vcc, s52, v1
	s_and_saveexec_b64 s[4:5], vcc
	s_cbranch_execz .LBB1683_17
; %bb.16:
	v_lshlrev_b32_e32 v1, 3, v1
	v_readfirstlane_b32 s8, v18
	v_readfirstlane_b32 s9, v19
	s_nop 4
	global_load_dwordx2 v[10:11], v1, s[8:9]
.LBB1683_17:
	s_or_b64 exec, exec, s[4:5]
	v_or_b32_e32 v1, 0xa00, v0
	v_cmp_gt_u32_e32 vcc, s52, v1
	s_and_saveexec_b64 s[4:5], vcc
	s_cbranch_execz .LBB1683_19
; %bb.18:
	v_lshlrev_b32_e32 v1, 3, v1
	v_readfirstlane_b32 s8, v18
	v_readfirstlane_b32 s9, v19
	s_nop 4
	global_load_dwordx2 v[12:13], v1, s[8:9]
.LBB1683_19:
	s_or_b64 exec, exec, s[4:5]
	v_or_b32_e32 v1, 0xc00, v0
	v_cmp_gt_u32_e32 vcc, s52, v1
	s_and_saveexec_b64 s[4:5], vcc
	s_cbranch_execz .LBB1683_21
; %bb.20:
	v_lshlrev_b32_e32 v1, 3, v1
	v_readfirstlane_b32 s8, v18
	v_readfirstlane_b32 s9, v19
	s_nop 4
	global_load_dwordx2 v[14:15], v1, s[8:9]
.LBB1683_21:
	s_or_b64 exec, exec, s[4:5]
	v_lshlrev_b32_e32 v1, 3, v0
	s_waitcnt vmcnt(0)
	ds_write2st64_b64 v1, v[2:3], v[4:5] offset1:8
	ds_write2st64_b64 v1, v[6:7], v[8:9] offset0:16 offset1:24
	ds_write2st64_b64 v1, v[10:11], v[12:13] offset0:32 offset1:40
	ds_write_b64 v1, v[14:15] offset:24576
	s_waitcnt lgkmcnt(0)
	s_barrier
.LBB1683_22:
	v_mul_u32_u24_e32 v1, 7, v0
	v_lshlrev_b32_e32 v32, 3, v1
	ds_read2_b64 v[10:13], v32 offset1:1
	ds_read2_b64 v[6:9], v32 offset0:2 offset1:3
	ds_read2_b64 v[2:5], v32 offset0:4 offset1:5
	ds_read_b64 v[14:15], v32 offset:48
	s_cmp_lg_u32 s33, 0
	s_cselect_b64 s[16:17], -1, 0
	s_cmp_lg_u64 s[6:7], 0
	s_cselect_b64 s[4:5], -1, 0
	s_or_b64 s[4:5], s[4:5], s[16:17]
	v_mad_u32_u24 v27, v0, 7, 1
	v_mad_u32_u24 v26, v0, 7, 2
	;; [unrolled: 1-line block ×6, first 2 shown]
	s_mov_b64 s[8:9], 0
	s_and_b64 vcc, exec, s[4:5]
	v_cmp_gt_i64_e64 s[4:5], s[26:27], 0
	s_waitcnt lgkmcnt(0)
	s_barrier
	s_cbranch_vccz .LBB1683_31
; %bb.23:
	global_load_dwordx2 v[16:17], v[18:19], off offset:-8
	v_cndmask_b32_e64 v18, 0, 1, s[4:5]
	v_lshlrev_b32_e32 v33, 3, v0
	s_mov_b64 s[6:7], 0
	s_and_b64 vcc, exec, s[36:37]
	v_cmp_ne_u32_e64 s[4:5], 1, v18
	ds_write_b64 v33, v[14:15]
	s_cbranch_vccz .LBB1683_33
; %bb.24:
	v_mul_lo_u32 v20, v5, s26
	v_mul_lo_u32 v21, v4, s27
	v_mad_u64_u32 v[18:19], s[8:9], v4, s26, 0
	v_add3_u32 v19, v19, v21, v20
	s_and_b64 vcc, exec, s[4:5]
	v_lshl_add_u64 v[18:19], v[18:19], 3, s[28:29]
	s_cbranch_vccnz .LBB1683_36
; %bb.25:
	v_mul_lo_u32 v22, v15, s26
	v_mul_lo_u32 v23, v14, s27
	v_mad_u64_u32 v[20:21], s[6:7], v14, s26, 0
	v_add3_u32 v21, v21, v23, v22
	v_lshl_add_u64 v[20:21], v[20:21], 3, s[28:29]
	global_load_dwordx2 v[22:23], v[18:19], off
	global_load_dwordx2 v[24:25], v[20:21], off
	s_mov_b64 s[6:7], -1
	s_waitcnt vmcnt(0)
	v_cmp_eq_u64_e32 vcc, v[22:23], v[24:25]
	s_and_saveexec_b64 s[8:9], vcc
	s_cbranch_execz .LBB1683_35
; %bb.26:
	s_add_u32 s6, s26, -1
	v_lshl_add_u64 v[20:21], v[20:21], 0, 8
	v_lshl_add_u64 v[22:23], v[18:19], 0, 8
	s_addc_u32 s7, s27, -1
	s_mov_b64 s[10:11], 0
	s_mov_b64 s[14:15], 0
                                        ; implicit-def: $sgpr12_sgpr13
	s_branch .LBB1683_29
.LBB1683_27:                            ;   in Loop: Header=BB1683_29 Depth=1
	global_load_dwordx2 v[24:25], v[22:23], off
	global_load_dwordx2 v[34:35], v[20:21], off
	s_add_u32 s14, s14, 1
	s_addc_u32 s15, s15, 0
	s_andn2_b64 s[12:13], s[12:13], exec
	v_lshl_add_u64 v[20:21], v[20:21], 0, 8
	v_lshl_add_u64 v[22:23], v[22:23], 0, 8
	s_waitcnt vmcnt(0)
	v_cmp_ne_u64_e32 vcc, v[24:25], v[34:35]
	s_and_b64 s[38:39], vcc, exec
	s_or_b64 s[12:13], s[12:13], s[38:39]
.LBB1683_28:                            ;   in Loop: Header=BB1683_29 Depth=1
	s_and_b64 s[38:39], exec, s[12:13]
	s_or_b64 s[10:11], s[38:39], s[10:11]
	v_mov_b64_e32 v[24:25], s[14:15]
	s_andn2_b64 exec, exec, s[10:11]
	s_cbranch_execz .LBB1683_34
.LBB1683_29:                            ; =>This Inner Loop Header: Depth=1
	s_or_b64 s[12:13], s[12:13], exec
	s_cmp_eq_u64 s[6:7], s[14:15]
	s_cbranch_scc0 .LBB1683_27
; %bb.30:                               ;   in Loop: Header=BB1683_29 Depth=1
                                        ; implicit-def: $vgpr20_vgpr21
                                        ; implicit-def: $vgpr22_vgpr23
	s_mov_b64 s[14:15], s[26:27]
	s_branch .LBB1683_28
.LBB1683_31:
                                        ; implicit-def: $sgpr12_sgpr13
                                        ; implicit-def: $vgpr35
                                        ; implicit-def: $vgpr34
                                        ; implicit-def: $vgpr25
                                        ; implicit-def: $vgpr20
	s_branch .LBB1683_174
.LBB1683_32:
                                        ; implicit-def: $vgpr16_vgpr17
	s_branch .LBB1683_322
.LBB1683_33:
                                        ; implicit-def: $sgpr12_sgpr13
                                        ; implicit-def: $vgpr35
                                        ; implicit-def: $vgpr34
                                        ; implicit-def: $vgpr25
                                        ; implicit-def: $vgpr20
	s_cbranch_execnz .LBB1683_93
	s_branch .LBB1683_173
.LBB1683_34:
	s_or_b64 exec, exec, s[10:11]
	v_cmp_gt_i64_e32 vcc, s[26:27], v[24:25]
	s_orn2_b64 s[6:7], vcc, exec
.LBB1683_35:
	s_or_b64 exec, exec, s[8:9]
.LBB1683_36:
	v_mul_lo_u32 v22, v3, s26
	v_mul_lo_u32 v23, v2, s27
	v_mad_u64_u32 v[20:21], s[8:9], v2, s26, 0
	v_add3_u32 v21, v21, v23, v22
	s_mov_b64 s[8:9], 0
	s_and_b64 vcc, exec, s[4:5]
	v_lshl_add_u64 v[20:21], v[20:21], 3, s[28:29]
	s_mov_b64 s[10:11], 0
	s_cbranch_vccnz .LBB1683_45
; %bb.37:
	global_load_dwordx2 v[22:23], v[20:21], off
	global_load_dwordx2 v[24:25], v[18:19], off
	s_mov_b64 s[10:11], -1
	s_waitcnt vmcnt(0)
	v_cmp_eq_u64_e32 vcc, v[22:23], v[24:25]
	s_and_saveexec_b64 s[12:13], vcc
	s_cbranch_execz .LBB1683_44
; %bb.38:
	s_add_u32 s10, s26, -1
	v_lshl_add_u64 v[18:19], v[18:19], 0, 8
	v_lshl_add_u64 v[22:23], v[20:21], 0, 8
	s_addc_u32 s11, s27, -1
	s_mov_b64 s[14:15], 0
	s_mov_b64 s[40:41], 0
                                        ; implicit-def: $sgpr38_sgpr39
	s_branch .LBB1683_41
.LBB1683_39:                            ;   in Loop: Header=BB1683_41 Depth=1
	global_load_dwordx2 v[24:25], v[22:23], off
	global_load_dwordx2 v[34:35], v[18:19], off
	s_add_u32 s40, s40, 1
	s_addc_u32 s41, s41, 0
	s_andn2_b64 s[38:39], s[38:39], exec
	v_lshl_add_u64 v[18:19], v[18:19], 0, 8
	v_lshl_add_u64 v[22:23], v[22:23], 0, 8
	s_waitcnt vmcnt(0)
	v_cmp_ne_u64_e32 vcc, v[24:25], v[34:35]
	s_and_b64 s[42:43], vcc, exec
	s_or_b64 s[38:39], s[38:39], s[42:43]
.LBB1683_40:                            ;   in Loop: Header=BB1683_41 Depth=1
	s_and_b64 s[42:43], exec, s[38:39]
	s_or_b64 s[14:15], s[42:43], s[14:15]
	v_mov_b64_e32 v[24:25], s[40:41]
	s_andn2_b64 exec, exec, s[14:15]
	s_cbranch_execz .LBB1683_43
.LBB1683_41:                            ; =>This Inner Loop Header: Depth=1
	s_or_b64 s[38:39], s[38:39], exec
	s_cmp_eq_u64 s[10:11], s[40:41]
	s_cbranch_scc0 .LBB1683_39
; %bb.42:                               ;   in Loop: Header=BB1683_41 Depth=1
                                        ; implicit-def: $vgpr18_vgpr19
                                        ; implicit-def: $vgpr22_vgpr23
	s_mov_b64 s[40:41], s[26:27]
	s_branch .LBB1683_40
.LBB1683_43:
	s_or_b64 exec, exec, s[14:15]
	v_cmp_gt_i64_e32 vcc, s[26:27], v[24:25]
	s_orn2_b64 s[10:11], vcc, exec
.LBB1683_44:
	s_or_b64 exec, exec, s[12:13]
.LBB1683_45:
	v_mul_lo_u32 v22, v9, s26
	v_mul_lo_u32 v23, v8, s27
	v_mad_u64_u32 v[18:19], s[12:13], v8, s26, 0
	v_add3_u32 v19, v19, v23, v22
	s_and_b64 vcc, exec, s[4:5]
	v_lshl_add_u64 v[18:19], v[18:19], 3, s[28:29]
	s_cbranch_vccnz .LBB1683_54
; %bb.46:
	global_load_dwordx2 v[22:23], v[18:19], off
	global_load_dwordx2 v[24:25], v[20:21], off
	s_mov_b64 s[8:9], -1
	s_waitcnt vmcnt(0)
	v_cmp_eq_u64_e32 vcc, v[22:23], v[24:25]
	s_and_saveexec_b64 s[12:13], vcc
	s_cbranch_execz .LBB1683_53
; %bb.47:
	s_add_u32 s8, s26, -1
	v_lshl_add_u64 v[20:21], v[20:21], 0, 8
	v_lshl_add_u64 v[22:23], v[18:19], 0, 8
	s_addc_u32 s9, s27, -1
	s_mov_b64 s[14:15], 0
	s_mov_b64 s[40:41], 0
                                        ; implicit-def: $sgpr38_sgpr39
	s_branch .LBB1683_50
.LBB1683_48:                            ;   in Loop: Header=BB1683_50 Depth=1
	global_load_dwordx2 v[24:25], v[22:23], off
	global_load_dwordx2 v[34:35], v[20:21], off
	s_add_u32 s40, s40, 1
	s_addc_u32 s41, s41, 0
	s_andn2_b64 s[38:39], s[38:39], exec
	v_lshl_add_u64 v[20:21], v[20:21], 0, 8
	v_lshl_add_u64 v[22:23], v[22:23], 0, 8
	s_waitcnt vmcnt(0)
	v_cmp_ne_u64_e32 vcc, v[24:25], v[34:35]
	s_and_b64 s[42:43], vcc, exec
	s_or_b64 s[38:39], s[38:39], s[42:43]
.LBB1683_49:                            ;   in Loop: Header=BB1683_50 Depth=1
	s_and_b64 s[42:43], exec, s[38:39]
	s_or_b64 s[14:15], s[42:43], s[14:15]
	v_mov_b64_e32 v[24:25], s[40:41]
	s_andn2_b64 exec, exec, s[14:15]
	s_cbranch_execz .LBB1683_52
.LBB1683_50:                            ; =>This Inner Loop Header: Depth=1
	s_or_b64 s[38:39], s[38:39], exec
	s_cmp_eq_u64 s[8:9], s[40:41]
	s_cbranch_scc0 .LBB1683_48
; %bb.51:                               ;   in Loop: Header=BB1683_50 Depth=1
                                        ; implicit-def: $vgpr20_vgpr21
                                        ; implicit-def: $vgpr22_vgpr23
	s_mov_b64 s[40:41], s[26:27]
	s_branch .LBB1683_49
.LBB1683_52:
	s_or_b64 exec, exec, s[14:15]
	v_cmp_gt_i64_e32 vcc, s[26:27], v[24:25]
	s_orn2_b64 s[8:9], vcc, exec
.LBB1683_53:
	s_or_b64 exec, exec, s[12:13]
.LBB1683_54:
	v_mul_lo_u32 v22, v7, s26
	v_mul_lo_u32 v23, v6, s27
	v_mad_u64_u32 v[20:21], s[12:13], v6, s26, 0
	v_add3_u32 v21, v21, v23, v22
	s_mov_b64 s[12:13], 0
	s_and_b64 vcc, exec, s[4:5]
	v_lshl_add_u64 v[22:23], v[20:21], 3, s[28:29]
	s_mov_b64 s[14:15], 0
	s_cbranch_vccnz .LBB1683_63
; %bb.55:
	global_load_dwordx2 v[20:21], v[22:23], off
	global_load_dwordx2 v[24:25], v[18:19], off
	s_mov_b64 s[14:15], -1
	s_waitcnt vmcnt(0)
	v_cmp_eq_u64_e32 vcc, v[20:21], v[24:25]
	s_and_saveexec_b64 s[38:39], vcc
	s_cbranch_execz .LBB1683_62
; %bb.56:
	s_add_u32 s14, s26, -1
	v_lshl_add_u64 v[18:19], v[18:19], 0, 8
	v_lshl_add_u64 v[20:21], v[22:23], 0, 8
	s_addc_u32 s15, s27, -1
	s_mov_b64 s[40:41], 0
	s_mov_b64 s[44:45], 0
                                        ; implicit-def: $sgpr42_sgpr43
	s_branch .LBB1683_59
.LBB1683_57:                            ;   in Loop: Header=BB1683_59 Depth=1
	global_load_dwordx2 v[24:25], v[20:21], off
	global_load_dwordx2 v[34:35], v[18:19], off
	s_add_u32 s44, s44, 1
	s_addc_u32 s45, s45, 0
	s_andn2_b64 s[42:43], s[42:43], exec
	v_lshl_add_u64 v[18:19], v[18:19], 0, 8
	v_lshl_add_u64 v[20:21], v[20:21], 0, 8
	s_waitcnt vmcnt(0)
	v_cmp_ne_u64_e32 vcc, v[24:25], v[34:35]
	s_and_b64 s[46:47], vcc, exec
	s_or_b64 s[42:43], s[42:43], s[46:47]
.LBB1683_58:                            ;   in Loop: Header=BB1683_59 Depth=1
	s_and_b64 s[46:47], exec, s[42:43]
	s_or_b64 s[40:41], s[46:47], s[40:41]
	v_mov_b64_e32 v[24:25], s[44:45]
	s_andn2_b64 exec, exec, s[40:41]
	s_cbranch_execz .LBB1683_61
.LBB1683_59:                            ; =>This Inner Loop Header: Depth=1
	s_or_b64 s[42:43], s[42:43], exec
	s_cmp_eq_u64 s[14:15], s[44:45]
	s_cbranch_scc0 .LBB1683_57
; %bb.60:                               ;   in Loop: Header=BB1683_59 Depth=1
                                        ; implicit-def: $vgpr18_vgpr19
                                        ; implicit-def: $vgpr20_vgpr21
	s_mov_b64 s[44:45], s[26:27]
	s_branch .LBB1683_58
.LBB1683_61:
	s_or_b64 exec, exec, s[40:41]
	v_cmp_gt_i64_e32 vcc, s[26:27], v[24:25]
	s_orn2_b64 s[14:15], vcc, exec
.LBB1683_62:
	s_or_b64 exec, exec, s[38:39]
.LBB1683_63:
	v_mul_lo_u32 v20, v13, s26
	v_mul_lo_u32 v21, v12, s27
	v_mad_u64_u32 v[18:19], s[38:39], v12, s26, 0
	v_add3_u32 v19, v19, v21, v20
	s_and_b64 vcc, exec, s[4:5]
	v_lshl_add_u64 v[20:21], v[18:19], 3, s[28:29]
	s_cbranch_vccnz .LBB1683_72
; %bb.64:
	global_load_dwordx2 v[18:19], v[20:21], off
	global_load_dwordx2 v[24:25], v[22:23], off
	s_mov_b64 s[12:13], -1
	s_waitcnt vmcnt(0)
	v_cmp_eq_u64_e32 vcc, v[18:19], v[24:25]
	s_and_saveexec_b64 s[38:39], vcc
	s_cbranch_execz .LBB1683_71
; %bb.65:
	s_add_u32 s12, s26, -1
	v_lshl_add_u64 v[18:19], v[22:23], 0, 8
	v_lshl_add_u64 v[22:23], v[20:21], 0, 8
	s_addc_u32 s13, s27, -1
	s_mov_b64 s[40:41], 0
	s_mov_b64 s[44:45], 0
                                        ; implicit-def: $sgpr42_sgpr43
	s_branch .LBB1683_68
.LBB1683_66:                            ;   in Loop: Header=BB1683_68 Depth=1
	global_load_dwordx2 v[24:25], v[22:23], off
	global_load_dwordx2 v[34:35], v[18:19], off
	s_add_u32 s44, s44, 1
	s_addc_u32 s45, s45, 0
	s_andn2_b64 s[42:43], s[42:43], exec
	v_lshl_add_u64 v[18:19], v[18:19], 0, 8
	v_lshl_add_u64 v[22:23], v[22:23], 0, 8
	s_waitcnt vmcnt(0)
	v_cmp_ne_u64_e32 vcc, v[24:25], v[34:35]
	s_and_b64 s[46:47], vcc, exec
	s_or_b64 s[42:43], s[42:43], s[46:47]
.LBB1683_67:                            ;   in Loop: Header=BB1683_68 Depth=1
	s_and_b64 s[46:47], exec, s[42:43]
	s_or_b64 s[40:41], s[46:47], s[40:41]
	v_mov_b64_e32 v[24:25], s[44:45]
	s_andn2_b64 exec, exec, s[40:41]
	s_cbranch_execz .LBB1683_70
.LBB1683_68:                            ; =>This Inner Loop Header: Depth=1
	s_or_b64 s[42:43], s[42:43], exec
	s_cmp_eq_u64 s[12:13], s[44:45]
	s_cbranch_scc0 .LBB1683_66
; %bb.69:                               ;   in Loop: Header=BB1683_68 Depth=1
                                        ; implicit-def: $vgpr18_vgpr19
                                        ; implicit-def: $vgpr22_vgpr23
	s_mov_b64 s[44:45], s[26:27]
	s_branch .LBB1683_67
.LBB1683_70:
	s_or_b64 exec, exec, s[40:41]
	v_cmp_gt_i64_e32 vcc, s[26:27], v[24:25]
	s_orn2_b64 s[12:13], vcc, exec
.LBB1683_71:
	s_or_b64 exec, exec, s[38:39]
.LBB1683_72:
	v_mul_lo_u32 v22, v11, s26
	v_mul_lo_u32 v23, v10, s27
	v_mad_u64_u32 v[18:19], s[38:39], v10, s26, 0
	v_add3_u32 v19, v19, v23, v22
	s_mov_b64 s[40:41], 0
	s_and_b64 vcc, exec, s[4:5]
	v_lshl_add_u64 v[18:19], v[18:19], 3, s[28:29]
	s_cbranch_vccnz .LBB1683_81
; %bb.73:
	global_load_dwordx2 v[22:23], v[18:19], off
	global_load_dwordx2 v[24:25], v[20:21], off
	s_mov_b64 s[40:41], -1
	s_waitcnt vmcnt(0)
	v_cmp_eq_u64_e32 vcc, v[22:23], v[24:25]
	s_and_saveexec_b64 s[38:39], vcc
	s_cbranch_execz .LBB1683_80
; %bb.74:
	s_add_u32 s40, s26, -1
	v_lshl_add_u64 v[20:21], v[20:21], 0, 8
	v_lshl_add_u64 v[22:23], v[18:19], 0, 8
	s_addc_u32 s41, s27, -1
	s_mov_b64 s[42:43], 0
	s_mov_b64 s[46:47], 0
                                        ; implicit-def: $sgpr44_sgpr45
	s_branch .LBB1683_77
.LBB1683_75:                            ;   in Loop: Header=BB1683_77 Depth=1
	global_load_dwordx2 v[24:25], v[22:23], off
	global_load_dwordx2 v[34:35], v[20:21], off
	s_add_u32 s46, s46, 1
	s_addc_u32 s47, s47, 0
	s_andn2_b64 s[44:45], s[44:45], exec
	v_lshl_add_u64 v[20:21], v[20:21], 0, 8
	v_lshl_add_u64 v[22:23], v[22:23], 0, 8
	s_waitcnt vmcnt(0)
	v_cmp_ne_u64_e32 vcc, v[24:25], v[34:35]
	s_and_b64 s[48:49], vcc, exec
	s_or_b64 s[44:45], s[44:45], s[48:49]
.LBB1683_76:                            ;   in Loop: Header=BB1683_77 Depth=1
	s_and_b64 s[48:49], exec, s[44:45]
	s_or_b64 s[42:43], s[48:49], s[42:43]
	v_mov_b64_e32 v[24:25], s[46:47]
	s_andn2_b64 exec, exec, s[42:43]
	s_cbranch_execz .LBB1683_79
.LBB1683_77:                            ; =>This Inner Loop Header: Depth=1
	s_or_b64 s[44:45], s[44:45], exec
	s_cmp_eq_u64 s[40:41], s[46:47]
	s_cbranch_scc0 .LBB1683_75
; %bb.78:                               ;   in Loop: Header=BB1683_77 Depth=1
                                        ; implicit-def: $vgpr20_vgpr21
                                        ; implicit-def: $vgpr22_vgpr23
	s_mov_b64 s[46:47], s[26:27]
	s_branch .LBB1683_76
.LBB1683_79:
	s_or_b64 exec, exec, s[42:43]
	v_cmp_gt_i64_e32 vcc, s[26:27], v[24:25]
	s_orn2_b64 s[40:41], vcc, exec
.LBB1683_80:
	s_or_b64 exec, exec, s[38:39]
.LBB1683_81:
	s_waitcnt vmcnt(0)
	v_mov_b64_e32 v[20:21], v[16:17]
	s_waitcnt lgkmcnt(0)
	s_barrier
	s_and_saveexec_b64 s[38:39], s[2:3]
	s_cbranch_execz .LBB1683_83
; %bb.82:
	v_add_u32_e32 v20, -8, v33
	ds_read_b64 v[20:21], v20
.LBB1683_83:
	s_or_b64 exec, exec, s[38:39]
	v_cndmask_b32_e64 v23, 0, 1, s[14:15]
	v_cndmask_b32_e64 v22, 0, 1, s[12:13]
	;; [unrolled: 1-line block ×3, first 2 shown]
	v_lshlrev_b16_e32 v23, 8, v23
	v_lshlrev_b16_e32 v24, 8, v24
	v_or_b32_sdwa v36, v22, v23 dst_sel:WORD_1 dst_unused:UNUSED_PAD src0_sel:DWORD src1_sel:DWORD
	s_mov_b64 s[14:15], 0
	s_and_b64 vcc, exec, s[4:5]
	s_mov_b64 s[12:13], 0
	s_cbranch_vccnz .LBB1683_92
; %bb.84:
	s_waitcnt lgkmcnt(0)
	v_mul_lo_u32 v22, v21, s26
	v_mul_lo_u32 v23, v20, s27
	v_mad_u64_u32 v[20:21], s[12:13], v20, s26, 0
	v_add3_u32 v21, v21, v23, v22
	v_lshl_add_u64 v[20:21], v[20:21], 3, s[28:29]
	global_load_dwordx2 v[22:23], v[20:21], off
	global_load_dwordx2 v[34:35], v[18:19], off
	s_mov_b64 s[12:13], -1
	s_waitcnt vmcnt(0)
	v_cmp_eq_u64_e32 vcc, v[22:23], v[34:35]
	s_and_saveexec_b64 s[38:39], vcc
	s_cbranch_execz .LBB1683_91
; %bb.85:
	s_add_u32 s12, s26, -1
	v_lshl_add_u64 v[18:19], v[18:19], 0, 8
	v_lshl_add_u64 v[20:21], v[20:21], 0, 8
	s_addc_u32 s13, s27, -1
	s_mov_b64 s[40:41], 0
	s_mov_b64 s[44:45], 0
                                        ; implicit-def: $sgpr42_sgpr43
	s_branch .LBB1683_88
.LBB1683_86:                            ;   in Loop: Header=BB1683_88 Depth=1
	global_load_dwordx2 v[22:23], v[20:21], off
	global_load_dwordx2 v[34:35], v[18:19], off
	s_add_u32 s44, s44, 1
	s_addc_u32 s45, s45, 0
	s_andn2_b64 s[42:43], s[42:43], exec
	v_lshl_add_u64 v[18:19], v[18:19], 0, 8
	v_lshl_add_u64 v[20:21], v[20:21], 0, 8
	s_waitcnt vmcnt(0)
	v_cmp_ne_u64_e32 vcc, v[22:23], v[34:35]
	s_and_b64 s[46:47], vcc, exec
	s_or_b64 s[42:43], s[42:43], s[46:47]
.LBB1683_87:                            ;   in Loop: Header=BB1683_88 Depth=1
	s_and_b64 s[46:47], exec, s[42:43]
	s_or_b64 s[40:41], s[46:47], s[40:41]
	v_mov_b64_e32 v[22:23], s[44:45]
	s_andn2_b64 exec, exec, s[40:41]
	s_cbranch_execz .LBB1683_90
.LBB1683_88:                            ; =>This Inner Loop Header: Depth=1
	s_or_b64 s[42:43], s[42:43], exec
	s_cmp_eq_u64 s[12:13], s[44:45]
	s_cbranch_scc0 .LBB1683_86
; %bb.89:                               ;   in Loop: Header=BB1683_88 Depth=1
                                        ; implicit-def: $vgpr18_vgpr19
                                        ; implicit-def: $vgpr20_vgpr21
	s_mov_b64 s[44:45], s[26:27]
	s_branch .LBB1683_87
.LBB1683_90:
	s_or_b64 exec, exec, s[40:41]
	v_cmp_gt_i64_e32 vcc, s[26:27], v[22:23]
	s_orn2_b64 s[12:13], vcc, exec
.LBB1683_91:
	s_or_b64 exec, exec, s[38:39]
.LBB1683_92:
	v_cndmask_b32_e64 v25, 0, 1, s[8:9]
	v_cndmask_b32_e64 v34, 0, 1, s[10:11]
	;; [unrolled: 1-line block ×3, first 2 shown]
	s_waitcnt lgkmcnt(0)
	v_or_b32_e32 v20, v24, v36
	s_and_b64 vcc, exec, s[14:15]
	s_cbranch_vccz .LBB1683_173
.LBB1683_93:
	v_cmp_gt_u32_e32 vcc, s52, v29
	s_mov_b64 s[8:9], 0
	s_mov_b64 s[6:7], 0
	s_and_saveexec_b64 s[10:11], vcc
	s_cbranch_execz .LBB1683_104
; %bb.94:
	s_and_b64 vcc, exec, s[4:5]
	s_mov_b64 s[12:13], 0
	s_cbranch_vccnz .LBB1683_103
; %bb.95:
	v_mul_lo_u32 v20, v5, s26
	v_mul_lo_u32 v21, v4, s27
	v_mad_u64_u32 v[18:19], s[6:7], v4, s26, 0
	v_add3_u32 v19, v19, v21, v20
	v_mul_lo_u32 v20, v15, s26
	v_mul_lo_u32 v21, v14, s27
	v_mad_u64_u32 v[22:23], s[6:7], v14, s26, 0
	v_add3_u32 v23, v23, v21, v20
	v_lshl_add_u64 v[20:21], v[18:19], 3, s[28:29]
	v_lshl_add_u64 v[18:19], v[22:23], 3, s[28:29]
	global_load_dwordx2 v[22:23], v[20:21], off
	global_load_dwordx2 v[24:25], v[18:19], off
	s_mov_b64 s[12:13], -1
	s_waitcnt vmcnt(0)
	v_cmp_eq_u64_e32 vcc, v[22:23], v[24:25]
	s_and_saveexec_b64 s[6:7], vcc
	s_cbranch_execz .LBB1683_102
; %bb.96:
	s_add_u32 s12, s26, -1
	v_lshl_add_u64 v[18:19], v[18:19], 0, 8
	v_lshl_add_u64 v[20:21], v[20:21], 0, 8
	s_addc_u32 s13, s27, -1
	s_mov_b64 s[14:15], 0
	s_mov_b64 s[40:41], 0
                                        ; implicit-def: $sgpr38_sgpr39
	s_branch .LBB1683_99
.LBB1683_97:                            ;   in Loop: Header=BB1683_99 Depth=1
	global_load_dwordx2 v[22:23], v[20:21], off
	global_load_dwordx2 v[24:25], v[18:19], off
	s_add_u32 s40, s40, 1
	s_addc_u32 s41, s41, 0
	s_andn2_b64 s[38:39], s[38:39], exec
	v_lshl_add_u64 v[18:19], v[18:19], 0, 8
	v_lshl_add_u64 v[20:21], v[20:21], 0, 8
	s_waitcnt vmcnt(0)
	v_cmp_ne_u64_e32 vcc, v[22:23], v[24:25]
	s_and_b64 s[42:43], vcc, exec
	s_or_b64 s[38:39], s[38:39], s[42:43]
.LBB1683_98:                            ;   in Loop: Header=BB1683_99 Depth=1
	s_and_b64 s[42:43], exec, s[38:39]
	s_or_b64 s[14:15], s[42:43], s[14:15]
	v_mov_b64_e32 v[22:23], s[40:41]
	s_andn2_b64 exec, exec, s[14:15]
	s_cbranch_execz .LBB1683_101
.LBB1683_99:                            ; =>This Inner Loop Header: Depth=1
	s_or_b64 s[38:39], s[38:39], exec
	s_cmp_eq_u64 s[12:13], s[40:41]
	s_cbranch_scc0 .LBB1683_97
; %bb.100:                              ;   in Loop: Header=BB1683_99 Depth=1
                                        ; implicit-def: $vgpr18_vgpr19
                                        ; implicit-def: $vgpr20_vgpr21
	s_mov_b64 s[40:41], s[26:27]
	s_branch .LBB1683_98
.LBB1683_101:
	s_or_b64 exec, exec, s[14:15]
	v_cmp_gt_i64_e32 vcc, s[26:27], v[22:23]
	s_orn2_b64 s[12:13], vcc, exec
.LBB1683_102:
	s_or_b64 exec, exec, s[6:7]
.LBB1683_103:
	s_and_b64 s[6:7], s[12:13], exec
.LBB1683_104:
	s_or_b64 exec, exec, s[10:11]
	v_cmp_gt_u32_e32 vcc, s52, v31
	s_and_saveexec_b64 s[10:11], vcc
	s_cbranch_execz .LBB1683_115
; %bb.105:
	s_and_b64 vcc, exec, s[4:5]
	s_mov_b64 s[12:13], 0
	s_cbranch_vccnz .LBB1683_114
; %bb.106:
	v_mul_lo_u32 v20, v3, s26
	v_mul_lo_u32 v21, v2, s27
	v_mad_u64_u32 v[18:19], s[8:9], v2, s26, 0
	v_add3_u32 v19, v19, v21, v20
	v_mul_lo_u32 v20, v5, s26
	v_mul_lo_u32 v21, v4, s27
	v_mad_u64_u32 v[22:23], s[8:9], v4, s26, 0
	v_add3_u32 v23, v23, v21, v20
	v_lshl_add_u64 v[20:21], v[18:19], 3, s[28:29]
	v_lshl_add_u64 v[18:19], v[22:23], 3, s[28:29]
	global_load_dwordx2 v[22:23], v[20:21], off
	global_load_dwordx2 v[24:25], v[18:19], off
	s_mov_b64 s[12:13], -1
	s_waitcnt vmcnt(0)
	v_cmp_eq_u64_e32 vcc, v[22:23], v[24:25]
	s_and_saveexec_b64 s[8:9], vcc
	s_cbranch_execz .LBB1683_113
; %bb.107:
	s_add_u32 s12, s26, -1
	v_lshl_add_u64 v[18:19], v[18:19], 0, 8
	v_lshl_add_u64 v[20:21], v[20:21], 0, 8
	s_addc_u32 s13, s27, -1
	s_mov_b64 s[14:15], 0
	s_mov_b64 s[40:41], 0
                                        ; implicit-def: $sgpr38_sgpr39
	s_branch .LBB1683_110
.LBB1683_108:                           ;   in Loop: Header=BB1683_110 Depth=1
	global_load_dwordx2 v[22:23], v[20:21], off
	global_load_dwordx2 v[24:25], v[18:19], off
	s_add_u32 s40, s40, 1
	s_addc_u32 s41, s41, 0
	s_andn2_b64 s[38:39], s[38:39], exec
	v_lshl_add_u64 v[18:19], v[18:19], 0, 8
	v_lshl_add_u64 v[20:21], v[20:21], 0, 8
	s_waitcnt vmcnt(0)
	v_cmp_ne_u64_e32 vcc, v[22:23], v[24:25]
	s_and_b64 s[42:43], vcc, exec
	s_or_b64 s[38:39], s[38:39], s[42:43]
.LBB1683_109:                           ;   in Loop: Header=BB1683_110 Depth=1
	s_and_b64 s[42:43], exec, s[38:39]
	s_or_b64 s[14:15], s[42:43], s[14:15]
	v_mov_b64_e32 v[22:23], s[40:41]
	s_andn2_b64 exec, exec, s[14:15]
	s_cbranch_execz .LBB1683_112
.LBB1683_110:                           ; =>This Inner Loop Header: Depth=1
	s_or_b64 s[38:39], s[38:39], exec
	s_cmp_eq_u64 s[12:13], s[40:41]
	s_cbranch_scc0 .LBB1683_108
; %bb.111:                              ;   in Loop: Header=BB1683_110 Depth=1
                                        ; implicit-def: $vgpr18_vgpr19
                                        ; implicit-def: $vgpr20_vgpr21
	s_mov_b64 s[40:41], s[26:27]
	s_branch .LBB1683_109
.LBB1683_112:
	s_or_b64 exec, exec, s[14:15]
	v_cmp_gt_i64_e32 vcc, s[26:27], v[22:23]
	s_orn2_b64 s[12:13], vcc, exec
.LBB1683_113:
	s_or_b64 exec, exec, s[8:9]
.LBB1683_114:
	s_and_b64 s[8:9], s[12:13], exec
.LBB1683_115:
	s_or_b64 exec, exec, s[10:11]
	v_cmp_gt_u32_e32 vcc, s52, v28
	s_mov_b64 s[12:13], 0
	s_mov_b64 s[10:11], 0
	s_and_saveexec_b64 s[14:15], vcc
	s_cbranch_execz .LBB1683_126
; %bb.116:
	s_and_b64 vcc, exec, s[4:5]
	s_mov_b64 s[38:39], 0
	s_cbranch_vccnz .LBB1683_125
; %bb.117:
	v_mul_lo_u32 v20, v9, s26
	v_mul_lo_u32 v21, v8, s27
	v_mad_u64_u32 v[18:19], s[10:11], v8, s26, 0
	v_add3_u32 v19, v19, v21, v20
	v_mul_lo_u32 v20, v3, s26
	v_mul_lo_u32 v21, v2, s27
	v_mad_u64_u32 v[22:23], s[10:11], v2, s26, 0
	v_add3_u32 v23, v23, v21, v20
	v_lshl_add_u64 v[20:21], v[18:19], 3, s[28:29]
	v_lshl_add_u64 v[18:19], v[22:23], 3, s[28:29]
	global_load_dwordx2 v[22:23], v[20:21], off
	global_load_dwordx2 v[24:25], v[18:19], off
	s_mov_b64 s[38:39], -1
	s_waitcnt vmcnt(0)
	v_cmp_eq_u64_e32 vcc, v[22:23], v[24:25]
	s_and_saveexec_b64 s[10:11], vcc
	s_cbranch_execz .LBB1683_124
; %bb.118:
	s_add_u32 s38, s26, -1
	v_lshl_add_u64 v[18:19], v[18:19], 0, 8
	v_lshl_add_u64 v[20:21], v[20:21], 0, 8
	s_addc_u32 s39, s27, -1
	s_mov_b64 s[40:41], 0
	s_mov_b64 s[44:45], 0
                                        ; implicit-def: $sgpr42_sgpr43
	s_branch .LBB1683_121
.LBB1683_119:                           ;   in Loop: Header=BB1683_121 Depth=1
	global_load_dwordx2 v[22:23], v[20:21], off
	global_load_dwordx2 v[24:25], v[18:19], off
	s_add_u32 s44, s44, 1
	s_addc_u32 s45, s45, 0
	s_andn2_b64 s[42:43], s[42:43], exec
	v_lshl_add_u64 v[18:19], v[18:19], 0, 8
	v_lshl_add_u64 v[20:21], v[20:21], 0, 8
	s_waitcnt vmcnt(0)
	v_cmp_ne_u64_e32 vcc, v[22:23], v[24:25]
	s_and_b64 s[46:47], vcc, exec
	s_or_b64 s[42:43], s[42:43], s[46:47]
.LBB1683_120:                           ;   in Loop: Header=BB1683_121 Depth=1
	s_and_b64 s[46:47], exec, s[42:43]
	s_or_b64 s[40:41], s[46:47], s[40:41]
	v_mov_b64_e32 v[22:23], s[44:45]
	s_andn2_b64 exec, exec, s[40:41]
	s_cbranch_execz .LBB1683_123
.LBB1683_121:                           ; =>This Inner Loop Header: Depth=1
	s_or_b64 s[42:43], s[42:43], exec
	s_cmp_eq_u64 s[38:39], s[44:45]
	s_cbranch_scc0 .LBB1683_119
; %bb.122:                              ;   in Loop: Header=BB1683_121 Depth=1
                                        ; implicit-def: $vgpr18_vgpr19
                                        ; implicit-def: $vgpr20_vgpr21
	s_mov_b64 s[44:45], s[26:27]
	s_branch .LBB1683_120
.LBB1683_123:
	s_or_b64 exec, exec, s[40:41]
	v_cmp_gt_i64_e32 vcc, s[26:27], v[22:23]
	s_orn2_b64 s[38:39], vcc, exec
.LBB1683_124:
	s_or_b64 exec, exec, s[10:11]
.LBB1683_125:
	s_and_b64 s[10:11], s[38:39], exec
.LBB1683_126:
	s_or_b64 exec, exec, s[14:15]
	v_cmp_gt_u32_e32 vcc, s52, v30
	s_and_saveexec_b64 s[14:15], vcc
	s_cbranch_execz .LBB1683_137
; %bb.127:
	s_and_b64 vcc, exec, s[4:5]
	s_mov_b64 s[38:39], 0
	s_cbranch_vccnz .LBB1683_136
; %bb.128:
	v_mul_lo_u32 v20, v7, s26
	v_mul_lo_u32 v21, v6, s27
	v_mad_u64_u32 v[18:19], s[12:13], v6, s26, 0
	v_add3_u32 v19, v19, v21, v20
	v_mul_lo_u32 v20, v9, s26
	v_mul_lo_u32 v21, v8, s27
	v_mad_u64_u32 v[22:23], s[12:13], v8, s26, 0
	v_add3_u32 v23, v23, v21, v20
	v_lshl_add_u64 v[20:21], v[18:19], 3, s[28:29]
	v_lshl_add_u64 v[18:19], v[22:23], 3, s[28:29]
	global_load_dwordx2 v[22:23], v[20:21], off
	global_load_dwordx2 v[24:25], v[18:19], off
	s_mov_b64 s[38:39], -1
	s_waitcnt vmcnt(0)
	v_cmp_eq_u64_e32 vcc, v[22:23], v[24:25]
	s_and_saveexec_b64 s[12:13], vcc
	s_cbranch_execz .LBB1683_135
; %bb.129:
	s_add_u32 s38, s26, -1
	v_lshl_add_u64 v[18:19], v[18:19], 0, 8
	v_lshl_add_u64 v[20:21], v[20:21], 0, 8
	s_addc_u32 s39, s27, -1
	s_mov_b64 s[40:41], 0
	s_mov_b64 s[44:45], 0
                                        ; implicit-def: $sgpr42_sgpr43
	s_branch .LBB1683_132
.LBB1683_130:                           ;   in Loop: Header=BB1683_132 Depth=1
	global_load_dwordx2 v[22:23], v[20:21], off
	global_load_dwordx2 v[24:25], v[18:19], off
	s_add_u32 s44, s44, 1
	s_addc_u32 s45, s45, 0
	s_andn2_b64 s[42:43], s[42:43], exec
	v_lshl_add_u64 v[18:19], v[18:19], 0, 8
	v_lshl_add_u64 v[20:21], v[20:21], 0, 8
	s_waitcnt vmcnt(0)
	v_cmp_ne_u64_e32 vcc, v[22:23], v[24:25]
	s_and_b64 s[46:47], vcc, exec
	s_or_b64 s[42:43], s[42:43], s[46:47]
.LBB1683_131:                           ;   in Loop: Header=BB1683_132 Depth=1
	s_and_b64 s[46:47], exec, s[42:43]
	s_or_b64 s[40:41], s[46:47], s[40:41]
	v_mov_b64_e32 v[22:23], s[44:45]
	s_andn2_b64 exec, exec, s[40:41]
	s_cbranch_execz .LBB1683_134
.LBB1683_132:                           ; =>This Inner Loop Header: Depth=1
	s_or_b64 s[42:43], s[42:43], exec
	s_cmp_eq_u64 s[38:39], s[44:45]
	s_cbranch_scc0 .LBB1683_130
; %bb.133:                              ;   in Loop: Header=BB1683_132 Depth=1
                                        ; implicit-def: $vgpr18_vgpr19
                                        ; implicit-def: $vgpr20_vgpr21
	s_mov_b64 s[44:45], s[26:27]
	s_branch .LBB1683_131
.LBB1683_134:
	s_or_b64 exec, exec, s[40:41]
	v_cmp_gt_i64_e32 vcc, s[26:27], v[22:23]
	s_orn2_b64 s[38:39], vcc, exec
.LBB1683_135:
	s_or_b64 exec, exec, s[12:13]
.LBB1683_136:
	s_and_b64 s[12:13], s[38:39], exec
.LBB1683_137:
	s_or_b64 exec, exec, s[14:15]
	v_cmp_gt_u32_e32 vcc, s52, v26
	s_mov_b64 s[14:15], 0
	s_mov_b64 s[38:39], 0
	s_and_saveexec_b64 s[40:41], vcc
	s_cbranch_execz .LBB1683_148
; %bb.138:
	s_and_b64 vcc, exec, s[4:5]
	s_mov_b64 s[42:43], 0
	s_cbranch_vccnz .LBB1683_147
; %bb.139:
	v_mul_lo_u32 v20, v13, s26
	v_mul_lo_u32 v21, v12, s27
	v_mad_u64_u32 v[18:19], s[38:39], v12, s26, 0
	v_add3_u32 v19, v19, v21, v20
	v_mul_lo_u32 v20, v7, s26
	v_mul_lo_u32 v21, v6, s27
	v_mad_u64_u32 v[22:23], s[38:39], v6, s26, 0
	v_add3_u32 v23, v23, v21, v20
	v_lshl_add_u64 v[20:21], v[18:19], 3, s[28:29]
	v_lshl_add_u64 v[18:19], v[22:23], 3, s[28:29]
	global_load_dwordx2 v[22:23], v[20:21], off
	global_load_dwordx2 v[24:25], v[18:19], off
	s_mov_b64 s[42:43], -1
	s_waitcnt vmcnt(0)
	v_cmp_eq_u64_e32 vcc, v[22:23], v[24:25]
	s_and_saveexec_b64 s[38:39], vcc
	s_cbranch_execz .LBB1683_146
; %bb.140:
	s_add_u32 s42, s26, -1
	v_lshl_add_u64 v[18:19], v[18:19], 0, 8
	v_lshl_add_u64 v[20:21], v[20:21], 0, 8
	s_addc_u32 s43, s27, -1
	s_mov_b64 s[44:45], 0
	s_mov_b64 s[48:49], 0
                                        ; implicit-def: $sgpr46_sgpr47
	s_branch .LBB1683_143
.LBB1683_141:                           ;   in Loop: Header=BB1683_143 Depth=1
	global_load_dwordx2 v[22:23], v[20:21], off
	global_load_dwordx2 v[24:25], v[18:19], off
	s_add_u32 s48, s48, 1
	s_addc_u32 s49, s49, 0
	s_andn2_b64 s[46:47], s[46:47], exec
	v_lshl_add_u64 v[18:19], v[18:19], 0, 8
	v_lshl_add_u64 v[20:21], v[20:21], 0, 8
	s_waitcnt vmcnt(0)
	v_cmp_ne_u64_e32 vcc, v[22:23], v[24:25]
	s_and_b64 s[50:51], vcc, exec
	s_or_b64 s[46:47], s[46:47], s[50:51]
.LBB1683_142:                           ;   in Loop: Header=BB1683_143 Depth=1
	s_and_b64 s[50:51], exec, s[46:47]
	s_or_b64 s[44:45], s[50:51], s[44:45]
	v_mov_b64_e32 v[22:23], s[48:49]
	s_andn2_b64 exec, exec, s[44:45]
	s_cbranch_execz .LBB1683_145
.LBB1683_143:                           ; =>This Inner Loop Header: Depth=1
	s_or_b64 s[46:47], s[46:47], exec
	s_cmp_eq_u64 s[42:43], s[48:49]
	s_cbranch_scc0 .LBB1683_141
; %bb.144:                              ;   in Loop: Header=BB1683_143 Depth=1
                                        ; implicit-def: $vgpr18_vgpr19
                                        ; implicit-def: $vgpr20_vgpr21
	s_mov_b64 s[48:49], s[26:27]
	s_branch .LBB1683_142
.LBB1683_145:
	s_or_b64 exec, exec, s[44:45]
	v_cmp_gt_i64_e32 vcc, s[26:27], v[22:23]
	s_orn2_b64 s[42:43], vcc, exec
.LBB1683_146:
	s_or_b64 exec, exec, s[38:39]
.LBB1683_147:
	s_and_b64 s[38:39], s[42:43], exec
.LBB1683_148:
	s_or_b64 exec, exec, s[40:41]
	v_cmp_gt_u32_e32 vcc, s52, v27
	s_and_saveexec_b64 s[40:41], vcc
	s_cbranch_execz .LBB1683_159
; %bb.149:
	s_and_b64 vcc, exec, s[4:5]
	s_mov_b64 s[42:43], 0
	s_cbranch_vccnz .LBB1683_158
; %bb.150:
	v_mul_lo_u32 v20, v11, s26
	v_mul_lo_u32 v21, v10, s27
	v_mad_u64_u32 v[18:19], s[14:15], v10, s26, 0
	v_add3_u32 v19, v19, v21, v20
	v_mul_lo_u32 v20, v13, s26
	v_mul_lo_u32 v21, v12, s27
	v_mad_u64_u32 v[22:23], s[14:15], v12, s26, 0
	v_add3_u32 v23, v23, v21, v20
	v_lshl_add_u64 v[20:21], v[18:19], 3, s[28:29]
	v_lshl_add_u64 v[18:19], v[22:23], 3, s[28:29]
	global_load_dwordx2 v[22:23], v[20:21], off
	global_load_dwordx2 v[24:25], v[18:19], off
	s_mov_b64 s[42:43], -1
	s_waitcnt vmcnt(0)
	v_cmp_eq_u64_e32 vcc, v[22:23], v[24:25]
	s_and_saveexec_b64 s[14:15], vcc
	s_cbranch_execz .LBB1683_157
; %bb.151:
	s_add_u32 s42, s26, -1
	v_lshl_add_u64 v[18:19], v[18:19], 0, 8
	v_lshl_add_u64 v[20:21], v[20:21], 0, 8
	s_addc_u32 s43, s27, -1
	s_mov_b64 s[44:45], 0
	s_mov_b64 s[48:49], 0
                                        ; implicit-def: $sgpr46_sgpr47
	s_branch .LBB1683_154
.LBB1683_152:                           ;   in Loop: Header=BB1683_154 Depth=1
	global_load_dwordx2 v[22:23], v[20:21], off
	global_load_dwordx2 v[24:25], v[18:19], off
	s_add_u32 s48, s48, 1
	s_addc_u32 s49, s49, 0
	s_andn2_b64 s[46:47], s[46:47], exec
	v_lshl_add_u64 v[18:19], v[18:19], 0, 8
	v_lshl_add_u64 v[20:21], v[20:21], 0, 8
	s_waitcnt vmcnt(0)
	v_cmp_ne_u64_e32 vcc, v[22:23], v[24:25]
	s_and_b64 s[50:51], vcc, exec
	s_or_b64 s[46:47], s[46:47], s[50:51]
.LBB1683_153:                           ;   in Loop: Header=BB1683_154 Depth=1
	s_and_b64 s[50:51], exec, s[46:47]
	s_or_b64 s[44:45], s[50:51], s[44:45]
	v_mov_b64_e32 v[22:23], s[48:49]
	s_andn2_b64 exec, exec, s[44:45]
	s_cbranch_execz .LBB1683_156
.LBB1683_154:                           ; =>This Inner Loop Header: Depth=1
	s_or_b64 s[46:47], s[46:47], exec
	s_cmp_eq_u64 s[42:43], s[48:49]
	s_cbranch_scc0 .LBB1683_152
; %bb.155:                              ;   in Loop: Header=BB1683_154 Depth=1
                                        ; implicit-def: $vgpr18_vgpr19
                                        ; implicit-def: $vgpr20_vgpr21
	s_mov_b64 s[48:49], s[26:27]
	s_branch .LBB1683_153
.LBB1683_156:
	s_or_b64 exec, exec, s[44:45]
	v_cmp_gt_i64_e32 vcc, s[26:27], v[22:23]
	s_orn2_b64 s[42:43], vcc, exec
.LBB1683_157:
	s_or_b64 exec, exec, s[14:15]
.LBB1683_158:
	s_and_b64 s[14:15], s[42:43], exec
.LBB1683_159:
	s_or_b64 exec, exec, s[40:41]
	s_waitcnt lgkmcnt(0)
	s_barrier
	s_and_saveexec_b64 s[40:41], s[2:3]
	s_cbranch_execz .LBB1683_161
; %bb.160:
	s_waitcnt vmcnt(0)
	v_add_u32_e32 v16, -8, v33
	ds_read_b64 v[16:17], v16
.LBB1683_161:
	s_or_b64 exec, exec, s[40:41]
	v_cndmask_b32_e64 v19, 0, 1, s[12:13]
	v_cndmask_b32_e64 v18, 0, 1, s[38:39]
	;; [unrolled: 1-line block ×3, first 2 shown]
	v_lshlrev_b16_e32 v19, 8, v19
	v_cmp_gt_u32_e32 vcc, s52, v1
	v_lshlrev_b16_e32 v22, 8, v20
	v_or_b32_sdwa v23, v18, v19 dst_sel:WORD_1 dst_unused:UNUSED_PAD src0_sel:DWORD src1_sel:DWORD
	s_mov_b64 s[12:13], 0
	s_and_saveexec_b64 s[14:15], vcc
	s_cbranch_execz .LBB1683_172
; %bb.162:
	s_and_b64 vcc, exec, s[4:5]
	s_cbranch_vccnz .LBB1683_171
; %bb.163:
	s_waitcnt vmcnt(0) lgkmcnt(0)
	v_mul_lo_u32 v18, v17, s26
	v_mul_lo_u32 v19, v16, s27
	v_mad_u64_u32 v[16:17], s[4:5], v16, s26, 0
	v_add3_u32 v17, v17, v19, v18
	v_mul_lo_u32 v18, v11, s26
	v_mul_lo_u32 v19, v10, s27
	v_mad_u64_u32 v[20:21], s[4:5], v10, s26, 0
	v_add3_u32 v21, v21, v19, v18
	v_lshl_add_u64 v[18:19], v[16:17], 3, s[28:29]
	v_lshl_add_u64 v[16:17], v[20:21], 3, s[28:29]
	global_load_dwordx2 v[20:21], v[18:19], off
	global_load_dwordx2 v[24:25], v[16:17], off
	s_mov_b64 s[12:13], -1
	s_waitcnt vmcnt(0)
	v_cmp_eq_u64_e32 vcc, v[20:21], v[24:25]
	s_and_saveexec_b64 s[4:5], vcc
	s_cbranch_execz .LBB1683_170
; %bb.164:
	s_add_u32 s12, s26, -1
	v_lshl_add_u64 v[16:17], v[16:17], 0, 8
	v_lshl_add_u64 v[18:19], v[18:19], 0, 8
	s_addc_u32 s13, s27, -1
	s_mov_b64 s[38:39], 0
	s_mov_b64 s[42:43], 0
                                        ; implicit-def: $sgpr40_sgpr41
	s_branch .LBB1683_167
.LBB1683_165:                           ;   in Loop: Header=BB1683_167 Depth=1
	global_load_dwordx2 v[20:21], v[18:19], off
	global_load_dwordx2 v[24:25], v[16:17], off
	s_add_u32 s42, s42, 1
	s_addc_u32 s43, s43, 0
	s_andn2_b64 s[40:41], s[40:41], exec
	v_lshl_add_u64 v[16:17], v[16:17], 0, 8
	v_lshl_add_u64 v[18:19], v[18:19], 0, 8
	s_waitcnt vmcnt(0)
	v_cmp_ne_u64_e32 vcc, v[20:21], v[24:25]
	s_and_b64 s[44:45], vcc, exec
	s_or_b64 s[40:41], s[40:41], s[44:45]
.LBB1683_166:                           ;   in Loop: Header=BB1683_167 Depth=1
	s_and_b64 s[44:45], exec, s[40:41]
	s_or_b64 s[38:39], s[44:45], s[38:39]
	v_mov_b64_e32 v[20:21], s[42:43]
	s_andn2_b64 exec, exec, s[38:39]
	s_cbranch_execz .LBB1683_169
.LBB1683_167:                           ; =>This Inner Loop Header: Depth=1
	s_or_b64 s[40:41], s[40:41], exec
	s_cmp_eq_u64 s[12:13], s[42:43]
	s_cbranch_scc0 .LBB1683_165
; %bb.168:                              ;   in Loop: Header=BB1683_167 Depth=1
                                        ; implicit-def: $vgpr16_vgpr17
                                        ; implicit-def: $vgpr18_vgpr19
	s_mov_b64 s[42:43], s[26:27]
	s_branch .LBB1683_166
.LBB1683_169:
	s_or_b64 exec, exec, s[38:39]
	v_cmp_gt_i64_e32 vcc, s[26:27], v[20:21]
	s_orn2_b64 s[12:13], vcc, exec
.LBB1683_170:
	s_or_b64 exec, exec, s[4:5]
.LBB1683_171:
	s_and_b64 s[12:13], s[12:13], exec
.LBB1683_172:
	s_or_b64 exec, exec, s[14:15]
	v_cndmask_b32_e64 v25, 0, 1, s[10:11]
	v_cndmask_b32_e64 v34, 0, 1, s[8:9]
	;; [unrolled: 1-line block ×3, first 2 shown]
	v_or_b32_e32 v20, v22, v23
.LBB1683_173:
	s_mov_b64 s[8:9], -1
	s_cbranch_execnz .LBB1683_32
.LBB1683_174:
	s_movk_i32 s4, 0xffd0
	v_mad_i32_i24 v24, v0, s4, v32
	s_mov_b64 s[10:11], 0
	v_cmp_gt_i64_e64 s[6:7], s[26:27], 0
	s_and_b64 vcc, exec, s[36:37]
	ds_write_b64 v24, v[14:15]
	s_cbranch_vccz .LBB1683_182
; %bb.175:
	v_mul_lo_u32 v18, v5, s26
	v_mul_lo_u32 v19, v4, s27
	s_waitcnt vmcnt(0) lgkmcnt(1)
	v_mad_u64_u32 v[16:17], s[4:5], v4, s26, 0
	v_add3_u32 v17, v17, v19, v18
	v_cndmask_b32_e64 v18, 0, 1, s[6:7]
	v_cmp_ne_u32_e64 s[4:5], 1, v18
	s_andn2_b64 vcc, exec, s[6:7]
	v_lshl_add_u64 v[16:17], v[16:17], 3, s[28:29]
	s_cbranch_vccnz .LBB1683_185
; %bb.176:
	v_mul_lo_u32 v20, v15, s26
	v_mul_lo_u32 v21, v14, s27
	v_mad_u64_u32 v[18:19], s[10:11], v14, s26, 0
	v_add3_u32 v19, v19, v21, v20
	v_lshl_add_u64 v[18:19], v[18:19], 3, s[28:29]
	global_load_dwordx2 v[20:21], v[16:17], off
	global_load_dwordx2 v[22:23], v[18:19], off
	s_mov_b64 s[10:11], -1
	s_waitcnt vmcnt(0)
	v_cmp_eq_u64_e32 vcc, v[20:21], v[22:23]
	s_and_saveexec_b64 s[12:13], vcc
	s_cbranch_execz .LBB1683_184
; %bb.177:
	s_add_u32 s10, s26, -1
	v_lshl_add_u64 v[18:19], v[18:19], 0, 8
	v_lshl_add_u64 v[20:21], v[16:17], 0, 8
	s_addc_u32 s11, s27, -1
	s_mov_b64 s[14:15], 0
	s_mov_b64 s[40:41], 0
                                        ; implicit-def: $sgpr38_sgpr39
	s_branch .LBB1683_180
.LBB1683_178:                           ;   in Loop: Header=BB1683_180 Depth=1
	global_load_dwordx2 v[22:23], v[20:21], off
	global_load_dwordx2 v[32:33], v[18:19], off
	s_add_u32 s40, s40, 1
	s_addc_u32 s41, s41, 0
	s_andn2_b64 s[38:39], s[38:39], exec
	v_lshl_add_u64 v[18:19], v[18:19], 0, 8
	v_lshl_add_u64 v[20:21], v[20:21], 0, 8
	s_waitcnt vmcnt(0)
	v_cmp_ne_u64_e32 vcc, v[22:23], v[32:33]
	s_and_b64 s[42:43], vcc, exec
	s_or_b64 s[38:39], s[38:39], s[42:43]
.LBB1683_179:                           ;   in Loop: Header=BB1683_180 Depth=1
	s_and_b64 s[42:43], exec, s[38:39]
	s_or_b64 s[14:15], s[42:43], s[14:15]
	v_mov_b64_e32 v[22:23], s[40:41]
	s_andn2_b64 exec, exec, s[14:15]
	s_cbranch_execz .LBB1683_183
.LBB1683_180:                           ; =>This Inner Loop Header: Depth=1
	s_or_b64 s[38:39], s[38:39], exec
	s_cmp_eq_u64 s[10:11], s[40:41]
	s_cbranch_scc0 .LBB1683_178
; %bb.181:                              ;   in Loop: Header=BB1683_180 Depth=1
                                        ; implicit-def: $vgpr18_vgpr19
                                        ; implicit-def: $vgpr20_vgpr21
	s_mov_b64 s[40:41], s[26:27]
	s_branch .LBB1683_179
.LBB1683_182:
                                        ; implicit-def: $sgpr12_sgpr13
                                        ; implicit-def: $vgpr35
                                        ; implicit-def: $vgpr34
                                        ; implicit-def: $vgpr25
                                        ; implicit-def: $vgpr20
                                        ; implicit-def: $vgpr16_vgpr17
	s_cbranch_execnz .LBB1683_242
	s_branch .LBB1683_322
.LBB1683_183:
	s_or_b64 exec, exec, s[14:15]
	v_cmp_gt_i64_e32 vcc, s[26:27], v[22:23]
	s_orn2_b64 s[10:11], vcc, exec
.LBB1683_184:
	s_or_b64 exec, exec, s[12:13]
.LBB1683_185:
	v_mul_lo_u32 v20, v3, s26
	v_mul_lo_u32 v21, v2, s27
	v_mad_u64_u32 v[18:19], s[12:13], v2, s26, 0
	v_add3_u32 v19, v19, v21, v20
	s_mov_b64 s[12:13], 0
	s_and_b64 vcc, exec, s[4:5]
	v_lshl_add_u64 v[18:19], v[18:19], 3, s[28:29]
	s_mov_b64 s[14:15], 0
	s_cbranch_vccnz .LBB1683_194
; %bb.186:
	global_load_dwordx2 v[20:21], v[18:19], off
	global_load_dwordx2 v[22:23], v[16:17], off
	s_mov_b64 s[14:15], -1
	s_waitcnt vmcnt(0)
	v_cmp_eq_u64_e32 vcc, v[20:21], v[22:23]
	s_and_saveexec_b64 s[38:39], vcc
	s_cbranch_execz .LBB1683_193
; %bb.187:
	s_add_u32 s14, s26, -1
	v_lshl_add_u64 v[16:17], v[16:17], 0, 8
	v_lshl_add_u64 v[20:21], v[18:19], 0, 8
	s_addc_u32 s15, s27, -1
	s_mov_b64 s[40:41], 0
	s_mov_b64 s[44:45], 0
                                        ; implicit-def: $sgpr42_sgpr43
	s_branch .LBB1683_190
.LBB1683_188:                           ;   in Loop: Header=BB1683_190 Depth=1
	global_load_dwordx2 v[22:23], v[20:21], off
	global_load_dwordx2 v[32:33], v[16:17], off
	s_add_u32 s44, s44, 1
	s_addc_u32 s45, s45, 0
	s_andn2_b64 s[42:43], s[42:43], exec
	v_lshl_add_u64 v[16:17], v[16:17], 0, 8
	v_lshl_add_u64 v[20:21], v[20:21], 0, 8
	s_waitcnt vmcnt(0)
	v_cmp_ne_u64_e32 vcc, v[22:23], v[32:33]
	s_and_b64 s[46:47], vcc, exec
	s_or_b64 s[42:43], s[42:43], s[46:47]
.LBB1683_189:                           ;   in Loop: Header=BB1683_190 Depth=1
	s_and_b64 s[46:47], exec, s[42:43]
	s_or_b64 s[40:41], s[46:47], s[40:41]
	v_mov_b64_e32 v[22:23], s[44:45]
	s_andn2_b64 exec, exec, s[40:41]
	s_cbranch_execz .LBB1683_192
.LBB1683_190:                           ; =>This Inner Loop Header: Depth=1
	s_or_b64 s[42:43], s[42:43], exec
	s_cmp_eq_u64 s[14:15], s[44:45]
	s_cbranch_scc0 .LBB1683_188
; %bb.191:                              ;   in Loop: Header=BB1683_190 Depth=1
                                        ; implicit-def: $vgpr16_vgpr17
                                        ; implicit-def: $vgpr20_vgpr21
	s_mov_b64 s[44:45], s[26:27]
	s_branch .LBB1683_189
.LBB1683_192:
	s_or_b64 exec, exec, s[40:41]
	v_cmp_gt_i64_e32 vcc, s[26:27], v[22:23]
	s_orn2_b64 s[14:15], vcc, exec
.LBB1683_193:
	s_or_b64 exec, exec, s[38:39]
.LBB1683_194:
	v_mul_lo_u32 v20, v9, s26
	v_mul_lo_u32 v21, v8, s27
	v_mad_u64_u32 v[16:17], s[38:39], v8, s26, 0
	v_add3_u32 v17, v17, v21, v20
	s_and_b64 vcc, exec, s[4:5]
	v_lshl_add_u64 v[16:17], v[16:17], 3, s[28:29]
	s_cbranch_vccnz .LBB1683_203
; %bb.195:
	global_load_dwordx2 v[20:21], v[16:17], off
	global_load_dwordx2 v[22:23], v[18:19], off
	s_mov_b64 s[12:13], -1
	s_waitcnt vmcnt(0)
	v_cmp_eq_u64_e32 vcc, v[20:21], v[22:23]
	s_and_saveexec_b64 s[38:39], vcc
	s_cbranch_execz .LBB1683_202
; %bb.196:
	s_add_u32 s12, s26, -1
	v_lshl_add_u64 v[18:19], v[18:19], 0, 8
	v_lshl_add_u64 v[20:21], v[16:17], 0, 8
	s_addc_u32 s13, s27, -1
	s_mov_b64 s[40:41], 0
	s_mov_b64 s[44:45], 0
                                        ; implicit-def: $sgpr42_sgpr43
	s_branch .LBB1683_199
.LBB1683_197:                           ;   in Loop: Header=BB1683_199 Depth=1
	global_load_dwordx2 v[22:23], v[20:21], off
	global_load_dwordx2 v[32:33], v[18:19], off
	s_add_u32 s44, s44, 1
	s_addc_u32 s45, s45, 0
	s_andn2_b64 s[42:43], s[42:43], exec
	v_lshl_add_u64 v[18:19], v[18:19], 0, 8
	v_lshl_add_u64 v[20:21], v[20:21], 0, 8
	s_waitcnt vmcnt(0)
	v_cmp_ne_u64_e32 vcc, v[22:23], v[32:33]
	s_and_b64 s[46:47], vcc, exec
	s_or_b64 s[42:43], s[42:43], s[46:47]
.LBB1683_198:                           ;   in Loop: Header=BB1683_199 Depth=1
	s_and_b64 s[46:47], exec, s[42:43]
	s_or_b64 s[40:41], s[46:47], s[40:41]
	v_mov_b64_e32 v[22:23], s[44:45]
	s_andn2_b64 exec, exec, s[40:41]
	s_cbranch_execz .LBB1683_201
.LBB1683_199:                           ; =>This Inner Loop Header: Depth=1
	s_or_b64 s[42:43], s[42:43], exec
	s_cmp_eq_u64 s[12:13], s[44:45]
	s_cbranch_scc0 .LBB1683_197
; %bb.200:                              ;   in Loop: Header=BB1683_199 Depth=1
                                        ; implicit-def: $vgpr18_vgpr19
                                        ; implicit-def: $vgpr20_vgpr21
	s_mov_b64 s[44:45], s[26:27]
	s_branch .LBB1683_198
.LBB1683_201:
	s_or_b64 exec, exec, s[40:41]
	v_cmp_gt_i64_e32 vcc, s[26:27], v[22:23]
	s_orn2_b64 s[12:13], vcc, exec
.LBB1683_202:
	s_or_b64 exec, exec, s[38:39]
.LBB1683_203:
	v_mul_lo_u32 v20, v7, s26
	v_mul_lo_u32 v21, v6, s27
	v_mad_u64_u32 v[18:19], s[38:39], v6, s26, 0
	v_add3_u32 v19, v19, v21, v20
	s_mov_b64 s[38:39], 0
	s_and_b64 vcc, exec, s[4:5]
	v_lshl_add_u64 v[18:19], v[18:19], 3, s[28:29]
	s_mov_b64 s[40:41], 0
	s_cbranch_vccnz .LBB1683_212
; %bb.204:
	global_load_dwordx2 v[20:21], v[18:19], off
	global_load_dwordx2 v[22:23], v[16:17], off
	s_mov_b64 s[40:41], -1
	s_waitcnt vmcnt(0)
	v_cmp_eq_u64_e32 vcc, v[20:21], v[22:23]
	s_and_saveexec_b64 s[42:43], vcc
	s_cbranch_execz .LBB1683_211
; %bb.205:
	s_add_u32 s40, s26, -1
	v_lshl_add_u64 v[16:17], v[16:17], 0, 8
	v_lshl_add_u64 v[20:21], v[18:19], 0, 8
	s_addc_u32 s41, s27, -1
	s_mov_b64 s[44:45], 0
	s_mov_b64 s[48:49], 0
                                        ; implicit-def: $sgpr46_sgpr47
	s_branch .LBB1683_208
.LBB1683_206:                           ;   in Loop: Header=BB1683_208 Depth=1
	global_load_dwordx2 v[22:23], v[20:21], off
	global_load_dwordx2 v[32:33], v[16:17], off
	s_add_u32 s48, s48, 1
	s_addc_u32 s49, s49, 0
	s_andn2_b64 s[46:47], s[46:47], exec
	v_lshl_add_u64 v[16:17], v[16:17], 0, 8
	v_lshl_add_u64 v[20:21], v[20:21], 0, 8
	s_waitcnt vmcnt(0)
	v_cmp_ne_u64_e32 vcc, v[22:23], v[32:33]
	s_and_b64 s[50:51], vcc, exec
	s_or_b64 s[46:47], s[46:47], s[50:51]
.LBB1683_207:                           ;   in Loop: Header=BB1683_208 Depth=1
	s_and_b64 s[50:51], exec, s[46:47]
	s_or_b64 s[44:45], s[50:51], s[44:45]
	v_mov_b64_e32 v[22:23], s[48:49]
	s_andn2_b64 exec, exec, s[44:45]
	s_cbranch_execz .LBB1683_210
.LBB1683_208:                           ; =>This Inner Loop Header: Depth=1
	s_or_b64 s[46:47], s[46:47], exec
	s_cmp_eq_u64 s[40:41], s[48:49]
	s_cbranch_scc0 .LBB1683_206
; %bb.209:                              ;   in Loop: Header=BB1683_208 Depth=1
                                        ; implicit-def: $vgpr16_vgpr17
                                        ; implicit-def: $vgpr20_vgpr21
	s_mov_b64 s[48:49], s[26:27]
	s_branch .LBB1683_207
.LBB1683_210:
	s_or_b64 exec, exec, s[44:45]
	v_cmp_gt_i64_e32 vcc, s[26:27], v[22:23]
	s_orn2_b64 s[40:41], vcc, exec
.LBB1683_211:
	s_or_b64 exec, exec, s[42:43]
.LBB1683_212:
	v_mul_lo_u32 v20, v13, s26
	v_mul_lo_u32 v21, v12, s27
	v_mad_u64_u32 v[16:17], s[42:43], v12, s26, 0
	v_add3_u32 v17, v17, v21, v20
	s_and_b64 vcc, exec, s[4:5]
	v_lshl_add_u64 v[16:17], v[16:17], 3, s[28:29]
	s_cbranch_vccnz .LBB1683_221
; %bb.213:
	global_load_dwordx2 v[20:21], v[16:17], off
	global_load_dwordx2 v[22:23], v[18:19], off
	s_mov_b64 s[38:39], -1
	s_waitcnt vmcnt(0)
	v_cmp_eq_u64_e32 vcc, v[20:21], v[22:23]
	s_and_saveexec_b64 s[42:43], vcc
	s_cbranch_execz .LBB1683_220
; %bb.214:
	s_add_u32 s38, s26, -1
	v_lshl_add_u64 v[18:19], v[18:19], 0, 8
	v_lshl_add_u64 v[20:21], v[16:17], 0, 8
	s_addc_u32 s39, s27, -1
	s_mov_b64 s[44:45], 0
	s_mov_b64 s[48:49], 0
                                        ; implicit-def: $sgpr46_sgpr47
	s_branch .LBB1683_217
.LBB1683_215:                           ;   in Loop: Header=BB1683_217 Depth=1
	global_load_dwordx2 v[22:23], v[20:21], off
	global_load_dwordx2 v[32:33], v[18:19], off
	s_add_u32 s48, s48, 1
	s_addc_u32 s49, s49, 0
	s_andn2_b64 s[46:47], s[46:47], exec
	v_lshl_add_u64 v[18:19], v[18:19], 0, 8
	v_lshl_add_u64 v[20:21], v[20:21], 0, 8
	s_waitcnt vmcnt(0)
	v_cmp_ne_u64_e32 vcc, v[22:23], v[32:33]
	s_and_b64 s[50:51], vcc, exec
	s_or_b64 s[46:47], s[46:47], s[50:51]
.LBB1683_216:                           ;   in Loop: Header=BB1683_217 Depth=1
	s_and_b64 s[50:51], exec, s[46:47]
	s_or_b64 s[44:45], s[50:51], s[44:45]
	v_mov_b64_e32 v[22:23], s[48:49]
	s_andn2_b64 exec, exec, s[44:45]
	s_cbranch_execz .LBB1683_219
.LBB1683_217:                           ; =>This Inner Loop Header: Depth=1
	s_or_b64 s[46:47], s[46:47], exec
	s_cmp_eq_u64 s[38:39], s[48:49]
	s_cbranch_scc0 .LBB1683_215
; %bb.218:                              ;   in Loop: Header=BB1683_217 Depth=1
                                        ; implicit-def: $vgpr18_vgpr19
                                        ; implicit-def: $vgpr20_vgpr21
	s_mov_b64 s[48:49], s[26:27]
	s_branch .LBB1683_216
.LBB1683_219:
	s_or_b64 exec, exec, s[44:45]
	v_cmp_gt_i64_e32 vcc, s[26:27], v[22:23]
	s_orn2_b64 s[38:39], vcc, exec
.LBB1683_220:
	s_or_b64 exec, exec, s[42:43]
.LBB1683_221:
	v_mul_lo_u32 v20, v11, s26
	v_mul_lo_u32 v21, v10, s27
	v_mad_u64_u32 v[18:19], s[42:43], v10, s26, 0
	v_add3_u32 v19, v19, v21, v20
	s_and_b64 vcc, exec, s[4:5]
	s_mov_b64 s[44:45], 0
	s_cbranch_vccnz .LBB1683_230
; %bb.222:
	v_lshl_add_u64 v[20:21], v[18:19], 3, s[28:29]
	global_load_dwordx2 v[22:23], v[20:21], off
	global_load_dwordx2 v[32:33], v[16:17], off
	s_mov_b64 s[44:45], -1
	s_waitcnt vmcnt(0)
	v_cmp_eq_u64_e32 vcc, v[22:23], v[32:33]
	s_and_saveexec_b64 s[42:43], vcc
	s_cbranch_execz .LBB1683_229
; %bb.223:
	s_add_u32 s44, s26, -1
	v_lshl_add_u64 v[16:17], v[16:17], 0, 8
	v_lshl_add_u64 v[20:21], v[20:21], 0, 8
	s_addc_u32 s45, s27, -1
	s_mov_b64 s[46:47], 0
	s_mov_b64 s[50:51], 0
                                        ; implicit-def: $sgpr48_sgpr49
	s_branch .LBB1683_226
.LBB1683_224:                           ;   in Loop: Header=BB1683_226 Depth=1
	global_load_dwordx2 v[22:23], v[20:21], off
	global_load_dwordx2 v[32:33], v[16:17], off
	s_add_u32 s50, s50, 1
	s_addc_u32 s51, s51, 0
	s_andn2_b64 s[48:49], s[48:49], exec
	v_lshl_add_u64 v[16:17], v[16:17], 0, 8
	v_lshl_add_u64 v[20:21], v[20:21], 0, 8
	s_waitcnt vmcnt(0)
	v_cmp_ne_u64_e32 vcc, v[22:23], v[32:33]
	s_and_b64 s[54:55], vcc, exec
	s_or_b64 s[48:49], s[48:49], s[54:55]
.LBB1683_225:                           ;   in Loop: Header=BB1683_226 Depth=1
	s_and_b64 s[54:55], exec, s[48:49]
	s_or_b64 s[46:47], s[54:55], s[46:47]
	v_mov_b64_e32 v[22:23], s[50:51]
	s_andn2_b64 exec, exec, s[46:47]
	s_cbranch_execz .LBB1683_228
.LBB1683_226:                           ; =>This Inner Loop Header: Depth=1
	s_or_b64 s[48:49], s[48:49], exec
	s_cmp_eq_u64 s[44:45], s[50:51]
	s_cbranch_scc0 .LBB1683_224
; %bb.227:                              ;   in Loop: Header=BB1683_226 Depth=1
                                        ; implicit-def: $vgpr16_vgpr17
                                        ; implicit-def: $vgpr20_vgpr21
	s_mov_b64 s[50:51], s[26:27]
	s_branch .LBB1683_225
.LBB1683_228:
	s_or_b64 exec, exec, s[46:47]
	v_cmp_gt_i64_e32 vcc, s[26:27], v[22:23]
	s_orn2_b64 s[44:45], vcc, exec
.LBB1683_229:
	s_or_b64 exec, exec, s[42:43]
.LBB1683_230:
	v_cndmask_b32_e64 v17, 0, 1, s[40:41]
	v_cndmask_b32_e64 v16, 0, 1, s[38:39]
	;; [unrolled: 1-line block ×3, first 2 shown]
	v_lshlrev_b16_e32 v17, 8, v17
	v_cndmask_b32_e64 v25, 0, 1, s[12:13]
	v_cndmask_b32_e64 v20, 0, 1, s[44:45]
	v_or_b32_sdwa v16, v16, v17 dst_sel:WORD_1 dst_unused:UNUSED_PAD src0_sel:DWORD src1_sel:DWORD
	v_lshlrev_b16_e32 v17, 8, v34
	v_lshlrev_b16_e32 v20, 8, v20
	v_or_b32_e32 v17, v25, v17
	v_or_b32_e32 v20, 1, v20
	v_and_b32_e32 v17, 0xffff, v17
	v_cndmask_b32_e64 v35, 0, 1, s[10:11]
	v_or_b32_sdwa v16, v20, v16 dst_sel:DWORD dst_unused:UNUSED_PAD src0_sel:WORD_0 src1_sel:DWORD
	v_lshl_or_b32 v17, v35, 16, v17
	s_waitcnt lgkmcnt(0)
	s_barrier
	s_waitcnt lgkmcnt(0)
                                        ; implicit-def: $sgpr12_sgpr13
                                        ; implicit-def: $vgpr20
	s_and_saveexec_b64 s[10:11], s[2:3]
	s_xor_b64 s[10:11], exec, s[10:11]
	s_cbranch_execz .LBB1683_241
; %bb.231:
	s_mov_b32 s42, 0x3020104
	s_and_b64 vcc, exec, s[4:5]
	s_mov_b64 s[12:13], 0
	s_cbranch_vccnz .LBB1683_240
; %bb.232:
	v_add_u32_e32 v17, -8, v24
	ds_read_b64 v[20:21], v17
	v_lshl_add_u64 v[18:19], v[18:19], 3, s[28:29]
	s_mov_b64 s[12:13], -1
	s_waitcnt lgkmcnt(0)
	v_mul_lo_u32 v17, v21, s26
	v_mul_lo_u32 v22, v20, s27
	v_mad_u64_u32 v[20:21], s[4:5], v20, s26, 0
	v_add3_u32 v21, v21, v22, v17
	v_lshl_add_u64 v[20:21], v[20:21], 3, s[28:29]
	global_load_dwordx2 v[22:23], v[20:21], off
	global_load_dwordx2 v[32:33], v[18:19], off
	s_waitcnt vmcnt(0)
	v_cmp_eq_u64_e32 vcc, v[22:23], v[32:33]
	s_and_saveexec_b64 s[4:5], vcc
	s_cbranch_execz .LBB1683_239
; %bb.233:
	s_add_u32 s12, s26, -1
	v_lshl_add_u64 v[18:19], v[18:19], 0, 8
	v_lshl_add_u64 v[20:21], v[20:21], 0, 8
	s_addc_u32 s13, s27, -1
	s_mov_b64 s[14:15], 0
	s_mov_b64 s[40:41], 0
                                        ; implicit-def: $sgpr38_sgpr39
	s_branch .LBB1683_236
.LBB1683_234:                           ;   in Loop: Header=BB1683_236 Depth=1
	global_load_dwordx2 v[22:23], v[20:21], off
	global_load_dwordx2 v[32:33], v[18:19], off
	s_add_u32 s40, s40, 1
	s_addc_u32 s41, s41, 0
	s_andn2_b64 s[38:39], s[38:39], exec
	v_lshl_add_u64 v[18:19], v[18:19], 0, 8
	v_lshl_add_u64 v[20:21], v[20:21], 0, 8
	s_waitcnt vmcnt(0)
	v_cmp_ne_u64_e32 vcc, v[22:23], v[32:33]
	s_and_b64 s[44:45], vcc, exec
	s_or_b64 s[38:39], s[38:39], s[44:45]
.LBB1683_235:                           ;   in Loop: Header=BB1683_236 Depth=1
	s_and_b64 s[44:45], exec, s[38:39]
	s_or_b64 s[14:15], s[44:45], s[14:15]
	v_mov_b64_e32 v[22:23], s[40:41]
	s_andn2_b64 exec, exec, s[14:15]
	s_cbranch_execz .LBB1683_238
.LBB1683_236:                           ; =>This Inner Loop Header: Depth=1
	s_or_b64 s[38:39], s[38:39], exec
	s_cmp_eq_u64 s[12:13], s[40:41]
	s_cbranch_scc0 .LBB1683_234
; %bb.237:                              ;   in Loop: Header=BB1683_236 Depth=1
                                        ; implicit-def: $vgpr18_vgpr19
                                        ; implicit-def: $vgpr20_vgpr21
	s_mov_b64 s[40:41], s[26:27]
	s_branch .LBB1683_235
.LBB1683_238:
	s_or_b64 exec, exec, s[14:15]
	v_cmp_gt_i64_e32 vcc, s[26:27], v[22:23]
	s_orn2_b64 s[12:13], vcc, exec
.LBB1683_239:
	s_or_b64 exec, exec, s[4:5]
.LBB1683_240:
	v_perm_b32 v20, v16, v16, s42
	s_and_b64 s[12:13], s[12:13], exec
	s_or_b64 s[8:9], s[8:9], exec
                                        ; implicit-def: $vgpr16_vgpr17
.LBB1683_241:
	s_or_b64 exec, exec, s[10:11]
	s_branch .LBB1683_322
.LBB1683_242:
	v_cmp_gt_u32_e32 vcc, s52, v29
	s_mov_b64 s[10:11], 0
	s_mov_b64 s[4:5], 0
	s_and_saveexec_b64 s[12:13], vcc
	s_cbranch_execz .LBB1683_253
; %bb.243:
	s_andn2_b64 vcc, exec, s[6:7]
	s_mov_b64 s[14:15], 0
	s_cbranch_vccnz .LBB1683_252
; %bb.244:
	v_mul_lo_u32 v18, v5, s26
	v_mul_lo_u32 v19, v4, s27
	s_waitcnt vmcnt(0) lgkmcnt(1)
	v_mad_u64_u32 v[16:17], s[4:5], v4, s26, 0
	v_add3_u32 v17, v17, v19, v18
	v_mul_lo_u32 v18, v15, s26
	v_mul_lo_u32 v19, v14, s27
	v_mad_u64_u32 v[20:21], s[4:5], v14, s26, 0
	v_add3_u32 v21, v21, v19, v18
	v_lshl_add_u64 v[18:19], v[16:17], 3, s[28:29]
	v_lshl_add_u64 v[16:17], v[20:21], 3, s[28:29]
	global_load_dwordx2 v[20:21], v[18:19], off
	global_load_dwordx2 v[22:23], v[16:17], off
	s_mov_b64 s[14:15], -1
	s_waitcnt vmcnt(0)
	v_cmp_eq_u64_e32 vcc, v[20:21], v[22:23]
	s_and_saveexec_b64 s[4:5], vcc
	s_cbranch_execz .LBB1683_251
; %bb.245:
	s_add_u32 s14, s26, -1
	v_lshl_add_u64 v[16:17], v[16:17], 0, 8
	v_lshl_add_u64 v[18:19], v[18:19], 0, 8
	s_addc_u32 s15, s27, -1
	s_mov_b64 s[38:39], 0
	s_mov_b64 s[42:43], 0
                                        ; implicit-def: $sgpr40_sgpr41
	s_branch .LBB1683_248
.LBB1683_246:                           ;   in Loop: Header=BB1683_248 Depth=1
	global_load_dwordx2 v[20:21], v[18:19], off
	global_load_dwordx2 v[22:23], v[16:17], off
	s_add_u32 s42, s42, 1
	s_addc_u32 s43, s43, 0
	s_andn2_b64 s[40:41], s[40:41], exec
	v_lshl_add_u64 v[16:17], v[16:17], 0, 8
	v_lshl_add_u64 v[18:19], v[18:19], 0, 8
	s_waitcnt vmcnt(0)
	v_cmp_ne_u64_e32 vcc, v[20:21], v[22:23]
	s_and_b64 s[44:45], vcc, exec
	s_or_b64 s[40:41], s[40:41], s[44:45]
.LBB1683_247:                           ;   in Loop: Header=BB1683_248 Depth=1
	s_and_b64 s[44:45], exec, s[40:41]
	s_or_b64 s[38:39], s[44:45], s[38:39]
	v_mov_b64_e32 v[20:21], s[42:43]
	s_andn2_b64 exec, exec, s[38:39]
	s_cbranch_execz .LBB1683_250
.LBB1683_248:                           ; =>This Inner Loop Header: Depth=1
	s_or_b64 s[40:41], s[40:41], exec
	s_cmp_eq_u64 s[14:15], s[42:43]
	s_cbranch_scc0 .LBB1683_246
; %bb.249:                              ;   in Loop: Header=BB1683_248 Depth=1
                                        ; implicit-def: $vgpr16_vgpr17
                                        ; implicit-def: $vgpr18_vgpr19
	s_mov_b64 s[42:43], s[26:27]
	s_branch .LBB1683_247
.LBB1683_250:
	s_or_b64 exec, exec, s[38:39]
	v_cmp_gt_i64_e32 vcc, s[26:27], v[20:21]
	s_orn2_b64 s[14:15], vcc, exec
.LBB1683_251:
	s_or_b64 exec, exec, s[4:5]
.LBB1683_252:
	s_and_b64 s[4:5], s[14:15], exec
.LBB1683_253:
	s_or_b64 exec, exec, s[12:13]
	v_cmp_gt_u32_e32 vcc, s52, v31
	s_and_saveexec_b64 s[12:13], vcc
	s_cbranch_execz .LBB1683_264
; %bb.254:
	s_andn2_b64 vcc, exec, s[6:7]
	s_mov_b64 s[14:15], 0
	s_cbranch_vccnz .LBB1683_263
; %bb.255:
	v_mul_lo_u32 v18, v3, s26
	v_mul_lo_u32 v19, v2, s27
	s_waitcnt vmcnt(0) lgkmcnt(1)
	v_mad_u64_u32 v[16:17], s[10:11], v2, s26, 0
	v_add3_u32 v17, v17, v19, v18
	v_mul_lo_u32 v18, v5, s26
	v_mul_lo_u32 v19, v4, s27
	v_mad_u64_u32 v[20:21], s[10:11], v4, s26, 0
	v_add3_u32 v21, v21, v19, v18
	v_lshl_add_u64 v[18:19], v[16:17], 3, s[28:29]
	v_lshl_add_u64 v[16:17], v[20:21], 3, s[28:29]
	global_load_dwordx2 v[20:21], v[18:19], off
	global_load_dwordx2 v[22:23], v[16:17], off
	s_mov_b64 s[14:15], -1
	s_waitcnt vmcnt(0)
	v_cmp_eq_u64_e32 vcc, v[20:21], v[22:23]
	s_and_saveexec_b64 s[10:11], vcc
	s_cbranch_execz .LBB1683_262
; %bb.256:
	s_add_u32 s14, s26, -1
	v_lshl_add_u64 v[16:17], v[16:17], 0, 8
	v_lshl_add_u64 v[18:19], v[18:19], 0, 8
	s_addc_u32 s15, s27, -1
	s_mov_b64 s[38:39], 0
	s_mov_b64 s[42:43], 0
                                        ; implicit-def: $sgpr40_sgpr41
	s_branch .LBB1683_259
.LBB1683_257:                           ;   in Loop: Header=BB1683_259 Depth=1
	global_load_dwordx2 v[20:21], v[18:19], off
	global_load_dwordx2 v[22:23], v[16:17], off
	s_add_u32 s42, s42, 1
	s_addc_u32 s43, s43, 0
	s_andn2_b64 s[40:41], s[40:41], exec
	v_lshl_add_u64 v[16:17], v[16:17], 0, 8
	v_lshl_add_u64 v[18:19], v[18:19], 0, 8
	s_waitcnt vmcnt(0)
	v_cmp_ne_u64_e32 vcc, v[20:21], v[22:23]
	s_and_b64 s[44:45], vcc, exec
	s_or_b64 s[40:41], s[40:41], s[44:45]
.LBB1683_258:                           ;   in Loop: Header=BB1683_259 Depth=1
	s_and_b64 s[44:45], exec, s[40:41]
	s_or_b64 s[38:39], s[44:45], s[38:39]
	v_mov_b64_e32 v[20:21], s[42:43]
	s_andn2_b64 exec, exec, s[38:39]
	s_cbranch_execz .LBB1683_261
.LBB1683_259:                           ; =>This Inner Loop Header: Depth=1
	s_or_b64 s[40:41], s[40:41], exec
	s_cmp_eq_u64 s[14:15], s[42:43]
	s_cbranch_scc0 .LBB1683_257
; %bb.260:                              ;   in Loop: Header=BB1683_259 Depth=1
                                        ; implicit-def: $vgpr16_vgpr17
                                        ; implicit-def: $vgpr18_vgpr19
	s_mov_b64 s[42:43], s[26:27]
	s_branch .LBB1683_258
.LBB1683_261:
	s_or_b64 exec, exec, s[38:39]
	v_cmp_gt_i64_e32 vcc, s[26:27], v[20:21]
	s_orn2_b64 s[14:15], vcc, exec
.LBB1683_262:
	s_or_b64 exec, exec, s[10:11]
.LBB1683_263:
	s_and_b64 s[10:11], s[14:15], exec
.LBB1683_264:
	s_or_b64 exec, exec, s[12:13]
	v_cmp_gt_u32_e32 vcc, s52, v28
	s_mov_b64 s[14:15], 0
	s_mov_b64 s[12:13], 0
	s_and_saveexec_b64 s[38:39], vcc
	s_cbranch_execz .LBB1683_275
; %bb.265:
	s_andn2_b64 vcc, exec, s[6:7]
	s_mov_b64 s[40:41], 0
	s_cbranch_vccnz .LBB1683_274
; %bb.266:
	v_mul_lo_u32 v18, v9, s26
	v_mul_lo_u32 v19, v8, s27
	s_waitcnt vmcnt(0) lgkmcnt(1)
	v_mad_u64_u32 v[16:17], s[12:13], v8, s26, 0
	v_add3_u32 v17, v17, v19, v18
	v_mul_lo_u32 v18, v3, s26
	v_mul_lo_u32 v19, v2, s27
	v_mad_u64_u32 v[20:21], s[12:13], v2, s26, 0
	v_add3_u32 v21, v21, v19, v18
	v_lshl_add_u64 v[18:19], v[16:17], 3, s[28:29]
	v_lshl_add_u64 v[16:17], v[20:21], 3, s[28:29]
	global_load_dwordx2 v[20:21], v[18:19], off
	global_load_dwordx2 v[22:23], v[16:17], off
	s_mov_b64 s[40:41], -1
	s_waitcnt vmcnt(0)
	v_cmp_eq_u64_e32 vcc, v[20:21], v[22:23]
	s_and_saveexec_b64 s[12:13], vcc
	s_cbranch_execz .LBB1683_273
; %bb.267:
	s_add_u32 s40, s26, -1
	v_lshl_add_u64 v[16:17], v[16:17], 0, 8
	v_lshl_add_u64 v[18:19], v[18:19], 0, 8
	s_addc_u32 s41, s27, -1
	s_mov_b64 s[42:43], 0
	s_mov_b64 s[46:47], 0
                                        ; implicit-def: $sgpr44_sgpr45
	s_branch .LBB1683_270
.LBB1683_268:                           ;   in Loop: Header=BB1683_270 Depth=1
	global_load_dwordx2 v[20:21], v[18:19], off
	global_load_dwordx2 v[22:23], v[16:17], off
	s_add_u32 s46, s46, 1
	s_addc_u32 s47, s47, 0
	s_andn2_b64 s[44:45], s[44:45], exec
	v_lshl_add_u64 v[16:17], v[16:17], 0, 8
	v_lshl_add_u64 v[18:19], v[18:19], 0, 8
	s_waitcnt vmcnt(0)
	v_cmp_ne_u64_e32 vcc, v[20:21], v[22:23]
	s_and_b64 s[48:49], vcc, exec
	s_or_b64 s[44:45], s[44:45], s[48:49]
.LBB1683_269:                           ;   in Loop: Header=BB1683_270 Depth=1
	s_and_b64 s[48:49], exec, s[44:45]
	s_or_b64 s[42:43], s[48:49], s[42:43]
	v_mov_b64_e32 v[20:21], s[46:47]
	s_andn2_b64 exec, exec, s[42:43]
	s_cbranch_execz .LBB1683_272
.LBB1683_270:                           ; =>This Inner Loop Header: Depth=1
	s_or_b64 s[44:45], s[44:45], exec
	s_cmp_eq_u64 s[40:41], s[46:47]
	s_cbranch_scc0 .LBB1683_268
; %bb.271:                              ;   in Loop: Header=BB1683_270 Depth=1
                                        ; implicit-def: $vgpr16_vgpr17
                                        ; implicit-def: $vgpr18_vgpr19
	s_mov_b64 s[46:47], s[26:27]
	s_branch .LBB1683_269
.LBB1683_272:
	s_or_b64 exec, exec, s[42:43]
	v_cmp_gt_i64_e32 vcc, s[26:27], v[20:21]
	s_orn2_b64 s[40:41], vcc, exec
.LBB1683_273:
	s_or_b64 exec, exec, s[12:13]
.LBB1683_274:
	s_and_b64 s[12:13], s[40:41], exec
.LBB1683_275:
	s_or_b64 exec, exec, s[38:39]
	v_cmp_gt_u32_e32 vcc, s52, v30
	s_and_saveexec_b64 s[38:39], vcc
	s_cbranch_execz .LBB1683_286
; %bb.276:
	s_andn2_b64 vcc, exec, s[6:7]
	s_mov_b64 s[40:41], 0
	s_cbranch_vccnz .LBB1683_285
; %bb.277:
	v_mul_lo_u32 v18, v7, s26
	v_mul_lo_u32 v19, v6, s27
	s_waitcnt vmcnt(0) lgkmcnt(1)
	v_mad_u64_u32 v[16:17], s[14:15], v6, s26, 0
	v_add3_u32 v17, v17, v19, v18
	v_mul_lo_u32 v18, v9, s26
	v_mul_lo_u32 v19, v8, s27
	v_mad_u64_u32 v[20:21], s[14:15], v8, s26, 0
	v_add3_u32 v21, v21, v19, v18
	v_lshl_add_u64 v[18:19], v[16:17], 3, s[28:29]
	v_lshl_add_u64 v[16:17], v[20:21], 3, s[28:29]
	global_load_dwordx2 v[20:21], v[18:19], off
	global_load_dwordx2 v[22:23], v[16:17], off
	s_mov_b64 s[40:41], -1
	s_waitcnt vmcnt(0)
	v_cmp_eq_u64_e32 vcc, v[20:21], v[22:23]
	s_and_saveexec_b64 s[14:15], vcc
	s_cbranch_execz .LBB1683_284
; %bb.278:
	s_add_u32 s40, s26, -1
	v_lshl_add_u64 v[16:17], v[16:17], 0, 8
	v_lshl_add_u64 v[18:19], v[18:19], 0, 8
	s_addc_u32 s41, s27, -1
	s_mov_b64 s[42:43], 0
	s_mov_b64 s[46:47], 0
                                        ; implicit-def: $sgpr44_sgpr45
	s_branch .LBB1683_281
.LBB1683_279:                           ;   in Loop: Header=BB1683_281 Depth=1
	global_load_dwordx2 v[20:21], v[18:19], off
	global_load_dwordx2 v[22:23], v[16:17], off
	s_add_u32 s46, s46, 1
	s_addc_u32 s47, s47, 0
	s_andn2_b64 s[44:45], s[44:45], exec
	v_lshl_add_u64 v[16:17], v[16:17], 0, 8
	v_lshl_add_u64 v[18:19], v[18:19], 0, 8
	s_waitcnt vmcnt(0)
	v_cmp_ne_u64_e32 vcc, v[20:21], v[22:23]
	s_and_b64 s[48:49], vcc, exec
	s_or_b64 s[44:45], s[44:45], s[48:49]
.LBB1683_280:                           ;   in Loop: Header=BB1683_281 Depth=1
	s_and_b64 s[48:49], exec, s[44:45]
	s_or_b64 s[42:43], s[48:49], s[42:43]
	v_mov_b64_e32 v[20:21], s[46:47]
	s_andn2_b64 exec, exec, s[42:43]
	s_cbranch_execz .LBB1683_283
.LBB1683_281:                           ; =>This Inner Loop Header: Depth=1
	s_or_b64 s[44:45], s[44:45], exec
	s_cmp_eq_u64 s[40:41], s[46:47]
	s_cbranch_scc0 .LBB1683_279
; %bb.282:                              ;   in Loop: Header=BB1683_281 Depth=1
                                        ; implicit-def: $vgpr16_vgpr17
                                        ; implicit-def: $vgpr18_vgpr19
	s_mov_b64 s[46:47], s[26:27]
	s_branch .LBB1683_280
.LBB1683_283:
	s_or_b64 exec, exec, s[42:43]
	v_cmp_gt_i64_e32 vcc, s[26:27], v[20:21]
	s_orn2_b64 s[40:41], vcc, exec
.LBB1683_284:
	s_or_b64 exec, exec, s[14:15]
.LBB1683_285:
	s_and_b64 s[14:15], s[40:41], exec
.LBB1683_286:
	s_or_b64 exec, exec, s[38:39]
	v_cmp_gt_u32_e32 vcc, s52, v26
	s_mov_b64 s[38:39], 0
	s_mov_b64 s[40:41], 0
	s_and_saveexec_b64 s[42:43], vcc
	s_cbranch_execz .LBB1683_297
; %bb.287:
	s_andn2_b64 vcc, exec, s[6:7]
	s_mov_b64 s[44:45], 0
	s_cbranch_vccnz .LBB1683_296
; %bb.288:
	v_mul_lo_u32 v18, v13, s26
	v_mul_lo_u32 v19, v12, s27
	s_waitcnt vmcnt(0) lgkmcnt(1)
	v_mad_u64_u32 v[16:17], s[40:41], v12, s26, 0
	v_add3_u32 v17, v17, v19, v18
	v_mul_lo_u32 v18, v7, s26
	v_mul_lo_u32 v19, v6, s27
	v_mad_u64_u32 v[20:21], s[40:41], v6, s26, 0
	v_add3_u32 v21, v21, v19, v18
	v_lshl_add_u64 v[18:19], v[16:17], 3, s[28:29]
	v_lshl_add_u64 v[16:17], v[20:21], 3, s[28:29]
	global_load_dwordx2 v[20:21], v[18:19], off
	global_load_dwordx2 v[22:23], v[16:17], off
	s_mov_b64 s[44:45], -1
	s_waitcnt vmcnt(0)
	v_cmp_eq_u64_e32 vcc, v[20:21], v[22:23]
	s_and_saveexec_b64 s[40:41], vcc
	s_cbranch_execz .LBB1683_295
; %bb.289:
	s_add_u32 s44, s26, -1
	v_lshl_add_u64 v[16:17], v[16:17], 0, 8
	v_lshl_add_u64 v[18:19], v[18:19], 0, 8
	s_addc_u32 s45, s27, -1
	s_mov_b64 s[46:47], 0
	s_mov_b64 s[50:51], 0
                                        ; implicit-def: $sgpr48_sgpr49
	s_branch .LBB1683_292
.LBB1683_290:                           ;   in Loop: Header=BB1683_292 Depth=1
	global_load_dwordx2 v[20:21], v[18:19], off
	global_load_dwordx2 v[22:23], v[16:17], off
	s_add_u32 s50, s50, 1
	s_addc_u32 s51, s51, 0
	s_andn2_b64 s[48:49], s[48:49], exec
	v_lshl_add_u64 v[16:17], v[16:17], 0, 8
	v_lshl_add_u64 v[18:19], v[18:19], 0, 8
	s_waitcnt vmcnt(0)
	v_cmp_ne_u64_e32 vcc, v[20:21], v[22:23]
	s_and_b64 s[54:55], vcc, exec
	s_or_b64 s[48:49], s[48:49], s[54:55]
.LBB1683_291:                           ;   in Loop: Header=BB1683_292 Depth=1
	s_and_b64 s[54:55], exec, s[48:49]
	s_or_b64 s[46:47], s[54:55], s[46:47]
	v_mov_b64_e32 v[20:21], s[50:51]
	s_andn2_b64 exec, exec, s[46:47]
	s_cbranch_execz .LBB1683_294
.LBB1683_292:                           ; =>This Inner Loop Header: Depth=1
	s_or_b64 s[48:49], s[48:49], exec
	s_cmp_eq_u64 s[44:45], s[50:51]
	s_cbranch_scc0 .LBB1683_290
; %bb.293:                              ;   in Loop: Header=BB1683_292 Depth=1
                                        ; implicit-def: $vgpr16_vgpr17
                                        ; implicit-def: $vgpr18_vgpr19
	s_mov_b64 s[50:51], s[26:27]
	s_branch .LBB1683_291
.LBB1683_294:
	s_or_b64 exec, exec, s[46:47]
	v_cmp_gt_i64_e32 vcc, s[26:27], v[20:21]
	s_orn2_b64 s[44:45], vcc, exec
.LBB1683_295:
	s_or_b64 exec, exec, s[40:41]
.LBB1683_296:
	s_and_b64 s[40:41], s[44:45], exec
.LBB1683_297:
	s_or_b64 exec, exec, s[42:43]
	v_cmp_gt_u32_e32 vcc, s52, v27
	s_and_saveexec_b64 s[42:43], vcc
	s_cbranch_execz .LBB1683_308
; %bb.298:
	s_andn2_b64 vcc, exec, s[6:7]
	s_mov_b64 s[44:45], 0
	s_cbranch_vccnz .LBB1683_307
; %bb.299:
	v_mul_lo_u32 v18, v11, s26
	v_mul_lo_u32 v19, v10, s27
	s_waitcnt vmcnt(0) lgkmcnt(1)
	v_mad_u64_u32 v[16:17], s[38:39], v10, s26, 0
	v_add3_u32 v17, v17, v19, v18
	v_mul_lo_u32 v18, v13, s26
	v_mul_lo_u32 v19, v12, s27
	v_mad_u64_u32 v[20:21], s[38:39], v12, s26, 0
	v_add3_u32 v21, v21, v19, v18
	v_lshl_add_u64 v[18:19], v[16:17], 3, s[28:29]
	v_lshl_add_u64 v[16:17], v[20:21], 3, s[28:29]
	global_load_dwordx2 v[20:21], v[18:19], off
	global_load_dwordx2 v[22:23], v[16:17], off
	s_mov_b64 s[44:45], -1
	s_waitcnt vmcnt(0)
	v_cmp_eq_u64_e32 vcc, v[20:21], v[22:23]
	s_and_saveexec_b64 s[38:39], vcc
	s_cbranch_execz .LBB1683_306
; %bb.300:
	s_add_u32 s44, s26, -1
	v_lshl_add_u64 v[16:17], v[16:17], 0, 8
	v_lshl_add_u64 v[18:19], v[18:19], 0, 8
	s_addc_u32 s45, s27, -1
	s_mov_b64 s[46:47], 0
	s_mov_b64 s[50:51], 0
                                        ; implicit-def: $sgpr48_sgpr49
	s_branch .LBB1683_303
.LBB1683_301:                           ;   in Loop: Header=BB1683_303 Depth=1
	global_load_dwordx2 v[20:21], v[18:19], off
	global_load_dwordx2 v[22:23], v[16:17], off
	s_add_u32 s50, s50, 1
	s_addc_u32 s51, s51, 0
	s_andn2_b64 s[48:49], s[48:49], exec
	v_lshl_add_u64 v[16:17], v[16:17], 0, 8
	v_lshl_add_u64 v[18:19], v[18:19], 0, 8
	s_waitcnt vmcnt(0)
	v_cmp_ne_u64_e32 vcc, v[20:21], v[22:23]
	s_and_b64 s[54:55], vcc, exec
	s_or_b64 s[48:49], s[48:49], s[54:55]
.LBB1683_302:                           ;   in Loop: Header=BB1683_303 Depth=1
	s_and_b64 s[54:55], exec, s[48:49]
	s_or_b64 s[46:47], s[54:55], s[46:47]
	v_mov_b64_e32 v[20:21], s[50:51]
	s_andn2_b64 exec, exec, s[46:47]
	s_cbranch_execz .LBB1683_305
.LBB1683_303:                           ; =>This Inner Loop Header: Depth=1
	s_or_b64 s[48:49], s[48:49], exec
	s_cmp_eq_u64 s[44:45], s[50:51]
	s_cbranch_scc0 .LBB1683_301
; %bb.304:                              ;   in Loop: Header=BB1683_303 Depth=1
                                        ; implicit-def: $vgpr16_vgpr17
                                        ; implicit-def: $vgpr18_vgpr19
	s_mov_b64 s[50:51], s[26:27]
	s_branch .LBB1683_302
.LBB1683_305:
	s_or_b64 exec, exec, s[46:47]
	v_cmp_gt_i64_e32 vcc, s[26:27], v[20:21]
	s_orn2_b64 s[44:45], vcc, exec
.LBB1683_306:
	s_or_b64 exec, exec, s[38:39]
.LBB1683_307:
	s_and_b64 s[38:39], s[44:45], exec
.LBB1683_308:
	s_or_b64 exec, exec, s[42:43]
	s_waitcnt vmcnt(0) lgkmcnt(1)
	v_cndmask_b32_e64 v17, 0, 1, s[14:15]
	v_cndmask_b32_e64 v16, 0, 1, s[40:41]
	v_cndmask_b32_e64 v34, 0, 1, s[10:11]
	v_lshlrev_b16_e32 v17, 8, v17
	v_cndmask_b32_e64 v25, 0, 1, s[12:13]
	v_cndmask_b32_e64 v18, 0, 1, s[38:39]
	v_or_b32_sdwa v16, v16, v17 dst_sel:WORD_1 dst_unused:UNUSED_PAD src0_sel:DWORD src1_sel:DWORD
	v_lshlrev_b16_e32 v17, 8, v34
	v_lshlrev_b16_e32 v18, 8, v18
	v_or_b32_e32 v17, v25, v17
	v_or_b32_e32 v18, 1, v18
	v_and_b32_e32 v17, 0xffff, v17
	v_cndmask_b32_e64 v35, 0, 1, s[4:5]
	v_or_b32_sdwa v16, v18, v16 dst_sel:DWORD dst_unused:UNUSED_PAD src0_sel:WORD_0 src1_sel:DWORD
	v_lshl_or_b32 v17, v35, 16, v17
	s_waitcnt lgkmcnt(0)
	s_barrier
	s_waitcnt lgkmcnt(0)
                                        ; implicit-def: $sgpr12_sgpr13
                                        ; implicit-def: $vgpr20
	s_and_saveexec_b64 s[4:5], s[2:3]
	s_cbranch_execz .LBB1683_321
; %bb.309:
	v_cmp_gt_u32_e32 vcc, s52, v1
	s_mov_b32 s38, 0x3020104
	s_mov_b64 s[10:11], 0
	s_and_saveexec_b64 s[2:3], vcc
	s_cbranch_execz .LBB1683_320
; %bb.310:
	s_andn2_b64 vcc, exec, s[6:7]
	s_cbranch_vccnz .LBB1683_319
; %bb.311:
	v_add_u32_e32 v17, -8, v24
	ds_read_b64 v[18:19], v17
	v_mul_lo_u32 v17, v11, s26
	v_mad_u64_u32 v[22:23], s[6:7], v10, s26, 0
	s_mov_b64 s[10:11], -1
	s_waitcnt lgkmcnt(0)
	v_mul_lo_u32 v20, v19, s26
	v_mul_lo_u32 v21, v18, s27
	v_mad_u64_u32 v[18:19], s[6:7], v18, s26, 0
	v_add3_u32 v19, v19, v21, v20
	v_mul_lo_u32 v20, v10, s27
	v_add3_u32 v23, v23, v20, v17
	v_lshl_add_u64 v[20:21], v[18:19], 3, s[28:29]
	v_lshl_add_u64 v[18:19], v[22:23], 3, s[28:29]
	global_load_dwordx2 v[22:23], v[20:21], off
	global_load_dwordx2 v[32:33], v[18:19], off
	s_waitcnt vmcnt(0)
	v_cmp_eq_u64_e32 vcc, v[22:23], v[32:33]
	s_and_saveexec_b64 s[6:7], vcc
	s_cbranch_execz .LBB1683_318
; %bb.312:
	s_add_u32 s10, s26, -1
	v_lshl_add_u64 v[18:19], v[18:19], 0, 8
	v_lshl_add_u64 v[20:21], v[20:21], 0, 8
	s_addc_u32 s11, s27, -1
	s_mov_b64 s[12:13], 0
	s_mov_b64 s[28:29], 0
                                        ; implicit-def: $sgpr14_sgpr15
	s_branch .LBB1683_315
.LBB1683_313:                           ;   in Loop: Header=BB1683_315 Depth=1
	global_load_dwordx2 v[22:23], v[20:21], off
	global_load_dwordx2 v[32:33], v[18:19], off
	s_add_u32 s28, s28, 1
	s_addc_u32 s29, s29, 0
	s_andn2_b64 s[14:15], s[14:15], exec
	v_lshl_add_u64 v[18:19], v[18:19], 0, 8
	v_lshl_add_u64 v[20:21], v[20:21], 0, 8
	s_waitcnt vmcnt(0)
	v_cmp_ne_u64_e32 vcc, v[22:23], v[32:33]
	s_and_b64 s[40:41], vcc, exec
	s_or_b64 s[14:15], s[14:15], s[40:41]
.LBB1683_314:                           ;   in Loop: Header=BB1683_315 Depth=1
	s_and_b64 s[40:41], exec, s[14:15]
	s_or_b64 s[12:13], s[40:41], s[12:13]
	v_mov_b64_e32 v[22:23], s[28:29]
	s_andn2_b64 exec, exec, s[12:13]
	s_cbranch_execz .LBB1683_317
.LBB1683_315:                           ; =>This Inner Loop Header: Depth=1
	s_or_b64 s[14:15], s[14:15], exec
	s_cmp_eq_u64 s[10:11], s[28:29]
	s_cbranch_scc0 .LBB1683_313
; %bb.316:                              ;   in Loop: Header=BB1683_315 Depth=1
                                        ; implicit-def: $vgpr18_vgpr19
                                        ; implicit-def: $vgpr20_vgpr21
	s_mov_b64 s[28:29], s[26:27]
	s_branch .LBB1683_314
.LBB1683_317:
	s_or_b64 exec, exec, s[12:13]
	v_cmp_gt_i64_e32 vcc, s[26:27], v[22:23]
	s_orn2_b64 s[10:11], vcc, exec
.LBB1683_318:
	s_or_b64 exec, exec, s[6:7]
.LBB1683_319:
	s_and_b64 s[10:11], s[10:11], exec
.LBB1683_320:
	s_or_b64 exec, exec, s[2:3]
	v_perm_b32 v20, v16, v16, s38
	s_and_b64 s[12:13], s[10:11], exec
	s_or_b64 s[8:9], s[8:9], exec
                                        ; implicit-def: $vgpr16_vgpr17
.LBB1683_321:
	s_or_b64 exec, exec, s[4:5]
.LBB1683_322:
	s_and_saveexec_b64 s[2:3], s[8:9]
	s_cbranch_execz .LBB1683_324
; %bb.323:
	s_waitcnt vmcnt(0) lgkmcnt(0)
	v_lshlrev_b16_e32 v17, 8, v34
	v_and_b32_e32 v18, 0xff, v35
	v_or_b32_sdwa v17, v25, v17 dst_sel:DWORD dst_unused:UNUSED_PAD src0_sel:BYTE_0 src1_sel:DWORD
	v_lshlrev_b32_e32 v18, 16, v18
	s_movk_i32 s4, 0xff
	v_or_b32_sdwa v17, v17, v18 dst_sel:DWORD dst_unused:UNUSED_PAD src0_sel:WORD_0 src1_sel:DWORD
	v_lshrrev_b32_e32 v18, 24, v20
	v_lshlrev_b16_e32 v18, 8, v18
	v_and_b32_sdwa v19, v20, s4 dst_sel:DWORD dst_unused:UNUSED_PAD src0_sel:WORD_1 src1_sel:DWORD
	v_or_b32_sdwa v18, v19, v18 dst_sel:WORD_1 dst_unused:UNUSED_PAD src0_sel:DWORD src1_sel:DWORD
	v_mov_b32_e32 v19, 8
	v_cndmask_b32_e64 v16, 0, 1, s[12:13]
	v_lshrrev_b32_sdwa v19, v19, v20 dst_sel:BYTE_1 dst_unused:UNUSED_PAD src0_sel:DWORD src1_sel:DWORD
	s_nop 0
	v_or_b32_e32 v16, v16, v19
	v_or_b32_sdwa v16, v16, v18 dst_sel:DWORD dst_unused:UNUSED_PAD src0_sel:WORD_0 src1_sel:DWORD
.LBB1683_324:
	s_or_b64 exec, exec, s[2:3]
	s_andn2_b64 vcc, exec, s[0:1]
	s_cbranch_vccnz .LBB1683_326
; %bb.325:
	s_waitcnt vmcnt(0) lgkmcnt(0)
	v_and_b32_e32 v18, 0xffff0000, v16
	v_cmp_gt_u32_e32 vcc, s52, v1
	s_mov_b32 s0, 0x40c0100
	s_nop 0
	v_cndmask_b32_e32 v1, v18, v16, vcc
	v_and_b32_e32 v1, 0xffff00ff, v1
	v_cmp_gt_u32_e32 vcc, s52, v27
	s_nop 1
	v_cndmask_b32_e32 v1, v1, v16, vcc
	v_lshrrev_b32_e32 v18, 24, v1
	v_perm_b32 v1, v18, v1, s0
	v_cmp_gt_u32_e32 vcc, s52, v26
	v_and_b32_e32 v18, 0xffffff00, v17
	s_nop 0
	v_cndmask_b32_e32 v1, v1, v16, vcc
	v_and_b32_e32 v1, 0xffffff, v1
	v_cmp_gt_u32_e32 vcc, s52, v30
	s_nop 1
	v_cndmask_b32_e32 v1, v1, v16, vcc
	v_cmp_gt_u32_e32 vcc, s52, v28
	s_nop 1
	v_cndmask_b32_e32 v18, v18, v17, vcc
	v_and_b32_e32 v18, 0xffff00ff, v18
	v_cndmask_b32_e32 v1, v1, v16, vcc
	v_cmp_gt_u32_e32 vcc, s52, v31
	s_nop 1
	v_cndmask_b32_e32 v18, v18, v17, vcc
	v_lshrrev_b32_e32 v19, 24, v18
	v_cndmask_b32_e32 v1, v1, v16, vcc
	v_perm_b32 v18, v19, v18, s0
	v_cmp_gt_u32_e32 vcc, s52, v29
	s_mov_b32 s0, 0x3020104
	s_nop 0
	v_cndmask_b32_e32 v1, v1, v16, vcc
	v_cndmask_b32_e32 v16, v18, v17, vcc
	v_mov_b32_e32 v17, 8
	v_lshrrev_b32_sdwa v17, v17, v16 dst_sel:BYTE_1 dst_unused:UNUSED_PAD src0_sel:DWORD src1_sel:DWORD
	s_nop 0
	v_or_b32_sdwa v17, v16, v17 dst_sel:DWORD dst_unused:UNUSED_PAD src0_sel:BYTE_0 src1_sel:DWORD
	v_and_b32_e32 v17, 0xffff, v17
	v_bfe_u32 v16, v16, 16, 8
	v_lshl_or_b32 v17, v16, 16, v17
	v_perm_b32 v16, v1, v1, s0
.LBB1683_326:
	s_waitcnt vmcnt(0) lgkmcnt(0)
	v_and_b32_e32 v1, 0xff, v16
	v_bfe_u32 v29, v16, 8, 8
	v_bfe_u32 v31, v16, 16, 8
	v_alignbit_b32 v18, v17, v16, 24
	v_and_b32_e32 v33, 0xff, v18
	v_and_b32_e32 v35, 0xff, v17
	v_add3_u32 v19, v29, v1, v31
	v_bfe_u32 v36, v17, 8, 8
	v_bfe_u32 v18, v17, 16, 8
	v_add3_u32 v19, v19, v33, v35
	v_add3_u32 v39, v19, v36, v18
	v_mbcnt_lo_u32_b32 v18, -1, 0
	v_mbcnt_hi_u32_b32 v37, -1, v18
	v_and_b32_e32 v18, 15, v37
	v_cmp_eq_u32_e64 s[14:15], 0, v18
	v_cmp_lt_u32_e64 s[12:13], 1, v18
	v_cmp_lt_u32_e64 s[10:11], 3, v18
	;; [unrolled: 1-line block ×3, first 2 shown]
	v_and_b32_e32 v18, 16, v37
	v_cmp_eq_u32_e64 s[6:7], 0, v18
	v_or_b32_e32 v18, 63, v0
	v_cmp_lt_u32_e64 s[2:3], 31, v37
	v_lshrrev_b32_e32 v38, 6, v0
	v_cmp_eq_u32_e64 s[4:5], v18, v0
	s_and_b64 vcc, exec, s[16:17]
	s_barrier
	s_cbranch_vccz .LBB1683_357
; %bb.327:
	v_mov_b32_dpp v18, v39 row_shr:1 row_mask:0xf bank_mask:0xf
	v_cndmask_b32_e64 v18, v18, 0, s[14:15]
	v_add_u32_e32 v18, v18, v39
	s_nop 1
	v_mov_b32_dpp v19, v18 row_shr:2 row_mask:0xf bank_mask:0xf
	v_cndmask_b32_e64 v19, 0, v19, s[12:13]
	v_add_u32_e32 v18, v18, v19
	s_nop 1
	;; [unrolled: 4-line block ×4, first 2 shown]
	v_mov_b32_dpp v19, v18 row_bcast:15 row_mask:0xf bank_mask:0xf
	v_cndmask_b32_e64 v19, v19, 0, s[6:7]
	v_add_u32_e32 v18, v18, v19
	s_nop 1
	v_mov_b32_dpp v19, v18 row_bcast:31 row_mask:0xf bank_mask:0xf
	v_cndmask_b32_e64 v19, 0, v19, s[2:3]
	v_add_u32_e32 v18, v18, v19
	s_and_saveexec_b64 s[0:1], s[4:5]
	s_cbranch_execz .LBB1683_329
; %bb.328:
	v_lshlrev_b32_e32 v19, 2, v38
	ds_write_b32 v19, v18
.LBB1683_329:
	s_or_b64 exec, exec, s[0:1]
	v_cmp_gt_u32_e32 vcc, 8, v0
	s_waitcnt lgkmcnt(0)
	s_barrier
	s_and_saveexec_b64 s[0:1], vcc
	s_cbranch_execz .LBB1683_331
; %bb.330:
	v_lshlrev_b32_e32 v19, 2, v0
	ds_read_b32 v20, v19
	v_and_b32_e32 v21, 7, v37
	v_cmp_ne_u32_e32 vcc, 0, v21
	s_waitcnt lgkmcnt(0)
	v_mov_b32_dpp v22, v20 row_shr:1 row_mask:0xf bank_mask:0xf
	v_cndmask_b32_e32 v22, 0, v22, vcc
	v_add_u32_e32 v20, v22, v20
	v_cmp_lt_u32_e32 vcc, 1, v21
	s_nop 0
	v_mov_b32_dpp v22, v20 row_shr:2 row_mask:0xf bank_mask:0xf
	v_cndmask_b32_e32 v22, 0, v22, vcc
	v_add_u32_e32 v20, v20, v22
	v_cmp_lt_u32_e32 vcc, 3, v21
	s_nop 0
	v_mov_b32_dpp v22, v20 row_shr:4 row_mask:0xf bank_mask:0xf
	v_cndmask_b32_e32 v21, 0, v22, vcc
	v_add_u32_e32 v20, v20, v21
	ds_write_b32 v19, v20
.LBB1683_331:
	s_or_b64 exec, exec, s[0:1]
	v_cmp_gt_u32_e32 vcc, 64, v0
	v_cmp_lt_u32_e64 s[0:1], 63, v0
	s_waitcnt lgkmcnt(0)
	s_barrier
	s_waitcnt lgkmcnt(0)
                                        ; implicit-def: $vgpr28
	s_and_saveexec_b64 s[16:17], s[0:1]
	s_cbranch_execz .LBB1683_333
; %bb.332:
	v_lshl_add_u32 v19, v38, 2, -4
	ds_read_b32 v28, v19
	s_waitcnt lgkmcnt(0)
	v_add_u32_e32 v18, v28, v18
.LBB1683_333:
	s_or_b64 exec, exec, s[16:17]
	v_add_u32_e32 v19, -1, v37
	v_and_b32_e32 v20, 64, v37
	v_cmp_lt_i32_e64 s[0:1], v19, v20
	v_cmp_eq_u32_e64 s[16:17], 0, v37
	s_nop 0
	v_cndmask_b32_e64 v19, v19, v37, s[0:1]
	v_lshlrev_b32_e32 v19, 2, v19
	ds_bpermute_b32 v30, v19, v18
	s_and_saveexec_b64 s[0:1], vcc
	s_cbranch_execz .LBB1683_356
; %bb.334:
	v_mov_b32_e32 v27, 0
	ds_read_b32 v18, v27 offset:28
	s_and_saveexec_b64 s[26:27], s[16:17]
	s_cbranch_execz .LBB1683_336
; %bb.335:
	s_add_i32 s28, s33, 64
	s_mov_b32 s29, 0
	s_lshl_b64 s[28:29], s[28:29], 3
	s_add_u32 s28, s30, s28
	v_mov_b32_e32 v19, 1
	s_addc_u32 s29, s31, s29
	s_waitcnt lgkmcnt(0)
	global_store_dwordx2 v27, v[18:19], s[28:29] sc1
.LBB1683_336:
	s_or_b64 exec, exec, s[26:27]
	v_xad_u32 v20, v37, -1, s33
	v_add_u32_e32 v26, 64, v20
	v_lshl_add_u64 v[22:23], v[26:27], 3, s[30:31]
	global_load_dwordx2 v[24:25], v[22:23], off sc1
	s_waitcnt vmcnt(0)
	v_cmp_eq_u16_sdwa s[28:29], v25, v27 src0_sel:BYTE_0 src1_sel:DWORD
	s_and_saveexec_b64 s[26:27], s[28:29]
	s_cbranch_execz .LBB1683_342
; %bb.337:
	s_mov_b32 s38, 1
	s_mov_b64 s[28:29], 0
	v_mov_b32_e32 v19, 0
.LBB1683_338:                           ; =>This Loop Header: Depth=1
                                        ;     Child Loop BB1683_339 Depth 2
	s_max_u32 s39, s38, 1
.LBB1683_339:                           ;   Parent Loop BB1683_338 Depth=1
                                        ; =>  This Inner Loop Header: Depth=2
	s_add_i32 s39, s39, -1
	s_cmp_eq_u32 s39, 0
	s_sleep 1
	s_cbranch_scc0 .LBB1683_339
; %bb.340:                              ;   in Loop: Header=BB1683_338 Depth=1
	global_load_dwordx2 v[24:25], v[22:23], off sc1
	s_cmp_lt_u32 s38, 32
	s_cselect_b64 s[40:41], -1, 0
	s_cmp_lg_u64 s[40:41], 0
	s_addc_u32 s38, s38, 0
	s_waitcnt vmcnt(0)
	v_cmp_ne_u16_sdwa s[40:41], v25, v19 src0_sel:BYTE_0 src1_sel:DWORD
	s_or_b64 s[28:29], s[40:41], s[28:29]
	s_andn2_b64 exec, exec, s[28:29]
	s_cbranch_execnz .LBB1683_338
; %bb.341:
	s_or_b64 exec, exec, s[28:29]
.LBB1683_342:
	s_or_b64 exec, exec, s[26:27]
	v_and_b32_e32 v32, 63, v37
	v_mov_b32_e32 v19, 2
	v_cmp_ne_u32_e32 vcc, 63, v32
	v_cmp_eq_u16_sdwa s[26:27], v25, v19 src0_sel:BYTE_0 src1_sel:DWORD
	v_lshlrev_b64 v[22:23], v37, -1
	v_addc_co_u32_e32 v27, vcc, 0, v37, vcc
	v_and_b32_e32 v21, s27, v23
	v_lshlrev_b32_e32 v34, 2, v27
	v_or_b32_e32 v21, 0x80000000, v21
	ds_bpermute_b32 v27, v34, v24
	v_and_b32_e32 v26, s26, v22
	v_ffbl_b32_e32 v21, v21
	v_add_u32_e32 v21, 32, v21
	v_ffbl_b32_e32 v26, v26
	v_min_u32_e32 v21, v26, v21
	v_cmp_lt_u32_e32 vcc, v32, v21
	v_add_u32_e32 v41, 2, v32
	v_add_u32_e32 v43, 4, v32
	s_waitcnt lgkmcnt(0)
	v_cndmask_b32_e32 v26, 0, v27, vcc
	v_cmp_gt_u32_e32 vcc, 62, v32
	v_add_u32_e32 v24, v26, v24
	v_add_u32_e32 v45, 8, v32
	v_cndmask_b32_e64 v26, 0, 1, vcc
	v_lshlrev_b32_e32 v26, 1, v26
	v_add_lshl_u32 v40, v26, v37, 2
	ds_bpermute_b32 v26, v40, v24
	v_cmp_le_u32_e32 vcc, v41, v21
	v_add_u32_e32 v48, 16, v32
	v_add_u32_e32 v50, 32, v32
	s_waitcnt lgkmcnt(0)
	v_cndmask_b32_e32 v26, 0, v26, vcc
	v_cmp_gt_u32_e32 vcc, 60, v32
	v_add_u32_e32 v24, v24, v26
	s_nop 0
	v_cndmask_b32_e64 v26, 0, 1, vcc
	v_lshlrev_b32_e32 v26, 2, v26
	v_add_lshl_u32 v42, v26, v37, 2
	ds_bpermute_b32 v26, v42, v24
	v_cmp_le_u32_e32 vcc, v43, v21
	s_waitcnt lgkmcnt(0)
	s_nop 0
	v_cndmask_b32_e32 v26, 0, v26, vcc
	v_cmp_gt_u32_e32 vcc, 56, v32
	v_add_u32_e32 v24, v24, v26
	s_nop 0
	v_cndmask_b32_e64 v26, 0, 1, vcc
	v_lshlrev_b32_e32 v26, 3, v26
	v_add_lshl_u32 v44, v26, v37, 2
	ds_bpermute_b32 v26, v44, v24
	v_cmp_le_u32_e32 vcc, v45, v21
	s_waitcnt lgkmcnt(0)
	s_nop 0
	;; [unrolled: 11-line block ×4, first 2 shown]
	v_cndmask_b32_e32 v21, 0, v26, vcc
	v_add_u32_e32 v24, v24, v21
	v_mov_b32_e32 v21, 0
	s_branch .LBB1683_344
.LBB1683_343:                           ;   in Loop: Header=BB1683_344 Depth=1
	s_or_b64 exec, exec, s[26:27]
	v_cmp_eq_u16_sdwa s[26:27], v25, v19 src0_sel:BYTE_0 src1_sel:DWORD
	ds_bpermute_b32 v51, v34, v24
	v_subrev_u32_e32 v20, 64, v20
	v_and_b32_e32 v26, s27, v23
	v_or_b32_e32 v26, 0x80000000, v26
	v_and_b32_e32 v27, s26, v22
	v_ffbl_b32_e32 v26, v26
	v_add_u32_e32 v26, 32, v26
	v_ffbl_b32_e32 v27, v27
	v_min_u32_e32 v26, v27, v26
	v_cmp_lt_u32_e32 vcc, v32, v26
	s_waitcnt lgkmcnt(0)
	s_nop 0
	v_cndmask_b32_e32 v27, 0, v51, vcc
	v_add_u32_e32 v24, v27, v24
	ds_bpermute_b32 v27, v40, v24
	v_cmp_le_u32_e32 vcc, v41, v26
	s_waitcnt lgkmcnt(0)
	s_nop 0
	v_cndmask_b32_e32 v27, 0, v27, vcc
	v_add_u32_e32 v24, v24, v27
	ds_bpermute_b32 v27, v42, v24
	v_cmp_le_u32_e32 vcc, v43, v26
	;; [unrolled: 6-line block ×5, first 2 shown]
	s_waitcnt lgkmcnt(0)
	s_nop 0
	v_cndmask_b32_e32 v26, 0, v27, vcc
	v_add3_u32 v24, v26, v46, v24
.LBB1683_344:                           ; =>This Loop Header: Depth=1
                                        ;     Child Loop BB1683_347 Depth 2
                                        ;       Child Loop BB1683_348 Depth 3
	v_cmp_ne_u16_sdwa s[26:27], v25, v19 src0_sel:BYTE_0 src1_sel:DWORD
	v_mov_b32_e32 v46, v24
	s_nop 0
	v_cndmask_b32_e64 v25, 0, 1, s[26:27]
	;;#ASMSTART
	;;#ASMEND
	s_nop 0
	v_cmp_ne_u32_e32 vcc, 0, v25
	s_cmp_lg_u64 vcc, exec
	s_cbranch_scc1 .LBB1683_351
; %bb.345:                              ;   in Loop: Header=BB1683_344 Depth=1
	v_lshl_add_u64 v[26:27], v[20:21], 3, s[30:31]
	global_load_dwordx2 v[24:25], v[26:27], off sc1
	s_waitcnt vmcnt(0)
	v_cmp_eq_u16_sdwa s[28:29], v25, v21 src0_sel:BYTE_0 src1_sel:DWORD
	s_and_saveexec_b64 s[26:27], s[28:29]
	s_cbranch_execz .LBB1683_343
; %bb.346:                              ;   in Loop: Header=BB1683_344 Depth=1
	s_mov_b32 s38, 1
	s_mov_b64 s[28:29], 0
.LBB1683_347:                           ;   Parent Loop BB1683_344 Depth=1
                                        ; =>  This Loop Header: Depth=2
                                        ;       Child Loop BB1683_348 Depth 3
	s_max_u32 s39, s38, 1
.LBB1683_348:                           ;   Parent Loop BB1683_344 Depth=1
                                        ;     Parent Loop BB1683_347 Depth=2
                                        ; =>    This Inner Loop Header: Depth=3
	s_add_i32 s39, s39, -1
	s_cmp_eq_u32 s39, 0
	s_sleep 1
	s_cbranch_scc0 .LBB1683_348
; %bb.349:                              ;   in Loop: Header=BB1683_347 Depth=2
	global_load_dwordx2 v[24:25], v[26:27], off sc1
	s_cmp_lt_u32 s38, 32
	s_cselect_b64 s[40:41], -1, 0
	s_cmp_lg_u64 s[40:41], 0
	s_addc_u32 s38, s38, 0
	s_waitcnt vmcnt(0)
	v_cmp_ne_u16_sdwa s[40:41], v25, v21 src0_sel:BYTE_0 src1_sel:DWORD
	s_or_b64 s[28:29], s[40:41], s[28:29]
	s_andn2_b64 exec, exec, s[28:29]
	s_cbranch_execnz .LBB1683_347
; %bb.350:                              ;   in Loop: Header=BB1683_344 Depth=1
	s_or_b64 exec, exec, s[28:29]
	s_branch .LBB1683_343
.LBB1683_351:                           ;   in Loop: Header=BB1683_344 Depth=1
                                        ; implicit-def: $vgpr24
                                        ; implicit-def: $vgpr25
	s_cbranch_execz .LBB1683_344
; %bb.352:
	s_and_saveexec_b64 s[26:27], s[16:17]
	s_cbranch_execz .LBB1683_354
; %bb.353:
	s_add_i32 s28, s33, 64
	s_mov_b32 s29, 0
	s_lshl_b64 s[28:29], s[28:29], 3
	s_add_u32 s28, s30, s28
	v_add_u32_e32 v20, v46, v18
	v_mov_b32_e32 v21, 2
	s_addc_u32 s29, s31, s29
	v_mov_b32_e32 v19, 0
	global_store_dwordx2 v19, v[20:21], s[28:29] sc1
	s_movk_i32 s28, 0x7000
	v_add_u32_e64 v19, s28, 0
	ds_write2_b32 v19, v18, v46 offset1:2
.LBB1683_354:
	s_or_b64 exec, exec, s[26:27]
	s_and_b64 exec, exec, s[18:19]
	s_cbranch_execz .LBB1683_356
; %bb.355:
	v_mov_b32_e32 v18, 0
	ds_write_b32 v18, v46 offset:28
.LBB1683_356:
	s_or_b64 exec, exec, s[0:1]
	v_mov_b32_e32 v18, 0
	s_waitcnt lgkmcnt(0)
	s_barrier
	ds_read_b32 v18, v18 offset:28
	v_cndmask_b32_e64 v19, v30, v28, s[16:17]
	v_cndmask_b32_e64 v19, v19, 0, s[18:19]
	s_movk_i32 s0, 0x7000
	s_waitcnt lgkmcnt(0)
	v_add_u32_e32 v34, v18, v19
	v_add_u32_e32 v32, v34, v1
	v_add_u32_e64 v18, s0, 0
	v_add_u32_e32 v30, v32, v29
	s_barrier
	ds_read2_b32 v[18:19], v18 offset1:2
	v_add_u32_e32 v28, v30, v31
	v_add_u32_e32 v26, v28, v33
	;; [unrolled: 1-line block ×4, first 2 shown]
	v_lshrrev_b64 v[20:21], 24, v[16:17]
	s_branch .LBB1683_367
.LBB1683_357:
                                        ; implicit-def: $vgpr22
                                        ; implicit-def: $vgpr24
                                        ; implicit-def: $vgpr26
                                        ; implicit-def: $vgpr28
                                        ; implicit-def: $vgpr30
                                        ; implicit-def: $vgpr32
                                        ; implicit-def: $vgpr34
                                        ; implicit-def: $vgpr19
	v_lshrrev_b64 v[20:21], 24, v[16:17]
	s_cbranch_execz .LBB1683_367
; %bb.358:
	s_waitcnt lgkmcnt(0)
	v_mov_b32_dpp v18, v39 row_shr:1 row_mask:0xf bank_mask:0xf
	v_cndmask_b32_e64 v18, v18, 0, s[14:15]
	v_add_u32_e32 v18, v18, v39
	s_nop 1
	v_mov_b32_dpp v19, v18 row_shr:2 row_mask:0xf bank_mask:0xf
	v_cndmask_b32_e64 v19, 0, v19, s[12:13]
	v_add_u32_e32 v18, v18, v19
	s_nop 1
	;; [unrolled: 4-line block ×4, first 2 shown]
	v_mov_b32_dpp v19, v18 row_bcast:15 row_mask:0xf bank_mask:0xf
	v_cndmask_b32_e64 v19, v19, 0, s[6:7]
	v_add_u32_e32 v18, v18, v19
	s_nop 1
	v_mov_b32_dpp v19, v18 row_bcast:31 row_mask:0xf bank_mask:0xf
	v_cndmask_b32_e64 v19, 0, v19, s[2:3]
	v_add_u32_e32 v18, v18, v19
	s_and_saveexec_b64 s[0:1], s[4:5]
	s_cbranch_execz .LBB1683_360
; %bb.359:
	v_lshlrev_b32_e32 v19, 2, v38
	ds_write_b32 v19, v18
.LBB1683_360:
	s_or_b64 exec, exec, s[0:1]
	v_cmp_gt_u32_e32 vcc, 8, v0
	s_waitcnt lgkmcnt(0)
	s_barrier
	s_and_saveexec_b64 s[0:1], vcc
	s_cbranch_execz .LBB1683_362
; %bb.361:
	v_lshlrev_b32_e32 v19, 2, v0
	ds_read_b32 v21, v19
	v_and_b32_e32 v22, 7, v37
	v_cmp_ne_u32_e32 vcc, 0, v22
	s_waitcnt lgkmcnt(0)
	v_mov_b32_dpp v23, v21 row_shr:1 row_mask:0xf bank_mask:0xf
	v_cndmask_b32_e32 v23, 0, v23, vcc
	v_add_u32_e32 v21, v23, v21
	v_cmp_lt_u32_e32 vcc, 1, v22
	s_nop 0
	v_mov_b32_dpp v23, v21 row_shr:2 row_mask:0xf bank_mask:0xf
	v_cndmask_b32_e32 v23, 0, v23, vcc
	v_add_u32_e32 v21, v21, v23
	v_cmp_lt_u32_e32 vcc, 3, v22
	s_nop 0
	v_mov_b32_dpp v23, v21 row_shr:4 row_mask:0xf bank_mask:0xf
	v_cndmask_b32_e32 v22, 0, v23, vcc
	v_add_u32_e32 v21, v21, v22
	ds_write_b32 v19, v21
.LBB1683_362:
	s_or_b64 exec, exec, s[0:1]
	v_cmp_lt_u32_e32 vcc, 63, v0
	v_mov_b32_e32 v19, 0
	v_mov_b32_e32 v21, 0
	s_waitcnt lgkmcnt(0)
	s_barrier
	s_and_saveexec_b64 s[0:1], vcc
	s_cbranch_execz .LBB1683_364
; %bb.363:
	v_lshl_add_u32 v21, v38, 2, -4
	ds_read_b32 v21, v21
.LBB1683_364:
	s_or_b64 exec, exec, s[0:1]
	v_add_u32_e32 v22, -1, v37
	v_and_b32_e32 v23, 64, v37
	v_cmp_lt_i32_e32 vcc, v22, v23
	s_waitcnt lgkmcnt(0)
	v_add_u32_e32 v18, v21, v18
	v_cndmask_b32_e32 v22, v22, v37, vcc
	v_lshlrev_b32_e32 v22, 2, v22
	ds_bpermute_b32 v22, v22, v18
	ds_read_b32 v18, v19 offset:28
	s_and_saveexec_b64 s[0:1], s[18:19]
	s_cbranch_execz .LBB1683_366
; %bb.365:
	v_mov_b32_e32 v23, 0
	v_mov_b32_e32 v19, 2
	s_waitcnt lgkmcnt(0)
	global_store_dwordx2 v23, v[18:19], s[30:31] offset:512 sc1
.LBB1683_366:
	s_or_b64 exec, exec, s[0:1]
	v_cmp_eq_u32_e32 vcc, 0, v37
	v_mov_b32_e32 v19, 0
	s_waitcnt lgkmcnt(0)
	v_cndmask_b32_e32 v21, v22, v21, vcc
	v_cndmask_b32_e64 v34, v21, 0, s[18:19]
	v_add_u32_e32 v32, v34, v1
	v_add_u32_e32 v30, v32, v29
	;; [unrolled: 1-line block ×6, first 2 shown]
	s_barrier
.LBB1683_367:
	s_movk_i32 s0, 0x201
	s_waitcnt lgkmcnt(0)
	v_cmp_gt_u32_e32 vcc, s0, v18
	v_lshrrev_b32_e32 v21, 8, v16
	v_lshrrev_b32_e32 v1, 8, v17
	s_mov_b64 s[0:1], -1
	s_cbranch_vccnz .LBB1683_371
; %bb.368:
	s_and_b64 vcc, exec, s[0:1]
	s_cbranch_vccnz .LBB1683_393
.LBB1683_369:
	s_and_b64 s[0:1], s[18:19], s[24:25]
	s_and_saveexec_b64 s[2:3], s[0:1]
	s_cbranch_execnz .LBB1683_411
.LBB1683_370:
	s_endpgm
.LBB1683_371:
	v_add_u32_e32 v23, v19, v18
	v_cmp_lt_u32_e32 vcc, v34, v23
	s_or_b64 s[2:3], s[36:37], vcc
	s_and_saveexec_b64 s[0:1], s[2:3]
	s_cbranch_execz .LBB1683_374
; %bb.372:
	v_and_b32_e32 v25, 1, v16
	v_cmp_eq_u32_e32 vcc, 1, v25
	s_and_b64 exec, exec, vcc
	s_cbranch_execz .LBB1683_374
; %bb.373:
	s_lshl_b64 s[2:3], s[22:23], 3
	s_add_u32 s2, s34, s2
	s_addc_u32 s3, s35, s3
	v_mov_b32_e32 v35, 0
	v_lshl_add_u64 v[36:37], v[34:35], 3, s[2:3]
	global_store_dwordx2 v[36:37], v[10:11], off
.LBB1683_374:
	s_or_b64 exec, exec, s[0:1]
	v_cmp_lt_u32_e32 vcc, v32, v23
	s_or_b64 s[2:3], s[36:37], vcc
	s_and_saveexec_b64 s[0:1], s[2:3]
	s_cbranch_execz .LBB1683_377
; %bb.375:
	v_and_b32_e32 v25, 1, v21
	v_cmp_eq_u32_e32 vcc, 1, v25
	s_and_b64 exec, exec, vcc
	s_cbranch_execz .LBB1683_377
; %bb.376:
	s_lshl_b64 s[2:3], s[22:23], 3
	s_add_u32 s2, s34, s2
	s_addc_u32 s3, s35, s3
	v_mov_b32_e32 v33, 0
	v_lshl_add_u64 v[36:37], v[32:33], 3, s[2:3]
	global_store_dwordx2 v[36:37], v[12:13], off
.LBB1683_377:
	s_or_b64 exec, exec, s[0:1]
	v_cmp_lt_u32_e32 vcc, v30, v23
	s_or_b64 s[2:3], s[36:37], vcc
	s_and_saveexec_b64 s[0:1], s[2:3]
	s_cbranch_execz .LBB1683_380
; %bb.378:
	v_mov_b32_e32 v25, 1
	v_and_b32_sdwa v25, v25, v16 dst_sel:DWORD dst_unused:UNUSED_PAD src0_sel:DWORD src1_sel:WORD_1
	v_cmp_eq_u32_e32 vcc, 1, v25
	s_and_b64 exec, exec, vcc
	s_cbranch_execz .LBB1683_380
; %bb.379:
	s_lshl_b64 s[2:3], s[22:23], 3
	s_add_u32 s2, s34, s2
	s_addc_u32 s3, s35, s3
	v_mov_b32_e32 v31, 0
	v_lshl_add_u64 v[36:37], v[30:31], 3, s[2:3]
	global_store_dwordx2 v[36:37], v[6:7], off
.LBB1683_380:
	s_or_b64 exec, exec, s[0:1]
	v_cmp_lt_u32_e32 vcc, v28, v23
	s_or_b64 s[2:3], s[36:37], vcc
	s_and_saveexec_b64 s[0:1], s[2:3]
	s_cbranch_execz .LBB1683_383
; %bb.381:
	v_and_b32_e32 v25, 1, v20
	v_cmp_eq_u32_e32 vcc, 1, v25
	s_and_b64 exec, exec, vcc
	s_cbranch_execz .LBB1683_383
; %bb.382:
	s_lshl_b64 s[2:3], s[22:23], 3
	s_add_u32 s2, s34, s2
	s_addc_u32 s3, s35, s3
	v_mov_b32_e32 v29, 0
	v_lshl_add_u64 v[36:37], v[28:29], 3, s[2:3]
	global_store_dwordx2 v[36:37], v[8:9], off
.LBB1683_383:
	s_or_b64 exec, exec, s[0:1]
	v_cmp_lt_u32_e32 vcc, v26, v23
	s_or_b64 s[2:3], s[36:37], vcc
	s_and_saveexec_b64 s[0:1], s[2:3]
	s_cbranch_execz .LBB1683_386
; %bb.384:
	v_and_b32_e32 v25, 1, v17
	v_cmp_eq_u32_e32 vcc, 1, v25
	s_and_b64 exec, exec, vcc
	s_cbranch_execz .LBB1683_386
; %bb.385:
	s_lshl_b64 s[2:3], s[22:23], 3
	s_add_u32 s2, s34, s2
	s_addc_u32 s3, s35, s3
	v_mov_b32_e32 v27, 0
	v_lshl_add_u64 v[36:37], v[26:27], 3, s[2:3]
	global_store_dwordx2 v[36:37], v[2:3], off
.LBB1683_386:
	;; [unrolled: 18-line block ×3, first 2 shown]
	s_or_b64 exec, exec, s[0:1]
	v_cmp_lt_u32_e32 vcc, v22, v23
	s_or_b64 s[2:3], s[36:37], vcc
	s_and_saveexec_b64 s[0:1], s[2:3]
	s_cbranch_execz .LBB1683_392
; %bb.390:
	v_mov_b32_e32 v23, 1
	v_and_b32_sdwa v23, v23, v17 dst_sel:DWORD dst_unused:UNUSED_PAD src0_sel:DWORD src1_sel:WORD_1
	v_cmp_eq_u32_e32 vcc, 1, v23
	s_and_b64 exec, exec, vcc
	s_cbranch_execz .LBB1683_392
; %bb.391:
	s_lshl_b64 s[2:3], s[22:23], 3
	s_add_u32 s2, s34, s2
	s_addc_u32 s3, s35, s3
	v_mov_b32_e32 v23, 0
	v_lshl_add_u64 v[36:37], v[22:23], 3, s[2:3]
	global_store_dwordx2 v[36:37], v[14:15], off
.LBB1683_392:
	s_or_b64 exec, exec, s[0:1]
	s_branch .LBB1683_369
.LBB1683_393:
	v_and_b32_e32 v23, 1, v16
	v_cmp_eq_u32_e32 vcc, 1, v23
	s_and_saveexec_b64 s[0:1], vcc
	s_cbranch_execz .LBB1683_395
; %bb.394:
	v_sub_u32_e32 v23, v34, v19
	v_lshlrev_b32_e32 v23, 3, v23
	ds_write_b64 v23, v[10:11]
.LBB1683_395:
	s_or_b64 exec, exec, s[0:1]
	v_and_b32_e32 v10, 1, v21
	v_cmp_eq_u32_e32 vcc, 1, v10
	s_and_saveexec_b64 s[0:1], vcc
	s_cbranch_execz .LBB1683_397
; %bb.396:
	v_sub_u32_e32 v10, v32, v19
	v_lshlrev_b32_e32 v10, 3, v10
	ds_write_b64 v10, v[12:13]
.LBB1683_397:
	s_or_b64 exec, exec, s[0:1]
	v_mov_b32_e32 v10, 1
	v_and_b32_sdwa v10, v10, v16 dst_sel:DWORD dst_unused:UNUSED_PAD src0_sel:DWORD src1_sel:WORD_1
	v_cmp_eq_u32_e32 vcc, 1, v10
	s_and_saveexec_b64 s[0:1], vcc
	s_cbranch_execz .LBB1683_399
; %bb.398:
	v_sub_u32_e32 v10, v30, v19
	v_lshlrev_b32_e32 v10, 3, v10
	ds_write_b64 v10, v[6:7]
.LBB1683_399:
	s_or_b64 exec, exec, s[0:1]
	v_and_b32_e32 v6, 1, v20
	v_cmp_eq_u32_e32 vcc, 1, v6
	s_and_saveexec_b64 s[0:1], vcc
	s_cbranch_execz .LBB1683_401
; %bb.400:
	v_sub_u32_e32 v6, v28, v19
	v_lshlrev_b32_e32 v6, 3, v6
	ds_write_b64 v6, v[8:9]
.LBB1683_401:
	s_or_b64 exec, exec, s[0:1]
	v_and_b32_e32 v6, 1, v17
	v_cmp_eq_u32_e32 vcc, 1, v6
	s_and_saveexec_b64 s[0:1], vcc
	s_cbranch_execz .LBB1683_403
; %bb.402:
	v_sub_u32_e32 v6, v26, v19
	v_lshlrev_b32_e32 v6, 3, v6
	ds_write_b64 v6, v[2:3]
.LBB1683_403:
	s_or_b64 exec, exec, s[0:1]
	v_and_b32_e32 v1, 1, v1
	v_cmp_eq_u32_e32 vcc, 1, v1
	s_and_saveexec_b64 s[0:1], vcc
	s_cbranch_execz .LBB1683_405
; %bb.404:
	v_sub_u32_e32 v1, v24, v19
	v_lshlrev_b32_e32 v1, 3, v1
	ds_write_b64 v1, v[4:5]
.LBB1683_405:
	s_or_b64 exec, exec, s[0:1]
	v_mov_b32_e32 v1, 1
	v_and_b32_sdwa v1, v1, v17 dst_sel:DWORD dst_unused:UNUSED_PAD src0_sel:DWORD src1_sel:WORD_1
	v_cmp_eq_u32_e32 vcc, 1, v1
	s_and_saveexec_b64 s[0:1], vcc
	s_cbranch_execz .LBB1683_407
; %bb.406:
	v_sub_u32_e32 v1, v22, v19
	v_lshlrev_b32_e32 v1, 3, v1
	ds_write_b64 v1, v[14:15]
.LBB1683_407:
	s_or_b64 exec, exec, s[0:1]
	v_cmp_lt_u32_e32 vcc, v0, v18
	s_waitcnt lgkmcnt(0)
	s_barrier
	s_and_saveexec_b64 s[0:1], vcc
	s_cbranch_execz .LBB1683_410
; %bb.408:
	v_mov_b32_e32 v5, 0
	v_mov_b32_e32 v4, v19
	s_lshl_b64 s[2:3], s[22:23], 3
	v_lshlrev_b64 v[6:7], 3, v[4:5]
	v_lshl_add_u64 v[6:7], s[2:3], 0, v[6:7]
	v_lshlrev_b32_e32 v2, 3, v0
	v_mov_b32_e32 v3, v5
	v_lshl_add_u64 v[4:5], s[34:35], 0, v[6:7]
	v_lshl_add_u64 v[4:5], v[4:5], 0, v[2:3]
	s_mov_b64 s[2:3], 0
	s_mov_b64 s[4:5], 0x1000
.LBB1683_409:                           ; =>This Inner Loop Header: Depth=1
	ds_read_b64 v[6:7], v2
	v_add_u32_e32 v0, 0x200, v0
	v_cmp_ge_u32_e32 vcc, v0, v18
	v_add_u32_e32 v2, 0x1000, v2
	s_or_b64 s[2:3], vcc, s[2:3]
	s_waitcnt lgkmcnt(0)
	global_store_dwordx2 v[4:5], v[6:7], off
	v_lshl_add_u64 v[4:5], v[4:5], 0, s[4:5]
	s_andn2_b64 exec, exec, s[2:3]
	s_cbranch_execnz .LBB1683_409
.LBB1683_410:
	s_or_b64 exec, exec, s[0:1]
	s_and_b64 s[0:1], s[18:19], s[24:25]
	s_and_saveexec_b64 s[2:3], s[0:1]
	s_cbranch_execz .LBB1683_370
.LBB1683_411:
	v_mov_b32_e32 v1, 0
	v_mov_b32_e32 v0, v18
	v_lshl_add_u64 v[2:3], s[22:23], 0, v[0:1]
	v_mov_b32_e32 v0, v19
	v_lshl_add_u64 v[2:3], v[2:3], 0, v[0:1]
	global_store_dwordx2 v1, v[2:3], s[20:21]
	s_endpgm
	.section	.rodata,"a",@progbits
	.p2align	6, 0x0
	.amdhsa_kernel _ZN7rocprim17ROCPRIM_400000_NS6detail17trampoline_kernelINS0_14default_configENS1_25partition_config_selectorILNS1_17partition_subalgoE8ElNS0_10empty_typeEbEEZZNS1_14partition_implILS5_8ELb0ES3_jPlPS6_PKS6_NS0_5tupleIJS9_S6_EEENSD_IJSA_SA_EEENS0_18inequality_wrapperIZN2at6native12_GLOBAL__N_124unique_dim_cuda_templateImEESt5tupleIJNSH_6TensorESM_SM_EERKSM_lbbbEUlllE0_EEPmJS6_EEE10hipError_tPvRmT3_T4_T5_T6_T7_T9_mT8_P12ihipStream_tbDpT10_ENKUlT_T0_E_clISt17integral_constantIbLb1EES1C_EEDaS17_S18_EUlS17_E_NS1_11comp_targetILNS1_3genE5ELNS1_11target_archE942ELNS1_3gpuE9ELNS1_3repE0EEENS1_30default_config_static_selectorELNS0_4arch9wavefront6targetE1EEEvT1_
		.amdhsa_group_segment_fixed_size 28684
		.amdhsa_private_segment_fixed_size 0
		.amdhsa_kernarg_size 136
		.amdhsa_user_sgpr_count 2
		.amdhsa_user_sgpr_dispatch_ptr 0
		.amdhsa_user_sgpr_queue_ptr 0
		.amdhsa_user_sgpr_kernarg_segment_ptr 1
		.amdhsa_user_sgpr_dispatch_id 0
		.amdhsa_user_sgpr_kernarg_preload_length 0
		.amdhsa_user_sgpr_kernarg_preload_offset 0
		.amdhsa_user_sgpr_private_segment_size 0
		.amdhsa_uses_dynamic_stack 0
		.amdhsa_enable_private_segment 0
		.amdhsa_system_sgpr_workgroup_id_x 1
		.amdhsa_system_sgpr_workgroup_id_y 0
		.amdhsa_system_sgpr_workgroup_id_z 0
		.amdhsa_system_sgpr_workgroup_info 0
		.amdhsa_system_vgpr_workitem_id 0
		.amdhsa_next_free_vgpr 52
		.amdhsa_next_free_sgpr 56
		.amdhsa_accum_offset 52
		.amdhsa_reserve_vcc 1
		.amdhsa_float_round_mode_32 0
		.amdhsa_float_round_mode_16_64 0
		.amdhsa_float_denorm_mode_32 3
		.amdhsa_float_denorm_mode_16_64 3
		.amdhsa_dx10_clamp 1
		.amdhsa_ieee_mode 1
		.amdhsa_fp16_overflow 0
		.amdhsa_tg_split 0
		.amdhsa_exception_fp_ieee_invalid_op 0
		.amdhsa_exception_fp_denorm_src 0
		.amdhsa_exception_fp_ieee_div_zero 0
		.amdhsa_exception_fp_ieee_overflow 0
		.amdhsa_exception_fp_ieee_underflow 0
		.amdhsa_exception_fp_ieee_inexact 0
		.amdhsa_exception_int_div_zero 0
	.end_amdhsa_kernel
	.section	.text._ZN7rocprim17ROCPRIM_400000_NS6detail17trampoline_kernelINS0_14default_configENS1_25partition_config_selectorILNS1_17partition_subalgoE8ElNS0_10empty_typeEbEEZZNS1_14partition_implILS5_8ELb0ES3_jPlPS6_PKS6_NS0_5tupleIJS9_S6_EEENSD_IJSA_SA_EEENS0_18inequality_wrapperIZN2at6native12_GLOBAL__N_124unique_dim_cuda_templateImEESt5tupleIJNSH_6TensorESM_SM_EERKSM_lbbbEUlllE0_EEPmJS6_EEE10hipError_tPvRmT3_T4_T5_T6_T7_T9_mT8_P12ihipStream_tbDpT10_ENKUlT_T0_E_clISt17integral_constantIbLb1EES1C_EEDaS17_S18_EUlS17_E_NS1_11comp_targetILNS1_3genE5ELNS1_11target_archE942ELNS1_3gpuE9ELNS1_3repE0EEENS1_30default_config_static_selectorELNS0_4arch9wavefront6targetE1EEEvT1_,"axG",@progbits,_ZN7rocprim17ROCPRIM_400000_NS6detail17trampoline_kernelINS0_14default_configENS1_25partition_config_selectorILNS1_17partition_subalgoE8ElNS0_10empty_typeEbEEZZNS1_14partition_implILS5_8ELb0ES3_jPlPS6_PKS6_NS0_5tupleIJS9_S6_EEENSD_IJSA_SA_EEENS0_18inequality_wrapperIZN2at6native12_GLOBAL__N_124unique_dim_cuda_templateImEESt5tupleIJNSH_6TensorESM_SM_EERKSM_lbbbEUlllE0_EEPmJS6_EEE10hipError_tPvRmT3_T4_T5_T6_T7_T9_mT8_P12ihipStream_tbDpT10_ENKUlT_T0_E_clISt17integral_constantIbLb1EES1C_EEDaS17_S18_EUlS17_E_NS1_11comp_targetILNS1_3genE5ELNS1_11target_archE942ELNS1_3gpuE9ELNS1_3repE0EEENS1_30default_config_static_selectorELNS0_4arch9wavefront6targetE1EEEvT1_,comdat
.Lfunc_end1683:
	.size	_ZN7rocprim17ROCPRIM_400000_NS6detail17trampoline_kernelINS0_14default_configENS1_25partition_config_selectorILNS1_17partition_subalgoE8ElNS0_10empty_typeEbEEZZNS1_14partition_implILS5_8ELb0ES3_jPlPS6_PKS6_NS0_5tupleIJS9_S6_EEENSD_IJSA_SA_EEENS0_18inequality_wrapperIZN2at6native12_GLOBAL__N_124unique_dim_cuda_templateImEESt5tupleIJNSH_6TensorESM_SM_EERKSM_lbbbEUlllE0_EEPmJS6_EEE10hipError_tPvRmT3_T4_T5_T6_T7_T9_mT8_P12ihipStream_tbDpT10_ENKUlT_T0_E_clISt17integral_constantIbLb1EES1C_EEDaS17_S18_EUlS17_E_NS1_11comp_targetILNS1_3genE5ELNS1_11target_archE942ELNS1_3gpuE9ELNS1_3repE0EEENS1_30default_config_static_selectorELNS0_4arch9wavefront6targetE1EEEvT1_, .Lfunc_end1683-_ZN7rocprim17ROCPRIM_400000_NS6detail17trampoline_kernelINS0_14default_configENS1_25partition_config_selectorILNS1_17partition_subalgoE8ElNS0_10empty_typeEbEEZZNS1_14partition_implILS5_8ELb0ES3_jPlPS6_PKS6_NS0_5tupleIJS9_S6_EEENSD_IJSA_SA_EEENS0_18inequality_wrapperIZN2at6native12_GLOBAL__N_124unique_dim_cuda_templateImEESt5tupleIJNSH_6TensorESM_SM_EERKSM_lbbbEUlllE0_EEPmJS6_EEE10hipError_tPvRmT3_T4_T5_T6_T7_T9_mT8_P12ihipStream_tbDpT10_ENKUlT_T0_E_clISt17integral_constantIbLb1EES1C_EEDaS17_S18_EUlS17_E_NS1_11comp_targetILNS1_3genE5ELNS1_11target_archE942ELNS1_3gpuE9ELNS1_3repE0EEENS1_30default_config_static_selectorELNS0_4arch9wavefront6targetE1EEEvT1_
                                        ; -- End function
	.section	.AMDGPU.csdata,"",@progbits
; Kernel info:
; codeLenInByte = 13124
; NumSgprs: 62
; NumVgprs: 52
; NumAgprs: 0
; TotalNumVgprs: 52
; ScratchSize: 0
; MemoryBound: 1
; FloatMode: 240
; IeeeMode: 1
; LDSByteSize: 28684 bytes/workgroup (compile time only)
; SGPRBlocks: 7
; VGPRBlocks: 6
; NumSGPRsForWavesPerEU: 62
; NumVGPRsForWavesPerEU: 52
; AccumOffset: 52
; Occupancy: 4
; WaveLimiterHint : 1
; COMPUTE_PGM_RSRC2:SCRATCH_EN: 0
; COMPUTE_PGM_RSRC2:USER_SGPR: 2
; COMPUTE_PGM_RSRC2:TRAP_HANDLER: 0
; COMPUTE_PGM_RSRC2:TGID_X_EN: 1
; COMPUTE_PGM_RSRC2:TGID_Y_EN: 0
; COMPUTE_PGM_RSRC2:TGID_Z_EN: 0
; COMPUTE_PGM_RSRC2:TIDIG_COMP_CNT: 0
; COMPUTE_PGM_RSRC3_GFX90A:ACCUM_OFFSET: 12
; COMPUTE_PGM_RSRC3_GFX90A:TG_SPLIT: 0
	.section	.text._ZN7rocprim17ROCPRIM_400000_NS6detail17trampoline_kernelINS0_14default_configENS1_25partition_config_selectorILNS1_17partition_subalgoE8ElNS0_10empty_typeEbEEZZNS1_14partition_implILS5_8ELb0ES3_jPlPS6_PKS6_NS0_5tupleIJS9_S6_EEENSD_IJSA_SA_EEENS0_18inequality_wrapperIZN2at6native12_GLOBAL__N_124unique_dim_cuda_templateImEESt5tupleIJNSH_6TensorESM_SM_EERKSM_lbbbEUlllE0_EEPmJS6_EEE10hipError_tPvRmT3_T4_T5_T6_T7_T9_mT8_P12ihipStream_tbDpT10_ENKUlT_T0_E_clISt17integral_constantIbLb1EES1C_EEDaS17_S18_EUlS17_E_NS1_11comp_targetILNS1_3genE4ELNS1_11target_archE910ELNS1_3gpuE8ELNS1_3repE0EEENS1_30default_config_static_selectorELNS0_4arch9wavefront6targetE1EEEvT1_,"axG",@progbits,_ZN7rocprim17ROCPRIM_400000_NS6detail17trampoline_kernelINS0_14default_configENS1_25partition_config_selectorILNS1_17partition_subalgoE8ElNS0_10empty_typeEbEEZZNS1_14partition_implILS5_8ELb0ES3_jPlPS6_PKS6_NS0_5tupleIJS9_S6_EEENSD_IJSA_SA_EEENS0_18inequality_wrapperIZN2at6native12_GLOBAL__N_124unique_dim_cuda_templateImEESt5tupleIJNSH_6TensorESM_SM_EERKSM_lbbbEUlllE0_EEPmJS6_EEE10hipError_tPvRmT3_T4_T5_T6_T7_T9_mT8_P12ihipStream_tbDpT10_ENKUlT_T0_E_clISt17integral_constantIbLb1EES1C_EEDaS17_S18_EUlS17_E_NS1_11comp_targetILNS1_3genE4ELNS1_11target_archE910ELNS1_3gpuE8ELNS1_3repE0EEENS1_30default_config_static_selectorELNS0_4arch9wavefront6targetE1EEEvT1_,comdat
	.globl	_ZN7rocprim17ROCPRIM_400000_NS6detail17trampoline_kernelINS0_14default_configENS1_25partition_config_selectorILNS1_17partition_subalgoE8ElNS0_10empty_typeEbEEZZNS1_14partition_implILS5_8ELb0ES3_jPlPS6_PKS6_NS0_5tupleIJS9_S6_EEENSD_IJSA_SA_EEENS0_18inequality_wrapperIZN2at6native12_GLOBAL__N_124unique_dim_cuda_templateImEESt5tupleIJNSH_6TensorESM_SM_EERKSM_lbbbEUlllE0_EEPmJS6_EEE10hipError_tPvRmT3_T4_T5_T6_T7_T9_mT8_P12ihipStream_tbDpT10_ENKUlT_T0_E_clISt17integral_constantIbLb1EES1C_EEDaS17_S18_EUlS17_E_NS1_11comp_targetILNS1_3genE4ELNS1_11target_archE910ELNS1_3gpuE8ELNS1_3repE0EEENS1_30default_config_static_selectorELNS0_4arch9wavefront6targetE1EEEvT1_ ; -- Begin function _ZN7rocprim17ROCPRIM_400000_NS6detail17trampoline_kernelINS0_14default_configENS1_25partition_config_selectorILNS1_17partition_subalgoE8ElNS0_10empty_typeEbEEZZNS1_14partition_implILS5_8ELb0ES3_jPlPS6_PKS6_NS0_5tupleIJS9_S6_EEENSD_IJSA_SA_EEENS0_18inequality_wrapperIZN2at6native12_GLOBAL__N_124unique_dim_cuda_templateImEESt5tupleIJNSH_6TensorESM_SM_EERKSM_lbbbEUlllE0_EEPmJS6_EEE10hipError_tPvRmT3_T4_T5_T6_T7_T9_mT8_P12ihipStream_tbDpT10_ENKUlT_T0_E_clISt17integral_constantIbLb1EES1C_EEDaS17_S18_EUlS17_E_NS1_11comp_targetILNS1_3genE4ELNS1_11target_archE910ELNS1_3gpuE8ELNS1_3repE0EEENS1_30default_config_static_selectorELNS0_4arch9wavefront6targetE1EEEvT1_
	.p2align	8
	.type	_ZN7rocprim17ROCPRIM_400000_NS6detail17trampoline_kernelINS0_14default_configENS1_25partition_config_selectorILNS1_17partition_subalgoE8ElNS0_10empty_typeEbEEZZNS1_14partition_implILS5_8ELb0ES3_jPlPS6_PKS6_NS0_5tupleIJS9_S6_EEENSD_IJSA_SA_EEENS0_18inequality_wrapperIZN2at6native12_GLOBAL__N_124unique_dim_cuda_templateImEESt5tupleIJNSH_6TensorESM_SM_EERKSM_lbbbEUlllE0_EEPmJS6_EEE10hipError_tPvRmT3_T4_T5_T6_T7_T9_mT8_P12ihipStream_tbDpT10_ENKUlT_T0_E_clISt17integral_constantIbLb1EES1C_EEDaS17_S18_EUlS17_E_NS1_11comp_targetILNS1_3genE4ELNS1_11target_archE910ELNS1_3gpuE8ELNS1_3repE0EEENS1_30default_config_static_selectorELNS0_4arch9wavefront6targetE1EEEvT1_,@function
_ZN7rocprim17ROCPRIM_400000_NS6detail17trampoline_kernelINS0_14default_configENS1_25partition_config_selectorILNS1_17partition_subalgoE8ElNS0_10empty_typeEbEEZZNS1_14partition_implILS5_8ELb0ES3_jPlPS6_PKS6_NS0_5tupleIJS9_S6_EEENSD_IJSA_SA_EEENS0_18inequality_wrapperIZN2at6native12_GLOBAL__N_124unique_dim_cuda_templateImEESt5tupleIJNSH_6TensorESM_SM_EERKSM_lbbbEUlllE0_EEPmJS6_EEE10hipError_tPvRmT3_T4_T5_T6_T7_T9_mT8_P12ihipStream_tbDpT10_ENKUlT_T0_E_clISt17integral_constantIbLb1EES1C_EEDaS17_S18_EUlS17_E_NS1_11comp_targetILNS1_3genE4ELNS1_11target_archE910ELNS1_3gpuE8ELNS1_3repE0EEENS1_30default_config_static_selectorELNS0_4arch9wavefront6targetE1EEEvT1_: ; @_ZN7rocprim17ROCPRIM_400000_NS6detail17trampoline_kernelINS0_14default_configENS1_25partition_config_selectorILNS1_17partition_subalgoE8ElNS0_10empty_typeEbEEZZNS1_14partition_implILS5_8ELb0ES3_jPlPS6_PKS6_NS0_5tupleIJS9_S6_EEENSD_IJSA_SA_EEENS0_18inequality_wrapperIZN2at6native12_GLOBAL__N_124unique_dim_cuda_templateImEESt5tupleIJNSH_6TensorESM_SM_EERKSM_lbbbEUlllE0_EEPmJS6_EEE10hipError_tPvRmT3_T4_T5_T6_T7_T9_mT8_P12ihipStream_tbDpT10_ENKUlT_T0_E_clISt17integral_constantIbLb1EES1C_EEDaS17_S18_EUlS17_E_NS1_11comp_targetILNS1_3genE4ELNS1_11target_archE910ELNS1_3gpuE8ELNS1_3repE0EEENS1_30default_config_static_selectorELNS0_4arch9wavefront6targetE1EEEvT1_
; %bb.0:
	.section	.rodata,"a",@progbits
	.p2align	6, 0x0
	.amdhsa_kernel _ZN7rocprim17ROCPRIM_400000_NS6detail17trampoline_kernelINS0_14default_configENS1_25partition_config_selectorILNS1_17partition_subalgoE8ElNS0_10empty_typeEbEEZZNS1_14partition_implILS5_8ELb0ES3_jPlPS6_PKS6_NS0_5tupleIJS9_S6_EEENSD_IJSA_SA_EEENS0_18inequality_wrapperIZN2at6native12_GLOBAL__N_124unique_dim_cuda_templateImEESt5tupleIJNSH_6TensorESM_SM_EERKSM_lbbbEUlllE0_EEPmJS6_EEE10hipError_tPvRmT3_T4_T5_T6_T7_T9_mT8_P12ihipStream_tbDpT10_ENKUlT_T0_E_clISt17integral_constantIbLb1EES1C_EEDaS17_S18_EUlS17_E_NS1_11comp_targetILNS1_3genE4ELNS1_11target_archE910ELNS1_3gpuE8ELNS1_3repE0EEENS1_30default_config_static_selectorELNS0_4arch9wavefront6targetE1EEEvT1_
		.amdhsa_group_segment_fixed_size 0
		.amdhsa_private_segment_fixed_size 0
		.amdhsa_kernarg_size 136
		.amdhsa_user_sgpr_count 2
		.amdhsa_user_sgpr_dispatch_ptr 0
		.amdhsa_user_sgpr_queue_ptr 0
		.amdhsa_user_sgpr_kernarg_segment_ptr 1
		.amdhsa_user_sgpr_dispatch_id 0
		.amdhsa_user_sgpr_kernarg_preload_length 0
		.amdhsa_user_sgpr_kernarg_preload_offset 0
		.amdhsa_user_sgpr_private_segment_size 0
		.amdhsa_uses_dynamic_stack 0
		.amdhsa_enable_private_segment 0
		.amdhsa_system_sgpr_workgroup_id_x 1
		.amdhsa_system_sgpr_workgroup_id_y 0
		.amdhsa_system_sgpr_workgroup_id_z 0
		.amdhsa_system_sgpr_workgroup_info 0
		.amdhsa_system_vgpr_workitem_id 0
		.amdhsa_next_free_vgpr 1
		.amdhsa_next_free_sgpr 0
		.amdhsa_accum_offset 4
		.amdhsa_reserve_vcc 0
		.amdhsa_float_round_mode_32 0
		.amdhsa_float_round_mode_16_64 0
		.amdhsa_float_denorm_mode_32 3
		.amdhsa_float_denorm_mode_16_64 3
		.amdhsa_dx10_clamp 1
		.amdhsa_ieee_mode 1
		.amdhsa_fp16_overflow 0
		.amdhsa_tg_split 0
		.amdhsa_exception_fp_ieee_invalid_op 0
		.amdhsa_exception_fp_denorm_src 0
		.amdhsa_exception_fp_ieee_div_zero 0
		.amdhsa_exception_fp_ieee_overflow 0
		.amdhsa_exception_fp_ieee_underflow 0
		.amdhsa_exception_fp_ieee_inexact 0
		.amdhsa_exception_int_div_zero 0
	.end_amdhsa_kernel
	.section	.text._ZN7rocprim17ROCPRIM_400000_NS6detail17trampoline_kernelINS0_14default_configENS1_25partition_config_selectorILNS1_17partition_subalgoE8ElNS0_10empty_typeEbEEZZNS1_14partition_implILS5_8ELb0ES3_jPlPS6_PKS6_NS0_5tupleIJS9_S6_EEENSD_IJSA_SA_EEENS0_18inequality_wrapperIZN2at6native12_GLOBAL__N_124unique_dim_cuda_templateImEESt5tupleIJNSH_6TensorESM_SM_EERKSM_lbbbEUlllE0_EEPmJS6_EEE10hipError_tPvRmT3_T4_T5_T6_T7_T9_mT8_P12ihipStream_tbDpT10_ENKUlT_T0_E_clISt17integral_constantIbLb1EES1C_EEDaS17_S18_EUlS17_E_NS1_11comp_targetILNS1_3genE4ELNS1_11target_archE910ELNS1_3gpuE8ELNS1_3repE0EEENS1_30default_config_static_selectorELNS0_4arch9wavefront6targetE1EEEvT1_,"axG",@progbits,_ZN7rocprim17ROCPRIM_400000_NS6detail17trampoline_kernelINS0_14default_configENS1_25partition_config_selectorILNS1_17partition_subalgoE8ElNS0_10empty_typeEbEEZZNS1_14partition_implILS5_8ELb0ES3_jPlPS6_PKS6_NS0_5tupleIJS9_S6_EEENSD_IJSA_SA_EEENS0_18inequality_wrapperIZN2at6native12_GLOBAL__N_124unique_dim_cuda_templateImEESt5tupleIJNSH_6TensorESM_SM_EERKSM_lbbbEUlllE0_EEPmJS6_EEE10hipError_tPvRmT3_T4_T5_T6_T7_T9_mT8_P12ihipStream_tbDpT10_ENKUlT_T0_E_clISt17integral_constantIbLb1EES1C_EEDaS17_S18_EUlS17_E_NS1_11comp_targetILNS1_3genE4ELNS1_11target_archE910ELNS1_3gpuE8ELNS1_3repE0EEENS1_30default_config_static_selectorELNS0_4arch9wavefront6targetE1EEEvT1_,comdat
.Lfunc_end1684:
	.size	_ZN7rocprim17ROCPRIM_400000_NS6detail17trampoline_kernelINS0_14default_configENS1_25partition_config_selectorILNS1_17partition_subalgoE8ElNS0_10empty_typeEbEEZZNS1_14partition_implILS5_8ELb0ES3_jPlPS6_PKS6_NS0_5tupleIJS9_S6_EEENSD_IJSA_SA_EEENS0_18inequality_wrapperIZN2at6native12_GLOBAL__N_124unique_dim_cuda_templateImEESt5tupleIJNSH_6TensorESM_SM_EERKSM_lbbbEUlllE0_EEPmJS6_EEE10hipError_tPvRmT3_T4_T5_T6_T7_T9_mT8_P12ihipStream_tbDpT10_ENKUlT_T0_E_clISt17integral_constantIbLb1EES1C_EEDaS17_S18_EUlS17_E_NS1_11comp_targetILNS1_3genE4ELNS1_11target_archE910ELNS1_3gpuE8ELNS1_3repE0EEENS1_30default_config_static_selectorELNS0_4arch9wavefront6targetE1EEEvT1_, .Lfunc_end1684-_ZN7rocprim17ROCPRIM_400000_NS6detail17trampoline_kernelINS0_14default_configENS1_25partition_config_selectorILNS1_17partition_subalgoE8ElNS0_10empty_typeEbEEZZNS1_14partition_implILS5_8ELb0ES3_jPlPS6_PKS6_NS0_5tupleIJS9_S6_EEENSD_IJSA_SA_EEENS0_18inequality_wrapperIZN2at6native12_GLOBAL__N_124unique_dim_cuda_templateImEESt5tupleIJNSH_6TensorESM_SM_EERKSM_lbbbEUlllE0_EEPmJS6_EEE10hipError_tPvRmT3_T4_T5_T6_T7_T9_mT8_P12ihipStream_tbDpT10_ENKUlT_T0_E_clISt17integral_constantIbLb1EES1C_EEDaS17_S18_EUlS17_E_NS1_11comp_targetILNS1_3genE4ELNS1_11target_archE910ELNS1_3gpuE8ELNS1_3repE0EEENS1_30default_config_static_selectorELNS0_4arch9wavefront6targetE1EEEvT1_
                                        ; -- End function
	.section	.AMDGPU.csdata,"",@progbits
; Kernel info:
; codeLenInByte = 0
; NumSgprs: 6
; NumVgprs: 0
; NumAgprs: 0
; TotalNumVgprs: 0
; ScratchSize: 0
; MemoryBound: 0
; FloatMode: 240
; IeeeMode: 1
; LDSByteSize: 0 bytes/workgroup (compile time only)
; SGPRBlocks: 0
; VGPRBlocks: 0
; NumSGPRsForWavesPerEU: 6
; NumVGPRsForWavesPerEU: 1
; AccumOffset: 4
; Occupancy: 8
; WaveLimiterHint : 0
; COMPUTE_PGM_RSRC2:SCRATCH_EN: 0
; COMPUTE_PGM_RSRC2:USER_SGPR: 2
; COMPUTE_PGM_RSRC2:TRAP_HANDLER: 0
; COMPUTE_PGM_RSRC2:TGID_X_EN: 1
; COMPUTE_PGM_RSRC2:TGID_Y_EN: 0
; COMPUTE_PGM_RSRC2:TGID_Z_EN: 0
; COMPUTE_PGM_RSRC2:TIDIG_COMP_CNT: 0
; COMPUTE_PGM_RSRC3_GFX90A:ACCUM_OFFSET: 0
; COMPUTE_PGM_RSRC3_GFX90A:TG_SPLIT: 0
	.section	.text._ZN7rocprim17ROCPRIM_400000_NS6detail17trampoline_kernelINS0_14default_configENS1_25partition_config_selectorILNS1_17partition_subalgoE8ElNS0_10empty_typeEbEEZZNS1_14partition_implILS5_8ELb0ES3_jPlPS6_PKS6_NS0_5tupleIJS9_S6_EEENSD_IJSA_SA_EEENS0_18inequality_wrapperIZN2at6native12_GLOBAL__N_124unique_dim_cuda_templateImEESt5tupleIJNSH_6TensorESM_SM_EERKSM_lbbbEUlllE0_EEPmJS6_EEE10hipError_tPvRmT3_T4_T5_T6_T7_T9_mT8_P12ihipStream_tbDpT10_ENKUlT_T0_E_clISt17integral_constantIbLb1EES1C_EEDaS17_S18_EUlS17_E_NS1_11comp_targetILNS1_3genE3ELNS1_11target_archE908ELNS1_3gpuE7ELNS1_3repE0EEENS1_30default_config_static_selectorELNS0_4arch9wavefront6targetE1EEEvT1_,"axG",@progbits,_ZN7rocprim17ROCPRIM_400000_NS6detail17trampoline_kernelINS0_14default_configENS1_25partition_config_selectorILNS1_17partition_subalgoE8ElNS0_10empty_typeEbEEZZNS1_14partition_implILS5_8ELb0ES3_jPlPS6_PKS6_NS0_5tupleIJS9_S6_EEENSD_IJSA_SA_EEENS0_18inequality_wrapperIZN2at6native12_GLOBAL__N_124unique_dim_cuda_templateImEESt5tupleIJNSH_6TensorESM_SM_EERKSM_lbbbEUlllE0_EEPmJS6_EEE10hipError_tPvRmT3_T4_T5_T6_T7_T9_mT8_P12ihipStream_tbDpT10_ENKUlT_T0_E_clISt17integral_constantIbLb1EES1C_EEDaS17_S18_EUlS17_E_NS1_11comp_targetILNS1_3genE3ELNS1_11target_archE908ELNS1_3gpuE7ELNS1_3repE0EEENS1_30default_config_static_selectorELNS0_4arch9wavefront6targetE1EEEvT1_,comdat
	.globl	_ZN7rocprim17ROCPRIM_400000_NS6detail17trampoline_kernelINS0_14default_configENS1_25partition_config_selectorILNS1_17partition_subalgoE8ElNS0_10empty_typeEbEEZZNS1_14partition_implILS5_8ELb0ES3_jPlPS6_PKS6_NS0_5tupleIJS9_S6_EEENSD_IJSA_SA_EEENS0_18inequality_wrapperIZN2at6native12_GLOBAL__N_124unique_dim_cuda_templateImEESt5tupleIJNSH_6TensorESM_SM_EERKSM_lbbbEUlllE0_EEPmJS6_EEE10hipError_tPvRmT3_T4_T5_T6_T7_T9_mT8_P12ihipStream_tbDpT10_ENKUlT_T0_E_clISt17integral_constantIbLb1EES1C_EEDaS17_S18_EUlS17_E_NS1_11comp_targetILNS1_3genE3ELNS1_11target_archE908ELNS1_3gpuE7ELNS1_3repE0EEENS1_30default_config_static_selectorELNS0_4arch9wavefront6targetE1EEEvT1_ ; -- Begin function _ZN7rocprim17ROCPRIM_400000_NS6detail17trampoline_kernelINS0_14default_configENS1_25partition_config_selectorILNS1_17partition_subalgoE8ElNS0_10empty_typeEbEEZZNS1_14partition_implILS5_8ELb0ES3_jPlPS6_PKS6_NS0_5tupleIJS9_S6_EEENSD_IJSA_SA_EEENS0_18inequality_wrapperIZN2at6native12_GLOBAL__N_124unique_dim_cuda_templateImEESt5tupleIJNSH_6TensorESM_SM_EERKSM_lbbbEUlllE0_EEPmJS6_EEE10hipError_tPvRmT3_T4_T5_T6_T7_T9_mT8_P12ihipStream_tbDpT10_ENKUlT_T0_E_clISt17integral_constantIbLb1EES1C_EEDaS17_S18_EUlS17_E_NS1_11comp_targetILNS1_3genE3ELNS1_11target_archE908ELNS1_3gpuE7ELNS1_3repE0EEENS1_30default_config_static_selectorELNS0_4arch9wavefront6targetE1EEEvT1_
	.p2align	8
	.type	_ZN7rocprim17ROCPRIM_400000_NS6detail17trampoline_kernelINS0_14default_configENS1_25partition_config_selectorILNS1_17partition_subalgoE8ElNS0_10empty_typeEbEEZZNS1_14partition_implILS5_8ELb0ES3_jPlPS6_PKS6_NS0_5tupleIJS9_S6_EEENSD_IJSA_SA_EEENS0_18inequality_wrapperIZN2at6native12_GLOBAL__N_124unique_dim_cuda_templateImEESt5tupleIJNSH_6TensorESM_SM_EERKSM_lbbbEUlllE0_EEPmJS6_EEE10hipError_tPvRmT3_T4_T5_T6_T7_T9_mT8_P12ihipStream_tbDpT10_ENKUlT_T0_E_clISt17integral_constantIbLb1EES1C_EEDaS17_S18_EUlS17_E_NS1_11comp_targetILNS1_3genE3ELNS1_11target_archE908ELNS1_3gpuE7ELNS1_3repE0EEENS1_30default_config_static_selectorELNS0_4arch9wavefront6targetE1EEEvT1_,@function
_ZN7rocprim17ROCPRIM_400000_NS6detail17trampoline_kernelINS0_14default_configENS1_25partition_config_selectorILNS1_17partition_subalgoE8ElNS0_10empty_typeEbEEZZNS1_14partition_implILS5_8ELb0ES3_jPlPS6_PKS6_NS0_5tupleIJS9_S6_EEENSD_IJSA_SA_EEENS0_18inequality_wrapperIZN2at6native12_GLOBAL__N_124unique_dim_cuda_templateImEESt5tupleIJNSH_6TensorESM_SM_EERKSM_lbbbEUlllE0_EEPmJS6_EEE10hipError_tPvRmT3_T4_T5_T6_T7_T9_mT8_P12ihipStream_tbDpT10_ENKUlT_T0_E_clISt17integral_constantIbLb1EES1C_EEDaS17_S18_EUlS17_E_NS1_11comp_targetILNS1_3genE3ELNS1_11target_archE908ELNS1_3gpuE7ELNS1_3repE0EEENS1_30default_config_static_selectorELNS0_4arch9wavefront6targetE1EEEvT1_: ; @_ZN7rocprim17ROCPRIM_400000_NS6detail17trampoline_kernelINS0_14default_configENS1_25partition_config_selectorILNS1_17partition_subalgoE8ElNS0_10empty_typeEbEEZZNS1_14partition_implILS5_8ELb0ES3_jPlPS6_PKS6_NS0_5tupleIJS9_S6_EEENSD_IJSA_SA_EEENS0_18inequality_wrapperIZN2at6native12_GLOBAL__N_124unique_dim_cuda_templateImEESt5tupleIJNSH_6TensorESM_SM_EERKSM_lbbbEUlllE0_EEPmJS6_EEE10hipError_tPvRmT3_T4_T5_T6_T7_T9_mT8_P12ihipStream_tbDpT10_ENKUlT_T0_E_clISt17integral_constantIbLb1EES1C_EEDaS17_S18_EUlS17_E_NS1_11comp_targetILNS1_3genE3ELNS1_11target_archE908ELNS1_3gpuE7ELNS1_3repE0EEENS1_30default_config_static_selectorELNS0_4arch9wavefront6targetE1EEEvT1_
; %bb.0:
	.section	.rodata,"a",@progbits
	.p2align	6, 0x0
	.amdhsa_kernel _ZN7rocprim17ROCPRIM_400000_NS6detail17trampoline_kernelINS0_14default_configENS1_25partition_config_selectorILNS1_17partition_subalgoE8ElNS0_10empty_typeEbEEZZNS1_14partition_implILS5_8ELb0ES3_jPlPS6_PKS6_NS0_5tupleIJS9_S6_EEENSD_IJSA_SA_EEENS0_18inequality_wrapperIZN2at6native12_GLOBAL__N_124unique_dim_cuda_templateImEESt5tupleIJNSH_6TensorESM_SM_EERKSM_lbbbEUlllE0_EEPmJS6_EEE10hipError_tPvRmT3_T4_T5_T6_T7_T9_mT8_P12ihipStream_tbDpT10_ENKUlT_T0_E_clISt17integral_constantIbLb1EES1C_EEDaS17_S18_EUlS17_E_NS1_11comp_targetILNS1_3genE3ELNS1_11target_archE908ELNS1_3gpuE7ELNS1_3repE0EEENS1_30default_config_static_selectorELNS0_4arch9wavefront6targetE1EEEvT1_
		.amdhsa_group_segment_fixed_size 0
		.amdhsa_private_segment_fixed_size 0
		.amdhsa_kernarg_size 136
		.amdhsa_user_sgpr_count 2
		.amdhsa_user_sgpr_dispatch_ptr 0
		.amdhsa_user_sgpr_queue_ptr 0
		.amdhsa_user_sgpr_kernarg_segment_ptr 1
		.amdhsa_user_sgpr_dispatch_id 0
		.amdhsa_user_sgpr_kernarg_preload_length 0
		.amdhsa_user_sgpr_kernarg_preload_offset 0
		.amdhsa_user_sgpr_private_segment_size 0
		.amdhsa_uses_dynamic_stack 0
		.amdhsa_enable_private_segment 0
		.amdhsa_system_sgpr_workgroup_id_x 1
		.amdhsa_system_sgpr_workgroup_id_y 0
		.amdhsa_system_sgpr_workgroup_id_z 0
		.amdhsa_system_sgpr_workgroup_info 0
		.amdhsa_system_vgpr_workitem_id 0
		.amdhsa_next_free_vgpr 1
		.amdhsa_next_free_sgpr 0
		.amdhsa_accum_offset 4
		.amdhsa_reserve_vcc 0
		.amdhsa_float_round_mode_32 0
		.amdhsa_float_round_mode_16_64 0
		.amdhsa_float_denorm_mode_32 3
		.amdhsa_float_denorm_mode_16_64 3
		.amdhsa_dx10_clamp 1
		.amdhsa_ieee_mode 1
		.amdhsa_fp16_overflow 0
		.amdhsa_tg_split 0
		.amdhsa_exception_fp_ieee_invalid_op 0
		.amdhsa_exception_fp_denorm_src 0
		.amdhsa_exception_fp_ieee_div_zero 0
		.amdhsa_exception_fp_ieee_overflow 0
		.amdhsa_exception_fp_ieee_underflow 0
		.amdhsa_exception_fp_ieee_inexact 0
		.amdhsa_exception_int_div_zero 0
	.end_amdhsa_kernel
	.section	.text._ZN7rocprim17ROCPRIM_400000_NS6detail17trampoline_kernelINS0_14default_configENS1_25partition_config_selectorILNS1_17partition_subalgoE8ElNS0_10empty_typeEbEEZZNS1_14partition_implILS5_8ELb0ES3_jPlPS6_PKS6_NS0_5tupleIJS9_S6_EEENSD_IJSA_SA_EEENS0_18inequality_wrapperIZN2at6native12_GLOBAL__N_124unique_dim_cuda_templateImEESt5tupleIJNSH_6TensorESM_SM_EERKSM_lbbbEUlllE0_EEPmJS6_EEE10hipError_tPvRmT3_T4_T5_T6_T7_T9_mT8_P12ihipStream_tbDpT10_ENKUlT_T0_E_clISt17integral_constantIbLb1EES1C_EEDaS17_S18_EUlS17_E_NS1_11comp_targetILNS1_3genE3ELNS1_11target_archE908ELNS1_3gpuE7ELNS1_3repE0EEENS1_30default_config_static_selectorELNS0_4arch9wavefront6targetE1EEEvT1_,"axG",@progbits,_ZN7rocprim17ROCPRIM_400000_NS6detail17trampoline_kernelINS0_14default_configENS1_25partition_config_selectorILNS1_17partition_subalgoE8ElNS0_10empty_typeEbEEZZNS1_14partition_implILS5_8ELb0ES3_jPlPS6_PKS6_NS0_5tupleIJS9_S6_EEENSD_IJSA_SA_EEENS0_18inequality_wrapperIZN2at6native12_GLOBAL__N_124unique_dim_cuda_templateImEESt5tupleIJNSH_6TensorESM_SM_EERKSM_lbbbEUlllE0_EEPmJS6_EEE10hipError_tPvRmT3_T4_T5_T6_T7_T9_mT8_P12ihipStream_tbDpT10_ENKUlT_T0_E_clISt17integral_constantIbLb1EES1C_EEDaS17_S18_EUlS17_E_NS1_11comp_targetILNS1_3genE3ELNS1_11target_archE908ELNS1_3gpuE7ELNS1_3repE0EEENS1_30default_config_static_selectorELNS0_4arch9wavefront6targetE1EEEvT1_,comdat
.Lfunc_end1685:
	.size	_ZN7rocprim17ROCPRIM_400000_NS6detail17trampoline_kernelINS0_14default_configENS1_25partition_config_selectorILNS1_17partition_subalgoE8ElNS0_10empty_typeEbEEZZNS1_14partition_implILS5_8ELb0ES3_jPlPS6_PKS6_NS0_5tupleIJS9_S6_EEENSD_IJSA_SA_EEENS0_18inequality_wrapperIZN2at6native12_GLOBAL__N_124unique_dim_cuda_templateImEESt5tupleIJNSH_6TensorESM_SM_EERKSM_lbbbEUlllE0_EEPmJS6_EEE10hipError_tPvRmT3_T4_T5_T6_T7_T9_mT8_P12ihipStream_tbDpT10_ENKUlT_T0_E_clISt17integral_constantIbLb1EES1C_EEDaS17_S18_EUlS17_E_NS1_11comp_targetILNS1_3genE3ELNS1_11target_archE908ELNS1_3gpuE7ELNS1_3repE0EEENS1_30default_config_static_selectorELNS0_4arch9wavefront6targetE1EEEvT1_, .Lfunc_end1685-_ZN7rocprim17ROCPRIM_400000_NS6detail17trampoline_kernelINS0_14default_configENS1_25partition_config_selectorILNS1_17partition_subalgoE8ElNS0_10empty_typeEbEEZZNS1_14partition_implILS5_8ELb0ES3_jPlPS6_PKS6_NS0_5tupleIJS9_S6_EEENSD_IJSA_SA_EEENS0_18inequality_wrapperIZN2at6native12_GLOBAL__N_124unique_dim_cuda_templateImEESt5tupleIJNSH_6TensorESM_SM_EERKSM_lbbbEUlllE0_EEPmJS6_EEE10hipError_tPvRmT3_T4_T5_T6_T7_T9_mT8_P12ihipStream_tbDpT10_ENKUlT_T0_E_clISt17integral_constantIbLb1EES1C_EEDaS17_S18_EUlS17_E_NS1_11comp_targetILNS1_3genE3ELNS1_11target_archE908ELNS1_3gpuE7ELNS1_3repE0EEENS1_30default_config_static_selectorELNS0_4arch9wavefront6targetE1EEEvT1_
                                        ; -- End function
	.section	.AMDGPU.csdata,"",@progbits
; Kernel info:
; codeLenInByte = 0
; NumSgprs: 6
; NumVgprs: 0
; NumAgprs: 0
; TotalNumVgprs: 0
; ScratchSize: 0
; MemoryBound: 0
; FloatMode: 240
; IeeeMode: 1
; LDSByteSize: 0 bytes/workgroup (compile time only)
; SGPRBlocks: 0
; VGPRBlocks: 0
; NumSGPRsForWavesPerEU: 6
; NumVGPRsForWavesPerEU: 1
; AccumOffset: 4
; Occupancy: 8
; WaveLimiterHint : 0
; COMPUTE_PGM_RSRC2:SCRATCH_EN: 0
; COMPUTE_PGM_RSRC2:USER_SGPR: 2
; COMPUTE_PGM_RSRC2:TRAP_HANDLER: 0
; COMPUTE_PGM_RSRC2:TGID_X_EN: 1
; COMPUTE_PGM_RSRC2:TGID_Y_EN: 0
; COMPUTE_PGM_RSRC2:TGID_Z_EN: 0
; COMPUTE_PGM_RSRC2:TIDIG_COMP_CNT: 0
; COMPUTE_PGM_RSRC3_GFX90A:ACCUM_OFFSET: 0
; COMPUTE_PGM_RSRC3_GFX90A:TG_SPLIT: 0
	.section	.text._ZN7rocprim17ROCPRIM_400000_NS6detail17trampoline_kernelINS0_14default_configENS1_25partition_config_selectorILNS1_17partition_subalgoE8ElNS0_10empty_typeEbEEZZNS1_14partition_implILS5_8ELb0ES3_jPlPS6_PKS6_NS0_5tupleIJS9_S6_EEENSD_IJSA_SA_EEENS0_18inequality_wrapperIZN2at6native12_GLOBAL__N_124unique_dim_cuda_templateImEESt5tupleIJNSH_6TensorESM_SM_EERKSM_lbbbEUlllE0_EEPmJS6_EEE10hipError_tPvRmT3_T4_T5_T6_T7_T9_mT8_P12ihipStream_tbDpT10_ENKUlT_T0_E_clISt17integral_constantIbLb1EES1C_EEDaS17_S18_EUlS17_E_NS1_11comp_targetILNS1_3genE2ELNS1_11target_archE906ELNS1_3gpuE6ELNS1_3repE0EEENS1_30default_config_static_selectorELNS0_4arch9wavefront6targetE1EEEvT1_,"axG",@progbits,_ZN7rocprim17ROCPRIM_400000_NS6detail17trampoline_kernelINS0_14default_configENS1_25partition_config_selectorILNS1_17partition_subalgoE8ElNS0_10empty_typeEbEEZZNS1_14partition_implILS5_8ELb0ES3_jPlPS6_PKS6_NS0_5tupleIJS9_S6_EEENSD_IJSA_SA_EEENS0_18inequality_wrapperIZN2at6native12_GLOBAL__N_124unique_dim_cuda_templateImEESt5tupleIJNSH_6TensorESM_SM_EERKSM_lbbbEUlllE0_EEPmJS6_EEE10hipError_tPvRmT3_T4_T5_T6_T7_T9_mT8_P12ihipStream_tbDpT10_ENKUlT_T0_E_clISt17integral_constantIbLb1EES1C_EEDaS17_S18_EUlS17_E_NS1_11comp_targetILNS1_3genE2ELNS1_11target_archE906ELNS1_3gpuE6ELNS1_3repE0EEENS1_30default_config_static_selectorELNS0_4arch9wavefront6targetE1EEEvT1_,comdat
	.globl	_ZN7rocprim17ROCPRIM_400000_NS6detail17trampoline_kernelINS0_14default_configENS1_25partition_config_selectorILNS1_17partition_subalgoE8ElNS0_10empty_typeEbEEZZNS1_14partition_implILS5_8ELb0ES3_jPlPS6_PKS6_NS0_5tupleIJS9_S6_EEENSD_IJSA_SA_EEENS0_18inequality_wrapperIZN2at6native12_GLOBAL__N_124unique_dim_cuda_templateImEESt5tupleIJNSH_6TensorESM_SM_EERKSM_lbbbEUlllE0_EEPmJS6_EEE10hipError_tPvRmT3_T4_T5_T6_T7_T9_mT8_P12ihipStream_tbDpT10_ENKUlT_T0_E_clISt17integral_constantIbLb1EES1C_EEDaS17_S18_EUlS17_E_NS1_11comp_targetILNS1_3genE2ELNS1_11target_archE906ELNS1_3gpuE6ELNS1_3repE0EEENS1_30default_config_static_selectorELNS0_4arch9wavefront6targetE1EEEvT1_ ; -- Begin function _ZN7rocprim17ROCPRIM_400000_NS6detail17trampoline_kernelINS0_14default_configENS1_25partition_config_selectorILNS1_17partition_subalgoE8ElNS0_10empty_typeEbEEZZNS1_14partition_implILS5_8ELb0ES3_jPlPS6_PKS6_NS0_5tupleIJS9_S6_EEENSD_IJSA_SA_EEENS0_18inequality_wrapperIZN2at6native12_GLOBAL__N_124unique_dim_cuda_templateImEESt5tupleIJNSH_6TensorESM_SM_EERKSM_lbbbEUlllE0_EEPmJS6_EEE10hipError_tPvRmT3_T4_T5_T6_T7_T9_mT8_P12ihipStream_tbDpT10_ENKUlT_T0_E_clISt17integral_constantIbLb1EES1C_EEDaS17_S18_EUlS17_E_NS1_11comp_targetILNS1_3genE2ELNS1_11target_archE906ELNS1_3gpuE6ELNS1_3repE0EEENS1_30default_config_static_selectorELNS0_4arch9wavefront6targetE1EEEvT1_
	.p2align	8
	.type	_ZN7rocprim17ROCPRIM_400000_NS6detail17trampoline_kernelINS0_14default_configENS1_25partition_config_selectorILNS1_17partition_subalgoE8ElNS0_10empty_typeEbEEZZNS1_14partition_implILS5_8ELb0ES3_jPlPS6_PKS6_NS0_5tupleIJS9_S6_EEENSD_IJSA_SA_EEENS0_18inequality_wrapperIZN2at6native12_GLOBAL__N_124unique_dim_cuda_templateImEESt5tupleIJNSH_6TensorESM_SM_EERKSM_lbbbEUlllE0_EEPmJS6_EEE10hipError_tPvRmT3_T4_T5_T6_T7_T9_mT8_P12ihipStream_tbDpT10_ENKUlT_T0_E_clISt17integral_constantIbLb1EES1C_EEDaS17_S18_EUlS17_E_NS1_11comp_targetILNS1_3genE2ELNS1_11target_archE906ELNS1_3gpuE6ELNS1_3repE0EEENS1_30default_config_static_selectorELNS0_4arch9wavefront6targetE1EEEvT1_,@function
_ZN7rocprim17ROCPRIM_400000_NS6detail17trampoline_kernelINS0_14default_configENS1_25partition_config_selectorILNS1_17partition_subalgoE8ElNS0_10empty_typeEbEEZZNS1_14partition_implILS5_8ELb0ES3_jPlPS6_PKS6_NS0_5tupleIJS9_S6_EEENSD_IJSA_SA_EEENS0_18inequality_wrapperIZN2at6native12_GLOBAL__N_124unique_dim_cuda_templateImEESt5tupleIJNSH_6TensorESM_SM_EERKSM_lbbbEUlllE0_EEPmJS6_EEE10hipError_tPvRmT3_T4_T5_T6_T7_T9_mT8_P12ihipStream_tbDpT10_ENKUlT_T0_E_clISt17integral_constantIbLb1EES1C_EEDaS17_S18_EUlS17_E_NS1_11comp_targetILNS1_3genE2ELNS1_11target_archE906ELNS1_3gpuE6ELNS1_3repE0EEENS1_30default_config_static_selectorELNS0_4arch9wavefront6targetE1EEEvT1_: ; @_ZN7rocprim17ROCPRIM_400000_NS6detail17trampoline_kernelINS0_14default_configENS1_25partition_config_selectorILNS1_17partition_subalgoE8ElNS0_10empty_typeEbEEZZNS1_14partition_implILS5_8ELb0ES3_jPlPS6_PKS6_NS0_5tupleIJS9_S6_EEENSD_IJSA_SA_EEENS0_18inequality_wrapperIZN2at6native12_GLOBAL__N_124unique_dim_cuda_templateImEESt5tupleIJNSH_6TensorESM_SM_EERKSM_lbbbEUlllE0_EEPmJS6_EEE10hipError_tPvRmT3_T4_T5_T6_T7_T9_mT8_P12ihipStream_tbDpT10_ENKUlT_T0_E_clISt17integral_constantIbLb1EES1C_EEDaS17_S18_EUlS17_E_NS1_11comp_targetILNS1_3genE2ELNS1_11target_archE906ELNS1_3gpuE6ELNS1_3repE0EEENS1_30default_config_static_selectorELNS0_4arch9wavefront6targetE1EEEvT1_
; %bb.0:
	.section	.rodata,"a",@progbits
	.p2align	6, 0x0
	.amdhsa_kernel _ZN7rocprim17ROCPRIM_400000_NS6detail17trampoline_kernelINS0_14default_configENS1_25partition_config_selectorILNS1_17partition_subalgoE8ElNS0_10empty_typeEbEEZZNS1_14partition_implILS5_8ELb0ES3_jPlPS6_PKS6_NS0_5tupleIJS9_S6_EEENSD_IJSA_SA_EEENS0_18inequality_wrapperIZN2at6native12_GLOBAL__N_124unique_dim_cuda_templateImEESt5tupleIJNSH_6TensorESM_SM_EERKSM_lbbbEUlllE0_EEPmJS6_EEE10hipError_tPvRmT3_T4_T5_T6_T7_T9_mT8_P12ihipStream_tbDpT10_ENKUlT_T0_E_clISt17integral_constantIbLb1EES1C_EEDaS17_S18_EUlS17_E_NS1_11comp_targetILNS1_3genE2ELNS1_11target_archE906ELNS1_3gpuE6ELNS1_3repE0EEENS1_30default_config_static_selectorELNS0_4arch9wavefront6targetE1EEEvT1_
		.amdhsa_group_segment_fixed_size 0
		.amdhsa_private_segment_fixed_size 0
		.amdhsa_kernarg_size 136
		.amdhsa_user_sgpr_count 2
		.amdhsa_user_sgpr_dispatch_ptr 0
		.amdhsa_user_sgpr_queue_ptr 0
		.amdhsa_user_sgpr_kernarg_segment_ptr 1
		.amdhsa_user_sgpr_dispatch_id 0
		.amdhsa_user_sgpr_kernarg_preload_length 0
		.amdhsa_user_sgpr_kernarg_preload_offset 0
		.amdhsa_user_sgpr_private_segment_size 0
		.amdhsa_uses_dynamic_stack 0
		.amdhsa_enable_private_segment 0
		.amdhsa_system_sgpr_workgroup_id_x 1
		.amdhsa_system_sgpr_workgroup_id_y 0
		.amdhsa_system_sgpr_workgroup_id_z 0
		.amdhsa_system_sgpr_workgroup_info 0
		.amdhsa_system_vgpr_workitem_id 0
		.amdhsa_next_free_vgpr 1
		.amdhsa_next_free_sgpr 0
		.amdhsa_accum_offset 4
		.amdhsa_reserve_vcc 0
		.amdhsa_float_round_mode_32 0
		.amdhsa_float_round_mode_16_64 0
		.amdhsa_float_denorm_mode_32 3
		.amdhsa_float_denorm_mode_16_64 3
		.amdhsa_dx10_clamp 1
		.amdhsa_ieee_mode 1
		.amdhsa_fp16_overflow 0
		.amdhsa_tg_split 0
		.amdhsa_exception_fp_ieee_invalid_op 0
		.amdhsa_exception_fp_denorm_src 0
		.amdhsa_exception_fp_ieee_div_zero 0
		.amdhsa_exception_fp_ieee_overflow 0
		.amdhsa_exception_fp_ieee_underflow 0
		.amdhsa_exception_fp_ieee_inexact 0
		.amdhsa_exception_int_div_zero 0
	.end_amdhsa_kernel
	.section	.text._ZN7rocprim17ROCPRIM_400000_NS6detail17trampoline_kernelINS0_14default_configENS1_25partition_config_selectorILNS1_17partition_subalgoE8ElNS0_10empty_typeEbEEZZNS1_14partition_implILS5_8ELb0ES3_jPlPS6_PKS6_NS0_5tupleIJS9_S6_EEENSD_IJSA_SA_EEENS0_18inequality_wrapperIZN2at6native12_GLOBAL__N_124unique_dim_cuda_templateImEESt5tupleIJNSH_6TensorESM_SM_EERKSM_lbbbEUlllE0_EEPmJS6_EEE10hipError_tPvRmT3_T4_T5_T6_T7_T9_mT8_P12ihipStream_tbDpT10_ENKUlT_T0_E_clISt17integral_constantIbLb1EES1C_EEDaS17_S18_EUlS17_E_NS1_11comp_targetILNS1_3genE2ELNS1_11target_archE906ELNS1_3gpuE6ELNS1_3repE0EEENS1_30default_config_static_selectorELNS0_4arch9wavefront6targetE1EEEvT1_,"axG",@progbits,_ZN7rocprim17ROCPRIM_400000_NS6detail17trampoline_kernelINS0_14default_configENS1_25partition_config_selectorILNS1_17partition_subalgoE8ElNS0_10empty_typeEbEEZZNS1_14partition_implILS5_8ELb0ES3_jPlPS6_PKS6_NS0_5tupleIJS9_S6_EEENSD_IJSA_SA_EEENS0_18inequality_wrapperIZN2at6native12_GLOBAL__N_124unique_dim_cuda_templateImEESt5tupleIJNSH_6TensorESM_SM_EERKSM_lbbbEUlllE0_EEPmJS6_EEE10hipError_tPvRmT3_T4_T5_T6_T7_T9_mT8_P12ihipStream_tbDpT10_ENKUlT_T0_E_clISt17integral_constantIbLb1EES1C_EEDaS17_S18_EUlS17_E_NS1_11comp_targetILNS1_3genE2ELNS1_11target_archE906ELNS1_3gpuE6ELNS1_3repE0EEENS1_30default_config_static_selectorELNS0_4arch9wavefront6targetE1EEEvT1_,comdat
.Lfunc_end1686:
	.size	_ZN7rocprim17ROCPRIM_400000_NS6detail17trampoline_kernelINS0_14default_configENS1_25partition_config_selectorILNS1_17partition_subalgoE8ElNS0_10empty_typeEbEEZZNS1_14partition_implILS5_8ELb0ES3_jPlPS6_PKS6_NS0_5tupleIJS9_S6_EEENSD_IJSA_SA_EEENS0_18inequality_wrapperIZN2at6native12_GLOBAL__N_124unique_dim_cuda_templateImEESt5tupleIJNSH_6TensorESM_SM_EERKSM_lbbbEUlllE0_EEPmJS6_EEE10hipError_tPvRmT3_T4_T5_T6_T7_T9_mT8_P12ihipStream_tbDpT10_ENKUlT_T0_E_clISt17integral_constantIbLb1EES1C_EEDaS17_S18_EUlS17_E_NS1_11comp_targetILNS1_3genE2ELNS1_11target_archE906ELNS1_3gpuE6ELNS1_3repE0EEENS1_30default_config_static_selectorELNS0_4arch9wavefront6targetE1EEEvT1_, .Lfunc_end1686-_ZN7rocprim17ROCPRIM_400000_NS6detail17trampoline_kernelINS0_14default_configENS1_25partition_config_selectorILNS1_17partition_subalgoE8ElNS0_10empty_typeEbEEZZNS1_14partition_implILS5_8ELb0ES3_jPlPS6_PKS6_NS0_5tupleIJS9_S6_EEENSD_IJSA_SA_EEENS0_18inequality_wrapperIZN2at6native12_GLOBAL__N_124unique_dim_cuda_templateImEESt5tupleIJNSH_6TensorESM_SM_EERKSM_lbbbEUlllE0_EEPmJS6_EEE10hipError_tPvRmT3_T4_T5_T6_T7_T9_mT8_P12ihipStream_tbDpT10_ENKUlT_T0_E_clISt17integral_constantIbLb1EES1C_EEDaS17_S18_EUlS17_E_NS1_11comp_targetILNS1_3genE2ELNS1_11target_archE906ELNS1_3gpuE6ELNS1_3repE0EEENS1_30default_config_static_selectorELNS0_4arch9wavefront6targetE1EEEvT1_
                                        ; -- End function
	.section	.AMDGPU.csdata,"",@progbits
; Kernel info:
; codeLenInByte = 0
; NumSgprs: 6
; NumVgprs: 0
; NumAgprs: 0
; TotalNumVgprs: 0
; ScratchSize: 0
; MemoryBound: 0
; FloatMode: 240
; IeeeMode: 1
; LDSByteSize: 0 bytes/workgroup (compile time only)
; SGPRBlocks: 0
; VGPRBlocks: 0
; NumSGPRsForWavesPerEU: 6
; NumVGPRsForWavesPerEU: 1
; AccumOffset: 4
; Occupancy: 8
; WaveLimiterHint : 0
; COMPUTE_PGM_RSRC2:SCRATCH_EN: 0
; COMPUTE_PGM_RSRC2:USER_SGPR: 2
; COMPUTE_PGM_RSRC2:TRAP_HANDLER: 0
; COMPUTE_PGM_RSRC2:TGID_X_EN: 1
; COMPUTE_PGM_RSRC2:TGID_Y_EN: 0
; COMPUTE_PGM_RSRC2:TGID_Z_EN: 0
; COMPUTE_PGM_RSRC2:TIDIG_COMP_CNT: 0
; COMPUTE_PGM_RSRC3_GFX90A:ACCUM_OFFSET: 0
; COMPUTE_PGM_RSRC3_GFX90A:TG_SPLIT: 0
	.section	.text._ZN7rocprim17ROCPRIM_400000_NS6detail17trampoline_kernelINS0_14default_configENS1_25partition_config_selectorILNS1_17partition_subalgoE8ElNS0_10empty_typeEbEEZZNS1_14partition_implILS5_8ELb0ES3_jPlPS6_PKS6_NS0_5tupleIJS9_S6_EEENSD_IJSA_SA_EEENS0_18inequality_wrapperIZN2at6native12_GLOBAL__N_124unique_dim_cuda_templateImEESt5tupleIJNSH_6TensorESM_SM_EERKSM_lbbbEUlllE0_EEPmJS6_EEE10hipError_tPvRmT3_T4_T5_T6_T7_T9_mT8_P12ihipStream_tbDpT10_ENKUlT_T0_E_clISt17integral_constantIbLb1EES1C_EEDaS17_S18_EUlS17_E_NS1_11comp_targetILNS1_3genE10ELNS1_11target_archE1200ELNS1_3gpuE4ELNS1_3repE0EEENS1_30default_config_static_selectorELNS0_4arch9wavefront6targetE1EEEvT1_,"axG",@progbits,_ZN7rocprim17ROCPRIM_400000_NS6detail17trampoline_kernelINS0_14default_configENS1_25partition_config_selectorILNS1_17partition_subalgoE8ElNS0_10empty_typeEbEEZZNS1_14partition_implILS5_8ELb0ES3_jPlPS6_PKS6_NS0_5tupleIJS9_S6_EEENSD_IJSA_SA_EEENS0_18inequality_wrapperIZN2at6native12_GLOBAL__N_124unique_dim_cuda_templateImEESt5tupleIJNSH_6TensorESM_SM_EERKSM_lbbbEUlllE0_EEPmJS6_EEE10hipError_tPvRmT3_T4_T5_T6_T7_T9_mT8_P12ihipStream_tbDpT10_ENKUlT_T0_E_clISt17integral_constantIbLb1EES1C_EEDaS17_S18_EUlS17_E_NS1_11comp_targetILNS1_3genE10ELNS1_11target_archE1200ELNS1_3gpuE4ELNS1_3repE0EEENS1_30default_config_static_selectorELNS0_4arch9wavefront6targetE1EEEvT1_,comdat
	.globl	_ZN7rocprim17ROCPRIM_400000_NS6detail17trampoline_kernelINS0_14default_configENS1_25partition_config_selectorILNS1_17partition_subalgoE8ElNS0_10empty_typeEbEEZZNS1_14partition_implILS5_8ELb0ES3_jPlPS6_PKS6_NS0_5tupleIJS9_S6_EEENSD_IJSA_SA_EEENS0_18inequality_wrapperIZN2at6native12_GLOBAL__N_124unique_dim_cuda_templateImEESt5tupleIJNSH_6TensorESM_SM_EERKSM_lbbbEUlllE0_EEPmJS6_EEE10hipError_tPvRmT3_T4_T5_T6_T7_T9_mT8_P12ihipStream_tbDpT10_ENKUlT_T0_E_clISt17integral_constantIbLb1EES1C_EEDaS17_S18_EUlS17_E_NS1_11comp_targetILNS1_3genE10ELNS1_11target_archE1200ELNS1_3gpuE4ELNS1_3repE0EEENS1_30default_config_static_selectorELNS0_4arch9wavefront6targetE1EEEvT1_ ; -- Begin function _ZN7rocprim17ROCPRIM_400000_NS6detail17trampoline_kernelINS0_14default_configENS1_25partition_config_selectorILNS1_17partition_subalgoE8ElNS0_10empty_typeEbEEZZNS1_14partition_implILS5_8ELb0ES3_jPlPS6_PKS6_NS0_5tupleIJS9_S6_EEENSD_IJSA_SA_EEENS0_18inequality_wrapperIZN2at6native12_GLOBAL__N_124unique_dim_cuda_templateImEESt5tupleIJNSH_6TensorESM_SM_EERKSM_lbbbEUlllE0_EEPmJS6_EEE10hipError_tPvRmT3_T4_T5_T6_T7_T9_mT8_P12ihipStream_tbDpT10_ENKUlT_T0_E_clISt17integral_constantIbLb1EES1C_EEDaS17_S18_EUlS17_E_NS1_11comp_targetILNS1_3genE10ELNS1_11target_archE1200ELNS1_3gpuE4ELNS1_3repE0EEENS1_30default_config_static_selectorELNS0_4arch9wavefront6targetE1EEEvT1_
	.p2align	8
	.type	_ZN7rocprim17ROCPRIM_400000_NS6detail17trampoline_kernelINS0_14default_configENS1_25partition_config_selectorILNS1_17partition_subalgoE8ElNS0_10empty_typeEbEEZZNS1_14partition_implILS5_8ELb0ES3_jPlPS6_PKS6_NS0_5tupleIJS9_S6_EEENSD_IJSA_SA_EEENS0_18inequality_wrapperIZN2at6native12_GLOBAL__N_124unique_dim_cuda_templateImEESt5tupleIJNSH_6TensorESM_SM_EERKSM_lbbbEUlllE0_EEPmJS6_EEE10hipError_tPvRmT3_T4_T5_T6_T7_T9_mT8_P12ihipStream_tbDpT10_ENKUlT_T0_E_clISt17integral_constantIbLb1EES1C_EEDaS17_S18_EUlS17_E_NS1_11comp_targetILNS1_3genE10ELNS1_11target_archE1200ELNS1_3gpuE4ELNS1_3repE0EEENS1_30default_config_static_selectorELNS0_4arch9wavefront6targetE1EEEvT1_,@function
_ZN7rocprim17ROCPRIM_400000_NS6detail17trampoline_kernelINS0_14default_configENS1_25partition_config_selectorILNS1_17partition_subalgoE8ElNS0_10empty_typeEbEEZZNS1_14partition_implILS5_8ELb0ES3_jPlPS6_PKS6_NS0_5tupleIJS9_S6_EEENSD_IJSA_SA_EEENS0_18inequality_wrapperIZN2at6native12_GLOBAL__N_124unique_dim_cuda_templateImEESt5tupleIJNSH_6TensorESM_SM_EERKSM_lbbbEUlllE0_EEPmJS6_EEE10hipError_tPvRmT3_T4_T5_T6_T7_T9_mT8_P12ihipStream_tbDpT10_ENKUlT_T0_E_clISt17integral_constantIbLb1EES1C_EEDaS17_S18_EUlS17_E_NS1_11comp_targetILNS1_3genE10ELNS1_11target_archE1200ELNS1_3gpuE4ELNS1_3repE0EEENS1_30default_config_static_selectorELNS0_4arch9wavefront6targetE1EEEvT1_: ; @_ZN7rocprim17ROCPRIM_400000_NS6detail17trampoline_kernelINS0_14default_configENS1_25partition_config_selectorILNS1_17partition_subalgoE8ElNS0_10empty_typeEbEEZZNS1_14partition_implILS5_8ELb0ES3_jPlPS6_PKS6_NS0_5tupleIJS9_S6_EEENSD_IJSA_SA_EEENS0_18inequality_wrapperIZN2at6native12_GLOBAL__N_124unique_dim_cuda_templateImEESt5tupleIJNSH_6TensorESM_SM_EERKSM_lbbbEUlllE0_EEPmJS6_EEE10hipError_tPvRmT3_T4_T5_T6_T7_T9_mT8_P12ihipStream_tbDpT10_ENKUlT_T0_E_clISt17integral_constantIbLb1EES1C_EEDaS17_S18_EUlS17_E_NS1_11comp_targetILNS1_3genE10ELNS1_11target_archE1200ELNS1_3gpuE4ELNS1_3repE0EEENS1_30default_config_static_selectorELNS0_4arch9wavefront6targetE1EEEvT1_
; %bb.0:
	.section	.rodata,"a",@progbits
	.p2align	6, 0x0
	.amdhsa_kernel _ZN7rocprim17ROCPRIM_400000_NS6detail17trampoline_kernelINS0_14default_configENS1_25partition_config_selectorILNS1_17partition_subalgoE8ElNS0_10empty_typeEbEEZZNS1_14partition_implILS5_8ELb0ES3_jPlPS6_PKS6_NS0_5tupleIJS9_S6_EEENSD_IJSA_SA_EEENS0_18inequality_wrapperIZN2at6native12_GLOBAL__N_124unique_dim_cuda_templateImEESt5tupleIJNSH_6TensorESM_SM_EERKSM_lbbbEUlllE0_EEPmJS6_EEE10hipError_tPvRmT3_T4_T5_T6_T7_T9_mT8_P12ihipStream_tbDpT10_ENKUlT_T0_E_clISt17integral_constantIbLb1EES1C_EEDaS17_S18_EUlS17_E_NS1_11comp_targetILNS1_3genE10ELNS1_11target_archE1200ELNS1_3gpuE4ELNS1_3repE0EEENS1_30default_config_static_selectorELNS0_4arch9wavefront6targetE1EEEvT1_
		.amdhsa_group_segment_fixed_size 0
		.amdhsa_private_segment_fixed_size 0
		.amdhsa_kernarg_size 136
		.amdhsa_user_sgpr_count 2
		.amdhsa_user_sgpr_dispatch_ptr 0
		.amdhsa_user_sgpr_queue_ptr 0
		.amdhsa_user_sgpr_kernarg_segment_ptr 1
		.amdhsa_user_sgpr_dispatch_id 0
		.amdhsa_user_sgpr_kernarg_preload_length 0
		.amdhsa_user_sgpr_kernarg_preload_offset 0
		.amdhsa_user_sgpr_private_segment_size 0
		.amdhsa_uses_dynamic_stack 0
		.amdhsa_enable_private_segment 0
		.amdhsa_system_sgpr_workgroup_id_x 1
		.amdhsa_system_sgpr_workgroup_id_y 0
		.amdhsa_system_sgpr_workgroup_id_z 0
		.amdhsa_system_sgpr_workgroup_info 0
		.amdhsa_system_vgpr_workitem_id 0
		.amdhsa_next_free_vgpr 1
		.amdhsa_next_free_sgpr 0
		.amdhsa_accum_offset 4
		.amdhsa_reserve_vcc 0
		.amdhsa_float_round_mode_32 0
		.amdhsa_float_round_mode_16_64 0
		.amdhsa_float_denorm_mode_32 3
		.amdhsa_float_denorm_mode_16_64 3
		.amdhsa_dx10_clamp 1
		.amdhsa_ieee_mode 1
		.amdhsa_fp16_overflow 0
		.amdhsa_tg_split 0
		.amdhsa_exception_fp_ieee_invalid_op 0
		.amdhsa_exception_fp_denorm_src 0
		.amdhsa_exception_fp_ieee_div_zero 0
		.amdhsa_exception_fp_ieee_overflow 0
		.amdhsa_exception_fp_ieee_underflow 0
		.amdhsa_exception_fp_ieee_inexact 0
		.amdhsa_exception_int_div_zero 0
	.end_amdhsa_kernel
	.section	.text._ZN7rocprim17ROCPRIM_400000_NS6detail17trampoline_kernelINS0_14default_configENS1_25partition_config_selectorILNS1_17partition_subalgoE8ElNS0_10empty_typeEbEEZZNS1_14partition_implILS5_8ELb0ES3_jPlPS6_PKS6_NS0_5tupleIJS9_S6_EEENSD_IJSA_SA_EEENS0_18inequality_wrapperIZN2at6native12_GLOBAL__N_124unique_dim_cuda_templateImEESt5tupleIJNSH_6TensorESM_SM_EERKSM_lbbbEUlllE0_EEPmJS6_EEE10hipError_tPvRmT3_T4_T5_T6_T7_T9_mT8_P12ihipStream_tbDpT10_ENKUlT_T0_E_clISt17integral_constantIbLb1EES1C_EEDaS17_S18_EUlS17_E_NS1_11comp_targetILNS1_3genE10ELNS1_11target_archE1200ELNS1_3gpuE4ELNS1_3repE0EEENS1_30default_config_static_selectorELNS0_4arch9wavefront6targetE1EEEvT1_,"axG",@progbits,_ZN7rocprim17ROCPRIM_400000_NS6detail17trampoline_kernelINS0_14default_configENS1_25partition_config_selectorILNS1_17partition_subalgoE8ElNS0_10empty_typeEbEEZZNS1_14partition_implILS5_8ELb0ES3_jPlPS6_PKS6_NS0_5tupleIJS9_S6_EEENSD_IJSA_SA_EEENS0_18inequality_wrapperIZN2at6native12_GLOBAL__N_124unique_dim_cuda_templateImEESt5tupleIJNSH_6TensorESM_SM_EERKSM_lbbbEUlllE0_EEPmJS6_EEE10hipError_tPvRmT3_T4_T5_T6_T7_T9_mT8_P12ihipStream_tbDpT10_ENKUlT_T0_E_clISt17integral_constantIbLb1EES1C_EEDaS17_S18_EUlS17_E_NS1_11comp_targetILNS1_3genE10ELNS1_11target_archE1200ELNS1_3gpuE4ELNS1_3repE0EEENS1_30default_config_static_selectorELNS0_4arch9wavefront6targetE1EEEvT1_,comdat
.Lfunc_end1687:
	.size	_ZN7rocprim17ROCPRIM_400000_NS6detail17trampoline_kernelINS0_14default_configENS1_25partition_config_selectorILNS1_17partition_subalgoE8ElNS0_10empty_typeEbEEZZNS1_14partition_implILS5_8ELb0ES3_jPlPS6_PKS6_NS0_5tupleIJS9_S6_EEENSD_IJSA_SA_EEENS0_18inequality_wrapperIZN2at6native12_GLOBAL__N_124unique_dim_cuda_templateImEESt5tupleIJNSH_6TensorESM_SM_EERKSM_lbbbEUlllE0_EEPmJS6_EEE10hipError_tPvRmT3_T4_T5_T6_T7_T9_mT8_P12ihipStream_tbDpT10_ENKUlT_T0_E_clISt17integral_constantIbLb1EES1C_EEDaS17_S18_EUlS17_E_NS1_11comp_targetILNS1_3genE10ELNS1_11target_archE1200ELNS1_3gpuE4ELNS1_3repE0EEENS1_30default_config_static_selectorELNS0_4arch9wavefront6targetE1EEEvT1_, .Lfunc_end1687-_ZN7rocprim17ROCPRIM_400000_NS6detail17trampoline_kernelINS0_14default_configENS1_25partition_config_selectorILNS1_17partition_subalgoE8ElNS0_10empty_typeEbEEZZNS1_14partition_implILS5_8ELb0ES3_jPlPS6_PKS6_NS0_5tupleIJS9_S6_EEENSD_IJSA_SA_EEENS0_18inequality_wrapperIZN2at6native12_GLOBAL__N_124unique_dim_cuda_templateImEESt5tupleIJNSH_6TensorESM_SM_EERKSM_lbbbEUlllE0_EEPmJS6_EEE10hipError_tPvRmT3_T4_T5_T6_T7_T9_mT8_P12ihipStream_tbDpT10_ENKUlT_T0_E_clISt17integral_constantIbLb1EES1C_EEDaS17_S18_EUlS17_E_NS1_11comp_targetILNS1_3genE10ELNS1_11target_archE1200ELNS1_3gpuE4ELNS1_3repE0EEENS1_30default_config_static_selectorELNS0_4arch9wavefront6targetE1EEEvT1_
                                        ; -- End function
	.section	.AMDGPU.csdata,"",@progbits
; Kernel info:
; codeLenInByte = 0
; NumSgprs: 6
; NumVgprs: 0
; NumAgprs: 0
; TotalNumVgprs: 0
; ScratchSize: 0
; MemoryBound: 0
; FloatMode: 240
; IeeeMode: 1
; LDSByteSize: 0 bytes/workgroup (compile time only)
; SGPRBlocks: 0
; VGPRBlocks: 0
; NumSGPRsForWavesPerEU: 6
; NumVGPRsForWavesPerEU: 1
; AccumOffset: 4
; Occupancy: 8
; WaveLimiterHint : 0
; COMPUTE_PGM_RSRC2:SCRATCH_EN: 0
; COMPUTE_PGM_RSRC2:USER_SGPR: 2
; COMPUTE_PGM_RSRC2:TRAP_HANDLER: 0
; COMPUTE_PGM_RSRC2:TGID_X_EN: 1
; COMPUTE_PGM_RSRC2:TGID_Y_EN: 0
; COMPUTE_PGM_RSRC2:TGID_Z_EN: 0
; COMPUTE_PGM_RSRC2:TIDIG_COMP_CNT: 0
; COMPUTE_PGM_RSRC3_GFX90A:ACCUM_OFFSET: 0
; COMPUTE_PGM_RSRC3_GFX90A:TG_SPLIT: 0
	.section	.text._ZN7rocprim17ROCPRIM_400000_NS6detail17trampoline_kernelINS0_14default_configENS1_25partition_config_selectorILNS1_17partition_subalgoE8ElNS0_10empty_typeEbEEZZNS1_14partition_implILS5_8ELb0ES3_jPlPS6_PKS6_NS0_5tupleIJS9_S6_EEENSD_IJSA_SA_EEENS0_18inequality_wrapperIZN2at6native12_GLOBAL__N_124unique_dim_cuda_templateImEESt5tupleIJNSH_6TensorESM_SM_EERKSM_lbbbEUlllE0_EEPmJS6_EEE10hipError_tPvRmT3_T4_T5_T6_T7_T9_mT8_P12ihipStream_tbDpT10_ENKUlT_T0_E_clISt17integral_constantIbLb1EES1C_EEDaS17_S18_EUlS17_E_NS1_11comp_targetILNS1_3genE9ELNS1_11target_archE1100ELNS1_3gpuE3ELNS1_3repE0EEENS1_30default_config_static_selectorELNS0_4arch9wavefront6targetE1EEEvT1_,"axG",@progbits,_ZN7rocprim17ROCPRIM_400000_NS6detail17trampoline_kernelINS0_14default_configENS1_25partition_config_selectorILNS1_17partition_subalgoE8ElNS0_10empty_typeEbEEZZNS1_14partition_implILS5_8ELb0ES3_jPlPS6_PKS6_NS0_5tupleIJS9_S6_EEENSD_IJSA_SA_EEENS0_18inequality_wrapperIZN2at6native12_GLOBAL__N_124unique_dim_cuda_templateImEESt5tupleIJNSH_6TensorESM_SM_EERKSM_lbbbEUlllE0_EEPmJS6_EEE10hipError_tPvRmT3_T4_T5_T6_T7_T9_mT8_P12ihipStream_tbDpT10_ENKUlT_T0_E_clISt17integral_constantIbLb1EES1C_EEDaS17_S18_EUlS17_E_NS1_11comp_targetILNS1_3genE9ELNS1_11target_archE1100ELNS1_3gpuE3ELNS1_3repE0EEENS1_30default_config_static_selectorELNS0_4arch9wavefront6targetE1EEEvT1_,comdat
	.globl	_ZN7rocprim17ROCPRIM_400000_NS6detail17trampoline_kernelINS0_14default_configENS1_25partition_config_selectorILNS1_17partition_subalgoE8ElNS0_10empty_typeEbEEZZNS1_14partition_implILS5_8ELb0ES3_jPlPS6_PKS6_NS0_5tupleIJS9_S6_EEENSD_IJSA_SA_EEENS0_18inequality_wrapperIZN2at6native12_GLOBAL__N_124unique_dim_cuda_templateImEESt5tupleIJNSH_6TensorESM_SM_EERKSM_lbbbEUlllE0_EEPmJS6_EEE10hipError_tPvRmT3_T4_T5_T6_T7_T9_mT8_P12ihipStream_tbDpT10_ENKUlT_T0_E_clISt17integral_constantIbLb1EES1C_EEDaS17_S18_EUlS17_E_NS1_11comp_targetILNS1_3genE9ELNS1_11target_archE1100ELNS1_3gpuE3ELNS1_3repE0EEENS1_30default_config_static_selectorELNS0_4arch9wavefront6targetE1EEEvT1_ ; -- Begin function _ZN7rocprim17ROCPRIM_400000_NS6detail17trampoline_kernelINS0_14default_configENS1_25partition_config_selectorILNS1_17partition_subalgoE8ElNS0_10empty_typeEbEEZZNS1_14partition_implILS5_8ELb0ES3_jPlPS6_PKS6_NS0_5tupleIJS9_S6_EEENSD_IJSA_SA_EEENS0_18inequality_wrapperIZN2at6native12_GLOBAL__N_124unique_dim_cuda_templateImEESt5tupleIJNSH_6TensorESM_SM_EERKSM_lbbbEUlllE0_EEPmJS6_EEE10hipError_tPvRmT3_T4_T5_T6_T7_T9_mT8_P12ihipStream_tbDpT10_ENKUlT_T0_E_clISt17integral_constantIbLb1EES1C_EEDaS17_S18_EUlS17_E_NS1_11comp_targetILNS1_3genE9ELNS1_11target_archE1100ELNS1_3gpuE3ELNS1_3repE0EEENS1_30default_config_static_selectorELNS0_4arch9wavefront6targetE1EEEvT1_
	.p2align	8
	.type	_ZN7rocprim17ROCPRIM_400000_NS6detail17trampoline_kernelINS0_14default_configENS1_25partition_config_selectorILNS1_17partition_subalgoE8ElNS0_10empty_typeEbEEZZNS1_14partition_implILS5_8ELb0ES3_jPlPS6_PKS6_NS0_5tupleIJS9_S6_EEENSD_IJSA_SA_EEENS0_18inequality_wrapperIZN2at6native12_GLOBAL__N_124unique_dim_cuda_templateImEESt5tupleIJNSH_6TensorESM_SM_EERKSM_lbbbEUlllE0_EEPmJS6_EEE10hipError_tPvRmT3_T4_T5_T6_T7_T9_mT8_P12ihipStream_tbDpT10_ENKUlT_T0_E_clISt17integral_constantIbLb1EES1C_EEDaS17_S18_EUlS17_E_NS1_11comp_targetILNS1_3genE9ELNS1_11target_archE1100ELNS1_3gpuE3ELNS1_3repE0EEENS1_30default_config_static_selectorELNS0_4arch9wavefront6targetE1EEEvT1_,@function
_ZN7rocprim17ROCPRIM_400000_NS6detail17trampoline_kernelINS0_14default_configENS1_25partition_config_selectorILNS1_17partition_subalgoE8ElNS0_10empty_typeEbEEZZNS1_14partition_implILS5_8ELb0ES3_jPlPS6_PKS6_NS0_5tupleIJS9_S6_EEENSD_IJSA_SA_EEENS0_18inequality_wrapperIZN2at6native12_GLOBAL__N_124unique_dim_cuda_templateImEESt5tupleIJNSH_6TensorESM_SM_EERKSM_lbbbEUlllE0_EEPmJS6_EEE10hipError_tPvRmT3_T4_T5_T6_T7_T9_mT8_P12ihipStream_tbDpT10_ENKUlT_T0_E_clISt17integral_constantIbLb1EES1C_EEDaS17_S18_EUlS17_E_NS1_11comp_targetILNS1_3genE9ELNS1_11target_archE1100ELNS1_3gpuE3ELNS1_3repE0EEENS1_30default_config_static_selectorELNS0_4arch9wavefront6targetE1EEEvT1_: ; @_ZN7rocprim17ROCPRIM_400000_NS6detail17trampoline_kernelINS0_14default_configENS1_25partition_config_selectorILNS1_17partition_subalgoE8ElNS0_10empty_typeEbEEZZNS1_14partition_implILS5_8ELb0ES3_jPlPS6_PKS6_NS0_5tupleIJS9_S6_EEENSD_IJSA_SA_EEENS0_18inequality_wrapperIZN2at6native12_GLOBAL__N_124unique_dim_cuda_templateImEESt5tupleIJNSH_6TensorESM_SM_EERKSM_lbbbEUlllE0_EEPmJS6_EEE10hipError_tPvRmT3_T4_T5_T6_T7_T9_mT8_P12ihipStream_tbDpT10_ENKUlT_T0_E_clISt17integral_constantIbLb1EES1C_EEDaS17_S18_EUlS17_E_NS1_11comp_targetILNS1_3genE9ELNS1_11target_archE1100ELNS1_3gpuE3ELNS1_3repE0EEENS1_30default_config_static_selectorELNS0_4arch9wavefront6targetE1EEEvT1_
; %bb.0:
	.section	.rodata,"a",@progbits
	.p2align	6, 0x0
	.amdhsa_kernel _ZN7rocprim17ROCPRIM_400000_NS6detail17trampoline_kernelINS0_14default_configENS1_25partition_config_selectorILNS1_17partition_subalgoE8ElNS0_10empty_typeEbEEZZNS1_14partition_implILS5_8ELb0ES3_jPlPS6_PKS6_NS0_5tupleIJS9_S6_EEENSD_IJSA_SA_EEENS0_18inequality_wrapperIZN2at6native12_GLOBAL__N_124unique_dim_cuda_templateImEESt5tupleIJNSH_6TensorESM_SM_EERKSM_lbbbEUlllE0_EEPmJS6_EEE10hipError_tPvRmT3_T4_T5_T6_T7_T9_mT8_P12ihipStream_tbDpT10_ENKUlT_T0_E_clISt17integral_constantIbLb1EES1C_EEDaS17_S18_EUlS17_E_NS1_11comp_targetILNS1_3genE9ELNS1_11target_archE1100ELNS1_3gpuE3ELNS1_3repE0EEENS1_30default_config_static_selectorELNS0_4arch9wavefront6targetE1EEEvT1_
		.amdhsa_group_segment_fixed_size 0
		.amdhsa_private_segment_fixed_size 0
		.amdhsa_kernarg_size 136
		.amdhsa_user_sgpr_count 2
		.amdhsa_user_sgpr_dispatch_ptr 0
		.amdhsa_user_sgpr_queue_ptr 0
		.amdhsa_user_sgpr_kernarg_segment_ptr 1
		.amdhsa_user_sgpr_dispatch_id 0
		.amdhsa_user_sgpr_kernarg_preload_length 0
		.amdhsa_user_sgpr_kernarg_preload_offset 0
		.amdhsa_user_sgpr_private_segment_size 0
		.amdhsa_uses_dynamic_stack 0
		.amdhsa_enable_private_segment 0
		.amdhsa_system_sgpr_workgroup_id_x 1
		.amdhsa_system_sgpr_workgroup_id_y 0
		.amdhsa_system_sgpr_workgroup_id_z 0
		.amdhsa_system_sgpr_workgroup_info 0
		.amdhsa_system_vgpr_workitem_id 0
		.amdhsa_next_free_vgpr 1
		.amdhsa_next_free_sgpr 0
		.amdhsa_accum_offset 4
		.amdhsa_reserve_vcc 0
		.amdhsa_float_round_mode_32 0
		.amdhsa_float_round_mode_16_64 0
		.amdhsa_float_denorm_mode_32 3
		.amdhsa_float_denorm_mode_16_64 3
		.amdhsa_dx10_clamp 1
		.amdhsa_ieee_mode 1
		.amdhsa_fp16_overflow 0
		.amdhsa_tg_split 0
		.amdhsa_exception_fp_ieee_invalid_op 0
		.amdhsa_exception_fp_denorm_src 0
		.amdhsa_exception_fp_ieee_div_zero 0
		.amdhsa_exception_fp_ieee_overflow 0
		.amdhsa_exception_fp_ieee_underflow 0
		.amdhsa_exception_fp_ieee_inexact 0
		.amdhsa_exception_int_div_zero 0
	.end_amdhsa_kernel
	.section	.text._ZN7rocprim17ROCPRIM_400000_NS6detail17trampoline_kernelINS0_14default_configENS1_25partition_config_selectorILNS1_17partition_subalgoE8ElNS0_10empty_typeEbEEZZNS1_14partition_implILS5_8ELb0ES3_jPlPS6_PKS6_NS0_5tupleIJS9_S6_EEENSD_IJSA_SA_EEENS0_18inequality_wrapperIZN2at6native12_GLOBAL__N_124unique_dim_cuda_templateImEESt5tupleIJNSH_6TensorESM_SM_EERKSM_lbbbEUlllE0_EEPmJS6_EEE10hipError_tPvRmT3_T4_T5_T6_T7_T9_mT8_P12ihipStream_tbDpT10_ENKUlT_T0_E_clISt17integral_constantIbLb1EES1C_EEDaS17_S18_EUlS17_E_NS1_11comp_targetILNS1_3genE9ELNS1_11target_archE1100ELNS1_3gpuE3ELNS1_3repE0EEENS1_30default_config_static_selectorELNS0_4arch9wavefront6targetE1EEEvT1_,"axG",@progbits,_ZN7rocprim17ROCPRIM_400000_NS6detail17trampoline_kernelINS0_14default_configENS1_25partition_config_selectorILNS1_17partition_subalgoE8ElNS0_10empty_typeEbEEZZNS1_14partition_implILS5_8ELb0ES3_jPlPS6_PKS6_NS0_5tupleIJS9_S6_EEENSD_IJSA_SA_EEENS0_18inequality_wrapperIZN2at6native12_GLOBAL__N_124unique_dim_cuda_templateImEESt5tupleIJNSH_6TensorESM_SM_EERKSM_lbbbEUlllE0_EEPmJS6_EEE10hipError_tPvRmT3_T4_T5_T6_T7_T9_mT8_P12ihipStream_tbDpT10_ENKUlT_T0_E_clISt17integral_constantIbLb1EES1C_EEDaS17_S18_EUlS17_E_NS1_11comp_targetILNS1_3genE9ELNS1_11target_archE1100ELNS1_3gpuE3ELNS1_3repE0EEENS1_30default_config_static_selectorELNS0_4arch9wavefront6targetE1EEEvT1_,comdat
.Lfunc_end1688:
	.size	_ZN7rocprim17ROCPRIM_400000_NS6detail17trampoline_kernelINS0_14default_configENS1_25partition_config_selectorILNS1_17partition_subalgoE8ElNS0_10empty_typeEbEEZZNS1_14partition_implILS5_8ELb0ES3_jPlPS6_PKS6_NS0_5tupleIJS9_S6_EEENSD_IJSA_SA_EEENS0_18inequality_wrapperIZN2at6native12_GLOBAL__N_124unique_dim_cuda_templateImEESt5tupleIJNSH_6TensorESM_SM_EERKSM_lbbbEUlllE0_EEPmJS6_EEE10hipError_tPvRmT3_T4_T5_T6_T7_T9_mT8_P12ihipStream_tbDpT10_ENKUlT_T0_E_clISt17integral_constantIbLb1EES1C_EEDaS17_S18_EUlS17_E_NS1_11comp_targetILNS1_3genE9ELNS1_11target_archE1100ELNS1_3gpuE3ELNS1_3repE0EEENS1_30default_config_static_selectorELNS0_4arch9wavefront6targetE1EEEvT1_, .Lfunc_end1688-_ZN7rocprim17ROCPRIM_400000_NS6detail17trampoline_kernelINS0_14default_configENS1_25partition_config_selectorILNS1_17partition_subalgoE8ElNS0_10empty_typeEbEEZZNS1_14partition_implILS5_8ELb0ES3_jPlPS6_PKS6_NS0_5tupleIJS9_S6_EEENSD_IJSA_SA_EEENS0_18inequality_wrapperIZN2at6native12_GLOBAL__N_124unique_dim_cuda_templateImEESt5tupleIJNSH_6TensorESM_SM_EERKSM_lbbbEUlllE0_EEPmJS6_EEE10hipError_tPvRmT3_T4_T5_T6_T7_T9_mT8_P12ihipStream_tbDpT10_ENKUlT_T0_E_clISt17integral_constantIbLb1EES1C_EEDaS17_S18_EUlS17_E_NS1_11comp_targetILNS1_3genE9ELNS1_11target_archE1100ELNS1_3gpuE3ELNS1_3repE0EEENS1_30default_config_static_selectorELNS0_4arch9wavefront6targetE1EEEvT1_
                                        ; -- End function
	.section	.AMDGPU.csdata,"",@progbits
; Kernel info:
; codeLenInByte = 0
; NumSgprs: 6
; NumVgprs: 0
; NumAgprs: 0
; TotalNumVgprs: 0
; ScratchSize: 0
; MemoryBound: 0
; FloatMode: 240
; IeeeMode: 1
; LDSByteSize: 0 bytes/workgroup (compile time only)
; SGPRBlocks: 0
; VGPRBlocks: 0
; NumSGPRsForWavesPerEU: 6
; NumVGPRsForWavesPerEU: 1
; AccumOffset: 4
; Occupancy: 8
; WaveLimiterHint : 0
; COMPUTE_PGM_RSRC2:SCRATCH_EN: 0
; COMPUTE_PGM_RSRC2:USER_SGPR: 2
; COMPUTE_PGM_RSRC2:TRAP_HANDLER: 0
; COMPUTE_PGM_RSRC2:TGID_X_EN: 1
; COMPUTE_PGM_RSRC2:TGID_Y_EN: 0
; COMPUTE_PGM_RSRC2:TGID_Z_EN: 0
; COMPUTE_PGM_RSRC2:TIDIG_COMP_CNT: 0
; COMPUTE_PGM_RSRC3_GFX90A:ACCUM_OFFSET: 0
; COMPUTE_PGM_RSRC3_GFX90A:TG_SPLIT: 0
	.section	.text._ZN7rocprim17ROCPRIM_400000_NS6detail17trampoline_kernelINS0_14default_configENS1_25partition_config_selectorILNS1_17partition_subalgoE8ElNS0_10empty_typeEbEEZZNS1_14partition_implILS5_8ELb0ES3_jPlPS6_PKS6_NS0_5tupleIJS9_S6_EEENSD_IJSA_SA_EEENS0_18inequality_wrapperIZN2at6native12_GLOBAL__N_124unique_dim_cuda_templateImEESt5tupleIJNSH_6TensorESM_SM_EERKSM_lbbbEUlllE0_EEPmJS6_EEE10hipError_tPvRmT3_T4_T5_T6_T7_T9_mT8_P12ihipStream_tbDpT10_ENKUlT_T0_E_clISt17integral_constantIbLb1EES1C_EEDaS17_S18_EUlS17_E_NS1_11comp_targetILNS1_3genE8ELNS1_11target_archE1030ELNS1_3gpuE2ELNS1_3repE0EEENS1_30default_config_static_selectorELNS0_4arch9wavefront6targetE1EEEvT1_,"axG",@progbits,_ZN7rocprim17ROCPRIM_400000_NS6detail17trampoline_kernelINS0_14default_configENS1_25partition_config_selectorILNS1_17partition_subalgoE8ElNS0_10empty_typeEbEEZZNS1_14partition_implILS5_8ELb0ES3_jPlPS6_PKS6_NS0_5tupleIJS9_S6_EEENSD_IJSA_SA_EEENS0_18inequality_wrapperIZN2at6native12_GLOBAL__N_124unique_dim_cuda_templateImEESt5tupleIJNSH_6TensorESM_SM_EERKSM_lbbbEUlllE0_EEPmJS6_EEE10hipError_tPvRmT3_T4_T5_T6_T7_T9_mT8_P12ihipStream_tbDpT10_ENKUlT_T0_E_clISt17integral_constantIbLb1EES1C_EEDaS17_S18_EUlS17_E_NS1_11comp_targetILNS1_3genE8ELNS1_11target_archE1030ELNS1_3gpuE2ELNS1_3repE0EEENS1_30default_config_static_selectorELNS0_4arch9wavefront6targetE1EEEvT1_,comdat
	.globl	_ZN7rocprim17ROCPRIM_400000_NS6detail17trampoline_kernelINS0_14default_configENS1_25partition_config_selectorILNS1_17partition_subalgoE8ElNS0_10empty_typeEbEEZZNS1_14partition_implILS5_8ELb0ES3_jPlPS6_PKS6_NS0_5tupleIJS9_S6_EEENSD_IJSA_SA_EEENS0_18inequality_wrapperIZN2at6native12_GLOBAL__N_124unique_dim_cuda_templateImEESt5tupleIJNSH_6TensorESM_SM_EERKSM_lbbbEUlllE0_EEPmJS6_EEE10hipError_tPvRmT3_T4_T5_T6_T7_T9_mT8_P12ihipStream_tbDpT10_ENKUlT_T0_E_clISt17integral_constantIbLb1EES1C_EEDaS17_S18_EUlS17_E_NS1_11comp_targetILNS1_3genE8ELNS1_11target_archE1030ELNS1_3gpuE2ELNS1_3repE0EEENS1_30default_config_static_selectorELNS0_4arch9wavefront6targetE1EEEvT1_ ; -- Begin function _ZN7rocprim17ROCPRIM_400000_NS6detail17trampoline_kernelINS0_14default_configENS1_25partition_config_selectorILNS1_17partition_subalgoE8ElNS0_10empty_typeEbEEZZNS1_14partition_implILS5_8ELb0ES3_jPlPS6_PKS6_NS0_5tupleIJS9_S6_EEENSD_IJSA_SA_EEENS0_18inequality_wrapperIZN2at6native12_GLOBAL__N_124unique_dim_cuda_templateImEESt5tupleIJNSH_6TensorESM_SM_EERKSM_lbbbEUlllE0_EEPmJS6_EEE10hipError_tPvRmT3_T4_T5_T6_T7_T9_mT8_P12ihipStream_tbDpT10_ENKUlT_T0_E_clISt17integral_constantIbLb1EES1C_EEDaS17_S18_EUlS17_E_NS1_11comp_targetILNS1_3genE8ELNS1_11target_archE1030ELNS1_3gpuE2ELNS1_3repE0EEENS1_30default_config_static_selectorELNS0_4arch9wavefront6targetE1EEEvT1_
	.p2align	8
	.type	_ZN7rocprim17ROCPRIM_400000_NS6detail17trampoline_kernelINS0_14default_configENS1_25partition_config_selectorILNS1_17partition_subalgoE8ElNS0_10empty_typeEbEEZZNS1_14partition_implILS5_8ELb0ES3_jPlPS6_PKS6_NS0_5tupleIJS9_S6_EEENSD_IJSA_SA_EEENS0_18inequality_wrapperIZN2at6native12_GLOBAL__N_124unique_dim_cuda_templateImEESt5tupleIJNSH_6TensorESM_SM_EERKSM_lbbbEUlllE0_EEPmJS6_EEE10hipError_tPvRmT3_T4_T5_T6_T7_T9_mT8_P12ihipStream_tbDpT10_ENKUlT_T0_E_clISt17integral_constantIbLb1EES1C_EEDaS17_S18_EUlS17_E_NS1_11comp_targetILNS1_3genE8ELNS1_11target_archE1030ELNS1_3gpuE2ELNS1_3repE0EEENS1_30default_config_static_selectorELNS0_4arch9wavefront6targetE1EEEvT1_,@function
_ZN7rocprim17ROCPRIM_400000_NS6detail17trampoline_kernelINS0_14default_configENS1_25partition_config_selectorILNS1_17partition_subalgoE8ElNS0_10empty_typeEbEEZZNS1_14partition_implILS5_8ELb0ES3_jPlPS6_PKS6_NS0_5tupleIJS9_S6_EEENSD_IJSA_SA_EEENS0_18inequality_wrapperIZN2at6native12_GLOBAL__N_124unique_dim_cuda_templateImEESt5tupleIJNSH_6TensorESM_SM_EERKSM_lbbbEUlllE0_EEPmJS6_EEE10hipError_tPvRmT3_T4_T5_T6_T7_T9_mT8_P12ihipStream_tbDpT10_ENKUlT_T0_E_clISt17integral_constantIbLb1EES1C_EEDaS17_S18_EUlS17_E_NS1_11comp_targetILNS1_3genE8ELNS1_11target_archE1030ELNS1_3gpuE2ELNS1_3repE0EEENS1_30default_config_static_selectorELNS0_4arch9wavefront6targetE1EEEvT1_: ; @_ZN7rocprim17ROCPRIM_400000_NS6detail17trampoline_kernelINS0_14default_configENS1_25partition_config_selectorILNS1_17partition_subalgoE8ElNS0_10empty_typeEbEEZZNS1_14partition_implILS5_8ELb0ES3_jPlPS6_PKS6_NS0_5tupleIJS9_S6_EEENSD_IJSA_SA_EEENS0_18inequality_wrapperIZN2at6native12_GLOBAL__N_124unique_dim_cuda_templateImEESt5tupleIJNSH_6TensorESM_SM_EERKSM_lbbbEUlllE0_EEPmJS6_EEE10hipError_tPvRmT3_T4_T5_T6_T7_T9_mT8_P12ihipStream_tbDpT10_ENKUlT_T0_E_clISt17integral_constantIbLb1EES1C_EEDaS17_S18_EUlS17_E_NS1_11comp_targetILNS1_3genE8ELNS1_11target_archE1030ELNS1_3gpuE2ELNS1_3repE0EEENS1_30default_config_static_selectorELNS0_4arch9wavefront6targetE1EEEvT1_
; %bb.0:
	.section	.rodata,"a",@progbits
	.p2align	6, 0x0
	.amdhsa_kernel _ZN7rocprim17ROCPRIM_400000_NS6detail17trampoline_kernelINS0_14default_configENS1_25partition_config_selectorILNS1_17partition_subalgoE8ElNS0_10empty_typeEbEEZZNS1_14partition_implILS5_8ELb0ES3_jPlPS6_PKS6_NS0_5tupleIJS9_S6_EEENSD_IJSA_SA_EEENS0_18inequality_wrapperIZN2at6native12_GLOBAL__N_124unique_dim_cuda_templateImEESt5tupleIJNSH_6TensorESM_SM_EERKSM_lbbbEUlllE0_EEPmJS6_EEE10hipError_tPvRmT3_T4_T5_T6_T7_T9_mT8_P12ihipStream_tbDpT10_ENKUlT_T0_E_clISt17integral_constantIbLb1EES1C_EEDaS17_S18_EUlS17_E_NS1_11comp_targetILNS1_3genE8ELNS1_11target_archE1030ELNS1_3gpuE2ELNS1_3repE0EEENS1_30default_config_static_selectorELNS0_4arch9wavefront6targetE1EEEvT1_
		.amdhsa_group_segment_fixed_size 0
		.amdhsa_private_segment_fixed_size 0
		.amdhsa_kernarg_size 136
		.amdhsa_user_sgpr_count 2
		.amdhsa_user_sgpr_dispatch_ptr 0
		.amdhsa_user_sgpr_queue_ptr 0
		.amdhsa_user_sgpr_kernarg_segment_ptr 1
		.amdhsa_user_sgpr_dispatch_id 0
		.amdhsa_user_sgpr_kernarg_preload_length 0
		.amdhsa_user_sgpr_kernarg_preload_offset 0
		.amdhsa_user_sgpr_private_segment_size 0
		.amdhsa_uses_dynamic_stack 0
		.amdhsa_enable_private_segment 0
		.amdhsa_system_sgpr_workgroup_id_x 1
		.amdhsa_system_sgpr_workgroup_id_y 0
		.amdhsa_system_sgpr_workgroup_id_z 0
		.amdhsa_system_sgpr_workgroup_info 0
		.amdhsa_system_vgpr_workitem_id 0
		.amdhsa_next_free_vgpr 1
		.amdhsa_next_free_sgpr 0
		.amdhsa_accum_offset 4
		.amdhsa_reserve_vcc 0
		.amdhsa_float_round_mode_32 0
		.amdhsa_float_round_mode_16_64 0
		.amdhsa_float_denorm_mode_32 3
		.amdhsa_float_denorm_mode_16_64 3
		.amdhsa_dx10_clamp 1
		.amdhsa_ieee_mode 1
		.amdhsa_fp16_overflow 0
		.amdhsa_tg_split 0
		.amdhsa_exception_fp_ieee_invalid_op 0
		.amdhsa_exception_fp_denorm_src 0
		.amdhsa_exception_fp_ieee_div_zero 0
		.amdhsa_exception_fp_ieee_overflow 0
		.amdhsa_exception_fp_ieee_underflow 0
		.amdhsa_exception_fp_ieee_inexact 0
		.amdhsa_exception_int_div_zero 0
	.end_amdhsa_kernel
	.section	.text._ZN7rocprim17ROCPRIM_400000_NS6detail17trampoline_kernelINS0_14default_configENS1_25partition_config_selectorILNS1_17partition_subalgoE8ElNS0_10empty_typeEbEEZZNS1_14partition_implILS5_8ELb0ES3_jPlPS6_PKS6_NS0_5tupleIJS9_S6_EEENSD_IJSA_SA_EEENS0_18inequality_wrapperIZN2at6native12_GLOBAL__N_124unique_dim_cuda_templateImEESt5tupleIJNSH_6TensorESM_SM_EERKSM_lbbbEUlllE0_EEPmJS6_EEE10hipError_tPvRmT3_T4_T5_T6_T7_T9_mT8_P12ihipStream_tbDpT10_ENKUlT_T0_E_clISt17integral_constantIbLb1EES1C_EEDaS17_S18_EUlS17_E_NS1_11comp_targetILNS1_3genE8ELNS1_11target_archE1030ELNS1_3gpuE2ELNS1_3repE0EEENS1_30default_config_static_selectorELNS0_4arch9wavefront6targetE1EEEvT1_,"axG",@progbits,_ZN7rocprim17ROCPRIM_400000_NS6detail17trampoline_kernelINS0_14default_configENS1_25partition_config_selectorILNS1_17partition_subalgoE8ElNS0_10empty_typeEbEEZZNS1_14partition_implILS5_8ELb0ES3_jPlPS6_PKS6_NS0_5tupleIJS9_S6_EEENSD_IJSA_SA_EEENS0_18inequality_wrapperIZN2at6native12_GLOBAL__N_124unique_dim_cuda_templateImEESt5tupleIJNSH_6TensorESM_SM_EERKSM_lbbbEUlllE0_EEPmJS6_EEE10hipError_tPvRmT3_T4_T5_T6_T7_T9_mT8_P12ihipStream_tbDpT10_ENKUlT_T0_E_clISt17integral_constantIbLb1EES1C_EEDaS17_S18_EUlS17_E_NS1_11comp_targetILNS1_3genE8ELNS1_11target_archE1030ELNS1_3gpuE2ELNS1_3repE0EEENS1_30default_config_static_selectorELNS0_4arch9wavefront6targetE1EEEvT1_,comdat
.Lfunc_end1689:
	.size	_ZN7rocprim17ROCPRIM_400000_NS6detail17trampoline_kernelINS0_14default_configENS1_25partition_config_selectorILNS1_17partition_subalgoE8ElNS0_10empty_typeEbEEZZNS1_14partition_implILS5_8ELb0ES3_jPlPS6_PKS6_NS0_5tupleIJS9_S6_EEENSD_IJSA_SA_EEENS0_18inequality_wrapperIZN2at6native12_GLOBAL__N_124unique_dim_cuda_templateImEESt5tupleIJNSH_6TensorESM_SM_EERKSM_lbbbEUlllE0_EEPmJS6_EEE10hipError_tPvRmT3_T4_T5_T6_T7_T9_mT8_P12ihipStream_tbDpT10_ENKUlT_T0_E_clISt17integral_constantIbLb1EES1C_EEDaS17_S18_EUlS17_E_NS1_11comp_targetILNS1_3genE8ELNS1_11target_archE1030ELNS1_3gpuE2ELNS1_3repE0EEENS1_30default_config_static_selectorELNS0_4arch9wavefront6targetE1EEEvT1_, .Lfunc_end1689-_ZN7rocprim17ROCPRIM_400000_NS6detail17trampoline_kernelINS0_14default_configENS1_25partition_config_selectorILNS1_17partition_subalgoE8ElNS0_10empty_typeEbEEZZNS1_14partition_implILS5_8ELb0ES3_jPlPS6_PKS6_NS0_5tupleIJS9_S6_EEENSD_IJSA_SA_EEENS0_18inequality_wrapperIZN2at6native12_GLOBAL__N_124unique_dim_cuda_templateImEESt5tupleIJNSH_6TensorESM_SM_EERKSM_lbbbEUlllE0_EEPmJS6_EEE10hipError_tPvRmT3_T4_T5_T6_T7_T9_mT8_P12ihipStream_tbDpT10_ENKUlT_T0_E_clISt17integral_constantIbLb1EES1C_EEDaS17_S18_EUlS17_E_NS1_11comp_targetILNS1_3genE8ELNS1_11target_archE1030ELNS1_3gpuE2ELNS1_3repE0EEENS1_30default_config_static_selectorELNS0_4arch9wavefront6targetE1EEEvT1_
                                        ; -- End function
	.section	.AMDGPU.csdata,"",@progbits
; Kernel info:
; codeLenInByte = 0
; NumSgprs: 6
; NumVgprs: 0
; NumAgprs: 0
; TotalNumVgprs: 0
; ScratchSize: 0
; MemoryBound: 0
; FloatMode: 240
; IeeeMode: 1
; LDSByteSize: 0 bytes/workgroup (compile time only)
; SGPRBlocks: 0
; VGPRBlocks: 0
; NumSGPRsForWavesPerEU: 6
; NumVGPRsForWavesPerEU: 1
; AccumOffset: 4
; Occupancy: 8
; WaveLimiterHint : 0
; COMPUTE_PGM_RSRC2:SCRATCH_EN: 0
; COMPUTE_PGM_RSRC2:USER_SGPR: 2
; COMPUTE_PGM_RSRC2:TRAP_HANDLER: 0
; COMPUTE_PGM_RSRC2:TGID_X_EN: 1
; COMPUTE_PGM_RSRC2:TGID_Y_EN: 0
; COMPUTE_PGM_RSRC2:TGID_Z_EN: 0
; COMPUTE_PGM_RSRC2:TIDIG_COMP_CNT: 0
; COMPUTE_PGM_RSRC3_GFX90A:ACCUM_OFFSET: 0
; COMPUTE_PGM_RSRC3_GFX90A:TG_SPLIT: 0
	.section	.text._ZN7rocprim17ROCPRIM_400000_NS6detail17trampoline_kernelINS0_14default_configENS1_25partition_config_selectorILNS1_17partition_subalgoE8ElNS0_10empty_typeEbEEZZNS1_14partition_implILS5_8ELb0ES3_jPlPS6_PKS6_NS0_5tupleIJS9_S6_EEENSD_IJSA_SA_EEENS0_18inequality_wrapperIZN2at6native12_GLOBAL__N_124unique_dim_cuda_templateImEESt5tupleIJNSH_6TensorESM_SM_EERKSM_lbbbEUlllE0_EEPmJS6_EEE10hipError_tPvRmT3_T4_T5_T6_T7_T9_mT8_P12ihipStream_tbDpT10_ENKUlT_T0_E_clISt17integral_constantIbLb1EES1B_IbLb0EEEEDaS17_S18_EUlS17_E_NS1_11comp_targetILNS1_3genE0ELNS1_11target_archE4294967295ELNS1_3gpuE0ELNS1_3repE0EEENS1_30default_config_static_selectorELNS0_4arch9wavefront6targetE1EEEvT1_,"axG",@progbits,_ZN7rocprim17ROCPRIM_400000_NS6detail17trampoline_kernelINS0_14default_configENS1_25partition_config_selectorILNS1_17partition_subalgoE8ElNS0_10empty_typeEbEEZZNS1_14partition_implILS5_8ELb0ES3_jPlPS6_PKS6_NS0_5tupleIJS9_S6_EEENSD_IJSA_SA_EEENS0_18inequality_wrapperIZN2at6native12_GLOBAL__N_124unique_dim_cuda_templateImEESt5tupleIJNSH_6TensorESM_SM_EERKSM_lbbbEUlllE0_EEPmJS6_EEE10hipError_tPvRmT3_T4_T5_T6_T7_T9_mT8_P12ihipStream_tbDpT10_ENKUlT_T0_E_clISt17integral_constantIbLb1EES1B_IbLb0EEEEDaS17_S18_EUlS17_E_NS1_11comp_targetILNS1_3genE0ELNS1_11target_archE4294967295ELNS1_3gpuE0ELNS1_3repE0EEENS1_30default_config_static_selectorELNS0_4arch9wavefront6targetE1EEEvT1_,comdat
	.globl	_ZN7rocprim17ROCPRIM_400000_NS6detail17trampoline_kernelINS0_14default_configENS1_25partition_config_selectorILNS1_17partition_subalgoE8ElNS0_10empty_typeEbEEZZNS1_14partition_implILS5_8ELb0ES3_jPlPS6_PKS6_NS0_5tupleIJS9_S6_EEENSD_IJSA_SA_EEENS0_18inequality_wrapperIZN2at6native12_GLOBAL__N_124unique_dim_cuda_templateImEESt5tupleIJNSH_6TensorESM_SM_EERKSM_lbbbEUlllE0_EEPmJS6_EEE10hipError_tPvRmT3_T4_T5_T6_T7_T9_mT8_P12ihipStream_tbDpT10_ENKUlT_T0_E_clISt17integral_constantIbLb1EES1B_IbLb0EEEEDaS17_S18_EUlS17_E_NS1_11comp_targetILNS1_3genE0ELNS1_11target_archE4294967295ELNS1_3gpuE0ELNS1_3repE0EEENS1_30default_config_static_selectorELNS0_4arch9wavefront6targetE1EEEvT1_ ; -- Begin function _ZN7rocprim17ROCPRIM_400000_NS6detail17trampoline_kernelINS0_14default_configENS1_25partition_config_selectorILNS1_17partition_subalgoE8ElNS0_10empty_typeEbEEZZNS1_14partition_implILS5_8ELb0ES3_jPlPS6_PKS6_NS0_5tupleIJS9_S6_EEENSD_IJSA_SA_EEENS0_18inequality_wrapperIZN2at6native12_GLOBAL__N_124unique_dim_cuda_templateImEESt5tupleIJNSH_6TensorESM_SM_EERKSM_lbbbEUlllE0_EEPmJS6_EEE10hipError_tPvRmT3_T4_T5_T6_T7_T9_mT8_P12ihipStream_tbDpT10_ENKUlT_T0_E_clISt17integral_constantIbLb1EES1B_IbLb0EEEEDaS17_S18_EUlS17_E_NS1_11comp_targetILNS1_3genE0ELNS1_11target_archE4294967295ELNS1_3gpuE0ELNS1_3repE0EEENS1_30default_config_static_selectorELNS0_4arch9wavefront6targetE1EEEvT1_
	.p2align	8
	.type	_ZN7rocprim17ROCPRIM_400000_NS6detail17trampoline_kernelINS0_14default_configENS1_25partition_config_selectorILNS1_17partition_subalgoE8ElNS0_10empty_typeEbEEZZNS1_14partition_implILS5_8ELb0ES3_jPlPS6_PKS6_NS0_5tupleIJS9_S6_EEENSD_IJSA_SA_EEENS0_18inequality_wrapperIZN2at6native12_GLOBAL__N_124unique_dim_cuda_templateImEESt5tupleIJNSH_6TensorESM_SM_EERKSM_lbbbEUlllE0_EEPmJS6_EEE10hipError_tPvRmT3_T4_T5_T6_T7_T9_mT8_P12ihipStream_tbDpT10_ENKUlT_T0_E_clISt17integral_constantIbLb1EES1B_IbLb0EEEEDaS17_S18_EUlS17_E_NS1_11comp_targetILNS1_3genE0ELNS1_11target_archE4294967295ELNS1_3gpuE0ELNS1_3repE0EEENS1_30default_config_static_selectorELNS0_4arch9wavefront6targetE1EEEvT1_,@function
_ZN7rocprim17ROCPRIM_400000_NS6detail17trampoline_kernelINS0_14default_configENS1_25partition_config_selectorILNS1_17partition_subalgoE8ElNS0_10empty_typeEbEEZZNS1_14partition_implILS5_8ELb0ES3_jPlPS6_PKS6_NS0_5tupleIJS9_S6_EEENSD_IJSA_SA_EEENS0_18inequality_wrapperIZN2at6native12_GLOBAL__N_124unique_dim_cuda_templateImEESt5tupleIJNSH_6TensorESM_SM_EERKSM_lbbbEUlllE0_EEPmJS6_EEE10hipError_tPvRmT3_T4_T5_T6_T7_T9_mT8_P12ihipStream_tbDpT10_ENKUlT_T0_E_clISt17integral_constantIbLb1EES1B_IbLb0EEEEDaS17_S18_EUlS17_E_NS1_11comp_targetILNS1_3genE0ELNS1_11target_archE4294967295ELNS1_3gpuE0ELNS1_3repE0EEENS1_30default_config_static_selectorELNS0_4arch9wavefront6targetE1EEEvT1_: ; @_ZN7rocprim17ROCPRIM_400000_NS6detail17trampoline_kernelINS0_14default_configENS1_25partition_config_selectorILNS1_17partition_subalgoE8ElNS0_10empty_typeEbEEZZNS1_14partition_implILS5_8ELb0ES3_jPlPS6_PKS6_NS0_5tupleIJS9_S6_EEENSD_IJSA_SA_EEENS0_18inequality_wrapperIZN2at6native12_GLOBAL__N_124unique_dim_cuda_templateImEESt5tupleIJNSH_6TensorESM_SM_EERKSM_lbbbEUlllE0_EEPmJS6_EEE10hipError_tPvRmT3_T4_T5_T6_T7_T9_mT8_P12ihipStream_tbDpT10_ENKUlT_T0_E_clISt17integral_constantIbLb1EES1B_IbLb0EEEEDaS17_S18_EUlS17_E_NS1_11comp_targetILNS1_3genE0ELNS1_11target_archE4294967295ELNS1_3gpuE0ELNS1_3repE0EEENS1_30default_config_static_selectorELNS0_4arch9wavefront6targetE1EEEvT1_
; %bb.0:
	.section	.rodata,"a",@progbits
	.p2align	6, 0x0
	.amdhsa_kernel _ZN7rocprim17ROCPRIM_400000_NS6detail17trampoline_kernelINS0_14default_configENS1_25partition_config_selectorILNS1_17partition_subalgoE8ElNS0_10empty_typeEbEEZZNS1_14partition_implILS5_8ELb0ES3_jPlPS6_PKS6_NS0_5tupleIJS9_S6_EEENSD_IJSA_SA_EEENS0_18inequality_wrapperIZN2at6native12_GLOBAL__N_124unique_dim_cuda_templateImEESt5tupleIJNSH_6TensorESM_SM_EERKSM_lbbbEUlllE0_EEPmJS6_EEE10hipError_tPvRmT3_T4_T5_T6_T7_T9_mT8_P12ihipStream_tbDpT10_ENKUlT_T0_E_clISt17integral_constantIbLb1EES1B_IbLb0EEEEDaS17_S18_EUlS17_E_NS1_11comp_targetILNS1_3genE0ELNS1_11target_archE4294967295ELNS1_3gpuE0ELNS1_3repE0EEENS1_30default_config_static_selectorELNS0_4arch9wavefront6targetE1EEEvT1_
		.amdhsa_group_segment_fixed_size 0
		.amdhsa_private_segment_fixed_size 0
		.amdhsa_kernarg_size 120
		.amdhsa_user_sgpr_count 2
		.amdhsa_user_sgpr_dispatch_ptr 0
		.amdhsa_user_sgpr_queue_ptr 0
		.amdhsa_user_sgpr_kernarg_segment_ptr 1
		.amdhsa_user_sgpr_dispatch_id 0
		.amdhsa_user_sgpr_kernarg_preload_length 0
		.amdhsa_user_sgpr_kernarg_preload_offset 0
		.amdhsa_user_sgpr_private_segment_size 0
		.amdhsa_uses_dynamic_stack 0
		.amdhsa_enable_private_segment 0
		.amdhsa_system_sgpr_workgroup_id_x 1
		.amdhsa_system_sgpr_workgroup_id_y 0
		.amdhsa_system_sgpr_workgroup_id_z 0
		.amdhsa_system_sgpr_workgroup_info 0
		.amdhsa_system_vgpr_workitem_id 0
		.amdhsa_next_free_vgpr 1
		.amdhsa_next_free_sgpr 0
		.amdhsa_accum_offset 4
		.amdhsa_reserve_vcc 0
		.amdhsa_float_round_mode_32 0
		.amdhsa_float_round_mode_16_64 0
		.amdhsa_float_denorm_mode_32 3
		.amdhsa_float_denorm_mode_16_64 3
		.amdhsa_dx10_clamp 1
		.amdhsa_ieee_mode 1
		.amdhsa_fp16_overflow 0
		.amdhsa_tg_split 0
		.amdhsa_exception_fp_ieee_invalid_op 0
		.amdhsa_exception_fp_denorm_src 0
		.amdhsa_exception_fp_ieee_div_zero 0
		.amdhsa_exception_fp_ieee_overflow 0
		.amdhsa_exception_fp_ieee_underflow 0
		.amdhsa_exception_fp_ieee_inexact 0
		.amdhsa_exception_int_div_zero 0
	.end_amdhsa_kernel
	.section	.text._ZN7rocprim17ROCPRIM_400000_NS6detail17trampoline_kernelINS0_14default_configENS1_25partition_config_selectorILNS1_17partition_subalgoE8ElNS0_10empty_typeEbEEZZNS1_14partition_implILS5_8ELb0ES3_jPlPS6_PKS6_NS0_5tupleIJS9_S6_EEENSD_IJSA_SA_EEENS0_18inequality_wrapperIZN2at6native12_GLOBAL__N_124unique_dim_cuda_templateImEESt5tupleIJNSH_6TensorESM_SM_EERKSM_lbbbEUlllE0_EEPmJS6_EEE10hipError_tPvRmT3_T4_T5_T6_T7_T9_mT8_P12ihipStream_tbDpT10_ENKUlT_T0_E_clISt17integral_constantIbLb1EES1B_IbLb0EEEEDaS17_S18_EUlS17_E_NS1_11comp_targetILNS1_3genE0ELNS1_11target_archE4294967295ELNS1_3gpuE0ELNS1_3repE0EEENS1_30default_config_static_selectorELNS0_4arch9wavefront6targetE1EEEvT1_,"axG",@progbits,_ZN7rocprim17ROCPRIM_400000_NS6detail17trampoline_kernelINS0_14default_configENS1_25partition_config_selectorILNS1_17partition_subalgoE8ElNS0_10empty_typeEbEEZZNS1_14partition_implILS5_8ELb0ES3_jPlPS6_PKS6_NS0_5tupleIJS9_S6_EEENSD_IJSA_SA_EEENS0_18inequality_wrapperIZN2at6native12_GLOBAL__N_124unique_dim_cuda_templateImEESt5tupleIJNSH_6TensorESM_SM_EERKSM_lbbbEUlllE0_EEPmJS6_EEE10hipError_tPvRmT3_T4_T5_T6_T7_T9_mT8_P12ihipStream_tbDpT10_ENKUlT_T0_E_clISt17integral_constantIbLb1EES1B_IbLb0EEEEDaS17_S18_EUlS17_E_NS1_11comp_targetILNS1_3genE0ELNS1_11target_archE4294967295ELNS1_3gpuE0ELNS1_3repE0EEENS1_30default_config_static_selectorELNS0_4arch9wavefront6targetE1EEEvT1_,comdat
.Lfunc_end1690:
	.size	_ZN7rocprim17ROCPRIM_400000_NS6detail17trampoline_kernelINS0_14default_configENS1_25partition_config_selectorILNS1_17partition_subalgoE8ElNS0_10empty_typeEbEEZZNS1_14partition_implILS5_8ELb0ES3_jPlPS6_PKS6_NS0_5tupleIJS9_S6_EEENSD_IJSA_SA_EEENS0_18inequality_wrapperIZN2at6native12_GLOBAL__N_124unique_dim_cuda_templateImEESt5tupleIJNSH_6TensorESM_SM_EERKSM_lbbbEUlllE0_EEPmJS6_EEE10hipError_tPvRmT3_T4_T5_T6_T7_T9_mT8_P12ihipStream_tbDpT10_ENKUlT_T0_E_clISt17integral_constantIbLb1EES1B_IbLb0EEEEDaS17_S18_EUlS17_E_NS1_11comp_targetILNS1_3genE0ELNS1_11target_archE4294967295ELNS1_3gpuE0ELNS1_3repE0EEENS1_30default_config_static_selectorELNS0_4arch9wavefront6targetE1EEEvT1_, .Lfunc_end1690-_ZN7rocprim17ROCPRIM_400000_NS6detail17trampoline_kernelINS0_14default_configENS1_25partition_config_selectorILNS1_17partition_subalgoE8ElNS0_10empty_typeEbEEZZNS1_14partition_implILS5_8ELb0ES3_jPlPS6_PKS6_NS0_5tupleIJS9_S6_EEENSD_IJSA_SA_EEENS0_18inequality_wrapperIZN2at6native12_GLOBAL__N_124unique_dim_cuda_templateImEESt5tupleIJNSH_6TensorESM_SM_EERKSM_lbbbEUlllE0_EEPmJS6_EEE10hipError_tPvRmT3_T4_T5_T6_T7_T9_mT8_P12ihipStream_tbDpT10_ENKUlT_T0_E_clISt17integral_constantIbLb1EES1B_IbLb0EEEEDaS17_S18_EUlS17_E_NS1_11comp_targetILNS1_3genE0ELNS1_11target_archE4294967295ELNS1_3gpuE0ELNS1_3repE0EEENS1_30default_config_static_selectorELNS0_4arch9wavefront6targetE1EEEvT1_
                                        ; -- End function
	.section	.AMDGPU.csdata,"",@progbits
; Kernel info:
; codeLenInByte = 0
; NumSgprs: 6
; NumVgprs: 0
; NumAgprs: 0
; TotalNumVgprs: 0
; ScratchSize: 0
; MemoryBound: 0
; FloatMode: 240
; IeeeMode: 1
; LDSByteSize: 0 bytes/workgroup (compile time only)
; SGPRBlocks: 0
; VGPRBlocks: 0
; NumSGPRsForWavesPerEU: 6
; NumVGPRsForWavesPerEU: 1
; AccumOffset: 4
; Occupancy: 8
; WaveLimiterHint : 0
; COMPUTE_PGM_RSRC2:SCRATCH_EN: 0
; COMPUTE_PGM_RSRC2:USER_SGPR: 2
; COMPUTE_PGM_RSRC2:TRAP_HANDLER: 0
; COMPUTE_PGM_RSRC2:TGID_X_EN: 1
; COMPUTE_PGM_RSRC2:TGID_Y_EN: 0
; COMPUTE_PGM_RSRC2:TGID_Z_EN: 0
; COMPUTE_PGM_RSRC2:TIDIG_COMP_CNT: 0
; COMPUTE_PGM_RSRC3_GFX90A:ACCUM_OFFSET: 0
; COMPUTE_PGM_RSRC3_GFX90A:TG_SPLIT: 0
	.section	.text._ZN7rocprim17ROCPRIM_400000_NS6detail17trampoline_kernelINS0_14default_configENS1_25partition_config_selectorILNS1_17partition_subalgoE8ElNS0_10empty_typeEbEEZZNS1_14partition_implILS5_8ELb0ES3_jPlPS6_PKS6_NS0_5tupleIJS9_S6_EEENSD_IJSA_SA_EEENS0_18inequality_wrapperIZN2at6native12_GLOBAL__N_124unique_dim_cuda_templateImEESt5tupleIJNSH_6TensorESM_SM_EERKSM_lbbbEUlllE0_EEPmJS6_EEE10hipError_tPvRmT3_T4_T5_T6_T7_T9_mT8_P12ihipStream_tbDpT10_ENKUlT_T0_E_clISt17integral_constantIbLb1EES1B_IbLb0EEEEDaS17_S18_EUlS17_E_NS1_11comp_targetILNS1_3genE5ELNS1_11target_archE942ELNS1_3gpuE9ELNS1_3repE0EEENS1_30default_config_static_selectorELNS0_4arch9wavefront6targetE1EEEvT1_,"axG",@progbits,_ZN7rocprim17ROCPRIM_400000_NS6detail17trampoline_kernelINS0_14default_configENS1_25partition_config_selectorILNS1_17partition_subalgoE8ElNS0_10empty_typeEbEEZZNS1_14partition_implILS5_8ELb0ES3_jPlPS6_PKS6_NS0_5tupleIJS9_S6_EEENSD_IJSA_SA_EEENS0_18inequality_wrapperIZN2at6native12_GLOBAL__N_124unique_dim_cuda_templateImEESt5tupleIJNSH_6TensorESM_SM_EERKSM_lbbbEUlllE0_EEPmJS6_EEE10hipError_tPvRmT3_T4_T5_T6_T7_T9_mT8_P12ihipStream_tbDpT10_ENKUlT_T0_E_clISt17integral_constantIbLb1EES1B_IbLb0EEEEDaS17_S18_EUlS17_E_NS1_11comp_targetILNS1_3genE5ELNS1_11target_archE942ELNS1_3gpuE9ELNS1_3repE0EEENS1_30default_config_static_selectorELNS0_4arch9wavefront6targetE1EEEvT1_,comdat
	.globl	_ZN7rocprim17ROCPRIM_400000_NS6detail17trampoline_kernelINS0_14default_configENS1_25partition_config_selectorILNS1_17partition_subalgoE8ElNS0_10empty_typeEbEEZZNS1_14partition_implILS5_8ELb0ES3_jPlPS6_PKS6_NS0_5tupleIJS9_S6_EEENSD_IJSA_SA_EEENS0_18inequality_wrapperIZN2at6native12_GLOBAL__N_124unique_dim_cuda_templateImEESt5tupleIJNSH_6TensorESM_SM_EERKSM_lbbbEUlllE0_EEPmJS6_EEE10hipError_tPvRmT3_T4_T5_T6_T7_T9_mT8_P12ihipStream_tbDpT10_ENKUlT_T0_E_clISt17integral_constantIbLb1EES1B_IbLb0EEEEDaS17_S18_EUlS17_E_NS1_11comp_targetILNS1_3genE5ELNS1_11target_archE942ELNS1_3gpuE9ELNS1_3repE0EEENS1_30default_config_static_selectorELNS0_4arch9wavefront6targetE1EEEvT1_ ; -- Begin function _ZN7rocprim17ROCPRIM_400000_NS6detail17trampoline_kernelINS0_14default_configENS1_25partition_config_selectorILNS1_17partition_subalgoE8ElNS0_10empty_typeEbEEZZNS1_14partition_implILS5_8ELb0ES3_jPlPS6_PKS6_NS0_5tupleIJS9_S6_EEENSD_IJSA_SA_EEENS0_18inequality_wrapperIZN2at6native12_GLOBAL__N_124unique_dim_cuda_templateImEESt5tupleIJNSH_6TensorESM_SM_EERKSM_lbbbEUlllE0_EEPmJS6_EEE10hipError_tPvRmT3_T4_T5_T6_T7_T9_mT8_P12ihipStream_tbDpT10_ENKUlT_T0_E_clISt17integral_constantIbLb1EES1B_IbLb0EEEEDaS17_S18_EUlS17_E_NS1_11comp_targetILNS1_3genE5ELNS1_11target_archE942ELNS1_3gpuE9ELNS1_3repE0EEENS1_30default_config_static_selectorELNS0_4arch9wavefront6targetE1EEEvT1_
	.p2align	8
	.type	_ZN7rocprim17ROCPRIM_400000_NS6detail17trampoline_kernelINS0_14default_configENS1_25partition_config_selectorILNS1_17partition_subalgoE8ElNS0_10empty_typeEbEEZZNS1_14partition_implILS5_8ELb0ES3_jPlPS6_PKS6_NS0_5tupleIJS9_S6_EEENSD_IJSA_SA_EEENS0_18inequality_wrapperIZN2at6native12_GLOBAL__N_124unique_dim_cuda_templateImEESt5tupleIJNSH_6TensorESM_SM_EERKSM_lbbbEUlllE0_EEPmJS6_EEE10hipError_tPvRmT3_T4_T5_T6_T7_T9_mT8_P12ihipStream_tbDpT10_ENKUlT_T0_E_clISt17integral_constantIbLb1EES1B_IbLb0EEEEDaS17_S18_EUlS17_E_NS1_11comp_targetILNS1_3genE5ELNS1_11target_archE942ELNS1_3gpuE9ELNS1_3repE0EEENS1_30default_config_static_selectorELNS0_4arch9wavefront6targetE1EEEvT1_,@function
_ZN7rocprim17ROCPRIM_400000_NS6detail17trampoline_kernelINS0_14default_configENS1_25partition_config_selectorILNS1_17partition_subalgoE8ElNS0_10empty_typeEbEEZZNS1_14partition_implILS5_8ELb0ES3_jPlPS6_PKS6_NS0_5tupleIJS9_S6_EEENSD_IJSA_SA_EEENS0_18inequality_wrapperIZN2at6native12_GLOBAL__N_124unique_dim_cuda_templateImEESt5tupleIJNSH_6TensorESM_SM_EERKSM_lbbbEUlllE0_EEPmJS6_EEE10hipError_tPvRmT3_T4_T5_T6_T7_T9_mT8_P12ihipStream_tbDpT10_ENKUlT_T0_E_clISt17integral_constantIbLb1EES1B_IbLb0EEEEDaS17_S18_EUlS17_E_NS1_11comp_targetILNS1_3genE5ELNS1_11target_archE942ELNS1_3gpuE9ELNS1_3repE0EEENS1_30default_config_static_selectorELNS0_4arch9wavefront6targetE1EEEvT1_: ; @_ZN7rocprim17ROCPRIM_400000_NS6detail17trampoline_kernelINS0_14default_configENS1_25partition_config_selectorILNS1_17partition_subalgoE8ElNS0_10empty_typeEbEEZZNS1_14partition_implILS5_8ELb0ES3_jPlPS6_PKS6_NS0_5tupleIJS9_S6_EEENSD_IJSA_SA_EEENS0_18inequality_wrapperIZN2at6native12_GLOBAL__N_124unique_dim_cuda_templateImEESt5tupleIJNSH_6TensorESM_SM_EERKSM_lbbbEUlllE0_EEPmJS6_EEE10hipError_tPvRmT3_T4_T5_T6_T7_T9_mT8_P12ihipStream_tbDpT10_ENKUlT_T0_E_clISt17integral_constantIbLb1EES1B_IbLb0EEEEDaS17_S18_EUlS17_E_NS1_11comp_targetILNS1_3genE5ELNS1_11target_archE942ELNS1_3gpuE9ELNS1_3repE0EEENS1_30default_config_static_selectorELNS0_4arch9wavefront6targetE1EEEvT1_
; %bb.0:
	s_load_dwordx8 s[20:27], s[0:1], 0x40
	s_load_dwordx4 s[4:7], s[0:1], 0x8
	s_load_dwordx4 s[28:31], s[0:1], 0x60
	s_load_dword s3, s[0:1], 0x70
	s_waitcnt lgkmcnt(0)
	v_mov_b32_e32 v2, s24
	s_lshl_b64 s[8:9], s[6:7], 3
	s_add_u32 s12, s4, s8
	s_mul_i32 s8, s3, 0xe00
	s_addc_u32 s13, s5, s9
	s_add_i32 s10, s3, -1
	s_add_i32 s3, s8, s6
	s_sub_i32 s3, s24, s3
	s_add_u32 s8, s6, s8
	s_addc_u32 s9, s7, 0
	v_mov_b32_e32 v3, s25
	s_cmp_eq_u32 s2, s10
	s_load_dwordx2 s[22:23], s[22:23], 0x0
	v_cmp_ge_u64_e32 vcc, s[8:9], v[2:3]
	s_cselect_b64 s[24:25], -1, 0
	s_mul_i32 s4, s2, 0xe00
	s_mov_b32 s5, 0
	s_and_b64 s[8:9], s[24:25], vcc
	s_xor_b64 s[34:35], s[8:9], -1
	s_lshl_b64 s[4:5], s[4:5], 3
	s_add_u32 s4, s12, s4
	s_mov_b64 s[10:11], -1
	s_addc_u32 s5, s13, s5
	s_and_b64 vcc, exec, s[34:35]
	s_cbranch_vccz .LBB1691_2
; %bb.1:
	v_lshlrev_b32_e32 v2, 3, v0
	v_mov_b32_e32 v3, 0
	v_lshl_add_u64 v[4:5], s[4:5], 0, v[2:3]
	v_add_co_u32_e32 v8, vcc, 0x1000, v4
	global_load_dwordx2 v[6:7], v2, s[4:5]
	s_nop 0
	v_addc_co_u32_e32 v9, vcc, 0, v5, vcc
	v_add_co_u32_e32 v10, vcc, 0x2000, v4
	s_mov_b64 s[10:11], 0
	s_nop 0
	v_addc_co_u32_e32 v11, vcc, 0, v5, vcc
	v_add_co_u32_e32 v12, vcc, 0x3000, v4
	s_nop 1
	v_addc_co_u32_e32 v13, vcc, 0, v5, vcc
	v_add_co_u32_e32 v14, vcc, 0x4000, v4
	s_nop 1
	v_addc_co_u32_e32 v15, vcc, 0, v5, vcc
	global_load_dwordx2 v[16:17], v[8:9], off
	global_load_dwordx2 v[18:19], v[10:11], off
	;; [unrolled: 1-line block ×4, first 2 shown]
	v_add_co_u32_e32 v8, vcc, 0x5000, v4
	s_nop 1
	v_addc_co_u32_e32 v9, vcc, 0, v5, vcc
	v_add_co_u32_e32 v4, vcc, 0x6000, v4
	global_load_dwordx2 v[8:9], v[8:9], off
	s_nop 0
	v_addc_co_u32_e32 v5, vcc, 0, v5, vcc
	global_load_dwordx2 v[4:5], v[4:5], off
	s_waitcnt vmcnt(5)
	ds_write2st64_b64 v2, v[6:7], v[16:17] offset1:8
	s_waitcnt vmcnt(3)
	ds_write2st64_b64 v2, v[18:19], v[20:21] offset0:16 offset1:24
	s_waitcnt vmcnt(1)
	ds_write2st64_b64 v2, v[22:23], v[8:9] offset0:32 offset1:40
	s_waitcnt vmcnt(0)
	ds_write_b64 v2, v[4:5] offset:24576
	s_waitcnt lgkmcnt(0)
	s_barrier
.LBB1691_2:
	s_andn2_b64 vcc, exec, s[10:11]
	s_addk_i32 s3, 0xe00
	s_cbranch_vccnz .LBB1691_18
; %bb.3:
	v_cmp_gt_u32_e32 vcc, s3, v0
                                        ; implicit-def: $vgpr2_vgpr3_vgpr4_vgpr5_vgpr6_vgpr7_vgpr8_vgpr9_vgpr10_vgpr11_vgpr12_vgpr13_vgpr14_vgpr15_vgpr16_vgpr17
	s_and_saveexec_b64 s[10:11], vcc
	s_cbranch_execz .LBB1691_5
; %bb.4:
	v_lshlrev_b32_e32 v1, 3, v0
	global_load_dwordx2 v[2:3], v1, s[4:5]
.LBB1691_5:
	s_or_b64 exec, exec, s[10:11]
	v_or_b32_e32 v1, 0x200, v0
	v_cmp_gt_u32_e32 vcc, s3, v1
	s_and_saveexec_b64 s[10:11], vcc
	s_cbranch_execz .LBB1691_7
; %bb.6:
	v_lshlrev_b32_e32 v1, 3, v1
	global_load_dwordx2 v[4:5], v1, s[4:5]
.LBB1691_7:
	s_or_b64 exec, exec, s[10:11]
	v_or_b32_e32 v1, 0x400, v0
	v_cmp_gt_u32_e32 vcc, s3, v1
	s_and_saveexec_b64 s[10:11], vcc
	s_cbranch_execz .LBB1691_9
; %bb.8:
	v_lshlrev_b32_e32 v1, 3, v1
	global_load_dwordx2 v[6:7], v1, s[4:5]
.LBB1691_9:
	s_or_b64 exec, exec, s[10:11]
	v_or_b32_e32 v1, 0x600, v0
	v_cmp_gt_u32_e32 vcc, s3, v1
	s_and_saveexec_b64 s[10:11], vcc
	s_cbranch_execz .LBB1691_11
; %bb.10:
	v_lshlrev_b32_e32 v1, 3, v1
	global_load_dwordx2 v[8:9], v1, s[4:5]
.LBB1691_11:
	s_or_b64 exec, exec, s[10:11]
	v_or_b32_e32 v1, 0x800, v0
	v_cmp_gt_u32_e32 vcc, s3, v1
	s_and_saveexec_b64 s[10:11], vcc
	s_cbranch_execz .LBB1691_13
; %bb.12:
	v_lshlrev_b32_e32 v1, 3, v1
	global_load_dwordx2 v[10:11], v1, s[4:5]
.LBB1691_13:
	s_or_b64 exec, exec, s[10:11]
	v_or_b32_e32 v1, 0xa00, v0
	v_cmp_gt_u32_e32 vcc, s3, v1
	s_and_saveexec_b64 s[10:11], vcc
	s_cbranch_execz .LBB1691_15
; %bb.14:
	v_lshlrev_b32_e32 v1, 3, v1
	global_load_dwordx2 v[12:13], v1, s[4:5]
.LBB1691_15:
	s_or_b64 exec, exec, s[10:11]
	v_or_b32_e32 v1, 0xc00, v0
	v_cmp_gt_u32_e32 vcc, s3, v1
	s_and_saveexec_b64 s[10:11], vcc
	s_cbranch_execz .LBB1691_17
; %bb.16:
	v_lshlrev_b32_e32 v1, 3, v1
	global_load_dwordx2 v[14:15], v1, s[4:5]
.LBB1691_17:
	s_or_b64 exec, exec, s[10:11]
	v_lshlrev_b32_e32 v1, 3, v0
	s_waitcnt vmcnt(0)
	ds_write2st64_b64 v1, v[2:3], v[4:5] offset1:8
	ds_write2st64_b64 v1, v[6:7], v[8:9] offset0:16 offset1:24
	ds_write2st64_b64 v1, v[10:11], v[12:13] offset0:32 offset1:40
	ds_write_b64 v1, v[14:15] offset:24576
	s_waitcnt lgkmcnt(0)
	s_barrier
.LBB1691_18:
	v_mul_u32_u24_e32 v1, 7, v0
	v_lshlrev_b32_e32 v30, 3, v1
	s_waitcnt lgkmcnt(0)
	ds_read2_b64 v[10:13], v30 offset1:1
	ds_read2_b64 v[6:9], v30 offset0:2 offset1:3
	ds_read2_b64 v[2:5], v30 offset0:4 offset1:5
	ds_read_b64 v[14:15], v30 offset:48
	s_cmp_lg_u32 s2, 0
	s_cselect_b64 s[16:17], -1, 0
	s_cmp_lg_u64 s[6:7], 0
	s_cselect_b64 s[6:7], -1, 0
	s_or_b64 s[6:7], s[16:17], s[6:7]
	v_mad_u32_u24 v25, v0, 7, 1
	v_mad_u32_u24 v24, v0, 7, 2
	;; [unrolled: 1-line block ×6, first 2 shown]
	s_mov_b64 s[10:11], 0
	s_and_b64 vcc, exec, s[6:7]
	v_cmp_gt_i64_e64 s[12:13], s[26:27], 0
	s_waitcnt lgkmcnt(0)
	s_barrier
	s_cbranch_vccz .LBB1691_27
; %bb.19:
	s_add_u32 s4, s4, -8
	s_addc_u32 s5, s5, -1
	s_load_dwordx2 s[6:7], s[4:5], 0x0
	v_cndmask_b32_e64 v16, 0, 1, s[12:13]
	v_lshlrev_b32_e32 v31, 3, v0
	s_and_b64 vcc, exec, s[34:35]
	v_cmp_ne_u32_e64 s[4:5], 1, v16
	ds_write_b64 v31, v[14:15]
	s_cbranch_vccz .LBB1691_29
; %bb.20:
	v_mul_lo_u32 v18, v5, s26
	v_mul_lo_u32 v19, v4, s27
	v_mad_u64_u32 v[16:17], s[12:13], v4, s26, 0
	v_add3_u32 v17, v17, v19, v18
	s_and_b64 vcc, exec, s[4:5]
	v_lshl_add_u64 v[16:17], v[16:17], 3, s[28:29]
	s_cbranch_vccnz .LBB1691_32
; %bb.21:
	v_mul_lo_u32 v20, v15, s26
	v_mul_lo_u32 v21, v14, s27
	v_mad_u64_u32 v[18:19], s[10:11], v14, s26, 0
	v_add3_u32 v19, v19, v21, v20
	v_lshl_add_u64 v[18:19], v[18:19], 3, s[28:29]
	global_load_dwordx2 v[20:21], v[16:17], off
	global_load_dwordx2 v[22:23], v[18:19], off
	s_mov_b64 s[10:11], -1
	s_waitcnt vmcnt(0)
	v_cmp_eq_u64_e32 vcc, v[20:21], v[22:23]
	s_and_saveexec_b64 s[12:13], vcc
	s_cbranch_execz .LBB1691_31
; %bb.22:
	s_add_u32 s10, s26, -1
	v_lshl_add_u64 v[18:19], v[18:19], 0, 8
	v_lshl_add_u64 v[20:21], v[16:17], 0, 8
	s_addc_u32 s11, s27, -1
	s_mov_b64 s[14:15], 0
	s_mov_b64 s[36:37], 0
                                        ; implicit-def: $sgpr18_sgpr19
	s_branch .LBB1691_25
.LBB1691_23:                            ;   in Loop: Header=BB1691_25 Depth=1
	global_load_dwordx2 v[22:23], v[20:21], off
	global_load_dwordx2 v[32:33], v[18:19], off
	s_add_u32 s36, s36, 1
	s_addc_u32 s37, s37, 0
	s_andn2_b64 s[18:19], s[18:19], exec
	v_lshl_add_u64 v[18:19], v[18:19], 0, 8
	v_lshl_add_u64 v[20:21], v[20:21], 0, 8
	s_waitcnt vmcnt(0)
	v_cmp_ne_u64_e32 vcc, v[22:23], v[32:33]
	s_and_b64 s[38:39], vcc, exec
	s_or_b64 s[18:19], s[18:19], s[38:39]
.LBB1691_24:                            ;   in Loop: Header=BB1691_25 Depth=1
	s_and_b64 s[38:39], exec, s[18:19]
	s_or_b64 s[14:15], s[38:39], s[14:15]
	v_mov_b64_e32 v[22:23], s[36:37]
	s_andn2_b64 exec, exec, s[14:15]
	s_cbranch_execz .LBB1691_30
.LBB1691_25:                            ; =>This Inner Loop Header: Depth=1
	s_or_b64 s[18:19], s[18:19], exec
	s_cmp_eq_u64 s[10:11], s[36:37]
	s_cbranch_scc0 .LBB1691_23
; %bb.26:                               ;   in Loop: Header=BB1691_25 Depth=1
                                        ; implicit-def: $vgpr18_vgpr19
                                        ; implicit-def: $vgpr20_vgpr21
	s_mov_b64 s[36:37], s[26:27]
	s_branch .LBB1691_24
.LBB1691_27:
                                        ; implicit-def: $sgpr18_sgpr19
                                        ; implicit-def: $vgpr34
                                        ; implicit-def: $vgpr33
                                        ; implicit-def: $vgpr32
                                        ; implicit-def: $vgpr20
	s_branch .LBB1691_170
.LBB1691_28:
                                        ; implicit-def: $vgpr16_vgpr17
	s_branch .LBB1691_318
.LBB1691_29:
                                        ; implicit-def: $sgpr18_sgpr19
                                        ; implicit-def: $vgpr34
                                        ; implicit-def: $vgpr33
                                        ; implicit-def: $vgpr32
                                        ; implicit-def: $vgpr20
	s_cbranch_execnz .LBB1691_89
	s_branch .LBB1691_169
.LBB1691_30:
	s_or_b64 exec, exec, s[14:15]
	v_cmp_gt_i64_e32 vcc, s[26:27], v[22:23]
	s_orn2_b64 s[10:11], vcc, exec
.LBB1691_31:
	s_or_b64 exec, exec, s[12:13]
.LBB1691_32:
	v_mul_lo_u32 v20, v3, s26
	v_mul_lo_u32 v21, v2, s27
	v_mad_u64_u32 v[18:19], s[12:13], v2, s26, 0
	v_add3_u32 v19, v19, v21, v20
	s_mov_b64 s[12:13], 0
	s_and_b64 vcc, exec, s[4:5]
	v_lshl_add_u64 v[18:19], v[18:19], 3, s[28:29]
	s_mov_b64 s[14:15], 0
	s_cbranch_vccnz .LBB1691_41
; %bb.33:
	global_load_dwordx2 v[20:21], v[18:19], off
	global_load_dwordx2 v[22:23], v[16:17], off
	s_mov_b64 s[14:15], -1
	s_waitcnt vmcnt(0)
	v_cmp_eq_u64_e32 vcc, v[20:21], v[22:23]
	s_and_saveexec_b64 s[18:19], vcc
	s_cbranch_execz .LBB1691_40
; %bb.34:
	s_add_u32 s14, s26, -1
	v_lshl_add_u64 v[16:17], v[16:17], 0, 8
	v_lshl_add_u64 v[20:21], v[18:19], 0, 8
	s_addc_u32 s15, s27, -1
	s_mov_b64 s[36:37], 0
	s_mov_b64 s[40:41], 0
                                        ; implicit-def: $sgpr38_sgpr39
	s_branch .LBB1691_37
.LBB1691_35:                            ;   in Loop: Header=BB1691_37 Depth=1
	global_load_dwordx2 v[22:23], v[20:21], off
	global_load_dwordx2 v[32:33], v[16:17], off
	s_add_u32 s40, s40, 1
	s_addc_u32 s41, s41, 0
	s_andn2_b64 s[38:39], s[38:39], exec
	v_lshl_add_u64 v[16:17], v[16:17], 0, 8
	v_lshl_add_u64 v[20:21], v[20:21], 0, 8
	s_waitcnt vmcnt(0)
	v_cmp_ne_u64_e32 vcc, v[22:23], v[32:33]
	s_and_b64 s[42:43], vcc, exec
	s_or_b64 s[38:39], s[38:39], s[42:43]
.LBB1691_36:                            ;   in Loop: Header=BB1691_37 Depth=1
	s_and_b64 s[42:43], exec, s[38:39]
	s_or_b64 s[36:37], s[42:43], s[36:37]
	v_mov_b64_e32 v[22:23], s[40:41]
	s_andn2_b64 exec, exec, s[36:37]
	s_cbranch_execz .LBB1691_39
.LBB1691_37:                            ; =>This Inner Loop Header: Depth=1
	s_or_b64 s[38:39], s[38:39], exec
	s_cmp_eq_u64 s[14:15], s[40:41]
	s_cbranch_scc0 .LBB1691_35
; %bb.38:                               ;   in Loop: Header=BB1691_37 Depth=1
                                        ; implicit-def: $vgpr16_vgpr17
                                        ; implicit-def: $vgpr20_vgpr21
	s_mov_b64 s[40:41], s[26:27]
	s_branch .LBB1691_36
.LBB1691_39:
	s_or_b64 exec, exec, s[36:37]
	v_cmp_gt_i64_e32 vcc, s[26:27], v[22:23]
	s_orn2_b64 s[14:15], vcc, exec
.LBB1691_40:
	s_or_b64 exec, exec, s[18:19]
.LBB1691_41:
	v_mul_lo_u32 v20, v9, s26
	v_mul_lo_u32 v21, v8, s27
	v_mad_u64_u32 v[16:17], s[18:19], v8, s26, 0
	v_add3_u32 v17, v17, v21, v20
	s_and_b64 vcc, exec, s[4:5]
	v_lshl_add_u64 v[16:17], v[16:17], 3, s[28:29]
	s_cbranch_vccnz .LBB1691_50
; %bb.42:
	global_load_dwordx2 v[20:21], v[16:17], off
	global_load_dwordx2 v[22:23], v[18:19], off
	s_mov_b64 s[12:13], -1
	s_waitcnt vmcnt(0)
	v_cmp_eq_u64_e32 vcc, v[20:21], v[22:23]
	s_and_saveexec_b64 s[18:19], vcc
	s_cbranch_execz .LBB1691_49
; %bb.43:
	s_add_u32 s12, s26, -1
	v_lshl_add_u64 v[18:19], v[18:19], 0, 8
	v_lshl_add_u64 v[20:21], v[16:17], 0, 8
	s_addc_u32 s13, s27, -1
	s_mov_b64 s[36:37], 0
	s_mov_b64 s[40:41], 0
                                        ; implicit-def: $sgpr38_sgpr39
	s_branch .LBB1691_46
.LBB1691_44:                            ;   in Loop: Header=BB1691_46 Depth=1
	global_load_dwordx2 v[22:23], v[20:21], off
	global_load_dwordx2 v[32:33], v[18:19], off
	s_add_u32 s40, s40, 1
	s_addc_u32 s41, s41, 0
	s_andn2_b64 s[38:39], s[38:39], exec
	v_lshl_add_u64 v[18:19], v[18:19], 0, 8
	v_lshl_add_u64 v[20:21], v[20:21], 0, 8
	s_waitcnt vmcnt(0)
	v_cmp_ne_u64_e32 vcc, v[22:23], v[32:33]
	s_and_b64 s[42:43], vcc, exec
	s_or_b64 s[38:39], s[38:39], s[42:43]
.LBB1691_45:                            ;   in Loop: Header=BB1691_46 Depth=1
	s_and_b64 s[42:43], exec, s[38:39]
	s_or_b64 s[36:37], s[42:43], s[36:37]
	v_mov_b64_e32 v[22:23], s[40:41]
	s_andn2_b64 exec, exec, s[36:37]
	s_cbranch_execz .LBB1691_48
.LBB1691_46:                            ; =>This Inner Loop Header: Depth=1
	s_or_b64 s[38:39], s[38:39], exec
	s_cmp_eq_u64 s[12:13], s[40:41]
	s_cbranch_scc0 .LBB1691_44
; %bb.47:                               ;   in Loop: Header=BB1691_46 Depth=1
                                        ; implicit-def: $vgpr18_vgpr19
                                        ; implicit-def: $vgpr20_vgpr21
	s_mov_b64 s[40:41], s[26:27]
	s_branch .LBB1691_45
.LBB1691_48:
	s_or_b64 exec, exec, s[36:37]
	v_cmp_gt_i64_e32 vcc, s[26:27], v[22:23]
	s_orn2_b64 s[12:13], vcc, exec
.LBB1691_49:
	s_or_b64 exec, exec, s[18:19]
.LBB1691_50:
	v_mul_lo_u32 v20, v7, s26
	v_mul_lo_u32 v21, v6, s27
	v_mad_u64_u32 v[18:19], s[18:19], v6, s26, 0
	v_add3_u32 v19, v19, v21, v20
	s_mov_b64 s[18:19], 0
	s_and_b64 vcc, exec, s[4:5]
	v_lshl_add_u64 v[20:21], v[18:19], 3, s[28:29]
	s_mov_b64 s[36:37], 0
	s_cbranch_vccnz .LBB1691_59
; %bb.51:
	global_load_dwordx2 v[18:19], v[20:21], off
	global_load_dwordx2 v[22:23], v[16:17], off
	s_mov_b64 s[36:37], -1
	s_waitcnt vmcnt(0)
	v_cmp_eq_u64_e32 vcc, v[18:19], v[22:23]
	s_and_saveexec_b64 s[38:39], vcc
	s_cbranch_execz .LBB1691_58
; %bb.52:
	s_add_u32 s36, s26, -1
	v_lshl_add_u64 v[16:17], v[16:17], 0, 8
	v_lshl_add_u64 v[18:19], v[20:21], 0, 8
	s_addc_u32 s37, s27, -1
	s_mov_b64 s[40:41], 0
	s_mov_b64 s[44:45], 0
                                        ; implicit-def: $sgpr42_sgpr43
	s_branch .LBB1691_55
.LBB1691_53:                            ;   in Loop: Header=BB1691_55 Depth=1
	global_load_dwordx2 v[22:23], v[18:19], off
	global_load_dwordx2 v[32:33], v[16:17], off
	s_add_u32 s44, s44, 1
	s_addc_u32 s45, s45, 0
	s_andn2_b64 s[42:43], s[42:43], exec
	v_lshl_add_u64 v[16:17], v[16:17], 0, 8
	v_lshl_add_u64 v[18:19], v[18:19], 0, 8
	s_waitcnt vmcnt(0)
	v_cmp_ne_u64_e32 vcc, v[22:23], v[32:33]
	s_and_b64 s[46:47], vcc, exec
	s_or_b64 s[42:43], s[42:43], s[46:47]
.LBB1691_54:                            ;   in Loop: Header=BB1691_55 Depth=1
	s_and_b64 s[46:47], exec, s[42:43]
	s_or_b64 s[40:41], s[46:47], s[40:41]
	v_mov_b64_e32 v[22:23], s[44:45]
	s_andn2_b64 exec, exec, s[40:41]
	s_cbranch_execz .LBB1691_57
.LBB1691_55:                            ; =>This Inner Loop Header: Depth=1
	s_or_b64 s[42:43], s[42:43], exec
	s_cmp_eq_u64 s[36:37], s[44:45]
	s_cbranch_scc0 .LBB1691_53
; %bb.56:                               ;   in Loop: Header=BB1691_55 Depth=1
                                        ; implicit-def: $vgpr16_vgpr17
                                        ; implicit-def: $vgpr18_vgpr19
	s_mov_b64 s[44:45], s[26:27]
	s_branch .LBB1691_54
.LBB1691_57:
	s_or_b64 exec, exec, s[40:41]
	v_cmp_gt_i64_e32 vcc, s[26:27], v[22:23]
	s_orn2_b64 s[36:37], vcc, exec
.LBB1691_58:
	s_or_b64 exec, exec, s[38:39]
.LBB1691_59:
	v_mul_lo_u32 v18, v13, s26
	v_mul_lo_u32 v19, v12, s27
	v_mad_u64_u32 v[16:17], s[38:39], v12, s26, 0
	v_add3_u32 v17, v17, v19, v18
	s_and_b64 vcc, exec, s[4:5]
	v_lshl_add_u64 v[18:19], v[16:17], 3, s[28:29]
	s_cbranch_vccnz .LBB1691_68
; %bb.60:
	global_load_dwordx2 v[16:17], v[18:19], off
	global_load_dwordx2 v[22:23], v[20:21], off
	s_mov_b64 s[18:19], -1
	s_waitcnt vmcnt(0)
	v_cmp_eq_u64_e32 vcc, v[16:17], v[22:23]
	s_and_saveexec_b64 s[38:39], vcc
	s_cbranch_execz .LBB1691_67
; %bb.61:
	s_add_u32 s18, s26, -1
	v_lshl_add_u64 v[16:17], v[20:21], 0, 8
	v_lshl_add_u64 v[20:21], v[18:19], 0, 8
	s_addc_u32 s19, s27, -1
	s_mov_b64 s[40:41], 0
	s_mov_b64 s[44:45], 0
                                        ; implicit-def: $sgpr42_sgpr43
	s_branch .LBB1691_64
.LBB1691_62:                            ;   in Loop: Header=BB1691_64 Depth=1
	global_load_dwordx2 v[22:23], v[20:21], off
	global_load_dwordx2 v[32:33], v[16:17], off
	s_add_u32 s44, s44, 1
	s_addc_u32 s45, s45, 0
	s_andn2_b64 s[42:43], s[42:43], exec
	v_lshl_add_u64 v[16:17], v[16:17], 0, 8
	v_lshl_add_u64 v[20:21], v[20:21], 0, 8
	s_waitcnt vmcnt(0)
	v_cmp_ne_u64_e32 vcc, v[22:23], v[32:33]
	s_and_b64 s[46:47], vcc, exec
	s_or_b64 s[42:43], s[42:43], s[46:47]
.LBB1691_63:                            ;   in Loop: Header=BB1691_64 Depth=1
	s_and_b64 s[46:47], exec, s[42:43]
	s_or_b64 s[40:41], s[46:47], s[40:41]
	v_mov_b64_e32 v[22:23], s[44:45]
	s_andn2_b64 exec, exec, s[40:41]
	s_cbranch_execz .LBB1691_66
.LBB1691_64:                            ; =>This Inner Loop Header: Depth=1
	s_or_b64 s[42:43], s[42:43], exec
	s_cmp_eq_u64 s[18:19], s[44:45]
	s_cbranch_scc0 .LBB1691_62
; %bb.65:                               ;   in Loop: Header=BB1691_64 Depth=1
                                        ; implicit-def: $vgpr16_vgpr17
                                        ; implicit-def: $vgpr20_vgpr21
	s_mov_b64 s[44:45], s[26:27]
	s_branch .LBB1691_63
.LBB1691_66:
	s_or_b64 exec, exec, s[40:41]
	v_cmp_gt_i64_e32 vcc, s[26:27], v[22:23]
	s_orn2_b64 s[18:19], vcc, exec
.LBB1691_67:
	s_or_b64 exec, exec, s[38:39]
.LBB1691_68:
	v_mul_lo_u32 v20, v11, s26
	v_mul_lo_u32 v21, v10, s27
	v_mad_u64_u32 v[16:17], s[38:39], v10, s26, 0
	v_add3_u32 v17, v17, v21, v20
	s_mov_b64 s[40:41], 0
	s_and_b64 vcc, exec, s[4:5]
	v_lshl_add_u64 v[16:17], v[16:17], 3, s[28:29]
	s_cbranch_vccnz .LBB1691_77
; %bb.69:
	global_load_dwordx2 v[20:21], v[16:17], off
	global_load_dwordx2 v[22:23], v[18:19], off
	s_mov_b64 s[40:41], -1
	s_waitcnt vmcnt(0)
	v_cmp_eq_u64_e32 vcc, v[20:21], v[22:23]
	s_and_saveexec_b64 s[38:39], vcc
	s_cbranch_execz .LBB1691_76
; %bb.70:
	s_add_u32 s40, s26, -1
	v_lshl_add_u64 v[18:19], v[18:19], 0, 8
	v_lshl_add_u64 v[20:21], v[16:17], 0, 8
	s_addc_u32 s41, s27, -1
	s_mov_b64 s[42:43], 0
	s_mov_b64 s[46:47], 0
                                        ; implicit-def: $sgpr44_sgpr45
	s_branch .LBB1691_73
.LBB1691_71:                            ;   in Loop: Header=BB1691_73 Depth=1
	global_load_dwordx2 v[22:23], v[20:21], off
	global_load_dwordx2 v[32:33], v[18:19], off
	s_add_u32 s46, s46, 1
	s_addc_u32 s47, s47, 0
	s_andn2_b64 s[44:45], s[44:45], exec
	v_lshl_add_u64 v[18:19], v[18:19], 0, 8
	v_lshl_add_u64 v[20:21], v[20:21], 0, 8
	s_waitcnt vmcnt(0)
	v_cmp_ne_u64_e32 vcc, v[22:23], v[32:33]
	s_and_b64 s[48:49], vcc, exec
	s_or_b64 s[44:45], s[44:45], s[48:49]
.LBB1691_72:                            ;   in Loop: Header=BB1691_73 Depth=1
	s_and_b64 s[48:49], exec, s[44:45]
	s_or_b64 s[42:43], s[48:49], s[42:43]
	v_mov_b64_e32 v[22:23], s[46:47]
	s_andn2_b64 exec, exec, s[42:43]
	s_cbranch_execz .LBB1691_75
.LBB1691_73:                            ; =>This Inner Loop Header: Depth=1
	s_or_b64 s[44:45], s[44:45], exec
	s_cmp_eq_u64 s[40:41], s[46:47]
	s_cbranch_scc0 .LBB1691_71
; %bb.74:                               ;   in Loop: Header=BB1691_73 Depth=1
                                        ; implicit-def: $vgpr18_vgpr19
                                        ; implicit-def: $vgpr20_vgpr21
	s_mov_b64 s[46:47], s[26:27]
	s_branch .LBB1691_72
.LBB1691_75:
	s_or_b64 exec, exec, s[42:43]
	v_cmp_gt_i64_e32 vcc, s[26:27], v[22:23]
	s_orn2_b64 s[40:41], vcc, exec
.LBB1691_76:
	s_or_b64 exec, exec, s[38:39]
.LBB1691_77:
	v_cmp_ne_u32_e32 vcc, 0, v0
	s_waitcnt lgkmcnt(0)
	v_mov_b64_e32 v[18:19], s[6:7]
	s_barrier
	s_and_saveexec_b64 s[38:39], vcc
	s_cbranch_execz .LBB1691_79
; %bb.78:
	v_add_u32_e32 v18, -8, v31
	ds_read_b64 v[18:19], v18
.LBB1691_79:
	s_or_b64 exec, exec, s[38:39]
	v_cndmask_b32_e64 v21, 0, 1, s[36:37]
	v_cndmask_b32_e64 v20, 0, 1, s[18:19]
	;; [unrolled: 1-line block ×3, first 2 shown]
	v_lshlrev_b16_e32 v21, 8, v21
	v_lshlrev_b16_e32 v22, 8, v22
	v_or_b32_sdwa v23, v20, v21 dst_sel:WORD_1 dst_unused:UNUSED_PAD src0_sel:DWORD src1_sel:DWORD
	s_mov_b64 s[36:37], 0
	s_and_b64 vcc, exec, s[4:5]
	s_mov_b64 s[18:19], 0
	s_cbranch_vccnz .LBB1691_88
; %bb.80:
	s_waitcnt lgkmcnt(0)
	v_mul_lo_u32 v20, v19, s26
	v_mul_lo_u32 v21, v18, s27
	v_mad_u64_u32 v[18:19], s[18:19], v18, s26, 0
	v_add3_u32 v19, v19, v21, v20
	v_lshl_add_u64 v[18:19], v[18:19], 3, s[28:29]
	global_load_dwordx2 v[20:21], v[18:19], off
	global_load_dwordx2 v[32:33], v[16:17], off
	s_mov_b64 s[18:19], -1
	s_waitcnt vmcnt(0)
	v_cmp_eq_u64_e32 vcc, v[20:21], v[32:33]
	s_and_saveexec_b64 s[38:39], vcc
	s_cbranch_execz .LBB1691_87
; %bb.81:
	s_add_u32 s18, s26, -1
	v_lshl_add_u64 v[16:17], v[16:17], 0, 8
	v_lshl_add_u64 v[18:19], v[18:19], 0, 8
	s_addc_u32 s19, s27, -1
	s_mov_b64 s[40:41], 0
	s_mov_b64 s[44:45], 0
                                        ; implicit-def: $sgpr42_sgpr43
	s_branch .LBB1691_84
.LBB1691_82:                            ;   in Loop: Header=BB1691_84 Depth=1
	global_load_dwordx2 v[20:21], v[18:19], off
	global_load_dwordx2 v[32:33], v[16:17], off
	s_add_u32 s44, s44, 1
	s_addc_u32 s45, s45, 0
	s_andn2_b64 s[42:43], s[42:43], exec
	v_lshl_add_u64 v[16:17], v[16:17], 0, 8
	v_lshl_add_u64 v[18:19], v[18:19], 0, 8
	s_waitcnt vmcnt(0)
	v_cmp_ne_u64_e32 vcc, v[20:21], v[32:33]
	s_and_b64 s[46:47], vcc, exec
	s_or_b64 s[42:43], s[42:43], s[46:47]
.LBB1691_83:                            ;   in Loop: Header=BB1691_84 Depth=1
	s_and_b64 s[46:47], exec, s[42:43]
	s_or_b64 s[40:41], s[46:47], s[40:41]
	v_mov_b64_e32 v[20:21], s[44:45]
	s_andn2_b64 exec, exec, s[40:41]
	s_cbranch_execz .LBB1691_86
.LBB1691_84:                            ; =>This Inner Loop Header: Depth=1
	s_or_b64 s[42:43], s[42:43], exec
	s_cmp_eq_u64 s[18:19], s[44:45]
	s_cbranch_scc0 .LBB1691_82
; %bb.85:                               ;   in Loop: Header=BB1691_84 Depth=1
                                        ; implicit-def: $vgpr16_vgpr17
                                        ; implicit-def: $vgpr18_vgpr19
	s_mov_b64 s[44:45], s[26:27]
	s_branch .LBB1691_83
.LBB1691_86:
	s_or_b64 exec, exec, s[40:41]
	v_cmp_gt_i64_e32 vcc, s[26:27], v[20:21]
	s_orn2_b64 s[18:19], vcc, exec
.LBB1691_87:
	s_or_b64 exec, exec, s[38:39]
.LBB1691_88:
	v_cndmask_b32_e64 v32, 0, 1, s[12:13]
	v_cndmask_b32_e64 v33, 0, 1, s[14:15]
	;; [unrolled: 1-line block ×3, first 2 shown]
	v_or_b32_e32 v20, v22, v23
	s_and_b64 vcc, exec, s[36:37]
	s_cbranch_vccz .LBB1691_169
.LBB1691_89:
	v_cmp_gt_u32_e32 vcc, s3, v27
	s_mov_b64 s[12:13], 0
	s_mov_b64 s[10:11], 0
	s_and_saveexec_b64 s[14:15], vcc
	s_cbranch_execz .LBB1691_100
; %bb.90:
	s_and_b64 vcc, exec, s[4:5]
	s_mov_b64 s[18:19], 0
	s_cbranch_vccnz .LBB1691_99
; %bb.91:
	s_waitcnt lgkmcnt(0)
	v_mul_lo_u32 v18, v5, s26
	v_mul_lo_u32 v19, v4, s27
	v_mad_u64_u32 v[16:17], s[10:11], v4, s26, 0
	v_add3_u32 v17, v17, v19, v18
	v_mul_lo_u32 v18, v15, s26
	v_mul_lo_u32 v19, v14, s27
	v_mad_u64_u32 v[20:21], s[10:11], v14, s26, 0
	v_add3_u32 v21, v21, v19, v18
	v_lshl_add_u64 v[18:19], v[16:17], 3, s[28:29]
	v_lshl_add_u64 v[16:17], v[20:21], 3, s[28:29]
	global_load_dwordx2 v[20:21], v[18:19], off
	global_load_dwordx2 v[22:23], v[16:17], off
	s_mov_b64 s[18:19], -1
	s_waitcnt vmcnt(0)
	v_cmp_eq_u64_e32 vcc, v[20:21], v[22:23]
	s_and_saveexec_b64 s[10:11], vcc
	s_cbranch_execz .LBB1691_98
; %bb.92:
	s_add_u32 s18, s26, -1
	v_lshl_add_u64 v[16:17], v[16:17], 0, 8
	v_lshl_add_u64 v[18:19], v[18:19], 0, 8
	s_addc_u32 s19, s27, -1
	s_mov_b64 s[36:37], 0
	s_mov_b64 s[40:41], 0
                                        ; implicit-def: $sgpr38_sgpr39
	s_branch .LBB1691_95
.LBB1691_93:                            ;   in Loop: Header=BB1691_95 Depth=1
	global_load_dwordx2 v[20:21], v[18:19], off
	global_load_dwordx2 v[22:23], v[16:17], off
	s_add_u32 s40, s40, 1
	s_addc_u32 s41, s41, 0
	s_andn2_b64 s[38:39], s[38:39], exec
	v_lshl_add_u64 v[16:17], v[16:17], 0, 8
	v_lshl_add_u64 v[18:19], v[18:19], 0, 8
	s_waitcnt vmcnt(0)
	v_cmp_ne_u64_e32 vcc, v[20:21], v[22:23]
	s_and_b64 s[42:43], vcc, exec
	s_or_b64 s[38:39], s[38:39], s[42:43]
.LBB1691_94:                            ;   in Loop: Header=BB1691_95 Depth=1
	s_and_b64 s[42:43], exec, s[38:39]
	s_or_b64 s[36:37], s[42:43], s[36:37]
	v_mov_b64_e32 v[20:21], s[40:41]
	s_andn2_b64 exec, exec, s[36:37]
	s_cbranch_execz .LBB1691_97
.LBB1691_95:                            ; =>This Inner Loop Header: Depth=1
	s_or_b64 s[38:39], s[38:39], exec
	s_cmp_eq_u64 s[18:19], s[40:41]
	s_cbranch_scc0 .LBB1691_93
; %bb.96:                               ;   in Loop: Header=BB1691_95 Depth=1
                                        ; implicit-def: $vgpr16_vgpr17
                                        ; implicit-def: $vgpr18_vgpr19
	s_mov_b64 s[40:41], s[26:27]
	s_branch .LBB1691_94
.LBB1691_97:
	s_or_b64 exec, exec, s[36:37]
	v_cmp_gt_i64_e32 vcc, s[26:27], v[20:21]
	s_orn2_b64 s[18:19], vcc, exec
.LBB1691_98:
	s_or_b64 exec, exec, s[10:11]
.LBB1691_99:
	s_and_b64 s[10:11], s[18:19], exec
.LBB1691_100:
	s_or_b64 exec, exec, s[14:15]
	v_cmp_gt_u32_e32 vcc, s3, v29
	s_and_saveexec_b64 s[14:15], vcc
	s_cbranch_execz .LBB1691_111
; %bb.101:
	s_and_b64 vcc, exec, s[4:5]
	s_mov_b64 s[18:19], 0
	s_cbranch_vccnz .LBB1691_110
; %bb.102:
	s_waitcnt lgkmcnt(0)
	v_mul_lo_u32 v18, v3, s26
	v_mul_lo_u32 v19, v2, s27
	v_mad_u64_u32 v[16:17], s[12:13], v2, s26, 0
	v_add3_u32 v17, v17, v19, v18
	v_mul_lo_u32 v18, v5, s26
	v_mul_lo_u32 v19, v4, s27
	v_mad_u64_u32 v[20:21], s[12:13], v4, s26, 0
	v_add3_u32 v21, v21, v19, v18
	v_lshl_add_u64 v[18:19], v[16:17], 3, s[28:29]
	v_lshl_add_u64 v[16:17], v[20:21], 3, s[28:29]
	global_load_dwordx2 v[20:21], v[18:19], off
	global_load_dwordx2 v[22:23], v[16:17], off
	s_mov_b64 s[18:19], -1
	s_waitcnt vmcnt(0)
	v_cmp_eq_u64_e32 vcc, v[20:21], v[22:23]
	s_and_saveexec_b64 s[12:13], vcc
	s_cbranch_execz .LBB1691_109
; %bb.103:
	s_add_u32 s18, s26, -1
	v_lshl_add_u64 v[16:17], v[16:17], 0, 8
	v_lshl_add_u64 v[18:19], v[18:19], 0, 8
	s_addc_u32 s19, s27, -1
	s_mov_b64 s[36:37], 0
	s_mov_b64 s[40:41], 0
                                        ; implicit-def: $sgpr38_sgpr39
	s_branch .LBB1691_106
.LBB1691_104:                           ;   in Loop: Header=BB1691_106 Depth=1
	global_load_dwordx2 v[20:21], v[18:19], off
	global_load_dwordx2 v[22:23], v[16:17], off
	s_add_u32 s40, s40, 1
	s_addc_u32 s41, s41, 0
	s_andn2_b64 s[38:39], s[38:39], exec
	v_lshl_add_u64 v[16:17], v[16:17], 0, 8
	v_lshl_add_u64 v[18:19], v[18:19], 0, 8
	s_waitcnt vmcnt(0)
	v_cmp_ne_u64_e32 vcc, v[20:21], v[22:23]
	s_and_b64 s[42:43], vcc, exec
	s_or_b64 s[38:39], s[38:39], s[42:43]
.LBB1691_105:                           ;   in Loop: Header=BB1691_106 Depth=1
	s_and_b64 s[42:43], exec, s[38:39]
	s_or_b64 s[36:37], s[42:43], s[36:37]
	v_mov_b64_e32 v[20:21], s[40:41]
	s_andn2_b64 exec, exec, s[36:37]
	s_cbranch_execz .LBB1691_108
.LBB1691_106:                           ; =>This Inner Loop Header: Depth=1
	s_or_b64 s[38:39], s[38:39], exec
	s_cmp_eq_u64 s[18:19], s[40:41]
	s_cbranch_scc0 .LBB1691_104
; %bb.107:                              ;   in Loop: Header=BB1691_106 Depth=1
                                        ; implicit-def: $vgpr16_vgpr17
                                        ; implicit-def: $vgpr18_vgpr19
	s_mov_b64 s[40:41], s[26:27]
	s_branch .LBB1691_105
.LBB1691_108:
	s_or_b64 exec, exec, s[36:37]
	v_cmp_gt_i64_e32 vcc, s[26:27], v[20:21]
	s_orn2_b64 s[18:19], vcc, exec
.LBB1691_109:
	s_or_b64 exec, exec, s[12:13]
.LBB1691_110:
	s_and_b64 s[12:13], s[18:19], exec
.LBB1691_111:
	s_or_b64 exec, exec, s[14:15]
	v_cmp_gt_u32_e32 vcc, s3, v26
	s_mov_b64 s[18:19], 0
	s_mov_b64 s[14:15], 0
	s_and_saveexec_b64 s[36:37], vcc
	s_cbranch_execz .LBB1691_122
; %bb.112:
	s_and_b64 vcc, exec, s[4:5]
	s_mov_b64 s[38:39], 0
	s_cbranch_vccnz .LBB1691_121
; %bb.113:
	s_waitcnt lgkmcnt(0)
	v_mul_lo_u32 v18, v9, s26
	v_mul_lo_u32 v19, v8, s27
	v_mad_u64_u32 v[16:17], s[14:15], v8, s26, 0
	v_add3_u32 v17, v17, v19, v18
	v_mul_lo_u32 v18, v3, s26
	v_mul_lo_u32 v19, v2, s27
	v_mad_u64_u32 v[20:21], s[14:15], v2, s26, 0
	v_add3_u32 v21, v21, v19, v18
	v_lshl_add_u64 v[18:19], v[16:17], 3, s[28:29]
	v_lshl_add_u64 v[16:17], v[20:21], 3, s[28:29]
	global_load_dwordx2 v[20:21], v[18:19], off
	global_load_dwordx2 v[22:23], v[16:17], off
	s_mov_b64 s[38:39], -1
	s_waitcnt vmcnt(0)
	v_cmp_eq_u64_e32 vcc, v[20:21], v[22:23]
	s_and_saveexec_b64 s[14:15], vcc
	s_cbranch_execz .LBB1691_120
; %bb.114:
	s_add_u32 s38, s26, -1
	v_lshl_add_u64 v[16:17], v[16:17], 0, 8
	v_lshl_add_u64 v[18:19], v[18:19], 0, 8
	s_addc_u32 s39, s27, -1
	s_mov_b64 s[40:41], 0
	s_mov_b64 s[44:45], 0
                                        ; implicit-def: $sgpr42_sgpr43
	s_branch .LBB1691_117
.LBB1691_115:                           ;   in Loop: Header=BB1691_117 Depth=1
	global_load_dwordx2 v[20:21], v[18:19], off
	global_load_dwordx2 v[22:23], v[16:17], off
	s_add_u32 s44, s44, 1
	s_addc_u32 s45, s45, 0
	s_andn2_b64 s[42:43], s[42:43], exec
	v_lshl_add_u64 v[16:17], v[16:17], 0, 8
	v_lshl_add_u64 v[18:19], v[18:19], 0, 8
	s_waitcnt vmcnt(0)
	v_cmp_ne_u64_e32 vcc, v[20:21], v[22:23]
	s_and_b64 s[46:47], vcc, exec
	s_or_b64 s[42:43], s[42:43], s[46:47]
.LBB1691_116:                           ;   in Loop: Header=BB1691_117 Depth=1
	s_and_b64 s[46:47], exec, s[42:43]
	s_or_b64 s[40:41], s[46:47], s[40:41]
	v_mov_b64_e32 v[20:21], s[44:45]
	s_andn2_b64 exec, exec, s[40:41]
	s_cbranch_execz .LBB1691_119
.LBB1691_117:                           ; =>This Inner Loop Header: Depth=1
	s_or_b64 s[42:43], s[42:43], exec
	s_cmp_eq_u64 s[38:39], s[44:45]
	s_cbranch_scc0 .LBB1691_115
; %bb.118:                              ;   in Loop: Header=BB1691_117 Depth=1
                                        ; implicit-def: $vgpr16_vgpr17
                                        ; implicit-def: $vgpr18_vgpr19
	s_mov_b64 s[44:45], s[26:27]
	s_branch .LBB1691_116
.LBB1691_119:
	s_or_b64 exec, exec, s[40:41]
	v_cmp_gt_i64_e32 vcc, s[26:27], v[20:21]
	s_orn2_b64 s[38:39], vcc, exec
.LBB1691_120:
	s_or_b64 exec, exec, s[14:15]
.LBB1691_121:
	s_and_b64 s[14:15], s[38:39], exec
.LBB1691_122:
	s_or_b64 exec, exec, s[36:37]
	v_cmp_gt_u32_e32 vcc, s3, v28
	s_and_saveexec_b64 s[36:37], vcc
	s_cbranch_execz .LBB1691_133
; %bb.123:
	s_and_b64 vcc, exec, s[4:5]
	s_mov_b64 s[38:39], 0
	s_cbranch_vccnz .LBB1691_132
; %bb.124:
	s_waitcnt lgkmcnt(0)
	v_mul_lo_u32 v18, v7, s26
	v_mul_lo_u32 v19, v6, s27
	v_mad_u64_u32 v[16:17], s[18:19], v6, s26, 0
	v_add3_u32 v17, v17, v19, v18
	v_mul_lo_u32 v18, v9, s26
	v_mul_lo_u32 v19, v8, s27
	v_mad_u64_u32 v[20:21], s[18:19], v8, s26, 0
	v_add3_u32 v21, v21, v19, v18
	v_lshl_add_u64 v[18:19], v[16:17], 3, s[28:29]
	v_lshl_add_u64 v[16:17], v[20:21], 3, s[28:29]
	global_load_dwordx2 v[20:21], v[18:19], off
	global_load_dwordx2 v[22:23], v[16:17], off
	s_mov_b64 s[38:39], -1
	s_waitcnt vmcnt(0)
	v_cmp_eq_u64_e32 vcc, v[20:21], v[22:23]
	s_and_saveexec_b64 s[18:19], vcc
	s_cbranch_execz .LBB1691_131
; %bb.125:
	s_add_u32 s38, s26, -1
	v_lshl_add_u64 v[16:17], v[16:17], 0, 8
	v_lshl_add_u64 v[18:19], v[18:19], 0, 8
	s_addc_u32 s39, s27, -1
	s_mov_b64 s[40:41], 0
	s_mov_b64 s[44:45], 0
                                        ; implicit-def: $sgpr42_sgpr43
	s_branch .LBB1691_128
.LBB1691_126:                           ;   in Loop: Header=BB1691_128 Depth=1
	global_load_dwordx2 v[20:21], v[18:19], off
	global_load_dwordx2 v[22:23], v[16:17], off
	s_add_u32 s44, s44, 1
	s_addc_u32 s45, s45, 0
	s_andn2_b64 s[42:43], s[42:43], exec
	v_lshl_add_u64 v[16:17], v[16:17], 0, 8
	v_lshl_add_u64 v[18:19], v[18:19], 0, 8
	s_waitcnt vmcnt(0)
	v_cmp_ne_u64_e32 vcc, v[20:21], v[22:23]
	s_and_b64 s[46:47], vcc, exec
	s_or_b64 s[42:43], s[42:43], s[46:47]
.LBB1691_127:                           ;   in Loop: Header=BB1691_128 Depth=1
	s_and_b64 s[46:47], exec, s[42:43]
	s_or_b64 s[40:41], s[46:47], s[40:41]
	v_mov_b64_e32 v[20:21], s[44:45]
	s_andn2_b64 exec, exec, s[40:41]
	s_cbranch_execz .LBB1691_130
.LBB1691_128:                           ; =>This Inner Loop Header: Depth=1
	s_or_b64 s[42:43], s[42:43], exec
	s_cmp_eq_u64 s[38:39], s[44:45]
	s_cbranch_scc0 .LBB1691_126
; %bb.129:                              ;   in Loop: Header=BB1691_128 Depth=1
                                        ; implicit-def: $vgpr16_vgpr17
                                        ; implicit-def: $vgpr18_vgpr19
	s_mov_b64 s[44:45], s[26:27]
	s_branch .LBB1691_127
.LBB1691_130:
	s_or_b64 exec, exec, s[40:41]
	v_cmp_gt_i64_e32 vcc, s[26:27], v[20:21]
	s_orn2_b64 s[38:39], vcc, exec
.LBB1691_131:
	s_or_b64 exec, exec, s[18:19]
.LBB1691_132:
	s_and_b64 s[18:19], s[38:39], exec
.LBB1691_133:
	s_or_b64 exec, exec, s[36:37]
	v_cmp_gt_u32_e32 vcc, s3, v24
	s_mov_b64 s[36:37], 0
	s_mov_b64 s[38:39], 0
	s_and_saveexec_b64 s[40:41], vcc
	s_cbranch_execz .LBB1691_144
; %bb.134:
	s_and_b64 vcc, exec, s[4:5]
	s_mov_b64 s[42:43], 0
	s_cbranch_vccnz .LBB1691_143
; %bb.135:
	s_waitcnt lgkmcnt(0)
	v_mul_lo_u32 v18, v13, s26
	v_mul_lo_u32 v19, v12, s27
	v_mad_u64_u32 v[16:17], s[38:39], v12, s26, 0
	v_add3_u32 v17, v17, v19, v18
	v_mul_lo_u32 v18, v7, s26
	v_mul_lo_u32 v19, v6, s27
	v_mad_u64_u32 v[20:21], s[38:39], v6, s26, 0
	v_add3_u32 v21, v21, v19, v18
	v_lshl_add_u64 v[18:19], v[16:17], 3, s[28:29]
	v_lshl_add_u64 v[16:17], v[20:21], 3, s[28:29]
	global_load_dwordx2 v[20:21], v[18:19], off
	global_load_dwordx2 v[22:23], v[16:17], off
	s_mov_b64 s[42:43], -1
	s_waitcnt vmcnt(0)
	v_cmp_eq_u64_e32 vcc, v[20:21], v[22:23]
	s_and_saveexec_b64 s[38:39], vcc
	s_cbranch_execz .LBB1691_142
; %bb.136:
	s_add_u32 s42, s26, -1
	v_lshl_add_u64 v[16:17], v[16:17], 0, 8
	v_lshl_add_u64 v[18:19], v[18:19], 0, 8
	s_addc_u32 s43, s27, -1
	s_mov_b64 s[44:45], 0
	s_mov_b64 s[48:49], 0
                                        ; implicit-def: $sgpr46_sgpr47
	s_branch .LBB1691_139
.LBB1691_137:                           ;   in Loop: Header=BB1691_139 Depth=1
	global_load_dwordx2 v[20:21], v[18:19], off
	global_load_dwordx2 v[22:23], v[16:17], off
	s_add_u32 s48, s48, 1
	s_addc_u32 s49, s49, 0
	s_andn2_b64 s[46:47], s[46:47], exec
	v_lshl_add_u64 v[16:17], v[16:17], 0, 8
	v_lshl_add_u64 v[18:19], v[18:19], 0, 8
	s_waitcnt vmcnt(0)
	v_cmp_ne_u64_e32 vcc, v[20:21], v[22:23]
	s_and_b64 s[50:51], vcc, exec
	s_or_b64 s[46:47], s[46:47], s[50:51]
.LBB1691_138:                           ;   in Loop: Header=BB1691_139 Depth=1
	s_and_b64 s[50:51], exec, s[46:47]
	s_or_b64 s[44:45], s[50:51], s[44:45]
	v_mov_b64_e32 v[20:21], s[48:49]
	s_andn2_b64 exec, exec, s[44:45]
	s_cbranch_execz .LBB1691_141
.LBB1691_139:                           ; =>This Inner Loop Header: Depth=1
	s_or_b64 s[46:47], s[46:47], exec
	s_cmp_eq_u64 s[42:43], s[48:49]
	s_cbranch_scc0 .LBB1691_137
; %bb.140:                              ;   in Loop: Header=BB1691_139 Depth=1
                                        ; implicit-def: $vgpr16_vgpr17
                                        ; implicit-def: $vgpr18_vgpr19
	s_mov_b64 s[48:49], s[26:27]
	s_branch .LBB1691_138
.LBB1691_141:
	s_or_b64 exec, exec, s[44:45]
	v_cmp_gt_i64_e32 vcc, s[26:27], v[20:21]
	s_orn2_b64 s[42:43], vcc, exec
.LBB1691_142:
	s_or_b64 exec, exec, s[38:39]
.LBB1691_143:
	s_and_b64 s[38:39], s[42:43], exec
.LBB1691_144:
	s_or_b64 exec, exec, s[40:41]
	v_cmp_gt_u32_e32 vcc, s3, v25
	s_and_saveexec_b64 s[40:41], vcc
	s_cbranch_execz .LBB1691_155
; %bb.145:
	s_and_b64 vcc, exec, s[4:5]
	s_mov_b64 s[42:43], 0
	s_cbranch_vccnz .LBB1691_154
; %bb.146:
	s_waitcnt lgkmcnt(0)
	v_mul_lo_u32 v18, v11, s26
	v_mul_lo_u32 v19, v10, s27
	v_mad_u64_u32 v[16:17], s[36:37], v10, s26, 0
	v_add3_u32 v17, v17, v19, v18
	v_mul_lo_u32 v18, v13, s26
	v_mul_lo_u32 v19, v12, s27
	v_mad_u64_u32 v[20:21], s[36:37], v12, s26, 0
	v_add3_u32 v21, v21, v19, v18
	v_lshl_add_u64 v[18:19], v[16:17], 3, s[28:29]
	v_lshl_add_u64 v[16:17], v[20:21], 3, s[28:29]
	global_load_dwordx2 v[20:21], v[18:19], off
	global_load_dwordx2 v[22:23], v[16:17], off
	s_mov_b64 s[42:43], -1
	s_waitcnt vmcnt(0)
	v_cmp_eq_u64_e32 vcc, v[20:21], v[22:23]
	s_and_saveexec_b64 s[36:37], vcc
	s_cbranch_execz .LBB1691_153
; %bb.147:
	s_add_u32 s42, s26, -1
	v_lshl_add_u64 v[16:17], v[16:17], 0, 8
	v_lshl_add_u64 v[18:19], v[18:19], 0, 8
	s_addc_u32 s43, s27, -1
	s_mov_b64 s[44:45], 0
	s_mov_b64 s[48:49], 0
                                        ; implicit-def: $sgpr46_sgpr47
	s_branch .LBB1691_150
.LBB1691_148:                           ;   in Loop: Header=BB1691_150 Depth=1
	global_load_dwordx2 v[20:21], v[18:19], off
	global_load_dwordx2 v[22:23], v[16:17], off
	s_add_u32 s48, s48, 1
	s_addc_u32 s49, s49, 0
	s_andn2_b64 s[46:47], s[46:47], exec
	v_lshl_add_u64 v[16:17], v[16:17], 0, 8
	v_lshl_add_u64 v[18:19], v[18:19], 0, 8
	s_waitcnt vmcnt(0)
	v_cmp_ne_u64_e32 vcc, v[20:21], v[22:23]
	s_and_b64 s[50:51], vcc, exec
	s_or_b64 s[46:47], s[46:47], s[50:51]
.LBB1691_149:                           ;   in Loop: Header=BB1691_150 Depth=1
	s_and_b64 s[50:51], exec, s[46:47]
	s_or_b64 s[44:45], s[50:51], s[44:45]
	v_mov_b64_e32 v[20:21], s[48:49]
	s_andn2_b64 exec, exec, s[44:45]
	s_cbranch_execz .LBB1691_152
.LBB1691_150:                           ; =>This Inner Loop Header: Depth=1
	s_or_b64 s[46:47], s[46:47], exec
	s_cmp_eq_u64 s[42:43], s[48:49]
	s_cbranch_scc0 .LBB1691_148
; %bb.151:                              ;   in Loop: Header=BB1691_150 Depth=1
                                        ; implicit-def: $vgpr16_vgpr17
                                        ; implicit-def: $vgpr18_vgpr19
	s_mov_b64 s[48:49], s[26:27]
	s_branch .LBB1691_149
.LBB1691_152:
	s_or_b64 exec, exec, s[44:45]
	v_cmp_gt_i64_e32 vcc, s[26:27], v[20:21]
	s_orn2_b64 s[42:43], vcc, exec
.LBB1691_153:
	s_or_b64 exec, exec, s[36:37]
.LBB1691_154:
	s_and_b64 s[36:37], s[42:43], exec
.LBB1691_155:
	s_or_b64 exec, exec, s[40:41]
	v_cmp_ne_u32_e32 vcc, 0, v0
	s_waitcnt lgkmcnt(0)
	v_mov_b64_e32 v[16:17], s[6:7]
	s_barrier
	s_and_saveexec_b64 s[6:7], vcc
	s_cbranch_execz .LBB1691_157
; %bb.156:
	v_add_u32_e32 v16, -8, v31
	ds_read_b64 v[16:17], v16
.LBB1691_157:
	s_or_b64 exec, exec, s[6:7]
	v_cndmask_b32_e64 v19, 0, 1, s[18:19]
	v_cndmask_b32_e64 v18, 0, 1, s[38:39]
	;; [unrolled: 1-line block ×3, first 2 shown]
	v_lshlrev_b16_e32 v19, 8, v19
	v_cmp_gt_u32_e32 vcc, s3, v1
	v_lshlrev_b16_e32 v22, 8, v20
	v_or_b32_sdwa v23, v18, v19 dst_sel:WORD_1 dst_unused:UNUSED_PAD src0_sel:DWORD src1_sel:DWORD
	s_mov_b64 s[18:19], 0
	s_and_saveexec_b64 s[6:7], vcc
	s_cbranch_execz .LBB1691_168
; %bb.158:
	s_and_b64 vcc, exec, s[4:5]
	s_cbranch_vccnz .LBB1691_167
; %bb.159:
	s_waitcnt lgkmcnt(0)
	v_mul_lo_u32 v18, v17, s26
	v_mul_lo_u32 v19, v16, s27
	v_mad_u64_u32 v[16:17], s[4:5], v16, s26, 0
	v_add3_u32 v17, v17, v19, v18
	v_mul_lo_u32 v18, v11, s26
	v_mul_lo_u32 v19, v10, s27
	v_mad_u64_u32 v[20:21], s[4:5], v10, s26, 0
	v_add3_u32 v21, v21, v19, v18
	v_lshl_add_u64 v[18:19], v[16:17], 3, s[28:29]
	v_lshl_add_u64 v[16:17], v[20:21], 3, s[28:29]
	global_load_dwordx2 v[20:21], v[18:19], off
	global_load_dwordx2 v[32:33], v[16:17], off
	s_mov_b64 s[18:19], -1
	s_waitcnt vmcnt(0)
	v_cmp_eq_u64_e32 vcc, v[20:21], v[32:33]
	s_and_saveexec_b64 s[4:5], vcc
	s_cbranch_execz .LBB1691_166
; %bb.160:
	s_add_u32 s18, s26, -1
	v_lshl_add_u64 v[16:17], v[16:17], 0, 8
	v_lshl_add_u64 v[18:19], v[18:19], 0, 8
	s_addc_u32 s19, s27, -1
	s_mov_b64 s[36:37], 0
	s_mov_b64 s[40:41], 0
                                        ; implicit-def: $sgpr38_sgpr39
	s_branch .LBB1691_163
.LBB1691_161:                           ;   in Loop: Header=BB1691_163 Depth=1
	global_load_dwordx2 v[20:21], v[18:19], off
	global_load_dwordx2 v[32:33], v[16:17], off
	s_add_u32 s40, s40, 1
	s_addc_u32 s41, s41, 0
	s_andn2_b64 s[38:39], s[38:39], exec
	v_lshl_add_u64 v[16:17], v[16:17], 0, 8
	v_lshl_add_u64 v[18:19], v[18:19], 0, 8
	s_waitcnt vmcnt(0)
	v_cmp_ne_u64_e32 vcc, v[20:21], v[32:33]
	s_and_b64 s[42:43], vcc, exec
	s_or_b64 s[38:39], s[38:39], s[42:43]
.LBB1691_162:                           ;   in Loop: Header=BB1691_163 Depth=1
	s_and_b64 s[42:43], exec, s[38:39]
	s_or_b64 s[36:37], s[42:43], s[36:37]
	v_mov_b64_e32 v[20:21], s[40:41]
	s_andn2_b64 exec, exec, s[36:37]
	s_cbranch_execz .LBB1691_165
.LBB1691_163:                           ; =>This Inner Loop Header: Depth=1
	s_or_b64 s[38:39], s[38:39], exec
	s_cmp_eq_u64 s[18:19], s[40:41]
	s_cbranch_scc0 .LBB1691_161
; %bb.164:                              ;   in Loop: Header=BB1691_163 Depth=1
                                        ; implicit-def: $vgpr16_vgpr17
                                        ; implicit-def: $vgpr18_vgpr19
	s_mov_b64 s[40:41], s[26:27]
	s_branch .LBB1691_162
.LBB1691_165:
	s_or_b64 exec, exec, s[36:37]
	v_cmp_gt_i64_e32 vcc, s[26:27], v[20:21]
	s_orn2_b64 s[18:19], vcc, exec
.LBB1691_166:
	s_or_b64 exec, exec, s[4:5]
.LBB1691_167:
	s_and_b64 s[18:19], s[18:19], exec
.LBB1691_168:
	s_or_b64 exec, exec, s[6:7]
	v_cndmask_b32_e64 v32, 0, 1, s[14:15]
	v_cndmask_b32_e64 v33, 0, 1, s[12:13]
	;; [unrolled: 1-line block ×3, first 2 shown]
	v_or_b32_e32 v20, v22, v23
.LBB1691_169:
	s_mov_b64 s[10:11], -1
	s_cbranch_execnz .LBB1691_28
.LBB1691_170:
	s_movk_i32 s4, 0xffd0
	v_mad_i32_i24 v30, v0, s4, v30
	s_mov_b64 s[12:13], 0
	s_waitcnt lgkmcnt(0)
	v_cmp_gt_i64_e64 s[6:7], s[26:27], 0
	s_and_b64 vcc, exec, s[34:35]
	ds_write_b64 v30, v[14:15]
	s_cbranch_vccz .LBB1691_178
; %bb.171:
	v_mul_lo_u32 v18, v5, s26
	v_mul_lo_u32 v19, v4, s27
	v_mad_u64_u32 v[16:17], s[4:5], v4, s26, 0
	v_add3_u32 v17, v17, v19, v18
	v_cndmask_b32_e64 v18, 0, 1, s[6:7]
	v_cmp_ne_u32_e64 s[4:5], 1, v18
	s_andn2_b64 vcc, exec, s[6:7]
	v_lshl_add_u64 v[16:17], v[16:17], 3, s[28:29]
	s_cbranch_vccnz .LBB1691_181
; %bb.172:
	v_mul_lo_u32 v20, v15, s26
	v_mul_lo_u32 v21, v14, s27
	v_mad_u64_u32 v[18:19], s[12:13], v14, s26, 0
	v_add3_u32 v19, v19, v21, v20
	v_lshl_add_u64 v[18:19], v[18:19], 3, s[28:29]
	global_load_dwordx2 v[20:21], v[16:17], off
	global_load_dwordx2 v[22:23], v[18:19], off
	s_mov_b64 s[12:13], -1
	s_waitcnt vmcnt(0)
	v_cmp_eq_u64_e32 vcc, v[20:21], v[22:23]
	s_and_saveexec_b64 s[14:15], vcc
	s_cbranch_execz .LBB1691_180
; %bb.173:
	s_add_u32 s12, s26, -1
	v_lshl_add_u64 v[18:19], v[18:19], 0, 8
	v_lshl_add_u64 v[20:21], v[16:17], 0, 8
	s_addc_u32 s13, s27, -1
	s_mov_b64 s[18:19], 0
	s_mov_b64 s[38:39], 0
                                        ; implicit-def: $sgpr36_sgpr37
	s_branch .LBB1691_176
.LBB1691_174:                           ;   in Loop: Header=BB1691_176 Depth=1
	global_load_dwordx2 v[22:23], v[20:21], off
	global_load_dwordx2 v[32:33], v[18:19], off
	s_add_u32 s38, s38, 1
	s_addc_u32 s39, s39, 0
	s_andn2_b64 s[36:37], s[36:37], exec
	v_lshl_add_u64 v[18:19], v[18:19], 0, 8
	v_lshl_add_u64 v[20:21], v[20:21], 0, 8
	s_waitcnt vmcnt(0)
	v_cmp_ne_u64_e32 vcc, v[22:23], v[32:33]
	s_and_b64 s[40:41], vcc, exec
	s_or_b64 s[36:37], s[36:37], s[40:41]
.LBB1691_175:                           ;   in Loop: Header=BB1691_176 Depth=1
	s_and_b64 s[40:41], exec, s[36:37]
	s_or_b64 s[18:19], s[40:41], s[18:19]
	v_mov_b64_e32 v[22:23], s[38:39]
	s_andn2_b64 exec, exec, s[18:19]
	s_cbranch_execz .LBB1691_179
.LBB1691_176:                           ; =>This Inner Loop Header: Depth=1
	s_or_b64 s[36:37], s[36:37], exec
	s_cmp_eq_u64 s[12:13], s[38:39]
	s_cbranch_scc0 .LBB1691_174
; %bb.177:                              ;   in Loop: Header=BB1691_176 Depth=1
                                        ; implicit-def: $vgpr18_vgpr19
                                        ; implicit-def: $vgpr20_vgpr21
	s_mov_b64 s[38:39], s[26:27]
	s_branch .LBB1691_175
.LBB1691_178:
                                        ; implicit-def: $sgpr18_sgpr19
                                        ; implicit-def: $vgpr34
                                        ; implicit-def: $vgpr33
                                        ; implicit-def: $vgpr32
                                        ; implicit-def: $vgpr20
                                        ; implicit-def: $vgpr16_vgpr17
	s_cbranch_execnz .LBB1691_238
	s_branch .LBB1691_318
.LBB1691_179:
	s_or_b64 exec, exec, s[18:19]
	v_cmp_gt_i64_e32 vcc, s[26:27], v[22:23]
	s_orn2_b64 s[12:13], vcc, exec
.LBB1691_180:
	s_or_b64 exec, exec, s[14:15]
.LBB1691_181:
	v_mul_lo_u32 v20, v3, s26
	v_mul_lo_u32 v21, v2, s27
	v_mad_u64_u32 v[18:19], s[14:15], v2, s26, 0
	v_add3_u32 v19, v19, v21, v20
	s_mov_b64 s[14:15], 0
	s_and_b64 vcc, exec, s[4:5]
	v_lshl_add_u64 v[18:19], v[18:19], 3, s[28:29]
	s_mov_b64 s[18:19], 0
	s_cbranch_vccnz .LBB1691_190
; %bb.182:
	global_load_dwordx2 v[20:21], v[18:19], off
	global_load_dwordx2 v[22:23], v[16:17], off
	s_mov_b64 s[18:19], -1
	s_waitcnt vmcnt(0)
	v_cmp_eq_u64_e32 vcc, v[20:21], v[22:23]
	s_and_saveexec_b64 s[36:37], vcc
	s_cbranch_execz .LBB1691_189
; %bb.183:
	s_add_u32 s18, s26, -1
	v_lshl_add_u64 v[16:17], v[16:17], 0, 8
	v_lshl_add_u64 v[20:21], v[18:19], 0, 8
	s_addc_u32 s19, s27, -1
	s_mov_b64 s[38:39], 0
	s_mov_b64 s[42:43], 0
                                        ; implicit-def: $sgpr40_sgpr41
	s_branch .LBB1691_186
.LBB1691_184:                           ;   in Loop: Header=BB1691_186 Depth=1
	global_load_dwordx2 v[22:23], v[20:21], off
	global_load_dwordx2 v[32:33], v[16:17], off
	s_add_u32 s42, s42, 1
	s_addc_u32 s43, s43, 0
	s_andn2_b64 s[40:41], s[40:41], exec
	v_lshl_add_u64 v[16:17], v[16:17], 0, 8
	v_lshl_add_u64 v[20:21], v[20:21], 0, 8
	s_waitcnt vmcnt(0)
	v_cmp_ne_u64_e32 vcc, v[22:23], v[32:33]
	s_and_b64 s[44:45], vcc, exec
	s_or_b64 s[40:41], s[40:41], s[44:45]
.LBB1691_185:                           ;   in Loop: Header=BB1691_186 Depth=1
	s_and_b64 s[44:45], exec, s[40:41]
	s_or_b64 s[38:39], s[44:45], s[38:39]
	v_mov_b64_e32 v[22:23], s[42:43]
	s_andn2_b64 exec, exec, s[38:39]
	s_cbranch_execz .LBB1691_188
.LBB1691_186:                           ; =>This Inner Loop Header: Depth=1
	s_or_b64 s[40:41], s[40:41], exec
	s_cmp_eq_u64 s[18:19], s[42:43]
	s_cbranch_scc0 .LBB1691_184
; %bb.187:                              ;   in Loop: Header=BB1691_186 Depth=1
                                        ; implicit-def: $vgpr16_vgpr17
                                        ; implicit-def: $vgpr20_vgpr21
	s_mov_b64 s[42:43], s[26:27]
	s_branch .LBB1691_185
.LBB1691_188:
	s_or_b64 exec, exec, s[38:39]
	v_cmp_gt_i64_e32 vcc, s[26:27], v[22:23]
	s_orn2_b64 s[18:19], vcc, exec
.LBB1691_189:
	s_or_b64 exec, exec, s[36:37]
.LBB1691_190:
	v_mul_lo_u32 v20, v9, s26
	v_mul_lo_u32 v21, v8, s27
	v_mad_u64_u32 v[16:17], s[36:37], v8, s26, 0
	v_add3_u32 v17, v17, v21, v20
	s_and_b64 vcc, exec, s[4:5]
	v_lshl_add_u64 v[16:17], v[16:17], 3, s[28:29]
	s_cbranch_vccnz .LBB1691_199
; %bb.191:
	global_load_dwordx2 v[20:21], v[16:17], off
	global_load_dwordx2 v[22:23], v[18:19], off
	s_mov_b64 s[14:15], -1
	s_waitcnt vmcnt(0)
	v_cmp_eq_u64_e32 vcc, v[20:21], v[22:23]
	s_and_saveexec_b64 s[36:37], vcc
	s_cbranch_execz .LBB1691_198
; %bb.192:
	s_add_u32 s14, s26, -1
	v_lshl_add_u64 v[18:19], v[18:19], 0, 8
	v_lshl_add_u64 v[20:21], v[16:17], 0, 8
	s_addc_u32 s15, s27, -1
	s_mov_b64 s[38:39], 0
	s_mov_b64 s[42:43], 0
                                        ; implicit-def: $sgpr40_sgpr41
	s_branch .LBB1691_195
.LBB1691_193:                           ;   in Loop: Header=BB1691_195 Depth=1
	global_load_dwordx2 v[22:23], v[20:21], off
	global_load_dwordx2 v[32:33], v[18:19], off
	s_add_u32 s42, s42, 1
	s_addc_u32 s43, s43, 0
	s_andn2_b64 s[40:41], s[40:41], exec
	v_lshl_add_u64 v[18:19], v[18:19], 0, 8
	v_lshl_add_u64 v[20:21], v[20:21], 0, 8
	s_waitcnt vmcnt(0)
	v_cmp_ne_u64_e32 vcc, v[22:23], v[32:33]
	s_and_b64 s[44:45], vcc, exec
	s_or_b64 s[40:41], s[40:41], s[44:45]
.LBB1691_194:                           ;   in Loop: Header=BB1691_195 Depth=1
	s_and_b64 s[44:45], exec, s[40:41]
	s_or_b64 s[38:39], s[44:45], s[38:39]
	v_mov_b64_e32 v[22:23], s[42:43]
	s_andn2_b64 exec, exec, s[38:39]
	s_cbranch_execz .LBB1691_197
.LBB1691_195:                           ; =>This Inner Loop Header: Depth=1
	s_or_b64 s[40:41], s[40:41], exec
	s_cmp_eq_u64 s[14:15], s[42:43]
	s_cbranch_scc0 .LBB1691_193
; %bb.196:                              ;   in Loop: Header=BB1691_195 Depth=1
                                        ; implicit-def: $vgpr18_vgpr19
                                        ; implicit-def: $vgpr20_vgpr21
	s_mov_b64 s[42:43], s[26:27]
	s_branch .LBB1691_194
.LBB1691_197:
	s_or_b64 exec, exec, s[38:39]
	v_cmp_gt_i64_e32 vcc, s[26:27], v[22:23]
	s_orn2_b64 s[14:15], vcc, exec
.LBB1691_198:
	s_or_b64 exec, exec, s[36:37]
.LBB1691_199:
	v_mul_lo_u32 v20, v7, s26
	v_mul_lo_u32 v21, v6, s27
	v_mad_u64_u32 v[18:19], s[36:37], v6, s26, 0
	v_add3_u32 v19, v19, v21, v20
	s_mov_b64 s[36:37], 0
	s_and_b64 vcc, exec, s[4:5]
	v_lshl_add_u64 v[18:19], v[18:19], 3, s[28:29]
	s_mov_b64 s[38:39], 0
	s_cbranch_vccnz .LBB1691_208
; %bb.200:
	global_load_dwordx2 v[20:21], v[18:19], off
	global_load_dwordx2 v[22:23], v[16:17], off
	s_mov_b64 s[38:39], -1
	s_waitcnt vmcnt(0)
	v_cmp_eq_u64_e32 vcc, v[20:21], v[22:23]
	s_and_saveexec_b64 s[40:41], vcc
	s_cbranch_execz .LBB1691_207
; %bb.201:
	s_add_u32 s38, s26, -1
	v_lshl_add_u64 v[16:17], v[16:17], 0, 8
	v_lshl_add_u64 v[20:21], v[18:19], 0, 8
	s_addc_u32 s39, s27, -1
	s_mov_b64 s[42:43], 0
	s_mov_b64 s[46:47], 0
                                        ; implicit-def: $sgpr44_sgpr45
	s_branch .LBB1691_204
.LBB1691_202:                           ;   in Loop: Header=BB1691_204 Depth=1
	global_load_dwordx2 v[22:23], v[20:21], off
	global_load_dwordx2 v[32:33], v[16:17], off
	s_add_u32 s46, s46, 1
	s_addc_u32 s47, s47, 0
	s_andn2_b64 s[44:45], s[44:45], exec
	v_lshl_add_u64 v[16:17], v[16:17], 0, 8
	v_lshl_add_u64 v[20:21], v[20:21], 0, 8
	s_waitcnt vmcnt(0)
	v_cmp_ne_u64_e32 vcc, v[22:23], v[32:33]
	s_and_b64 s[48:49], vcc, exec
	s_or_b64 s[44:45], s[44:45], s[48:49]
.LBB1691_203:                           ;   in Loop: Header=BB1691_204 Depth=1
	s_and_b64 s[48:49], exec, s[44:45]
	s_or_b64 s[42:43], s[48:49], s[42:43]
	v_mov_b64_e32 v[22:23], s[46:47]
	s_andn2_b64 exec, exec, s[42:43]
	s_cbranch_execz .LBB1691_206
.LBB1691_204:                           ; =>This Inner Loop Header: Depth=1
	s_or_b64 s[44:45], s[44:45], exec
	s_cmp_eq_u64 s[38:39], s[46:47]
	s_cbranch_scc0 .LBB1691_202
; %bb.205:                              ;   in Loop: Header=BB1691_204 Depth=1
                                        ; implicit-def: $vgpr16_vgpr17
                                        ; implicit-def: $vgpr20_vgpr21
	s_mov_b64 s[46:47], s[26:27]
	s_branch .LBB1691_203
.LBB1691_206:
	s_or_b64 exec, exec, s[42:43]
	v_cmp_gt_i64_e32 vcc, s[26:27], v[22:23]
	s_orn2_b64 s[38:39], vcc, exec
.LBB1691_207:
	s_or_b64 exec, exec, s[40:41]
.LBB1691_208:
	v_mul_lo_u32 v20, v13, s26
	v_mul_lo_u32 v21, v12, s27
	v_mad_u64_u32 v[16:17], s[40:41], v12, s26, 0
	v_add3_u32 v17, v17, v21, v20
	s_and_b64 vcc, exec, s[4:5]
	v_lshl_add_u64 v[16:17], v[16:17], 3, s[28:29]
	s_cbranch_vccnz .LBB1691_217
; %bb.209:
	global_load_dwordx2 v[20:21], v[16:17], off
	global_load_dwordx2 v[22:23], v[18:19], off
	s_mov_b64 s[36:37], -1
	s_waitcnt vmcnt(0)
	v_cmp_eq_u64_e32 vcc, v[20:21], v[22:23]
	s_and_saveexec_b64 s[40:41], vcc
	s_cbranch_execz .LBB1691_216
; %bb.210:
	s_add_u32 s36, s26, -1
	v_lshl_add_u64 v[18:19], v[18:19], 0, 8
	v_lshl_add_u64 v[20:21], v[16:17], 0, 8
	s_addc_u32 s37, s27, -1
	s_mov_b64 s[42:43], 0
	s_mov_b64 s[46:47], 0
                                        ; implicit-def: $sgpr44_sgpr45
	s_branch .LBB1691_213
.LBB1691_211:                           ;   in Loop: Header=BB1691_213 Depth=1
	global_load_dwordx2 v[22:23], v[20:21], off
	global_load_dwordx2 v[32:33], v[18:19], off
	s_add_u32 s46, s46, 1
	s_addc_u32 s47, s47, 0
	s_andn2_b64 s[44:45], s[44:45], exec
	v_lshl_add_u64 v[18:19], v[18:19], 0, 8
	v_lshl_add_u64 v[20:21], v[20:21], 0, 8
	s_waitcnt vmcnt(0)
	v_cmp_ne_u64_e32 vcc, v[22:23], v[32:33]
	s_and_b64 s[48:49], vcc, exec
	s_or_b64 s[44:45], s[44:45], s[48:49]
.LBB1691_212:                           ;   in Loop: Header=BB1691_213 Depth=1
	s_and_b64 s[48:49], exec, s[44:45]
	s_or_b64 s[42:43], s[48:49], s[42:43]
	v_mov_b64_e32 v[22:23], s[46:47]
	s_andn2_b64 exec, exec, s[42:43]
	s_cbranch_execz .LBB1691_215
.LBB1691_213:                           ; =>This Inner Loop Header: Depth=1
	s_or_b64 s[44:45], s[44:45], exec
	s_cmp_eq_u64 s[36:37], s[46:47]
	s_cbranch_scc0 .LBB1691_211
; %bb.214:                              ;   in Loop: Header=BB1691_213 Depth=1
                                        ; implicit-def: $vgpr18_vgpr19
                                        ; implicit-def: $vgpr20_vgpr21
	s_mov_b64 s[46:47], s[26:27]
	s_branch .LBB1691_212
.LBB1691_215:
	s_or_b64 exec, exec, s[42:43]
	v_cmp_gt_i64_e32 vcc, s[26:27], v[22:23]
	s_orn2_b64 s[36:37], vcc, exec
.LBB1691_216:
	s_or_b64 exec, exec, s[40:41]
.LBB1691_217:
	v_mul_lo_u32 v20, v11, s26
	v_mul_lo_u32 v21, v10, s27
	v_mad_u64_u32 v[18:19], s[40:41], v10, s26, 0
	v_add3_u32 v19, v19, v21, v20
	s_and_b64 vcc, exec, s[4:5]
	s_mov_b64 s[42:43], 0
	s_cbranch_vccnz .LBB1691_226
; %bb.218:
	v_lshl_add_u64 v[20:21], v[18:19], 3, s[28:29]
	global_load_dwordx2 v[22:23], v[20:21], off
	global_load_dwordx2 v[32:33], v[16:17], off
	s_mov_b64 s[42:43], -1
	s_waitcnt vmcnt(0)
	v_cmp_eq_u64_e32 vcc, v[22:23], v[32:33]
	s_and_saveexec_b64 s[40:41], vcc
	s_cbranch_execz .LBB1691_225
; %bb.219:
	s_add_u32 s42, s26, -1
	v_lshl_add_u64 v[16:17], v[16:17], 0, 8
	v_lshl_add_u64 v[20:21], v[20:21], 0, 8
	s_addc_u32 s43, s27, -1
	s_mov_b64 s[44:45], 0
	s_mov_b64 s[48:49], 0
                                        ; implicit-def: $sgpr46_sgpr47
	s_branch .LBB1691_222
.LBB1691_220:                           ;   in Loop: Header=BB1691_222 Depth=1
	global_load_dwordx2 v[22:23], v[20:21], off
	global_load_dwordx2 v[32:33], v[16:17], off
	s_add_u32 s48, s48, 1
	s_addc_u32 s49, s49, 0
	s_andn2_b64 s[46:47], s[46:47], exec
	v_lshl_add_u64 v[16:17], v[16:17], 0, 8
	v_lshl_add_u64 v[20:21], v[20:21], 0, 8
	s_waitcnt vmcnt(0)
	v_cmp_ne_u64_e32 vcc, v[22:23], v[32:33]
	s_and_b64 s[50:51], vcc, exec
	s_or_b64 s[46:47], s[46:47], s[50:51]
.LBB1691_221:                           ;   in Loop: Header=BB1691_222 Depth=1
	s_and_b64 s[50:51], exec, s[46:47]
	s_or_b64 s[44:45], s[50:51], s[44:45]
	v_mov_b64_e32 v[22:23], s[48:49]
	s_andn2_b64 exec, exec, s[44:45]
	s_cbranch_execz .LBB1691_224
.LBB1691_222:                           ; =>This Inner Loop Header: Depth=1
	s_or_b64 s[46:47], s[46:47], exec
	s_cmp_eq_u64 s[42:43], s[48:49]
	s_cbranch_scc0 .LBB1691_220
; %bb.223:                              ;   in Loop: Header=BB1691_222 Depth=1
                                        ; implicit-def: $vgpr16_vgpr17
                                        ; implicit-def: $vgpr20_vgpr21
	s_mov_b64 s[48:49], s[26:27]
	s_branch .LBB1691_221
.LBB1691_224:
	s_or_b64 exec, exec, s[44:45]
	v_cmp_gt_i64_e32 vcc, s[26:27], v[22:23]
	s_orn2_b64 s[42:43], vcc, exec
.LBB1691_225:
	s_or_b64 exec, exec, s[40:41]
.LBB1691_226:
	v_cndmask_b32_e64 v17, 0, 1, s[38:39]
	v_cndmask_b32_e64 v16, 0, 1, s[36:37]
	;; [unrolled: 1-line block ×3, first 2 shown]
	v_lshlrev_b16_e32 v17, 8, v17
	v_cndmask_b32_e64 v32, 0, 1, s[14:15]
	v_cndmask_b32_e64 v20, 0, 1, s[42:43]
	v_or_b32_sdwa v16, v16, v17 dst_sel:WORD_1 dst_unused:UNUSED_PAD src0_sel:DWORD src1_sel:DWORD
	v_lshlrev_b16_e32 v17, 8, v33
	v_lshlrev_b16_e32 v20, 8, v20
	v_or_b32_e32 v17, v32, v17
	v_or_b32_e32 v20, 1, v20
	v_and_b32_e32 v17, 0xffff, v17
	v_cndmask_b32_e64 v34, 0, 1, s[12:13]
	v_or_b32_sdwa v16, v20, v16 dst_sel:DWORD dst_unused:UNUSED_PAD src0_sel:WORD_0 src1_sel:DWORD
	v_lshl_or_b32 v17, v34, 16, v17
	v_cmp_ne_u32_e32 vcc, 0, v0
	s_waitcnt lgkmcnt(0)
	s_barrier
	s_waitcnt lgkmcnt(0)
                                        ; implicit-def: $sgpr18_sgpr19
                                        ; implicit-def: $vgpr20
	s_and_saveexec_b64 s[12:13], vcc
	s_xor_b64 s[12:13], exec, s[12:13]
	s_cbranch_execz .LBB1691_237
; %bb.227:
	s_mov_b32 s33, 0x3020104
	s_and_b64 vcc, exec, s[4:5]
	s_mov_b64 s[14:15], 0
	s_cbranch_vccnz .LBB1691_236
; %bb.228:
	v_add_u32_e32 v17, -8, v30
	ds_read_b64 v[20:21], v17
	v_lshl_add_u64 v[18:19], v[18:19], 3, s[28:29]
	s_mov_b64 s[14:15], -1
	s_waitcnt lgkmcnt(0)
	v_mul_lo_u32 v17, v21, s26
	v_mul_lo_u32 v22, v20, s27
	v_mad_u64_u32 v[20:21], s[4:5], v20, s26, 0
	v_add3_u32 v21, v21, v22, v17
	v_lshl_add_u64 v[20:21], v[20:21], 3, s[28:29]
	global_load_dwordx2 v[22:23], v[20:21], off
	global_load_dwordx2 v[36:37], v[18:19], off
	s_waitcnt vmcnt(0)
	v_cmp_eq_u64_e32 vcc, v[22:23], v[36:37]
	s_and_saveexec_b64 s[4:5], vcc
	s_cbranch_execz .LBB1691_235
; %bb.229:
	s_add_u32 s14, s26, -1
	v_lshl_add_u64 v[18:19], v[18:19], 0, 8
	v_lshl_add_u64 v[20:21], v[20:21], 0, 8
	s_addc_u32 s15, s27, -1
	s_mov_b64 s[18:19], 0
	s_mov_b64 s[38:39], 0
                                        ; implicit-def: $sgpr36_sgpr37
	s_branch .LBB1691_232
.LBB1691_230:                           ;   in Loop: Header=BB1691_232 Depth=1
	global_load_dwordx2 v[22:23], v[20:21], off
	global_load_dwordx2 v[36:37], v[18:19], off
	s_add_u32 s38, s38, 1
	s_addc_u32 s39, s39, 0
	s_andn2_b64 s[36:37], s[36:37], exec
	v_lshl_add_u64 v[18:19], v[18:19], 0, 8
	v_lshl_add_u64 v[20:21], v[20:21], 0, 8
	s_waitcnt vmcnt(0)
	v_cmp_ne_u64_e32 vcc, v[22:23], v[36:37]
	s_and_b64 s[40:41], vcc, exec
	s_or_b64 s[36:37], s[36:37], s[40:41]
.LBB1691_231:                           ;   in Loop: Header=BB1691_232 Depth=1
	s_and_b64 s[40:41], exec, s[36:37]
	s_or_b64 s[18:19], s[40:41], s[18:19]
	v_mov_b64_e32 v[22:23], s[38:39]
	s_andn2_b64 exec, exec, s[18:19]
	s_cbranch_execz .LBB1691_234
.LBB1691_232:                           ; =>This Inner Loop Header: Depth=1
	s_or_b64 s[36:37], s[36:37], exec
	s_cmp_eq_u64 s[14:15], s[38:39]
	s_cbranch_scc0 .LBB1691_230
; %bb.233:                              ;   in Loop: Header=BB1691_232 Depth=1
                                        ; implicit-def: $vgpr18_vgpr19
                                        ; implicit-def: $vgpr20_vgpr21
	s_mov_b64 s[38:39], s[26:27]
	s_branch .LBB1691_231
.LBB1691_234:
	s_or_b64 exec, exec, s[18:19]
	v_cmp_gt_i64_e32 vcc, s[26:27], v[22:23]
	s_orn2_b64 s[14:15], vcc, exec
.LBB1691_235:
	s_or_b64 exec, exec, s[4:5]
.LBB1691_236:
	v_perm_b32 v20, v16, v16, s33
	s_and_b64 s[18:19], s[14:15], exec
	s_or_b64 s[10:11], s[10:11], exec
                                        ; implicit-def: $vgpr16_vgpr17
.LBB1691_237:
	s_or_b64 exec, exec, s[12:13]
	s_branch .LBB1691_318
.LBB1691_238:
	v_cmp_gt_u32_e32 vcc, s3, v27
	s_mov_b64 s[12:13], 0
	s_mov_b64 s[4:5], 0
	s_and_saveexec_b64 s[14:15], vcc
	s_cbranch_execz .LBB1691_249
; %bb.239:
	s_andn2_b64 vcc, exec, s[6:7]
	s_mov_b64 s[18:19], 0
	s_cbranch_vccnz .LBB1691_248
; %bb.240:
	v_mul_lo_u32 v18, v5, s26
	v_mul_lo_u32 v19, v4, s27
	v_mad_u64_u32 v[16:17], s[4:5], v4, s26, 0
	v_add3_u32 v17, v17, v19, v18
	v_mul_lo_u32 v18, v15, s26
	v_mul_lo_u32 v19, v14, s27
	v_mad_u64_u32 v[20:21], s[4:5], v14, s26, 0
	v_add3_u32 v21, v21, v19, v18
	v_lshl_add_u64 v[18:19], v[16:17], 3, s[28:29]
	v_lshl_add_u64 v[16:17], v[20:21], 3, s[28:29]
	global_load_dwordx2 v[20:21], v[18:19], off
	global_load_dwordx2 v[22:23], v[16:17], off
	s_mov_b64 s[18:19], -1
	s_waitcnt vmcnt(0)
	v_cmp_eq_u64_e32 vcc, v[20:21], v[22:23]
	s_and_saveexec_b64 s[4:5], vcc
	s_cbranch_execz .LBB1691_247
; %bb.241:
	s_add_u32 s18, s26, -1
	v_lshl_add_u64 v[16:17], v[16:17], 0, 8
	v_lshl_add_u64 v[18:19], v[18:19], 0, 8
	s_addc_u32 s19, s27, -1
	s_mov_b64 s[36:37], 0
	s_mov_b64 s[40:41], 0
                                        ; implicit-def: $sgpr38_sgpr39
	s_branch .LBB1691_244
.LBB1691_242:                           ;   in Loop: Header=BB1691_244 Depth=1
	global_load_dwordx2 v[20:21], v[18:19], off
	global_load_dwordx2 v[22:23], v[16:17], off
	s_add_u32 s40, s40, 1
	s_addc_u32 s41, s41, 0
	s_andn2_b64 s[38:39], s[38:39], exec
	v_lshl_add_u64 v[16:17], v[16:17], 0, 8
	v_lshl_add_u64 v[18:19], v[18:19], 0, 8
	s_waitcnt vmcnt(0)
	v_cmp_ne_u64_e32 vcc, v[20:21], v[22:23]
	s_and_b64 s[42:43], vcc, exec
	s_or_b64 s[38:39], s[38:39], s[42:43]
.LBB1691_243:                           ;   in Loop: Header=BB1691_244 Depth=1
	s_and_b64 s[42:43], exec, s[38:39]
	s_or_b64 s[36:37], s[42:43], s[36:37]
	v_mov_b64_e32 v[20:21], s[40:41]
	s_andn2_b64 exec, exec, s[36:37]
	s_cbranch_execz .LBB1691_246
.LBB1691_244:                           ; =>This Inner Loop Header: Depth=1
	s_or_b64 s[38:39], s[38:39], exec
	s_cmp_eq_u64 s[18:19], s[40:41]
	s_cbranch_scc0 .LBB1691_242
; %bb.245:                              ;   in Loop: Header=BB1691_244 Depth=1
                                        ; implicit-def: $vgpr16_vgpr17
                                        ; implicit-def: $vgpr18_vgpr19
	s_mov_b64 s[40:41], s[26:27]
	s_branch .LBB1691_243
.LBB1691_246:
	s_or_b64 exec, exec, s[36:37]
	v_cmp_gt_i64_e32 vcc, s[26:27], v[20:21]
	s_orn2_b64 s[18:19], vcc, exec
.LBB1691_247:
	s_or_b64 exec, exec, s[4:5]
.LBB1691_248:
	s_and_b64 s[4:5], s[18:19], exec
.LBB1691_249:
	s_or_b64 exec, exec, s[14:15]
	v_cmp_gt_u32_e32 vcc, s3, v29
	s_and_saveexec_b64 s[14:15], vcc
	s_cbranch_execz .LBB1691_260
; %bb.250:
	s_andn2_b64 vcc, exec, s[6:7]
	s_mov_b64 s[18:19], 0
	s_cbranch_vccnz .LBB1691_259
; %bb.251:
	v_mul_lo_u32 v18, v3, s26
	v_mul_lo_u32 v19, v2, s27
	v_mad_u64_u32 v[16:17], s[12:13], v2, s26, 0
	v_add3_u32 v17, v17, v19, v18
	v_mul_lo_u32 v18, v5, s26
	v_mul_lo_u32 v19, v4, s27
	v_mad_u64_u32 v[20:21], s[12:13], v4, s26, 0
	v_add3_u32 v21, v21, v19, v18
	v_lshl_add_u64 v[18:19], v[16:17], 3, s[28:29]
	v_lshl_add_u64 v[16:17], v[20:21], 3, s[28:29]
	global_load_dwordx2 v[20:21], v[18:19], off
	global_load_dwordx2 v[22:23], v[16:17], off
	s_mov_b64 s[18:19], -1
	s_waitcnt vmcnt(0)
	v_cmp_eq_u64_e32 vcc, v[20:21], v[22:23]
	s_and_saveexec_b64 s[12:13], vcc
	s_cbranch_execz .LBB1691_258
; %bb.252:
	s_add_u32 s18, s26, -1
	v_lshl_add_u64 v[16:17], v[16:17], 0, 8
	v_lshl_add_u64 v[18:19], v[18:19], 0, 8
	s_addc_u32 s19, s27, -1
	s_mov_b64 s[36:37], 0
	s_mov_b64 s[40:41], 0
                                        ; implicit-def: $sgpr38_sgpr39
	s_branch .LBB1691_255
.LBB1691_253:                           ;   in Loop: Header=BB1691_255 Depth=1
	global_load_dwordx2 v[20:21], v[18:19], off
	global_load_dwordx2 v[22:23], v[16:17], off
	s_add_u32 s40, s40, 1
	s_addc_u32 s41, s41, 0
	s_andn2_b64 s[38:39], s[38:39], exec
	v_lshl_add_u64 v[16:17], v[16:17], 0, 8
	v_lshl_add_u64 v[18:19], v[18:19], 0, 8
	s_waitcnt vmcnt(0)
	v_cmp_ne_u64_e32 vcc, v[20:21], v[22:23]
	s_and_b64 s[42:43], vcc, exec
	s_or_b64 s[38:39], s[38:39], s[42:43]
.LBB1691_254:                           ;   in Loop: Header=BB1691_255 Depth=1
	s_and_b64 s[42:43], exec, s[38:39]
	s_or_b64 s[36:37], s[42:43], s[36:37]
	v_mov_b64_e32 v[20:21], s[40:41]
	s_andn2_b64 exec, exec, s[36:37]
	s_cbranch_execz .LBB1691_257
.LBB1691_255:                           ; =>This Inner Loop Header: Depth=1
	s_or_b64 s[38:39], s[38:39], exec
	s_cmp_eq_u64 s[18:19], s[40:41]
	s_cbranch_scc0 .LBB1691_253
; %bb.256:                              ;   in Loop: Header=BB1691_255 Depth=1
                                        ; implicit-def: $vgpr16_vgpr17
                                        ; implicit-def: $vgpr18_vgpr19
	s_mov_b64 s[40:41], s[26:27]
	s_branch .LBB1691_254
.LBB1691_257:
	s_or_b64 exec, exec, s[36:37]
	v_cmp_gt_i64_e32 vcc, s[26:27], v[20:21]
	s_orn2_b64 s[18:19], vcc, exec
.LBB1691_258:
	s_or_b64 exec, exec, s[12:13]
.LBB1691_259:
	s_and_b64 s[12:13], s[18:19], exec
.LBB1691_260:
	s_or_b64 exec, exec, s[14:15]
	v_cmp_gt_u32_e32 vcc, s3, v26
	s_mov_b64 s[18:19], 0
	s_mov_b64 s[14:15], 0
	s_and_saveexec_b64 s[36:37], vcc
	s_cbranch_execz .LBB1691_271
; %bb.261:
	s_andn2_b64 vcc, exec, s[6:7]
	s_mov_b64 s[38:39], 0
	s_cbranch_vccnz .LBB1691_270
; %bb.262:
	v_mul_lo_u32 v18, v9, s26
	v_mul_lo_u32 v19, v8, s27
	v_mad_u64_u32 v[16:17], s[14:15], v8, s26, 0
	v_add3_u32 v17, v17, v19, v18
	v_mul_lo_u32 v18, v3, s26
	v_mul_lo_u32 v19, v2, s27
	v_mad_u64_u32 v[20:21], s[14:15], v2, s26, 0
	v_add3_u32 v21, v21, v19, v18
	v_lshl_add_u64 v[18:19], v[16:17], 3, s[28:29]
	v_lshl_add_u64 v[16:17], v[20:21], 3, s[28:29]
	global_load_dwordx2 v[20:21], v[18:19], off
	global_load_dwordx2 v[22:23], v[16:17], off
	s_mov_b64 s[38:39], -1
	s_waitcnt vmcnt(0)
	v_cmp_eq_u64_e32 vcc, v[20:21], v[22:23]
	s_and_saveexec_b64 s[14:15], vcc
	s_cbranch_execz .LBB1691_269
; %bb.263:
	s_add_u32 s38, s26, -1
	v_lshl_add_u64 v[16:17], v[16:17], 0, 8
	v_lshl_add_u64 v[18:19], v[18:19], 0, 8
	s_addc_u32 s39, s27, -1
	s_mov_b64 s[40:41], 0
	s_mov_b64 s[44:45], 0
                                        ; implicit-def: $sgpr42_sgpr43
	s_branch .LBB1691_266
.LBB1691_264:                           ;   in Loop: Header=BB1691_266 Depth=1
	global_load_dwordx2 v[20:21], v[18:19], off
	global_load_dwordx2 v[22:23], v[16:17], off
	s_add_u32 s44, s44, 1
	s_addc_u32 s45, s45, 0
	s_andn2_b64 s[42:43], s[42:43], exec
	v_lshl_add_u64 v[16:17], v[16:17], 0, 8
	v_lshl_add_u64 v[18:19], v[18:19], 0, 8
	s_waitcnt vmcnt(0)
	v_cmp_ne_u64_e32 vcc, v[20:21], v[22:23]
	s_and_b64 s[46:47], vcc, exec
	s_or_b64 s[42:43], s[42:43], s[46:47]
.LBB1691_265:                           ;   in Loop: Header=BB1691_266 Depth=1
	s_and_b64 s[46:47], exec, s[42:43]
	s_or_b64 s[40:41], s[46:47], s[40:41]
	v_mov_b64_e32 v[20:21], s[44:45]
	s_andn2_b64 exec, exec, s[40:41]
	s_cbranch_execz .LBB1691_268
.LBB1691_266:                           ; =>This Inner Loop Header: Depth=1
	s_or_b64 s[42:43], s[42:43], exec
	s_cmp_eq_u64 s[38:39], s[44:45]
	s_cbranch_scc0 .LBB1691_264
; %bb.267:                              ;   in Loop: Header=BB1691_266 Depth=1
                                        ; implicit-def: $vgpr16_vgpr17
                                        ; implicit-def: $vgpr18_vgpr19
	s_mov_b64 s[44:45], s[26:27]
	s_branch .LBB1691_265
.LBB1691_268:
	s_or_b64 exec, exec, s[40:41]
	v_cmp_gt_i64_e32 vcc, s[26:27], v[20:21]
	s_orn2_b64 s[38:39], vcc, exec
.LBB1691_269:
	s_or_b64 exec, exec, s[14:15]
.LBB1691_270:
	s_and_b64 s[14:15], s[38:39], exec
.LBB1691_271:
	s_or_b64 exec, exec, s[36:37]
	v_cmp_gt_u32_e32 vcc, s3, v28
	s_and_saveexec_b64 s[36:37], vcc
	s_cbranch_execz .LBB1691_282
; %bb.272:
	s_andn2_b64 vcc, exec, s[6:7]
	s_mov_b64 s[38:39], 0
	s_cbranch_vccnz .LBB1691_281
; %bb.273:
	v_mul_lo_u32 v18, v7, s26
	v_mul_lo_u32 v19, v6, s27
	v_mad_u64_u32 v[16:17], s[18:19], v6, s26, 0
	v_add3_u32 v17, v17, v19, v18
	v_mul_lo_u32 v18, v9, s26
	v_mul_lo_u32 v19, v8, s27
	v_mad_u64_u32 v[20:21], s[18:19], v8, s26, 0
	v_add3_u32 v21, v21, v19, v18
	v_lshl_add_u64 v[18:19], v[16:17], 3, s[28:29]
	v_lshl_add_u64 v[16:17], v[20:21], 3, s[28:29]
	global_load_dwordx2 v[20:21], v[18:19], off
	global_load_dwordx2 v[22:23], v[16:17], off
	s_mov_b64 s[38:39], -1
	s_waitcnt vmcnt(0)
	v_cmp_eq_u64_e32 vcc, v[20:21], v[22:23]
	s_and_saveexec_b64 s[18:19], vcc
	s_cbranch_execz .LBB1691_280
; %bb.274:
	s_add_u32 s38, s26, -1
	v_lshl_add_u64 v[16:17], v[16:17], 0, 8
	v_lshl_add_u64 v[18:19], v[18:19], 0, 8
	s_addc_u32 s39, s27, -1
	s_mov_b64 s[40:41], 0
	s_mov_b64 s[44:45], 0
                                        ; implicit-def: $sgpr42_sgpr43
	s_branch .LBB1691_277
.LBB1691_275:                           ;   in Loop: Header=BB1691_277 Depth=1
	global_load_dwordx2 v[20:21], v[18:19], off
	global_load_dwordx2 v[22:23], v[16:17], off
	s_add_u32 s44, s44, 1
	s_addc_u32 s45, s45, 0
	s_andn2_b64 s[42:43], s[42:43], exec
	v_lshl_add_u64 v[16:17], v[16:17], 0, 8
	v_lshl_add_u64 v[18:19], v[18:19], 0, 8
	s_waitcnt vmcnt(0)
	v_cmp_ne_u64_e32 vcc, v[20:21], v[22:23]
	s_and_b64 s[46:47], vcc, exec
	s_or_b64 s[42:43], s[42:43], s[46:47]
.LBB1691_276:                           ;   in Loop: Header=BB1691_277 Depth=1
	s_and_b64 s[46:47], exec, s[42:43]
	s_or_b64 s[40:41], s[46:47], s[40:41]
	v_mov_b64_e32 v[20:21], s[44:45]
	s_andn2_b64 exec, exec, s[40:41]
	s_cbranch_execz .LBB1691_279
.LBB1691_277:                           ; =>This Inner Loop Header: Depth=1
	s_or_b64 s[42:43], s[42:43], exec
	s_cmp_eq_u64 s[38:39], s[44:45]
	s_cbranch_scc0 .LBB1691_275
; %bb.278:                              ;   in Loop: Header=BB1691_277 Depth=1
                                        ; implicit-def: $vgpr16_vgpr17
                                        ; implicit-def: $vgpr18_vgpr19
	s_mov_b64 s[44:45], s[26:27]
	s_branch .LBB1691_276
.LBB1691_279:
	s_or_b64 exec, exec, s[40:41]
	v_cmp_gt_i64_e32 vcc, s[26:27], v[20:21]
	s_orn2_b64 s[38:39], vcc, exec
.LBB1691_280:
	s_or_b64 exec, exec, s[18:19]
.LBB1691_281:
	s_and_b64 s[18:19], s[38:39], exec
.LBB1691_282:
	s_or_b64 exec, exec, s[36:37]
	v_cmp_gt_u32_e32 vcc, s3, v24
	s_mov_b64 s[36:37], 0
	s_mov_b64 s[38:39], 0
	s_and_saveexec_b64 s[40:41], vcc
	s_cbranch_execz .LBB1691_293
; %bb.283:
	s_andn2_b64 vcc, exec, s[6:7]
	s_mov_b64 s[42:43], 0
	s_cbranch_vccnz .LBB1691_292
; %bb.284:
	v_mul_lo_u32 v18, v13, s26
	v_mul_lo_u32 v19, v12, s27
	v_mad_u64_u32 v[16:17], s[38:39], v12, s26, 0
	v_add3_u32 v17, v17, v19, v18
	v_mul_lo_u32 v18, v7, s26
	v_mul_lo_u32 v19, v6, s27
	v_mad_u64_u32 v[20:21], s[38:39], v6, s26, 0
	v_add3_u32 v21, v21, v19, v18
	v_lshl_add_u64 v[18:19], v[16:17], 3, s[28:29]
	v_lshl_add_u64 v[16:17], v[20:21], 3, s[28:29]
	global_load_dwordx2 v[20:21], v[18:19], off
	global_load_dwordx2 v[22:23], v[16:17], off
	s_mov_b64 s[42:43], -1
	s_waitcnt vmcnt(0)
	v_cmp_eq_u64_e32 vcc, v[20:21], v[22:23]
	s_and_saveexec_b64 s[38:39], vcc
	s_cbranch_execz .LBB1691_291
; %bb.285:
	s_add_u32 s42, s26, -1
	v_lshl_add_u64 v[16:17], v[16:17], 0, 8
	v_lshl_add_u64 v[18:19], v[18:19], 0, 8
	s_addc_u32 s43, s27, -1
	s_mov_b64 s[44:45], 0
	s_mov_b64 s[48:49], 0
                                        ; implicit-def: $sgpr46_sgpr47
	s_branch .LBB1691_288
.LBB1691_286:                           ;   in Loop: Header=BB1691_288 Depth=1
	global_load_dwordx2 v[20:21], v[18:19], off
	global_load_dwordx2 v[22:23], v[16:17], off
	s_add_u32 s48, s48, 1
	s_addc_u32 s49, s49, 0
	s_andn2_b64 s[46:47], s[46:47], exec
	v_lshl_add_u64 v[16:17], v[16:17], 0, 8
	v_lshl_add_u64 v[18:19], v[18:19], 0, 8
	s_waitcnt vmcnt(0)
	v_cmp_ne_u64_e32 vcc, v[20:21], v[22:23]
	s_and_b64 s[50:51], vcc, exec
	s_or_b64 s[46:47], s[46:47], s[50:51]
.LBB1691_287:                           ;   in Loop: Header=BB1691_288 Depth=1
	s_and_b64 s[50:51], exec, s[46:47]
	s_or_b64 s[44:45], s[50:51], s[44:45]
	v_mov_b64_e32 v[20:21], s[48:49]
	s_andn2_b64 exec, exec, s[44:45]
	s_cbranch_execz .LBB1691_290
.LBB1691_288:                           ; =>This Inner Loop Header: Depth=1
	s_or_b64 s[46:47], s[46:47], exec
	s_cmp_eq_u64 s[42:43], s[48:49]
	s_cbranch_scc0 .LBB1691_286
; %bb.289:                              ;   in Loop: Header=BB1691_288 Depth=1
                                        ; implicit-def: $vgpr16_vgpr17
                                        ; implicit-def: $vgpr18_vgpr19
	s_mov_b64 s[48:49], s[26:27]
	s_branch .LBB1691_287
.LBB1691_290:
	s_or_b64 exec, exec, s[44:45]
	v_cmp_gt_i64_e32 vcc, s[26:27], v[20:21]
	s_orn2_b64 s[42:43], vcc, exec
.LBB1691_291:
	s_or_b64 exec, exec, s[38:39]
.LBB1691_292:
	s_and_b64 s[38:39], s[42:43], exec
.LBB1691_293:
	s_or_b64 exec, exec, s[40:41]
	v_cmp_gt_u32_e32 vcc, s3, v25
	s_and_saveexec_b64 s[40:41], vcc
	s_cbranch_execz .LBB1691_304
; %bb.294:
	s_andn2_b64 vcc, exec, s[6:7]
	s_mov_b64 s[42:43], 0
	s_cbranch_vccnz .LBB1691_303
; %bb.295:
	v_mul_lo_u32 v18, v11, s26
	v_mul_lo_u32 v19, v10, s27
	v_mad_u64_u32 v[16:17], s[36:37], v10, s26, 0
	v_add3_u32 v17, v17, v19, v18
	v_mul_lo_u32 v18, v13, s26
	v_mul_lo_u32 v19, v12, s27
	v_mad_u64_u32 v[20:21], s[36:37], v12, s26, 0
	v_add3_u32 v21, v21, v19, v18
	v_lshl_add_u64 v[18:19], v[16:17], 3, s[28:29]
	v_lshl_add_u64 v[16:17], v[20:21], 3, s[28:29]
	global_load_dwordx2 v[20:21], v[18:19], off
	global_load_dwordx2 v[22:23], v[16:17], off
	s_mov_b64 s[42:43], -1
	s_waitcnt vmcnt(0)
	v_cmp_eq_u64_e32 vcc, v[20:21], v[22:23]
	s_and_saveexec_b64 s[36:37], vcc
	s_cbranch_execz .LBB1691_302
; %bb.296:
	s_add_u32 s42, s26, -1
	v_lshl_add_u64 v[16:17], v[16:17], 0, 8
	v_lshl_add_u64 v[18:19], v[18:19], 0, 8
	s_addc_u32 s43, s27, -1
	s_mov_b64 s[44:45], 0
	s_mov_b64 s[48:49], 0
                                        ; implicit-def: $sgpr46_sgpr47
	s_branch .LBB1691_299
.LBB1691_297:                           ;   in Loop: Header=BB1691_299 Depth=1
	global_load_dwordx2 v[20:21], v[18:19], off
	global_load_dwordx2 v[22:23], v[16:17], off
	s_add_u32 s48, s48, 1
	s_addc_u32 s49, s49, 0
	s_andn2_b64 s[46:47], s[46:47], exec
	v_lshl_add_u64 v[16:17], v[16:17], 0, 8
	v_lshl_add_u64 v[18:19], v[18:19], 0, 8
	s_waitcnt vmcnt(0)
	v_cmp_ne_u64_e32 vcc, v[20:21], v[22:23]
	s_and_b64 s[50:51], vcc, exec
	s_or_b64 s[46:47], s[46:47], s[50:51]
.LBB1691_298:                           ;   in Loop: Header=BB1691_299 Depth=1
	s_and_b64 s[50:51], exec, s[46:47]
	s_or_b64 s[44:45], s[50:51], s[44:45]
	v_mov_b64_e32 v[20:21], s[48:49]
	s_andn2_b64 exec, exec, s[44:45]
	s_cbranch_execz .LBB1691_301
.LBB1691_299:                           ; =>This Inner Loop Header: Depth=1
	s_or_b64 s[46:47], s[46:47], exec
	s_cmp_eq_u64 s[42:43], s[48:49]
	s_cbranch_scc0 .LBB1691_297
; %bb.300:                              ;   in Loop: Header=BB1691_299 Depth=1
                                        ; implicit-def: $vgpr16_vgpr17
                                        ; implicit-def: $vgpr18_vgpr19
	s_mov_b64 s[48:49], s[26:27]
	s_branch .LBB1691_298
.LBB1691_301:
	s_or_b64 exec, exec, s[44:45]
	v_cmp_gt_i64_e32 vcc, s[26:27], v[20:21]
	s_orn2_b64 s[42:43], vcc, exec
.LBB1691_302:
	s_or_b64 exec, exec, s[36:37]
.LBB1691_303:
	s_and_b64 s[36:37], s[42:43], exec
.LBB1691_304:
	s_or_b64 exec, exec, s[40:41]
	v_cndmask_b32_e64 v17, 0, 1, s[18:19]
	v_cndmask_b32_e64 v16, 0, 1, s[38:39]
	;; [unrolled: 1-line block ×3, first 2 shown]
	v_lshlrev_b16_e32 v17, 8, v17
	v_cndmask_b32_e64 v32, 0, 1, s[14:15]
	v_cndmask_b32_e64 v18, 0, 1, s[36:37]
	v_or_b32_sdwa v16, v16, v17 dst_sel:WORD_1 dst_unused:UNUSED_PAD src0_sel:DWORD src1_sel:DWORD
	v_lshlrev_b16_e32 v17, 8, v33
	v_lshlrev_b16_e32 v18, 8, v18
	v_or_b32_e32 v17, v32, v17
	v_or_b32_e32 v18, 1, v18
	v_and_b32_e32 v17, 0xffff, v17
	v_cndmask_b32_e64 v34, 0, 1, s[4:5]
	v_or_b32_sdwa v16, v18, v16 dst_sel:DWORD dst_unused:UNUSED_PAD src0_sel:WORD_0 src1_sel:DWORD
	v_lshl_or_b32 v17, v34, 16, v17
	v_cmp_ne_u32_e32 vcc, 0, v0
	s_waitcnt lgkmcnt(0)
	s_barrier
	s_waitcnt lgkmcnt(0)
                                        ; implicit-def: $sgpr18_sgpr19
                                        ; implicit-def: $vgpr20
	s_and_saveexec_b64 s[4:5], vcc
	s_cbranch_execz .LBB1691_317
; %bb.305:
	v_cmp_gt_u32_e32 vcc, s3, v1
	s_mov_b32 s33, 0x3020104
	s_mov_b64 s[14:15], 0
	s_and_saveexec_b64 s[12:13], vcc
	s_cbranch_execz .LBB1691_316
; %bb.306:
	s_andn2_b64 vcc, exec, s[6:7]
	s_cbranch_vccnz .LBB1691_315
; %bb.307:
	v_add_u32_e32 v17, -8, v30
	ds_read_b64 v[18:19], v17
	v_mul_lo_u32 v17, v11, s26
	v_mad_u64_u32 v[22:23], s[6:7], v10, s26, 0
	s_mov_b64 s[14:15], -1
	s_waitcnt lgkmcnt(0)
	v_mul_lo_u32 v20, v19, s26
	v_mul_lo_u32 v21, v18, s27
	v_mad_u64_u32 v[18:19], s[6:7], v18, s26, 0
	v_add3_u32 v19, v19, v21, v20
	v_mul_lo_u32 v20, v10, s27
	v_add3_u32 v23, v23, v20, v17
	v_lshl_add_u64 v[20:21], v[18:19], 3, s[28:29]
	v_lshl_add_u64 v[18:19], v[22:23], 3, s[28:29]
	global_load_dwordx2 v[22:23], v[20:21], off
	global_load_dwordx2 v[30:31], v[18:19], off
	s_waitcnt vmcnt(0)
	v_cmp_eq_u64_e32 vcc, v[22:23], v[30:31]
	s_and_saveexec_b64 s[6:7], vcc
	s_cbranch_execz .LBB1691_314
; %bb.308:
	s_add_u32 s14, s26, -1
	v_lshl_add_u64 v[18:19], v[18:19], 0, 8
	v_lshl_add_u64 v[20:21], v[20:21], 0, 8
	s_addc_u32 s15, s27, -1
	s_mov_b64 s[18:19], 0
	s_mov_b64 s[36:37], 0
                                        ; implicit-def: $sgpr28_sgpr29
	s_branch .LBB1691_311
.LBB1691_309:                           ;   in Loop: Header=BB1691_311 Depth=1
	global_load_dwordx2 v[22:23], v[20:21], off
	global_load_dwordx2 v[30:31], v[18:19], off
	s_add_u32 s36, s36, 1
	s_addc_u32 s37, s37, 0
	s_andn2_b64 s[28:29], s[28:29], exec
	v_lshl_add_u64 v[18:19], v[18:19], 0, 8
	v_lshl_add_u64 v[20:21], v[20:21], 0, 8
	s_waitcnt vmcnt(0)
	v_cmp_ne_u64_e32 vcc, v[22:23], v[30:31]
	s_and_b64 s[38:39], vcc, exec
	s_or_b64 s[28:29], s[28:29], s[38:39]
.LBB1691_310:                           ;   in Loop: Header=BB1691_311 Depth=1
	s_and_b64 s[38:39], exec, s[28:29]
	s_or_b64 s[18:19], s[38:39], s[18:19]
	v_mov_b64_e32 v[22:23], s[36:37]
	s_andn2_b64 exec, exec, s[18:19]
	s_cbranch_execz .LBB1691_313
.LBB1691_311:                           ; =>This Inner Loop Header: Depth=1
	s_or_b64 s[28:29], s[28:29], exec
	s_cmp_eq_u64 s[14:15], s[36:37]
	s_cbranch_scc0 .LBB1691_309
; %bb.312:                              ;   in Loop: Header=BB1691_311 Depth=1
                                        ; implicit-def: $vgpr18_vgpr19
                                        ; implicit-def: $vgpr20_vgpr21
	s_mov_b64 s[36:37], s[26:27]
	s_branch .LBB1691_310
.LBB1691_313:
	s_or_b64 exec, exec, s[18:19]
	v_cmp_gt_i64_e32 vcc, s[26:27], v[22:23]
	s_orn2_b64 s[14:15], vcc, exec
.LBB1691_314:
	s_or_b64 exec, exec, s[6:7]
.LBB1691_315:
	s_and_b64 s[14:15], s[14:15], exec
.LBB1691_316:
	s_or_b64 exec, exec, s[12:13]
	v_perm_b32 v20, v16, v16, s33
	s_and_b64 s[18:19], s[14:15], exec
	s_or_b64 s[10:11], s[10:11], exec
                                        ; implicit-def: $vgpr16_vgpr17
.LBB1691_317:
	s_or_b64 exec, exec, s[4:5]
.LBB1691_318:
	s_and_saveexec_b64 s[4:5], s[10:11]
	s_cbranch_execz .LBB1691_320
; %bb.319:
	s_waitcnt lgkmcnt(0)
	v_lshlrev_b16_e32 v17, 8, v33
	v_and_b32_e32 v18, 0xff, v34
	v_or_b32_sdwa v17, v32, v17 dst_sel:DWORD dst_unused:UNUSED_PAD src0_sel:BYTE_0 src1_sel:DWORD
	v_lshlrev_b32_e32 v18, 16, v18
	s_movk_i32 s6, 0xff
	v_or_b32_sdwa v17, v17, v18 dst_sel:DWORD dst_unused:UNUSED_PAD src0_sel:WORD_0 src1_sel:DWORD
	v_lshrrev_b32_e32 v18, 24, v20
	v_lshlrev_b16_e32 v18, 8, v18
	v_and_b32_sdwa v19, v20, s6 dst_sel:DWORD dst_unused:UNUSED_PAD src0_sel:WORD_1 src1_sel:DWORD
	v_or_b32_sdwa v18, v19, v18 dst_sel:WORD_1 dst_unused:UNUSED_PAD src0_sel:DWORD src1_sel:DWORD
	v_mov_b32_e32 v19, 8
	v_cndmask_b32_e64 v16, 0, 1, s[18:19]
	v_lshrrev_b32_sdwa v19, v19, v20 dst_sel:BYTE_1 dst_unused:UNUSED_PAD src0_sel:DWORD src1_sel:DWORD
	s_nop 0
	v_or_b32_e32 v16, v16, v19
	v_or_b32_sdwa v16, v16, v18 dst_sel:DWORD dst_unused:UNUSED_PAD src0_sel:WORD_0 src1_sel:DWORD
.LBB1691_320:
	s_or_b64 exec, exec, s[4:5]
	s_andn2_b64 vcc, exec, s[8:9]
	s_cbranch_vccnz .LBB1691_322
; %bb.321:
	s_waitcnt lgkmcnt(0)
	v_and_b32_e32 v18, 0xffff0000, v16
	v_cmp_gt_u32_e32 vcc, s3, v1
	s_mov_b32 s4, 0x40c0100
	s_nop 0
	v_cndmask_b32_e32 v1, v18, v16, vcc
	v_and_b32_e32 v1, 0xffff00ff, v1
	v_cmp_gt_u32_e32 vcc, s3, v25
	s_nop 1
	v_cndmask_b32_e32 v1, v1, v16, vcc
	v_lshrrev_b32_e32 v18, 24, v1
	v_perm_b32 v1, v18, v1, s4
	v_cmp_gt_u32_e32 vcc, s3, v24
	v_and_b32_e32 v18, 0xffffff00, v17
	s_nop 0
	v_cndmask_b32_e32 v1, v1, v16, vcc
	v_and_b32_e32 v1, 0xffffff, v1
	v_cmp_gt_u32_e32 vcc, s3, v28
	s_nop 1
	v_cndmask_b32_e32 v1, v1, v16, vcc
	v_cmp_gt_u32_e32 vcc, s3, v26
	s_nop 1
	v_cndmask_b32_e32 v18, v18, v17, vcc
	v_and_b32_e32 v18, 0xffff00ff, v18
	v_cndmask_b32_e32 v1, v1, v16, vcc
	v_cmp_gt_u32_e32 vcc, s3, v29
	s_nop 1
	v_cndmask_b32_e32 v18, v18, v17, vcc
	v_lshrrev_b32_e32 v19, 24, v18
	v_cndmask_b32_e32 v1, v1, v16, vcc
	v_perm_b32 v18, v19, v18, s4
	v_cmp_gt_u32_e32 vcc, s3, v27
	s_mov_b32 s3, 0x3020104
	s_nop 0
	v_cndmask_b32_e32 v1, v1, v16, vcc
	v_cndmask_b32_e32 v16, v18, v17, vcc
	v_mov_b32_e32 v17, 8
	v_lshrrev_b32_sdwa v17, v17, v16 dst_sel:BYTE_1 dst_unused:UNUSED_PAD src0_sel:DWORD src1_sel:DWORD
	s_nop 0
	v_or_b32_sdwa v17, v16, v17 dst_sel:DWORD dst_unused:UNUSED_PAD src0_sel:BYTE_0 src1_sel:DWORD
	v_and_b32_e32 v17, 0xffff, v17
	v_bfe_u32 v16, v16, 16, 8
	v_lshl_or_b32 v17, v16, 16, v17
	v_perm_b32 v16, v1, v1, s3
.LBB1691_322:
	s_waitcnt lgkmcnt(0)
	v_and_b32_e32 v1, 0xff, v16
	v_bfe_u32 v29, v16, 8, 8
	v_bfe_u32 v31, v16, 16, 8
	v_alignbit_b32 v18, v17, v16, 24
	v_and_b32_e32 v33, 0xff, v18
	v_and_b32_e32 v35, 0xff, v17
	v_add3_u32 v19, v29, v1, v31
	v_bfe_u32 v36, v17, 8, 8
	v_bfe_u32 v18, v17, 16, 8
	v_add3_u32 v19, v19, v33, v35
	v_add3_u32 v39, v19, v36, v18
	v_mbcnt_lo_u32_b32 v18, -1, 0
	v_mbcnt_hi_u32_b32 v37, -1, v18
	v_and_b32_e32 v18, 15, v37
	v_cmp_eq_u32_e64 s[14:15], 0, v18
	v_cmp_lt_u32_e64 s[12:13], 1, v18
	v_cmp_lt_u32_e64 s[10:11], 3, v18
	;; [unrolled: 1-line block ×3, first 2 shown]
	v_and_b32_e32 v18, 16, v37
	v_cmp_eq_u32_e64 s[6:7], 0, v18
	v_or_b32_e32 v18, 63, v0
	v_cmp_lt_u32_e64 s[18:19], 31, v37
	v_lshrrev_b32_e32 v38, 6, v0
	v_cmp_eq_u32_e64 s[4:5], v18, v0
	s_and_b64 vcc, exec, s[16:17]
	s_barrier
	s_cbranch_vccz .LBB1691_353
; %bb.323:
	v_mov_b32_dpp v18, v39 row_shr:1 row_mask:0xf bank_mask:0xf
	v_cndmask_b32_e64 v18, v18, 0, s[14:15]
	v_add_u32_e32 v18, v18, v39
	s_nop 1
	v_mov_b32_dpp v19, v18 row_shr:2 row_mask:0xf bank_mask:0xf
	v_cndmask_b32_e64 v19, 0, v19, s[12:13]
	v_add_u32_e32 v18, v18, v19
	s_nop 1
	;; [unrolled: 4-line block ×4, first 2 shown]
	v_mov_b32_dpp v19, v18 row_bcast:15 row_mask:0xf bank_mask:0xf
	v_cndmask_b32_e64 v19, v19, 0, s[6:7]
	v_add_u32_e32 v18, v18, v19
	s_nop 1
	v_mov_b32_dpp v19, v18 row_bcast:31 row_mask:0xf bank_mask:0xf
	v_cndmask_b32_e64 v19, 0, v19, s[18:19]
	v_add_u32_e32 v18, v18, v19
	s_and_saveexec_b64 s[16:17], s[4:5]
	s_cbranch_execz .LBB1691_325
; %bb.324:
	v_lshlrev_b32_e32 v19, 2, v38
	ds_write_b32 v19, v18
.LBB1691_325:
	s_or_b64 exec, exec, s[16:17]
	v_cmp_gt_u32_e32 vcc, 8, v0
	s_waitcnt lgkmcnt(0)
	s_barrier
	s_and_saveexec_b64 s[16:17], vcc
	s_cbranch_execz .LBB1691_327
; %bb.326:
	v_lshlrev_b32_e32 v19, 2, v0
	ds_read_b32 v20, v19
	v_and_b32_e32 v21, 7, v37
	v_cmp_ne_u32_e32 vcc, 0, v21
	s_waitcnt lgkmcnt(0)
	v_mov_b32_dpp v22, v20 row_shr:1 row_mask:0xf bank_mask:0xf
	v_cndmask_b32_e32 v22, 0, v22, vcc
	v_add_u32_e32 v20, v22, v20
	v_cmp_lt_u32_e32 vcc, 1, v21
	s_nop 0
	v_mov_b32_dpp v22, v20 row_shr:2 row_mask:0xf bank_mask:0xf
	v_cndmask_b32_e32 v22, 0, v22, vcc
	v_add_u32_e32 v20, v20, v22
	v_cmp_lt_u32_e32 vcc, 3, v21
	s_nop 0
	v_mov_b32_dpp v22, v20 row_shr:4 row_mask:0xf bank_mask:0xf
	v_cndmask_b32_e32 v21, 0, v22, vcc
	v_add_u32_e32 v20, v20, v21
	ds_write_b32 v19, v20
.LBB1691_327:
	s_or_b64 exec, exec, s[16:17]
	v_cmp_gt_u32_e32 vcc, 64, v0
	v_cmp_lt_u32_e64 s[16:17], 63, v0
	s_waitcnt lgkmcnt(0)
	s_barrier
	s_waitcnt lgkmcnt(0)
                                        ; implicit-def: $vgpr28
	s_and_saveexec_b64 s[26:27], s[16:17]
	s_cbranch_execz .LBB1691_329
; %bb.328:
	v_lshl_add_u32 v19, v38, 2, -4
	ds_read_b32 v28, v19
	s_waitcnt lgkmcnt(0)
	v_add_u32_e32 v18, v28, v18
.LBB1691_329:
	s_or_b64 exec, exec, s[26:27]
	v_add_u32_e32 v19, -1, v37
	v_and_b32_e32 v20, 64, v37
	v_cmp_lt_i32_e64 s[16:17], v19, v20
	s_nop 1
	v_cndmask_b32_e64 v19, v19, v37, s[16:17]
	v_lshlrev_b32_e32 v19, 2, v19
	ds_bpermute_b32 v30, v19, v18
	v_cmp_eq_u32_e64 s[16:17], 0, v37
	s_and_saveexec_b64 s[26:27], vcc
	s_cbranch_execz .LBB1691_352
; %bb.330:
	v_mov_b32_e32 v27, 0
	ds_read_b32 v18, v27 offset:28
	s_and_saveexec_b64 s[28:29], s[16:17]
	s_cbranch_execz .LBB1691_332
; %bb.331:
	s_add_i32 s36, s2, 64
	s_mov_b32 s37, 0
	s_lshl_b64 s[36:37], s[36:37], 3
	s_add_u32 s36, s30, s36
	v_mov_b32_e32 v19, 1
	s_addc_u32 s37, s31, s37
	s_waitcnt lgkmcnt(0)
	global_store_dwordx2 v27, v[18:19], s[36:37] sc1
.LBB1691_332:
	s_or_b64 exec, exec, s[28:29]
	v_xad_u32 v20, v37, -1, s2
	v_add_u32_e32 v26, 64, v20
	v_lshl_add_u64 v[22:23], v[26:27], 3, s[30:31]
	global_load_dwordx2 v[24:25], v[22:23], off sc1
	s_waitcnt vmcnt(0)
	v_cmp_eq_u16_sdwa s[36:37], v25, v27 src0_sel:BYTE_0 src1_sel:DWORD
	s_and_saveexec_b64 s[28:29], s[36:37]
	s_cbranch_execz .LBB1691_338
; %bb.333:
	s_mov_b32 s3, 1
	s_mov_b64 s[36:37], 0
	v_mov_b32_e32 v19, 0
.LBB1691_334:                           ; =>This Loop Header: Depth=1
                                        ;     Child Loop BB1691_335 Depth 2
	s_max_u32 s33, s3, 1
.LBB1691_335:                           ;   Parent Loop BB1691_334 Depth=1
                                        ; =>  This Inner Loop Header: Depth=2
	s_add_i32 s33, s33, -1
	s_cmp_eq_u32 s33, 0
	s_sleep 1
	s_cbranch_scc0 .LBB1691_335
; %bb.336:                              ;   in Loop: Header=BB1691_334 Depth=1
	global_load_dwordx2 v[24:25], v[22:23], off sc1
	s_cmp_lt_u32 s3, 32
	s_cselect_b64 s[38:39], -1, 0
	s_cmp_lg_u64 s[38:39], 0
	s_addc_u32 s3, s3, 0
	s_waitcnt vmcnt(0)
	v_cmp_ne_u16_sdwa s[38:39], v25, v19 src0_sel:BYTE_0 src1_sel:DWORD
	s_or_b64 s[36:37], s[38:39], s[36:37]
	s_andn2_b64 exec, exec, s[36:37]
	s_cbranch_execnz .LBB1691_334
; %bb.337:
	s_or_b64 exec, exec, s[36:37]
.LBB1691_338:
	s_or_b64 exec, exec, s[28:29]
	v_and_b32_e32 v32, 63, v37
	v_mov_b32_e32 v19, 2
	v_cmp_ne_u32_e32 vcc, 63, v32
	v_cmp_eq_u16_sdwa s[28:29], v25, v19 src0_sel:BYTE_0 src1_sel:DWORD
	v_lshlrev_b64 v[22:23], v37, -1
	v_addc_co_u32_e32 v27, vcc, 0, v37, vcc
	v_and_b32_e32 v21, s29, v23
	v_lshlrev_b32_e32 v34, 2, v27
	v_or_b32_e32 v21, 0x80000000, v21
	ds_bpermute_b32 v27, v34, v24
	v_and_b32_e32 v26, s28, v22
	v_ffbl_b32_e32 v21, v21
	v_add_u32_e32 v21, 32, v21
	v_ffbl_b32_e32 v26, v26
	v_min_u32_e32 v21, v26, v21
	v_cmp_lt_u32_e32 vcc, v32, v21
	v_add_u32_e32 v41, 2, v32
	v_add_u32_e32 v43, 4, v32
	s_waitcnt lgkmcnt(0)
	v_cndmask_b32_e32 v26, 0, v27, vcc
	v_cmp_gt_u32_e32 vcc, 62, v32
	v_add_u32_e32 v24, v26, v24
	v_add_u32_e32 v45, 8, v32
	v_cndmask_b32_e64 v26, 0, 1, vcc
	v_lshlrev_b32_e32 v26, 1, v26
	v_add_lshl_u32 v40, v26, v37, 2
	ds_bpermute_b32 v26, v40, v24
	v_cmp_le_u32_e32 vcc, v41, v21
	v_add_u32_e32 v48, 16, v32
	v_add_u32_e32 v50, 32, v32
	s_waitcnt lgkmcnt(0)
	v_cndmask_b32_e32 v26, 0, v26, vcc
	v_cmp_gt_u32_e32 vcc, 60, v32
	v_add_u32_e32 v24, v24, v26
	s_nop 0
	v_cndmask_b32_e64 v26, 0, 1, vcc
	v_lshlrev_b32_e32 v26, 2, v26
	v_add_lshl_u32 v42, v26, v37, 2
	ds_bpermute_b32 v26, v42, v24
	v_cmp_le_u32_e32 vcc, v43, v21
	s_waitcnt lgkmcnt(0)
	s_nop 0
	v_cndmask_b32_e32 v26, 0, v26, vcc
	v_cmp_gt_u32_e32 vcc, 56, v32
	v_add_u32_e32 v24, v24, v26
	s_nop 0
	v_cndmask_b32_e64 v26, 0, 1, vcc
	v_lshlrev_b32_e32 v26, 3, v26
	v_add_lshl_u32 v44, v26, v37, 2
	ds_bpermute_b32 v26, v44, v24
	v_cmp_le_u32_e32 vcc, v45, v21
	s_waitcnt lgkmcnt(0)
	s_nop 0
	;; [unrolled: 11-line block ×4, first 2 shown]
	v_cndmask_b32_e32 v21, 0, v26, vcc
	v_add_u32_e32 v24, v24, v21
	v_mov_b32_e32 v21, 0
	s_branch .LBB1691_340
.LBB1691_339:                           ;   in Loop: Header=BB1691_340 Depth=1
	s_or_b64 exec, exec, s[28:29]
	v_cmp_eq_u16_sdwa s[28:29], v25, v19 src0_sel:BYTE_0 src1_sel:DWORD
	ds_bpermute_b32 v51, v34, v24
	v_subrev_u32_e32 v20, 64, v20
	v_and_b32_e32 v26, s29, v23
	v_or_b32_e32 v26, 0x80000000, v26
	v_and_b32_e32 v27, s28, v22
	v_ffbl_b32_e32 v26, v26
	v_add_u32_e32 v26, 32, v26
	v_ffbl_b32_e32 v27, v27
	v_min_u32_e32 v26, v27, v26
	v_cmp_lt_u32_e32 vcc, v32, v26
	s_waitcnt lgkmcnt(0)
	s_nop 0
	v_cndmask_b32_e32 v27, 0, v51, vcc
	v_add_u32_e32 v24, v27, v24
	ds_bpermute_b32 v27, v40, v24
	v_cmp_le_u32_e32 vcc, v41, v26
	s_waitcnt lgkmcnt(0)
	s_nop 0
	v_cndmask_b32_e32 v27, 0, v27, vcc
	v_add_u32_e32 v24, v24, v27
	ds_bpermute_b32 v27, v42, v24
	v_cmp_le_u32_e32 vcc, v43, v26
	s_waitcnt lgkmcnt(0)
	s_nop 0
	v_cndmask_b32_e32 v27, 0, v27, vcc
	v_add_u32_e32 v24, v24, v27
	ds_bpermute_b32 v27, v44, v24
	v_cmp_le_u32_e32 vcc, v45, v26
	s_waitcnt lgkmcnt(0)
	s_nop 0
	v_cndmask_b32_e32 v27, 0, v27, vcc
	v_add_u32_e32 v24, v24, v27
	ds_bpermute_b32 v27, v47, v24
	v_cmp_le_u32_e32 vcc, v48, v26
	s_waitcnt lgkmcnt(0)
	s_nop 0
	v_cndmask_b32_e32 v27, 0, v27, vcc
	v_add_u32_e32 v24, v24, v27
	ds_bpermute_b32 v27, v49, v24
	v_cmp_le_u32_e32 vcc, v50, v26
	s_waitcnt lgkmcnt(0)
	s_nop 0
	v_cndmask_b32_e32 v26, 0, v27, vcc
	v_add3_u32 v24, v26, v46, v24
.LBB1691_340:                           ; =>This Loop Header: Depth=1
                                        ;     Child Loop BB1691_343 Depth 2
                                        ;       Child Loop BB1691_344 Depth 3
	v_cmp_ne_u16_sdwa s[28:29], v25, v19 src0_sel:BYTE_0 src1_sel:DWORD
	v_mov_b32_e32 v46, v24
	s_nop 0
	v_cndmask_b32_e64 v25, 0, 1, s[28:29]
	;;#ASMSTART
	;;#ASMEND
	s_nop 0
	v_cmp_ne_u32_e32 vcc, 0, v25
	s_cmp_lg_u64 vcc, exec
	s_cbranch_scc1 .LBB1691_347
; %bb.341:                              ;   in Loop: Header=BB1691_340 Depth=1
	v_lshl_add_u64 v[26:27], v[20:21], 3, s[30:31]
	global_load_dwordx2 v[24:25], v[26:27], off sc1
	s_waitcnt vmcnt(0)
	v_cmp_eq_u16_sdwa s[36:37], v25, v21 src0_sel:BYTE_0 src1_sel:DWORD
	s_and_saveexec_b64 s[28:29], s[36:37]
	s_cbranch_execz .LBB1691_339
; %bb.342:                              ;   in Loop: Header=BB1691_340 Depth=1
	s_mov_b32 s3, 1
	s_mov_b64 s[36:37], 0
.LBB1691_343:                           ;   Parent Loop BB1691_340 Depth=1
                                        ; =>  This Loop Header: Depth=2
                                        ;       Child Loop BB1691_344 Depth 3
	s_max_u32 s33, s3, 1
.LBB1691_344:                           ;   Parent Loop BB1691_340 Depth=1
                                        ;     Parent Loop BB1691_343 Depth=2
                                        ; =>    This Inner Loop Header: Depth=3
	s_add_i32 s33, s33, -1
	s_cmp_eq_u32 s33, 0
	s_sleep 1
	s_cbranch_scc0 .LBB1691_344
; %bb.345:                              ;   in Loop: Header=BB1691_343 Depth=2
	global_load_dwordx2 v[24:25], v[26:27], off sc1
	s_cmp_lt_u32 s3, 32
	s_cselect_b64 s[38:39], -1, 0
	s_cmp_lg_u64 s[38:39], 0
	s_addc_u32 s3, s3, 0
	s_waitcnt vmcnt(0)
	v_cmp_ne_u16_sdwa s[38:39], v25, v21 src0_sel:BYTE_0 src1_sel:DWORD
	s_or_b64 s[36:37], s[38:39], s[36:37]
	s_andn2_b64 exec, exec, s[36:37]
	s_cbranch_execnz .LBB1691_343
; %bb.346:                              ;   in Loop: Header=BB1691_340 Depth=1
	s_or_b64 exec, exec, s[36:37]
	s_branch .LBB1691_339
.LBB1691_347:                           ;   in Loop: Header=BB1691_340 Depth=1
                                        ; implicit-def: $vgpr24
                                        ; implicit-def: $vgpr25
	s_cbranch_execz .LBB1691_340
; %bb.348:
	s_and_saveexec_b64 s[28:29], s[16:17]
	s_cbranch_execz .LBB1691_350
; %bb.349:
	s_add_i32 s2, s2, 64
	s_mov_b32 s3, 0
	s_lshl_b64 s[2:3], s[2:3], 3
	s_add_u32 s2, s30, s2
	v_add_u32_e32 v20, v46, v18
	v_mov_b32_e32 v21, 2
	s_addc_u32 s3, s31, s3
	v_mov_b32_e32 v19, 0
	global_store_dwordx2 v19, v[20:21], s[2:3] sc1
	s_movk_i32 s2, 0x7000
	v_add_u32_e64 v19, s2, 0
	ds_write2_b32 v19, v18, v46 offset1:2
.LBB1691_350:
	s_or_b64 exec, exec, s[28:29]
	v_cmp_eq_u32_e32 vcc, 0, v0
	s_and_b64 exec, exec, vcc
	s_cbranch_execz .LBB1691_352
; %bb.351:
	v_mov_b32_e32 v18, 0
	ds_write_b32 v18, v46 offset:28
.LBB1691_352:
	s_or_b64 exec, exec, s[26:27]
	v_mov_b32_e32 v18, 0
	s_waitcnt lgkmcnt(0)
	s_barrier
	ds_read_b32 v18, v18 offset:28
	v_cndmask_b32_e64 v19, v30, v28, s[16:17]
	v_cmp_ne_u32_e32 vcc, 0, v0
	s_movk_i32 s2, 0x7000
	s_waitcnt lgkmcnt(0)
	v_cndmask_b32_e32 v19, 0, v19, vcc
	v_add_u32_e32 v34, v18, v19
	v_add_u32_e32 v32, v34, v1
	v_add_u32_e64 v18, s2, 0
	v_add_u32_e32 v30, v32, v29
	s_barrier
	ds_read2_b32 v[18:19], v18 offset1:2
	v_add_u32_e32 v28, v30, v31
	v_add_u32_e32 v26, v28, v33
	;; [unrolled: 1-line block ×4, first 2 shown]
	s_load_dwordx2 s[2:3], s[0:1], 0x28
	v_lshrrev_b64 v[20:21], 24, v[16:17]
	s_branch .LBB1691_363
.LBB1691_353:
                                        ; implicit-def: $vgpr22
                                        ; implicit-def: $vgpr24
                                        ; implicit-def: $vgpr26
                                        ; implicit-def: $vgpr28
                                        ; implicit-def: $vgpr30
                                        ; implicit-def: $vgpr32
                                        ; implicit-def: $vgpr34
                                        ; implicit-def: $vgpr19
	s_load_dwordx2 s[2:3], s[0:1], 0x28
	v_lshrrev_b64 v[20:21], 24, v[16:17]
	s_cbranch_execz .LBB1691_363
; %bb.354:
	s_waitcnt lgkmcnt(0)
	v_mov_b32_dpp v18, v39 row_shr:1 row_mask:0xf bank_mask:0xf
	v_cndmask_b32_e64 v18, v18, 0, s[14:15]
	v_add_u32_e32 v18, v18, v39
	s_nop 1
	v_mov_b32_dpp v19, v18 row_shr:2 row_mask:0xf bank_mask:0xf
	v_cndmask_b32_e64 v19, 0, v19, s[12:13]
	v_add_u32_e32 v18, v18, v19
	s_nop 1
	;; [unrolled: 4-line block ×4, first 2 shown]
	v_mov_b32_dpp v19, v18 row_bcast:15 row_mask:0xf bank_mask:0xf
	v_cndmask_b32_e64 v19, v19, 0, s[6:7]
	v_add_u32_e32 v18, v18, v19
	s_nop 1
	v_mov_b32_dpp v19, v18 row_bcast:31 row_mask:0xf bank_mask:0xf
	v_cndmask_b32_e64 v19, 0, v19, s[18:19]
	v_add_u32_e32 v18, v18, v19
	s_and_saveexec_b64 s[0:1], s[4:5]
	s_cbranch_execz .LBB1691_356
; %bb.355:
	v_lshlrev_b32_e32 v19, 2, v38
	ds_write_b32 v19, v18
.LBB1691_356:
	s_or_b64 exec, exec, s[0:1]
	v_cmp_gt_u32_e32 vcc, 8, v0
	s_waitcnt lgkmcnt(0)
	s_barrier
	s_and_saveexec_b64 s[0:1], vcc
	s_cbranch_execz .LBB1691_358
; %bb.357:
	v_lshlrev_b32_e32 v19, 2, v0
	ds_read_b32 v21, v19
	v_and_b32_e32 v22, 7, v37
	v_cmp_ne_u32_e32 vcc, 0, v22
	s_waitcnt lgkmcnt(0)
	v_mov_b32_dpp v23, v21 row_shr:1 row_mask:0xf bank_mask:0xf
	v_cndmask_b32_e32 v23, 0, v23, vcc
	v_add_u32_e32 v21, v23, v21
	v_cmp_lt_u32_e32 vcc, 1, v22
	s_nop 0
	v_mov_b32_dpp v23, v21 row_shr:2 row_mask:0xf bank_mask:0xf
	v_cndmask_b32_e32 v23, 0, v23, vcc
	v_add_u32_e32 v21, v21, v23
	v_cmp_lt_u32_e32 vcc, 3, v22
	s_nop 0
	v_mov_b32_dpp v23, v21 row_shr:4 row_mask:0xf bank_mask:0xf
	v_cndmask_b32_e32 v22, 0, v23, vcc
	v_add_u32_e32 v21, v21, v22
	ds_write_b32 v19, v21
.LBB1691_358:
	s_or_b64 exec, exec, s[0:1]
	v_cmp_lt_u32_e32 vcc, 63, v0
	v_mov_b32_e32 v19, 0
	v_mov_b32_e32 v21, 0
	s_waitcnt lgkmcnt(0)
	s_barrier
	s_and_saveexec_b64 s[0:1], vcc
	s_cbranch_execz .LBB1691_360
; %bb.359:
	v_lshl_add_u32 v21, v38, 2, -4
	ds_read_b32 v21, v21
.LBB1691_360:
	s_or_b64 exec, exec, s[0:1]
	v_add_u32_e32 v22, -1, v37
	v_and_b32_e32 v23, 64, v37
	v_cmp_lt_i32_e32 vcc, v22, v23
	s_waitcnt lgkmcnt(0)
	v_add_u32_e32 v18, v21, v18
	v_cndmask_b32_e32 v22, v22, v37, vcc
	v_lshlrev_b32_e32 v22, 2, v22
	ds_bpermute_b32 v22, v22, v18
	ds_read_b32 v18, v19 offset:28
	v_cmp_eq_u32_e32 vcc, 0, v0
	s_and_saveexec_b64 s[0:1], vcc
	s_cbranch_execz .LBB1691_362
; %bb.361:
	v_mov_b32_e32 v23, 0
	v_mov_b32_e32 v19, 2
	s_waitcnt lgkmcnt(0)
	global_store_dwordx2 v23, v[18:19], s[30:31] offset:512 sc1
.LBB1691_362:
	s_or_b64 exec, exec, s[0:1]
	v_cmp_eq_u32_e64 s[0:1], 0, v37
	v_mov_b32_e32 v19, 0
	s_waitcnt lgkmcnt(0)
	v_cndmask_b32_e64 v21, v22, v21, s[0:1]
	v_cndmask_b32_e64 v34, v21, 0, vcc
	v_add_u32_e32 v32, v34, v1
	v_add_u32_e32 v30, v32, v29
	;; [unrolled: 1-line block ×6, first 2 shown]
	s_barrier
.LBB1691_363:
	s_movk_i32 s0, 0x201
	s_waitcnt lgkmcnt(0)
	v_cmp_gt_u32_e32 vcc, s0, v18
	v_lshrrev_b32_e32 v21, 8, v16
	v_lshrrev_b32_e32 v1, 8, v17
	s_mov_b64 s[0:1], -1
	s_cbranch_vccnz .LBB1691_367
; %bb.364:
	s_and_b64 vcc, exec, s[0:1]
	s_cbranch_vccnz .LBB1691_389
.LBB1691_365:
	v_cmp_eq_u32_e32 vcc, 0, v0
	s_and_b64 s[0:1], vcc, s[24:25]
	s_and_saveexec_b64 s[2:3], s[0:1]
	s_cbranch_execnz .LBB1691_407
.LBB1691_366:
	s_endpgm
.LBB1691_367:
	v_add_u32_e32 v23, v19, v18
	v_cmp_lt_u32_e32 vcc, v34, v23
	s_or_b64 s[4:5], s[34:35], vcc
	s_and_saveexec_b64 s[0:1], s[4:5]
	s_cbranch_execz .LBB1691_370
; %bb.368:
	v_and_b32_e32 v25, 1, v16
	v_cmp_eq_u32_e32 vcc, 1, v25
	s_and_b64 exec, exec, vcc
	s_cbranch_execz .LBB1691_370
; %bb.369:
	s_lshl_b64 s[4:5], s[22:23], 3
	s_add_u32 s4, s2, s4
	s_addc_u32 s5, s3, s5
	v_mov_b32_e32 v35, 0
	v_lshl_add_u64 v[36:37], v[34:35], 3, s[4:5]
	global_store_dwordx2 v[36:37], v[10:11], off
.LBB1691_370:
	s_or_b64 exec, exec, s[0:1]
	v_cmp_lt_u32_e32 vcc, v32, v23
	s_or_b64 s[4:5], s[34:35], vcc
	s_and_saveexec_b64 s[0:1], s[4:5]
	s_cbranch_execz .LBB1691_373
; %bb.371:
	v_and_b32_e32 v25, 1, v21
	v_cmp_eq_u32_e32 vcc, 1, v25
	s_and_b64 exec, exec, vcc
	s_cbranch_execz .LBB1691_373
; %bb.372:
	s_lshl_b64 s[4:5], s[22:23], 3
	s_add_u32 s4, s2, s4
	s_addc_u32 s5, s3, s5
	v_mov_b32_e32 v33, 0
	v_lshl_add_u64 v[36:37], v[32:33], 3, s[4:5]
	global_store_dwordx2 v[36:37], v[12:13], off
.LBB1691_373:
	s_or_b64 exec, exec, s[0:1]
	v_cmp_lt_u32_e32 vcc, v30, v23
	s_or_b64 s[4:5], s[34:35], vcc
	s_and_saveexec_b64 s[0:1], s[4:5]
	s_cbranch_execz .LBB1691_376
; %bb.374:
	v_mov_b32_e32 v25, 1
	v_and_b32_sdwa v25, v25, v16 dst_sel:DWORD dst_unused:UNUSED_PAD src0_sel:DWORD src1_sel:WORD_1
	v_cmp_eq_u32_e32 vcc, 1, v25
	s_and_b64 exec, exec, vcc
	s_cbranch_execz .LBB1691_376
; %bb.375:
	s_lshl_b64 s[4:5], s[22:23], 3
	s_add_u32 s4, s2, s4
	s_addc_u32 s5, s3, s5
	v_mov_b32_e32 v31, 0
	v_lshl_add_u64 v[36:37], v[30:31], 3, s[4:5]
	global_store_dwordx2 v[36:37], v[6:7], off
.LBB1691_376:
	s_or_b64 exec, exec, s[0:1]
	v_cmp_lt_u32_e32 vcc, v28, v23
	s_or_b64 s[4:5], s[34:35], vcc
	s_and_saveexec_b64 s[0:1], s[4:5]
	s_cbranch_execz .LBB1691_379
; %bb.377:
	v_and_b32_e32 v25, 1, v20
	v_cmp_eq_u32_e32 vcc, 1, v25
	s_and_b64 exec, exec, vcc
	s_cbranch_execz .LBB1691_379
; %bb.378:
	s_lshl_b64 s[4:5], s[22:23], 3
	s_add_u32 s4, s2, s4
	s_addc_u32 s5, s3, s5
	v_mov_b32_e32 v29, 0
	v_lshl_add_u64 v[36:37], v[28:29], 3, s[4:5]
	global_store_dwordx2 v[36:37], v[8:9], off
.LBB1691_379:
	s_or_b64 exec, exec, s[0:1]
	v_cmp_lt_u32_e32 vcc, v26, v23
	s_or_b64 s[4:5], s[34:35], vcc
	s_and_saveexec_b64 s[0:1], s[4:5]
	s_cbranch_execz .LBB1691_382
; %bb.380:
	v_and_b32_e32 v25, 1, v17
	v_cmp_eq_u32_e32 vcc, 1, v25
	s_and_b64 exec, exec, vcc
	s_cbranch_execz .LBB1691_382
; %bb.381:
	s_lshl_b64 s[4:5], s[22:23], 3
	s_add_u32 s4, s2, s4
	s_addc_u32 s5, s3, s5
	v_mov_b32_e32 v27, 0
	v_lshl_add_u64 v[36:37], v[26:27], 3, s[4:5]
	global_store_dwordx2 v[36:37], v[2:3], off
.LBB1691_382:
	;; [unrolled: 18-line block ×3, first 2 shown]
	s_or_b64 exec, exec, s[0:1]
	v_cmp_lt_u32_e32 vcc, v22, v23
	s_or_b64 s[4:5], s[34:35], vcc
	s_and_saveexec_b64 s[0:1], s[4:5]
	s_cbranch_execz .LBB1691_388
; %bb.386:
	v_mov_b32_e32 v23, 1
	v_and_b32_sdwa v23, v23, v17 dst_sel:DWORD dst_unused:UNUSED_PAD src0_sel:DWORD src1_sel:WORD_1
	v_cmp_eq_u32_e32 vcc, 1, v23
	s_and_b64 exec, exec, vcc
	s_cbranch_execz .LBB1691_388
; %bb.387:
	s_lshl_b64 s[4:5], s[22:23], 3
	s_add_u32 s4, s2, s4
	s_addc_u32 s5, s3, s5
	v_mov_b32_e32 v23, 0
	v_lshl_add_u64 v[36:37], v[22:23], 3, s[4:5]
	global_store_dwordx2 v[36:37], v[14:15], off
.LBB1691_388:
	s_or_b64 exec, exec, s[0:1]
	s_branch .LBB1691_365
.LBB1691_389:
	v_and_b32_e32 v23, 1, v16
	v_cmp_eq_u32_e32 vcc, 1, v23
	s_and_saveexec_b64 s[0:1], vcc
	s_cbranch_execz .LBB1691_391
; %bb.390:
	v_sub_u32_e32 v23, v34, v19
	v_lshlrev_b32_e32 v23, 3, v23
	ds_write_b64 v23, v[10:11]
.LBB1691_391:
	s_or_b64 exec, exec, s[0:1]
	v_and_b32_e32 v10, 1, v21
	v_cmp_eq_u32_e32 vcc, 1, v10
	s_and_saveexec_b64 s[0:1], vcc
	s_cbranch_execz .LBB1691_393
; %bb.392:
	v_sub_u32_e32 v10, v32, v19
	v_lshlrev_b32_e32 v10, 3, v10
	ds_write_b64 v10, v[12:13]
.LBB1691_393:
	s_or_b64 exec, exec, s[0:1]
	v_mov_b32_e32 v10, 1
	v_and_b32_sdwa v10, v10, v16 dst_sel:DWORD dst_unused:UNUSED_PAD src0_sel:DWORD src1_sel:WORD_1
	v_cmp_eq_u32_e32 vcc, 1, v10
	s_and_saveexec_b64 s[0:1], vcc
	s_cbranch_execz .LBB1691_395
; %bb.394:
	v_sub_u32_e32 v10, v30, v19
	v_lshlrev_b32_e32 v10, 3, v10
	ds_write_b64 v10, v[6:7]
.LBB1691_395:
	s_or_b64 exec, exec, s[0:1]
	v_and_b32_e32 v6, 1, v20
	v_cmp_eq_u32_e32 vcc, 1, v6
	s_and_saveexec_b64 s[0:1], vcc
	s_cbranch_execz .LBB1691_397
; %bb.396:
	v_sub_u32_e32 v6, v28, v19
	v_lshlrev_b32_e32 v6, 3, v6
	ds_write_b64 v6, v[8:9]
.LBB1691_397:
	s_or_b64 exec, exec, s[0:1]
	v_and_b32_e32 v6, 1, v17
	;; [unrolled: 10-line block ×3, first 2 shown]
	v_cmp_eq_u32_e32 vcc, 1, v1
	s_and_saveexec_b64 s[0:1], vcc
	s_cbranch_execz .LBB1691_401
; %bb.400:
	v_sub_u32_e32 v1, v24, v19
	v_lshlrev_b32_e32 v1, 3, v1
	ds_write_b64 v1, v[4:5]
.LBB1691_401:
	s_or_b64 exec, exec, s[0:1]
	v_mov_b32_e32 v1, 1
	v_and_b32_sdwa v1, v1, v17 dst_sel:DWORD dst_unused:UNUSED_PAD src0_sel:DWORD src1_sel:WORD_1
	v_cmp_eq_u32_e32 vcc, 1, v1
	s_and_saveexec_b64 s[0:1], vcc
	s_cbranch_execz .LBB1691_403
; %bb.402:
	v_sub_u32_e32 v1, v22, v19
	v_lshlrev_b32_e32 v1, 3, v1
	ds_write_b64 v1, v[14:15]
.LBB1691_403:
	s_or_b64 exec, exec, s[0:1]
	v_cmp_lt_u32_e32 vcc, v0, v18
	s_waitcnt lgkmcnt(0)
	s_barrier
	s_and_saveexec_b64 s[0:1], vcc
	s_cbranch_execz .LBB1691_406
; %bb.404:
	v_mov_b32_e32 v5, 0
	v_mov_b32_e32 v4, v19
	s_lshl_b64 s[4:5], s[22:23], 3
	v_lshlrev_b64 v[6:7], 3, v[4:5]
	v_lshl_add_u64 v[6:7], s[4:5], 0, v[6:7]
	v_lshlrev_b32_e32 v2, 3, v0
	v_mov_b32_e32 v3, v5
	v_lshl_add_u64 v[4:5], s[2:3], 0, v[6:7]
	v_lshl_add_u64 v[4:5], v[4:5], 0, v[2:3]
	s_mov_b64 s[2:3], 0
	s_mov_b64 s[4:5], 0x1000
	v_mov_b32_e32 v1, v0
.LBB1691_405:                           ; =>This Inner Loop Header: Depth=1
	ds_read_b64 v[6:7], v2
	v_add_u32_e32 v1, 0x200, v1
	v_cmp_ge_u32_e32 vcc, v1, v18
	v_add_u32_e32 v2, 0x1000, v2
	s_or_b64 s[2:3], vcc, s[2:3]
	s_waitcnt lgkmcnt(0)
	global_store_dwordx2 v[4:5], v[6:7], off
	v_lshl_add_u64 v[4:5], v[4:5], 0, s[4:5]
	s_andn2_b64 exec, exec, s[2:3]
	s_cbranch_execnz .LBB1691_405
.LBB1691_406:
	s_or_b64 exec, exec, s[0:1]
	v_cmp_eq_u32_e32 vcc, 0, v0
	s_and_b64 s[0:1], vcc, s[24:25]
	s_and_saveexec_b64 s[2:3], s[0:1]
	s_cbranch_execz .LBB1691_366
.LBB1691_407:
	v_mov_b32_e32 v1, 0
	v_mov_b32_e32 v0, v18
	v_lshl_add_u64 v[2:3], s[22:23], 0, v[0:1]
	v_mov_b32_e32 v0, v19
	v_lshl_add_u64 v[2:3], v[2:3], 0, v[0:1]
	global_store_dwordx2 v1, v[2:3], s[20:21]
	s_endpgm
	.section	.rodata,"a",@progbits
	.p2align	6, 0x0
	.amdhsa_kernel _ZN7rocprim17ROCPRIM_400000_NS6detail17trampoline_kernelINS0_14default_configENS1_25partition_config_selectorILNS1_17partition_subalgoE8ElNS0_10empty_typeEbEEZZNS1_14partition_implILS5_8ELb0ES3_jPlPS6_PKS6_NS0_5tupleIJS9_S6_EEENSD_IJSA_SA_EEENS0_18inequality_wrapperIZN2at6native12_GLOBAL__N_124unique_dim_cuda_templateImEESt5tupleIJNSH_6TensorESM_SM_EERKSM_lbbbEUlllE0_EEPmJS6_EEE10hipError_tPvRmT3_T4_T5_T6_T7_T9_mT8_P12ihipStream_tbDpT10_ENKUlT_T0_E_clISt17integral_constantIbLb1EES1B_IbLb0EEEEDaS17_S18_EUlS17_E_NS1_11comp_targetILNS1_3genE5ELNS1_11target_archE942ELNS1_3gpuE9ELNS1_3repE0EEENS1_30default_config_static_selectorELNS0_4arch9wavefront6targetE1EEEvT1_
		.amdhsa_group_segment_fixed_size 28684
		.amdhsa_private_segment_fixed_size 0
		.amdhsa_kernarg_size 120
		.amdhsa_user_sgpr_count 2
		.amdhsa_user_sgpr_dispatch_ptr 0
		.amdhsa_user_sgpr_queue_ptr 0
		.amdhsa_user_sgpr_kernarg_segment_ptr 1
		.amdhsa_user_sgpr_dispatch_id 0
		.amdhsa_user_sgpr_kernarg_preload_length 0
		.amdhsa_user_sgpr_kernarg_preload_offset 0
		.amdhsa_user_sgpr_private_segment_size 0
		.amdhsa_uses_dynamic_stack 0
		.amdhsa_enable_private_segment 0
		.amdhsa_system_sgpr_workgroup_id_x 1
		.amdhsa_system_sgpr_workgroup_id_y 0
		.amdhsa_system_sgpr_workgroup_id_z 0
		.amdhsa_system_sgpr_workgroup_info 0
		.amdhsa_system_vgpr_workitem_id 0
		.amdhsa_next_free_vgpr 52
		.amdhsa_next_free_sgpr 52
		.amdhsa_accum_offset 52
		.amdhsa_reserve_vcc 1
		.amdhsa_float_round_mode_32 0
		.amdhsa_float_round_mode_16_64 0
		.amdhsa_float_denorm_mode_32 3
		.amdhsa_float_denorm_mode_16_64 3
		.amdhsa_dx10_clamp 1
		.amdhsa_ieee_mode 1
		.amdhsa_fp16_overflow 0
		.amdhsa_tg_split 0
		.amdhsa_exception_fp_ieee_invalid_op 0
		.amdhsa_exception_fp_denorm_src 0
		.amdhsa_exception_fp_ieee_div_zero 0
		.amdhsa_exception_fp_ieee_overflow 0
		.amdhsa_exception_fp_ieee_underflow 0
		.amdhsa_exception_fp_ieee_inexact 0
		.amdhsa_exception_int_div_zero 0
	.end_amdhsa_kernel
	.section	.text._ZN7rocprim17ROCPRIM_400000_NS6detail17trampoline_kernelINS0_14default_configENS1_25partition_config_selectorILNS1_17partition_subalgoE8ElNS0_10empty_typeEbEEZZNS1_14partition_implILS5_8ELb0ES3_jPlPS6_PKS6_NS0_5tupleIJS9_S6_EEENSD_IJSA_SA_EEENS0_18inequality_wrapperIZN2at6native12_GLOBAL__N_124unique_dim_cuda_templateImEESt5tupleIJNSH_6TensorESM_SM_EERKSM_lbbbEUlllE0_EEPmJS6_EEE10hipError_tPvRmT3_T4_T5_T6_T7_T9_mT8_P12ihipStream_tbDpT10_ENKUlT_T0_E_clISt17integral_constantIbLb1EES1B_IbLb0EEEEDaS17_S18_EUlS17_E_NS1_11comp_targetILNS1_3genE5ELNS1_11target_archE942ELNS1_3gpuE9ELNS1_3repE0EEENS1_30default_config_static_selectorELNS0_4arch9wavefront6targetE1EEEvT1_,"axG",@progbits,_ZN7rocprim17ROCPRIM_400000_NS6detail17trampoline_kernelINS0_14default_configENS1_25partition_config_selectorILNS1_17partition_subalgoE8ElNS0_10empty_typeEbEEZZNS1_14partition_implILS5_8ELb0ES3_jPlPS6_PKS6_NS0_5tupleIJS9_S6_EEENSD_IJSA_SA_EEENS0_18inequality_wrapperIZN2at6native12_GLOBAL__N_124unique_dim_cuda_templateImEESt5tupleIJNSH_6TensorESM_SM_EERKSM_lbbbEUlllE0_EEPmJS6_EEE10hipError_tPvRmT3_T4_T5_T6_T7_T9_mT8_P12ihipStream_tbDpT10_ENKUlT_T0_E_clISt17integral_constantIbLb1EES1B_IbLb0EEEEDaS17_S18_EUlS17_E_NS1_11comp_targetILNS1_3genE5ELNS1_11target_archE942ELNS1_3gpuE9ELNS1_3repE0EEENS1_30default_config_static_selectorELNS0_4arch9wavefront6targetE1EEEvT1_,comdat
.Lfunc_end1691:
	.size	_ZN7rocprim17ROCPRIM_400000_NS6detail17trampoline_kernelINS0_14default_configENS1_25partition_config_selectorILNS1_17partition_subalgoE8ElNS0_10empty_typeEbEEZZNS1_14partition_implILS5_8ELb0ES3_jPlPS6_PKS6_NS0_5tupleIJS9_S6_EEENSD_IJSA_SA_EEENS0_18inequality_wrapperIZN2at6native12_GLOBAL__N_124unique_dim_cuda_templateImEESt5tupleIJNSH_6TensorESM_SM_EERKSM_lbbbEUlllE0_EEPmJS6_EEE10hipError_tPvRmT3_T4_T5_T6_T7_T9_mT8_P12ihipStream_tbDpT10_ENKUlT_T0_E_clISt17integral_constantIbLb1EES1B_IbLb0EEEEDaS17_S18_EUlS17_E_NS1_11comp_targetILNS1_3genE5ELNS1_11target_archE942ELNS1_3gpuE9ELNS1_3repE0EEENS1_30default_config_static_selectorELNS0_4arch9wavefront6targetE1EEEvT1_, .Lfunc_end1691-_ZN7rocprim17ROCPRIM_400000_NS6detail17trampoline_kernelINS0_14default_configENS1_25partition_config_selectorILNS1_17partition_subalgoE8ElNS0_10empty_typeEbEEZZNS1_14partition_implILS5_8ELb0ES3_jPlPS6_PKS6_NS0_5tupleIJS9_S6_EEENSD_IJSA_SA_EEENS0_18inequality_wrapperIZN2at6native12_GLOBAL__N_124unique_dim_cuda_templateImEESt5tupleIJNSH_6TensorESM_SM_EERKSM_lbbbEUlllE0_EEPmJS6_EEE10hipError_tPvRmT3_T4_T5_T6_T7_T9_mT8_P12ihipStream_tbDpT10_ENKUlT_T0_E_clISt17integral_constantIbLb1EES1B_IbLb0EEEEDaS17_S18_EUlS17_E_NS1_11comp_targetILNS1_3genE5ELNS1_11target_archE942ELNS1_3gpuE9ELNS1_3repE0EEENS1_30default_config_static_selectorELNS0_4arch9wavefront6targetE1EEEvT1_
                                        ; -- End function
	.section	.AMDGPU.csdata,"",@progbits
; Kernel info:
; codeLenInByte = 12916
; NumSgprs: 58
; NumVgprs: 52
; NumAgprs: 0
; TotalNumVgprs: 52
; ScratchSize: 0
; MemoryBound: 1
; FloatMode: 240
; IeeeMode: 1
; LDSByteSize: 28684 bytes/workgroup (compile time only)
; SGPRBlocks: 7
; VGPRBlocks: 6
; NumSGPRsForWavesPerEU: 58
; NumVGPRsForWavesPerEU: 52
; AccumOffset: 52
; Occupancy: 4
; WaveLimiterHint : 1
; COMPUTE_PGM_RSRC2:SCRATCH_EN: 0
; COMPUTE_PGM_RSRC2:USER_SGPR: 2
; COMPUTE_PGM_RSRC2:TRAP_HANDLER: 0
; COMPUTE_PGM_RSRC2:TGID_X_EN: 1
; COMPUTE_PGM_RSRC2:TGID_Y_EN: 0
; COMPUTE_PGM_RSRC2:TGID_Z_EN: 0
; COMPUTE_PGM_RSRC2:TIDIG_COMP_CNT: 0
; COMPUTE_PGM_RSRC3_GFX90A:ACCUM_OFFSET: 12
; COMPUTE_PGM_RSRC3_GFX90A:TG_SPLIT: 0
	.section	.text._ZN7rocprim17ROCPRIM_400000_NS6detail17trampoline_kernelINS0_14default_configENS1_25partition_config_selectorILNS1_17partition_subalgoE8ElNS0_10empty_typeEbEEZZNS1_14partition_implILS5_8ELb0ES3_jPlPS6_PKS6_NS0_5tupleIJS9_S6_EEENSD_IJSA_SA_EEENS0_18inequality_wrapperIZN2at6native12_GLOBAL__N_124unique_dim_cuda_templateImEESt5tupleIJNSH_6TensorESM_SM_EERKSM_lbbbEUlllE0_EEPmJS6_EEE10hipError_tPvRmT3_T4_T5_T6_T7_T9_mT8_P12ihipStream_tbDpT10_ENKUlT_T0_E_clISt17integral_constantIbLb1EES1B_IbLb0EEEEDaS17_S18_EUlS17_E_NS1_11comp_targetILNS1_3genE4ELNS1_11target_archE910ELNS1_3gpuE8ELNS1_3repE0EEENS1_30default_config_static_selectorELNS0_4arch9wavefront6targetE1EEEvT1_,"axG",@progbits,_ZN7rocprim17ROCPRIM_400000_NS6detail17trampoline_kernelINS0_14default_configENS1_25partition_config_selectorILNS1_17partition_subalgoE8ElNS0_10empty_typeEbEEZZNS1_14partition_implILS5_8ELb0ES3_jPlPS6_PKS6_NS0_5tupleIJS9_S6_EEENSD_IJSA_SA_EEENS0_18inequality_wrapperIZN2at6native12_GLOBAL__N_124unique_dim_cuda_templateImEESt5tupleIJNSH_6TensorESM_SM_EERKSM_lbbbEUlllE0_EEPmJS6_EEE10hipError_tPvRmT3_T4_T5_T6_T7_T9_mT8_P12ihipStream_tbDpT10_ENKUlT_T0_E_clISt17integral_constantIbLb1EES1B_IbLb0EEEEDaS17_S18_EUlS17_E_NS1_11comp_targetILNS1_3genE4ELNS1_11target_archE910ELNS1_3gpuE8ELNS1_3repE0EEENS1_30default_config_static_selectorELNS0_4arch9wavefront6targetE1EEEvT1_,comdat
	.globl	_ZN7rocprim17ROCPRIM_400000_NS6detail17trampoline_kernelINS0_14default_configENS1_25partition_config_selectorILNS1_17partition_subalgoE8ElNS0_10empty_typeEbEEZZNS1_14partition_implILS5_8ELb0ES3_jPlPS6_PKS6_NS0_5tupleIJS9_S6_EEENSD_IJSA_SA_EEENS0_18inequality_wrapperIZN2at6native12_GLOBAL__N_124unique_dim_cuda_templateImEESt5tupleIJNSH_6TensorESM_SM_EERKSM_lbbbEUlllE0_EEPmJS6_EEE10hipError_tPvRmT3_T4_T5_T6_T7_T9_mT8_P12ihipStream_tbDpT10_ENKUlT_T0_E_clISt17integral_constantIbLb1EES1B_IbLb0EEEEDaS17_S18_EUlS17_E_NS1_11comp_targetILNS1_3genE4ELNS1_11target_archE910ELNS1_3gpuE8ELNS1_3repE0EEENS1_30default_config_static_selectorELNS0_4arch9wavefront6targetE1EEEvT1_ ; -- Begin function _ZN7rocprim17ROCPRIM_400000_NS6detail17trampoline_kernelINS0_14default_configENS1_25partition_config_selectorILNS1_17partition_subalgoE8ElNS0_10empty_typeEbEEZZNS1_14partition_implILS5_8ELb0ES3_jPlPS6_PKS6_NS0_5tupleIJS9_S6_EEENSD_IJSA_SA_EEENS0_18inequality_wrapperIZN2at6native12_GLOBAL__N_124unique_dim_cuda_templateImEESt5tupleIJNSH_6TensorESM_SM_EERKSM_lbbbEUlllE0_EEPmJS6_EEE10hipError_tPvRmT3_T4_T5_T6_T7_T9_mT8_P12ihipStream_tbDpT10_ENKUlT_T0_E_clISt17integral_constantIbLb1EES1B_IbLb0EEEEDaS17_S18_EUlS17_E_NS1_11comp_targetILNS1_3genE4ELNS1_11target_archE910ELNS1_3gpuE8ELNS1_3repE0EEENS1_30default_config_static_selectorELNS0_4arch9wavefront6targetE1EEEvT1_
	.p2align	8
	.type	_ZN7rocprim17ROCPRIM_400000_NS6detail17trampoline_kernelINS0_14default_configENS1_25partition_config_selectorILNS1_17partition_subalgoE8ElNS0_10empty_typeEbEEZZNS1_14partition_implILS5_8ELb0ES3_jPlPS6_PKS6_NS0_5tupleIJS9_S6_EEENSD_IJSA_SA_EEENS0_18inequality_wrapperIZN2at6native12_GLOBAL__N_124unique_dim_cuda_templateImEESt5tupleIJNSH_6TensorESM_SM_EERKSM_lbbbEUlllE0_EEPmJS6_EEE10hipError_tPvRmT3_T4_T5_T6_T7_T9_mT8_P12ihipStream_tbDpT10_ENKUlT_T0_E_clISt17integral_constantIbLb1EES1B_IbLb0EEEEDaS17_S18_EUlS17_E_NS1_11comp_targetILNS1_3genE4ELNS1_11target_archE910ELNS1_3gpuE8ELNS1_3repE0EEENS1_30default_config_static_selectorELNS0_4arch9wavefront6targetE1EEEvT1_,@function
_ZN7rocprim17ROCPRIM_400000_NS6detail17trampoline_kernelINS0_14default_configENS1_25partition_config_selectorILNS1_17partition_subalgoE8ElNS0_10empty_typeEbEEZZNS1_14partition_implILS5_8ELb0ES3_jPlPS6_PKS6_NS0_5tupleIJS9_S6_EEENSD_IJSA_SA_EEENS0_18inequality_wrapperIZN2at6native12_GLOBAL__N_124unique_dim_cuda_templateImEESt5tupleIJNSH_6TensorESM_SM_EERKSM_lbbbEUlllE0_EEPmJS6_EEE10hipError_tPvRmT3_T4_T5_T6_T7_T9_mT8_P12ihipStream_tbDpT10_ENKUlT_T0_E_clISt17integral_constantIbLb1EES1B_IbLb0EEEEDaS17_S18_EUlS17_E_NS1_11comp_targetILNS1_3genE4ELNS1_11target_archE910ELNS1_3gpuE8ELNS1_3repE0EEENS1_30default_config_static_selectorELNS0_4arch9wavefront6targetE1EEEvT1_: ; @_ZN7rocprim17ROCPRIM_400000_NS6detail17trampoline_kernelINS0_14default_configENS1_25partition_config_selectorILNS1_17partition_subalgoE8ElNS0_10empty_typeEbEEZZNS1_14partition_implILS5_8ELb0ES3_jPlPS6_PKS6_NS0_5tupleIJS9_S6_EEENSD_IJSA_SA_EEENS0_18inequality_wrapperIZN2at6native12_GLOBAL__N_124unique_dim_cuda_templateImEESt5tupleIJNSH_6TensorESM_SM_EERKSM_lbbbEUlllE0_EEPmJS6_EEE10hipError_tPvRmT3_T4_T5_T6_T7_T9_mT8_P12ihipStream_tbDpT10_ENKUlT_T0_E_clISt17integral_constantIbLb1EES1B_IbLb0EEEEDaS17_S18_EUlS17_E_NS1_11comp_targetILNS1_3genE4ELNS1_11target_archE910ELNS1_3gpuE8ELNS1_3repE0EEENS1_30default_config_static_selectorELNS0_4arch9wavefront6targetE1EEEvT1_
; %bb.0:
	.section	.rodata,"a",@progbits
	.p2align	6, 0x0
	.amdhsa_kernel _ZN7rocprim17ROCPRIM_400000_NS6detail17trampoline_kernelINS0_14default_configENS1_25partition_config_selectorILNS1_17partition_subalgoE8ElNS0_10empty_typeEbEEZZNS1_14partition_implILS5_8ELb0ES3_jPlPS6_PKS6_NS0_5tupleIJS9_S6_EEENSD_IJSA_SA_EEENS0_18inequality_wrapperIZN2at6native12_GLOBAL__N_124unique_dim_cuda_templateImEESt5tupleIJNSH_6TensorESM_SM_EERKSM_lbbbEUlllE0_EEPmJS6_EEE10hipError_tPvRmT3_T4_T5_T6_T7_T9_mT8_P12ihipStream_tbDpT10_ENKUlT_T0_E_clISt17integral_constantIbLb1EES1B_IbLb0EEEEDaS17_S18_EUlS17_E_NS1_11comp_targetILNS1_3genE4ELNS1_11target_archE910ELNS1_3gpuE8ELNS1_3repE0EEENS1_30default_config_static_selectorELNS0_4arch9wavefront6targetE1EEEvT1_
		.amdhsa_group_segment_fixed_size 0
		.amdhsa_private_segment_fixed_size 0
		.amdhsa_kernarg_size 120
		.amdhsa_user_sgpr_count 2
		.amdhsa_user_sgpr_dispatch_ptr 0
		.amdhsa_user_sgpr_queue_ptr 0
		.amdhsa_user_sgpr_kernarg_segment_ptr 1
		.amdhsa_user_sgpr_dispatch_id 0
		.amdhsa_user_sgpr_kernarg_preload_length 0
		.amdhsa_user_sgpr_kernarg_preload_offset 0
		.amdhsa_user_sgpr_private_segment_size 0
		.amdhsa_uses_dynamic_stack 0
		.amdhsa_enable_private_segment 0
		.amdhsa_system_sgpr_workgroup_id_x 1
		.amdhsa_system_sgpr_workgroup_id_y 0
		.amdhsa_system_sgpr_workgroup_id_z 0
		.amdhsa_system_sgpr_workgroup_info 0
		.amdhsa_system_vgpr_workitem_id 0
		.amdhsa_next_free_vgpr 1
		.amdhsa_next_free_sgpr 0
		.amdhsa_accum_offset 4
		.amdhsa_reserve_vcc 0
		.amdhsa_float_round_mode_32 0
		.amdhsa_float_round_mode_16_64 0
		.amdhsa_float_denorm_mode_32 3
		.amdhsa_float_denorm_mode_16_64 3
		.amdhsa_dx10_clamp 1
		.amdhsa_ieee_mode 1
		.amdhsa_fp16_overflow 0
		.amdhsa_tg_split 0
		.amdhsa_exception_fp_ieee_invalid_op 0
		.amdhsa_exception_fp_denorm_src 0
		.amdhsa_exception_fp_ieee_div_zero 0
		.amdhsa_exception_fp_ieee_overflow 0
		.amdhsa_exception_fp_ieee_underflow 0
		.amdhsa_exception_fp_ieee_inexact 0
		.amdhsa_exception_int_div_zero 0
	.end_amdhsa_kernel
	.section	.text._ZN7rocprim17ROCPRIM_400000_NS6detail17trampoline_kernelINS0_14default_configENS1_25partition_config_selectorILNS1_17partition_subalgoE8ElNS0_10empty_typeEbEEZZNS1_14partition_implILS5_8ELb0ES3_jPlPS6_PKS6_NS0_5tupleIJS9_S6_EEENSD_IJSA_SA_EEENS0_18inequality_wrapperIZN2at6native12_GLOBAL__N_124unique_dim_cuda_templateImEESt5tupleIJNSH_6TensorESM_SM_EERKSM_lbbbEUlllE0_EEPmJS6_EEE10hipError_tPvRmT3_T4_T5_T6_T7_T9_mT8_P12ihipStream_tbDpT10_ENKUlT_T0_E_clISt17integral_constantIbLb1EES1B_IbLb0EEEEDaS17_S18_EUlS17_E_NS1_11comp_targetILNS1_3genE4ELNS1_11target_archE910ELNS1_3gpuE8ELNS1_3repE0EEENS1_30default_config_static_selectorELNS0_4arch9wavefront6targetE1EEEvT1_,"axG",@progbits,_ZN7rocprim17ROCPRIM_400000_NS6detail17trampoline_kernelINS0_14default_configENS1_25partition_config_selectorILNS1_17partition_subalgoE8ElNS0_10empty_typeEbEEZZNS1_14partition_implILS5_8ELb0ES3_jPlPS6_PKS6_NS0_5tupleIJS9_S6_EEENSD_IJSA_SA_EEENS0_18inequality_wrapperIZN2at6native12_GLOBAL__N_124unique_dim_cuda_templateImEESt5tupleIJNSH_6TensorESM_SM_EERKSM_lbbbEUlllE0_EEPmJS6_EEE10hipError_tPvRmT3_T4_T5_T6_T7_T9_mT8_P12ihipStream_tbDpT10_ENKUlT_T0_E_clISt17integral_constantIbLb1EES1B_IbLb0EEEEDaS17_S18_EUlS17_E_NS1_11comp_targetILNS1_3genE4ELNS1_11target_archE910ELNS1_3gpuE8ELNS1_3repE0EEENS1_30default_config_static_selectorELNS0_4arch9wavefront6targetE1EEEvT1_,comdat
.Lfunc_end1692:
	.size	_ZN7rocprim17ROCPRIM_400000_NS6detail17trampoline_kernelINS0_14default_configENS1_25partition_config_selectorILNS1_17partition_subalgoE8ElNS0_10empty_typeEbEEZZNS1_14partition_implILS5_8ELb0ES3_jPlPS6_PKS6_NS0_5tupleIJS9_S6_EEENSD_IJSA_SA_EEENS0_18inequality_wrapperIZN2at6native12_GLOBAL__N_124unique_dim_cuda_templateImEESt5tupleIJNSH_6TensorESM_SM_EERKSM_lbbbEUlllE0_EEPmJS6_EEE10hipError_tPvRmT3_T4_T5_T6_T7_T9_mT8_P12ihipStream_tbDpT10_ENKUlT_T0_E_clISt17integral_constantIbLb1EES1B_IbLb0EEEEDaS17_S18_EUlS17_E_NS1_11comp_targetILNS1_3genE4ELNS1_11target_archE910ELNS1_3gpuE8ELNS1_3repE0EEENS1_30default_config_static_selectorELNS0_4arch9wavefront6targetE1EEEvT1_, .Lfunc_end1692-_ZN7rocprim17ROCPRIM_400000_NS6detail17trampoline_kernelINS0_14default_configENS1_25partition_config_selectorILNS1_17partition_subalgoE8ElNS0_10empty_typeEbEEZZNS1_14partition_implILS5_8ELb0ES3_jPlPS6_PKS6_NS0_5tupleIJS9_S6_EEENSD_IJSA_SA_EEENS0_18inequality_wrapperIZN2at6native12_GLOBAL__N_124unique_dim_cuda_templateImEESt5tupleIJNSH_6TensorESM_SM_EERKSM_lbbbEUlllE0_EEPmJS6_EEE10hipError_tPvRmT3_T4_T5_T6_T7_T9_mT8_P12ihipStream_tbDpT10_ENKUlT_T0_E_clISt17integral_constantIbLb1EES1B_IbLb0EEEEDaS17_S18_EUlS17_E_NS1_11comp_targetILNS1_3genE4ELNS1_11target_archE910ELNS1_3gpuE8ELNS1_3repE0EEENS1_30default_config_static_selectorELNS0_4arch9wavefront6targetE1EEEvT1_
                                        ; -- End function
	.section	.AMDGPU.csdata,"",@progbits
; Kernel info:
; codeLenInByte = 0
; NumSgprs: 6
; NumVgprs: 0
; NumAgprs: 0
; TotalNumVgprs: 0
; ScratchSize: 0
; MemoryBound: 0
; FloatMode: 240
; IeeeMode: 1
; LDSByteSize: 0 bytes/workgroup (compile time only)
; SGPRBlocks: 0
; VGPRBlocks: 0
; NumSGPRsForWavesPerEU: 6
; NumVGPRsForWavesPerEU: 1
; AccumOffset: 4
; Occupancy: 8
; WaveLimiterHint : 0
; COMPUTE_PGM_RSRC2:SCRATCH_EN: 0
; COMPUTE_PGM_RSRC2:USER_SGPR: 2
; COMPUTE_PGM_RSRC2:TRAP_HANDLER: 0
; COMPUTE_PGM_RSRC2:TGID_X_EN: 1
; COMPUTE_PGM_RSRC2:TGID_Y_EN: 0
; COMPUTE_PGM_RSRC2:TGID_Z_EN: 0
; COMPUTE_PGM_RSRC2:TIDIG_COMP_CNT: 0
; COMPUTE_PGM_RSRC3_GFX90A:ACCUM_OFFSET: 0
; COMPUTE_PGM_RSRC3_GFX90A:TG_SPLIT: 0
	.section	.text._ZN7rocprim17ROCPRIM_400000_NS6detail17trampoline_kernelINS0_14default_configENS1_25partition_config_selectorILNS1_17partition_subalgoE8ElNS0_10empty_typeEbEEZZNS1_14partition_implILS5_8ELb0ES3_jPlPS6_PKS6_NS0_5tupleIJS9_S6_EEENSD_IJSA_SA_EEENS0_18inequality_wrapperIZN2at6native12_GLOBAL__N_124unique_dim_cuda_templateImEESt5tupleIJNSH_6TensorESM_SM_EERKSM_lbbbEUlllE0_EEPmJS6_EEE10hipError_tPvRmT3_T4_T5_T6_T7_T9_mT8_P12ihipStream_tbDpT10_ENKUlT_T0_E_clISt17integral_constantIbLb1EES1B_IbLb0EEEEDaS17_S18_EUlS17_E_NS1_11comp_targetILNS1_3genE3ELNS1_11target_archE908ELNS1_3gpuE7ELNS1_3repE0EEENS1_30default_config_static_selectorELNS0_4arch9wavefront6targetE1EEEvT1_,"axG",@progbits,_ZN7rocprim17ROCPRIM_400000_NS6detail17trampoline_kernelINS0_14default_configENS1_25partition_config_selectorILNS1_17partition_subalgoE8ElNS0_10empty_typeEbEEZZNS1_14partition_implILS5_8ELb0ES3_jPlPS6_PKS6_NS0_5tupleIJS9_S6_EEENSD_IJSA_SA_EEENS0_18inequality_wrapperIZN2at6native12_GLOBAL__N_124unique_dim_cuda_templateImEESt5tupleIJNSH_6TensorESM_SM_EERKSM_lbbbEUlllE0_EEPmJS6_EEE10hipError_tPvRmT3_T4_T5_T6_T7_T9_mT8_P12ihipStream_tbDpT10_ENKUlT_T0_E_clISt17integral_constantIbLb1EES1B_IbLb0EEEEDaS17_S18_EUlS17_E_NS1_11comp_targetILNS1_3genE3ELNS1_11target_archE908ELNS1_3gpuE7ELNS1_3repE0EEENS1_30default_config_static_selectorELNS0_4arch9wavefront6targetE1EEEvT1_,comdat
	.globl	_ZN7rocprim17ROCPRIM_400000_NS6detail17trampoline_kernelINS0_14default_configENS1_25partition_config_selectorILNS1_17partition_subalgoE8ElNS0_10empty_typeEbEEZZNS1_14partition_implILS5_8ELb0ES3_jPlPS6_PKS6_NS0_5tupleIJS9_S6_EEENSD_IJSA_SA_EEENS0_18inequality_wrapperIZN2at6native12_GLOBAL__N_124unique_dim_cuda_templateImEESt5tupleIJNSH_6TensorESM_SM_EERKSM_lbbbEUlllE0_EEPmJS6_EEE10hipError_tPvRmT3_T4_T5_T6_T7_T9_mT8_P12ihipStream_tbDpT10_ENKUlT_T0_E_clISt17integral_constantIbLb1EES1B_IbLb0EEEEDaS17_S18_EUlS17_E_NS1_11comp_targetILNS1_3genE3ELNS1_11target_archE908ELNS1_3gpuE7ELNS1_3repE0EEENS1_30default_config_static_selectorELNS0_4arch9wavefront6targetE1EEEvT1_ ; -- Begin function _ZN7rocprim17ROCPRIM_400000_NS6detail17trampoline_kernelINS0_14default_configENS1_25partition_config_selectorILNS1_17partition_subalgoE8ElNS0_10empty_typeEbEEZZNS1_14partition_implILS5_8ELb0ES3_jPlPS6_PKS6_NS0_5tupleIJS9_S6_EEENSD_IJSA_SA_EEENS0_18inequality_wrapperIZN2at6native12_GLOBAL__N_124unique_dim_cuda_templateImEESt5tupleIJNSH_6TensorESM_SM_EERKSM_lbbbEUlllE0_EEPmJS6_EEE10hipError_tPvRmT3_T4_T5_T6_T7_T9_mT8_P12ihipStream_tbDpT10_ENKUlT_T0_E_clISt17integral_constantIbLb1EES1B_IbLb0EEEEDaS17_S18_EUlS17_E_NS1_11comp_targetILNS1_3genE3ELNS1_11target_archE908ELNS1_3gpuE7ELNS1_3repE0EEENS1_30default_config_static_selectorELNS0_4arch9wavefront6targetE1EEEvT1_
	.p2align	8
	.type	_ZN7rocprim17ROCPRIM_400000_NS6detail17trampoline_kernelINS0_14default_configENS1_25partition_config_selectorILNS1_17partition_subalgoE8ElNS0_10empty_typeEbEEZZNS1_14partition_implILS5_8ELb0ES3_jPlPS6_PKS6_NS0_5tupleIJS9_S6_EEENSD_IJSA_SA_EEENS0_18inequality_wrapperIZN2at6native12_GLOBAL__N_124unique_dim_cuda_templateImEESt5tupleIJNSH_6TensorESM_SM_EERKSM_lbbbEUlllE0_EEPmJS6_EEE10hipError_tPvRmT3_T4_T5_T6_T7_T9_mT8_P12ihipStream_tbDpT10_ENKUlT_T0_E_clISt17integral_constantIbLb1EES1B_IbLb0EEEEDaS17_S18_EUlS17_E_NS1_11comp_targetILNS1_3genE3ELNS1_11target_archE908ELNS1_3gpuE7ELNS1_3repE0EEENS1_30default_config_static_selectorELNS0_4arch9wavefront6targetE1EEEvT1_,@function
_ZN7rocprim17ROCPRIM_400000_NS6detail17trampoline_kernelINS0_14default_configENS1_25partition_config_selectorILNS1_17partition_subalgoE8ElNS0_10empty_typeEbEEZZNS1_14partition_implILS5_8ELb0ES3_jPlPS6_PKS6_NS0_5tupleIJS9_S6_EEENSD_IJSA_SA_EEENS0_18inequality_wrapperIZN2at6native12_GLOBAL__N_124unique_dim_cuda_templateImEESt5tupleIJNSH_6TensorESM_SM_EERKSM_lbbbEUlllE0_EEPmJS6_EEE10hipError_tPvRmT3_T4_T5_T6_T7_T9_mT8_P12ihipStream_tbDpT10_ENKUlT_T0_E_clISt17integral_constantIbLb1EES1B_IbLb0EEEEDaS17_S18_EUlS17_E_NS1_11comp_targetILNS1_3genE3ELNS1_11target_archE908ELNS1_3gpuE7ELNS1_3repE0EEENS1_30default_config_static_selectorELNS0_4arch9wavefront6targetE1EEEvT1_: ; @_ZN7rocprim17ROCPRIM_400000_NS6detail17trampoline_kernelINS0_14default_configENS1_25partition_config_selectorILNS1_17partition_subalgoE8ElNS0_10empty_typeEbEEZZNS1_14partition_implILS5_8ELb0ES3_jPlPS6_PKS6_NS0_5tupleIJS9_S6_EEENSD_IJSA_SA_EEENS0_18inequality_wrapperIZN2at6native12_GLOBAL__N_124unique_dim_cuda_templateImEESt5tupleIJNSH_6TensorESM_SM_EERKSM_lbbbEUlllE0_EEPmJS6_EEE10hipError_tPvRmT3_T4_T5_T6_T7_T9_mT8_P12ihipStream_tbDpT10_ENKUlT_T0_E_clISt17integral_constantIbLb1EES1B_IbLb0EEEEDaS17_S18_EUlS17_E_NS1_11comp_targetILNS1_3genE3ELNS1_11target_archE908ELNS1_3gpuE7ELNS1_3repE0EEENS1_30default_config_static_selectorELNS0_4arch9wavefront6targetE1EEEvT1_
; %bb.0:
	.section	.rodata,"a",@progbits
	.p2align	6, 0x0
	.amdhsa_kernel _ZN7rocprim17ROCPRIM_400000_NS6detail17trampoline_kernelINS0_14default_configENS1_25partition_config_selectorILNS1_17partition_subalgoE8ElNS0_10empty_typeEbEEZZNS1_14partition_implILS5_8ELb0ES3_jPlPS6_PKS6_NS0_5tupleIJS9_S6_EEENSD_IJSA_SA_EEENS0_18inequality_wrapperIZN2at6native12_GLOBAL__N_124unique_dim_cuda_templateImEESt5tupleIJNSH_6TensorESM_SM_EERKSM_lbbbEUlllE0_EEPmJS6_EEE10hipError_tPvRmT3_T4_T5_T6_T7_T9_mT8_P12ihipStream_tbDpT10_ENKUlT_T0_E_clISt17integral_constantIbLb1EES1B_IbLb0EEEEDaS17_S18_EUlS17_E_NS1_11comp_targetILNS1_3genE3ELNS1_11target_archE908ELNS1_3gpuE7ELNS1_3repE0EEENS1_30default_config_static_selectorELNS0_4arch9wavefront6targetE1EEEvT1_
		.amdhsa_group_segment_fixed_size 0
		.amdhsa_private_segment_fixed_size 0
		.amdhsa_kernarg_size 120
		.amdhsa_user_sgpr_count 2
		.amdhsa_user_sgpr_dispatch_ptr 0
		.amdhsa_user_sgpr_queue_ptr 0
		.amdhsa_user_sgpr_kernarg_segment_ptr 1
		.amdhsa_user_sgpr_dispatch_id 0
		.amdhsa_user_sgpr_kernarg_preload_length 0
		.amdhsa_user_sgpr_kernarg_preload_offset 0
		.amdhsa_user_sgpr_private_segment_size 0
		.amdhsa_uses_dynamic_stack 0
		.amdhsa_enable_private_segment 0
		.amdhsa_system_sgpr_workgroup_id_x 1
		.amdhsa_system_sgpr_workgroup_id_y 0
		.amdhsa_system_sgpr_workgroup_id_z 0
		.amdhsa_system_sgpr_workgroup_info 0
		.amdhsa_system_vgpr_workitem_id 0
		.amdhsa_next_free_vgpr 1
		.amdhsa_next_free_sgpr 0
		.amdhsa_accum_offset 4
		.amdhsa_reserve_vcc 0
		.amdhsa_float_round_mode_32 0
		.amdhsa_float_round_mode_16_64 0
		.amdhsa_float_denorm_mode_32 3
		.amdhsa_float_denorm_mode_16_64 3
		.amdhsa_dx10_clamp 1
		.amdhsa_ieee_mode 1
		.amdhsa_fp16_overflow 0
		.amdhsa_tg_split 0
		.amdhsa_exception_fp_ieee_invalid_op 0
		.amdhsa_exception_fp_denorm_src 0
		.amdhsa_exception_fp_ieee_div_zero 0
		.amdhsa_exception_fp_ieee_overflow 0
		.amdhsa_exception_fp_ieee_underflow 0
		.amdhsa_exception_fp_ieee_inexact 0
		.amdhsa_exception_int_div_zero 0
	.end_amdhsa_kernel
	.section	.text._ZN7rocprim17ROCPRIM_400000_NS6detail17trampoline_kernelINS0_14default_configENS1_25partition_config_selectorILNS1_17partition_subalgoE8ElNS0_10empty_typeEbEEZZNS1_14partition_implILS5_8ELb0ES3_jPlPS6_PKS6_NS0_5tupleIJS9_S6_EEENSD_IJSA_SA_EEENS0_18inequality_wrapperIZN2at6native12_GLOBAL__N_124unique_dim_cuda_templateImEESt5tupleIJNSH_6TensorESM_SM_EERKSM_lbbbEUlllE0_EEPmJS6_EEE10hipError_tPvRmT3_T4_T5_T6_T7_T9_mT8_P12ihipStream_tbDpT10_ENKUlT_T0_E_clISt17integral_constantIbLb1EES1B_IbLb0EEEEDaS17_S18_EUlS17_E_NS1_11comp_targetILNS1_3genE3ELNS1_11target_archE908ELNS1_3gpuE7ELNS1_3repE0EEENS1_30default_config_static_selectorELNS0_4arch9wavefront6targetE1EEEvT1_,"axG",@progbits,_ZN7rocprim17ROCPRIM_400000_NS6detail17trampoline_kernelINS0_14default_configENS1_25partition_config_selectorILNS1_17partition_subalgoE8ElNS0_10empty_typeEbEEZZNS1_14partition_implILS5_8ELb0ES3_jPlPS6_PKS6_NS0_5tupleIJS9_S6_EEENSD_IJSA_SA_EEENS0_18inequality_wrapperIZN2at6native12_GLOBAL__N_124unique_dim_cuda_templateImEESt5tupleIJNSH_6TensorESM_SM_EERKSM_lbbbEUlllE0_EEPmJS6_EEE10hipError_tPvRmT3_T4_T5_T6_T7_T9_mT8_P12ihipStream_tbDpT10_ENKUlT_T0_E_clISt17integral_constantIbLb1EES1B_IbLb0EEEEDaS17_S18_EUlS17_E_NS1_11comp_targetILNS1_3genE3ELNS1_11target_archE908ELNS1_3gpuE7ELNS1_3repE0EEENS1_30default_config_static_selectorELNS0_4arch9wavefront6targetE1EEEvT1_,comdat
.Lfunc_end1693:
	.size	_ZN7rocprim17ROCPRIM_400000_NS6detail17trampoline_kernelINS0_14default_configENS1_25partition_config_selectorILNS1_17partition_subalgoE8ElNS0_10empty_typeEbEEZZNS1_14partition_implILS5_8ELb0ES3_jPlPS6_PKS6_NS0_5tupleIJS9_S6_EEENSD_IJSA_SA_EEENS0_18inequality_wrapperIZN2at6native12_GLOBAL__N_124unique_dim_cuda_templateImEESt5tupleIJNSH_6TensorESM_SM_EERKSM_lbbbEUlllE0_EEPmJS6_EEE10hipError_tPvRmT3_T4_T5_T6_T7_T9_mT8_P12ihipStream_tbDpT10_ENKUlT_T0_E_clISt17integral_constantIbLb1EES1B_IbLb0EEEEDaS17_S18_EUlS17_E_NS1_11comp_targetILNS1_3genE3ELNS1_11target_archE908ELNS1_3gpuE7ELNS1_3repE0EEENS1_30default_config_static_selectorELNS0_4arch9wavefront6targetE1EEEvT1_, .Lfunc_end1693-_ZN7rocprim17ROCPRIM_400000_NS6detail17trampoline_kernelINS0_14default_configENS1_25partition_config_selectorILNS1_17partition_subalgoE8ElNS0_10empty_typeEbEEZZNS1_14partition_implILS5_8ELb0ES3_jPlPS6_PKS6_NS0_5tupleIJS9_S6_EEENSD_IJSA_SA_EEENS0_18inequality_wrapperIZN2at6native12_GLOBAL__N_124unique_dim_cuda_templateImEESt5tupleIJNSH_6TensorESM_SM_EERKSM_lbbbEUlllE0_EEPmJS6_EEE10hipError_tPvRmT3_T4_T5_T6_T7_T9_mT8_P12ihipStream_tbDpT10_ENKUlT_T0_E_clISt17integral_constantIbLb1EES1B_IbLb0EEEEDaS17_S18_EUlS17_E_NS1_11comp_targetILNS1_3genE3ELNS1_11target_archE908ELNS1_3gpuE7ELNS1_3repE0EEENS1_30default_config_static_selectorELNS0_4arch9wavefront6targetE1EEEvT1_
                                        ; -- End function
	.section	.AMDGPU.csdata,"",@progbits
; Kernel info:
; codeLenInByte = 0
; NumSgprs: 6
; NumVgprs: 0
; NumAgprs: 0
; TotalNumVgprs: 0
; ScratchSize: 0
; MemoryBound: 0
; FloatMode: 240
; IeeeMode: 1
; LDSByteSize: 0 bytes/workgroup (compile time only)
; SGPRBlocks: 0
; VGPRBlocks: 0
; NumSGPRsForWavesPerEU: 6
; NumVGPRsForWavesPerEU: 1
; AccumOffset: 4
; Occupancy: 8
; WaveLimiterHint : 0
; COMPUTE_PGM_RSRC2:SCRATCH_EN: 0
; COMPUTE_PGM_RSRC2:USER_SGPR: 2
; COMPUTE_PGM_RSRC2:TRAP_HANDLER: 0
; COMPUTE_PGM_RSRC2:TGID_X_EN: 1
; COMPUTE_PGM_RSRC2:TGID_Y_EN: 0
; COMPUTE_PGM_RSRC2:TGID_Z_EN: 0
; COMPUTE_PGM_RSRC2:TIDIG_COMP_CNT: 0
; COMPUTE_PGM_RSRC3_GFX90A:ACCUM_OFFSET: 0
; COMPUTE_PGM_RSRC3_GFX90A:TG_SPLIT: 0
	.section	.text._ZN7rocprim17ROCPRIM_400000_NS6detail17trampoline_kernelINS0_14default_configENS1_25partition_config_selectorILNS1_17partition_subalgoE8ElNS0_10empty_typeEbEEZZNS1_14partition_implILS5_8ELb0ES3_jPlPS6_PKS6_NS0_5tupleIJS9_S6_EEENSD_IJSA_SA_EEENS0_18inequality_wrapperIZN2at6native12_GLOBAL__N_124unique_dim_cuda_templateImEESt5tupleIJNSH_6TensorESM_SM_EERKSM_lbbbEUlllE0_EEPmJS6_EEE10hipError_tPvRmT3_T4_T5_T6_T7_T9_mT8_P12ihipStream_tbDpT10_ENKUlT_T0_E_clISt17integral_constantIbLb1EES1B_IbLb0EEEEDaS17_S18_EUlS17_E_NS1_11comp_targetILNS1_3genE2ELNS1_11target_archE906ELNS1_3gpuE6ELNS1_3repE0EEENS1_30default_config_static_selectorELNS0_4arch9wavefront6targetE1EEEvT1_,"axG",@progbits,_ZN7rocprim17ROCPRIM_400000_NS6detail17trampoline_kernelINS0_14default_configENS1_25partition_config_selectorILNS1_17partition_subalgoE8ElNS0_10empty_typeEbEEZZNS1_14partition_implILS5_8ELb0ES3_jPlPS6_PKS6_NS0_5tupleIJS9_S6_EEENSD_IJSA_SA_EEENS0_18inequality_wrapperIZN2at6native12_GLOBAL__N_124unique_dim_cuda_templateImEESt5tupleIJNSH_6TensorESM_SM_EERKSM_lbbbEUlllE0_EEPmJS6_EEE10hipError_tPvRmT3_T4_T5_T6_T7_T9_mT8_P12ihipStream_tbDpT10_ENKUlT_T0_E_clISt17integral_constantIbLb1EES1B_IbLb0EEEEDaS17_S18_EUlS17_E_NS1_11comp_targetILNS1_3genE2ELNS1_11target_archE906ELNS1_3gpuE6ELNS1_3repE0EEENS1_30default_config_static_selectorELNS0_4arch9wavefront6targetE1EEEvT1_,comdat
	.globl	_ZN7rocprim17ROCPRIM_400000_NS6detail17trampoline_kernelINS0_14default_configENS1_25partition_config_selectorILNS1_17partition_subalgoE8ElNS0_10empty_typeEbEEZZNS1_14partition_implILS5_8ELb0ES3_jPlPS6_PKS6_NS0_5tupleIJS9_S6_EEENSD_IJSA_SA_EEENS0_18inequality_wrapperIZN2at6native12_GLOBAL__N_124unique_dim_cuda_templateImEESt5tupleIJNSH_6TensorESM_SM_EERKSM_lbbbEUlllE0_EEPmJS6_EEE10hipError_tPvRmT3_T4_T5_T6_T7_T9_mT8_P12ihipStream_tbDpT10_ENKUlT_T0_E_clISt17integral_constantIbLb1EES1B_IbLb0EEEEDaS17_S18_EUlS17_E_NS1_11comp_targetILNS1_3genE2ELNS1_11target_archE906ELNS1_3gpuE6ELNS1_3repE0EEENS1_30default_config_static_selectorELNS0_4arch9wavefront6targetE1EEEvT1_ ; -- Begin function _ZN7rocprim17ROCPRIM_400000_NS6detail17trampoline_kernelINS0_14default_configENS1_25partition_config_selectorILNS1_17partition_subalgoE8ElNS0_10empty_typeEbEEZZNS1_14partition_implILS5_8ELb0ES3_jPlPS6_PKS6_NS0_5tupleIJS9_S6_EEENSD_IJSA_SA_EEENS0_18inequality_wrapperIZN2at6native12_GLOBAL__N_124unique_dim_cuda_templateImEESt5tupleIJNSH_6TensorESM_SM_EERKSM_lbbbEUlllE0_EEPmJS6_EEE10hipError_tPvRmT3_T4_T5_T6_T7_T9_mT8_P12ihipStream_tbDpT10_ENKUlT_T0_E_clISt17integral_constantIbLb1EES1B_IbLb0EEEEDaS17_S18_EUlS17_E_NS1_11comp_targetILNS1_3genE2ELNS1_11target_archE906ELNS1_3gpuE6ELNS1_3repE0EEENS1_30default_config_static_selectorELNS0_4arch9wavefront6targetE1EEEvT1_
	.p2align	8
	.type	_ZN7rocprim17ROCPRIM_400000_NS6detail17trampoline_kernelINS0_14default_configENS1_25partition_config_selectorILNS1_17partition_subalgoE8ElNS0_10empty_typeEbEEZZNS1_14partition_implILS5_8ELb0ES3_jPlPS6_PKS6_NS0_5tupleIJS9_S6_EEENSD_IJSA_SA_EEENS0_18inequality_wrapperIZN2at6native12_GLOBAL__N_124unique_dim_cuda_templateImEESt5tupleIJNSH_6TensorESM_SM_EERKSM_lbbbEUlllE0_EEPmJS6_EEE10hipError_tPvRmT3_T4_T5_T6_T7_T9_mT8_P12ihipStream_tbDpT10_ENKUlT_T0_E_clISt17integral_constantIbLb1EES1B_IbLb0EEEEDaS17_S18_EUlS17_E_NS1_11comp_targetILNS1_3genE2ELNS1_11target_archE906ELNS1_3gpuE6ELNS1_3repE0EEENS1_30default_config_static_selectorELNS0_4arch9wavefront6targetE1EEEvT1_,@function
_ZN7rocprim17ROCPRIM_400000_NS6detail17trampoline_kernelINS0_14default_configENS1_25partition_config_selectorILNS1_17partition_subalgoE8ElNS0_10empty_typeEbEEZZNS1_14partition_implILS5_8ELb0ES3_jPlPS6_PKS6_NS0_5tupleIJS9_S6_EEENSD_IJSA_SA_EEENS0_18inequality_wrapperIZN2at6native12_GLOBAL__N_124unique_dim_cuda_templateImEESt5tupleIJNSH_6TensorESM_SM_EERKSM_lbbbEUlllE0_EEPmJS6_EEE10hipError_tPvRmT3_T4_T5_T6_T7_T9_mT8_P12ihipStream_tbDpT10_ENKUlT_T0_E_clISt17integral_constantIbLb1EES1B_IbLb0EEEEDaS17_S18_EUlS17_E_NS1_11comp_targetILNS1_3genE2ELNS1_11target_archE906ELNS1_3gpuE6ELNS1_3repE0EEENS1_30default_config_static_selectorELNS0_4arch9wavefront6targetE1EEEvT1_: ; @_ZN7rocprim17ROCPRIM_400000_NS6detail17trampoline_kernelINS0_14default_configENS1_25partition_config_selectorILNS1_17partition_subalgoE8ElNS0_10empty_typeEbEEZZNS1_14partition_implILS5_8ELb0ES3_jPlPS6_PKS6_NS0_5tupleIJS9_S6_EEENSD_IJSA_SA_EEENS0_18inequality_wrapperIZN2at6native12_GLOBAL__N_124unique_dim_cuda_templateImEESt5tupleIJNSH_6TensorESM_SM_EERKSM_lbbbEUlllE0_EEPmJS6_EEE10hipError_tPvRmT3_T4_T5_T6_T7_T9_mT8_P12ihipStream_tbDpT10_ENKUlT_T0_E_clISt17integral_constantIbLb1EES1B_IbLb0EEEEDaS17_S18_EUlS17_E_NS1_11comp_targetILNS1_3genE2ELNS1_11target_archE906ELNS1_3gpuE6ELNS1_3repE0EEENS1_30default_config_static_selectorELNS0_4arch9wavefront6targetE1EEEvT1_
; %bb.0:
	.section	.rodata,"a",@progbits
	.p2align	6, 0x0
	.amdhsa_kernel _ZN7rocprim17ROCPRIM_400000_NS6detail17trampoline_kernelINS0_14default_configENS1_25partition_config_selectorILNS1_17partition_subalgoE8ElNS0_10empty_typeEbEEZZNS1_14partition_implILS5_8ELb0ES3_jPlPS6_PKS6_NS0_5tupleIJS9_S6_EEENSD_IJSA_SA_EEENS0_18inequality_wrapperIZN2at6native12_GLOBAL__N_124unique_dim_cuda_templateImEESt5tupleIJNSH_6TensorESM_SM_EERKSM_lbbbEUlllE0_EEPmJS6_EEE10hipError_tPvRmT3_T4_T5_T6_T7_T9_mT8_P12ihipStream_tbDpT10_ENKUlT_T0_E_clISt17integral_constantIbLb1EES1B_IbLb0EEEEDaS17_S18_EUlS17_E_NS1_11comp_targetILNS1_3genE2ELNS1_11target_archE906ELNS1_3gpuE6ELNS1_3repE0EEENS1_30default_config_static_selectorELNS0_4arch9wavefront6targetE1EEEvT1_
		.amdhsa_group_segment_fixed_size 0
		.amdhsa_private_segment_fixed_size 0
		.amdhsa_kernarg_size 120
		.amdhsa_user_sgpr_count 2
		.amdhsa_user_sgpr_dispatch_ptr 0
		.amdhsa_user_sgpr_queue_ptr 0
		.amdhsa_user_sgpr_kernarg_segment_ptr 1
		.amdhsa_user_sgpr_dispatch_id 0
		.amdhsa_user_sgpr_kernarg_preload_length 0
		.amdhsa_user_sgpr_kernarg_preload_offset 0
		.amdhsa_user_sgpr_private_segment_size 0
		.amdhsa_uses_dynamic_stack 0
		.amdhsa_enable_private_segment 0
		.amdhsa_system_sgpr_workgroup_id_x 1
		.amdhsa_system_sgpr_workgroup_id_y 0
		.amdhsa_system_sgpr_workgroup_id_z 0
		.amdhsa_system_sgpr_workgroup_info 0
		.amdhsa_system_vgpr_workitem_id 0
		.amdhsa_next_free_vgpr 1
		.amdhsa_next_free_sgpr 0
		.amdhsa_accum_offset 4
		.amdhsa_reserve_vcc 0
		.amdhsa_float_round_mode_32 0
		.amdhsa_float_round_mode_16_64 0
		.amdhsa_float_denorm_mode_32 3
		.amdhsa_float_denorm_mode_16_64 3
		.amdhsa_dx10_clamp 1
		.amdhsa_ieee_mode 1
		.amdhsa_fp16_overflow 0
		.amdhsa_tg_split 0
		.amdhsa_exception_fp_ieee_invalid_op 0
		.amdhsa_exception_fp_denorm_src 0
		.amdhsa_exception_fp_ieee_div_zero 0
		.amdhsa_exception_fp_ieee_overflow 0
		.amdhsa_exception_fp_ieee_underflow 0
		.amdhsa_exception_fp_ieee_inexact 0
		.amdhsa_exception_int_div_zero 0
	.end_amdhsa_kernel
	.section	.text._ZN7rocprim17ROCPRIM_400000_NS6detail17trampoline_kernelINS0_14default_configENS1_25partition_config_selectorILNS1_17partition_subalgoE8ElNS0_10empty_typeEbEEZZNS1_14partition_implILS5_8ELb0ES3_jPlPS6_PKS6_NS0_5tupleIJS9_S6_EEENSD_IJSA_SA_EEENS0_18inequality_wrapperIZN2at6native12_GLOBAL__N_124unique_dim_cuda_templateImEESt5tupleIJNSH_6TensorESM_SM_EERKSM_lbbbEUlllE0_EEPmJS6_EEE10hipError_tPvRmT3_T4_T5_T6_T7_T9_mT8_P12ihipStream_tbDpT10_ENKUlT_T0_E_clISt17integral_constantIbLb1EES1B_IbLb0EEEEDaS17_S18_EUlS17_E_NS1_11comp_targetILNS1_3genE2ELNS1_11target_archE906ELNS1_3gpuE6ELNS1_3repE0EEENS1_30default_config_static_selectorELNS0_4arch9wavefront6targetE1EEEvT1_,"axG",@progbits,_ZN7rocprim17ROCPRIM_400000_NS6detail17trampoline_kernelINS0_14default_configENS1_25partition_config_selectorILNS1_17partition_subalgoE8ElNS0_10empty_typeEbEEZZNS1_14partition_implILS5_8ELb0ES3_jPlPS6_PKS6_NS0_5tupleIJS9_S6_EEENSD_IJSA_SA_EEENS0_18inequality_wrapperIZN2at6native12_GLOBAL__N_124unique_dim_cuda_templateImEESt5tupleIJNSH_6TensorESM_SM_EERKSM_lbbbEUlllE0_EEPmJS6_EEE10hipError_tPvRmT3_T4_T5_T6_T7_T9_mT8_P12ihipStream_tbDpT10_ENKUlT_T0_E_clISt17integral_constantIbLb1EES1B_IbLb0EEEEDaS17_S18_EUlS17_E_NS1_11comp_targetILNS1_3genE2ELNS1_11target_archE906ELNS1_3gpuE6ELNS1_3repE0EEENS1_30default_config_static_selectorELNS0_4arch9wavefront6targetE1EEEvT1_,comdat
.Lfunc_end1694:
	.size	_ZN7rocprim17ROCPRIM_400000_NS6detail17trampoline_kernelINS0_14default_configENS1_25partition_config_selectorILNS1_17partition_subalgoE8ElNS0_10empty_typeEbEEZZNS1_14partition_implILS5_8ELb0ES3_jPlPS6_PKS6_NS0_5tupleIJS9_S6_EEENSD_IJSA_SA_EEENS0_18inequality_wrapperIZN2at6native12_GLOBAL__N_124unique_dim_cuda_templateImEESt5tupleIJNSH_6TensorESM_SM_EERKSM_lbbbEUlllE0_EEPmJS6_EEE10hipError_tPvRmT3_T4_T5_T6_T7_T9_mT8_P12ihipStream_tbDpT10_ENKUlT_T0_E_clISt17integral_constantIbLb1EES1B_IbLb0EEEEDaS17_S18_EUlS17_E_NS1_11comp_targetILNS1_3genE2ELNS1_11target_archE906ELNS1_3gpuE6ELNS1_3repE0EEENS1_30default_config_static_selectorELNS0_4arch9wavefront6targetE1EEEvT1_, .Lfunc_end1694-_ZN7rocprim17ROCPRIM_400000_NS6detail17trampoline_kernelINS0_14default_configENS1_25partition_config_selectorILNS1_17partition_subalgoE8ElNS0_10empty_typeEbEEZZNS1_14partition_implILS5_8ELb0ES3_jPlPS6_PKS6_NS0_5tupleIJS9_S6_EEENSD_IJSA_SA_EEENS0_18inequality_wrapperIZN2at6native12_GLOBAL__N_124unique_dim_cuda_templateImEESt5tupleIJNSH_6TensorESM_SM_EERKSM_lbbbEUlllE0_EEPmJS6_EEE10hipError_tPvRmT3_T4_T5_T6_T7_T9_mT8_P12ihipStream_tbDpT10_ENKUlT_T0_E_clISt17integral_constantIbLb1EES1B_IbLb0EEEEDaS17_S18_EUlS17_E_NS1_11comp_targetILNS1_3genE2ELNS1_11target_archE906ELNS1_3gpuE6ELNS1_3repE0EEENS1_30default_config_static_selectorELNS0_4arch9wavefront6targetE1EEEvT1_
                                        ; -- End function
	.section	.AMDGPU.csdata,"",@progbits
; Kernel info:
; codeLenInByte = 0
; NumSgprs: 6
; NumVgprs: 0
; NumAgprs: 0
; TotalNumVgprs: 0
; ScratchSize: 0
; MemoryBound: 0
; FloatMode: 240
; IeeeMode: 1
; LDSByteSize: 0 bytes/workgroup (compile time only)
; SGPRBlocks: 0
; VGPRBlocks: 0
; NumSGPRsForWavesPerEU: 6
; NumVGPRsForWavesPerEU: 1
; AccumOffset: 4
; Occupancy: 8
; WaveLimiterHint : 0
; COMPUTE_PGM_RSRC2:SCRATCH_EN: 0
; COMPUTE_PGM_RSRC2:USER_SGPR: 2
; COMPUTE_PGM_RSRC2:TRAP_HANDLER: 0
; COMPUTE_PGM_RSRC2:TGID_X_EN: 1
; COMPUTE_PGM_RSRC2:TGID_Y_EN: 0
; COMPUTE_PGM_RSRC2:TGID_Z_EN: 0
; COMPUTE_PGM_RSRC2:TIDIG_COMP_CNT: 0
; COMPUTE_PGM_RSRC3_GFX90A:ACCUM_OFFSET: 0
; COMPUTE_PGM_RSRC3_GFX90A:TG_SPLIT: 0
	.section	.text._ZN7rocprim17ROCPRIM_400000_NS6detail17trampoline_kernelINS0_14default_configENS1_25partition_config_selectorILNS1_17partition_subalgoE8ElNS0_10empty_typeEbEEZZNS1_14partition_implILS5_8ELb0ES3_jPlPS6_PKS6_NS0_5tupleIJS9_S6_EEENSD_IJSA_SA_EEENS0_18inequality_wrapperIZN2at6native12_GLOBAL__N_124unique_dim_cuda_templateImEESt5tupleIJNSH_6TensorESM_SM_EERKSM_lbbbEUlllE0_EEPmJS6_EEE10hipError_tPvRmT3_T4_T5_T6_T7_T9_mT8_P12ihipStream_tbDpT10_ENKUlT_T0_E_clISt17integral_constantIbLb1EES1B_IbLb0EEEEDaS17_S18_EUlS17_E_NS1_11comp_targetILNS1_3genE10ELNS1_11target_archE1200ELNS1_3gpuE4ELNS1_3repE0EEENS1_30default_config_static_selectorELNS0_4arch9wavefront6targetE1EEEvT1_,"axG",@progbits,_ZN7rocprim17ROCPRIM_400000_NS6detail17trampoline_kernelINS0_14default_configENS1_25partition_config_selectorILNS1_17partition_subalgoE8ElNS0_10empty_typeEbEEZZNS1_14partition_implILS5_8ELb0ES3_jPlPS6_PKS6_NS0_5tupleIJS9_S6_EEENSD_IJSA_SA_EEENS0_18inequality_wrapperIZN2at6native12_GLOBAL__N_124unique_dim_cuda_templateImEESt5tupleIJNSH_6TensorESM_SM_EERKSM_lbbbEUlllE0_EEPmJS6_EEE10hipError_tPvRmT3_T4_T5_T6_T7_T9_mT8_P12ihipStream_tbDpT10_ENKUlT_T0_E_clISt17integral_constantIbLb1EES1B_IbLb0EEEEDaS17_S18_EUlS17_E_NS1_11comp_targetILNS1_3genE10ELNS1_11target_archE1200ELNS1_3gpuE4ELNS1_3repE0EEENS1_30default_config_static_selectorELNS0_4arch9wavefront6targetE1EEEvT1_,comdat
	.globl	_ZN7rocprim17ROCPRIM_400000_NS6detail17trampoline_kernelINS0_14default_configENS1_25partition_config_selectorILNS1_17partition_subalgoE8ElNS0_10empty_typeEbEEZZNS1_14partition_implILS5_8ELb0ES3_jPlPS6_PKS6_NS0_5tupleIJS9_S6_EEENSD_IJSA_SA_EEENS0_18inequality_wrapperIZN2at6native12_GLOBAL__N_124unique_dim_cuda_templateImEESt5tupleIJNSH_6TensorESM_SM_EERKSM_lbbbEUlllE0_EEPmJS6_EEE10hipError_tPvRmT3_T4_T5_T6_T7_T9_mT8_P12ihipStream_tbDpT10_ENKUlT_T0_E_clISt17integral_constantIbLb1EES1B_IbLb0EEEEDaS17_S18_EUlS17_E_NS1_11comp_targetILNS1_3genE10ELNS1_11target_archE1200ELNS1_3gpuE4ELNS1_3repE0EEENS1_30default_config_static_selectorELNS0_4arch9wavefront6targetE1EEEvT1_ ; -- Begin function _ZN7rocprim17ROCPRIM_400000_NS6detail17trampoline_kernelINS0_14default_configENS1_25partition_config_selectorILNS1_17partition_subalgoE8ElNS0_10empty_typeEbEEZZNS1_14partition_implILS5_8ELb0ES3_jPlPS6_PKS6_NS0_5tupleIJS9_S6_EEENSD_IJSA_SA_EEENS0_18inequality_wrapperIZN2at6native12_GLOBAL__N_124unique_dim_cuda_templateImEESt5tupleIJNSH_6TensorESM_SM_EERKSM_lbbbEUlllE0_EEPmJS6_EEE10hipError_tPvRmT3_T4_T5_T6_T7_T9_mT8_P12ihipStream_tbDpT10_ENKUlT_T0_E_clISt17integral_constantIbLb1EES1B_IbLb0EEEEDaS17_S18_EUlS17_E_NS1_11comp_targetILNS1_3genE10ELNS1_11target_archE1200ELNS1_3gpuE4ELNS1_3repE0EEENS1_30default_config_static_selectorELNS0_4arch9wavefront6targetE1EEEvT1_
	.p2align	8
	.type	_ZN7rocprim17ROCPRIM_400000_NS6detail17trampoline_kernelINS0_14default_configENS1_25partition_config_selectorILNS1_17partition_subalgoE8ElNS0_10empty_typeEbEEZZNS1_14partition_implILS5_8ELb0ES3_jPlPS6_PKS6_NS0_5tupleIJS9_S6_EEENSD_IJSA_SA_EEENS0_18inequality_wrapperIZN2at6native12_GLOBAL__N_124unique_dim_cuda_templateImEESt5tupleIJNSH_6TensorESM_SM_EERKSM_lbbbEUlllE0_EEPmJS6_EEE10hipError_tPvRmT3_T4_T5_T6_T7_T9_mT8_P12ihipStream_tbDpT10_ENKUlT_T0_E_clISt17integral_constantIbLb1EES1B_IbLb0EEEEDaS17_S18_EUlS17_E_NS1_11comp_targetILNS1_3genE10ELNS1_11target_archE1200ELNS1_3gpuE4ELNS1_3repE0EEENS1_30default_config_static_selectorELNS0_4arch9wavefront6targetE1EEEvT1_,@function
_ZN7rocprim17ROCPRIM_400000_NS6detail17trampoline_kernelINS0_14default_configENS1_25partition_config_selectorILNS1_17partition_subalgoE8ElNS0_10empty_typeEbEEZZNS1_14partition_implILS5_8ELb0ES3_jPlPS6_PKS6_NS0_5tupleIJS9_S6_EEENSD_IJSA_SA_EEENS0_18inequality_wrapperIZN2at6native12_GLOBAL__N_124unique_dim_cuda_templateImEESt5tupleIJNSH_6TensorESM_SM_EERKSM_lbbbEUlllE0_EEPmJS6_EEE10hipError_tPvRmT3_T4_T5_T6_T7_T9_mT8_P12ihipStream_tbDpT10_ENKUlT_T0_E_clISt17integral_constantIbLb1EES1B_IbLb0EEEEDaS17_S18_EUlS17_E_NS1_11comp_targetILNS1_3genE10ELNS1_11target_archE1200ELNS1_3gpuE4ELNS1_3repE0EEENS1_30default_config_static_selectorELNS0_4arch9wavefront6targetE1EEEvT1_: ; @_ZN7rocprim17ROCPRIM_400000_NS6detail17trampoline_kernelINS0_14default_configENS1_25partition_config_selectorILNS1_17partition_subalgoE8ElNS0_10empty_typeEbEEZZNS1_14partition_implILS5_8ELb0ES3_jPlPS6_PKS6_NS0_5tupleIJS9_S6_EEENSD_IJSA_SA_EEENS0_18inequality_wrapperIZN2at6native12_GLOBAL__N_124unique_dim_cuda_templateImEESt5tupleIJNSH_6TensorESM_SM_EERKSM_lbbbEUlllE0_EEPmJS6_EEE10hipError_tPvRmT3_T4_T5_T6_T7_T9_mT8_P12ihipStream_tbDpT10_ENKUlT_T0_E_clISt17integral_constantIbLb1EES1B_IbLb0EEEEDaS17_S18_EUlS17_E_NS1_11comp_targetILNS1_3genE10ELNS1_11target_archE1200ELNS1_3gpuE4ELNS1_3repE0EEENS1_30default_config_static_selectorELNS0_4arch9wavefront6targetE1EEEvT1_
; %bb.0:
	.section	.rodata,"a",@progbits
	.p2align	6, 0x0
	.amdhsa_kernel _ZN7rocprim17ROCPRIM_400000_NS6detail17trampoline_kernelINS0_14default_configENS1_25partition_config_selectorILNS1_17partition_subalgoE8ElNS0_10empty_typeEbEEZZNS1_14partition_implILS5_8ELb0ES3_jPlPS6_PKS6_NS0_5tupleIJS9_S6_EEENSD_IJSA_SA_EEENS0_18inequality_wrapperIZN2at6native12_GLOBAL__N_124unique_dim_cuda_templateImEESt5tupleIJNSH_6TensorESM_SM_EERKSM_lbbbEUlllE0_EEPmJS6_EEE10hipError_tPvRmT3_T4_T5_T6_T7_T9_mT8_P12ihipStream_tbDpT10_ENKUlT_T0_E_clISt17integral_constantIbLb1EES1B_IbLb0EEEEDaS17_S18_EUlS17_E_NS1_11comp_targetILNS1_3genE10ELNS1_11target_archE1200ELNS1_3gpuE4ELNS1_3repE0EEENS1_30default_config_static_selectorELNS0_4arch9wavefront6targetE1EEEvT1_
		.amdhsa_group_segment_fixed_size 0
		.amdhsa_private_segment_fixed_size 0
		.amdhsa_kernarg_size 120
		.amdhsa_user_sgpr_count 2
		.amdhsa_user_sgpr_dispatch_ptr 0
		.amdhsa_user_sgpr_queue_ptr 0
		.amdhsa_user_sgpr_kernarg_segment_ptr 1
		.amdhsa_user_sgpr_dispatch_id 0
		.amdhsa_user_sgpr_kernarg_preload_length 0
		.amdhsa_user_sgpr_kernarg_preload_offset 0
		.amdhsa_user_sgpr_private_segment_size 0
		.amdhsa_uses_dynamic_stack 0
		.amdhsa_enable_private_segment 0
		.amdhsa_system_sgpr_workgroup_id_x 1
		.amdhsa_system_sgpr_workgroup_id_y 0
		.amdhsa_system_sgpr_workgroup_id_z 0
		.amdhsa_system_sgpr_workgroup_info 0
		.amdhsa_system_vgpr_workitem_id 0
		.amdhsa_next_free_vgpr 1
		.amdhsa_next_free_sgpr 0
		.amdhsa_accum_offset 4
		.amdhsa_reserve_vcc 0
		.amdhsa_float_round_mode_32 0
		.amdhsa_float_round_mode_16_64 0
		.amdhsa_float_denorm_mode_32 3
		.amdhsa_float_denorm_mode_16_64 3
		.amdhsa_dx10_clamp 1
		.amdhsa_ieee_mode 1
		.amdhsa_fp16_overflow 0
		.amdhsa_tg_split 0
		.amdhsa_exception_fp_ieee_invalid_op 0
		.amdhsa_exception_fp_denorm_src 0
		.amdhsa_exception_fp_ieee_div_zero 0
		.amdhsa_exception_fp_ieee_overflow 0
		.amdhsa_exception_fp_ieee_underflow 0
		.amdhsa_exception_fp_ieee_inexact 0
		.amdhsa_exception_int_div_zero 0
	.end_amdhsa_kernel
	.section	.text._ZN7rocprim17ROCPRIM_400000_NS6detail17trampoline_kernelINS0_14default_configENS1_25partition_config_selectorILNS1_17partition_subalgoE8ElNS0_10empty_typeEbEEZZNS1_14partition_implILS5_8ELb0ES3_jPlPS6_PKS6_NS0_5tupleIJS9_S6_EEENSD_IJSA_SA_EEENS0_18inequality_wrapperIZN2at6native12_GLOBAL__N_124unique_dim_cuda_templateImEESt5tupleIJNSH_6TensorESM_SM_EERKSM_lbbbEUlllE0_EEPmJS6_EEE10hipError_tPvRmT3_T4_T5_T6_T7_T9_mT8_P12ihipStream_tbDpT10_ENKUlT_T0_E_clISt17integral_constantIbLb1EES1B_IbLb0EEEEDaS17_S18_EUlS17_E_NS1_11comp_targetILNS1_3genE10ELNS1_11target_archE1200ELNS1_3gpuE4ELNS1_3repE0EEENS1_30default_config_static_selectorELNS0_4arch9wavefront6targetE1EEEvT1_,"axG",@progbits,_ZN7rocprim17ROCPRIM_400000_NS6detail17trampoline_kernelINS0_14default_configENS1_25partition_config_selectorILNS1_17partition_subalgoE8ElNS0_10empty_typeEbEEZZNS1_14partition_implILS5_8ELb0ES3_jPlPS6_PKS6_NS0_5tupleIJS9_S6_EEENSD_IJSA_SA_EEENS0_18inequality_wrapperIZN2at6native12_GLOBAL__N_124unique_dim_cuda_templateImEESt5tupleIJNSH_6TensorESM_SM_EERKSM_lbbbEUlllE0_EEPmJS6_EEE10hipError_tPvRmT3_T4_T5_T6_T7_T9_mT8_P12ihipStream_tbDpT10_ENKUlT_T0_E_clISt17integral_constantIbLb1EES1B_IbLb0EEEEDaS17_S18_EUlS17_E_NS1_11comp_targetILNS1_3genE10ELNS1_11target_archE1200ELNS1_3gpuE4ELNS1_3repE0EEENS1_30default_config_static_selectorELNS0_4arch9wavefront6targetE1EEEvT1_,comdat
.Lfunc_end1695:
	.size	_ZN7rocprim17ROCPRIM_400000_NS6detail17trampoline_kernelINS0_14default_configENS1_25partition_config_selectorILNS1_17partition_subalgoE8ElNS0_10empty_typeEbEEZZNS1_14partition_implILS5_8ELb0ES3_jPlPS6_PKS6_NS0_5tupleIJS9_S6_EEENSD_IJSA_SA_EEENS0_18inequality_wrapperIZN2at6native12_GLOBAL__N_124unique_dim_cuda_templateImEESt5tupleIJNSH_6TensorESM_SM_EERKSM_lbbbEUlllE0_EEPmJS6_EEE10hipError_tPvRmT3_T4_T5_T6_T7_T9_mT8_P12ihipStream_tbDpT10_ENKUlT_T0_E_clISt17integral_constantIbLb1EES1B_IbLb0EEEEDaS17_S18_EUlS17_E_NS1_11comp_targetILNS1_3genE10ELNS1_11target_archE1200ELNS1_3gpuE4ELNS1_3repE0EEENS1_30default_config_static_selectorELNS0_4arch9wavefront6targetE1EEEvT1_, .Lfunc_end1695-_ZN7rocprim17ROCPRIM_400000_NS6detail17trampoline_kernelINS0_14default_configENS1_25partition_config_selectorILNS1_17partition_subalgoE8ElNS0_10empty_typeEbEEZZNS1_14partition_implILS5_8ELb0ES3_jPlPS6_PKS6_NS0_5tupleIJS9_S6_EEENSD_IJSA_SA_EEENS0_18inequality_wrapperIZN2at6native12_GLOBAL__N_124unique_dim_cuda_templateImEESt5tupleIJNSH_6TensorESM_SM_EERKSM_lbbbEUlllE0_EEPmJS6_EEE10hipError_tPvRmT3_T4_T5_T6_T7_T9_mT8_P12ihipStream_tbDpT10_ENKUlT_T0_E_clISt17integral_constantIbLb1EES1B_IbLb0EEEEDaS17_S18_EUlS17_E_NS1_11comp_targetILNS1_3genE10ELNS1_11target_archE1200ELNS1_3gpuE4ELNS1_3repE0EEENS1_30default_config_static_selectorELNS0_4arch9wavefront6targetE1EEEvT1_
                                        ; -- End function
	.section	.AMDGPU.csdata,"",@progbits
; Kernel info:
; codeLenInByte = 0
; NumSgprs: 6
; NumVgprs: 0
; NumAgprs: 0
; TotalNumVgprs: 0
; ScratchSize: 0
; MemoryBound: 0
; FloatMode: 240
; IeeeMode: 1
; LDSByteSize: 0 bytes/workgroup (compile time only)
; SGPRBlocks: 0
; VGPRBlocks: 0
; NumSGPRsForWavesPerEU: 6
; NumVGPRsForWavesPerEU: 1
; AccumOffset: 4
; Occupancy: 8
; WaveLimiterHint : 0
; COMPUTE_PGM_RSRC2:SCRATCH_EN: 0
; COMPUTE_PGM_RSRC2:USER_SGPR: 2
; COMPUTE_PGM_RSRC2:TRAP_HANDLER: 0
; COMPUTE_PGM_RSRC2:TGID_X_EN: 1
; COMPUTE_PGM_RSRC2:TGID_Y_EN: 0
; COMPUTE_PGM_RSRC2:TGID_Z_EN: 0
; COMPUTE_PGM_RSRC2:TIDIG_COMP_CNT: 0
; COMPUTE_PGM_RSRC3_GFX90A:ACCUM_OFFSET: 0
; COMPUTE_PGM_RSRC3_GFX90A:TG_SPLIT: 0
	.section	.text._ZN7rocprim17ROCPRIM_400000_NS6detail17trampoline_kernelINS0_14default_configENS1_25partition_config_selectorILNS1_17partition_subalgoE8ElNS0_10empty_typeEbEEZZNS1_14partition_implILS5_8ELb0ES3_jPlPS6_PKS6_NS0_5tupleIJS9_S6_EEENSD_IJSA_SA_EEENS0_18inequality_wrapperIZN2at6native12_GLOBAL__N_124unique_dim_cuda_templateImEESt5tupleIJNSH_6TensorESM_SM_EERKSM_lbbbEUlllE0_EEPmJS6_EEE10hipError_tPvRmT3_T4_T5_T6_T7_T9_mT8_P12ihipStream_tbDpT10_ENKUlT_T0_E_clISt17integral_constantIbLb1EES1B_IbLb0EEEEDaS17_S18_EUlS17_E_NS1_11comp_targetILNS1_3genE9ELNS1_11target_archE1100ELNS1_3gpuE3ELNS1_3repE0EEENS1_30default_config_static_selectorELNS0_4arch9wavefront6targetE1EEEvT1_,"axG",@progbits,_ZN7rocprim17ROCPRIM_400000_NS6detail17trampoline_kernelINS0_14default_configENS1_25partition_config_selectorILNS1_17partition_subalgoE8ElNS0_10empty_typeEbEEZZNS1_14partition_implILS5_8ELb0ES3_jPlPS6_PKS6_NS0_5tupleIJS9_S6_EEENSD_IJSA_SA_EEENS0_18inequality_wrapperIZN2at6native12_GLOBAL__N_124unique_dim_cuda_templateImEESt5tupleIJNSH_6TensorESM_SM_EERKSM_lbbbEUlllE0_EEPmJS6_EEE10hipError_tPvRmT3_T4_T5_T6_T7_T9_mT8_P12ihipStream_tbDpT10_ENKUlT_T0_E_clISt17integral_constantIbLb1EES1B_IbLb0EEEEDaS17_S18_EUlS17_E_NS1_11comp_targetILNS1_3genE9ELNS1_11target_archE1100ELNS1_3gpuE3ELNS1_3repE0EEENS1_30default_config_static_selectorELNS0_4arch9wavefront6targetE1EEEvT1_,comdat
	.globl	_ZN7rocprim17ROCPRIM_400000_NS6detail17trampoline_kernelINS0_14default_configENS1_25partition_config_selectorILNS1_17partition_subalgoE8ElNS0_10empty_typeEbEEZZNS1_14partition_implILS5_8ELb0ES3_jPlPS6_PKS6_NS0_5tupleIJS9_S6_EEENSD_IJSA_SA_EEENS0_18inequality_wrapperIZN2at6native12_GLOBAL__N_124unique_dim_cuda_templateImEESt5tupleIJNSH_6TensorESM_SM_EERKSM_lbbbEUlllE0_EEPmJS6_EEE10hipError_tPvRmT3_T4_T5_T6_T7_T9_mT8_P12ihipStream_tbDpT10_ENKUlT_T0_E_clISt17integral_constantIbLb1EES1B_IbLb0EEEEDaS17_S18_EUlS17_E_NS1_11comp_targetILNS1_3genE9ELNS1_11target_archE1100ELNS1_3gpuE3ELNS1_3repE0EEENS1_30default_config_static_selectorELNS0_4arch9wavefront6targetE1EEEvT1_ ; -- Begin function _ZN7rocprim17ROCPRIM_400000_NS6detail17trampoline_kernelINS0_14default_configENS1_25partition_config_selectorILNS1_17partition_subalgoE8ElNS0_10empty_typeEbEEZZNS1_14partition_implILS5_8ELb0ES3_jPlPS6_PKS6_NS0_5tupleIJS9_S6_EEENSD_IJSA_SA_EEENS0_18inequality_wrapperIZN2at6native12_GLOBAL__N_124unique_dim_cuda_templateImEESt5tupleIJNSH_6TensorESM_SM_EERKSM_lbbbEUlllE0_EEPmJS6_EEE10hipError_tPvRmT3_T4_T5_T6_T7_T9_mT8_P12ihipStream_tbDpT10_ENKUlT_T0_E_clISt17integral_constantIbLb1EES1B_IbLb0EEEEDaS17_S18_EUlS17_E_NS1_11comp_targetILNS1_3genE9ELNS1_11target_archE1100ELNS1_3gpuE3ELNS1_3repE0EEENS1_30default_config_static_selectorELNS0_4arch9wavefront6targetE1EEEvT1_
	.p2align	8
	.type	_ZN7rocprim17ROCPRIM_400000_NS6detail17trampoline_kernelINS0_14default_configENS1_25partition_config_selectorILNS1_17partition_subalgoE8ElNS0_10empty_typeEbEEZZNS1_14partition_implILS5_8ELb0ES3_jPlPS6_PKS6_NS0_5tupleIJS9_S6_EEENSD_IJSA_SA_EEENS0_18inequality_wrapperIZN2at6native12_GLOBAL__N_124unique_dim_cuda_templateImEESt5tupleIJNSH_6TensorESM_SM_EERKSM_lbbbEUlllE0_EEPmJS6_EEE10hipError_tPvRmT3_T4_T5_T6_T7_T9_mT8_P12ihipStream_tbDpT10_ENKUlT_T0_E_clISt17integral_constantIbLb1EES1B_IbLb0EEEEDaS17_S18_EUlS17_E_NS1_11comp_targetILNS1_3genE9ELNS1_11target_archE1100ELNS1_3gpuE3ELNS1_3repE0EEENS1_30default_config_static_selectorELNS0_4arch9wavefront6targetE1EEEvT1_,@function
_ZN7rocprim17ROCPRIM_400000_NS6detail17trampoline_kernelINS0_14default_configENS1_25partition_config_selectorILNS1_17partition_subalgoE8ElNS0_10empty_typeEbEEZZNS1_14partition_implILS5_8ELb0ES3_jPlPS6_PKS6_NS0_5tupleIJS9_S6_EEENSD_IJSA_SA_EEENS0_18inequality_wrapperIZN2at6native12_GLOBAL__N_124unique_dim_cuda_templateImEESt5tupleIJNSH_6TensorESM_SM_EERKSM_lbbbEUlllE0_EEPmJS6_EEE10hipError_tPvRmT3_T4_T5_T6_T7_T9_mT8_P12ihipStream_tbDpT10_ENKUlT_T0_E_clISt17integral_constantIbLb1EES1B_IbLb0EEEEDaS17_S18_EUlS17_E_NS1_11comp_targetILNS1_3genE9ELNS1_11target_archE1100ELNS1_3gpuE3ELNS1_3repE0EEENS1_30default_config_static_selectorELNS0_4arch9wavefront6targetE1EEEvT1_: ; @_ZN7rocprim17ROCPRIM_400000_NS6detail17trampoline_kernelINS0_14default_configENS1_25partition_config_selectorILNS1_17partition_subalgoE8ElNS0_10empty_typeEbEEZZNS1_14partition_implILS5_8ELb0ES3_jPlPS6_PKS6_NS0_5tupleIJS9_S6_EEENSD_IJSA_SA_EEENS0_18inequality_wrapperIZN2at6native12_GLOBAL__N_124unique_dim_cuda_templateImEESt5tupleIJNSH_6TensorESM_SM_EERKSM_lbbbEUlllE0_EEPmJS6_EEE10hipError_tPvRmT3_T4_T5_T6_T7_T9_mT8_P12ihipStream_tbDpT10_ENKUlT_T0_E_clISt17integral_constantIbLb1EES1B_IbLb0EEEEDaS17_S18_EUlS17_E_NS1_11comp_targetILNS1_3genE9ELNS1_11target_archE1100ELNS1_3gpuE3ELNS1_3repE0EEENS1_30default_config_static_selectorELNS0_4arch9wavefront6targetE1EEEvT1_
; %bb.0:
	.section	.rodata,"a",@progbits
	.p2align	6, 0x0
	.amdhsa_kernel _ZN7rocprim17ROCPRIM_400000_NS6detail17trampoline_kernelINS0_14default_configENS1_25partition_config_selectorILNS1_17partition_subalgoE8ElNS0_10empty_typeEbEEZZNS1_14partition_implILS5_8ELb0ES3_jPlPS6_PKS6_NS0_5tupleIJS9_S6_EEENSD_IJSA_SA_EEENS0_18inequality_wrapperIZN2at6native12_GLOBAL__N_124unique_dim_cuda_templateImEESt5tupleIJNSH_6TensorESM_SM_EERKSM_lbbbEUlllE0_EEPmJS6_EEE10hipError_tPvRmT3_T4_T5_T6_T7_T9_mT8_P12ihipStream_tbDpT10_ENKUlT_T0_E_clISt17integral_constantIbLb1EES1B_IbLb0EEEEDaS17_S18_EUlS17_E_NS1_11comp_targetILNS1_3genE9ELNS1_11target_archE1100ELNS1_3gpuE3ELNS1_3repE0EEENS1_30default_config_static_selectorELNS0_4arch9wavefront6targetE1EEEvT1_
		.amdhsa_group_segment_fixed_size 0
		.amdhsa_private_segment_fixed_size 0
		.amdhsa_kernarg_size 120
		.amdhsa_user_sgpr_count 2
		.amdhsa_user_sgpr_dispatch_ptr 0
		.amdhsa_user_sgpr_queue_ptr 0
		.amdhsa_user_sgpr_kernarg_segment_ptr 1
		.amdhsa_user_sgpr_dispatch_id 0
		.amdhsa_user_sgpr_kernarg_preload_length 0
		.amdhsa_user_sgpr_kernarg_preload_offset 0
		.amdhsa_user_sgpr_private_segment_size 0
		.amdhsa_uses_dynamic_stack 0
		.amdhsa_enable_private_segment 0
		.amdhsa_system_sgpr_workgroup_id_x 1
		.amdhsa_system_sgpr_workgroup_id_y 0
		.amdhsa_system_sgpr_workgroup_id_z 0
		.amdhsa_system_sgpr_workgroup_info 0
		.amdhsa_system_vgpr_workitem_id 0
		.amdhsa_next_free_vgpr 1
		.amdhsa_next_free_sgpr 0
		.amdhsa_accum_offset 4
		.amdhsa_reserve_vcc 0
		.amdhsa_float_round_mode_32 0
		.amdhsa_float_round_mode_16_64 0
		.amdhsa_float_denorm_mode_32 3
		.amdhsa_float_denorm_mode_16_64 3
		.amdhsa_dx10_clamp 1
		.amdhsa_ieee_mode 1
		.amdhsa_fp16_overflow 0
		.amdhsa_tg_split 0
		.amdhsa_exception_fp_ieee_invalid_op 0
		.amdhsa_exception_fp_denorm_src 0
		.amdhsa_exception_fp_ieee_div_zero 0
		.amdhsa_exception_fp_ieee_overflow 0
		.amdhsa_exception_fp_ieee_underflow 0
		.amdhsa_exception_fp_ieee_inexact 0
		.amdhsa_exception_int_div_zero 0
	.end_amdhsa_kernel
	.section	.text._ZN7rocprim17ROCPRIM_400000_NS6detail17trampoline_kernelINS0_14default_configENS1_25partition_config_selectorILNS1_17partition_subalgoE8ElNS0_10empty_typeEbEEZZNS1_14partition_implILS5_8ELb0ES3_jPlPS6_PKS6_NS0_5tupleIJS9_S6_EEENSD_IJSA_SA_EEENS0_18inequality_wrapperIZN2at6native12_GLOBAL__N_124unique_dim_cuda_templateImEESt5tupleIJNSH_6TensorESM_SM_EERKSM_lbbbEUlllE0_EEPmJS6_EEE10hipError_tPvRmT3_T4_T5_T6_T7_T9_mT8_P12ihipStream_tbDpT10_ENKUlT_T0_E_clISt17integral_constantIbLb1EES1B_IbLb0EEEEDaS17_S18_EUlS17_E_NS1_11comp_targetILNS1_3genE9ELNS1_11target_archE1100ELNS1_3gpuE3ELNS1_3repE0EEENS1_30default_config_static_selectorELNS0_4arch9wavefront6targetE1EEEvT1_,"axG",@progbits,_ZN7rocprim17ROCPRIM_400000_NS6detail17trampoline_kernelINS0_14default_configENS1_25partition_config_selectorILNS1_17partition_subalgoE8ElNS0_10empty_typeEbEEZZNS1_14partition_implILS5_8ELb0ES3_jPlPS6_PKS6_NS0_5tupleIJS9_S6_EEENSD_IJSA_SA_EEENS0_18inequality_wrapperIZN2at6native12_GLOBAL__N_124unique_dim_cuda_templateImEESt5tupleIJNSH_6TensorESM_SM_EERKSM_lbbbEUlllE0_EEPmJS6_EEE10hipError_tPvRmT3_T4_T5_T6_T7_T9_mT8_P12ihipStream_tbDpT10_ENKUlT_T0_E_clISt17integral_constantIbLb1EES1B_IbLb0EEEEDaS17_S18_EUlS17_E_NS1_11comp_targetILNS1_3genE9ELNS1_11target_archE1100ELNS1_3gpuE3ELNS1_3repE0EEENS1_30default_config_static_selectorELNS0_4arch9wavefront6targetE1EEEvT1_,comdat
.Lfunc_end1696:
	.size	_ZN7rocprim17ROCPRIM_400000_NS6detail17trampoline_kernelINS0_14default_configENS1_25partition_config_selectorILNS1_17partition_subalgoE8ElNS0_10empty_typeEbEEZZNS1_14partition_implILS5_8ELb0ES3_jPlPS6_PKS6_NS0_5tupleIJS9_S6_EEENSD_IJSA_SA_EEENS0_18inequality_wrapperIZN2at6native12_GLOBAL__N_124unique_dim_cuda_templateImEESt5tupleIJNSH_6TensorESM_SM_EERKSM_lbbbEUlllE0_EEPmJS6_EEE10hipError_tPvRmT3_T4_T5_T6_T7_T9_mT8_P12ihipStream_tbDpT10_ENKUlT_T0_E_clISt17integral_constantIbLb1EES1B_IbLb0EEEEDaS17_S18_EUlS17_E_NS1_11comp_targetILNS1_3genE9ELNS1_11target_archE1100ELNS1_3gpuE3ELNS1_3repE0EEENS1_30default_config_static_selectorELNS0_4arch9wavefront6targetE1EEEvT1_, .Lfunc_end1696-_ZN7rocprim17ROCPRIM_400000_NS6detail17trampoline_kernelINS0_14default_configENS1_25partition_config_selectorILNS1_17partition_subalgoE8ElNS0_10empty_typeEbEEZZNS1_14partition_implILS5_8ELb0ES3_jPlPS6_PKS6_NS0_5tupleIJS9_S6_EEENSD_IJSA_SA_EEENS0_18inequality_wrapperIZN2at6native12_GLOBAL__N_124unique_dim_cuda_templateImEESt5tupleIJNSH_6TensorESM_SM_EERKSM_lbbbEUlllE0_EEPmJS6_EEE10hipError_tPvRmT3_T4_T5_T6_T7_T9_mT8_P12ihipStream_tbDpT10_ENKUlT_T0_E_clISt17integral_constantIbLb1EES1B_IbLb0EEEEDaS17_S18_EUlS17_E_NS1_11comp_targetILNS1_3genE9ELNS1_11target_archE1100ELNS1_3gpuE3ELNS1_3repE0EEENS1_30default_config_static_selectorELNS0_4arch9wavefront6targetE1EEEvT1_
                                        ; -- End function
	.section	.AMDGPU.csdata,"",@progbits
; Kernel info:
; codeLenInByte = 0
; NumSgprs: 6
; NumVgprs: 0
; NumAgprs: 0
; TotalNumVgprs: 0
; ScratchSize: 0
; MemoryBound: 0
; FloatMode: 240
; IeeeMode: 1
; LDSByteSize: 0 bytes/workgroup (compile time only)
; SGPRBlocks: 0
; VGPRBlocks: 0
; NumSGPRsForWavesPerEU: 6
; NumVGPRsForWavesPerEU: 1
; AccumOffset: 4
; Occupancy: 8
; WaveLimiterHint : 0
; COMPUTE_PGM_RSRC2:SCRATCH_EN: 0
; COMPUTE_PGM_RSRC2:USER_SGPR: 2
; COMPUTE_PGM_RSRC2:TRAP_HANDLER: 0
; COMPUTE_PGM_RSRC2:TGID_X_EN: 1
; COMPUTE_PGM_RSRC2:TGID_Y_EN: 0
; COMPUTE_PGM_RSRC2:TGID_Z_EN: 0
; COMPUTE_PGM_RSRC2:TIDIG_COMP_CNT: 0
; COMPUTE_PGM_RSRC3_GFX90A:ACCUM_OFFSET: 0
; COMPUTE_PGM_RSRC3_GFX90A:TG_SPLIT: 0
	.section	.text._ZN7rocprim17ROCPRIM_400000_NS6detail17trampoline_kernelINS0_14default_configENS1_25partition_config_selectorILNS1_17partition_subalgoE8ElNS0_10empty_typeEbEEZZNS1_14partition_implILS5_8ELb0ES3_jPlPS6_PKS6_NS0_5tupleIJS9_S6_EEENSD_IJSA_SA_EEENS0_18inequality_wrapperIZN2at6native12_GLOBAL__N_124unique_dim_cuda_templateImEESt5tupleIJNSH_6TensorESM_SM_EERKSM_lbbbEUlllE0_EEPmJS6_EEE10hipError_tPvRmT3_T4_T5_T6_T7_T9_mT8_P12ihipStream_tbDpT10_ENKUlT_T0_E_clISt17integral_constantIbLb1EES1B_IbLb0EEEEDaS17_S18_EUlS17_E_NS1_11comp_targetILNS1_3genE8ELNS1_11target_archE1030ELNS1_3gpuE2ELNS1_3repE0EEENS1_30default_config_static_selectorELNS0_4arch9wavefront6targetE1EEEvT1_,"axG",@progbits,_ZN7rocprim17ROCPRIM_400000_NS6detail17trampoline_kernelINS0_14default_configENS1_25partition_config_selectorILNS1_17partition_subalgoE8ElNS0_10empty_typeEbEEZZNS1_14partition_implILS5_8ELb0ES3_jPlPS6_PKS6_NS0_5tupleIJS9_S6_EEENSD_IJSA_SA_EEENS0_18inequality_wrapperIZN2at6native12_GLOBAL__N_124unique_dim_cuda_templateImEESt5tupleIJNSH_6TensorESM_SM_EERKSM_lbbbEUlllE0_EEPmJS6_EEE10hipError_tPvRmT3_T4_T5_T6_T7_T9_mT8_P12ihipStream_tbDpT10_ENKUlT_T0_E_clISt17integral_constantIbLb1EES1B_IbLb0EEEEDaS17_S18_EUlS17_E_NS1_11comp_targetILNS1_3genE8ELNS1_11target_archE1030ELNS1_3gpuE2ELNS1_3repE0EEENS1_30default_config_static_selectorELNS0_4arch9wavefront6targetE1EEEvT1_,comdat
	.globl	_ZN7rocprim17ROCPRIM_400000_NS6detail17trampoline_kernelINS0_14default_configENS1_25partition_config_selectorILNS1_17partition_subalgoE8ElNS0_10empty_typeEbEEZZNS1_14partition_implILS5_8ELb0ES3_jPlPS6_PKS6_NS0_5tupleIJS9_S6_EEENSD_IJSA_SA_EEENS0_18inequality_wrapperIZN2at6native12_GLOBAL__N_124unique_dim_cuda_templateImEESt5tupleIJNSH_6TensorESM_SM_EERKSM_lbbbEUlllE0_EEPmJS6_EEE10hipError_tPvRmT3_T4_T5_T6_T7_T9_mT8_P12ihipStream_tbDpT10_ENKUlT_T0_E_clISt17integral_constantIbLb1EES1B_IbLb0EEEEDaS17_S18_EUlS17_E_NS1_11comp_targetILNS1_3genE8ELNS1_11target_archE1030ELNS1_3gpuE2ELNS1_3repE0EEENS1_30default_config_static_selectorELNS0_4arch9wavefront6targetE1EEEvT1_ ; -- Begin function _ZN7rocprim17ROCPRIM_400000_NS6detail17trampoline_kernelINS0_14default_configENS1_25partition_config_selectorILNS1_17partition_subalgoE8ElNS0_10empty_typeEbEEZZNS1_14partition_implILS5_8ELb0ES3_jPlPS6_PKS6_NS0_5tupleIJS9_S6_EEENSD_IJSA_SA_EEENS0_18inequality_wrapperIZN2at6native12_GLOBAL__N_124unique_dim_cuda_templateImEESt5tupleIJNSH_6TensorESM_SM_EERKSM_lbbbEUlllE0_EEPmJS6_EEE10hipError_tPvRmT3_T4_T5_T6_T7_T9_mT8_P12ihipStream_tbDpT10_ENKUlT_T0_E_clISt17integral_constantIbLb1EES1B_IbLb0EEEEDaS17_S18_EUlS17_E_NS1_11comp_targetILNS1_3genE8ELNS1_11target_archE1030ELNS1_3gpuE2ELNS1_3repE0EEENS1_30default_config_static_selectorELNS0_4arch9wavefront6targetE1EEEvT1_
	.p2align	8
	.type	_ZN7rocprim17ROCPRIM_400000_NS6detail17trampoline_kernelINS0_14default_configENS1_25partition_config_selectorILNS1_17partition_subalgoE8ElNS0_10empty_typeEbEEZZNS1_14partition_implILS5_8ELb0ES3_jPlPS6_PKS6_NS0_5tupleIJS9_S6_EEENSD_IJSA_SA_EEENS0_18inequality_wrapperIZN2at6native12_GLOBAL__N_124unique_dim_cuda_templateImEESt5tupleIJNSH_6TensorESM_SM_EERKSM_lbbbEUlllE0_EEPmJS6_EEE10hipError_tPvRmT3_T4_T5_T6_T7_T9_mT8_P12ihipStream_tbDpT10_ENKUlT_T0_E_clISt17integral_constantIbLb1EES1B_IbLb0EEEEDaS17_S18_EUlS17_E_NS1_11comp_targetILNS1_3genE8ELNS1_11target_archE1030ELNS1_3gpuE2ELNS1_3repE0EEENS1_30default_config_static_selectorELNS0_4arch9wavefront6targetE1EEEvT1_,@function
_ZN7rocprim17ROCPRIM_400000_NS6detail17trampoline_kernelINS0_14default_configENS1_25partition_config_selectorILNS1_17partition_subalgoE8ElNS0_10empty_typeEbEEZZNS1_14partition_implILS5_8ELb0ES3_jPlPS6_PKS6_NS0_5tupleIJS9_S6_EEENSD_IJSA_SA_EEENS0_18inequality_wrapperIZN2at6native12_GLOBAL__N_124unique_dim_cuda_templateImEESt5tupleIJNSH_6TensorESM_SM_EERKSM_lbbbEUlllE0_EEPmJS6_EEE10hipError_tPvRmT3_T4_T5_T6_T7_T9_mT8_P12ihipStream_tbDpT10_ENKUlT_T0_E_clISt17integral_constantIbLb1EES1B_IbLb0EEEEDaS17_S18_EUlS17_E_NS1_11comp_targetILNS1_3genE8ELNS1_11target_archE1030ELNS1_3gpuE2ELNS1_3repE0EEENS1_30default_config_static_selectorELNS0_4arch9wavefront6targetE1EEEvT1_: ; @_ZN7rocprim17ROCPRIM_400000_NS6detail17trampoline_kernelINS0_14default_configENS1_25partition_config_selectorILNS1_17partition_subalgoE8ElNS0_10empty_typeEbEEZZNS1_14partition_implILS5_8ELb0ES3_jPlPS6_PKS6_NS0_5tupleIJS9_S6_EEENSD_IJSA_SA_EEENS0_18inequality_wrapperIZN2at6native12_GLOBAL__N_124unique_dim_cuda_templateImEESt5tupleIJNSH_6TensorESM_SM_EERKSM_lbbbEUlllE0_EEPmJS6_EEE10hipError_tPvRmT3_T4_T5_T6_T7_T9_mT8_P12ihipStream_tbDpT10_ENKUlT_T0_E_clISt17integral_constantIbLb1EES1B_IbLb0EEEEDaS17_S18_EUlS17_E_NS1_11comp_targetILNS1_3genE8ELNS1_11target_archE1030ELNS1_3gpuE2ELNS1_3repE0EEENS1_30default_config_static_selectorELNS0_4arch9wavefront6targetE1EEEvT1_
; %bb.0:
	.section	.rodata,"a",@progbits
	.p2align	6, 0x0
	.amdhsa_kernel _ZN7rocprim17ROCPRIM_400000_NS6detail17trampoline_kernelINS0_14default_configENS1_25partition_config_selectorILNS1_17partition_subalgoE8ElNS0_10empty_typeEbEEZZNS1_14partition_implILS5_8ELb0ES3_jPlPS6_PKS6_NS0_5tupleIJS9_S6_EEENSD_IJSA_SA_EEENS0_18inequality_wrapperIZN2at6native12_GLOBAL__N_124unique_dim_cuda_templateImEESt5tupleIJNSH_6TensorESM_SM_EERKSM_lbbbEUlllE0_EEPmJS6_EEE10hipError_tPvRmT3_T4_T5_T6_T7_T9_mT8_P12ihipStream_tbDpT10_ENKUlT_T0_E_clISt17integral_constantIbLb1EES1B_IbLb0EEEEDaS17_S18_EUlS17_E_NS1_11comp_targetILNS1_3genE8ELNS1_11target_archE1030ELNS1_3gpuE2ELNS1_3repE0EEENS1_30default_config_static_selectorELNS0_4arch9wavefront6targetE1EEEvT1_
		.amdhsa_group_segment_fixed_size 0
		.amdhsa_private_segment_fixed_size 0
		.amdhsa_kernarg_size 120
		.amdhsa_user_sgpr_count 2
		.amdhsa_user_sgpr_dispatch_ptr 0
		.amdhsa_user_sgpr_queue_ptr 0
		.amdhsa_user_sgpr_kernarg_segment_ptr 1
		.amdhsa_user_sgpr_dispatch_id 0
		.amdhsa_user_sgpr_kernarg_preload_length 0
		.amdhsa_user_sgpr_kernarg_preload_offset 0
		.amdhsa_user_sgpr_private_segment_size 0
		.amdhsa_uses_dynamic_stack 0
		.amdhsa_enable_private_segment 0
		.amdhsa_system_sgpr_workgroup_id_x 1
		.amdhsa_system_sgpr_workgroup_id_y 0
		.amdhsa_system_sgpr_workgroup_id_z 0
		.amdhsa_system_sgpr_workgroup_info 0
		.amdhsa_system_vgpr_workitem_id 0
		.amdhsa_next_free_vgpr 1
		.amdhsa_next_free_sgpr 0
		.amdhsa_accum_offset 4
		.amdhsa_reserve_vcc 0
		.amdhsa_float_round_mode_32 0
		.amdhsa_float_round_mode_16_64 0
		.amdhsa_float_denorm_mode_32 3
		.amdhsa_float_denorm_mode_16_64 3
		.amdhsa_dx10_clamp 1
		.amdhsa_ieee_mode 1
		.amdhsa_fp16_overflow 0
		.amdhsa_tg_split 0
		.amdhsa_exception_fp_ieee_invalid_op 0
		.amdhsa_exception_fp_denorm_src 0
		.amdhsa_exception_fp_ieee_div_zero 0
		.amdhsa_exception_fp_ieee_overflow 0
		.amdhsa_exception_fp_ieee_underflow 0
		.amdhsa_exception_fp_ieee_inexact 0
		.amdhsa_exception_int_div_zero 0
	.end_amdhsa_kernel
	.section	.text._ZN7rocprim17ROCPRIM_400000_NS6detail17trampoline_kernelINS0_14default_configENS1_25partition_config_selectorILNS1_17partition_subalgoE8ElNS0_10empty_typeEbEEZZNS1_14partition_implILS5_8ELb0ES3_jPlPS6_PKS6_NS0_5tupleIJS9_S6_EEENSD_IJSA_SA_EEENS0_18inequality_wrapperIZN2at6native12_GLOBAL__N_124unique_dim_cuda_templateImEESt5tupleIJNSH_6TensorESM_SM_EERKSM_lbbbEUlllE0_EEPmJS6_EEE10hipError_tPvRmT3_T4_T5_T6_T7_T9_mT8_P12ihipStream_tbDpT10_ENKUlT_T0_E_clISt17integral_constantIbLb1EES1B_IbLb0EEEEDaS17_S18_EUlS17_E_NS1_11comp_targetILNS1_3genE8ELNS1_11target_archE1030ELNS1_3gpuE2ELNS1_3repE0EEENS1_30default_config_static_selectorELNS0_4arch9wavefront6targetE1EEEvT1_,"axG",@progbits,_ZN7rocprim17ROCPRIM_400000_NS6detail17trampoline_kernelINS0_14default_configENS1_25partition_config_selectorILNS1_17partition_subalgoE8ElNS0_10empty_typeEbEEZZNS1_14partition_implILS5_8ELb0ES3_jPlPS6_PKS6_NS0_5tupleIJS9_S6_EEENSD_IJSA_SA_EEENS0_18inequality_wrapperIZN2at6native12_GLOBAL__N_124unique_dim_cuda_templateImEESt5tupleIJNSH_6TensorESM_SM_EERKSM_lbbbEUlllE0_EEPmJS6_EEE10hipError_tPvRmT3_T4_T5_T6_T7_T9_mT8_P12ihipStream_tbDpT10_ENKUlT_T0_E_clISt17integral_constantIbLb1EES1B_IbLb0EEEEDaS17_S18_EUlS17_E_NS1_11comp_targetILNS1_3genE8ELNS1_11target_archE1030ELNS1_3gpuE2ELNS1_3repE0EEENS1_30default_config_static_selectorELNS0_4arch9wavefront6targetE1EEEvT1_,comdat
.Lfunc_end1697:
	.size	_ZN7rocprim17ROCPRIM_400000_NS6detail17trampoline_kernelINS0_14default_configENS1_25partition_config_selectorILNS1_17partition_subalgoE8ElNS0_10empty_typeEbEEZZNS1_14partition_implILS5_8ELb0ES3_jPlPS6_PKS6_NS0_5tupleIJS9_S6_EEENSD_IJSA_SA_EEENS0_18inequality_wrapperIZN2at6native12_GLOBAL__N_124unique_dim_cuda_templateImEESt5tupleIJNSH_6TensorESM_SM_EERKSM_lbbbEUlllE0_EEPmJS6_EEE10hipError_tPvRmT3_T4_T5_T6_T7_T9_mT8_P12ihipStream_tbDpT10_ENKUlT_T0_E_clISt17integral_constantIbLb1EES1B_IbLb0EEEEDaS17_S18_EUlS17_E_NS1_11comp_targetILNS1_3genE8ELNS1_11target_archE1030ELNS1_3gpuE2ELNS1_3repE0EEENS1_30default_config_static_selectorELNS0_4arch9wavefront6targetE1EEEvT1_, .Lfunc_end1697-_ZN7rocprim17ROCPRIM_400000_NS6detail17trampoline_kernelINS0_14default_configENS1_25partition_config_selectorILNS1_17partition_subalgoE8ElNS0_10empty_typeEbEEZZNS1_14partition_implILS5_8ELb0ES3_jPlPS6_PKS6_NS0_5tupleIJS9_S6_EEENSD_IJSA_SA_EEENS0_18inequality_wrapperIZN2at6native12_GLOBAL__N_124unique_dim_cuda_templateImEESt5tupleIJNSH_6TensorESM_SM_EERKSM_lbbbEUlllE0_EEPmJS6_EEE10hipError_tPvRmT3_T4_T5_T6_T7_T9_mT8_P12ihipStream_tbDpT10_ENKUlT_T0_E_clISt17integral_constantIbLb1EES1B_IbLb0EEEEDaS17_S18_EUlS17_E_NS1_11comp_targetILNS1_3genE8ELNS1_11target_archE1030ELNS1_3gpuE2ELNS1_3repE0EEENS1_30default_config_static_selectorELNS0_4arch9wavefront6targetE1EEEvT1_
                                        ; -- End function
	.section	.AMDGPU.csdata,"",@progbits
; Kernel info:
; codeLenInByte = 0
; NumSgprs: 6
; NumVgprs: 0
; NumAgprs: 0
; TotalNumVgprs: 0
; ScratchSize: 0
; MemoryBound: 0
; FloatMode: 240
; IeeeMode: 1
; LDSByteSize: 0 bytes/workgroup (compile time only)
; SGPRBlocks: 0
; VGPRBlocks: 0
; NumSGPRsForWavesPerEU: 6
; NumVGPRsForWavesPerEU: 1
; AccumOffset: 4
; Occupancy: 8
; WaveLimiterHint : 0
; COMPUTE_PGM_RSRC2:SCRATCH_EN: 0
; COMPUTE_PGM_RSRC2:USER_SGPR: 2
; COMPUTE_PGM_RSRC2:TRAP_HANDLER: 0
; COMPUTE_PGM_RSRC2:TGID_X_EN: 1
; COMPUTE_PGM_RSRC2:TGID_Y_EN: 0
; COMPUTE_PGM_RSRC2:TGID_Z_EN: 0
; COMPUTE_PGM_RSRC2:TIDIG_COMP_CNT: 0
; COMPUTE_PGM_RSRC3_GFX90A:ACCUM_OFFSET: 0
; COMPUTE_PGM_RSRC3_GFX90A:TG_SPLIT: 0
	.section	.text._ZN7rocprim17ROCPRIM_400000_NS6detail17trampoline_kernelINS0_14default_configENS1_25partition_config_selectorILNS1_17partition_subalgoE8ElNS0_10empty_typeEbEEZZNS1_14partition_implILS5_8ELb0ES3_jPlPS6_PKS6_NS0_5tupleIJS9_S6_EEENSD_IJSA_SA_EEENS0_18inequality_wrapperIZN2at6native12_GLOBAL__N_124unique_dim_cuda_templateImEESt5tupleIJNSH_6TensorESM_SM_EERKSM_lbbbEUlllE0_EEPmJS6_EEE10hipError_tPvRmT3_T4_T5_T6_T7_T9_mT8_P12ihipStream_tbDpT10_ENKUlT_T0_E_clISt17integral_constantIbLb0EES1B_IbLb1EEEEDaS17_S18_EUlS17_E_NS1_11comp_targetILNS1_3genE0ELNS1_11target_archE4294967295ELNS1_3gpuE0ELNS1_3repE0EEENS1_30default_config_static_selectorELNS0_4arch9wavefront6targetE1EEEvT1_,"axG",@progbits,_ZN7rocprim17ROCPRIM_400000_NS6detail17trampoline_kernelINS0_14default_configENS1_25partition_config_selectorILNS1_17partition_subalgoE8ElNS0_10empty_typeEbEEZZNS1_14partition_implILS5_8ELb0ES3_jPlPS6_PKS6_NS0_5tupleIJS9_S6_EEENSD_IJSA_SA_EEENS0_18inequality_wrapperIZN2at6native12_GLOBAL__N_124unique_dim_cuda_templateImEESt5tupleIJNSH_6TensorESM_SM_EERKSM_lbbbEUlllE0_EEPmJS6_EEE10hipError_tPvRmT3_T4_T5_T6_T7_T9_mT8_P12ihipStream_tbDpT10_ENKUlT_T0_E_clISt17integral_constantIbLb0EES1B_IbLb1EEEEDaS17_S18_EUlS17_E_NS1_11comp_targetILNS1_3genE0ELNS1_11target_archE4294967295ELNS1_3gpuE0ELNS1_3repE0EEENS1_30default_config_static_selectorELNS0_4arch9wavefront6targetE1EEEvT1_,comdat
	.globl	_ZN7rocprim17ROCPRIM_400000_NS6detail17trampoline_kernelINS0_14default_configENS1_25partition_config_selectorILNS1_17partition_subalgoE8ElNS0_10empty_typeEbEEZZNS1_14partition_implILS5_8ELb0ES3_jPlPS6_PKS6_NS0_5tupleIJS9_S6_EEENSD_IJSA_SA_EEENS0_18inequality_wrapperIZN2at6native12_GLOBAL__N_124unique_dim_cuda_templateImEESt5tupleIJNSH_6TensorESM_SM_EERKSM_lbbbEUlllE0_EEPmJS6_EEE10hipError_tPvRmT3_T4_T5_T6_T7_T9_mT8_P12ihipStream_tbDpT10_ENKUlT_T0_E_clISt17integral_constantIbLb0EES1B_IbLb1EEEEDaS17_S18_EUlS17_E_NS1_11comp_targetILNS1_3genE0ELNS1_11target_archE4294967295ELNS1_3gpuE0ELNS1_3repE0EEENS1_30default_config_static_selectorELNS0_4arch9wavefront6targetE1EEEvT1_ ; -- Begin function _ZN7rocprim17ROCPRIM_400000_NS6detail17trampoline_kernelINS0_14default_configENS1_25partition_config_selectorILNS1_17partition_subalgoE8ElNS0_10empty_typeEbEEZZNS1_14partition_implILS5_8ELb0ES3_jPlPS6_PKS6_NS0_5tupleIJS9_S6_EEENSD_IJSA_SA_EEENS0_18inequality_wrapperIZN2at6native12_GLOBAL__N_124unique_dim_cuda_templateImEESt5tupleIJNSH_6TensorESM_SM_EERKSM_lbbbEUlllE0_EEPmJS6_EEE10hipError_tPvRmT3_T4_T5_T6_T7_T9_mT8_P12ihipStream_tbDpT10_ENKUlT_T0_E_clISt17integral_constantIbLb0EES1B_IbLb1EEEEDaS17_S18_EUlS17_E_NS1_11comp_targetILNS1_3genE0ELNS1_11target_archE4294967295ELNS1_3gpuE0ELNS1_3repE0EEENS1_30default_config_static_selectorELNS0_4arch9wavefront6targetE1EEEvT1_
	.p2align	8
	.type	_ZN7rocprim17ROCPRIM_400000_NS6detail17trampoline_kernelINS0_14default_configENS1_25partition_config_selectorILNS1_17partition_subalgoE8ElNS0_10empty_typeEbEEZZNS1_14partition_implILS5_8ELb0ES3_jPlPS6_PKS6_NS0_5tupleIJS9_S6_EEENSD_IJSA_SA_EEENS0_18inequality_wrapperIZN2at6native12_GLOBAL__N_124unique_dim_cuda_templateImEESt5tupleIJNSH_6TensorESM_SM_EERKSM_lbbbEUlllE0_EEPmJS6_EEE10hipError_tPvRmT3_T4_T5_T6_T7_T9_mT8_P12ihipStream_tbDpT10_ENKUlT_T0_E_clISt17integral_constantIbLb0EES1B_IbLb1EEEEDaS17_S18_EUlS17_E_NS1_11comp_targetILNS1_3genE0ELNS1_11target_archE4294967295ELNS1_3gpuE0ELNS1_3repE0EEENS1_30default_config_static_selectorELNS0_4arch9wavefront6targetE1EEEvT1_,@function
_ZN7rocprim17ROCPRIM_400000_NS6detail17trampoline_kernelINS0_14default_configENS1_25partition_config_selectorILNS1_17partition_subalgoE8ElNS0_10empty_typeEbEEZZNS1_14partition_implILS5_8ELb0ES3_jPlPS6_PKS6_NS0_5tupleIJS9_S6_EEENSD_IJSA_SA_EEENS0_18inequality_wrapperIZN2at6native12_GLOBAL__N_124unique_dim_cuda_templateImEESt5tupleIJNSH_6TensorESM_SM_EERKSM_lbbbEUlllE0_EEPmJS6_EEE10hipError_tPvRmT3_T4_T5_T6_T7_T9_mT8_P12ihipStream_tbDpT10_ENKUlT_T0_E_clISt17integral_constantIbLb0EES1B_IbLb1EEEEDaS17_S18_EUlS17_E_NS1_11comp_targetILNS1_3genE0ELNS1_11target_archE4294967295ELNS1_3gpuE0ELNS1_3repE0EEENS1_30default_config_static_selectorELNS0_4arch9wavefront6targetE1EEEvT1_: ; @_ZN7rocprim17ROCPRIM_400000_NS6detail17trampoline_kernelINS0_14default_configENS1_25partition_config_selectorILNS1_17partition_subalgoE8ElNS0_10empty_typeEbEEZZNS1_14partition_implILS5_8ELb0ES3_jPlPS6_PKS6_NS0_5tupleIJS9_S6_EEENSD_IJSA_SA_EEENS0_18inequality_wrapperIZN2at6native12_GLOBAL__N_124unique_dim_cuda_templateImEESt5tupleIJNSH_6TensorESM_SM_EERKSM_lbbbEUlllE0_EEPmJS6_EEE10hipError_tPvRmT3_T4_T5_T6_T7_T9_mT8_P12ihipStream_tbDpT10_ENKUlT_T0_E_clISt17integral_constantIbLb0EES1B_IbLb1EEEEDaS17_S18_EUlS17_E_NS1_11comp_targetILNS1_3genE0ELNS1_11target_archE4294967295ELNS1_3gpuE0ELNS1_3repE0EEENS1_30default_config_static_selectorELNS0_4arch9wavefront6targetE1EEEvT1_
; %bb.0:
	.section	.rodata,"a",@progbits
	.p2align	6, 0x0
	.amdhsa_kernel _ZN7rocprim17ROCPRIM_400000_NS6detail17trampoline_kernelINS0_14default_configENS1_25partition_config_selectorILNS1_17partition_subalgoE8ElNS0_10empty_typeEbEEZZNS1_14partition_implILS5_8ELb0ES3_jPlPS6_PKS6_NS0_5tupleIJS9_S6_EEENSD_IJSA_SA_EEENS0_18inequality_wrapperIZN2at6native12_GLOBAL__N_124unique_dim_cuda_templateImEESt5tupleIJNSH_6TensorESM_SM_EERKSM_lbbbEUlllE0_EEPmJS6_EEE10hipError_tPvRmT3_T4_T5_T6_T7_T9_mT8_P12ihipStream_tbDpT10_ENKUlT_T0_E_clISt17integral_constantIbLb0EES1B_IbLb1EEEEDaS17_S18_EUlS17_E_NS1_11comp_targetILNS1_3genE0ELNS1_11target_archE4294967295ELNS1_3gpuE0ELNS1_3repE0EEENS1_30default_config_static_selectorELNS0_4arch9wavefront6targetE1EEEvT1_
		.amdhsa_group_segment_fixed_size 0
		.amdhsa_private_segment_fixed_size 0
		.amdhsa_kernarg_size 136
		.amdhsa_user_sgpr_count 2
		.amdhsa_user_sgpr_dispatch_ptr 0
		.amdhsa_user_sgpr_queue_ptr 0
		.amdhsa_user_sgpr_kernarg_segment_ptr 1
		.amdhsa_user_sgpr_dispatch_id 0
		.amdhsa_user_sgpr_kernarg_preload_length 0
		.amdhsa_user_sgpr_kernarg_preload_offset 0
		.amdhsa_user_sgpr_private_segment_size 0
		.amdhsa_uses_dynamic_stack 0
		.amdhsa_enable_private_segment 0
		.amdhsa_system_sgpr_workgroup_id_x 1
		.amdhsa_system_sgpr_workgroup_id_y 0
		.amdhsa_system_sgpr_workgroup_id_z 0
		.amdhsa_system_sgpr_workgroup_info 0
		.amdhsa_system_vgpr_workitem_id 0
		.amdhsa_next_free_vgpr 1
		.amdhsa_next_free_sgpr 0
		.amdhsa_accum_offset 4
		.amdhsa_reserve_vcc 0
		.amdhsa_float_round_mode_32 0
		.amdhsa_float_round_mode_16_64 0
		.amdhsa_float_denorm_mode_32 3
		.amdhsa_float_denorm_mode_16_64 3
		.amdhsa_dx10_clamp 1
		.amdhsa_ieee_mode 1
		.amdhsa_fp16_overflow 0
		.amdhsa_tg_split 0
		.amdhsa_exception_fp_ieee_invalid_op 0
		.amdhsa_exception_fp_denorm_src 0
		.amdhsa_exception_fp_ieee_div_zero 0
		.amdhsa_exception_fp_ieee_overflow 0
		.amdhsa_exception_fp_ieee_underflow 0
		.amdhsa_exception_fp_ieee_inexact 0
		.amdhsa_exception_int_div_zero 0
	.end_amdhsa_kernel
	.section	.text._ZN7rocprim17ROCPRIM_400000_NS6detail17trampoline_kernelINS0_14default_configENS1_25partition_config_selectorILNS1_17partition_subalgoE8ElNS0_10empty_typeEbEEZZNS1_14partition_implILS5_8ELb0ES3_jPlPS6_PKS6_NS0_5tupleIJS9_S6_EEENSD_IJSA_SA_EEENS0_18inequality_wrapperIZN2at6native12_GLOBAL__N_124unique_dim_cuda_templateImEESt5tupleIJNSH_6TensorESM_SM_EERKSM_lbbbEUlllE0_EEPmJS6_EEE10hipError_tPvRmT3_T4_T5_T6_T7_T9_mT8_P12ihipStream_tbDpT10_ENKUlT_T0_E_clISt17integral_constantIbLb0EES1B_IbLb1EEEEDaS17_S18_EUlS17_E_NS1_11comp_targetILNS1_3genE0ELNS1_11target_archE4294967295ELNS1_3gpuE0ELNS1_3repE0EEENS1_30default_config_static_selectorELNS0_4arch9wavefront6targetE1EEEvT1_,"axG",@progbits,_ZN7rocprim17ROCPRIM_400000_NS6detail17trampoline_kernelINS0_14default_configENS1_25partition_config_selectorILNS1_17partition_subalgoE8ElNS0_10empty_typeEbEEZZNS1_14partition_implILS5_8ELb0ES3_jPlPS6_PKS6_NS0_5tupleIJS9_S6_EEENSD_IJSA_SA_EEENS0_18inequality_wrapperIZN2at6native12_GLOBAL__N_124unique_dim_cuda_templateImEESt5tupleIJNSH_6TensorESM_SM_EERKSM_lbbbEUlllE0_EEPmJS6_EEE10hipError_tPvRmT3_T4_T5_T6_T7_T9_mT8_P12ihipStream_tbDpT10_ENKUlT_T0_E_clISt17integral_constantIbLb0EES1B_IbLb1EEEEDaS17_S18_EUlS17_E_NS1_11comp_targetILNS1_3genE0ELNS1_11target_archE4294967295ELNS1_3gpuE0ELNS1_3repE0EEENS1_30default_config_static_selectorELNS0_4arch9wavefront6targetE1EEEvT1_,comdat
.Lfunc_end1698:
	.size	_ZN7rocprim17ROCPRIM_400000_NS6detail17trampoline_kernelINS0_14default_configENS1_25partition_config_selectorILNS1_17partition_subalgoE8ElNS0_10empty_typeEbEEZZNS1_14partition_implILS5_8ELb0ES3_jPlPS6_PKS6_NS0_5tupleIJS9_S6_EEENSD_IJSA_SA_EEENS0_18inequality_wrapperIZN2at6native12_GLOBAL__N_124unique_dim_cuda_templateImEESt5tupleIJNSH_6TensorESM_SM_EERKSM_lbbbEUlllE0_EEPmJS6_EEE10hipError_tPvRmT3_T4_T5_T6_T7_T9_mT8_P12ihipStream_tbDpT10_ENKUlT_T0_E_clISt17integral_constantIbLb0EES1B_IbLb1EEEEDaS17_S18_EUlS17_E_NS1_11comp_targetILNS1_3genE0ELNS1_11target_archE4294967295ELNS1_3gpuE0ELNS1_3repE0EEENS1_30default_config_static_selectorELNS0_4arch9wavefront6targetE1EEEvT1_, .Lfunc_end1698-_ZN7rocprim17ROCPRIM_400000_NS6detail17trampoline_kernelINS0_14default_configENS1_25partition_config_selectorILNS1_17partition_subalgoE8ElNS0_10empty_typeEbEEZZNS1_14partition_implILS5_8ELb0ES3_jPlPS6_PKS6_NS0_5tupleIJS9_S6_EEENSD_IJSA_SA_EEENS0_18inequality_wrapperIZN2at6native12_GLOBAL__N_124unique_dim_cuda_templateImEESt5tupleIJNSH_6TensorESM_SM_EERKSM_lbbbEUlllE0_EEPmJS6_EEE10hipError_tPvRmT3_T4_T5_T6_T7_T9_mT8_P12ihipStream_tbDpT10_ENKUlT_T0_E_clISt17integral_constantIbLb0EES1B_IbLb1EEEEDaS17_S18_EUlS17_E_NS1_11comp_targetILNS1_3genE0ELNS1_11target_archE4294967295ELNS1_3gpuE0ELNS1_3repE0EEENS1_30default_config_static_selectorELNS0_4arch9wavefront6targetE1EEEvT1_
                                        ; -- End function
	.section	.AMDGPU.csdata,"",@progbits
; Kernel info:
; codeLenInByte = 0
; NumSgprs: 6
; NumVgprs: 0
; NumAgprs: 0
; TotalNumVgprs: 0
; ScratchSize: 0
; MemoryBound: 0
; FloatMode: 240
; IeeeMode: 1
; LDSByteSize: 0 bytes/workgroup (compile time only)
; SGPRBlocks: 0
; VGPRBlocks: 0
; NumSGPRsForWavesPerEU: 6
; NumVGPRsForWavesPerEU: 1
; AccumOffset: 4
; Occupancy: 8
; WaveLimiterHint : 0
; COMPUTE_PGM_RSRC2:SCRATCH_EN: 0
; COMPUTE_PGM_RSRC2:USER_SGPR: 2
; COMPUTE_PGM_RSRC2:TRAP_HANDLER: 0
; COMPUTE_PGM_RSRC2:TGID_X_EN: 1
; COMPUTE_PGM_RSRC2:TGID_Y_EN: 0
; COMPUTE_PGM_RSRC2:TGID_Z_EN: 0
; COMPUTE_PGM_RSRC2:TIDIG_COMP_CNT: 0
; COMPUTE_PGM_RSRC3_GFX90A:ACCUM_OFFSET: 0
; COMPUTE_PGM_RSRC3_GFX90A:TG_SPLIT: 0
	.section	.text._ZN7rocprim17ROCPRIM_400000_NS6detail17trampoline_kernelINS0_14default_configENS1_25partition_config_selectorILNS1_17partition_subalgoE8ElNS0_10empty_typeEbEEZZNS1_14partition_implILS5_8ELb0ES3_jPlPS6_PKS6_NS0_5tupleIJS9_S6_EEENSD_IJSA_SA_EEENS0_18inequality_wrapperIZN2at6native12_GLOBAL__N_124unique_dim_cuda_templateImEESt5tupleIJNSH_6TensorESM_SM_EERKSM_lbbbEUlllE0_EEPmJS6_EEE10hipError_tPvRmT3_T4_T5_T6_T7_T9_mT8_P12ihipStream_tbDpT10_ENKUlT_T0_E_clISt17integral_constantIbLb0EES1B_IbLb1EEEEDaS17_S18_EUlS17_E_NS1_11comp_targetILNS1_3genE5ELNS1_11target_archE942ELNS1_3gpuE9ELNS1_3repE0EEENS1_30default_config_static_selectorELNS0_4arch9wavefront6targetE1EEEvT1_,"axG",@progbits,_ZN7rocprim17ROCPRIM_400000_NS6detail17trampoline_kernelINS0_14default_configENS1_25partition_config_selectorILNS1_17partition_subalgoE8ElNS0_10empty_typeEbEEZZNS1_14partition_implILS5_8ELb0ES3_jPlPS6_PKS6_NS0_5tupleIJS9_S6_EEENSD_IJSA_SA_EEENS0_18inequality_wrapperIZN2at6native12_GLOBAL__N_124unique_dim_cuda_templateImEESt5tupleIJNSH_6TensorESM_SM_EERKSM_lbbbEUlllE0_EEPmJS6_EEE10hipError_tPvRmT3_T4_T5_T6_T7_T9_mT8_P12ihipStream_tbDpT10_ENKUlT_T0_E_clISt17integral_constantIbLb0EES1B_IbLb1EEEEDaS17_S18_EUlS17_E_NS1_11comp_targetILNS1_3genE5ELNS1_11target_archE942ELNS1_3gpuE9ELNS1_3repE0EEENS1_30default_config_static_selectorELNS0_4arch9wavefront6targetE1EEEvT1_,comdat
	.globl	_ZN7rocprim17ROCPRIM_400000_NS6detail17trampoline_kernelINS0_14default_configENS1_25partition_config_selectorILNS1_17partition_subalgoE8ElNS0_10empty_typeEbEEZZNS1_14partition_implILS5_8ELb0ES3_jPlPS6_PKS6_NS0_5tupleIJS9_S6_EEENSD_IJSA_SA_EEENS0_18inequality_wrapperIZN2at6native12_GLOBAL__N_124unique_dim_cuda_templateImEESt5tupleIJNSH_6TensorESM_SM_EERKSM_lbbbEUlllE0_EEPmJS6_EEE10hipError_tPvRmT3_T4_T5_T6_T7_T9_mT8_P12ihipStream_tbDpT10_ENKUlT_T0_E_clISt17integral_constantIbLb0EES1B_IbLb1EEEEDaS17_S18_EUlS17_E_NS1_11comp_targetILNS1_3genE5ELNS1_11target_archE942ELNS1_3gpuE9ELNS1_3repE0EEENS1_30default_config_static_selectorELNS0_4arch9wavefront6targetE1EEEvT1_ ; -- Begin function _ZN7rocprim17ROCPRIM_400000_NS6detail17trampoline_kernelINS0_14default_configENS1_25partition_config_selectorILNS1_17partition_subalgoE8ElNS0_10empty_typeEbEEZZNS1_14partition_implILS5_8ELb0ES3_jPlPS6_PKS6_NS0_5tupleIJS9_S6_EEENSD_IJSA_SA_EEENS0_18inequality_wrapperIZN2at6native12_GLOBAL__N_124unique_dim_cuda_templateImEESt5tupleIJNSH_6TensorESM_SM_EERKSM_lbbbEUlllE0_EEPmJS6_EEE10hipError_tPvRmT3_T4_T5_T6_T7_T9_mT8_P12ihipStream_tbDpT10_ENKUlT_T0_E_clISt17integral_constantIbLb0EES1B_IbLb1EEEEDaS17_S18_EUlS17_E_NS1_11comp_targetILNS1_3genE5ELNS1_11target_archE942ELNS1_3gpuE9ELNS1_3repE0EEENS1_30default_config_static_selectorELNS0_4arch9wavefront6targetE1EEEvT1_
	.p2align	8
	.type	_ZN7rocprim17ROCPRIM_400000_NS6detail17trampoline_kernelINS0_14default_configENS1_25partition_config_selectorILNS1_17partition_subalgoE8ElNS0_10empty_typeEbEEZZNS1_14partition_implILS5_8ELb0ES3_jPlPS6_PKS6_NS0_5tupleIJS9_S6_EEENSD_IJSA_SA_EEENS0_18inequality_wrapperIZN2at6native12_GLOBAL__N_124unique_dim_cuda_templateImEESt5tupleIJNSH_6TensorESM_SM_EERKSM_lbbbEUlllE0_EEPmJS6_EEE10hipError_tPvRmT3_T4_T5_T6_T7_T9_mT8_P12ihipStream_tbDpT10_ENKUlT_T0_E_clISt17integral_constantIbLb0EES1B_IbLb1EEEEDaS17_S18_EUlS17_E_NS1_11comp_targetILNS1_3genE5ELNS1_11target_archE942ELNS1_3gpuE9ELNS1_3repE0EEENS1_30default_config_static_selectorELNS0_4arch9wavefront6targetE1EEEvT1_,@function
_ZN7rocprim17ROCPRIM_400000_NS6detail17trampoline_kernelINS0_14default_configENS1_25partition_config_selectorILNS1_17partition_subalgoE8ElNS0_10empty_typeEbEEZZNS1_14partition_implILS5_8ELb0ES3_jPlPS6_PKS6_NS0_5tupleIJS9_S6_EEENSD_IJSA_SA_EEENS0_18inequality_wrapperIZN2at6native12_GLOBAL__N_124unique_dim_cuda_templateImEESt5tupleIJNSH_6TensorESM_SM_EERKSM_lbbbEUlllE0_EEPmJS6_EEE10hipError_tPvRmT3_T4_T5_T6_T7_T9_mT8_P12ihipStream_tbDpT10_ENKUlT_T0_E_clISt17integral_constantIbLb0EES1B_IbLb1EEEEDaS17_S18_EUlS17_E_NS1_11comp_targetILNS1_3genE5ELNS1_11target_archE942ELNS1_3gpuE9ELNS1_3repE0EEENS1_30default_config_static_selectorELNS0_4arch9wavefront6targetE1EEEvT1_: ; @_ZN7rocprim17ROCPRIM_400000_NS6detail17trampoline_kernelINS0_14default_configENS1_25partition_config_selectorILNS1_17partition_subalgoE8ElNS0_10empty_typeEbEEZZNS1_14partition_implILS5_8ELb0ES3_jPlPS6_PKS6_NS0_5tupleIJS9_S6_EEENSD_IJSA_SA_EEENS0_18inequality_wrapperIZN2at6native12_GLOBAL__N_124unique_dim_cuda_templateImEESt5tupleIJNSH_6TensorESM_SM_EERKSM_lbbbEUlllE0_EEPmJS6_EEE10hipError_tPvRmT3_T4_T5_T6_T7_T9_mT8_P12ihipStream_tbDpT10_ENKUlT_T0_E_clISt17integral_constantIbLb0EES1B_IbLb1EEEEDaS17_S18_EUlS17_E_NS1_11comp_targetILNS1_3genE5ELNS1_11target_archE942ELNS1_3gpuE9ELNS1_3repE0EEENS1_30default_config_static_selectorELNS0_4arch9wavefront6targetE1EEEvT1_
; %bb.0:
	s_load_dwordx2 s[34:35], s[0:1], 0x28
	s_load_dwordx8 s[20:27], s[0:1], 0x40
	s_load_dwordx4 s[28:31], s[0:1], 0x60
	v_cmp_ne_u32_e64 s[2:3], 0, v0
	v_cmp_eq_u32_e64 s[18:19], 0, v0
	s_and_saveexec_b64 s[4:5], s[18:19]
	s_cbranch_execz .LBB1699_4
; %bb.1:
	s_mov_b64 s[8:9], exec
	v_mbcnt_lo_u32_b32 v1, s8, 0
	v_mbcnt_hi_u32_b32 v1, s9, v1
	v_cmp_eq_u32_e32 vcc, 0, v1
                                        ; implicit-def: $vgpr2
	s_and_saveexec_b64 s[6:7], vcc
	s_cbranch_execz .LBB1699_3
; %bb.2:
	s_load_dwordx2 s[10:11], s[0:1], 0x78
	s_bcnt1_i32_b64 s8, s[8:9]
	v_mov_b32_e32 v2, 0
	v_mov_b32_e32 v3, s8
	s_waitcnt lgkmcnt(0)
	global_atomic_add v2, v2, v3, s[10:11] sc0
.LBB1699_3:
	s_or_b64 exec, exec, s[6:7]
	s_waitcnt vmcnt(0)
	v_readfirstlane_b32 s6, v2
	v_mov_b32_e32 v2, 0
	s_nop 0
	v_add_u32_e32 v1, s6, v1
	ds_write_b32 v2, v1
.LBB1699_4:
	s_or_b64 exec, exec, s[4:5]
	v_mov_b32_e32 v3, 0
	s_load_dwordx4 s[4:7], s[0:1], 0x8
	s_load_dword s10, s[0:1], 0x70
	s_waitcnt lgkmcnt(0)
	s_barrier
	ds_read_b32 v1, v3
	s_waitcnt lgkmcnt(0)
	s_barrier
	global_load_dwordx2 v[4:5], v3, s[22:23]
	s_lshl_b64 s[0:1], s[6:7], 3
	s_mul_i32 s12, s10, 0xe00
	s_add_u32 s0, s4, s0
	s_addc_u32 s1, s5, s1
	s_add_i32 s4, s12, s6
	s_add_i32 s10, s10, -1
	s_sub_i32 s52, s24, s4
	s_add_u32 s4, s6, s12
	s_movk_i32 s11, 0xe00
	s_addc_u32 s5, s7, 0
	v_readfirstlane_b32 s33, v1
	v_mov_b32_e32 v6, s24
	v_mov_b32_e32 v7, s25
	v_mul_lo_u32 v2, v1, s11
	s_cmp_eq_u32 s33, s10
	v_cmp_ge_u64_e32 vcc, s[4:5], v[6:7]
	v_lshlrev_b64 v[6:7], 3, v[2:3]
	s_cselect_b64 s[24:25], -1, 0
	v_lshl_add_u64 v[18:19], s[0:1], 0, v[6:7]
	s_and_b64 s[0:1], vcc, s[24:25]
	s_xor_b64 s[36:37], s[0:1], -1
	s_mov_b64 s[8:9], -1
	s_and_b64 vcc, exec, s[36:37]
	s_waitcnt vmcnt(0)
	v_readfirstlane_b32 s22, v4
	v_readfirstlane_b32 s23, v5
	s_cbranch_vccz .LBB1699_6
; %bb.5:
	v_lshlrev_b32_e32 v2, 3, v0
	v_lshl_add_u64 v[4:5], v[18:19], 0, v[2:3]
	v_add_co_u32_e32 v8, vcc, 0x1000, v4
	v_readfirstlane_b32 s4, v18
	s_nop 0
	v_addc_co_u32_e32 v9, vcc, 0, v5, vcc
	v_add_co_u32_e32 v10, vcc, 0x2000, v4
	v_readfirstlane_b32 s5, v19
	s_nop 0
	v_addc_co_u32_e32 v11, vcc, 0, v5, vcc
	v_add_co_u32_e32 v12, vcc, 0x3000, v4
	s_mov_b64 s[8:9], 0
	s_nop 0
	v_addc_co_u32_e32 v13, vcc, 0, v5, vcc
	v_add_co_u32_e32 v14, vcc, 0x4000, v4
	global_load_dwordx2 v[6:7], v2, s[4:5]
	s_nop 0
	v_addc_co_u32_e32 v15, vcc, 0, v5, vcc
	global_load_dwordx2 v[16:17], v[8:9], off
	global_load_dwordx2 v[20:21], v[10:11], off
	;; [unrolled: 1-line block ×4, first 2 shown]
	v_add_co_u32_e32 v8, vcc, 0x5000, v4
	s_nop 1
	v_addc_co_u32_e32 v9, vcc, 0, v5, vcc
	v_add_co_u32_e32 v4, vcc, 0x6000, v4
	global_load_dwordx2 v[8:9], v[8:9], off
	s_nop 0
	v_addc_co_u32_e32 v5, vcc, 0, v5, vcc
	global_load_dwordx2 v[4:5], v[4:5], off
	s_waitcnt vmcnt(5)
	ds_write2st64_b64 v2, v[6:7], v[16:17] offset1:8
	s_waitcnt vmcnt(3)
	ds_write2st64_b64 v2, v[20:21], v[22:23] offset0:16 offset1:24
	s_waitcnt vmcnt(1)
	ds_write2st64_b64 v2, v[24:25], v[8:9] offset0:32 offset1:40
	s_waitcnt vmcnt(0)
	ds_write_b64 v2, v[4:5] offset:24576
	s_waitcnt lgkmcnt(0)
	s_barrier
.LBB1699_6:
	s_andn2_b64 vcc, exec, s[8:9]
	s_addk_i32 s52, 0xe00
	s_cbranch_vccnz .LBB1699_22
; %bb.7:
	v_cmp_gt_u32_e32 vcc, s52, v0
                                        ; implicit-def: $vgpr2_vgpr3_vgpr4_vgpr5_vgpr6_vgpr7_vgpr8_vgpr9_vgpr10_vgpr11_vgpr12_vgpr13_vgpr14_vgpr15_vgpr16_vgpr17
	s_and_saveexec_b64 s[4:5], vcc
	s_cbranch_execz .LBB1699_9
; %bb.8:
	v_lshlrev_b32_e32 v1, 3, v0
	v_readfirstlane_b32 s8, v18
	v_readfirstlane_b32 s9, v19
	s_nop 4
	global_load_dwordx2 v[2:3], v1, s[8:9]
.LBB1699_9:
	s_or_b64 exec, exec, s[4:5]
	v_or_b32_e32 v1, 0x200, v0
	v_cmp_gt_u32_e32 vcc, s52, v1
	s_and_saveexec_b64 s[4:5], vcc
	s_cbranch_execz .LBB1699_11
; %bb.10:
	v_lshlrev_b32_e32 v1, 3, v1
	v_readfirstlane_b32 s8, v18
	v_readfirstlane_b32 s9, v19
	s_nop 4
	global_load_dwordx2 v[4:5], v1, s[8:9]
.LBB1699_11:
	s_or_b64 exec, exec, s[4:5]
	v_or_b32_e32 v1, 0x400, v0
	v_cmp_gt_u32_e32 vcc, s52, v1
	;; [unrolled: 12-line block ×6, first 2 shown]
	s_and_saveexec_b64 s[4:5], vcc
	s_cbranch_execz .LBB1699_21
; %bb.20:
	v_lshlrev_b32_e32 v1, 3, v1
	v_readfirstlane_b32 s8, v18
	v_readfirstlane_b32 s9, v19
	s_nop 4
	global_load_dwordx2 v[14:15], v1, s[8:9]
.LBB1699_21:
	s_or_b64 exec, exec, s[4:5]
	v_lshlrev_b32_e32 v1, 3, v0
	s_waitcnt vmcnt(0)
	ds_write2st64_b64 v1, v[2:3], v[4:5] offset1:8
	ds_write2st64_b64 v1, v[6:7], v[8:9] offset0:16 offset1:24
	ds_write2st64_b64 v1, v[10:11], v[12:13] offset0:32 offset1:40
	ds_write_b64 v1, v[14:15] offset:24576
	s_waitcnt lgkmcnt(0)
	s_barrier
.LBB1699_22:
	v_mul_u32_u24_e32 v1, 7, v0
	v_lshlrev_b32_e32 v32, 3, v1
	ds_read2_b64 v[10:13], v32 offset1:1
	ds_read2_b64 v[6:9], v32 offset0:2 offset1:3
	ds_read2_b64 v[2:5], v32 offset0:4 offset1:5
	ds_read_b64 v[14:15], v32 offset:48
	s_cmp_lg_u32 s33, 0
	s_cselect_b64 s[16:17], -1, 0
	s_cmp_lg_u64 s[6:7], 0
	s_cselect_b64 s[4:5], -1, 0
	s_or_b64 s[4:5], s[4:5], s[16:17]
	v_mad_u32_u24 v27, v0, 7, 1
	v_mad_u32_u24 v26, v0, 7, 2
	v_mad_u32_u24 v30, v0, 7, 3
	v_mad_u32_u24 v28, v0, 7, 4
	v_mad_u32_u24 v31, v0, 7, 5
	v_mad_u32_u24 v29, v0, 7, 6
	s_mov_b64 s[8:9], 0
	s_and_b64 vcc, exec, s[4:5]
	v_cmp_gt_i64_e64 s[4:5], s[26:27], 0
	s_waitcnt lgkmcnt(0)
	s_barrier
	s_cbranch_vccz .LBB1699_31
; %bb.23:
	global_load_dwordx2 v[16:17], v[18:19], off offset:-8
	v_cndmask_b32_e64 v18, 0, 1, s[4:5]
	v_lshlrev_b32_e32 v33, 3, v0
	s_mov_b64 s[6:7], 0
	s_and_b64 vcc, exec, s[36:37]
	v_cmp_ne_u32_e64 s[4:5], 1, v18
	ds_write_b64 v33, v[14:15]
	s_cbranch_vccz .LBB1699_33
; %bb.24:
	v_mul_lo_u32 v20, v5, s26
	v_mul_lo_u32 v21, v4, s27
	v_mad_u64_u32 v[18:19], s[8:9], v4, s26, 0
	v_add3_u32 v19, v19, v21, v20
	s_and_b64 vcc, exec, s[4:5]
	v_lshl_add_u64 v[18:19], v[18:19], 3, s[28:29]
	s_cbranch_vccnz .LBB1699_36
; %bb.25:
	v_mul_lo_u32 v22, v15, s26
	v_mul_lo_u32 v23, v14, s27
	v_mad_u64_u32 v[20:21], s[6:7], v14, s26, 0
	v_add3_u32 v21, v21, v23, v22
	v_lshl_add_u64 v[20:21], v[20:21], 3, s[28:29]
	global_load_dwordx2 v[22:23], v[18:19], off
	global_load_dwordx2 v[24:25], v[20:21], off
	s_mov_b64 s[6:7], -1
	s_waitcnt vmcnt(0)
	v_cmp_eq_u64_e32 vcc, v[22:23], v[24:25]
	s_and_saveexec_b64 s[8:9], vcc
	s_cbranch_execz .LBB1699_35
; %bb.26:
	s_add_u32 s6, s26, -1
	v_lshl_add_u64 v[20:21], v[20:21], 0, 8
	v_lshl_add_u64 v[22:23], v[18:19], 0, 8
	s_addc_u32 s7, s27, -1
	s_mov_b64 s[10:11], 0
	s_mov_b64 s[14:15], 0
                                        ; implicit-def: $sgpr12_sgpr13
	s_branch .LBB1699_29
.LBB1699_27:                            ;   in Loop: Header=BB1699_29 Depth=1
	global_load_dwordx2 v[24:25], v[22:23], off
	global_load_dwordx2 v[34:35], v[20:21], off
	s_add_u32 s14, s14, 1
	s_addc_u32 s15, s15, 0
	s_andn2_b64 s[12:13], s[12:13], exec
	v_lshl_add_u64 v[20:21], v[20:21], 0, 8
	v_lshl_add_u64 v[22:23], v[22:23], 0, 8
	s_waitcnt vmcnt(0)
	v_cmp_ne_u64_e32 vcc, v[24:25], v[34:35]
	s_and_b64 s[38:39], vcc, exec
	s_or_b64 s[12:13], s[12:13], s[38:39]
.LBB1699_28:                            ;   in Loop: Header=BB1699_29 Depth=1
	s_and_b64 s[38:39], exec, s[12:13]
	s_or_b64 s[10:11], s[38:39], s[10:11]
	v_mov_b64_e32 v[24:25], s[14:15]
	s_andn2_b64 exec, exec, s[10:11]
	s_cbranch_execz .LBB1699_34
.LBB1699_29:                            ; =>This Inner Loop Header: Depth=1
	s_or_b64 s[12:13], s[12:13], exec
	s_cmp_eq_u64 s[6:7], s[14:15]
	s_cbranch_scc0 .LBB1699_27
; %bb.30:                               ;   in Loop: Header=BB1699_29 Depth=1
                                        ; implicit-def: $vgpr20_vgpr21
                                        ; implicit-def: $vgpr22_vgpr23
	s_mov_b64 s[14:15], s[26:27]
	s_branch .LBB1699_28
.LBB1699_31:
                                        ; implicit-def: $sgpr12_sgpr13
                                        ; implicit-def: $vgpr35
                                        ; implicit-def: $vgpr34
                                        ; implicit-def: $vgpr25
                                        ; implicit-def: $vgpr20
	s_branch .LBB1699_174
.LBB1699_32:
                                        ; implicit-def: $vgpr16_vgpr17
	s_branch .LBB1699_322
.LBB1699_33:
                                        ; implicit-def: $sgpr12_sgpr13
                                        ; implicit-def: $vgpr35
                                        ; implicit-def: $vgpr34
                                        ; implicit-def: $vgpr25
                                        ; implicit-def: $vgpr20
	s_cbranch_execnz .LBB1699_93
	s_branch .LBB1699_173
.LBB1699_34:
	s_or_b64 exec, exec, s[10:11]
	v_cmp_gt_i64_e32 vcc, s[26:27], v[24:25]
	s_orn2_b64 s[6:7], vcc, exec
.LBB1699_35:
	s_or_b64 exec, exec, s[8:9]
.LBB1699_36:
	v_mul_lo_u32 v22, v3, s26
	v_mul_lo_u32 v23, v2, s27
	v_mad_u64_u32 v[20:21], s[8:9], v2, s26, 0
	v_add3_u32 v21, v21, v23, v22
	s_mov_b64 s[8:9], 0
	s_and_b64 vcc, exec, s[4:5]
	v_lshl_add_u64 v[20:21], v[20:21], 3, s[28:29]
	s_mov_b64 s[10:11], 0
	s_cbranch_vccnz .LBB1699_45
; %bb.37:
	global_load_dwordx2 v[22:23], v[20:21], off
	global_load_dwordx2 v[24:25], v[18:19], off
	s_mov_b64 s[10:11], -1
	s_waitcnt vmcnt(0)
	v_cmp_eq_u64_e32 vcc, v[22:23], v[24:25]
	s_and_saveexec_b64 s[12:13], vcc
	s_cbranch_execz .LBB1699_44
; %bb.38:
	s_add_u32 s10, s26, -1
	v_lshl_add_u64 v[18:19], v[18:19], 0, 8
	v_lshl_add_u64 v[22:23], v[20:21], 0, 8
	s_addc_u32 s11, s27, -1
	s_mov_b64 s[14:15], 0
	s_mov_b64 s[40:41], 0
                                        ; implicit-def: $sgpr38_sgpr39
	s_branch .LBB1699_41
.LBB1699_39:                            ;   in Loop: Header=BB1699_41 Depth=1
	global_load_dwordx2 v[24:25], v[22:23], off
	global_load_dwordx2 v[34:35], v[18:19], off
	s_add_u32 s40, s40, 1
	s_addc_u32 s41, s41, 0
	s_andn2_b64 s[38:39], s[38:39], exec
	v_lshl_add_u64 v[18:19], v[18:19], 0, 8
	v_lshl_add_u64 v[22:23], v[22:23], 0, 8
	s_waitcnt vmcnt(0)
	v_cmp_ne_u64_e32 vcc, v[24:25], v[34:35]
	s_and_b64 s[42:43], vcc, exec
	s_or_b64 s[38:39], s[38:39], s[42:43]
.LBB1699_40:                            ;   in Loop: Header=BB1699_41 Depth=1
	s_and_b64 s[42:43], exec, s[38:39]
	s_or_b64 s[14:15], s[42:43], s[14:15]
	v_mov_b64_e32 v[24:25], s[40:41]
	s_andn2_b64 exec, exec, s[14:15]
	s_cbranch_execz .LBB1699_43
.LBB1699_41:                            ; =>This Inner Loop Header: Depth=1
	s_or_b64 s[38:39], s[38:39], exec
	s_cmp_eq_u64 s[10:11], s[40:41]
	s_cbranch_scc0 .LBB1699_39
; %bb.42:                               ;   in Loop: Header=BB1699_41 Depth=1
                                        ; implicit-def: $vgpr18_vgpr19
                                        ; implicit-def: $vgpr22_vgpr23
	s_mov_b64 s[40:41], s[26:27]
	s_branch .LBB1699_40
.LBB1699_43:
	s_or_b64 exec, exec, s[14:15]
	v_cmp_gt_i64_e32 vcc, s[26:27], v[24:25]
	s_orn2_b64 s[10:11], vcc, exec
.LBB1699_44:
	s_or_b64 exec, exec, s[12:13]
.LBB1699_45:
	v_mul_lo_u32 v22, v9, s26
	v_mul_lo_u32 v23, v8, s27
	v_mad_u64_u32 v[18:19], s[12:13], v8, s26, 0
	v_add3_u32 v19, v19, v23, v22
	s_and_b64 vcc, exec, s[4:5]
	v_lshl_add_u64 v[18:19], v[18:19], 3, s[28:29]
	s_cbranch_vccnz .LBB1699_54
; %bb.46:
	global_load_dwordx2 v[22:23], v[18:19], off
	global_load_dwordx2 v[24:25], v[20:21], off
	s_mov_b64 s[8:9], -1
	s_waitcnt vmcnt(0)
	v_cmp_eq_u64_e32 vcc, v[22:23], v[24:25]
	s_and_saveexec_b64 s[12:13], vcc
	s_cbranch_execz .LBB1699_53
; %bb.47:
	s_add_u32 s8, s26, -1
	v_lshl_add_u64 v[20:21], v[20:21], 0, 8
	v_lshl_add_u64 v[22:23], v[18:19], 0, 8
	s_addc_u32 s9, s27, -1
	s_mov_b64 s[14:15], 0
	s_mov_b64 s[40:41], 0
                                        ; implicit-def: $sgpr38_sgpr39
	s_branch .LBB1699_50
.LBB1699_48:                            ;   in Loop: Header=BB1699_50 Depth=1
	global_load_dwordx2 v[24:25], v[22:23], off
	global_load_dwordx2 v[34:35], v[20:21], off
	s_add_u32 s40, s40, 1
	s_addc_u32 s41, s41, 0
	s_andn2_b64 s[38:39], s[38:39], exec
	v_lshl_add_u64 v[20:21], v[20:21], 0, 8
	v_lshl_add_u64 v[22:23], v[22:23], 0, 8
	s_waitcnt vmcnt(0)
	v_cmp_ne_u64_e32 vcc, v[24:25], v[34:35]
	s_and_b64 s[42:43], vcc, exec
	s_or_b64 s[38:39], s[38:39], s[42:43]
.LBB1699_49:                            ;   in Loop: Header=BB1699_50 Depth=1
	s_and_b64 s[42:43], exec, s[38:39]
	s_or_b64 s[14:15], s[42:43], s[14:15]
	v_mov_b64_e32 v[24:25], s[40:41]
	s_andn2_b64 exec, exec, s[14:15]
	s_cbranch_execz .LBB1699_52
.LBB1699_50:                            ; =>This Inner Loop Header: Depth=1
	s_or_b64 s[38:39], s[38:39], exec
	s_cmp_eq_u64 s[8:9], s[40:41]
	s_cbranch_scc0 .LBB1699_48
; %bb.51:                               ;   in Loop: Header=BB1699_50 Depth=1
                                        ; implicit-def: $vgpr20_vgpr21
                                        ; implicit-def: $vgpr22_vgpr23
	s_mov_b64 s[40:41], s[26:27]
	s_branch .LBB1699_49
.LBB1699_52:
	s_or_b64 exec, exec, s[14:15]
	v_cmp_gt_i64_e32 vcc, s[26:27], v[24:25]
	s_orn2_b64 s[8:9], vcc, exec
.LBB1699_53:
	s_or_b64 exec, exec, s[12:13]
.LBB1699_54:
	v_mul_lo_u32 v22, v7, s26
	v_mul_lo_u32 v23, v6, s27
	v_mad_u64_u32 v[20:21], s[12:13], v6, s26, 0
	v_add3_u32 v21, v21, v23, v22
	s_mov_b64 s[12:13], 0
	s_and_b64 vcc, exec, s[4:5]
	v_lshl_add_u64 v[22:23], v[20:21], 3, s[28:29]
	s_mov_b64 s[14:15], 0
	s_cbranch_vccnz .LBB1699_63
; %bb.55:
	global_load_dwordx2 v[20:21], v[22:23], off
	global_load_dwordx2 v[24:25], v[18:19], off
	s_mov_b64 s[14:15], -1
	s_waitcnt vmcnt(0)
	v_cmp_eq_u64_e32 vcc, v[20:21], v[24:25]
	s_and_saveexec_b64 s[38:39], vcc
	s_cbranch_execz .LBB1699_62
; %bb.56:
	s_add_u32 s14, s26, -1
	v_lshl_add_u64 v[18:19], v[18:19], 0, 8
	v_lshl_add_u64 v[20:21], v[22:23], 0, 8
	s_addc_u32 s15, s27, -1
	s_mov_b64 s[40:41], 0
	s_mov_b64 s[44:45], 0
                                        ; implicit-def: $sgpr42_sgpr43
	s_branch .LBB1699_59
.LBB1699_57:                            ;   in Loop: Header=BB1699_59 Depth=1
	global_load_dwordx2 v[24:25], v[20:21], off
	global_load_dwordx2 v[34:35], v[18:19], off
	s_add_u32 s44, s44, 1
	s_addc_u32 s45, s45, 0
	s_andn2_b64 s[42:43], s[42:43], exec
	v_lshl_add_u64 v[18:19], v[18:19], 0, 8
	v_lshl_add_u64 v[20:21], v[20:21], 0, 8
	s_waitcnt vmcnt(0)
	v_cmp_ne_u64_e32 vcc, v[24:25], v[34:35]
	s_and_b64 s[46:47], vcc, exec
	s_or_b64 s[42:43], s[42:43], s[46:47]
.LBB1699_58:                            ;   in Loop: Header=BB1699_59 Depth=1
	s_and_b64 s[46:47], exec, s[42:43]
	s_or_b64 s[40:41], s[46:47], s[40:41]
	v_mov_b64_e32 v[24:25], s[44:45]
	s_andn2_b64 exec, exec, s[40:41]
	s_cbranch_execz .LBB1699_61
.LBB1699_59:                            ; =>This Inner Loop Header: Depth=1
	s_or_b64 s[42:43], s[42:43], exec
	s_cmp_eq_u64 s[14:15], s[44:45]
	s_cbranch_scc0 .LBB1699_57
; %bb.60:                               ;   in Loop: Header=BB1699_59 Depth=1
                                        ; implicit-def: $vgpr18_vgpr19
                                        ; implicit-def: $vgpr20_vgpr21
	s_mov_b64 s[44:45], s[26:27]
	s_branch .LBB1699_58
.LBB1699_61:
	s_or_b64 exec, exec, s[40:41]
	v_cmp_gt_i64_e32 vcc, s[26:27], v[24:25]
	s_orn2_b64 s[14:15], vcc, exec
.LBB1699_62:
	s_or_b64 exec, exec, s[38:39]
.LBB1699_63:
	v_mul_lo_u32 v20, v13, s26
	v_mul_lo_u32 v21, v12, s27
	v_mad_u64_u32 v[18:19], s[38:39], v12, s26, 0
	v_add3_u32 v19, v19, v21, v20
	s_and_b64 vcc, exec, s[4:5]
	v_lshl_add_u64 v[20:21], v[18:19], 3, s[28:29]
	s_cbranch_vccnz .LBB1699_72
; %bb.64:
	global_load_dwordx2 v[18:19], v[20:21], off
	global_load_dwordx2 v[24:25], v[22:23], off
	s_mov_b64 s[12:13], -1
	s_waitcnt vmcnt(0)
	v_cmp_eq_u64_e32 vcc, v[18:19], v[24:25]
	s_and_saveexec_b64 s[38:39], vcc
	s_cbranch_execz .LBB1699_71
; %bb.65:
	s_add_u32 s12, s26, -1
	v_lshl_add_u64 v[18:19], v[22:23], 0, 8
	v_lshl_add_u64 v[22:23], v[20:21], 0, 8
	s_addc_u32 s13, s27, -1
	s_mov_b64 s[40:41], 0
	s_mov_b64 s[44:45], 0
                                        ; implicit-def: $sgpr42_sgpr43
	s_branch .LBB1699_68
.LBB1699_66:                            ;   in Loop: Header=BB1699_68 Depth=1
	global_load_dwordx2 v[24:25], v[22:23], off
	global_load_dwordx2 v[34:35], v[18:19], off
	s_add_u32 s44, s44, 1
	s_addc_u32 s45, s45, 0
	s_andn2_b64 s[42:43], s[42:43], exec
	v_lshl_add_u64 v[18:19], v[18:19], 0, 8
	v_lshl_add_u64 v[22:23], v[22:23], 0, 8
	s_waitcnt vmcnt(0)
	v_cmp_ne_u64_e32 vcc, v[24:25], v[34:35]
	s_and_b64 s[46:47], vcc, exec
	s_or_b64 s[42:43], s[42:43], s[46:47]
.LBB1699_67:                            ;   in Loop: Header=BB1699_68 Depth=1
	s_and_b64 s[46:47], exec, s[42:43]
	s_or_b64 s[40:41], s[46:47], s[40:41]
	v_mov_b64_e32 v[24:25], s[44:45]
	s_andn2_b64 exec, exec, s[40:41]
	s_cbranch_execz .LBB1699_70
.LBB1699_68:                            ; =>This Inner Loop Header: Depth=1
	s_or_b64 s[42:43], s[42:43], exec
	s_cmp_eq_u64 s[12:13], s[44:45]
	s_cbranch_scc0 .LBB1699_66
; %bb.69:                               ;   in Loop: Header=BB1699_68 Depth=1
                                        ; implicit-def: $vgpr18_vgpr19
                                        ; implicit-def: $vgpr22_vgpr23
	s_mov_b64 s[44:45], s[26:27]
	s_branch .LBB1699_67
.LBB1699_70:
	s_or_b64 exec, exec, s[40:41]
	v_cmp_gt_i64_e32 vcc, s[26:27], v[24:25]
	s_orn2_b64 s[12:13], vcc, exec
.LBB1699_71:
	s_or_b64 exec, exec, s[38:39]
.LBB1699_72:
	v_mul_lo_u32 v22, v11, s26
	v_mul_lo_u32 v23, v10, s27
	v_mad_u64_u32 v[18:19], s[38:39], v10, s26, 0
	v_add3_u32 v19, v19, v23, v22
	s_mov_b64 s[40:41], 0
	s_and_b64 vcc, exec, s[4:5]
	v_lshl_add_u64 v[18:19], v[18:19], 3, s[28:29]
	s_cbranch_vccnz .LBB1699_81
; %bb.73:
	global_load_dwordx2 v[22:23], v[18:19], off
	global_load_dwordx2 v[24:25], v[20:21], off
	s_mov_b64 s[40:41], -1
	s_waitcnt vmcnt(0)
	v_cmp_eq_u64_e32 vcc, v[22:23], v[24:25]
	s_and_saveexec_b64 s[38:39], vcc
	s_cbranch_execz .LBB1699_80
; %bb.74:
	s_add_u32 s40, s26, -1
	v_lshl_add_u64 v[20:21], v[20:21], 0, 8
	v_lshl_add_u64 v[22:23], v[18:19], 0, 8
	s_addc_u32 s41, s27, -1
	s_mov_b64 s[42:43], 0
	s_mov_b64 s[46:47], 0
                                        ; implicit-def: $sgpr44_sgpr45
	s_branch .LBB1699_77
.LBB1699_75:                            ;   in Loop: Header=BB1699_77 Depth=1
	global_load_dwordx2 v[24:25], v[22:23], off
	global_load_dwordx2 v[34:35], v[20:21], off
	s_add_u32 s46, s46, 1
	s_addc_u32 s47, s47, 0
	s_andn2_b64 s[44:45], s[44:45], exec
	v_lshl_add_u64 v[20:21], v[20:21], 0, 8
	v_lshl_add_u64 v[22:23], v[22:23], 0, 8
	s_waitcnt vmcnt(0)
	v_cmp_ne_u64_e32 vcc, v[24:25], v[34:35]
	s_and_b64 s[48:49], vcc, exec
	s_or_b64 s[44:45], s[44:45], s[48:49]
.LBB1699_76:                            ;   in Loop: Header=BB1699_77 Depth=1
	s_and_b64 s[48:49], exec, s[44:45]
	s_or_b64 s[42:43], s[48:49], s[42:43]
	v_mov_b64_e32 v[24:25], s[46:47]
	s_andn2_b64 exec, exec, s[42:43]
	s_cbranch_execz .LBB1699_79
.LBB1699_77:                            ; =>This Inner Loop Header: Depth=1
	s_or_b64 s[44:45], s[44:45], exec
	s_cmp_eq_u64 s[40:41], s[46:47]
	s_cbranch_scc0 .LBB1699_75
; %bb.78:                               ;   in Loop: Header=BB1699_77 Depth=1
                                        ; implicit-def: $vgpr20_vgpr21
                                        ; implicit-def: $vgpr22_vgpr23
	s_mov_b64 s[46:47], s[26:27]
	s_branch .LBB1699_76
.LBB1699_79:
	s_or_b64 exec, exec, s[42:43]
	v_cmp_gt_i64_e32 vcc, s[26:27], v[24:25]
	s_orn2_b64 s[40:41], vcc, exec
.LBB1699_80:
	s_or_b64 exec, exec, s[38:39]
.LBB1699_81:
	s_waitcnt vmcnt(0)
	v_mov_b64_e32 v[20:21], v[16:17]
	s_waitcnt lgkmcnt(0)
	s_barrier
	s_and_saveexec_b64 s[38:39], s[2:3]
	s_cbranch_execz .LBB1699_83
; %bb.82:
	v_add_u32_e32 v20, -8, v33
	ds_read_b64 v[20:21], v20
.LBB1699_83:
	s_or_b64 exec, exec, s[38:39]
	v_cndmask_b32_e64 v23, 0, 1, s[14:15]
	v_cndmask_b32_e64 v22, 0, 1, s[12:13]
	;; [unrolled: 1-line block ×3, first 2 shown]
	v_lshlrev_b16_e32 v23, 8, v23
	v_lshlrev_b16_e32 v24, 8, v24
	v_or_b32_sdwa v36, v22, v23 dst_sel:WORD_1 dst_unused:UNUSED_PAD src0_sel:DWORD src1_sel:DWORD
	s_mov_b64 s[14:15], 0
	s_and_b64 vcc, exec, s[4:5]
	s_mov_b64 s[12:13], 0
	s_cbranch_vccnz .LBB1699_92
; %bb.84:
	s_waitcnt lgkmcnt(0)
	v_mul_lo_u32 v22, v21, s26
	v_mul_lo_u32 v23, v20, s27
	v_mad_u64_u32 v[20:21], s[12:13], v20, s26, 0
	v_add3_u32 v21, v21, v23, v22
	v_lshl_add_u64 v[20:21], v[20:21], 3, s[28:29]
	global_load_dwordx2 v[22:23], v[20:21], off
	global_load_dwordx2 v[34:35], v[18:19], off
	s_mov_b64 s[12:13], -1
	s_waitcnt vmcnt(0)
	v_cmp_eq_u64_e32 vcc, v[22:23], v[34:35]
	s_and_saveexec_b64 s[38:39], vcc
	s_cbranch_execz .LBB1699_91
; %bb.85:
	s_add_u32 s12, s26, -1
	v_lshl_add_u64 v[18:19], v[18:19], 0, 8
	v_lshl_add_u64 v[20:21], v[20:21], 0, 8
	s_addc_u32 s13, s27, -1
	s_mov_b64 s[40:41], 0
	s_mov_b64 s[44:45], 0
                                        ; implicit-def: $sgpr42_sgpr43
	s_branch .LBB1699_88
.LBB1699_86:                            ;   in Loop: Header=BB1699_88 Depth=1
	global_load_dwordx2 v[22:23], v[20:21], off
	global_load_dwordx2 v[34:35], v[18:19], off
	s_add_u32 s44, s44, 1
	s_addc_u32 s45, s45, 0
	s_andn2_b64 s[42:43], s[42:43], exec
	v_lshl_add_u64 v[18:19], v[18:19], 0, 8
	v_lshl_add_u64 v[20:21], v[20:21], 0, 8
	s_waitcnt vmcnt(0)
	v_cmp_ne_u64_e32 vcc, v[22:23], v[34:35]
	s_and_b64 s[46:47], vcc, exec
	s_or_b64 s[42:43], s[42:43], s[46:47]
.LBB1699_87:                            ;   in Loop: Header=BB1699_88 Depth=1
	s_and_b64 s[46:47], exec, s[42:43]
	s_or_b64 s[40:41], s[46:47], s[40:41]
	v_mov_b64_e32 v[22:23], s[44:45]
	s_andn2_b64 exec, exec, s[40:41]
	s_cbranch_execz .LBB1699_90
.LBB1699_88:                            ; =>This Inner Loop Header: Depth=1
	s_or_b64 s[42:43], s[42:43], exec
	s_cmp_eq_u64 s[12:13], s[44:45]
	s_cbranch_scc0 .LBB1699_86
; %bb.89:                               ;   in Loop: Header=BB1699_88 Depth=1
                                        ; implicit-def: $vgpr18_vgpr19
                                        ; implicit-def: $vgpr20_vgpr21
	s_mov_b64 s[44:45], s[26:27]
	s_branch .LBB1699_87
.LBB1699_90:
	s_or_b64 exec, exec, s[40:41]
	v_cmp_gt_i64_e32 vcc, s[26:27], v[22:23]
	s_orn2_b64 s[12:13], vcc, exec
.LBB1699_91:
	s_or_b64 exec, exec, s[38:39]
.LBB1699_92:
	v_cndmask_b32_e64 v25, 0, 1, s[8:9]
	v_cndmask_b32_e64 v34, 0, 1, s[10:11]
	;; [unrolled: 1-line block ×3, first 2 shown]
	s_waitcnt lgkmcnt(0)
	v_or_b32_e32 v20, v24, v36
	s_and_b64 vcc, exec, s[14:15]
	s_cbranch_vccz .LBB1699_173
.LBB1699_93:
	v_cmp_gt_u32_e32 vcc, s52, v29
	s_mov_b64 s[8:9], 0
	s_mov_b64 s[6:7], 0
	s_and_saveexec_b64 s[10:11], vcc
	s_cbranch_execz .LBB1699_104
; %bb.94:
	s_and_b64 vcc, exec, s[4:5]
	s_mov_b64 s[12:13], 0
	s_cbranch_vccnz .LBB1699_103
; %bb.95:
	v_mul_lo_u32 v20, v5, s26
	v_mul_lo_u32 v21, v4, s27
	v_mad_u64_u32 v[18:19], s[6:7], v4, s26, 0
	v_add3_u32 v19, v19, v21, v20
	v_mul_lo_u32 v20, v15, s26
	v_mul_lo_u32 v21, v14, s27
	v_mad_u64_u32 v[22:23], s[6:7], v14, s26, 0
	v_add3_u32 v23, v23, v21, v20
	v_lshl_add_u64 v[20:21], v[18:19], 3, s[28:29]
	v_lshl_add_u64 v[18:19], v[22:23], 3, s[28:29]
	global_load_dwordx2 v[22:23], v[20:21], off
	global_load_dwordx2 v[24:25], v[18:19], off
	s_mov_b64 s[12:13], -1
	s_waitcnt vmcnt(0)
	v_cmp_eq_u64_e32 vcc, v[22:23], v[24:25]
	s_and_saveexec_b64 s[6:7], vcc
	s_cbranch_execz .LBB1699_102
; %bb.96:
	s_add_u32 s12, s26, -1
	v_lshl_add_u64 v[18:19], v[18:19], 0, 8
	v_lshl_add_u64 v[20:21], v[20:21], 0, 8
	s_addc_u32 s13, s27, -1
	s_mov_b64 s[14:15], 0
	s_mov_b64 s[40:41], 0
                                        ; implicit-def: $sgpr38_sgpr39
	s_branch .LBB1699_99
.LBB1699_97:                            ;   in Loop: Header=BB1699_99 Depth=1
	global_load_dwordx2 v[22:23], v[20:21], off
	global_load_dwordx2 v[24:25], v[18:19], off
	s_add_u32 s40, s40, 1
	s_addc_u32 s41, s41, 0
	s_andn2_b64 s[38:39], s[38:39], exec
	v_lshl_add_u64 v[18:19], v[18:19], 0, 8
	v_lshl_add_u64 v[20:21], v[20:21], 0, 8
	s_waitcnt vmcnt(0)
	v_cmp_ne_u64_e32 vcc, v[22:23], v[24:25]
	s_and_b64 s[42:43], vcc, exec
	s_or_b64 s[38:39], s[38:39], s[42:43]
.LBB1699_98:                            ;   in Loop: Header=BB1699_99 Depth=1
	s_and_b64 s[42:43], exec, s[38:39]
	s_or_b64 s[14:15], s[42:43], s[14:15]
	v_mov_b64_e32 v[22:23], s[40:41]
	s_andn2_b64 exec, exec, s[14:15]
	s_cbranch_execz .LBB1699_101
.LBB1699_99:                            ; =>This Inner Loop Header: Depth=1
	s_or_b64 s[38:39], s[38:39], exec
	s_cmp_eq_u64 s[12:13], s[40:41]
	s_cbranch_scc0 .LBB1699_97
; %bb.100:                              ;   in Loop: Header=BB1699_99 Depth=1
                                        ; implicit-def: $vgpr18_vgpr19
                                        ; implicit-def: $vgpr20_vgpr21
	s_mov_b64 s[40:41], s[26:27]
	s_branch .LBB1699_98
.LBB1699_101:
	s_or_b64 exec, exec, s[14:15]
	v_cmp_gt_i64_e32 vcc, s[26:27], v[22:23]
	s_orn2_b64 s[12:13], vcc, exec
.LBB1699_102:
	s_or_b64 exec, exec, s[6:7]
.LBB1699_103:
	s_and_b64 s[6:7], s[12:13], exec
.LBB1699_104:
	s_or_b64 exec, exec, s[10:11]
	v_cmp_gt_u32_e32 vcc, s52, v31
	s_and_saveexec_b64 s[10:11], vcc
	s_cbranch_execz .LBB1699_115
; %bb.105:
	s_and_b64 vcc, exec, s[4:5]
	s_mov_b64 s[12:13], 0
	s_cbranch_vccnz .LBB1699_114
; %bb.106:
	v_mul_lo_u32 v20, v3, s26
	v_mul_lo_u32 v21, v2, s27
	v_mad_u64_u32 v[18:19], s[8:9], v2, s26, 0
	v_add3_u32 v19, v19, v21, v20
	v_mul_lo_u32 v20, v5, s26
	v_mul_lo_u32 v21, v4, s27
	v_mad_u64_u32 v[22:23], s[8:9], v4, s26, 0
	v_add3_u32 v23, v23, v21, v20
	v_lshl_add_u64 v[20:21], v[18:19], 3, s[28:29]
	v_lshl_add_u64 v[18:19], v[22:23], 3, s[28:29]
	global_load_dwordx2 v[22:23], v[20:21], off
	global_load_dwordx2 v[24:25], v[18:19], off
	s_mov_b64 s[12:13], -1
	s_waitcnt vmcnt(0)
	v_cmp_eq_u64_e32 vcc, v[22:23], v[24:25]
	s_and_saveexec_b64 s[8:9], vcc
	s_cbranch_execz .LBB1699_113
; %bb.107:
	s_add_u32 s12, s26, -1
	v_lshl_add_u64 v[18:19], v[18:19], 0, 8
	v_lshl_add_u64 v[20:21], v[20:21], 0, 8
	s_addc_u32 s13, s27, -1
	s_mov_b64 s[14:15], 0
	s_mov_b64 s[40:41], 0
                                        ; implicit-def: $sgpr38_sgpr39
	s_branch .LBB1699_110
.LBB1699_108:                           ;   in Loop: Header=BB1699_110 Depth=1
	global_load_dwordx2 v[22:23], v[20:21], off
	global_load_dwordx2 v[24:25], v[18:19], off
	s_add_u32 s40, s40, 1
	s_addc_u32 s41, s41, 0
	s_andn2_b64 s[38:39], s[38:39], exec
	v_lshl_add_u64 v[18:19], v[18:19], 0, 8
	v_lshl_add_u64 v[20:21], v[20:21], 0, 8
	s_waitcnt vmcnt(0)
	v_cmp_ne_u64_e32 vcc, v[22:23], v[24:25]
	s_and_b64 s[42:43], vcc, exec
	s_or_b64 s[38:39], s[38:39], s[42:43]
.LBB1699_109:                           ;   in Loop: Header=BB1699_110 Depth=1
	s_and_b64 s[42:43], exec, s[38:39]
	s_or_b64 s[14:15], s[42:43], s[14:15]
	v_mov_b64_e32 v[22:23], s[40:41]
	s_andn2_b64 exec, exec, s[14:15]
	s_cbranch_execz .LBB1699_112
.LBB1699_110:                           ; =>This Inner Loop Header: Depth=1
	s_or_b64 s[38:39], s[38:39], exec
	s_cmp_eq_u64 s[12:13], s[40:41]
	s_cbranch_scc0 .LBB1699_108
; %bb.111:                              ;   in Loop: Header=BB1699_110 Depth=1
                                        ; implicit-def: $vgpr18_vgpr19
                                        ; implicit-def: $vgpr20_vgpr21
	s_mov_b64 s[40:41], s[26:27]
	s_branch .LBB1699_109
.LBB1699_112:
	s_or_b64 exec, exec, s[14:15]
	v_cmp_gt_i64_e32 vcc, s[26:27], v[22:23]
	s_orn2_b64 s[12:13], vcc, exec
.LBB1699_113:
	s_or_b64 exec, exec, s[8:9]
.LBB1699_114:
	s_and_b64 s[8:9], s[12:13], exec
.LBB1699_115:
	s_or_b64 exec, exec, s[10:11]
	v_cmp_gt_u32_e32 vcc, s52, v28
	s_mov_b64 s[12:13], 0
	s_mov_b64 s[10:11], 0
	s_and_saveexec_b64 s[14:15], vcc
	s_cbranch_execz .LBB1699_126
; %bb.116:
	s_and_b64 vcc, exec, s[4:5]
	s_mov_b64 s[38:39], 0
	s_cbranch_vccnz .LBB1699_125
; %bb.117:
	v_mul_lo_u32 v20, v9, s26
	v_mul_lo_u32 v21, v8, s27
	v_mad_u64_u32 v[18:19], s[10:11], v8, s26, 0
	v_add3_u32 v19, v19, v21, v20
	v_mul_lo_u32 v20, v3, s26
	v_mul_lo_u32 v21, v2, s27
	v_mad_u64_u32 v[22:23], s[10:11], v2, s26, 0
	v_add3_u32 v23, v23, v21, v20
	v_lshl_add_u64 v[20:21], v[18:19], 3, s[28:29]
	v_lshl_add_u64 v[18:19], v[22:23], 3, s[28:29]
	global_load_dwordx2 v[22:23], v[20:21], off
	global_load_dwordx2 v[24:25], v[18:19], off
	s_mov_b64 s[38:39], -1
	s_waitcnt vmcnt(0)
	v_cmp_eq_u64_e32 vcc, v[22:23], v[24:25]
	s_and_saveexec_b64 s[10:11], vcc
	s_cbranch_execz .LBB1699_124
; %bb.118:
	s_add_u32 s38, s26, -1
	v_lshl_add_u64 v[18:19], v[18:19], 0, 8
	v_lshl_add_u64 v[20:21], v[20:21], 0, 8
	s_addc_u32 s39, s27, -1
	s_mov_b64 s[40:41], 0
	s_mov_b64 s[44:45], 0
                                        ; implicit-def: $sgpr42_sgpr43
	s_branch .LBB1699_121
.LBB1699_119:                           ;   in Loop: Header=BB1699_121 Depth=1
	global_load_dwordx2 v[22:23], v[20:21], off
	global_load_dwordx2 v[24:25], v[18:19], off
	s_add_u32 s44, s44, 1
	s_addc_u32 s45, s45, 0
	s_andn2_b64 s[42:43], s[42:43], exec
	v_lshl_add_u64 v[18:19], v[18:19], 0, 8
	v_lshl_add_u64 v[20:21], v[20:21], 0, 8
	s_waitcnt vmcnt(0)
	v_cmp_ne_u64_e32 vcc, v[22:23], v[24:25]
	s_and_b64 s[46:47], vcc, exec
	s_or_b64 s[42:43], s[42:43], s[46:47]
.LBB1699_120:                           ;   in Loop: Header=BB1699_121 Depth=1
	s_and_b64 s[46:47], exec, s[42:43]
	s_or_b64 s[40:41], s[46:47], s[40:41]
	v_mov_b64_e32 v[22:23], s[44:45]
	s_andn2_b64 exec, exec, s[40:41]
	s_cbranch_execz .LBB1699_123
.LBB1699_121:                           ; =>This Inner Loop Header: Depth=1
	s_or_b64 s[42:43], s[42:43], exec
	s_cmp_eq_u64 s[38:39], s[44:45]
	s_cbranch_scc0 .LBB1699_119
; %bb.122:                              ;   in Loop: Header=BB1699_121 Depth=1
                                        ; implicit-def: $vgpr18_vgpr19
                                        ; implicit-def: $vgpr20_vgpr21
	s_mov_b64 s[44:45], s[26:27]
	s_branch .LBB1699_120
.LBB1699_123:
	s_or_b64 exec, exec, s[40:41]
	v_cmp_gt_i64_e32 vcc, s[26:27], v[22:23]
	s_orn2_b64 s[38:39], vcc, exec
.LBB1699_124:
	s_or_b64 exec, exec, s[10:11]
.LBB1699_125:
	s_and_b64 s[10:11], s[38:39], exec
.LBB1699_126:
	s_or_b64 exec, exec, s[14:15]
	v_cmp_gt_u32_e32 vcc, s52, v30
	s_and_saveexec_b64 s[14:15], vcc
	s_cbranch_execz .LBB1699_137
; %bb.127:
	s_and_b64 vcc, exec, s[4:5]
	s_mov_b64 s[38:39], 0
	s_cbranch_vccnz .LBB1699_136
; %bb.128:
	v_mul_lo_u32 v20, v7, s26
	v_mul_lo_u32 v21, v6, s27
	v_mad_u64_u32 v[18:19], s[12:13], v6, s26, 0
	v_add3_u32 v19, v19, v21, v20
	v_mul_lo_u32 v20, v9, s26
	v_mul_lo_u32 v21, v8, s27
	v_mad_u64_u32 v[22:23], s[12:13], v8, s26, 0
	v_add3_u32 v23, v23, v21, v20
	v_lshl_add_u64 v[20:21], v[18:19], 3, s[28:29]
	v_lshl_add_u64 v[18:19], v[22:23], 3, s[28:29]
	global_load_dwordx2 v[22:23], v[20:21], off
	global_load_dwordx2 v[24:25], v[18:19], off
	s_mov_b64 s[38:39], -1
	s_waitcnt vmcnt(0)
	v_cmp_eq_u64_e32 vcc, v[22:23], v[24:25]
	s_and_saveexec_b64 s[12:13], vcc
	s_cbranch_execz .LBB1699_135
; %bb.129:
	s_add_u32 s38, s26, -1
	v_lshl_add_u64 v[18:19], v[18:19], 0, 8
	v_lshl_add_u64 v[20:21], v[20:21], 0, 8
	s_addc_u32 s39, s27, -1
	s_mov_b64 s[40:41], 0
	s_mov_b64 s[44:45], 0
                                        ; implicit-def: $sgpr42_sgpr43
	s_branch .LBB1699_132
.LBB1699_130:                           ;   in Loop: Header=BB1699_132 Depth=1
	global_load_dwordx2 v[22:23], v[20:21], off
	global_load_dwordx2 v[24:25], v[18:19], off
	s_add_u32 s44, s44, 1
	s_addc_u32 s45, s45, 0
	s_andn2_b64 s[42:43], s[42:43], exec
	v_lshl_add_u64 v[18:19], v[18:19], 0, 8
	v_lshl_add_u64 v[20:21], v[20:21], 0, 8
	s_waitcnt vmcnt(0)
	v_cmp_ne_u64_e32 vcc, v[22:23], v[24:25]
	s_and_b64 s[46:47], vcc, exec
	s_or_b64 s[42:43], s[42:43], s[46:47]
.LBB1699_131:                           ;   in Loop: Header=BB1699_132 Depth=1
	s_and_b64 s[46:47], exec, s[42:43]
	s_or_b64 s[40:41], s[46:47], s[40:41]
	v_mov_b64_e32 v[22:23], s[44:45]
	s_andn2_b64 exec, exec, s[40:41]
	s_cbranch_execz .LBB1699_134
.LBB1699_132:                           ; =>This Inner Loop Header: Depth=1
	s_or_b64 s[42:43], s[42:43], exec
	s_cmp_eq_u64 s[38:39], s[44:45]
	s_cbranch_scc0 .LBB1699_130
; %bb.133:                              ;   in Loop: Header=BB1699_132 Depth=1
                                        ; implicit-def: $vgpr18_vgpr19
                                        ; implicit-def: $vgpr20_vgpr21
	s_mov_b64 s[44:45], s[26:27]
	s_branch .LBB1699_131
.LBB1699_134:
	s_or_b64 exec, exec, s[40:41]
	v_cmp_gt_i64_e32 vcc, s[26:27], v[22:23]
	s_orn2_b64 s[38:39], vcc, exec
.LBB1699_135:
	s_or_b64 exec, exec, s[12:13]
.LBB1699_136:
	s_and_b64 s[12:13], s[38:39], exec
.LBB1699_137:
	s_or_b64 exec, exec, s[14:15]
	v_cmp_gt_u32_e32 vcc, s52, v26
	s_mov_b64 s[14:15], 0
	s_mov_b64 s[38:39], 0
	s_and_saveexec_b64 s[40:41], vcc
	s_cbranch_execz .LBB1699_148
; %bb.138:
	s_and_b64 vcc, exec, s[4:5]
	s_mov_b64 s[42:43], 0
	s_cbranch_vccnz .LBB1699_147
; %bb.139:
	v_mul_lo_u32 v20, v13, s26
	v_mul_lo_u32 v21, v12, s27
	v_mad_u64_u32 v[18:19], s[38:39], v12, s26, 0
	v_add3_u32 v19, v19, v21, v20
	v_mul_lo_u32 v20, v7, s26
	v_mul_lo_u32 v21, v6, s27
	v_mad_u64_u32 v[22:23], s[38:39], v6, s26, 0
	v_add3_u32 v23, v23, v21, v20
	v_lshl_add_u64 v[20:21], v[18:19], 3, s[28:29]
	v_lshl_add_u64 v[18:19], v[22:23], 3, s[28:29]
	global_load_dwordx2 v[22:23], v[20:21], off
	global_load_dwordx2 v[24:25], v[18:19], off
	s_mov_b64 s[42:43], -1
	s_waitcnt vmcnt(0)
	v_cmp_eq_u64_e32 vcc, v[22:23], v[24:25]
	s_and_saveexec_b64 s[38:39], vcc
	s_cbranch_execz .LBB1699_146
; %bb.140:
	s_add_u32 s42, s26, -1
	v_lshl_add_u64 v[18:19], v[18:19], 0, 8
	v_lshl_add_u64 v[20:21], v[20:21], 0, 8
	s_addc_u32 s43, s27, -1
	s_mov_b64 s[44:45], 0
	s_mov_b64 s[48:49], 0
                                        ; implicit-def: $sgpr46_sgpr47
	s_branch .LBB1699_143
.LBB1699_141:                           ;   in Loop: Header=BB1699_143 Depth=1
	global_load_dwordx2 v[22:23], v[20:21], off
	global_load_dwordx2 v[24:25], v[18:19], off
	s_add_u32 s48, s48, 1
	s_addc_u32 s49, s49, 0
	s_andn2_b64 s[46:47], s[46:47], exec
	v_lshl_add_u64 v[18:19], v[18:19], 0, 8
	v_lshl_add_u64 v[20:21], v[20:21], 0, 8
	s_waitcnt vmcnt(0)
	v_cmp_ne_u64_e32 vcc, v[22:23], v[24:25]
	s_and_b64 s[50:51], vcc, exec
	s_or_b64 s[46:47], s[46:47], s[50:51]
.LBB1699_142:                           ;   in Loop: Header=BB1699_143 Depth=1
	s_and_b64 s[50:51], exec, s[46:47]
	s_or_b64 s[44:45], s[50:51], s[44:45]
	v_mov_b64_e32 v[22:23], s[48:49]
	s_andn2_b64 exec, exec, s[44:45]
	s_cbranch_execz .LBB1699_145
.LBB1699_143:                           ; =>This Inner Loop Header: Depth=1
	s_or_b64 s[46:47], s[46:47], exec
	s_cmp_eq_u64 s[42:43], s[48:49]
	s_cbranch_scc0 .LBB1699_141
; %bb.144:                              ;   in Loop: Header=BB1699_143 Depth=1
                                        ; implicit-def: $vgpr18_vgpr19
                                        ; implicit-def: $vgpr20_vgpr21
	s_mov_b64 s[48:49], s[26:27]
	s_branch .LBB1699_142
.LBB1699_145:
	s_or_b64 exec, exec, s[44:45]
	v_cmp_gt_i64_e32 vcc, s[26:27], v[22:23]
	s_orn2_b64 s[42:43], vcc, exec
.LBB1699_146:
	s_or_b64 exec, exec, s[38:39]
.LBB1699_147:
	s_and_b64 s[38:39], s[42:43], exec
.LBB1699_148:
	s_or_b64 exec, exec, s[40:41]
	v_cmp_gt_u32_e32 vcc, s52, v27
	s_and_saveexec_b64 s[40:41], vcc
	s_cbranch_execz .LBB1699_159
; %bb.149:
	s_and_b64 vcc, exec, s[4:5]
	s_mov_b64 s[42:43], 0
	s_cbranch_vccnz .LBB1699_158
; %bb.150:
	v_mul_lo_u32 v20, v11, s26
	v_mul_lo_u32 v21, v10, s27
	v_mad_u64_u32 v[18:19], s[14:15], v10, s26, 0
	v_add3_u32 v19, v19, v21, v20
	v_mul_lo_u32 v20, v13, s26
	v_mul_lo_u32 v21, v12, s27
	v_mad_u64_u32 v[22:23], s[14:15], v12, s26, 0
	v_add3_u32 v23, v23, v21, v20
	v_lshl_add_u64 v[20:21], v[18:19], 3, s[28:29]
	v_lshl_add_u64 v[18:19], v[22:23], 3, s[28:29]
	global_load_dwordx2 v[22:23], v[20:21], off
	global_load_dwordx2 v[24:25], v[18:19], off
	s_mov_b64 s[42:43], -1
	s_waitcnt vmcnt(0)
	v_cmp_eq_u64_e32 vcc, v[22:23], v[24:25]
	s_and_saveexec_b64 s[14:15], vcc
	s_cbranch_execz .LBB1699_157
; %bb.151:
	s_add_u32 s42, s26, -1
	v_lshl_add_u64 v[18:19], v[18:19], 0, 8
	v_lshl_add_u64 v[20:21], v[20:21], 0, 8
	s_addc_u32 s43, s27, -1
	s_mov_b64 s[44:45], 0
	s_mov_b64 s[48:49], 0
                                        ; implicit-def: $sgpr46_sgpr47
	s_branch .LBB1699_154
.LBB1699_152:                           ;   in Loop: Header=BB1699_154 Depth=1
	global_load_dwordx2 v[22:23], v[20:21], off
	global_load_dwordx2 v[24:25], v[18:19], off
	s_add_u32 s48, s48, 1
	s_addc_u32 s49, s49, 0
	s_andn2_b64 s[46:47], s[46:47], exec
	v_lshl_add_u64 v[18:19], v[18:19], 0, 8
	v_lshl_add_u64 v[20:21], v[20:21], 0, 8
	s_waitcnt vmcnt(0)
	v_cmp_ne_u64_e32 vcc, v[22:23], v[24:25]
	s_and_b64 s[50:51], vcc, exec
	s_or_b64 s[46:47], s[46:47], s[50:51]
.LBB1699_153:                           ;   in Loop: Header=BB1699_154 Depth=1
	s_and_b64 s[50:51], exec, s[46:47]
	s_or_b64 s[44:45], s[50:51], s[44:45]
	v_mov_b64_e32 v[22:23], s[48:49]
	s_andn2_b64 exec, exec, s[44:45]
	s_cbranch_execz .LBB1699_156
.LBB1699_154:                           ; =>This Inner Loop Header: Depth=1
	s_or_b64 s[46:47], s[46:47], exec
	s_cmp_eq_u64 s[42:43], s[48:49]
	s_cbranch_scc0 .LBB1699_152
; %bb.155:                              ;   in Loop: Header=BB1699_154 Depth=1
                                        ; implicit-def: $vgpr18_vgpr19
                                        ; implicit-def: $vgpr20_vgpr21
	s_mov_b64 s[48:49], s[26:27]
	s_branch .LBB1699_153
.LBB1699_156:
	s_or_b64 exec, exec, s[44:45]
	v_cmp_gt_i64_e32 vcc, s[26:27], v[22:23]
	s_orn2_b64 s[42:43], vcc, exec
.LBB1699_157:
	s_or_b64 exec, exec, s[14:15]
.LBB1699_158:
	s_and_b64 s[14:15], s[42:43], exec
.LBB1699_159:
	s_or_b64 exec, exec, s[40:41]
	s_waitcnt lgkmcnt(0)
	s_barrier
	s_and_saveexec_b64 s[40:41], s[2:3]
	s_cbranch_execz .LBB1699_161
; %bb.160:
	s_waitcnt vmcnt(0)
	v_add_u32_e32 v16, -8, v33
	ds_read_b64 v[16:17], v16
.LBB1699_161:
	s_or_b64 exec, exec, s[40:41]
	v_cndmask_b32_e64 v19, 0, 1, s[12:13]
	v_cndmask_b32_e64 v18, 0, 1, s[38:39]
	v_cndmask_b32_e64 v20, 0, 1, s[14:15]
	v_lshlrev_b16_e32 v19, 8, v19
	v_cmp_gt_u32_e32 vcc, s52, v1
	v_lshlrev_b16_e32 v22, 8, v20
	v_or_b32_sdwa v23, v18, v19 dst_sel:WORD_1 dst_unused:UNUSED_PAD src0_sel:DWORD src1_sel:DWORD
	s_mov_b64 s[12:13], 0
	s_and_saveexec_b64 s[14:15], vcc
	s_cbranch_execz .LBB1699_172
; %bb.162:
	s_and_b64 vcc, exec, s[4:5]
	s_cbranch_vccnz .LBB1699_171
; %bb.163:
	s_waitcnt vmcnt(0) lgkmcnt(0)
	v_mul_lo_u32 v18, v17, s26
	v_mul_lo_u32 v19, v16, s27
	v_mad_u64_u32 v[16:17], s[4:5], v16, s26, 0
	v_add3_u32 v17, v17, v19, v18
	v_mul_lo_u32 v18, v11, s26
	v_mul_lo_u32 v19, v10, s27
	v_mad_u64_u32 v[20:21], s[4:5], v10, s26, 0
	v_add3_u32 v21, v21, v19, v18
	v_lshl_add_u64 v[18:19], v[16:17], 3, s[28:29]
	v_lshl_add_u64 v[16:17], v[20:21], 3, s[28:29]
	global_load_dwordx2 v[20:21], v[18:19], off
	global_load_dwordx2 v[24:25], v[16:17], off
	s_mov_b64 s[12:13], -1
	s_waitcnt vmcnt(0)
	v_cmp_eq_u64_e32 vcc, v[20:21], v[24:25]
	s_and_saveexec_b64 s[4:5], vcc
	s_cbranch_execz .LBB1699_170
; %bb.164:
	s_add_u32 s12, s26, -1
	v_lshl_add_u64 v[16:17], v[16:17], 0, 8
	v_lshl_add_u64 v[18:19], v[18:19], 0, 8
	s_addc_u32 s13, s27, -1
	s_mov_b64 s[38:39], 0
	s_mov_b64 s[42:43], 0
                                        ; implicit-def: $sgpr40_sgpr41
	s_branch .LBB1699_167
.LBB1699_165:                           ;   in Loop: Header=BB1699_167 Depth=1
	global_load_dwordx2 v[20:21], v[18:19], off
	global_load_dwordx2 v[24:25], v[16:17], off
	s_add_u32 s42, s42, 1
	s_addc_u32 s43, s43, 0
	s_andn2_b64 s[40:41], s[40:41], exec
	v_lshl_add_u64 v[16:17], v[16:17], 0, 8
	v_lshl_add_u64 v[18:19], v[18:19], 0, 8
	s_waitcnt vmcnt(0)
	v_cmp_ne_u64_e32 vcc, v[20:21], v[24:25]
	s_and_b64 s[44:45], vcc, exec
	s_or_b64 s[40:41], s[40:41], s[44:45]
.LBB1699_166:                           ;   in Loop: Header=BB1699_167 Depth=1
	s_and_b64 s[44:45], exec, s[40:41]
	s_or_b64 s[38:39], s[44:45], s[38:39]
	v_mov_b64_e32 v[20:21], s[42:43]
	s_andn2_b64 exec, exec, s[38:39]
	s_cbranch_execz .LBB1699_169
.LBB1699_167:                           ; =>This Inner Loop Header: Depth=1
	s_or_b64 s[40:41], s[40:41], exec
	s_cmp_eq_u64 s[12:13], s[42:43]
	s_cbranch_scc0 .LBB1699_165
; %bb.168:                              ;   in Loop: Header=BB1699_167 Depth=1
                                        ; implicit-def: $vgpr16_vgpr17
                                        ; implicit-def: $vgpr18_vgpr19
	s_mov_b64 s[42:43], s[26:27]
	s_branch .LBB1699_166
.LBB1699_169:
	s_or_b64 exec, exec, s[38:39]
	v_cmp_gt_i64_e32 vcc, s[26:27], v[20:21]
	s_orn2_b64 s[12:13], vcc, exec
.LBB1699_170:
	s_or_b64 exec, exec, s[4:5]
.LBB1699_171:
	s_and_b64 s[12:13], s[12:13], exec
.LBB1699_172:
	s_or_b64 exec, exec, s[14:15]
	v_cndmask_b32_e64 v25, 0, 1, s[10:11]
	v_cndmask_b32_e64 v34, 0, 1, s[8:9]
	;; [unrolled: 1-line block ×3, first 2 shown]
	v_or_b32_e32 v20, v22, v23
.LBB1699_173:
	s_mov_b64 s[8:9], -1
	s_cbranch_execnz .LBB1699_32
.LBB1699_174:
	s_movk_i32 s4, 0xffd0
	v_mad_i32_i24 v24, v0, s4, v32
	s_mov_b64 s[10:11], 0
	v_cmp_gt_i64_e64 s[6:7], s[26:27], 0
	s_and_b64 vcc, exec, s[36:37]
	ds_write_b64 v24, v[14:15]
	s_cbranch_vccz .LBB1699_182
; %bb.175:
	v_mul_lo_u32 v18, v5, s26
	v_mul_lo_u32 v19, v4, s27
	s_waitcnt vmcnt(0) lgkmcnt(1)
	v_mad_u64_u32 v[16:17], s[4:5], v4, s26, 0
	v_add3_u32 v17, v17, v19, v18
	v_cndmask_b32_e64 v18, 0, 1, s[6:7]
	v_cmp_ne_u32_e64 s[4:5], 1, v18
	s_andn2_b64 vcc, exec, s[6:7]
	v_lshl_add_u64 v[16:17], v[16:17], 3, s[28:29]
	s_cbranch_vccnz .LBB1699_185
; %bb.176:
	v_mul_lo_u32 v20, v15, s26
	v_mul_lo_u32 v21, v14, s27
	v_mad_u64_u32 v[18:19], s[10:11], v14, s26, 0
	v_add3_u32 v19, v19, v21, v20
	v_lshl_add_u64 v[18:19], v[18:19], 3, s[28:29]
	global_load_dwordx2 v[20:21], v[16:17], off
	global_load_dwordx2 v[22:23], v[18:19], off
	s_mov_b64 s[10:11], -1
	s_waitcnt vmcnt(0)
	v_cmp_eq_u64_e32 vcc, v[20:21], v[22:23]
	s_and_saveexec_b64 s[12:13], vcc
	s_cbranch_execz .LBB1699_184
; %bb.177:
	s_add_u32 s10, s26, -1
	v_lshl_add_u64 v[18:19], v[18:19], 0, 8
	v_lshl_add_u64 v[20:21], v[16:17], 0, 8
	s_addc_u32 s11, s27, -1
	s_mov_b64 s[14:15], 0
	s_mov_b64 s[40:41], 0
                                        ; implicit-def: $sgpr38_sgpr39
	s_branch .LBB1699_180
.LBB1699_178:                           ;   in Loop: Header=BB1699_180 Depth=1
	global_load_dwordx2 v[22:23], v[20:21], off
	global_load_dwordx2 v[32:33], v[18:19], off
	s_add_u32 s40, s40, 1
	s_addc_u32 s41, s41, 0
	s_andn2_b64 s[38:39], s[38:39], exec
	v_lshl_add_u64 v[18:19], v[18:19], 0, 8
	v_lshl_add_u64 v[20:21], v[20:21], 0, 8
	s_waitcnt vmcnt(0)
	v_cmp_ne_u64_e32 vcc, v[22:23], v[32:33]
	s_and_b64 s[42:43], vcc, exec
	s_or_b64 s[38:39], s[38:39], s[42:43]
.LBB1699_179:                           ;   in Loop: Header=BB1699_180 Depth=1
	s_and_b64 s[42:43], exec, s[38:39]
	s_or_b64 s[14:15], s[42:43], s[14:15]
	v_mov_b64_e32 v[22:23], s[40:41]
	s_andn2_b64 exec, exec, s[14:15]
	s_cbranch_execz .LBB1699_183
.LBB1699_180:                           ; =>This Inner Loop Header: Depth=1
	s_or_b64 s[38:39], s[38:39], exec
	s_cmp_eq_u64 s[10:11], s[40:41]
	s_cbranch_scc0 .LBB1699_178
; %bb.181:                              ;   in Loop: Header=BB1699_180 Depth=1
                                        ; implicit-def: $vgpr18_vgpr19
                                        ; implicit-def: $vgpr20_vgpr21
	s_mov_b64 s[40:41], s[26:27]
	s_branch .LBB1699_179
.LBB1699_182:
                                        ; implicit-def: $sgpr12_sgpr13
                                        ; implicit-def: $vgpr35
                                        ; implicit-def: $vgpr34
                                        ; implicit-def: $vgpr25
                                        ; implicit-def: $vgpr20
                                        ; implicit-def: $vgpr16_vgpr17
	s_cbranch_execnz .LBB1699_242
	s_branch .LBB1699_322
.LBB1699_183:
	s_or_b64 exec, exec, s[14:15]
	v_cmp_gt_i64_e32 vcc, s[26:27], v[22:23]
	s_orn2_b64 s[10:11], vcc, exec
.LBB1699_184:
	s_or_b64 exec, exec, s[12:13]
.LBB1699_185:
	v_mul_lo_u32 v20, v3, s26
	v_mul_lo_u32 v21, v2, s27
	v_mad_u64_u32 v[18:19], s[12:13], v2, s26, 0
	v_add3_u32 v19, v19, v21, v20
	s_mov_b64 s[12:13], 0
	s_and_b64 vcc, exec, s[4:5]
	v_lshl_add_u64 v[18:19], v[18:19], 3, s[28:29]
	s_mov_b64 s[14:15], 0
	s_cbranch_vccnz .LBB1699_194
; %bb.186:
	global_load_dwordx2 v[20:21], v[18:19], off
	global_load_dwordx2 v[22:23], v[16:17], off
	s_mov_b64 s[14:15], -1
	s_waitcnt vmcnt(0)
	v_cmp_eq_u64_e32 vcc, v[20:21], v[22:23]
	s_and_saveexec_b64 s[38:39], vcc
	s_cbranch_execz .LBB1699_193
; %bb.187:
	s_add_u32 s14, s26, -1
	v_lshl_add_u64 v[16:17], v[16:17], 0, 8
	v_lshl_add_u64 v[20:21], v[18:19], 0, 8
	s_addc_u32 s15, s27, -1
	s_mov_b64 s[40:41], 0
	s_mov_b64 s[44:45], 0
                                        ; implicit-def: $sgpr42_sgpr43
	s_branch .LBB1699_190
.LBB1699_188:                           ;   in Loop: Header=BB1699_190 Depth=1
	global_load_dwordx2 v[22:23], v[20:21], off
	global_load_dwordx2 v[32:33], v[16:17], off
	s_add_u32 s44, s44, 1
	s_addc_u32 s45, s45, 0
	s_andn2_b64 s[42:43], s[42:43], exec
	v_lshl_add_u64 v[16:17], v[16:17], 0, 8
	v_lshl_add_u64 v[20:21], v[20:21], 0, 8
	s_waitcnt vmcnt(0)
	v_cmp_ne_u64_e32 vcc, v[22:23], v[32:33]
	s_and_b64 s[46:47], vcc, exec
	s_or_b64 s[42:43], s[42:43], s[46:47]
.LBB1699_189:                           ;   in Loop: Header=BB1699_190 Depth=1
	s_and_b64 s[46:47], exec, s[42:43]
	s_or_b64 s[40:41], s[46:47], s[40:41]
	v_mov_b64_e32 v[22:23], s[44:45]
	s_andn2_b64 exec, exec, s[40:41]
	s_cbranch_execz .LBB1699_192
.LBB1699_190:                           ; =>This Inner Loop Header: Depth=1
	s_or_b64 s[42:43], s[42:43], exec
	s_cmp_eq_u64 s[14:15], s[44:45]
	s_cbranch_scc0 .LBB1699_188
; %bb.191:                              ;   in Loop: Header=BB1699_190 Depth=1
                                        ; implicit-def: $vgpr16_vgpr17
                                        ; implicit-def: $vgpr20_vgpr21
	s_mov_b64 s[44:45], s[26:27]
	s_branch .LBB1699_189
.LBB1699_192:
	s_or_b64 exec, exec, s[40:41]
	v_cmp_gt_i64_e32 vcc, s[26:27], v[22:23]
	s_orn2_b64 s[14:15], vcc, exec
.LBB1699_193:
	s_or_b64 exec, exec, s[38:39]
.LBB1699_194:
	v_mul_lo_u32 v20, v9, s26
	v_mul_lo_u32 v21, v8, s27
	v_mad_u64_u32 v[16:17], s[38:39], v8, s26, 0
	v_add3_u32 v17, v17, v21, v20
	s_and_b64 vcc, exec, s[4:5]
	v_lshl_add_u64 v[16:17], v[16:17], 3, s[28:29]
	s_cbranch_vccnz .LBB1699_203
; %bb.195:
	global_load_dwordx2 v[20:21], v[16:17], off
	global_load_dwordx2 v[22:23], v[18:19], off
	s_mov_b64 s[12:13], -1
	s_waitcnt vmcnt(0)
	v_cmp_eq_u64_e32 vcc, v[20:21], v[22:23]
	s_and_saveexec_b64 s[38:39], vcc
	s_cbranch_execz .LBB1699_202
; %bb.196:
	s_add_u32 s12, s26, -1
	v_lshl_add_u64 v[18:19], v[18:19], 0, 8
	v_lshl_add_u64 v[20:21], v[16:17], 0, 8
	s_addc_u32 s13, s27, -1
	s_mov_b64 s[40:41], 0
	s_mov_b64 s[44:45], 0
                                        ; implicit-def: $sgpr42_sgpr43
	s_branch .LBB1699_199
.LBB1699_197:                           ;   in Loop: Header=BB1699_199 Depth=1
	global_load_dwordx2 v[22:23], v[20:21], off
	global_load_dwordx2 v[32:33], v[18:19], off
	s_add_u32 s44, s44, 1
	s_addc_u32 s45, s45, 0
	s_andn2_b64 s[42:43], s[42:43], exec
	v_lshl_add_u64 v[18:19], v[18:19], 0, 8
	v_lshl_add_u64 v[20:21], v[20:21], 0, 8
	s_waitcnt vmcnt(0)
	v_cmp_ne_u64_e32 vcc, v[22:23], v[32:33]
	s_and_b64 s[46:47], vcc, exec
	s_or_b64 s[42:43], s[42:43], s[46:47]
.LBB1699_198:                           ;   in Loop: Header=BB1699_199 Depth=1
	s_and_b64 s[46:47], exec, s[42:43]
	s_or_b64 s[40:41], s[46:47], s[40:41]
	v_mov_b64_e32 v[22:23], s[44:45]
	s_andn2_b64 exec, exec, s[40:41]
	s_cbranch_execz .LBB1699_201
.LBB1699_199:                           ; =>This Inner Loop Header: Depth=1
	s_or_b64 s[42:43], s[42:43], exec
	s_cmp_eq_u64 s[12:13], s[44:45]
	s_cbranch_scc0 .LBB1699_197
; %bb.200:                              ;   in Loop: Header=BB1699_199 Depth=1
                                        ; implicit-def: $vgpr18_vgpr19
                                        ; implicit-def: $vgpr20_vgpr21
	s_mov_b64 s[44:45], s[26:27]
	s_branch .LBB1699_198
.LBB1699_201:
	s_or_b64 exec, exec, s[40:41]
	v_cmp_gt_i64_e32 vcc, s[26:27], v[22:23]
	s_orn2_b64 s[12:13], vcc, exec
.LBB1699_202:
	s_or_b64 exec, exec, s[38:39]
.LBB1699_203:
	v_mul_lo_u32 v20, v7, s26
	v_mul_lo_u32 v21, v6, s27
	v_mad_u64_u32 v[18:19], s[38:39], v6, s26, 0
	v_add3_u32 v19, v19, v21, v20
	s_mov_b64 s[38:39], 0
	s_and_b64 vcc, exec, s[4:5]
	v_lshl_add_u64 v[18:19], v[18:19], 3, s[28:29]
	s_mov_b64 s[40:41], 0
	s_cbranch_vccnz .LBB1699_212
; %bb.204:
	global_load_dwordx2 v[20:21], v[18:19], off
	global_load_dwordx2 v[22:23], v[16:17], off
	s_mov_b64 s[40:41], -1
	s_waitcnt vmcnt(0)
	v_cmp_eq_u64_e32 vcc, v[20:21], v[22:23]
	s_and_saveexec_b64 s[42:43], vcc
	s_cbranch_execz .LBB1699_211
; %bb.205:
	s_add_u32 s40, s26, -1
	v_lshl_add_u64 v[16:17], v[16:17], 0, 8
	v_lshl_add_u64 v[20:21], v[18:19], 0, 8
	s_addc_u32 s41, s27, -1
	s_mov_b64 s[44:45], 0
	s_mov_b64 s[48:49], 0
                                        ; implicit-def: $sgpr46_sgpr47
	s_branch .LBB1699_208
.LBB1699_206:                           ;   in Loop: Header=BB1699_208 Depth=1
	global_load_dwordx2 v[22:23], v[20:21], off
	global_load_dwordx2 v[32:33], v[16:17], off
	s_add_u32 s48, s48, 1
	s_addc_u32 s49, s49, 0
	s_andn2_b64 s[46:47], s[46:47], exec
	v_lshl_add_u64 v[16:17], v[16:17], 0, 8
	v_lshl_add_u64 v[20:21], v[20:21], 0, 8
	s_waitcnt vmcnt(0)
	v_cmp_ne_u64_e32 vcc, v[22:23], v[32:33]
	s_and_b64 s[50:51], vcc, exec
	s_or_b64 s[46:47], s[46:47], s[50:51]
.LBB1699_207:                           ;   in Loop: Header=BB1699_208 Depth=1
	s_and_b64 s[50:51], exec, s[46:47]
	s_or_b64 s[44:45], s[50:51], s[44:45]
	v_mov_b64_e32 v[22:23], s[48:49]
	s_andn2_b64 exec, exec, s[44:45]
	s_cbranch_execz .LBB1699_210
.LBB1699_208:                           ; =>This Inner Loop Header: Depth=1
	s_or_b64 s[46:47], s[46:47], exec
	s_cmp_eq_u64 s[40:41], s[48:49]
	s_cbranch_scc0 .LBB1699_206
; %bb.209:                              ;   in Loop: Header=BB1699_208 Depth=1
                                        ; implicit-def: $vgpr16_vgpr17
                                        ; implicit-def: $vgpr20_vgpr21
	s_mov_b64 s[48:49], s[26:27]
	s_branch .LBB1699_207
.LBB1699_210:
	s_or_b64 exec, exec, s[44:45]
	v_cmp_gt_i64_e32 vcc, s[26:27], v[22:23]
	s_orn2_b64 s[40:41], vcc, exec
.LBB1699_211:
	s_or_b64 exec, exec, s[42:43]
.LBB1699_212:
	v_mul_lo_u32 v20, v13, s26
	v_mul_lo_u32 v21, v12, s27
	v_mad_u64_u32 v[16:17], s[42:43], v12, s26, 0
	v_add3_u32 v17, v17, v21, v20
	s_and_b64 vcc, exec, s[4:5]
	v_lshl_add_u64 v[16:17], v[16:17], 3, s[28:29]
	s_cbranch_vccnz .LBB1699_221
; %bb.213:
	global_load_dwordx2 v[20:21], v[16:17], off
	global_load_dwordx2 v[22:23], v[18:19], off
	s_mov_b64 s[38:39], -1
	s_waitcnt vmcnt(0)
	v_cmp_eq_u64_e32 vcc, v[20:21], v[22:23]
	s_and_saveexec_b64 s[42:43], vcc
	s_cbranch_execz .LBB1699_220
; %bb.214:
	s_add_u32 s38, s26, -1
	v_lshl_add_u64 v[18:19], v[18:19], 0, 8
	v_lshl_add_u64 v[20:21], v[16:17], 0, 8
	s_addc_u32 s39, s27, -1
	s_mov_b64 s[44:45], 0
	s_mov_b64 s[48:49], 0
                                        ; implicit-def: $sgpr46_sgpr47
	s_branch .LBB1699_217
.LBB1699_215:                           ;   in Loop: Header=BB1699_217 Depth=1
	global_load_dwordx2 v[22:23], v[20:21], off
	global_load_dwordx2 v[32:33], v[18:19], off
	s_add_u32 s48, s48, 1
	s_addc_u32 s49, s49, 0
	s_andn2_b64 s[46:47], s[46:47], exec
	v_lshl_add_u64 v[18:19], v[18:19], 0, 8
	v_lshl_add_u64 v[20:21], v[20:21], 0, 8
	s_waitcnt vmcnt(0)
	v_cmp_ne_u64_e32 vcc, v[22:23], v[32:33]
	s_and_b64 s[50:51], vcc, exec
	s_or_b64 s[46:47], s[46:47], s[50:51]
.LBB1699_216:                           ;   in Loop: Header=BB1699_217 Depth=1
	s_and_b64 s[50:51], exec, s[46:47]
	s_or_b64 s[44:45], s[50:51], s[44:45]
	v_mov_b64_e32 v[22:23], s[48:49]
	s_andn2_b64 exec, exec, s[44:45]
	s_cbranch_execz .LBB1699_219
.LBB1699_217:                           ; =>This Inner Loop Header: Depth=1
	s_or_b64 s[46:47], s[46:47], exec
	s_cmp_eq_u64 s[38:39], s[48:49]
	s_cbranch_scc0 .LBB1699_215
; %bb.218:                              ;   in Loop: Header=BB1699_217 Depth=1
                                        ; implicit-def: $vgpr18_vgpr19
                                        ; implicit-def: $vgpr20_vgpr21
	s_mov_b64 s[48:49], s[26:27]
	s_branch .LBB1699_216
.LBB1699_219:
	s_or_b64 exec, exec, s[44:45]
	v_cmp_gt_i64_e32 vcc, s[26:27], v[22:23]
	s_orn2_b64 s[38:39], vcc, exec
.LBB1699_220:
	s_or_b64 exec, exec, s[42:43]
.LBB1699_221:
	v_mul_lo_u32 v20, v11, s26
	v_mul_lo_u32 v21, v10, s27
	v_mad_u64_u32 v[18:19], s[42:43], v10, s26, 0
	v_add3_u32 v19, v19, v21, v20
	s_and_b64 vcc, exec, s[4:5]
	s_mov_b64 s[44:45], 0
	s_cbranch_vccnz .LBB1699_230
; %bb.222:
	v_lshl_add_u64 v[20:21], v[18:19], 3, s[28:29]
	global_load_dwordx2 v[22:23], v[20:21], off
	global_load_dwordx2 v[32:33], v[16:17], off
	s_mov_b64 s[44:45], -1
	s_waitcnt vmcnt(0)
	v_cmp_eq_u64_e32 vcc, v[22:23], v[32:33]
	s_and_saveexec_b64 s[42:43], vcc
	s_cbranch_execz .LBB1699_229
; %bb.223:
	s_add_u32 s44, s26, -1
	v_lshl_add_u64 v[16:17], v[16:17], 0, 8
	v_lshl_add_u64 v[20:21], v[20:21], 0, 8
	s_addc_u32 s45, s27, -1
	s_mov_b64 s[46:47], 0
	s_mov_b64 s[50:51], 0
                                        ; implicit-def: $sgpr48_sgpr49
	s_branch .LBB1699_226
.LBB1699_224:                           ;   in Loop: Header=BB1699_226 Depth=1
	global_load_dwordx2 v[22:23], v[20:21], off
	global_load_dwordx2 v[32:33], v[16:17], off
	s_add_u32 s50, s50, 1
	s_addc_u32 s51, s51, 0
	s_andn2_b64 s[48:49], s[48:49], exec
	v_lshl_add_u64 v[16:17], v[16:17], 0, 8
	v_lshl_add_u64 v[20:21], v[20:21], 0, 8
	s_waitcnt vmcnt(0)
	v_cmp_ne_u64_e32 vcc, v[22:23], v[32:33]
	s_and_b64 s[54:55], vcc, exec
	s_or_b64 s[48:49], s[48:49], s[54:55]
.LBB1699_225:                           ;   in Loop: Header=BB1699_226 Depth=1
	s_and_b64 s[54:55], exec, s[48:49]
	s_or_b64 s[46:47], s[54:55], s[46:47]
	v_mov_b64_e32 v[22:23], s[50:51]
	s_andn2_b64 exec, exec, s[46:47]
	s_cbranch_execz .LBB1699_228
.LBB1699_226:                           ; =>This Inner Loop Header: Depth=1
	s_or_b64 s[48:49], s[48:49], exec
	s_cmp_eq_u64 s[44:45], s[50:51]
	s_cbranch_scc0 .LBB1699_224
; %bb.227:                              ;   in Loop: Header=BB1699_226 Depth=1
                                        ; implicit-def: $vgpr16_vgpr17
                                        ; implicit-def: $vgpr20_vgpr21
	s_mov_b64 s[50:51], s[26:27]
	s_branch .LBB1699_225
.LBB1699_228:
	s_or_b64 exec, exec, s[46:47]
	v_cmp_gt_i64_e32 vcc, s[26:27], v[22:23]
	s_orn2_b64 s[44:45], vcc, exec
.LBB1699_229:
	s_or_b64 exec, exec, s[42:43]
.LBB1699_230:
	v_cndmask_b32_e64 v17, 0, 1, s[40:41]
	v_cndmask_b32_e64 v16, 0, 1, s[38:39]
	;; [unrolled: 1-line block ×3, first 2 shown]
	v_lshlrev_b16_e32 v17, 8, v17
	v_cndmask_b32_e64 v25, 0, 1, s[12:13]
	v_cndmask_b32_e64 v20, 0, 1, s[44:45]
	v_or_b32_sdwa v16, v16, v17 dst_sel:WORD_1 dst_unused:UNUSED_PAD src0_sel:DWORD src1_sel:DWORD
	v_lshlrev_b16_e32 v17, 8, v34
	v_lshlrev_b16_e32 v20, 8, v20
	v_or_b32_e32 v17, v25, v17
	v_or_b32_e32 v20, 1, v20
	v_and_b32_e32 v17, 0xffff, v17
	v_cndmask_b32_e64 v35, 0, 1, s[10:11]
	v_or_b32_sdwa v16, v20, v16 dst_sel:DWORD dst_unused:UNUSED_PAD src0_sel:WORD_0 src1_sel:DWORD
	v_lshl_or_b32 v17, v35, 16, v17
	s_waitcnt lgkmcnt(0)
	s_barrier
	s_waitcnt lgkmcnt(0)
                                        ; implicit-def: $sgpr12_sgpr13
                                        ; implicit-def: $vgpr20
	s_and_saveexec_b64 s[10:11], s[2:3]
	s_xor_b64 s[10:11], exec, s[10:11]
	s_cbranch_execz .LBB1699_241
; %bb.231:
	s_mov_b32 s42, 0x3020104
	s_and_b64 vcc, exec, s[4:5]
	s_mov_b64 s[12:13], 0
	s_cbranch_vccnz .LBB1699_240
; %bb.232:
	v_add_u32_e32 v17, -8, v24
	ds_read_b64 v[20:21], v17
	v_lshl_add_u64 v[18:19], v[18:19], 3, s[28:29]
	s_mov_b64 s[12:13], -1
	s_waitcnt lgkmcnt(0)
	v_mul_lo_u32 v17, v21, s26
	v_mul_lo_u32 v22, v20, s27
	v_mad_u64_u32 v[20:21], s[4:5], v20, s26, 0
	v_add3_u32 v21, v21, v22, v17
	v_lshl_add_u64 v[20:21], v[20:21], 3, s[28:29]
	global_load_dwordx2 v[22:23], v[20:21], off
	global_load_dwordx2 v[32:33], v[18:19], off
	s_waitcnt vmcnt(0)
	v_cmp_eq_u64_e32 vcc, v[22:23], v[32:33]
	s_and_saveexec_b64 s[4:5], vcc
	s_cbranch_execz .LBB1699_239
; %bb.233:
	s_add_u32 s12, s26, -1
	v_lshl_add_u64 v[18:19], v[18:19], 0, 8
	v_lshl_add_u64 v[20:21], v[20:21], 0, 8
	s_addc_u32 s13, s27, -1
	s_mov_b64 s[14:15], 0
	s_mov_b64 s[40:41], 0
                                        ; implicit-def: $sgpr38_sgpr39
	s_branch .LBB1699_236
.LBB1699_234:                           ;   in Loop: Header=BB1699_236 Depth=1
	global_load_dwordx2 v[22:23], v[20:21], off
	global_load_dwordx2 v[32:33], v[18:19], off
	s_add_u32 s40, s40, 1
	s_addc_u32 s41, s41, 0
	s_andn2_b64 s[38:39], s[38:39], exec
	v_lshl_add_u64 v[18:19], v[18:19], 0, 8
	v_lshl_add_u64 v[20:21], v[20:21], 0, 8
	s_waitcnt vmcnt(0)
	v_cmp_ne_u64_e32 vcc, v[22:23], v[32:33]
	s_and_b64 s[44:45], vcc, exec
	s_or_b64 s[38:39], s[38:39], s[44:45]
.LBB1699_235:                           ;   in Loop: Header=BB1699_236 Depth=1
	s_and_b64 s[44:45], exec, s[38:39]
	s_or_b64 s[14:15], s[44:45], s[14:15]
	v_mov_b64_e32 v[22:23], s[40:41]
	s_andn2_b64 exec, exec, s[14:15]
	s_cbranch_execz .LBB1699_238
.LBB1699_236:                           ; =>This Inner Loop Header: Depth=1
	s_or_b64 s[38:39], s[38:39], exec
	s_cmp_eq_u64 s[12:13], s[40:41]
	s_cbranch_scc0 .LBB1699_234
; %bb.237:                              ;   in Loop: Header=BB1699_236 Depth=1
                                        ; implicit-def: $vgpr18_vgpr19
                                        ; implicit-def: $vgpr20_vgpr21
	s_mov_b64 s[40:41], s[26:27]
	s_branch .LBB1699_235
.LBB1699_238:
	s_or_b64 exec, exec, s[14:15]
	v_cmp_gt_i64_e32 vcc, s[26:27], v[22:23]
	s_orn2_b64 s[12:13], vcc, exec
.LBB1699_239:
	s_or_b64 exec, exec, s[4:5]
.LBB1699_240:
	v_perm_b32 v20, v16, v16, s42
	s_and_b64 s[12:13], s[12:13], exec
	s_or_b64 s[8:9], s[8:9], exec
                                        ; implicit-def: $vgpr16_vgpr17
.LBB1699_241:
	s_or_b64 exec, exec, s[10:11]
	s_branch .LBB1699_322
.LBB1699_242:
	v_cmp_gt_u32_e32 vcc, s52, v29
	s_mov_b64 s[10:11], 0
	s_mov_b64 s[4:5], 0
	s_and_saveexec_b64 s[12:13], vcc
	s_cbranch_execz .LBB1699_253
; %bb.243:
	s_andn2_b64 vcc, exec, s[6:7]
	s_mov_b64 s[14:15], 0
	s_cbranch_vccnz .LBB1699_252
; %bb.244:
	v_mul_lo_u32 v18, v5, s26
	v_mul_lo_u32 v19, v4, s27
	s_waitcnt vmcnt(0) lgkmcnt(1)
	v_mad_u64_u32 v[16:17], s[4:5], v4, s26, 0
	v_add3_u32 v17, v17, v19, v18
	v_mul_lo_u32 v18, v15, s26
	v_mul_lo_u32 v19, v14, s27
	v_mad_u64_u32 v[20:21], s[4:5], v14, s26, 0
	v_add3_u32 v21, v21, v19, v18
	v_lshl_add_u64 v[18:19], v[16:17], 3, s[28:29]
	v_lshl_add_u64 v[16:17], v[20:21], 3, s[28:29]
	global_load_dwordx2 v[20:21], v[18:19], off
	global_load_dwordx2 v[22:23], v[16:17], off
	s_mov_b64 s[14:15], -1
	s_waitcnt vmcnt(0)
	v_cmp_eq_u64_e32 vcc, v[20:21], v[22:23]
	s_and_saveexec_b64 s[4:5], vcc
	s_cbranch_execz .LBB1699_251
; %bb.245:
	s_add_u32 s14, s26, -1
	v_lshl_add_u64 v[16:17], v[16:17], 0, 8
	v_lshl_add_u64 v[18:19], v[18:19], 0, 8
	s_addc_u32 s15, s27, -1
	s_mov_b64 s[38:39], 0
	s_mov_b64 s[42:43], 0
                                        ; implicit-def: $sgpr40_sgpr41
	s_branch .LBB1699_248
.LBB1699_246:                           ;   in Loop: Header=BB1699_248 Depth=1
	global_load_dwordx2 v[20:21], v[18:19], off
	global_load_dwordx2 v[22:23], v[16:17], off
	s_add_u32 s42, s42, 1
	s_addc_u32 s43, s43, 0
	s_andn2_b64 s[40:41], s[40:41], exec
	v_lshl_add_u64 v[16:17], v[16:17], 0, 8
	v_lshl_add_u64 v[18:19], v[18:19], 0, 8
	s_waitcnt vmcnt(0)
	v_cmp_ne_u64_e32 vcc, v[20:21], v[22:23]
	s_and_b64 s[44:45], vcc, exec
	s_or_b64 s[40:41], s[40:41], s[44:45]
.LBB1699_247:                           ;   in Loop: Header=BB1699_248 Depth=1
	s_and_b64 s[44:45], exec, s[40:41]
	s_or_b64 s[38:39], s[44:45], s[38:39]
	v_mov_b64_e32 v[20:21], s[42:43]
	s_andn2_b64 exec, exec, s[38:39]
	s_cbranch_execz .LBB1699_250
.LBB1699_248:                           ; =>This Inner Loop Header: Depth=1
	s_or_b64 s[40:41], s[40:41], exec
	s_cmp_eq_u64 s[14:15], s[42:43]
	s_cbranch_scc0 .LBB1699_246
; %bb.249:                              ;   in Loop: Header=BB1699_248 Depth=1
                                        ; implicit-def: $vgpr16_vgpr17
                                        ; implicit-def: $vgpr18_vgpr19
	s_mov_b64 s[42:43], s[26:27]
	s_branch .LBB1699_247
.LBB1699_250:
	s_or_b64 exec, exec, s[38:39]
	v_cmp_gt_i64_e32 vcc, s[26:27], v[20:21]
	s_orn2_b64 s[14:15], vcc, exec
.LBB1699_251:
	s_or_b64 exec, exec, s[4:5]
.LBB1699_252:
	s_and_b64 s[4:5], s[14:15], exec
.LBB1699_253:
	s_or_b64 exec, exec, s[12:13]
	v_cmp_gt_u32_e32 vcc, s52, v31
	s_and_saveexec_b64 s[12:13], vcc
	s_cbranch_execz .LBB1699_264
; %bb.254:
	s_andn2_b64 vcc, exec, s[6:7]
	s_mov_b64 s[14:15], 0
	s_cbranch_vccnz .LBB1699_263
; %bb.255:
	v_mul_lo_u32 v18, v3, s26
	v_mul_lo_u32 v19, v2, s27
	s_waitcnt vmcnt(0) lgkmcnt(1)
	v_mad_u64_u32 v[16:17], s[10:11], v2, s26, 0
	v_add3_u32 v17, v17, v19, v18
	v_mul_lo_u32 v18, v5, s26
	v_mul_lo_u32 v19, v4, s27
	v_mad_u64_u32 v[20:21], s[10:11], v4, s26, 0
	v_add3_u32 v21, v21, v19, v18
	v_lshl_add_u64 v[18:19], v[16:17], 3, s[28:29]
	v_lshl_add_u64 v[16:17], v[20:21], 3, s[28:29]
	global_load_dwordx2 v[20:21], v[18:19], off
	global_load_dwordx2 v[22:23], v[16:17], off
	s_mov_b64 s[14:15], -1
	s_waitcnt vmcnt(0)
	v_cmp_eq_u64_e32 vcc, v[20:21], v[22:23]
	s_and_saveexec_b64 s[10:11], vcc
	s_cbranch_execz .LBB1699_262
; %bb.256:
	s_add_u32 s14, s26, -1
	v_lshl_add_u64 v[16:17], v[16:17], 0, 8
	v_lshl_add_u64 v[18:19], v[18:19], 0, 8
	s_addc_u32 s15, s27, -1
	s_mov_b64 s[38:39], 0
	s_mov_b64 s[42:43], 0
                                        ; implicit-def: $sgpr40_sgpr41
	s_branch .LBB1699_259
.LBB1699_257:                           ;   in Loop: Header=BB1699_259 Depth=1
	global_load_dwordx2 v[20:21], v[18:19], off
	global_load_dwordx2 v[22:23], v[16:17], off
	s_add_u32 s42, s42, 1
	s_addc_u32 s43, s43, 0
	s_andn2_b64 s[40:41], s[40:41], exec
	v_lshl_add_u64 v[16:17], v[16:17], 0, 8
	v_lshl_add_u64 v[18:19], v[18:19], 0, 8
	s_waitcnt vmcnt(0)
	v_cmp_ne_u64_e32 vcc, v[20:21], v[22:23]
	s_and_b64 s[44:45], vcc, exec
	s_or_b64 s[40:41], s[40:41], s[44:45]
.LBB1699_258:                           ;   in Loop: Header=BB1699_259 Depth=1
	s_and_b64 s[44:45], exec, s[40:41]
	s_or_b64 s[38:39], s[44:45], s[38:39]
	v_mov_b64_e32 v[20:21], s[42:43]
	s_andn2_b64 exec, exec, s[38:39]
	s_cbranch_execz .LBB1699_261
.LBB1699_259:                           ; =>This Inner Loop Header: Depth=1
	s_or_b64 s[40:41], s[40:41], exec
	s_cmp_eq_u64 s[14:15], s[42:43]
	s_cbranch_scc0 .LBB1699_257
; %bb.260:                              ;   in Loop: Header=BB1699_259 Depth=1
                                        ; implicit-def: $vgpr16_vgpr17
                                        ; implicit-def: $vgpr18_vgpr19
	s_mov_b64 s[42:43], s[26:27]
	s_branch .LBB1699_258
.LBB1699_261:
	s_or_b64 exec, exec, s[38:39]
	v_cmp_gt_i64_e32 vcc, s[26:27], v[20:21]
	s_orn2_b64 s[14:15], vcc, exec
.LBB1699_262:
	s_or_b64 exec, exec, s[10:11]
.LBB1699_263:
	s_and_b64 s[10:11], s[14:15], exec
.LBB1699_264:
	s_or_b64 exec, exec, s[12:13]
	v_cmp_gt_u32_e32 vcc, s52, v28
	s_mov_b64 s[14:15], 0
	s_mov_b64 s[12:13], 0
	s_and_saveexec_b64 s[38:39], vcc
	s_cbranch_execz .LBB1699_275
; %bb.265:
	s_andn2_b64 vcc, exec, s[6:7]
	s_mov_b64 s[40:41], 0
	s_cbranch_vccnz .LBB1699_274
; %bb.266:
	v_mul_lo_u32 v18, v9, s26
	v_mul_lo_u32 v19, v8, s27
	s_waitcnt vmcnt(0) lgkmcnt(1)
	v_mad_u64_u32 v[16:17], s[12:13], v8, s26, 0
	v_add3_u32 v17, v17, v19, v18
	v_mul_lo_u32 v18, v3, s26
	v_mul_lo_u32 v19, v2, s27
	v_mad_u64_u32 v[20:21], s[12:13], v2, s26, 0
	v_add3_u32 v21, v21, v19, v18
	v_lshl_add_u64 v[18:19], v[16:17], 3, s[28:29]
	v_lshl_add_u64 v[16:17], v[20:21], 3, s[28:29]
	global_load_dwordx2 v[20:21], v[18:19], off
	global_load_dwordx2 v[22:23], v[16:17], off
	s_mov_b64 s[40:41], -1
	s_waitcnt vmcnt(0)
	v_cmp_eq_u64_e32 vcc, v[20:21], v[22:23]
	s_and_saveexec_b64 s[12:13], vcc
	s_cbranch_execz .LBB1699_273
; %bb.267:
	s_add_u32 s40, s26, -1
	v_lshl_add_u64 v[16:17], v[16:17], 0, 8
	v_lshl_add_u64 v[18:19], v[18:19], 0, 8
	s_addc_u32 s41, s27, -1
	s_mov_b64 s[42:43], 0
	s_mov_b64 s[46:47], 0
                                        ; implicit-def: $sgpr44_sgpr45
	s_branch .LBB1699_270
.LBB1699_268:                           ;   in Loop: Header=BB1699_270 Depth=1
	global_load_dwordx2 v[20:21], v[18:19], off
	global_load_dwordx2 v[22:23], v[16:17], off
	s_add_u32 s46, s46, 1
	s_addc_u32 s47, s47, 0
	s_andn2_b64 s[44:45], s[44:45], exec
	v_lshl_add_u64 v[16:17], v[16:17], 0, 8
	v_lshl_add_u64 v[18:19], v[18:19], 0, 8
	s_waitcnt vmcnt(0)
	v_cmp_ne_u64_e32 vcc, v[20:21], v[22:23]
	s_and_b64 s[48:49], vcc, exec
	s_or_b64 s[44:45], s[44:45], s[48:49]
.LBB1699_269:                           ;   in Loop: Header=BB1699_270 Depth=1
	s_and_b64 s[48:49], exec, s[44:45]
	s_or_b64 s[42:43], s[48:49], s[42:43]
	v_mov_b64_e32 v[20:21], s[46:47]
	s_andn2_b64 exec, exec, s[42:43]
	s_cbranch_execz .LBB1699_272
.LBB1699_270:                           ; =>This Inner Loop Header: Depth=1
	s_or_b64 s[44:45], s[44:45], exec
	s_cmp_eq_u64 s[40:41], s[46:47]
	s_cbranch_scc0 .LBB1699_268
; %bb.271:                              ;   in Loop: Header=BB1699_270 Depth=1
                                        ; implicit-def: $vgpr16_vgpr17
                                        ; implicit-def: $vgpr18_vgpr19
	s_mov_b64 s[46:47], s[26:27]
	s_branch .LBB1699_269
.LBB1699_272:
	s_or_b64 exec, exec, s[42:43]
	v_cmp_gt_i64_e32 vcc, s[26:27], v[20:21]
	s_orn2_b64 s[40:41], vcc, exec
.LBB1699_273:
	s_or_b64 exec, exec, s[12:13]
.LBB1699_274:
	s_and_b64 s[12:13], s[40:41], exec
.LBB1699_275:
	s_or_b64 exec, exec, s[38:39]
	v_cmp_gt_u32_e32 vcc, s52, v30
	s_and_saveexec_b64 s[38:39], vcc
	s_cbranch_execz .LBB1699_286
; %bb.276:
	s_andn2_b64 vcc, exec, s[6:7]
	s_mov_b64 s[40:41], 0
	s_cbranch_vccnz .LBB1699_285
; %bb.277:
	v_mul_lo_u32 v18, v7, s26
	v_mul_lo_u32 v19, v6, s27
	s_waitcnt vmcnt(0) lgkmcnt(1)
	v_mad_u64_u32 v[16:17], s[14:15], v6, s26, 0
	v_add3_u32 v17, v17, v19, v18
	v_mul_lo_u32 v18, v9, s26
	v_mul_lo_u32 v19, v8, s27
	v_mad_u64_u32 v[20:21], s[14:15], v8, s26, 0
	v_add3_u32 v21, v21, v19, v18
	v_lshl_add_u64 v[18:19], v[16:17], 3, s[28:29]
	v_lshl_add_u64 v[16:17], v[20:21], 3, s[28:29]
	global_load_dwordx2 v[20:21], v[18:19], off
	global_load_dwordx2 v[22:23], v[16:17], off
	s_mov_b64 s[40:41], -1
	s_waitcnt vmcnt(0)
	v_cmp_eq_u64_e32 vcc, v[20:21], v[22:23]
	s_and_saveexec_b64 s[14:15], vcc
	s_cbranch_execz .LBB1699_284
; %bb.278:
	s_add_u32 s40, s26, -1
	v_lshl_add_u64 v[16:17], v[16:17], 0, 8
	v_lshl_add_u64 v[18:19], v[18:19], 0, 8
	s_addc_u32 s41, s27, -1
	s_mov_b64 s[42:43], 0
	s_mov_b64 s[46:47], 0
                                        ; implicit-def: $sgpr44_sgpr45
	s_branch .LBB1699_281
.LBB1699_279:                           ;   in Loop: Header=BB1699_281 Depth=1
	global_load_dwordx2 v[20:21], v[18:19], off
	global_load_dwordx2 v[22:23], v[16:17], off
	s_add_u32 s46, s46, 1
	s_addc_u32 s47, s47, 0
	s_andn2_b64 s[44:45], s[44:45], exec
	v_lshl_add_u64 v[16:17], v[16:17], 0, 8
	v_lshl_add_u64 v[18:19], v[18:19], 0, 8
	s_waitcnt vmcnt(0)
	v_cmp_ne_u64_e32 vcc, v[20:21], v[22:23]
	s_and_b64 s[48:49], vcc, exec
	s_or_b64 s[44:45], s[44:45], s[48:49]
.LBB1699_280:                           ;   in Loop: Header=BB1699_281 Depth=1
	s_and_b64 s[48:49], exec, s[44:45]
	s_or_b64 s[42:43], s[48:49], s[42:43]
	v_mov_b64_e32 v[20:21], s[46:47]
	s_andn2_b64 exec, exec, s[42:43]
	s_cbranch_execz .LBB1699_283
.LBB1699_281:                           ; =>This Inner Loop Header: Depth=1
	s_or_b64 s[44:45], s[44:45], exec
	s_cmp_eq_u64 s[40:41], s[46:47]
	s_cbranch_scc0 .LBB1699_279
; %bb.282:                              ;   in Loop: Header=BB1699_281 Depth=1
                                        ; implicit-def: $vgpr16_vgpr17
                                        ; implicit-def: $vgpr18_vgpr19
	s_mov_b64 s[46:47], s[26:27]
	s_branch .LBB1699_280
.LBB1699_283:
	s_or_b64 exec, exec, s[42:43]
	v_cmp_gt_i64_e32 vcc, s[26:27], v[20:21]
	s_orn2_b64 s[40:41], vcc, exec
.LBB1699_284:
	s_or_b64 exec, exec, s[14:15]
.LBB1699_285:
	s_and_b64 s[14:15], s[40:41], exec
.LBB1699_286:
	s_or_b64 exec, exec, s[38:39]
	v_cmp_gt_u32_e32 vcc, s52, v26
	s_mov_b64 s[38:39], 0
	s_mov_b64 s[40:41], 0
	s_and_saveexec_b64 s[42:43], vcc
	s_cbranch_execz .LBB1699_297
; %bb.287:
	s_andn2_b64 vcc, exec, s[6:7]
	s_mov_b64 s[44:45], 0
	s_cbranch_vccnz .LBB1699_296
; %bb.288:
	v_mul_lo_u32 v18, v13, s26
	v_mul_lo_u32 v19, v12, s27
	s_waitcnt vmcnt(0) lgkmcnt(1)
	v_mad_u64_u32 v[16:17], s[40:41], v12, s26, 0
	v_add3_u32 v17, v17, v19, v18
	v_mul_lo_u32 v18, v7, s26
	v_mul_lo_u32 v19, v6, s27
	v_mad_u64_u32 v[20:21], s[40:41], v6, s26, 0
	v_add3_u32 v21, v21, v19, v18
	v_lshl_add_u64 v[18:19], v[16:17], 3, s[28:29]
	v_lshl_add_u64 v[16:17], v[20:21], 3, s[28:29]
	global_load_dwordx2 v[20:21], v[18:19], off
	global_load_dwordx2 v[22:23], v[16:17], off
	s_mov_b64 s[44:45], -1
	s_waitcnt vmcnt(0)
	v_cmp_eq_u64_e32 vcc, v[20:21], v[22:23]
	s_and_saveexec_b64 s[40:41], vcc
	s_cbranch_execz .LBB1699_295
; %bb.289:
	s_add_u32 s44, s26, -1
	v_lshl_add_u64 v[16:17], v[16:17], 0, 8
	v_lshl_add_u64 v[18:19], v[18:19], 0, 8
	s_addc_u32 s45, s27, -1
	s_mov_b64 s[46:47], 0
	s_mov_b64 s[50:51], 0
                                        ; implicit-def: $sgpr48_sgpr49
	s_branch .LBB1699_292
.LBB1699_290:                           ;   in Loop: Header=BB1699_292 Depth=1
	global_load_dwordx2 v[20:21], v[18:19], off
	global_load_dwordx2 v[22:23], v[16:17], off
	s_add_u32 s50, s50, 1
	s_addc_u32 s51, s51, 0
	s_andn2_b64 s[48:49], s[48:49], exec
	v_lshl_add_u64 v[16:17], v[16:17], 0, 8
	v_lshl_add_u64 v[18:19], v[18:19], 0, 8
	s_waitcnt vmcnt(0)
	v_cmp_ne_u64_e32 vcc, v[20:21], v[22:23]
	s_and_b64 s[54:55], vcc, exec
	s_or_b64 s[48:49], s[48:49], s[54:55]
.LBB1699_291:                           ;   in Loop: Header=BB1699_292 Depth=1
	s_and_b64 s[54:55], exec, s[48:49]
	s_or_b64 s[46:47], s[54:55], s[46:47]
	v_mov_b64_e32 v[20:21], s[50:51]
	s_andn2_b64 exec, exec, s[46:47]
	s_cbranch_execz .LBB1699_294
.LBB1699_292:                           ; =>This Inner Loop Header: Depth=1
	s_or_b64 s[48:49], s[48:49], exec
	s_cmp_eq_u64 s[44:45], s[50:51]
	s_cbranch_scc0 .LBB1699_290
; %bb.293:                              ;   in Loop: Header=BB1699_292 Depth=1
                                        ; implicit-def: $vgpr16_vgpr17
                                        ; implicit-def: $vgpr18_vgpr19
	s_mov_b64 s[50:51], s[26:27]
	s_branch .LBB1699_291
.LBB1699_294:
	s_or_b64 exec, exec, s[46:47]
	v_cmp_gt_i64_e32 vcc, s[26:27], v[20:21]
	s_orn2_b64 s[44:45], vcc, exec
.LBB1699_295:
	s_or_b64 exec, exec, s[40:41]
.LBB1699_296:
	s_and_b64 s[40:41], s[44:45], exec
.LBB1699_297:
	s_or_b64 exec, exec, s[42:43]
	v_cmp_gt_u32_e32 vcc, s52, v27
	s_and_saveexec_b64 s[42:43], vcc
	s_cbranch_execz .LBB1699_308
; %bb.298:
	s_andn2_b64 vcc, exec, s[6:7]
	s_mov_b64 s[44:45], 0
	s_cbranch_vccnz .LBB1699_307
; %bb.299:
	v_mul_lo_u32 v18, v11, s26
	v_mul_lo_u32 v19, v10, s27
	s_waitcnt vmcnt(0) lgkmcnt(1)
	v_mad_u64_u32 v[16:17], s[38:39], v10, s26, 0
	v_add3_u32 v17, v17, v19, v18
	v_mul_lo_u32 v18, v13, s26
	v_mul_lo_u32 v19, v12, s27
	v_mad_u64_u32 v[20:21], s[38:39], v12, s26, 0
	v_add3_u32 v21, v21, v19, v18
	v_lshl_add_u64 v[18:19], v[16:17], 3, s[28:29]
	v_lshl_add_u64 v[16:17], v[20:21], 3, s[28:29]
	global_load_dwordx2 v[20:21], v[18:19], off
	global_load_dwordx2 v[22:23], v[16:17], off
	s_mov_b64 s[44:45], -1
	s_waitcnt vmcnt(0)
	v_cmp_eq_u64_e32 vcc, v[20:21], v[22:23]
	s_and_saveexec_b64 s[38:39], vcc
	s_cbranch_execz .LBB1699_306
; %bb.300:
	s_add_u32 s44, s26, -1
	v_lshl_add_u64 v[16:17], v[16:17], 0, 8
	v_lshl_add_u64 v[18:19], v[18:19], 0, 8
	s_addc_u32 s45, s27, -1
	s_mov_b64 s[46:47], 0
	s_mov_b64 s[50:51], 0
                                        ; implicit-def: $sgpr48_sgpr49
	s_branch .LBB1699_303
.LBB1699_301:                           ;   in Loop: Header=BB1699_303 Depth=1
	global_load_dwordx2 v[20:21], v[18:19], off
	global_load_dwordx2 v[22:23], v[16:17], off
	s_add_u32 s50, s50, 1
	s_addc_u32 s51, s51, 0
	s_andn2_b64 s[48:49], s[48:49], exec
	v_lshl_add_u64 v[16:17], v[16:17], 0, 8
	v_lshl_add_u64 v[18:19], v[18:19], 0, 8
	s_waitcnt vmcnt(0)
	v_cmp_ne_u64_e32 vcc, v[20:21], v[22:23]
	s_and_b64 s[54:55], vcc, exec
	s_or_b64 s[48:49], s[48:49], s[54:55]
.LBB1699_302:                           ;   in Loop: Header=BB1699_303 Depth=1
	s_and_b64 s[54:55], exec, s[48:49]
	s_or_b64 s[46:47], s[54:55], s[46:47]
	v_mov_b64_e32 v[20:21], s[50:51]
	s_andn2_b64 exec, exec, s[46:47]
	s_cbranch_execz .LBB1699_305
.LBB1699_303:                           ; =>This Inner Loop Header: Depth=1
	s_or_b64 s[48:49], s[48:49], exec
	s_cmp_eq_u64 s[44:45], s[50:51]
	s_cbranch_scc0 .LBB1699_301
; %bb.304:                              ;   in Loop: Header=BB1699_303 Depth=1
                                        ; implicit-def: $vgpr16_vgpr17
                                        ; implicit-def: $vgpr18_vgpr19
	s_mov_b64 s[50:51], s[26:27]
	s_branch .LBB1699_302
.LBB1699_305:
	s_or_b64 exec, exec, s[46:47]
	v_cmp_gt_i64_e32 vcc, s[26:27], v[20:21]
	s_orn2_b64 s[44:45], vcc, exec
.LBB1699_306:
	s_or_b64 exec, exec, s[38:39]
.LBB1699_307:
	s_and_b64 s[38:39], s[44:45], exec
.LBB1699_308:
	s_or_b64 exec, exec, s[42:43]
	s_waitcnt vmcnt(0) lgkmcnt(1)
	v_cndmask_b32_e64 v17, 0, 1, s[14:15]
	v_cndmask_b32_e64 v16, 0, 1, s[40:41]
	;; [unrolled: 1-line block ×3, first 2 shown]
	v_lshlrev_b16_e32 v17, 8, v17
	v_cndmask_b32_e64 v25, 0, 1, s[12:13]
	v_cndmask_b32_e64 v18, 0, 1, s[38:39]
	v_or_b32_sdwa v16, v16, v17 dst_sel:WORD_1 dst_unused:UNUSED_PAD src0_sel:DWORD src1_sel:DWORD
	v_lshlrev_b16_e32 v17, 8, v34
	v_lshlrev_b16_e32 v18, 8, v18
	v_or_b32_e32 v17, v25, v17
	v_or_b32_e32 v18, 1, v18
	v_and_b32_e32 v17, 0xffff, v17
	v_cndmask_b32_e64 v35, 0, 1, s[4:5]
	v_or_b32_sdwa v16, v18, v16 dst_sel:DWORD dst_unused:UNUSED_PAD src0_sel:WORD_0 src1_sel:DWORD
	v_lshl_or_b32 v17, v35, 16, v17
	s_waitcnt lgkmcnt(0)
	s_barrier
	s_waitcnt lgkmcnt(0)
                                        ; implicit-def: $sgpr12_sgpr13
                                        ; implicit-def: $vgpr20
	s_and_saveexec_b64 s[4:5], s[2:3]
	s_cbranch_execz .LBB1699_321
; %bb.309:
	v_cmp_gt_u32_e32 vcc, s52, v1
	s_mov_b32 s38, 0x3020104
	s_mov_b64 s[10:11], 0
	s_and_saveexec_b64 s[2:3], vcc
	s_cbranch_execz .LBB1699_320
; %bb.310:
	s_andn2_b64 vcc, exec, s[6:7]
	s_cbranch_vccnz .LBB1699_319
; %bb.311:
	v_add_u32_e32 v17, -8, v24
	ds_read_b64 v[18:19], v17
	v_mul_lo_u32 v17, v11, s26
	v_mad_u64_u32 v[22:23], s[6:7], v10, s26, 0
	s_mov_b64 s[10:11], -1
	s_waitcnt lgkmcnt(0)
	v_mul_lo_u32 v20, v19, s26
	v_mul_lo_u32 v21, v18, s27
	v_mad_u64_u32 v[18:19], s[6:7], v18, s26, 0
	v_add3_u32 v19, v19, v21, v20
	v_mul_lo_u32 v20, v10, s27
	v_add3_u32 v23, v23, v20, v17
	v_lshl_add_u64 v[20:21], v[18:19], 3, s[28:29]
	v_lshl_add_u64 v[18:19], v[22:23], 3, s[28:29]
	global_load_dwordx2 v[22:23], v[20:21], off
	global_load_dwordx2 v[32:33], v[18:19], off
	s_waitcnt vmcnt(0)
	v_cmp_eq_u64_e32 vcc, v[22:23], v[32:33]
	s_and_saveexec_b64 s[6:7], vcc
	s_cbranch_execz .LBB1699_318
; %bb.312:
	s_add_u32 s10, s26, -1
	v_lshl_add_u64 v[18:19], v[18:19], 0, 8
	v_lshl_add_u64 v[20:21], v[20:21], 0, 8
	s_addc_u32 s11, s27, -1
	s_mov_b64 s[12:13], 0
	s_mov_b64 s[28:29], 0
                                        ; implicit-def: $sgpr14_sgpr15
	s_branch .LBB1699_315
.LBB1699_313:                           ;   in Loop: Header=BB1699_315 Depth=1
	global_load_dwordx2 v[22:23], v[20:21], off
	global_load_dwordx2 v[32:33], v[18:19], off
	s_add_u32 s28, s28, 1
	s_addc_u32 s29, s29, 0
	s_andn2_b64 s[14:15], s[14:15], exec
	v_lshl_add_u64 v[18:19], v[18:19], 0, 8
	v_lshl_add_u64 v[20:21], v[20:21], 0, 8
	s_waitcnt vmcnt(0)
	v_cmp_ne_u64_e32 vcc, v[22:23], v[32:33]
	s_and_b64 s[40:41], vcc, exec
	s_or_b64 s[14:15], s[14:15], s[40:41]
.LBB1699_314:                           ;   in Loop: Header=BB1699_315 Depth=1
	s_and_b64 s[40:41], exec, s[14:15]
	s_or_b64 s[12:13], s[40:41], s[12:13]
	v_mov_b64_e32 v[22:23], s[28:29]
	s_andn2_b64 exec, exec, s[12:13]
	s_cbranch_execz .LBB1699_317
.LBB1699_315:                           ; =>This Inner Loop Header: Depth=1
	s_or_b64 s[14:15], s[14:15], exec
	s_cmp_eq_u64 s[10:11], s[28:29]
	s_cbranch_scc0 .LBB1699_313
; %bb.316:                              ;   in Loop: Header=BB1699_315 Depth=1
                                        ; implicit-def: $vgpr18_vgpr19
                                        ; implicit-def: $vgpr20_vgpr21
	s_mov_b64 s[28:29], s[26:27]
	s_branch .LBB1699_314
.LBB1699_317:
	s_or_b64 exec, exec, s[12:13]
	v_cmp_gt_i64_e32 vcc, s[26:27], v[22:23]
	s_orn2_b64 s[10:11], vcc, exec
.LBB1699_318:
	s_or_b64 exec, exec, s[6:7]
.LBB1699_319:
	s_and_b64 s[10:11], s[10:11], exec
.LBB1699_320:
	s_or_b64 exec, exec, s[2:3]
	v_perm_b32 v20, v16, v16, s38
	s_and_b64 s[12:13], s[10:11], exec
	s_or_b64 s[8:9], s[8:9], exec
                                        ; implicit-def: $vgpr16_vgpr17
.LBB1699_321:
	s_or_b64 exec, exec, s[4:5]
.LBB1699_322:
	s_and_saveexec_b64 s[2:3], s[8:9]
	s_cbranch_execz .LBB1699_324
; %bb.323:
	s_waitcnt vmcnt(0) lgkmcnt(0)
	v_lshlrev_b16_e32 v17, 8, v34
	v_and_b32_e32 v18, 0xff, v35
	v_or_b32_sdwa v17, v25, v17 dst_sel:DWORD dst_unused:UNUSED_PAD src0_sel:BYTE_0 src1_sel:DWORD
	v_lshlrev_b32_e32 v18, 16, v18
	s_movk_i32 s4, 0xff
	v_or_b32_sdwa v17, v17, v18 dst_sel:DWORD dst_unused:UNUSED_PAD src0_sel:WORD_0 src1_sel:DWORD
	v_lshrrev_b32_e32 v18, 24, v20
	v_lshlrev_b16_e32 v18, 8, v18
	v_and_b32_sdwa v19, v20, s4 dst_sel:DWORD dst_unused:UNUSED_PAD src0_sel:WORD_1 src1_sel:DWORD
	v_or_b32_sdwa v18, v19, v18 dst_sel:WORD_1 dst_unused:UNUSED_PAD src0_sel:DWORD src1_sel:DWORD
	v_mov_b32_e32 v19, 8
	v_cndmask_b32_e64 v16, 0, 1, s[12:13]
	v_lshrrev_b32_sdwa v19, v19, v20 dst_sel:BYTE_1 dst_unused:UNUSED_PAD src0_sel:DWORD src1_sel:DWORD
	s_nop 0
	v_or_b32_e32 v16, v16, v19
	v_or_b32_sdwa v16, v16, v18 dst_sel:DWORD dst_unused:UNUSED_PAD src0_sel:WORD_0 src1_sel:DWORD
.LBB1699_324:
	s_or_b64 exec, exec, s[2:3]
	s_andn2_b64 vcc, exec, s[0:1]
	s_cbranch_vccnz .LBB1699_326
; %bb.325:
	s_waitcnt vmcnt(0) lgkmcnt(0)
	v_and_b32_e32 v18, 0xffff0000, v16
	v_cmp_gt_u32_e32 vcc, s52, v1
	s_mov_b32 s0, 0x40c0100
	s_nop 0
	v_cndmask_b32_e32 v1, v18, v16, vcc
	v_and_b32_e32 v1, 0xffff00ff, v1
	v_cmp_gt_u32_e32 vcc, s52, v27
	s_nop 1
	v_cndmask_b32_e32 v1, v1, v16, vcc
	v_lshrrev_b32_e32 v18, 24, v1
	v_perm_b32 v1, v18, v1, s0
	v_cmp_gt_u32_e32 vcc, s52, v26
	v_and_b32_e32 v18, 0xffffff00, v17
	s_nop 0
	v_cndmask_b32_e32 v1, v1, v16, vcc
	v_and_b32_e32 v1, 0xffffff, v1
	v_cmp_gt_u32_e32 vcc, s52, v30
	s_nop 1
	v_cndmask_b32_e32 v1, v1, v16, vcc
	v_cmp_gt_u32_e32 vcc, s52, v28
	s_nop 1
	v_cndmask_b32_e32 v18, v18, v17, vcc
	v_and_b32_e32 v18, 0xffff00ff, v18
	v_cndmask_b32_e32 v1, v1, v16, vcc
	v_cmp_gt_u32_e32 vcc, s52, v31
	s_nop 1
	v_cndmask_b32_e32 v18, v18, v17, vcc
	v_lshrrev_b32_e32 v19, 24, v18
	v_cndmask_b32_e32 v1, v1, v16, vcc
	v_perm_b32 v18, v19, v18, s0
	v_cmp_gt_u32_e32 vcc, s52, v29
	s_mov_b32 s0, 0x3020104
	s_nop 0
	v_cndmask_b32_e32 v1, v1, v16, vcc
	v_cndmask_b32_e32 v16, v18, v17, vcc
	v_mov_b32_e32 v17, 8
	v_lshrrev_b32_sdwa v17, v17, v16 dst_sel:BYTE_1 dst_unused:UNUSED_PAD src0_sel:DWORD src1_sel:DWORD
	s_nop 0
	v_or_b32_sdwa v17, v16, v17 dst_sel:DWORD dst_unused:UNUSED_PAD src0_sel:BYTE_0 src1_sel:DWORD
	v_and_b32_e32 v17, 0xffff, v17
	v_bfe_u32 v16, v16, 16, 8
	v_lshl_or_b32 v17, v16, 16, v17
	v_perm_b32 v16, v1, v1, s0
.LBB1699_326:
	s_waitcnt vmcnt(0) lgkmcnt(0)
	v_and_b32_e32 v1, 0xff, v16
	v_bfe_u32 v29, v16, 8, 8
	v_bfe_u32 v31, v16, 16, 8
	v_alignbit_b32 v18, v17, v16, 24
	v_and_b32_e32 v33, 0xff, v18
	v_and_b32_e32 v35, 0xff, v17
	v_add3_u32 v19, v29, v1, v31
	v_bfe_u32 v36, v17, 8, 8
	v_bfe_u32 v18, v17, 16, 8
	v_add3_u32 v19, v19, v33, v35
	v_add3_u32 v39, v19, v36, v18
	v_mbcnt_lo_u32_b32 v18, -1, 0
	v_mbcnt_hi_u32_b32 v37, -1, v18
	v_and_b32_e32 v18, 15, v37
	v_cmp_eq_u32_e64 s[14:15], 0, v18
	v_cmp_lt_u32_e64 s[12:13], 1, v18
	v_cmp_lt_u32_e64 s[10:11], 3, v18
	;; [unrolled: 1-line block ×3, first 2 shown]
	v_and_b32_e32 v18, 16, v37
	v_cmp_eq_u32_e64 s[6:7], 0, v18
	v_or_b32_e32 v18, 63, v0
	v_cmp_lt_u32_e64 s[2:3], 31, v37
	v_lshrrev_b32_e32 v38, 6, v0
	v_cmp_eq_u32_e64 s[4:5], v18, v0
	s_and_b64 vcc, exec, s[16:17]
	s_barrier
	s_cbranch_vccz .LBB1699_353
; %bb.327:
	v_mov_b32_dpp v18, v39 row_shr:1 row_mask:0xf bank_mask:0xf
	v_cndmask_b32_e64 v18, v18, 0, s[14:15]
	v_add_u32_e32 v18, v18, v39
	s_nop 1
	v_mov_b32_dpp v19, v18 row_shr:2 row_mask:0xf bank_mask:0xf
	v_cndmask_b32_e64 v19, 0, v19, s[12:13]
	v_add_u32_e32 v18, v18, v19
	s_nop 1
	;; [unrolled: 4-line block ×4, first 2 shown]
	v_mov_b32_dpp v19, v18 row_bcast:15 row_mask:0xf bank_mask:0xf
	v_cndmask_b32_e64 v19, v19, 0, s[6:7]
	v_add_u32_e32 v18, v18, v19
	s_nop 1
	v_mov_b32_dpp v19, v18 row_bcast:31 row_mask:0xf bank_mask:0xf
	v_cndmask_b32_e64 v19, 0, v19, s[2:3]
	v_add_u32_e32 v18, v18, v19
	s_and_saveexec_b64 s[0:1], s[4:5]
	s_cbranch_execz .LBB1699_329
; %bb.328:
	v_lshlrev_b32_e32 v19, 2, v38
	ds_write_b32 v19, v18
.LBB1699_329:
	s_or_b64 exec, exec, s[0:1]
	v_cmp_gt_u32_e32 vcc, 8, v0
	s_waitcnt lgkmcnt(0)
	s_barrier
	s_and_saveexec_b64 s[0:1], vcc
	s_cbranch_execz .LBB1699_331
; %bb.330:
	v_lshlrev_b32_e32 v19, 2, v0
	ds_read_b32 v20, v19
	v_and_b32_e32 v21, 7, v37
	v_cmp_ne_u32_e32 vcc, 0, v21
	s_waitcnt lgkmcnt(0)
	v_mov_b32_dpp v22, v20 row_shr:1 row_mask:0xf bank_mask:0xf
	v_cndmask_b32_e32 v22, 0, v22, vcc
	v_add_u32_e32 v20, v22, v20
	v_cmp_lt_u32_e32 vcc, 1, v21
	s_nop 0
	v_mov_b32_dpp v22, v20 row_shr:2 row_mask:0xf bank_mask:0xf
	v_cndmask_b32_e32 v22, 0, v22, vcc
	v_add_u32_e32 v20, v20, v22
	v_cmp_lt_u32_e32 vcc, 3, v21
	s_nop 0
	v_mov_b32_dpp v22, v20 row_shr:4 row_mask:0xf bank_mask:0xf
	v_cndmask_b32_e32 v21, 0, v22, vcc
	v_add_u32_e32 v20, v20, v21
	ds_write_b32 v19, v20
.LBB1699_331:
	s_or_b64 exec, exec, s[0:1]
	v_cmp_gt_u32_e32 vcc, 64, v0
	v_cmp_lt_u32_e64 s[0:1], 63, v0
	s_waitcnt lgkmcnt(0)
	s_barrier
	s_waitcnt lgkmcnt(0)
                                        ; implicit-def: $vgpr28
	s_and_saveexec_b64 s[16:17], s[0:1]
	s_cbranch_execz .LBB1699_333
; %bb.332:
	v_lshl_add_u32 v19, v38, 2, -4
	ds_read_b32 v28, v19
	s_waitcnt lgkmcnt(0)
	v_add_u32_e32 v18, v28, v18
.LBB1699_333:
	s_or_b64 exec, exec, s[16:17]
	v_add_u32_e32 v19, -1, v37
	v_and_b32_e32 v20, 64, v37
	v_cmp_lt_i32_e64 s[0:1], v19, v20
	v_cmp_eq_u32_e64 s[16:17], 0, v37
	s_nop 0
	v_cndmask_b32_e64 v19, v19, v37, s[0:1]
	v_lshlrev_b32_e32 v19, 2, v19
	ds_bpermute_b32 v30, v19, v18
	s_and_saveexec_b64 s[0:1], vcc
	s_cbranch_execz .LBB1699_352
; %bb.334:
	v_mov_b32_e32 v25, 0
	ds_read_b32 v18, v25 offset:28
	s_and_saveexec_b64 s[26:27], s[16:17]
	s_cbranch_execz .LBB1699_336
; %bb.335:
	s_add_i32 s28, s33, 64
	s_mov_b32 s29, 0
	s_lshl_b64 s[28:29], s[28:29], 3
	s_add_u32 s28, s30, s28
	v_mov_b32_e32 v19, 1
	s_addc_u32 s29, s31, s29
	s_waitcnt lgkmcnt(0)
	global_store_dwordx2 v25, v[18:19], s[28:29] sc1
.LBB1699_336:
	s_or_b64 exec, exec, s[26:27]
	v_xad_u32 v20, v37, -1, s33
	v_add_u32_e32 v24, 64, v20
	v_lshl_add_u64 v[26:27], v[24:25], 3, s[30:31]
	global_load_dwordx2 v[22:23], v[26:27], off sc1
	s_waitcnt vmcnt(0)
	v_cmp_eq_u16_sdwa s[28:29], v23, v25 src0_sel:BYTE_0 src1_sel:DWORD
	s_and_saveexec_b64 s[26:27], s[28:29]
	s_cbranch_execz .LBB1699_340
; %bb.337:
	s_mov_b64 s[28:29], 0
	v_mov_b32_e32 v19, 0
.LBB1699_338:                           ; =>This Inner Loop Header: Depth=1
	global_load_dwordx2 v[22:23], v[26:27], off sc1
	s_waitcnt vmcnt(0)
	v_cmp_ne_u16_sdwa s[38:39], v23, v19 src0_sel:BYTE_0 src1_sel:DWORD
	s_or_b64 s[28:29], s[38:39], s[28:29]
	s_andn2_b64 exec, exec, s[28:29]
	s_cbranch_execnz .LBB1699_338
; %bb.339:
	s_or_b64 exec, exec, s[28:29]
.LBB1699_340:
	s_or_b64 exec, exec, s[26:27]
	v_and_b32_e32 v32, 63, v37
	v_mov_b32_e32 v19, 2
	v_cmp_ne_u32_e32 vcc, 63, v32
	v_cmp_eq_u16_sdwa s[26:27], v23, v19 src0_sel:BYTE_0 src1_sel:DWORD
	v_lshlrev_b64 v[24:25], v37, -1
	v_addc_co_u32_e32 v27, vcc, 0, v37, vcc
	v_and_b32_e32 v21, s27, v25
	v_lshlrev_b32_e32 v34, 2, v27
	v_or_b32_e32 v21, 0x80000000, v21
	ds_bpermute_b32 v27, v34, v22
	v_and_b32_e32 v26, s26, v24
	v_ffbl_b32_e32 v21, v21
	v_add_u32_e32 v21, 32, v21
	v_ffbl_b32_e32 v26, v26
	v_min_u32_e32 v21, v26, v21
	v_cmp_lt_u32_e32 vcc, v32, v21
	v_add_u32_e32 v41, 2, v32
	v_add_u32_e32 v43, 4, v32
	s_waitcnt lgkmcnt(0)
	v_cndmask_b32_e32 v26, 0, v27, vcc
	v_cmp_gt_u32_e32 vcc, 62, v32
	v_add_u32_e32 v22, v26, v22
	v_add_u32_e32 v45, 8, v32
	v_cndmask_b32_e64 v26, 0, 1, vcc
	v_lshlrev_b32_e32 v26, 1, v26
	v_add_lshl_u32 v40, v26, v37, 2
	ds_bpermute_b32 v26, v40, v22
	v_cmp_le_u32_e32 vcc, v41, v21
	v_add_u32_e32 v48, 16, v32
	v_add_u32_e32 v50, 32, v32
	s_waitcnt lgkmcnt(0)
	v_cndmask_b32_e32 v26, 0, v26, vcc
	v_cmp_gt_u32_e32 vcc, 60, v32
	v_add_u32_e32 v22, v22, v26
	s_nop 0
	v_cndmask_b32_e64 v26, 0, 1, vcc
	v_lshlrev_b32_e32 v26, 2, v26
	v_add_lshl_u32 v42, v26, v37, 2
	ds_bpermute_b32 v26, v42, v22
	v_cmp_le_u32_e32 vcc, v43, v21
	s_waitcnt lgkmcnt(0)
	s_nop 0
	v_cndmask_b32_e32 v26, 0, v26, vcc
	v_cmp_gt_u32_e32 vcc, 56, v32
	v_add_u32_e32 v22, v22, v26
	s_nop 0
	v_cndmask_b32_e64 v26, 0, 1, vcc
	v_lshlrev_b32_e32 v26, 3, v26
	v_add_lshl_u32 v44, v26, v37, 2
	ds_bpermute_b32 v26, v44, v22
	v_cmp_le_u32_e32 vcc, v45, v21
	s_waitcnt lgkmcnt(0)
	s_nop 0
	;; [unrolled: 11-line block ×4, first 2 shown]
	v_cndmask_b32_e32 v21, 0, v26, vcc
	v_add_u32_e32 v22, v22, v21
	v_mov_b32_e32 v21, 0
	s_branch .LBB1699_342
.LBB1699_341:                           ;   in Loop: Header=BB1699_342 Depth=1
	s_or_b64 exec, exec, s[26:27]
	v_cmp_eq_u16_sdwa s[26:27], v23, v19 src0_sel:BYTE_0 src1_sel:DWORD
	ds_bpermute_b32 v51, v34, v22
	v_subrev_u32_e32 v20, 64, v20
	v_and_b32_e32 v26, s27, v25
	v_or_b32_e32 v26, 0x80000000, v26
	v_and_b32_e32 v27, s26, v24
	v_ffbl_b32_e32 v26, v26
	v_add_u32_e32 v26, 32, v26
	v_ffbl_b32_e32 v27, v27
	v_min_u32_e32 v26, v27, v26
	v_cmp_lt_u32_e32 vcc, v32, v26
	s_waitcnt lgkmcnt(0)
	s_nop 0
	v_cndmask_b32_e32 v27, 0, v51, vcc
	v_add_u32_e32 v22, v27, v22
	ds_bpermute_b32 v27, v40, v22
	v_cmp_le_u32_e32 vcc, v41, v26
	s_waitcnt lgkmcnt(0)
	s_nop 0
	v_cndmask_b32_e32 v27, 0, v27, vcc
	v_add_u32_e32 v22, v22, v27
	ds_bpermute_b32 v27, v42, v22
	v_cmp_le_u32_e32 vcc, v43, v26
	;; [unrolled: 6-line block ×5, first 2 shown]
	s_waitcnt lgkmcnt(0)
	s_nop 0
	v_cndmask_b32_e32 v26, 0, v27, vcc
	v_add3_u32 v22, v26, v46, v22
.LBB1699_342:                           ; =>This Loop Header: Depth=1
                                        ;     Child Loop BB1699_345 Depth 2
	v_cmp_ne_u16_sdwa s[26:27], v23, v19 src0_sel:BYTE_0 src1_sel:DWORD
	v_mov_b32_e32 v46, v22
	s_nop 0
	v_cndmask_b32_e64 v23, 0, 1, s[26:27]
	;;#ASMSTART
	;;#ASMEND
	s_nop 0
	v_cmp_ne_u32_e32 vcc, 0, v23
	s_cmp_lg_u64 vcc, exec
	s_cbranch_scc1 .LBB1699_347
; %bb.343:                              ;   in Loop: Header=BB1699_342 Depth=1
	v_lshl_add_u64 v[26:27], v[20:21], 3, s[30:31]
	global_load_dwordx2 v[22:23], v[26:27], off sc1
	s_waitcnt vmcnt(0)
	v_cmp_eq_u16_sdwa s[28:29], v23, v21 src0_sel:BYTE_0 src1_sel:DWORD
	s_and_saveexec_b64 s[26:27], s[28:29]
	s_cbranch_execz .LBB1699_341
; %bb.344:                              ;   in Loop: Header=BB1699_342 Depth=1
	s_mov_b64 s[28:29], 0
.LBB1699_345:                           ;   Parent Loop BB1699_342 Depth=1
                                        ; =>  This Inner Loop Header: Depth=2
	global_load_dwordx2 v[22:23], v[26:27], off sc1
	s_waitcnt vmcnt(0)
	v_cmp_ne_u16_sdwa s[38:39], v23, v21 src0_sel:BYTE_0 src1_sel:DWORD
	s_or_b64 s[28:29], s[38:39], s[28:29]
	s_andn2_b64 exec, exec, s[28:29]
	s_cbranch_execnz .LBB1699_345
; %bb.346:                              ;   in Loop: Header=BB1699_342 Depth=1
	s_or_b64 exec, exec, s[28:29]
	s_branch .LBB1699_341
.LBB1699_347:                           ;   in Loop: Header=BB1699_342 Depth=1
                                        ; implicit-def: $vgpr22
                                        ; implicit-def: $vgpr23
	s_cbranch_execz .LBB1699_342
; %bb.348:
	s_and_saveexec_b64 s[26:27], s[16:17]
	s_cbranch_execz .LBB1699_350
; %bb.349:
	s_add_i32 s28, s33, 64
	s_mov_b32 s29, 0
	s_lshl_b64 s[28:29], s[28:29], 3
	s_add_u32 s28, s30, s28
	v_add_u32_e32 v20, v46, v18
	v_mov_b32_e32 v21, 2
	s_addc_u32 s29, s31, s29
	v_mov_b32_e32 v19, 0
	global_store_dwordx2 v19, v[20:21], s[28:29] sc1
	s_movk_i32 s28, 0x7000
	v_add_u32_e64 v19, s28, 0
	ds_write2_b32 v19, v18, v46 offset1:2
.LBB1699_350:
	s_or_b64 exec, exec, s[26:27]
	s_and_b64 exec, exec, s[18:19]
	s_cbranch_execz .LBB1699_352
; %bb.351:
	v_mov_b32_e32 v18, 0
	ds_write_b32 v18, v46 offset:28
.LBB1699_352:
	s_or_b64 exec, exec, s[0:1]
	v_mov_b32_e32 v18, 0
	s_waitcnt lgkmcnt(0)
	s_barrier
	ds_read_b32 v18, v18 offset:28
	v_cndmask_b32_e64 v19, v30, v28, s[16:17]
	v_cndmask_b32_e64 v19, v19, 0, s[18:19]
	s_movk_i32 s0, 0x7000
	s_waitcnt lgkmcnt(0)
	v_add_u32_e32 v34, v18, v19
	v_add_u32_e32 v32, v34, v1
	v_add_u32_e64 v18, s0, 0
	v_add_u32_e32 v30, v32, v29
	s_barrier
	ds_read2_b32 v[18:19], v18 offset1:2
	v_add_u32_e32 v28, v30, v31
	v_add_u32_e32 v26, v28, v33
	;; [unrolled: 1-line block ×4, first 2 shown]
	v_lshrrev_b64 v[20:21], 24, v[16:17]
	s_branch .LBB1699_363
.LBB1699_353:
                                        ; implicit-def: $vgpr22
                                        ; implicit-def: $vgpr24
                                        ; implicit-def: $vgpr26
                                        ; implicit-def: $vgpr28
                                        ; implicit-def: $vgpr30
                                        ; implicit-def: $vgpr32
                                        ; implicit-def: $vgpr34
                                        ; implicit-def: $vgpr19
	v_lshrrev_b64 v[20:21], 24, v[16:17]
	s_cbranch_execz .LBB1699_363
; %bb.354:
	s_waitcnt lgkmcnt(0)
	v_mov_b32_dpp v18, v39 row_shr:1 row_mask:0xf bank_mask:0xf
	v_cndmask_b32_e64 v18, v18, 0, s[14:15]
	v_add_u32_e32 v18, v18, v39
	s_nop 1
	v_mov_b32_dpp v19, v18 row_shr:2 row_mask:0xf bank_mask:0xf
	v_cndmask_b32_e64 v19, 0, v19, s[12:13]
	v_add_u32_e32 v18, v18, v19
	s_nop 1
	;; [unrolled: 4-line block ×4, first 2 shown]
	v_mov_b32_dpp v19, v18 row_bcast:15 row_mask:0xf bank_mask:0xf
	v_cndmask_b32_e64 v19, v19, 0, s[6:7]
	v_add_u32_e32 v18, v18, v19
	s_nop 1
	v_mov_b32_dpp v19, v18 row_bcast:31 row_mask:0xf bank_mask:0xf
	v_cndmask_b32_e64 v19, 0, v19, s[2:3]
	v_add_u32_e32 v18, v18, v19
	s_and_saveexec_b64 s[0:1], s[4:5]
	s_cbranch_execz .LBB1699_356
; %bb.355:
	v_lshlrev_b32_e32 v19, 2, v38
	ds_write_b32 v19, v18
.LBB1699_356:
	s_or_b64 exec, exec, s[0:1]
	v_cmp_gt_u32_e32 vcc, 8, v0
	s_waitcnt lgkmcnt(0)
	s_barrier
	s_and_saveexec_b64 s[0:1], vcc
	s_cbranch_execz .LBB1699_358
; %bb.357:
	v_lshlrev_b32_e32 v19, 2, v0
	ds_read_b32 v21, v19
	v_and_b32_e32 v22, 7, v37
	v_cmp_ne_u32_e32 vcc, 0, v22
	s_waitcnt lgkmcnt(0)
	v_mov_b32_dpp v23, v21 row_shr:1 row_mask:0xf bank_mask:0xf
	v_cndmask_b32_e32 v23, 0, v23, vcc
	v_add_u32_e32 v21, v23, v21
	v_cmp_lt_u32_e32 vcc, 1, v22
	s_nop 0
	v_mov_b32_dpp v23, v21 row_shr:2 row_mask:0xf bank_mask:0xf
	v_cndmask_b32_e32 v23, 0, v23, vcc
	v_add_u32_e32 v21, v21, v23
	v_cmp_lt_u32_e32 vcc, 3, v22
	s_nop 0
	v_mov_b32_dpp v23, v21 row_shr:4 row_mask:0xf bank_mask:0xf
	v_cndmask_b32_e32 v22, 0, v23, vcc
	v_add_u32_e32 v21, v21, v22
	ds_write_b32 v19, v21
.LBB1699_358:
	s_or_b64 exec, exec, s[0:1]
	v_cmp_lt_u32_e32 vcc, 63, v0
	v_mov_b32_e32 v19, 0
	v_mov_b32_e32 v21, 0
	s_waitcnt lgkmcnt(0)
	s_barrier
	s_and_saveexec_b64 s[0:1], vcc
	s_cbranch_execz .LBB1699_360
; %bb.359:
	v_lshl_add_u32 v21, v38, 2, -4
	ds_read_b32 v21, v21
.LBB1699_360:
	s_or_b64 exec, exec, s[0:1]
	v_add_u32_e32 v22, -1, v37
	v_and_b32_e32 v23, 64, v37
	v_cmp_lt_i32_e32 vcc, v22, v23
	s_waitcnt lgkmcnt(0)
	v_add_u32_e32 v18, v21, v18
	v_cndmask_b32_e32 v22, v22, v37, vcc
	v_lshlrev_b32_e32 v22, 2, v22
	ds_bpermute_b32 v22, v22, v18
	ds_read_b32 v18, v19 offset:28
	s_and_saveexec_b64 s[0:1], s[18:19]
	s_cbranch_execz .LBB1699_362
; %bb.361:
	v_mov_b32_e32 v23, 0
	v_mov_b32_e32 v19, 2
	s_waitcnt lgkmcnt(0)
	global_store_dwordx2 v23, v[18:19], s[30:31] offset:512 sc1
.LBB1699_362:
	s_or_b64 exec, exec, s[0:1]
	v_cmp_eq_u32_e32 vcc, 0, v37
	v_mov_b32_e32 v19, 0
	s_waitcnt lgkmcnt(0)
	v_cndmask_b32_e32 v21, v22, v21, vcc
	v_cndmask_b32_e64 v34, v21, 0, s[18:19]
	v_add_u32_e32 v32, v34, v1
	v_add_u32_e32 v30, v32, v29
	;; [unrolled: 1-line block ×6, first 2 shown]
	s_barrier
.LBB1699_363:
	s_movk_i32 s0, 0x201
	s_waitcnt lgkmcnt(0)
	v_cmp_gt_u32_e32 vcc, s0, v18
	v_lshrrev_b32_e32 v21, 8, v16
	v_lshrrev_b32_e32 v1, 8, v17
	s_mov_b64 s[0:1], -1
	s_cbranch_vccnz .LBB1699_367
; %bb.364:
	s_and_b64 vcc, exec, s[0:1]
	s_cbranch_vccnz .LBB1699_389
.LBB1699_365:
	s_and_b64 s[0:1], s[18:19], s[24:25]
	s_and_saveexec_b64 s[2:3], s[0:1]
	s_cbranch_execnz .LBB1699_407
.LBB1699_366:
	s_endpgm
.LBB1699_367:
	v_add_u32_e32 v23, v19, v18
	v_cmp_lt_u32_e32 vcc, v34, v23
	s_or_b64 s[2:3], s[36:37], vcc
	s_and_saveexec_b64 s[0:1], s[2:3]
	s_cbranch_execz .LBB1699_370
; %bb.368:
	v_and_b32_e32 v25, 1, v16
	v_cmp_eq_u32_e32 vcc, 1, v25
	s_and_b64 exec, exec, vcc
	s_cbranch_execz .LBB1699_370
; %bb.369:
	s_lshl_b64 s[2:3], s[22:23], 3
	s_add_u32 s2, s34, s2
	s_addc_u32 s3, s35, s3
	v_mov_b32_e32 v35, 0
	v_lshl_add_u64 v[36:37], v[34:35], 3, s[2:3]
	global_store_dwordx2 v[36:37], v[10:11], off
.LBB1699_370:
	s_or_b64 exec, exec, s[0:1]
	v_cmp_lt_u32_e32 vcc, v32, v23
	s_or_b64 s[2:3], s[36:37], vcc
	s_and_saveexec_b64 s[0:1], s[2:3]
	s_cbranch_execz .LBB1699_373
; %bb.371:
	v_and_b32_e32 v25, 1, v21
	v_cmp_eq_u32_e32 vcc, 1, v25
	s_and_b64 exec, exec, vcc
	s_cbranch_execz .LBB1699_373
; %bb.372:
	s_lshl_b64 s[2:3], s[22:23], 3
	s_add_u32 s2, s34, s2
	s_addc_u32 s3, s35, s3
	v_mov_b32_e32 v33, 0
	v_lshl_add_u64 v[36:37], v[32:33], 3, s[2:3]
	global_store_dwordx2 v[36:37], v[12:13], off
.LBB1699_373:
	s_or_b64 exec, exec, s[0:1]
	v_cmp_lt_u32_e32 vcc, v30, v23
	s_or_b64 s[2:3], s[36:37], vcc
	s_and_saveexec_b64 s[0:1], s[2:3]
	s_cbranch_execz .LBB1699_376
; %bb.374:
	v_mov_b32_e32 v25, 1
	v_and_b32_sdwa v25, v25, v16 dst_sel:DWORD dst_unused:UNUSED_PAD src0_sel:DWORD src1_sel:WORD_1
	v_cmp_eq_u32_e32 vcc, 1, v25
	s_and_b64 exec, exec, vcc
	s_cbranch_execz .LBB1699_376
; %bb.375:
	s_lshl_b64 s[2:3], s[22:23], 3
	s_add_u32 s2, s34, s2
	s_addc_u32 s3, s35, s3
	v_mov_b32_e32 v31, 0
	v_lshl_add_u64 v[36:37], v[30:31], 3, s[2:3]
	global_store_dwordx2 v[36:37], v[6:7], off
.LBB1699_376:
	s_or_b64 exec, exec, s[0:1]
	v_cmp_lt_u32_e32 vcc, v28, v23
	s_or_b64 s[2:3], s[36:37], vcc
	s_and_saveexec_b64 s[0:1], s[2:3]
	s_cbranch_execz .LBB1699_379
; %bb.377:
	v_and_b32_e32 v25, 1, v20
	v_cmp_eq_u32_e32 vcc, 1, v25
	s_and_b64 exec, exec, vcc
	s_cbranch_execz .LBB1699_379
; %bb.378:
	s_lshl_b64 s[2:3], s[22:23], 3
	s_add_u32 s2, s34, s2
	s_addc_u32 s3, s35, s3
	v_mov_b32_e32 v29, 0
	v_lshl_add_u64 v[36:37], v[28:29], 3, s[2:3]
	global_store_dwordx2 v[36:37], v[8:9], off
.LBB1699_379:
	s_or_b64 exec, exec, s[0:1]
	v_cmp_lt_u32_e32 vcc, v26, v23
	s_or_b64 s[2:3], s[36:37], vcc
	s_and_saveexec_b64 s[0:1], s[2:3]
	s_cbranch_execz .LBB1699_382
; %bb.380:
	v_and_b32_e32 v25, 1, v17
	v_cmp_eq_u32_e32 vcc, 1, v25
	s_and_b64 exec, exec, vcc
	s_cbranch_execz .LBB1699_382
; %bb.381:
	s_lshl_b64 s[2:3], s[22:23], 3
	s_add_u32 s2, s34, s2
	s_addc_u32 s3, s35, s3
	v_mov_b32_e32 v27, 0
	v_lshl_add_u64 v[36:37], v[26:27], 3, s[2:3]
	global_store_dwordx2 v[36:37], v[2:3], off
.LBB1699_382:
	;; [unrolled: 18-line block ×3, first 2 shown]
	s_or_b64 exec, exec, s[0:1]
	v_cmp_lt_u32_e32 vcc, v22, v23
	s_or_b64 s[2:3], s[36:37], vcc
	s_and_saveexec_b64 s[0:1], s[2:3]
	s_cbranch_execz .LBB1699_388
; %bb.386:
	v_mov_b32_e32 v23, 1
	v_and_b32_sdwa v23, v23, v17 dst_sel:DWORD dst_unused:UNUSED_PAD src0_sel:DWORD src1_sel:WORD_1
	v_cmp_eq_u32_e32 vcc, 1, v23
	s_and_b64 exec, exec, vcc
	s_cbranch_execz .LBB1699_388
; %bb.387:
	s_lshl_b64 s[2:3], s[22:23], 3
	s_add_u32 s2, s34, s2
	s_addc_u32 s3, s35, s3
	v_mov_b32_e32 v23, 0
	v_lshl_add_u64 v[36:37], v[22:23], 3, s[2:3]
	global_store_dwordx2 v[36:37], v[14:15], off
.LBB1699_388:
	s_or_b64 exec, exec, s[0:1]
	s_branch .LBB1699_365
.LBB1699_389:
	v_and_b32_e32 v23, 1, v16
	v_cmp_eq_u32_e32 vcc, 1, v23
	s_and_saveexec_b64 s[0:1], vcc
	s_cbranch_execz .LBB1699_391
; %bb.390:
	v_sub_u32_e32 v23, v34, v19
	v_lshlrev_b32_e32 v23, 3, v23
	ds_write_b64 v23, v[10:11]
.LBB1699_391:
	s_or_b64 exec, exec, s[0:1]
	v_and_b32_e32 v10, 1, v21
	v_cmp_eq_u32_e32 vcc, 1, v10
	s_and_saveexec_b64 s[0:1], vcc
	s_cbranch_execz .LBB1699_393
; %bb.392:
	v_sub_u32_e32 v10, v32, v19
	v_lshlrev_b32_e32 v10, 3, v10
	ds_write_b64 v10, v[12:13]
.LBB1699_393:
	s_or_b64 exec, exec, s[0:1]
	v_mov_b32_e32 v10, 1
	v_and_b32_sdwa v10, v10, v16 dst_sel:DWORD dst_unused:UNUSED_PAD src0_sel:DWORD src1_sel:WORD_1
	v_cmp_eq_u32_e32 vcc, 1, v10
	s_and_saveexec_b64 s[0:1], vcc
	s_cbranch_execz .LBB1699_395
; %bb.394:
	v_sub_u32_e32 v10, v30, v19
	v_lshlrev_b32_e32 v10, 3, v10
	ds_write_b64 v10, v[6:7]
.LBB1699_395:
	s_or_b64 exec, exec, s[0:1]
	v_and_b32_e32 v6, 1, v20
	v_cmp_eq_u32_e32 vcc, 1, v6
	s_and_saveexec_b64 s[0:1], vcc
	s_cbranch_execz .LBB1699_397
; %bb.396:
	v_sub_u32_e32 v6, v28, v19
	v_lshlrev_b32_e32 v6, 3, v6
	ds_write_b64 v6, v[8:9]
.LBB1699_397:
	s_or_b64 exec, exec, s[0:1]
	v_and_b32_e32 v6, 1, v17
	;; [unrolled: 10-line block ×3, first 2 shown]
	v_cmp_eq_u32_e32 vcc, 1, v1
	s_and_saveexec_b64 s[0:1], vcc
	s_cbranch_execz .LBB1699_401
; %bb.400:
	v_sub_u32_e32 v1, v24, v19
	v_lshlrev_b32_e32 v1, 3, v1
	ds_write_b64 v1, v[4:5]
.LBB1699_401:
	s_or_b64 exec, exec, s[0:1]
	v_mov_b32_e32 v1, 1
	v_and_b32_sdwa v1, v1, v17 dst_sel:DWORD dst_unused:UNUSED_PAD src0_sel:DWORD src1_sel:WORD_1
	v_cmp_eq_u32_e32 vcc, 1, v1
	s_and_saveexec_b64 s[0:1], vcc
	s_cbranch_execz .LBB1699_403
; %bb.402:
	v_sub_u32_e32 v1, v22, v19
	v_lshlrev_b32_e32 v1, 3, v1
	ds_write_b64 v1, v[14:15]
.LBB1699_403:
	s_or_b64 exec, exec, s[0:1]
	v_cmp_lt_u32_e32 vcc, v0, v18
	s_waitcnt lgkmcnt(0)
	s_barrier
	s_and_saveexec_b64 s[0:1], vcc
	s_cbranch_execz .LBB1699_406
; %bb.404:
	v_mov_b32_e32 v5, 0
	v_mov_b32_e32 v4, v19
	s_lshl_b64 s[2:3], s[22:23], 3
	v_lshlrev_b64 v[6:7], 3, v[4:5]
	v_lshl_add_u64 v[6:7], s[2:3], 0, v[6:7]
	v_lshlrev_b32_e32 v2, 3, v0
	v_mov_b32_e32 v3, v5
	v_lshl_add_u64 v[4:5], s[34:35], 0, v[6:7]
	v_lshl_add_u64 v[4:5], v[4:5], 0, v[2:3]
	s_mov_b64 s[2:3], 0
	s_mov_b64 s[4:5], 0x1000
.LBB1699_405:                           ; =>This Inner Loop Header: Depth=1
	ds_read_b64 v[6:7], v2
	v_add_u32_e32 v0, 0x200, v0
	v_cmp_ge_u32_e32 vcc, v0, v18
	v_add_u32_e32 v2, 0x1000, v2
	s_or_b64 s[2:3], vcc, s[2:3]
	s_waitcnt lgkmcnt(0)
	global_store_dwordx2 v[4:5], v[6:7], off
	v_lshl_add_u64 v[4:5], v[4:5], 0, s[4:5]
	s_andn2_b64 exec, exec, s[2:3]
	s_cbranch_execnz .LBB1699_405
.LBB1699_406:
	s_or_b64 exec, exec, s[0:1]
	s_and_b64 s[0:1], s[18:19], s[24:25]
	s_and_saveexec_b64 s[2:3], s[0:1]
	s_cbranch_execz .LBB1699_366
.LBB1699_407:
	v_mov_b32_e32 v1, 0
	v_mov_b32_e32 v0, v18
	v_lshl_add_u64 v[2:3], s[22:23], 0, v[0:1]
	v_mov_b32_e32 v0, v19
	v_lshl_add_u64 v[2:3], v[2:3], 0, v[0:1]
	global_store_dwordx2 v1, v[2:3], s[20:21]
	s_endpgm
	.section	.rodata,"a",@progbits
	.p2align	6, 0x0
	.amdhsa_kernel _ZN7rocprim17ROCPRIM_400000_NS6detail17trampoline_kernelINS0_14default_configENS1_25partition_config_selectorILNS1_17partition_subalgoE8ElNS0_10empty_typeEbEEZZNS1_14partition_implILS5_8ELb0ES3_jPlPS6_PKS6_NS0_5tupleIJS9_S6_EEENSD_IJSA_SA_EEENS0_18inequality_wrapperIZN2at6native12_GLOBAL__N_124unique_dim_cuda_templateImEESt5tupleIJNSH_6TensorESM_SM_EERKSM_lbbbEUlllE0_EEPmJS6_EEE10hipError_tPvRmT3_T4_T5_T6_T7_T9_mT8_P12ihipStream_tbDpT10_ENKUlT_T0_E_clISt17integral_constantIbLb0EES1B_IbLb1EEEEDaS17_S18_EUlS17_E_NS1_11comp_targetILNS1_3genE5ELNS1_11target_archE942ELNS1_3gpuE9ELNS1_3repE0EEENS1_30default_config_static_selectorELNS0_4arch9wavefront6targetE1EEEvT1_
		.amdhsa_group_segment_fixed_size 28684
		.amdhsa_private_segment_fixed_size 0
		.amdhsa_kernarg_size 136
		.amdhsa_user_sgpr_count 2
		.amdhsa_user_sgpr_dispatch_ptr 0
		.amdhsa_user_sgpr_queue_ptr 0
		.amdhsa_user_sgpr_kernarg_segment_ptr 1
		.amdhsa_user_sgpr_dispatch_id 0
		.amdhsa_user_sgpr_kernarg_preload_length 0
		.amdhsa_user_sgpr_kernarg_preload_offset 0
		.amdhsa_user_sgpr_private_segment_size 0
		.amdhsa_uses_dynamic_stack 0
		.amdhsa_enable_private_segment 0
		.amdhsa_system_sgpr_workgroup_id_x 1
		.amdhsa_system_sgpr_workgroup_id_y 0
		.amdhsa_system_sgpr_workgroup_id_z 0
		.amdhsa_system_sgpr_workgroup_info 0
		.amdhsa_system_vgpr_workitem_id 0
		.amdhsa_next_free_vgpr 52
		.amdhsa_next_free_sgpr 56
		.amdhsa_accum_offset 52
		.amdhsa_reserve_vcc 1
		.amdhsa_float_round_mode_32 0
		.amdhsa_float_round_mode_16_64 0
		.amdhsa_float_denorm_mode_32 3
		.amdhsa_float_denorm_mode_16_64 3
		.amdhsa_dx10_clamp 1
		.amdhsa_ieee_mode 1
		.amdhsa_fp16_overflow 0
		.amdhsa_tg_split 0
		.amdhsa_exception_fp_ieee_invalid_op 0
		.amdhsa_exception_fp_denorm_src 0
		.amdhsa_exception_fp_ieee_div_zero 0
		.amdhsa_exception_fp_ieee_overflow 0
		.amdhsa_exception_fp_ieee_underflow 0
		.amdhsa_exception_fp_ieee_inexact 0
		.amdhsa_exception_int_div_zero 0
	.end_amdhsa_kernel
	.section	.text._ZN7rocprim17ROCPRIM_400000_NS6detail17trampoline_kernelINS0_14default_configENS1_25partition_config_selectorILNS1_17partition_subalgoE8ElNS0_10empty_typeEbEEZZNS1_14partition_implILS5_8ELb0ES3_jPlPS6_PKS6_NS0_5tupleIJS9_S6_EEENSD_IJSA_SA_EEENS0_18inequality_wrapperIZN2at6native12_GLOBAL__N_124unique_dim_cuda_templateImEESt5tupleIJNSH_6TensorESM_SM_EERKSM_lbbbEUlllE0_EEPmJS6_EEE10hipError_tPvRmT3_T4_T5_T6_T7_T9_mT8_P12ihipStream_tbDpT10_ENKUlT_T0_E_clISt17integral_constantIbLb0EES1B_IbLb1EEEEDaS17_S18_EUlS17_E_NS1_11comp_targetILNS1_3genE5ELNS1_11target_archE942ELNS1_3gpuE9ELNS1_3repE0EEENS1_30default_config_static_selectorELNS0_4arch9wavefront6targetE1EEEvT1_,"axG",@progbits,_ZN7rocprim17ROCPRIM_400000_NS6detail17trampoline_kernelINS0_14default_configENS1_25partition_config_selectorILNS1_17partition_subalgoE8ElNS0_10empty_typeEbEEZZNS1_14partition_implILS5_8ELb0ES3_jPlPS6_PKS6_NS0_5tupleIJS9_S6_EEENSD_IJSA_SA_EEENS0_18inequality_wrapperIZN2at6native12_GLOBAL__N_124unique_dim_cuda_templateImEESt5tupleIJNSH_6TensorESM_SM_EERKSM_lbbbEUlllE0_EEPmJS6_EEE10hipError_tPvRmT3_T4_T5_T6_T7_T9_mT8_P12ihipStream_tbDpT10_ENKUlT_T0_E_clISt17integral_constantIbLb0EES1B_IbLb1EEEEDaS17_S18_EUlS17_E_NS1_11comp_targetILNS1_3genE5ELNS1_11target_archE942ELNS1_3gpuE9ELNS1_3repE0EEENS1_30default_config_static_selectorELNS0_4arch9wavefront6targetE1EEEvT1_,comdat
.Lfunc_end1699:
	.size	_ZN7rocprim17ROCPRIM_400000_NS6detail17trampoline_kernelINS0_14default_configENS1_25partition_config_selectorILNS1_17partition_subalgoE8ElNS0_10empty_typeEbEEZZNS1_14partition_implILS5_8ELb0ES3_jPlPS6_PKS6_NS0_5tupleIJS9_S6_EEENSD_IJSA_SA_EEENS0_18inequality_wrapperIZN2at6native12_GLOBAL__N_124unique_dim_cuda_templateImEESt5tupleIJNSH_6TensorESM_SM_EERKSM_lbbbEUlllE0_EEPmJS6_EEE10hipError_tPvRmT3_T4_T5_T6_T7_T9_mT8_P12ihipStream_tbDpT10_ENKUlT_T0_E_clISt17integral_constantIbLb0EES1B_IbLb1EEEEDaS17_S18_EUlS17_E_NS1_11comp_targetILNS1_3genE5ELNS1_11target_archE942ELNS1_3gpuE9ELNS1_3repE0EEENS1_30default_config_static_selectorELNS0_4arch9wavefront6targetE1EEEvT1_, .Lfunc_end1699-_ZN7rocprim17ROCPRIM_400000_NS6detail17trampoline_kernelINS0_14default_configENS1_25partition_config_selectorILNS1_17partition_subalgoE8ElNS0_10empty_typeEbEEZZNS1_14partition_implILS5_8ELb0ES3_jPlPS6_PKS6_NS0_5tupleIJS9_S6_EEENSD_IJSA_SA_EEENS0_18inequality_wrapperIZN2at6native12_GLOBAL__N_124unique_dim_cuda_templateImEESt5tupleIJNSH_6TensorESM_SM_EERKSM_lbbbEUlllE0_EEPmJS6_EEE10hipError_tPvRmT3_T4_T5_T6_T7_T9_mT8_P12ihipStream_tbDpT10_ENKUlT_T0_E_clISt17integral_constantIbLb0EES1B_IbLb1EEEEDaS17_S18_EUlS17_E_NS1_11comp_targetILNS1_3genE5ELNS1_11target_archE942ELNS1_3gpuE9ELNS1_3repE0EEENS1_30default_config_static_selectorELNS0_4arch9wavefront6targetE1EEEvT1_
                                        ; -- End function
	.section	.AMDGPU.csdata,"",@progbits
; Kernel info:
; codeLenInByte = 13044
; NumSgprs: 62
; NumVgprs: 52
; NumAgprs: 0
; TotalNumVgprs: 52
; ScratchSize: 0
; MemoryBound: 1
; FloatMode: 240
; IeeeMode: 1
; LDSByteSize: 28684 bytes/workgroup (compile time only)
; SGPRBlocks: 7
; VGPRBlocks: 6
; NumSGPRsForWavesPerEU: 62
; NumVGPRsForWavesPerEU: 52
; AccumOffset: 52
; Occupancy: 4
; WaveLimiterHint : 1
; COMPUTE_PGM_RSRC2:SCRATCH_EN: 0
; COMPUTE_PGM_RSRC2:USER_SGPR: 2
; COMPUTE_PGM_RSRC2:TRAP_HANDLER: 0
; COMPUTE_PGM_RSRC2:TGID_X_EN: 1
; COMPUTE_PGM_RSRC2:TGID_Y_EN: 0
; COMPUTE_PGM_RSRC2:TGID_Z_EN: 0
; COMPUTE_PGM_RSRC2:TIDIG_COMP_CNT: 0
; COMPUTE_PGM_RSRC3_GFX90A:ACCUM_OFFSET: 12
; COMPUTE_PGM_RSRC3_GFX90A:TG_SPLIT: 0
	.section	.text._ZN7rocprim17ROCPRIM_400000_NS6detail17trampoline_kernelINS0_14default_configENS1_25partition_config_selectorILNS1_17partition_subalgoE8ElNS0_10empty_typeEbEEZZNS1_14partition_implILS5_8ELb0ES3_jPlPS6_PKS6_NS0_5tupleIJS9_S6_EEENSD_IJSA_SA_EEENS0_18inequality_wrapperIZN2at6native12_GLOBAL__N_124unique_dim_cuda_templateImEESt5tupleIJNSH_6TensorESM_SM_EERKSM_lbbbEUlllE0_EEPmJS6_EEE10hipError_tPvRmT3_T4_T5_T6_T7_T9_mT8_P12ihipStream_tbDpT10_ENKUlT_T0_E_clISt17integral_constantIbLb0EES1B_IbLb1EEEEDaS17_S18_EUlS17_E_NS1_11comp_targetILNS1_3genE4ELNS1_11target_archE910ELNS1_3gpuE8ELNS1_3repE0EEENS1_30default_config_static_selectorELNS0_4arch9wavefront6targetE1EEEvT1_,"axG",@progbits,_ZN7rocprim17ROCPRIM_400000_NS6detail17trampoline_kernelINS0_14default_configENS1_25partition_config_selectorILNS1_17partition_subalgoE8ElNS0_10empty_typeEbEEZZNS1_14partition_implILS5_8ELb0ES3_jPlPS6_PKS6_NS0_5tupleIJS9_S6_EEENSD_IJSA_SA_EEENS0_18inequality_wrapperIZN2at6native12_GLOBAL__N_124unique_dim_cuda_templateImEESt5tupleIJNSH_6TensorESM_SM_EERKSM_lbbbEUlllE0_EEPmJS6_EEE10hipError_tPvRmT3_T4_T5_T6_T7_T9_mT8_P12ihipStream_tbDpT10_ENKUlT_T0_E_clISt17integral_constantIbLb0EES1B_IbLb1EEEEDaS17_S18_EUlS17_E_NS1_11comp_targetILNS1_3genE4ELNS1_11target_archE910ELNS1_3gpuE8ELNS1_3repE0EEENS1_30default_config_static_selectorELNS0_4arch9wavefront6targetE1EEEvT1_,comdat
	.globl	_ZN7rocprim17ROCPRIM_400000_NS6detail17trampoline_kernelINS0_14default_configENS1_25partition_config_selectorILNS1_17partition_subalgoE8ElNS0_10empty_typeEbEEZZNS1_14partition_implILS5_8ELb0ES3_jPlPS6_PKS6_NS0_5tupleIJS9_S6_EEENSD_IJSA_SA_EEENS0_18inequality_wrapperIZN2at6native12_GLOBAL__N_124unique_dim_cuda_templateImEESt5tupleIJNSH_6TensorESM_SM_EERKSM_lbbbEUlllE0_EEPmJS6_EEE10hipError_tPvRmT3_T4_T5_T6_T7_T9_mT8_P12ihipStream_tbDpT10_ENKUlT_T0_E_clISt17integral_constantIbLb0EES1B_IbLb1EEEEDaS17_S18_EUlS17_E_NS1_11comp_targetILNS1_3genE4ELNS1_11target_archE910ELNS1_3gpuE8ELNS1_3repE0EEENS1_30default_config_static_selectorELNS0_4arch9wavefront6targetE1EEEvT1_ ; -- Begin function _ZN7rocprim17ROCPRIM_400000_NS6detail17trampoline_kernelINS0_14default_configENS1_25partition_config_selectorILNS1_17partition_subalgoE8ElNS0_10empty_typeEbEEZZNS1_14partition_implILS5_8ELb0ES3_jPlPS6_PKS6_NS0_5tupleIJS9_S6_EEENSD_IJSA_SA_EEENS0_18inequality_wrapperIZN2at6native12_GLOBAL__N_124unique_dim_cuda_templateImEESt5tupleIJNSH_6TensorESM_SM_EERKSM_lbbbEUlllE0_EEPmJS6_EEE10hipError_tPvRmT3_T4_T5_T6_T7_T9_mT8_P12ihipStream_tbDpT10_ENKUlT_T0_E_clISt17integral_constantIbLb0EES1B_IbLb1EEEEDaS17_S18_EUlS17_E_NS1_11comp_targetILNS1_3genE4ELNS1_11target_archE910ELNS1_3gpuE8ELNS1_3repE0EEENS1_30default_config_static_selectorELNS0_4arch9wavefront6targetE1EEEvT1_
	.p2align	8
	.type	_ZN7rocprim17ROCPRIM_400000_NS6detail17trampoline_kernelINS0_14default_configENS1_25partition_config_selectorILNS1_17partition_subalgoE8ElNS0_10empty_typeEbEEZZNS1_14partition_implILS5_8ELb0ES3_jPlPS6_PKS6_NS0_5tupleIJS9_S6_EEENSD_IJSA_SA_EEENS0_18inequality_wrapperIZN2at6native12_GLOBAL__N_124unique_dim_cuda_templateImEESt5tupleIJNSH_6TensorESM_SM_EERKSM_lbbbEUlllE0_EEPmJS6_EEE10hipError_tPvRmT3_T4_T5_T6_T7_T9_mT8_P12ihipStream_tbDpT10_ENKUlT_T0_E_clISt17integral_constantIbLb0EES1B_IbLb1EEEEDaS17_S18_EUlS17_E_NS1_11comp_targetILNS1_3genE4ELNS1_11target_archE910ELNS1_3gpuE8ELNS1_3repE0EEENS1_30default_config_static_selectorELNS0_4arch9wavefront6targetE1EEEvT1_,@function
_ZN7rocprim17ROCPRIM_400000_NS6detail17trampoline_kernelINS0_14default_configENS1_25partition_config_selectorILNS1_17partition_subalgoE8ElNS0_10empty_typeEbEEZZNS1_14partition_implILS5_8ELb0ES3_jPlPS6_PKS6_NS0_5tupleIJS9_S6_EEENSD_IJSA_SA_EEENS0_18inequality_wrapperIZN2at6native12_GLOBAL__N_124unique_dim_cuda_templateImEESt5tupleIJNSH_6TensorESM_SM_EERKSM_lbbbEUlllE0_EEPmJS6_EEE10hipError_tPvRmT3_T4_T5_T6_T7_T9_mT8_P12ihipStream_tbDpT10_ENKUlT_T0_E_clISt17integral_constantIbLb0EES1B_IbLb1EEEEDaS17_S18_EUlS17_E_NS1_11comp_targetILNS1_3genE4ELNS1_11target_archE910ELNS1_3gpuE8ELNS1_3repE0EEENS1_30default_config_static_selectorELNS0_4arch9wavefront6targetE1EEEvT1_: ; @_ZN7rocprim17ROCPRIM_400000_NS6detail17trampoline_kernelINS0_14default_configENS1_25partition_config_selectorILNS1_17partition_subalgoE8ElNS0_10empty_typeEbEEZZNS1_14partition_implILS5_8ELb0ES3_jPlPS6_PKS6_NS0_5tupleIJS9_S6_EEENSD_IJSA_SA_EEENS0_18inequality_wrapperIZN2at6native12_GLOBAL__N_124unique_dim_cuda_templateImEESt5tupleIJNSH_6TensorESM_SM_EERKSM_lbbbEUlllE0_EEPmJS6_EEE10hipError_tPvRmT3_T4_T5_T6_T7_T9_mT8_P12ihipStream_tbDpT10_ENKUlT_T0_E_clISt17integral_constantIbLb0EES1B_IbLb1EEEEDaS17_S18_EUlS17_E_NS1_11comp_targetILNS1_3genE4ELNS1_11target_archE910ELNS1_3gpuE8ELNS1_3repE0EEENS1_30default_config_static_selectorELNS0_4arch9wavefront6targetE1EEEvT1_
; %bb.0:
	.section	.rodata,"a",@progbits
	.p2align	6, 0x0
	.amdhsa_kernel _ZN7rocprim17ROCPRIM_400000_NS6detail17trampoline_kernelINS0_14default_configENS1_25partition_config_selectorILNS1_17partition_subalgoE8ElNS0_10empty_typeEbEEZZNS1_14partition_implILS5_8ELb0ES3_jPlPS6_PKS6_NS0_5tupleIJS9_S6_EEENSD_IJSA_SA_EEENS0_18inequality_wrapperIZN2at6native12_GLOBAL__N_124unique_dim_cuda_templateImEESt5tupleIJNSH_6TensorESM_SM_EERKSM_lbbbEUlllE0_EEPmJS6_EEE10hipError_tPvRmT3_T4_T5_T6_T7_T9_mT8_P12ihipStream_tbDpT10_ENKUlT_T0_E_clISt17integral_constantIbLb0EES1B_IbLb1EEEEDaS17_S18_EUlS17_E_NS1_11comp_targetILNS1_3genE4ELNS1_11target_archE910ELNS1_3gpuE8ELNS1_3repE0EEENS1_30default_config_static_selectorELNS0_4arch9wavefront6targetE1EEEvT1_
		.amdhsa_group_segment_fixed_size 0
		.amdhsa_private_segment_fixed_size 0
		.amdhsa_kernarg_size 136
		.amdhsa_user_sgpr_count 2
		.amdhsa_user_sgpr_dispatch_ptr 0
		.amdhsa_user_sgpr_queue_ptr 0
		.amdhsa_user_sgpr_kernarg_segment_ptr 1
		.amdhsa_user_sgpr_dispatch_id 0
		.amdhsa_user_sgpr_kernarg_preload_length 0
		.amdhsa_user_sgpr_kernarg_preload_offset 0
		.amdhsa_user_sgpr_private_segment_size 0
		.amdhsa_uses_dynamic_stack 0
		.amdhsa_enable_private_segment 0
		.amdhsa_system_sgpr_workgroup_id_x 1
		.amdhsa_system_sgpr_workgroup_id_y 0
		.amdhsa_system_sgpr_workgroup_id_z 0
		.amdhsa_system_sgpr_workgroup_info 0
		.amdhsa_system_vgpr_workitem_id 0
		.amdhsa_next_free_vgpr 1
		.amdhsa_next_free_sgpr 0
		.amdhsa_accum_offset 4
		.amdhsa_reserve_vcc 0
		.amdhsa_float_round_mode_32 0
		.amdhsa_float_round_mode_16_64 0
		.amdhsa_float_denorm_mode_32 3
		.amdhsa_float_denorm_mode_16_64 3
		.amdhsa_dx10_clamp 1
		.amdhsa_ieee_mode 1
		.amdhsa_fp16_overflow 0
		.amdhsa_tg_split 0
		.amdhsa_exception_fp_ieee_invalid_op 0
		.amdhsa_exception_fp_denorm_src 0
		.amdhsa_exception_fp_ieee_div_zero 0
		.amdhsa_exception_fp_ieee_overflow 0
		.amdhsa_exception_fp_ieee_underflow 0
		.amdhsa_exception_fp_ieee_inexact 0
		.amdhsa_exception_int_div_zero 0
	.end_amdhsa_kernel
	.section	.text._ZN7rocprim17ROCPRIM_400000_NS6detail17trampoline_kernelINS0_14default_configENS1_25partition_config_selectorILNS1_17partition_subalgoE8ElNS0_10empty_typeEbEEZZNS1_14partition_implILS5_8ELb0ES3_jPlPS6_PKS6_NS0_5tupleIJS9_S6_EEENSD_IJSA_SA_EEENS0_18inequality_wrapperIZN2at6native12_GLOBAL__N_124unique_dim_cuda_templateImEESt5tupleIJNSH_6TensorESM_SM_EERKSM_lbbbEUlllE0_EEPmJS6_EEE10hipError_tPvRmT3_T4_T5_T6_T7_T9_mT8_P12ihipStream_tbDpT10_ENKUlT_T0_E_clISt17integral_constantIbLb0EES1B_IbLb1EEEEDaS17_S18_EUlS17_E_NS1_11comp_targetILNS1_3genE4ELNS1_11target_archE910ELNS1_3gpuE8ELNS1_3repE0EEENS1_30default_config_static_selectorELNS0_4arch9wavefront6targetE1EEEvT1_,"axG",@progbits,_ZN7rocprim17ROCPRIM_400000_NS6detail17trampoline_kernelINS0_14default_configENS1_25partition_config_selectorILNS1_17partition_subalgoE8ElNS0_10empty_typeEbEEZZNS1_14partition_implILS5_8ELb0ES3_jPlPS6_PKS6_NS0_5tupleIJS9_S6_EEENSD_IJSA_SA_EEENS0_18inequality_wrapperIZN2at6native12_GLOBAL__N_124unique_dim_cuda_templateImEESt5tupleIJNSH_6TensorESM_SM_EERKSM_lbbbEUlllE0_EEPmJS6_EEE10hipError_tPvRmT3_T4_T5_T6_T7_T9_mT8_P12ihipStream_tbDpT10_ENKUlT_T0_E_clISt17integral_constantIbLb0EES1B_IbLb1EEEEDaS17_S18_EUlS17_E_NS1_11comp_targetILNS1_3genE4ELNS1_11target_archE910ELNS1_3gpuE8ELNS1_3repE0EEENS1_30default_config_static_selectorELNS0_4arch9wavefront6targetE1EEEvT1_,comdat
.Lfunc_end1700:
	.size	_ZN7rocprim17ROCPRIM_400000_NS6detail17trampoline_kernelINS0_14default_configENS1_25partition_config_selectorILNS1_17partition_subalgoE8ElNS0_10empty_typeEbEEZZNS1_14partition_implILS5_8ELb0ES3_jPlPS6_PKS6_NS0_5tupleIJS9_S6_EEENSD_IJSA_SA_EEENS0_18inequality_wrapperIZN2at6native12_GLOBAL__N_124unique_dim_cuda_templateImEESt5tupleIJNSH_6TensorESM_SM_EERKSM_lbbbEUlllE0_EEPmJS6_EEE10hipError_tPvRmT3_T4_T5_T6_T7_T9_mT8_P12ihipStream_tbDpT10_ENKUlT_T0_E_clISt17integral_constantIbLb0EES1B_IbLb1EEEEDaS17_S18_EUlS17_E_NS1_11comp_targetILNS1_3genE4ELNS1_11target_archE910ELNS1_3gpuE8ELNS1_3repE0EEENS1_30default_config_static_selectorELNS0_4arch9wavefront6targetE1EEEvT1_, .Lfunc_end1700-_ZN7rocprim17ROCPRIM_400000_NS6detail17trampoline_kernelINS0_14default_configENS1_25partition_config_selectorILNS1_17partition_subalgoE8ElNS0_10empty_typeEbEEZZNS1_14partition_implILS5_8ELb0ES3_jPlPS6_PKS6_NS0_5tupleIJS9_S6_EEENSD_IJSA_SA_EEENS0_18inequality_wrapperIZN2at6native12_GLOBAL__N_124unique_dim_cuda_templateImEESt5tupleIJNSH_6TensorESM_SM_EERKSM_lbbbEUlllE0_EEPmJS6_EEE10hipError_tPvRmT3_T4_T5_T6_T7_T9_mT8_P12ihipStream_tbDpT10_ENKUlT_T0_E_clISt17integral_constantIbLb0EES1B_IbLb1EEEEDaS17_S18_EUlS17_E_NS1_11comp_targetILNS1_3genE4ELNS1_11target_archE910ELNS1_3gpuE8ELNS1_3repE0EEENS1_30default_config_static_selectorELNS0_4arch9wavefront6targetE1EEEvT1_
                                        ; -- End function
	.section	.AMDGPU.csdata,"",@progbits
; Kernel info:
; codeLenInByte = 0
; NumSgprs: 6
; NumVgprs: 0
; NumAgprs: 0
; TotalNumVgprs: 0
; ScratchSize: 0
; MemoryBound: 0
; FloatMode: 240
; IeeeMode: 1
; LDSByteSize: 0 bytes/workgroup (compile time only)
; SGPRBlocks: 0
; VGPRBlocks: 0
; NumSGPRsForWavesPerEU: 6
; NumVGPRsForWavesPerEU: 1
; AccumOffset: 4
; Occupancy: 8
; WaveLimiterHint : 0
; COMPUTE_PGM_RSRC2:SCRATCH_EN: 0
; COMPUTE_PGM_RSRC2:USER_SGPR: 2
; COMPUTE_PGM_RSRC2:TRAP_HANDLER: 0
; COMPUTE_PGM_RSRC2:TGID_X_EN: 1
; COMPUTE_PGM_RSRC2:TGID_Y_EN: 0
; COMPUTE_PGM_RSRC2:TGID_Z_EN: 0
; COMPUTE_PGM_RSRC2:TIDIG_COMP_CNT: 0
; COMPUTE_PGM_RSRC3_GFX90A:ACCUM_OFFSET: 0
; COMPUTE_PGM_RSRC3_GFX90A:TG_SPLIT: 0
	.section	.text._ZN7rocprim17ROCPRIM_400000_NS6detail17trampoline_kernelINS0_14default_configENS1_25partition_config_selectorILNS1_17partition_subalgoE8ElNS0_10empty_typeEbEEZZNS1_14partition_implILS5_8ELb0ES3_jPlPS6_PKS6_NS0_5tupleIJS9_S6_EEENSD_IJSA_SA_EEENS0_18inequality_wrapperIZN2at6native12_GLOBAL__N_124unique_dim_cuda_templateImEESt5tupleIJNSH_6TensorESM_SM_EERKSM_lbbbEUlllE0_EEPmJS6_EEE10hipError_tPvRmT3_T4_T5_T6_T7_T9_mT8_P12ihipStream_tbDpT10_ENKUlT_T0_E_clISt17integral_constantIbLb0EES1B_IbLb1EEEEDaS17_S18_EUlS17_E_NS1_11comp_targetILNS1_3genE3ELNS1_11target_archE908ELNS1_3gpuE7ELNS1_3repE0EEENS1_30default_config_static_selectorELNS0_4arch9wavefront6targetE1EEEvT1_,"axG",@progbits,_ZN7rocprim17ROCPRIM_400000_NS6detail17trampoline_kernelINS0_14default_configENS1_25partition_config_selectorILNS1_17partition_subalgoE8ElNS0_10empty_typeEbEEZZNS1_14partition_implILS5_8ELb0ES3_jPlPS6_PKS6_NS0_5tupleIJS9_S6_EEENSD_IJSA_SA_EEENS0_18inequality_wrapperIZN2at6native12_GLOBAL__N_124unique_dim_cuda_templateImEESt5tupleIJNSH_6TensorESM_SM_EERKSM_lbbbEUlllE0_EEPmJS6_EEE10hipError_tPvRmT3_T4_T5_T6_T7_T9_mT8_P12ihipStream_tbDpT10_ENKUlT_T0_E_clISt17integral_constantIbLb0EES1B_IbLb1EEEEDaS17_S18_EUlS17_E_NS1_11comp_targetILNS1_3genE3ELNS1_11target_archE908ELNS1_3gpuE7ELNS1_3repE0EEENS1_30default_config_static_selectorELNS0_4arch9wavefront6targetE1EEEvT1_,comdat
	.globl	_ZN7rocprim17ROCPRIM_400000_NS6detail17trampoline_kernelINS0_14default_configENS1_25partition_config_selectorILNS1_17partition_subalgoE8ElNS0_10empty_typeEbEEZZNS1_14partition_implILS5_8ELb0ES3_jPlPS6_PKS6_NS0_5tupleIJS9_S6_EEENSD_IJSA_SA_EEENS0_18inequality_wrapperIZN2at6native12_GLOBAL__N_124unique_dim_cuda_templateImEESt5tupleIJNSH_6TensorESM_SM_EERKSM_lbbbEUlllE0_EEPmJS6_EEE10hipError_tPvRmT3_T4_T5_T6_T7_T9_mT8_P12ihipStream_tbDpT10_ENKUlT_T0_E_clISt17integral_constantIbLb0EES1B_IbLb1EEEEDaS17_S18_EUlS17_E_NS1_11comp_targetILNS1_3genE3ELNS1_11target_archE908ELNS1_3gpuE7ELNS1_3repE0EEENS1_30default_config_static_selectorELNS0_4arch9wavefront6targetE1EEEvT1_ ; -- Begin function _ZN7rocprim17ROCPRIM_400000_NS6detail17trampoline_kernelINS0_14default_configENS1_25partition_config_selectorILNS1_17partition_subalgoE8ElNS0_10empty_typeEbEEZZNS1_14partition_implILS5_8ELb0ES3_jPlPS6_PKS6_NS0_5tupleIJS9_S6_EEENSD_IJSA_SA_EEENS0_18inequality_wrapperIZN2at6native12_GLOBAL__N_124unique_dim_cuda_templateImEESt5tupleIJNSH_6TensorESM_SM_EERKSM_lbbbEUlllE0_EEPmJS6_EEE10hipError_tPvRmT3_T4_T5_T6_T7_T9_mT8_P12ihipStream_tbDpT10_ENKUlT_T0_E_clISt17integral_constantIbLb0EES1B_IbLb1EEEEDaS17_S18_EUlS17_E_NS1_11comp_targetILNS1_3genE3ELNS1_11target_archE908ELNS1_3gpuE7ELNS1_3repE0EEENS1_30default_config_static_selectorELNS0_4arch9wavefront6targetE1EEEvT1_
	.p2align	8
	.type	_ZN7rocprim17ROCPRIM_400000_NS6detail17trampoline_kernelINS0_14default_configENS1_25partition_config_selectorILNS1_17partition_subalgoE8ElNS0_10empty_typeEbEEZZNS1_14partition_implILS5_8ELb0ES3_jPlPS6_PKS6_NS0_5tupleIJS9_S6_EEENSD_IJSA_SA_EEENS0_18inequality_wrapperIZN2at6native12_GLOBAL__N_124unique_dim_cuda_templateImEESt5tupleIJNSH_6TensorESM_SM_EERKSM_lbbbEUlllE0_EEPmJS6_EEE10hipError_tPvRmT3_T4_T5_T6_T7_T9_mT8_P12ihipStream_tbDpT10_ENKUlT_T0_E_clISt17integral_constantIbLb0EES1B_IbLb1EEEEDaS17_S18_EUlS17_E_NS1_11comp_targetILNS1_3genE3ELNS1_11target_archE908ELNS1_3gpuE7ELNS1_3repE0EEENS1_30default_config_static_selectorELNS0_4arch9wavefront6targetE1EEEvT1_,@function
_ZN7rocprim17ROCPRIM_400000_NS6detail17trampoline_kernelINS0_14default_configENS1_25partition_config_selectorILNS1_17partition_subalgoE8ElNS0_10empty_typeEbEEZZNS1_14partition_implILS5_8ELb0ES3_jPlPS6_PKS6_NS0_5tupleIJS9_S6_EEENSD_IJSA_SA_EEENS0_18inequality_wrapperIZN2at6native12_GLOBAL__N_124unique_dim_cuda_templateImEESt5tupleIJNSH_6TensorESM_SM_EERKSM_lbbbEUlllE0_EEPmJS6_EEE10hipError_tPvRmT3_T4_T5_T6_T7_T9_mT8_P12ihipStream_tbDpT10_ENKUlT_T0_E_clISt17integral_constantIbLb0EES1B_IbLb1EEEEDaS17_S18_EUlS17_E_NS1_11comp_targetILNS1_3genE3ELNS1_11target_archE908ELNS1_3gpuE7ELNS1_3repE0EEENS1_30default_config_static_selectorELNS0_4arch9wavefront6targetE1EEEvT1_: ; @_ZN7rocprim17ROCPRIM_400000_NS6detail17trampoline_kernelINS0_14default_configENS1_25partition_config_selectorILNS1_17partition_subalgoE8ElNS0_10empty_typeEbEEZZNS1_14partition_implILS5_8ELb0ES3_jPlPS6_PKS6_NS0_5tupleIJS9_S6_EEENSD_IJSA_SA_EEENS0_18inequality_wrapperIZN2at6native12_GLOBAL__N_124unique_dim_cuda_templateImEESt5tupleIJNSH_6TensorESM_SM_EERKSM_lbbbEUlllE0_EEPmJS6_EEE10hipError_tPvRmT3_T4_T5_T6_T7_T9_mT8_P12ihipStream_tbDpT10_ENKUlT_T0_E_clISt17integral_constantIbLb0EES1B_IbLb1EEEEDaS17_S18_EUlS17_E_NS1_11comp_targetILNS1_3genE3ELNS1_11target_archE908ELNS1_3gpuE7ELNS1_3repE0EEENS1_30default_config_static_selectorELNS0_4arch9wavefront6targetE1EEEvT1_
; %bb.0:
	.section	.rodata,"a",@progbits
	.p2align	6, 0x0
	.amdhsa_kernel _ZN7rocprim17ROCPRIM_400000_NS6detail17trampoline_kernelINS0_14default_configENS1_25partition_config_selectorILNS1_17partition_subalgoE8ElNS0_10empty_typeEbEEZZNS1_14partition_implILS5_8ELb0ES3_jPlPS6_PKS6_NS0_5tupleIJS9_S6_EEENSD_IJSA_SA_EEENS0_18inequality_wrapperIZN2at6native12_GLOBAL__N_124unique_dim_cuda_templateImEESt5tupleIJNSH_6TensorESM_SM_EERKSM_lbbbEUlllE0_EEPmJS6_EEE10hipError_tPvRmT3_T4_T5_T6_T7_T9_mT8_P12ihipStream_tbDpT10_ENKUlT_T0_E_clISt17integral_constantIbLb0EES1B_IbLb1EEEEDaS17_S18_EUlS17_E_NS1_11comp_targetILNS1_3genE3ELNS1_11target_archE908ELNS1_3gpuE7ELNS1_3repE0EEENS1_30default_config_static_selectorELNS0_4arch9wavefront6targetE1EEEvT1_
		.amdhsa_group_segment_fixed_size 0
		.amdhsa_private_segment_fixed_size 0
		.amdhsa_kernarg_size 136
		.amdhsa_user_sgpr_count 2
		.amdhsa_user_sgpr_dispatch_ptr 0
		.amdhsa_user_sgpr_queue_ptr 0
		.amdhsa_user_sgpr_kernarg_segment_ptr 1
		.amdhsa_user_sgpr_dispatch_id 0
		.amdhsa_user_sgpr_kernarg_preload_length 0
		.amdhsa_user_sgpr_kernarg_preload_offset 0
		.amdhsa_user_sgpr_private_segment_size 0
		.amdhsa_uses_dynamic_stack 0
		.amdhsa_enable_private_segment 0
		.amdhsa_system_sgpr_workgroup_id_x 1
		.amdhsa_system_sgpr_workgroup_id_y 0
		.amdhsa_system_sgpr_workgroup_id_z 0
		.amdhsa_system_sgpr_workgroup_info 0
		.amdhsa_system_vgpr_workitem_id 0
		.amdhsa_next_free_vgpr 1
		.amdhsa_next_free_sgpr 0
		.amdhsa_accum_offset 4
		.amdhsa_reserve_vcc 0
		.amdhsa_float_round_mode_32 0
		.amdhsa_float_round_mode_16_64 0
		.amdhsa_float_denorm_mode_32 3
		.amdhsa_float_denorm_mode_16_64 3
		.amdhsa_dx10_clamp 1
		.amdhsa_ieee_mode 1
		.amdhsa_fp16_overflow 0
		.amdhsa_tg_split 0
		.amdhsa_exception_fp_ieee_invalid_op 0
		.amdhsa_exception_fp_denorm_src 0
		.amdhsa_exception_fp_ieee_div_zero 0
		.amdhsa_exception_fp_ieee_overflow 0
		.amdhsa_exception_fp_ieee_underflow 0
		.amdhsa_exception_fp_ieee_inexact 0
		.amdhsa_exception_int_div_zero 0
	.end_amdhsa_kernel
	.section	.text._ZN7rocprim17ROCPRIM_400000_NS6detail17trampoline_kernelINS0_14default_configENS1_25partition_config_selectorILNS1_17partition_subalgoE8ElNS0_10empty_typeEbEEZZNS1_14partition_implILS5_8ELb0ES3_jPlPS6_PKS6_NS0_5tupleIJS9_S6_EEENSD_IJSA_SA_EEENS0_18inequality_wrapperIZN2at6native12_GLOBAL__N_124unique_dim_cuda_templateImEESt5tupleIJNSH_6TensorESM_SM_EERKSM_lbbbEUlllE0_EEPmJS6_EEE10hipError_tPvRmT3_T4_T5_T6_T7_T9_mT8_P12ihipStream_tbDpT10_ENKUlT_T0_E_clISt17integral_constantIbLb0EES1B_IbLb1EEEEDaS17_S18_EUlS17_E_NS1_11comp_targetILNS1_3genE3ELNS1_11target_archE908ELNS1_3gpuE7ELNS1_3repE0EEENS1_30default_config_static_selectorELNS0_4arch9wavefront6targetE1EEEvT1_,"axG",@progbits,_ZN7rocprim17ROCPRIM_400000_NS6detail17trampoline_kernelINS0_14default_configENS1_25partition_config_selectorILNS1_17partition_subalgoE8ElNS0_10empty_typeEbEEZZNS1_14partition_implILS5_8ELb0ES3_jPlPS6_PKS6_NS0_5tupleIJS9_S6_EEENSD_IJSA_SA_EEENS0_18inequality_wrapperIZN2at6native12_GLOBAL__N_124unique_dim_cuda_templateImEESt5tupleIJNSH_6TensorESM_SM_EERKSM_lbbbEUlllE0_EEPmJS6_EEE10hipError_tPvRmT3_T4_T5_T6_T7_T9_mT8_P12ihipStream_tbDpT10_ENKUlT_T0_E_clISt17integral_constantIbLb0EES1B_IbLb1EEEEDaS17_S18_EUlS17_E_NS1_11comp_targetILNS1_3genE3ELNS1_11target_archE908ELNS1_3gpuE7ELNS1_3repE0EEENS1_30default_config_static_selectorELNS0_4arch9wavefront6targetE1EEEvT1_,comdat
.Lfunc_end1701:
	.size	_ZN7rocprim17ROCPRIM_400000_NS6detail17trampoline_kernelINS0_14default_configENS1_25partition_config_selectorILNS1_17partition_subalgoE8ElNS0_10empty_typeEbEEZZNS1_14partition_implILS5_8ELb0ES3_jPlPS6_PKS6_NS0_5tupleIJS9_S6_EEENSD_IJSA_SA_EEENS0_18inequality_wrapperIZN2at6native12_GLOBAL__N_124unique_dim_cuda_templateImEESt5tupleIJNSH_6TensorESM_SM_EERKSM_lbbbEUlllE0_EEPmJS6_EEE10hipError_tPvRmT3_T4_T5_T6_T7_T9_mT8_P12ihipStream_tbDpT10_ENKUlT_T0_E_clISt17integral_constantIbLb0EES1B_IbLb1EEEEDaS17_S18_EUlS17_E_NS1_11comp_targetILNS1_3genE3ELNS1_11target_archE908ELNS1_3gpuE7ELNS1_3repE0EEENS1_30default_config_static_selectorELNS0_4arch9wavefront6targetE1EEEvT1_, .Lfunc_end1701-_ZN7rocprim17ROCPRIM_400000_NS6detail17trampoline_kernelINS0_14default_configENS1_25partition_config_selectorILNS1_17partition_subalgoE8ElNS0_10empty_typeEbEEZZNS1_14partition_implILS5_8ELb0ES3_jPlPS6_PKS6_NS0_5tupleIJS9_S6_EEENSD_IJSA_SA_EEENS0_18inequality_wrapperIZN2at6native12_GLOBAL__N_124unique_dim_cuda_templateImEESt5tupleIJNSH_6TensorESM_SM_EERKSM_lbbbEUlllE0_EEPmJS6_EEE10hipError_tPvRmT3_T4_T5_T6_T7_T9_mT8_P12ihipStream_tbDpT10_ENKUlT_T0_E_clISt17integral_constantIbLb0EES1B_IbLb1EEEEDaS17_S18_EUlS17_E_NS1_11comp_targetILNS1_3genE3ELNS1_11target_archE908ELNS1_3gpuE7ELNS1_3repE0EEENS1_30default_config_static_selectorELNS0_4arch9wavefront6targetE1EEEvT1_
                                        ; -- End function
	.section	.AMDGPU.csdata,"",@progbits
; Kernel info:
; codeLenInByte = 0
; NumSgprs: 6
; NumVgprs: 0
; NumAgprs: 0
; TotalNumVgprs: 0
; ScratchSize: 0
; MemoryBound: 0
; FloatMode: 240
; IeeeMode: 1
; LDSByteSize: 0 bytes/workgroup (compile time only)
; SGPRBlocks: 0
; VGPRBlocks: 0
; NumSGPRsForWavesPerEU: 6
; NumVGPRsForWavesPerEU: 1
; AccumOffset: 4
; Occupancy: 8
; WaveLimiterHint : 0
; COMPUTE_PGM_RSRC2:SCRATCH_EN: 0
; COMPUTE_PGM_RSRC2:USER_SGPR: 2
; COMPUTE_PGM_RSRC2:TRAP_HANDLER: 0
; COMPUTE_PGM_RSRC2:TGID_X_EN: 1
; COMPUTE_PGM_RSRC2:TGID_Y_EN: 0
; COMPUTE_PGM_RSRC2:TGID_Z_EN: 0
; COMPUTE_PGM_RSRC2:TIDIG_COMP_CNT: 0
; COMPUTE_PGM_RSRC3_GFX90A:ACCUM_OFFSET: 0
; COMPUTE_PGM_RSRC3_GFX90A:TG_SPLIT: 0
	.section	.text._ZN7rocprim17ROCPRIM_400000_NS6detail17trampoline_kernelINS0_14default_configENS1_25partition_config_selectorILNS1_17partition_subalgoE8ElNS0_10empty_typeEbEEZZNS1_14partition_implILS5_8ELb0ES3_jPlPS6_PKS6_NS0_5tupleIJS9_S6_EEENSD_IJSA_SA_EEENS0_18inequality_wrapperIZN2at6native12_GLOBAL__N_124unique_dim_cuda_templateImEESt5tupleIJNSH_6TensorESM_SM_EERKSM_lbbbEUlllE0_EEPmJS6_EEE10hipError_tPvRmT3_T4_T5_T6_T7_T9_mT8_P12ihipStream_tbDpT10_ENKUlT_T0_E_clISt17integral_constantIbLb0EES1B_IbLb1EEEEDaS17_S18_EUlS17_E_NS1_11comp_targetILNS1_3genE2ELNS1_11target_archE906ELNS1_3gpuE6ELNS1_3repE0EEENS1_30default_config_static_selectorELNS0_4arch9wavefront6targetE1EEEvT1_,"axG",@progbits,_ZN7rocprim17ROCPRIM_400000_NS6detail17trampoline_kernelINS0_14default_configENS1_25partition_config_selectorILNS1_17partition_subalgoE8ElNS0_10empty_typeEbEEZZNS1_14partition_implILS5_8ELb0ES3_jPlPS6_PKS6_NS0_5tupleIJS9_S6_EEENSD_IJSA_SA_EEENS0_18inequality_wrapperIZN2at6native12_GLOBAL__N_124unique_dim_cuda_templateImEESt5tupleIJNSH_6TensorESM_SM_EERKSM_lbbbEUlllE0_EEPmJS6_EEE10hipError_tPvRmT3_T4_T5_T6_T7_T9_mT8_P12ihipStream_tbDpT10_ENKUlT_T0_E_clISt17integral_constantIbLb0EES1B_IbLb1EEEEDaS17_S18_EUlS17_E_NS1_11comp_targetILNS1_3genE2ELNS1_11target_archE906ELNS1_3gpuE6ELNS1_3repE0EEENS1_30default_config_static_selectorELNS0_4arch9wavefront6targetE1EEEvT1_,comdat
	.globl	_ZN7rocprim17ROCPRIM_400000_NS6detail17trampoline_kernelINS0_14default_configENS1_25partition_config_selectorILNS1_17partition_subalgoE8ElNS0_10empty_typeEbEEZZNS1_14partition_implILS5_8ELb0ES3_jPlPS6_PKS6_NS0_5tupleIJS9_S6_EEENSD_IJSA_SA_EEENS0_18inequality_wrapperIZN2at6native12_GLOBAL__N_124unique_dim_cuda_templateImEESt5tupleIJNSH_6TensorESM_SM_EERKSM_lbbbEUlllE0_EEPmJS6_EEE10hipError_tPvRmT3_T4_T5_T6_T7_T9_mT8_P12ihipStream_tbDpT10_ENKUlT_T0_E_clISt17integral_constantIbLb0EES1B_IbLb1EEEEDaS17_S18_EUlS17_E_NS1_11comp_targetILNS1_3genE2ELNS1_11target_archE906ELNS1_3gpuE6ELNS1_3repE0EEENS1_30default_config_static_selectorELNS0_4arch9wavefront6targetE1EEEvT1_ ; -- Begin function _ZN7rocprim17ROCPRIM_400000_NS6detail17trampoline_kernelINS0_14default_configENS1_25partition_config_selectorILNS1_17partition_subalgoE8ElNS0_10empty_typeEbEEZZNS1_14partition_implILS5_8ELb0ES3_jPlPS6_PKS6_NS0_5tupleIJS9_S6_EEENSD_IJSA_SA_EEENS0_18inequality_wrapperIZN2at6native12_GLOBAL__N_124unique_dim_cuda_templateImEESt5tupleIJNSH_6TensorESM_SM_EERKSM_lbbbEUlllE0_EEPmJS6_EEE10hipError_tPvRmT3_T4_T5_T6_T7_T9_mT8_P12ihipStream_tbDpT10_ENKUlT_T0_E_clISt17integral_constantIbLb0EES1B_IbLb1EEEEDaS17_S18_EUlS17_E_NS1_11comp_targetILNS1_3genE2ELNS1_11target_archE906ELNS1_3gpuE6ELNS1_3repE0EEENS1_30default_config_static_selectorELNS0_4arch9wavefront6targetE1EEEvT1_
	.p2align	8
	.type	_ZN7rocprim17ROCPRIM_400000_NS6detail17trampoline_kernelINS0_14default_configENS1_25partition_config_selectorILNS1_17partition_subalgoE8ElNS0_10empty_typeEbEEZZNS1_14partition_implILS5_8ELb0ES3_jPlPS6_PKS6_NS0_5tupleIJS9_S6_EEENSD_IJSA_SA_EEENS0_18inequality_wrapperIZN2at6native12_GLOBAL__N_124unique_dim_cuda_templateImEESt5tupleIJNSH_6TensorESM_SM_EERKSM_lbbbEUlllE0_EEPmJS6_EEE10hipError_tPvRmT3_T4_T5_T6_T7_T9_mT8_P12ihipStream_tbDpT10_ENKUlT_T0_E_clISt17integral_constantIbLb0EES1B_IbLb1EEEEDaS17_S18_EUlS17_E_NS1_11comp_targetILNS1_3genE2ELNS1_11target_archE906ELNS1_3gpuE6ELNS1_3repE0EEENS1_30default_config_static_selectorELNS0_4arch9wavefront6targetE1EEEvT1_,@function
_ZN7rocprim17ROCPRIM_400000_NS6detail17trampoline_kernelINS0_14default_configENS1_25partition_config_selectorILNS1_17partition_subalgoE8ElNS0_10empty_typeEbEEZZNS1_14partition_implILS5_8ELb0ES3_jPlPS6_PKS6_NS0_5tupleIJS9_S6_EEENSD_IJSA_SA_EEENS0_18inequality_wrapperIZN2at6native12_GLOBAL__N_124unique_dim_cuda_templateImEESt5tupleIJNSH_6TensorESM_SM_EERKSM_lbbbEUlllE0_EEPmJS6_EEE10hipError_tPvRmT3_T4_T5_T6_T7_T9_mT8_P12ihipStream_tbDpT10_ENKUlT_T0_E_clISt17integral_constantIbLb0EES1B_IbLb1EEEEDaS17_S18_EUlS17_E_NS1_11comp_targetILNS1_3genE2ELNS1_11target_archE906ELNS1_3gpuE6ELNS1_3repE0EEENS1_30default_config_static_selectorELNS0_4arch9wavefront6targetE1EEEvT1_: ; @_ZN7rocprim17ROCPRIM_400000_NS6detail17trampoline_kernelINS0_14default_configENS1_25partition_config_selectorILNS1_17partition_subalgoE8ElNS0_10empty_typeEbEEZZNS1_14partition_implILS5_8ELb0ES3_jPlPS6_PKS6_NS0_5tupleIJS9_S6_EEENSD_IJSA_SA_EEENS0_18inequality_wrapperIZN2at6native12_GLOBAL__N_124unique_dim_cuda_templateImEESt5tupleIJNSH_6TensorESM_SM_EERKSM_lbbbEUlllE0_EEPmJS6_EEE10hipError_tPvRmT3_T4_T5_T6_T7_T9_mT8_P12ihipStream_tbDpT10_ENKUlT_T0_E_clISt17integral_constantIbLb0EES1B_IbLb1EEEEDaS17_S18_EUlS17_E_NS1_11comp_targetILNS1_3genE2ELNS1_11target_archE906ELNS1_3gpuE6ELNS1_3repE0EEENS1_30default_config_static_selectorELNS0_4arch9wavefront6targetE1EEEvT1_
; %bb.0:
	.section	.rodata,"a",@progbits
	.p2align	6, 0x0
	.amdhsa_kernel _ZN7rocprim17ROCPRIM_400000_NS6detail17trampoline_kernelINS0_14default_configENS1_25partition_config_selectorILNS1_17partition_subalgoE8ElNS0_10empty_typeEbEEZZNS1_14partition_implILS5_8ELb0ES3_jPlPS6_PKS6_NS0_5tupleIJS9_S6_EEENSD_IJSA_SA_EEENS0_18inequality_wrapperIZN2at6native12_GLOBAL__N_124unique_dim_cuda_templateImEESt5tupleIJNSH_6TensorESM_SM_EERKSM_lbbbEUlllE0_EEPmJS6_EEE10hipError_tPvRmT3_T4_T5_T6_T7_T9_mT8_P12ihipStream_tbDpT10_ENKUlT_T0_E_clISt17integral_constantIbLb0EES1B_IbLb1EEEEDaS17_S18_EUlS17_E_NS1_11comp_targetILNS1_3genE2ELNS1_11target_archE906ELNS1_3gpuE6ELNS1_3repE0EEENS1_30default_config_static_selectorELNS0_4arch9wavefront6targetE1EEEvT1_
		.amdhsa_group_segment_fixed_size 0
		.amdhsa_private_segment_fixed_size 0
		.amdhsa_kernarg_size 136
		.amdhsa_user_sgpr_count 2
		.amdhsa_user_sgpr_dispatch_ptr 0
		.amdhsa_user_sgpr_queue_ptr 0
		.amdhsa_user_sgpr_kernarg_segment_ptr 1
		.amdhsa_user_sgpr_dispatch_id 0
		.amdhsa_user_sgpr_kernarg_preload_length 0
		.amdhsa_user_sgpr_kernarg_preload_offset 0
		.amdhsa_user_sgpr_private_segment_size 0
		.amdhsa_uses_dynamic_stack 0
		.amdhsa_enable_private_segment 0
		.amdhsa_system_sgpr_workgroup_id_x 1
		.amdhsa_system_sgpr_workgroup_id_y 0
		.amdhsa_system_sgpr_workgroup_id_z 0
		.amdhsa_system_sgpr_workgroup_info 0
		.amdhsa_system_vgpr_workitem_id 0
		.amdhsa_next_free_vgpr 1
		.amdhsa_next_free_sgpr 0
		.amdhsa_accum_offset 4
		.amdhsa_reserve_vcc 0
		.amdhsa_float_round_mode_32 0
		.amdhsa_float_round_mode_16_64 0
		.amdhsa_float_denorm_mode_32 3
		.amdhsa_float_denorm_mode_16_64 3
		.amdhsa_dx10_clamp 1
		.amdhsa_ieee_mode 1
		.amdhsa_fp16_overflow 0
		.amdhsa_tg_split 0
		.amdhsa_exception_fp_ieee_invalid_op 0
		.amdhsa_exception_fp_denorm_src 0
		.amdhsa_exception_fp_ieee_div_zero 0
		.amdhsa_exception_fp_ieee_overflow 0
		.amdhsa_exception_fp_ieee_underflow 0
		.amdhsa_exception_fp_ieee_inexact 0
		.amdhsa_exception_int_div_zero 0
	.end_amdhsa_kernel
	.section	.text._ZN7rocprim17ROCPRIM_400000_NS6detail17trampoline_kernelINS0_14default_configENS1_25partition_config_selectorILNS1_17partition_subalgoE8ElNS0_10empty_typeEbEEZZNS1_14partition_implILS5_8ELb0ES3_jPlPS6_PKS6_NS0_5tupleIJS9_S6_EEENSD_IJSA_SA_EEENS0_18inequality_wrapperIZN2at6native12_GLOBAL__N_124unique_dim_cuda_templateImEESt5tupleIJNSH_6TensorESM_SM_EERKSM_lbbbEUlllE0_EEPmJS6_EEE10hipError_tPvRmT3_T4_T5_T6_T7_T9_mT8_P12ihipStream_tbDpT10_ENKUlT_T0_E_clISt17integral_constantIbLb0EES1B_IbLb1EEEEDaS17_S18_EUlS17_E_NS1_11comp_targetILNS1_3genE2ELNS1_11target_archE906ELNS1_3gpuE6ELNS1_3repE0EEENS1_30default_config_static_selectorELNS0_4arch9wavefront6targetE1EEEvT1_,"axG",@progbits,_ZN7rocprim17ROCPRIM_400000_NS6detail17trampoline_kernelINS0_14default_configENS1_25partition_config_selectorILNS1_17partition_subalgoE8ElNS0_10empty_typeEbEEZZNS1_14partition_implILS5_8ELb0ES3_jPlPS6_PKS6_NS0_5tupleIJS9_S6_EEENSD_IJSA_SA_EEENS0_18inequality_wrapperIZN2at6native12_GLOBAL__N_124unique_dim_cuda_templateImEESt5tupleIJNSH_6TensorESM_SM_EERKSM_lbbbEUlllE0_EEPmJS6_EEE10hipError_tPvRmT3_T4_T5_T6_T7_T9_mT8_P12ihipStream_tbDpT10_ENKUlT_T0_E_clISt17integral_constantIbLb0EES1B_IbLb1EEEEDaS17_S18_EUlS17_E_NS1_11comp_targetILNS1_3genE2ELNS1_11target_archE906ELNS1_3gpuE6ELNS1_3repE0EEENS1_30default_config_static_selectorELNS0_4arch9wavefront6targetE1EEEvT1_,comdat
.Lfunc_end1702:
	.size	_ZN7rocprim17ROCPRIM_400000_NS6detail17trampoline_kernelINS0_14default_configENS1_25partition_config_selectorILNS1_17partition_subalgoE8ElNS0_10empty_typeEbEEZZNS1_14partition_implILS5_8ELb0ES3_jPlPS6_PKS6_NS0_5tupleIJS9_S6_EEENSD_IJSA_SA_EEENS0_18inequality_wrapperIZN2at6native12_GLOBAL__N_124unique_dim_cuda_templateImEESt5tupleIJNSH_6TensorESM_SM_EERKSM_lbbbEUlllE0_EEPmJS6_EEE10hipError_tPvRmT3_T4_T5_T6_T7_T9_mT8_P12ihipStream_tbDpT10_ENKUlT_T0_E_clISt17integral_constantIbLb0EES1B_IbLb1EEEEDaS17_S18_EUlS17_E_NS1_11comp_targetILNS1_3genE2ELNS1_11target_archE906ELNS1_3gpuE6ELNS1_3repE0EEENS1_30default_config_static_selectorELNS0_4arch9wavefront6targetE1EEEvT1_, .Lfunc_end1702-_ZN7rocprim17ROCPRIM_400000_NS6detail17trampoline_kernelINS0_14default_configENS1_25partition_config_selectorILNS1_17partition_subalgoE8ElNS0_10empty_typeEbEEZZNS1_14partition_implILS5_8ELb0ES3_jPlPS6_PKS6_NS0_5tupleIJS9_S6_EEENSD_IJSA_SA_EEENS0_18inequality_wrapperIZN2at6native12_GLOBAL__N_124unique_dim_cuda_templateImEESt5tupleIJNSH_6TensorESM_SM_EERKSM_lbbbEUlllE0_EEPmJS6_EEE10hipError_tPvRmT3_T4_T5_T6_T7_T9_mT8_P12ihipStream_tbDpT10_ENKUlT_T0_E_clISt17integral_constantIbLb0EES1B_IbLb1EEEEDaS17_S18_EUlS17_E_NS1_11comp_targetILNS1_3genE2ELNS1_11target_archE906ELNS1_3gpuE6ELNS1_3repE0EEENS1_30default_config_static_selectorELNS0_4arch9wavefront6targetE1EEEvT1_
                                        ; -- End function
	.section	.AMDGPU.csdata,"",@progbits
; Kernel info:
; codeLenInByte = 0
; NumSgprs: 6
; NumVgprs: 0
; NumAgprs: 0
; TotalNumVgprs: 0
; ScratchSize: 0
; MemoryBound: 0
; FloatMode: 240
; IeeeMode: 1
; LDSByteSize: 0 bytes/workgroup (compile time only)
; SGPRBlocks: 0
; VGPRBlocks: 0
; NumSGPRsForWavesPerEU: 6
; NumVGPRsForWavesPerEU: 1
; AccumOffset: 4
; Occupancy: 8
; WaveLimiterHint : 0
; COMPUTE_PGM_RSRC2:SCRATCH_EN: 0
; COMPUTE_PGM_RSRC2:USER_SGPR: 2
; COMPUTE_PGM_RSRC2:TRAP_HANDLER: 0
; COMPUTE_PGM_RSRC2:TGID_X_EN: 1
; COMPUTE_PGM_RSRC2:TGID_Y_EN: 0
; COMPUTE_PGM_RSRC2:TGID_Z_EN: 0
; COMPUTE_PGM_RSRC2:TIDIG_COMP_CNT: 0
; COMPUTE_PGM_RSRC3_GFX90A:ACCUM_OFFSET: 0
; COMPUTE_PGM_RSRC3_GFX90A:TG_SPLIT: 0
	.section	.text._ZN7rocprim17ROCPRIM_400000_NS6detail17trampoline_kernelINS0_14default_configENS1_25partition_config_selectorILNS1_17partition_subalgoE8ElNS0_10empty_typeEbEEZZNS1_14partition_implILS5_8ELb0ES3_jPlPS6_PKS6_NS0_5tupleIJS9_S6_EEENSD_IJSA_SA_EEENS0_18inequality_wrapperIZN2at6native12_GLOBAL__N_124unique_dim_cuda_templateImEESt5tupleIJNSH_6TensorESM_SM_EERKSM_lbbbEUlllE0_EEPmJS6_EEE10hipError_tPvRmT3_T4_T5_T6_T7_T9_mT8_P12ihipStream_tbDpT10_ENKUlT_T0_E_clISt17integral_constantIbLb0EES1B_IbLb1EEEEDaS17_S18_EUlS17_E_NS1_11comp_targetILNS1_3genE10ELNS1_11target_archE1200ELNS1_3gpuE4ELNS1_3repE0EEENS1_30default_config_static_selectorELNS0_4arch9wavefront6targetE1EEEvT1_,"axG",@progbits,_ZN7rocprim17ROCPRIM_400000_NS6detail17trampoline_kernelINS0_14default_configENS1_25partition_config_selectorILNS1_17partition_subalgoE8ElNS0_10empty_typeEbEEZZNS1_14partition_implILS5_8ELb0ES3_jPlPS6_PKS6_NS0_5tupleIJS9_S6_EEENSD_IJSA_SA_EEENS0_18inequality_wrapperIZN2at6native12_GLOBAL__N_124unique_dim_cuda_templateImEESt5tupleIJNSH_6TensorESM_SM_EERKSM_lbbbEUlllE0_EEPmJS6_EEE10hipError_tPvRmT3_T4_T5_T6_T7_T9_mT8_P12ihipStream_tbDpT10_ENKUlT_T0_E_clISt17integral_constantIbLb0EES1B_IbLb1EEEEDaS17_S18_EUlS17_E_NS1_11comp_targetILNS1_3genE10ELNS1_11target_archE1200ELNS1_3gpuE4ELNS1_3repE0EEENS1_30default_config_static_selectorELNS0_4arch9wavefront6targetE1EEEvT1_,comdat
	.globl	_ZN7rocprim17ROCPRIM_400000_NS6detail17trampoline_kernelINS0_14default_configENS1_25partition_config_selectorILNS1_17partition_subalgoE8ElNS0_10empty_typeEbEEZZNS1_14partition_implILS5_8ELb0ES3_jPlPS6_PKS6_NS0_5tupleIJS9_S6_EEENSD_IJSA_SA_EEENS0_18inequality_wrapperIZN2at6native12_GLOBAL__N_124unique_dim_cuda_templateImEESt5tupleIJNSH_6TensorESM_SM_EERKSM_lbbbEUlllE0_EEPmJS6_EEE10hipError_tPvRmT3_T4_T5_T6_T7_T9_mT8_P12ihipStream_tbDpT10_ENKUlT_T0_E_clISt17integral_constantIbLb0EES1B_IbLb1EEEEDaS17_S18_EUlS17_E_NS1_11comp_targetILNS1_3genE10ELNS1_11target_archE1200ELNS1_3gpuE4ELNS1_3repE0EEENS1_30default_config_static_selectorELNS0_4arch9wavefront6targetE1EEEvT1_ ; -- Begin function _ZN7rocprim17ROCPRIM_400000_NS6detail17trampoline_kernelINS0_14default_configENS1_25partition_config_selectorILNS1_17partition_subalgoE8ElNS0_10empty_typeEbEEZZNS1_14partition_implILS5_8ELb0ES3_jPlPS6_PKS6_NS0_5tupleIJS9_S6_EEENSD_IJSA_SA_EEENS0_18inequality_wrapperIZN2at6native12_GLOBAL__N_124unique_dim_cuda_templateImEESt5tupleIJNSH_6TensorESM_SM_EERKSM_lbbbEUlllE0_EEPmJS6_EEE10hipError_tPvRmT3_T4_T5_T6_T7_T9_mT8_P12ihipStream_tbDpT10_ENKUlT_T0_E_clISt17integral_constantIbLb0EES1B_IbLb1EEEEDaS17_S18_EUlS17_E_NS1_11comp_targetILNS1_3genE10ELNS1_11target_archE1200ELNS1_3gpuE4ELNS1_3repE0EEENS1_30default_config_static_selectorELNS0_4arch9wavefront6targetE1EEEvT1_
	.p2align	8
	.type	_ZN7rocprim17ROCPRIM_400000_NS6detail17trampoline_kernelINS0_14default_configENS1_25partition_config_selectorILNS1_17partition_subalgoE8ElNS0_10empty_typeEbEEZZNS1_14partition_implILS5_8ELb0ES3_jPlPS6_PKS6_NS0_5tupleIJS9_S6_EEENSD_IJSA_SA_EEENS0_18inequality_wrapperIZN2at6native12_GLOBAL__N_124unique_dim_cuda_templateImEESt5tupleIJNSH_6TensorESM_SM_EERKSM_lbbbEUlllE0_EEPmJS6_EEE10hipError_tPvRmT3_T4_T5_T6_T7_T9_mT8_P12ihipStream_tbDpT10_ENKUlT_T0_E_clISt17integral_constantIbLb0EES1B_IbLb1EEEEDaS17_S18_EUlS17_E_NS1_11comp_targetILNS1_3genE10ELNS1_11target_archE1200ELNS1_3gpuE4ELNS1_3repE0EEENS1_30default_config_static_selectorELNS0_4arch9wavefront6targetE1EEEvT1_,@function
_ZN7rocprim17ROCPRIM_400000_NS6detail17trampoline_kernelINS0_14default_configENS1_25partition_config_selectorILNS1_17partition_subalgoE8ElNS0_10empty_typeEbEEZZNS1_14partition_implILS5_8ELb0ES3_jPlPS6_PKS6_NS0_5tupleIJS9_S6_EEENSD_IJSA_SA_EEENS0_18inequality_wrapperIZN2at6native12_GLOBAL__N_124unique_dim_cuda_templateImEESt5tupleIJNSH_6TensorESM_SM_EERKSM_lbbbEUlllE0_EEPmJS6_EEE10hipError_tPvRmT3_T4_T5_T6_T7_T9_mT8_P12ihipStream_tbDpT10_ENKUlT_T0_E_clISt17integral_constantIbLb0EES1B_IbLb1EEEEDaS17_S18_EUlS17_E_NS1_11comp_targetILNS1_3genE10ELNS1_11target_archE1200ELNS1_3gpuE4ELNS1_3repE0EEENS1_30default_config_static_selectorELNS0_4arch9wavefront6targetE1EEEvT1_: ; @_ZN7rocprim17ROCPRIM_400000_NS6detail17trampoline_kernelINS0_14default_configENS1_25partition_config_selectorILNS1_17partition_subalgoE8ElNS0_10empty_typeEbEEZZNS1_14partition_implILS5_8ELb0ES3_jPlPS6_PKS6_NS0_5tupleIJS9_S6_EEENSD_IJSA_SA_EEENS0_18inequality_wrapperIZN2at6native12_GLOBAL__N_124unique_dim_cuda_templateImEESt5tupleIJNSH_6TensorESM_SM_EERKSM_lbbbEUlllE0_EEPmJS6_EEE10hipError_tPvRmT3_T4_T5_T6_T7_T9_mT8_P12ihipStream_tbDpT10_ENKUlT_T0_E_clISt17integral_constantIbLb0EES1B_IbLb1EEEEDaS17_S18_EUlS17_E_NS1_11comp_targetILNS1_3genE10ELNS1_11target_archE1200ELNS1_3gpuE4ELNS1_3repE0EEENS1_30default_config_static_selectorELNS0_4arch9wavefront6targetE1EEEvT1_
; %bb.0:
	.section	.rodata,"a",@progbits
	.p2align	6, 0x0
	.amdhsa_kernel _ZN7rocprim17ROCPRIM_400000_NS6detail17trampoline_kernelINS0_14default_configENS1_25partition_config_selectorILNS1_17partition_subalgoE8ElNS0_10empty_typeEbEEZZNS1_14partition_implILS5_8ELb0ES3_jPlPS6_PKS6_NS0_5tupleIJS9_S6_EEENSD_IJSA_SA_EEENS0_18inequality_wrapperIZN2at6native12_GLOBAL__N_124unique_dim_cuda_templateImEESt5tupleIJNSH_6TensorESM_SM_EERKSM_lbbbEUlllE0_EEPmJS6_EEE10hipError_tPvRmT3_T4_T5_T6_T7_T9_mT8_P12ihipStream_tbDpT10_ENKUlT_T0_E_clISt17integral_constantIbLb0EES1B_IbLb1EEEEDaS17_S18_EUlS17_E_NS1_11comp_targetILNS1_3genE10ELNS1_11target_archE1200ELNS1_3gpuE4ELNS1_3repE0EEENS1_30default_config_static_selectorELNS0_4arch9wavefront6targetE1EEEvT1_
		.amdhsa_group_segment_fixed_size 0
		.amdhsa_private_segment_fixed_size 0
		.amdhsa_kernarg_size 136
		.amdhsa_user_sgpr_count 2
		.amdhsa_user_sgpr_dispatch_ptr 0
		.amdhsa_user_sgpr_queue_ptr 0
		.amdhsa_user_sgpr_kernarg_segment_ptr 1
		.amdhsa_user_sgpr_dispatch_id 0
		.amdhsa_user_sgpr_kernarg_preload_length 0
		.amdhsa_user_sgpr_kernarg_preload_offset 0
		.amdhsa_user_sgpr_private_segment_size 0
		.amdhsa_uses_dynamic_stack 0
		.amdhsa_enable_private_segment 0
		.amdhsa_system_sgpr_workgroup_id_x 1
		.amdhsa_system_sgpr_workgroup_id_y 0
		.amdhsa_system_sgpr_workgroup_id_z 0
		.amdhsa_system_sgpr_workgroup_info 0
		.amdhsa_system_vgpr_workitem_id 0
		.amdhsa_next_free_vgpr 1
		.amdhsa_next_free_sgpr 0
		.amdhsa_accum_offset 4
		.amdhsa_reserve_vcc 0
		.amdhsa_float_round_mode_32 0
		.amdhsa_float_round_mode_16_64 0
		.amdhsa_float_denorm_mode_32 3
		.amdhsa_float_denorm_mode_16_64 3
		.amdhsa_dx10_clamp 1
		.amdhsa_ieee_mode 1
		.amdhsa_fp16_overflow 0
		.amdhsa_tg_split 0
		.amdhsa_exception_fp_ieee_invalid_op 0
		.amdhsa_exception_fp_denorm_src 0
		.amdhsa_exception_fp_ieee_div_zero 0
		.amdhsa_exception_fp_ieee_overflow 0
		.amdhsa_exception_fp_ieee_underflow 0
		.amdhsa_exception_fp_ieee_inexact 0
		.amdhsa_exception_int_div_zero 0
	.end_amdhsa_kernel
	.section	.text._ZN7rocprim17ROCPRIM_400000_NS6detail17trampoline_kernelINS0_14default_configENS1_25partition_config_selectorILNS1_17partition_subalgoE8ElNS0_10empty_typeEbEEZZNS1_14partition_implILS5_8ELb0ES3_jPlPS6_PKS6_NS0_5tupleIJS9_S6_EEENSD_IJSA_SA_EEENS0_18inequality_wrapperIZN2at6native12_GLOBAL__N_124unique_dim_cuda_templateImEESt5tupleIJNSH_6TensorESM_SM_EERKSM_lbbbEUlllE0_EEPmJS6_EEE10hipError_tPvRmT3_T4_T5_T6_T7_T9_mT8_P12ihipStream_tbDpT10_ENKUlT_T0_E_clISt17integral_constantIbLb0EES1B_IbLb1EEEEDaS17_S18_EUlS17_E_NS1_11comp_targetILNS1_3genE10ELNS1_11target_archE1200ELNS1_3gpuE4ELNS1_3repE0EEENS1_30default_config_static_selectorELNS0_4arch9wavefront6targetE1EEEvT1_,"axG",@progbits,_ZN7rocprim17ROCPRIM_400000_NS6detail17trampoline_kernelINS0_14default_configENS1_25partition_config_selectorILNS1_17partition_subalgoE8ElNS0_10empty_typeEbEEZZNS1_14partition_implILS5_8ELb0ES3_jPlPS6_PKS6_NS0_5tupleIJS9_S6_EEENSD_IJSA_SA_EEENS0_18inequality_wrapperIZN2at6native12_GLOBAL__N_124unique_dim_cuda_templateImEESt5tupleIJNSH_6TensorESM_SM_EERKSM_lbbbEUlllE0_EEPmJS6_EEE10hipError_tPvRmT3_T4_T5_T6_T7_T9_mT8_P12ihipStream_tbDpT10_ENKUlT_T0_E_clISt17integral_constantIbLb0EES1B_IbLb1EEEEDaS17_S18_EUlS17_E_NS1_11comp_targetILNS1_3genE10ELNS1_11target_archE1200ELNS1_3gpuE4ELNS1_3repE0EEENS1_30default_config_static_selectorELNS0_4arch9wavefront6targetE1EEEvT1_,comdat
.Lfunc_end1703:
	.size	_ZN7rocprim17ROCPRIM_400000_NS6detail17trampoline_kernelINS0_14default_configENS1_25partition_config_selectorILNS1_17partition_subalgoE8ElNS0_10empty_typeEbEEZZNS1_14partition_implILS5_8ELb0ES3_jPlPS6_PKS6_NS0_5tupleIJS9_S6_EEENSD_IJSA_SA_EEENS0_18inequality_wrapperIZN2at6native12_GLOBAL__N_124unique_dim_cuda_templateImEESt5tupleIJNSH_6TensorESM_SM_EERKSM_lbbbEUlllE0_EEPmJS6_EEE10hipError_tPvRmT3_T4_T5_T6_T7_T9_mT8_P12ihipStream_tbDpT10_ENKUlT_T0_E_clISt17integral_constantIbLb0EES1B_IbLb1EEEEDaS17_S18_EUlS17_E_NS1_11comp_targetILNS1_3genE10ELNS1_11target_archE1200ELNS1_3gpuE4ELNS1_3repE0EEENS1_30default_config_static_selectorELNS0_4arch9wavefront6targetE1EEEvT1_, .Lfunc_end1703-_ZN7rocprim17ROCPRIM_400000_NS6detail17trampoline_kernelINS0_14default_configENS1_25partition_config_selectorILNS1_17partition_subalgoE8ElNS0_10empty_typeEbEEZZNS1_14partition_implILS5_8ELb0ES3_jPlPS6_PKS6_NS0_5tupleIJS9_S6_EEENSD_IJSA_SA_EEENS0_18inequality_wrapperIZN2at6native12_GLOBAL__N_124unique_dim_cuda_templateImEESt5tupleIJNSH_6TensorESM_SM_EERKSM_lbbbEUlllE0_EEPmJS6_EEE10hipError_tPvRmT3_T4_T5_T6_T7_T9_mT8_P12ihipStream_tbDpT10_ENKUlT_T0_E_clISt17integral_constantIbLb0EES1B_IbLb1EEEEDaS17_S18_EUlS17_E_NS1_11comp_targetILNS1_3genE10ELNS1_11target_archE1200ELNS1_3gpuE4ELNS1_3repE0EEENS1_30default_config_static_selectorELNS0_4arch9wavefront6targetE1EEEvT1_
                                        ; -- End function
	.section	.AMDGPU.csdata,"",@progbits
; Kernel info:
; codeLenInByte = 0
; NumSgprs: 6
; NumVgprs: 0
; NumAgprs: 0
; TotalNumVgprs: 0
; ScratchSize: 0
; MemoryBound: 0
; FloatMode: 240
; IeeeMode: 1
; LDSByteSize: 0 bytes/workgroup (compile time only)
; SGPRBlocks: 0
; VGPRBlocks: 0
; NumSGPRsForWavesPerEU: 6
; NumVGPRsForWavesPerEU: 1
; AccumOffset: 4
; Occupancy: 8
; WaveLimiterHint : 0
; COMPUTE_PGM_RSRC2:SCRATCH_EN: 0
; COMPUTE_PGM_RSRC2:USER_SGPR: 2
; COMPUTE_PGM_RSRC2:TRAP_HANDLER: 0
; COMPUTE_PGM_RSRC2:TGID_X_EN: 1
; COMPUTE_PGM_RSRC2:TGID_Y_EN: 0
; COMPUTE_PGM_RSRC2:TGID_Z_EN: 0
; COMPUTE_PGM_RSRC2:TIDIG_COMP_CNT: 0
; COMPUTE_PGM_RSRC3_GFX90A:ACCUM_OFFSET: 0
; COMPUTE_PGM_RSRC3_GFX90A:TG_SPLIT: 0
	.section	.text._ZN7rocprim17ROCPRIM_400000_NS6detail17trampoline_kernelINS0_14default_configENS1_25partition_config_selectorILNS1_17partition_subalgoE8ElNS0_10empty_typeEbEEZZNS1_14partition_implILS5_8ELb0ES3_jPlPS6_PKS6_NS0_5tupleIJS9_S6_EEENSD_IJSA_SA_EEENS0_18inequality_wrapperIZN2at6native12_GLOBAL__N_124unique_dim_cuda_templateImEESt5tupleIJNSH_6TensorESM_SM_EERKSM_lbbbEUlllE0_EEPmJS6_EEE10hipError_tPvRmT3_T4_T5_T6_T7_T9_mT8_P12ihipStream_tbDpT10_ENKUlT_T0_E_clISt17integral_constantIbLb0EES1B_IbLb1EEEEDaS17_S18_EUlS17_E_NS1_11comp_targetILNS1_3genE9ELNS1_11target_archE1100ELNS1_3gpuE3ELNS1_3repE0EEENS1_30default_config_static_selectorELNS0_4arch9wavefront6targetE1EEEvT1_,"axG",@progbits,_ZN7rocprim17ROCPRIM_400000_NS6detail17trampoline_kernelINS0_14default_configENS1_25partition_config_selectorILNS1_17partition_subalgoE8ElNS0_10empty_typeEbEEZZNS1_14partition_implILS5_8ELb0ES3_jPlPS6_PKS6_NS0_5tupleIJS9_S6_EEENSD_IJSA_SA_EEENS0_18inequality_wrapperIZN2at6native12_GLOBAL__N_124unique_dim_cuda_templateImEESt5tupleIJNSH_6TensorESM_SM_EERKSM_lbbbEUlllE0_EEPmJS6_EEE10hipError_tPvRmT3_T4_T5_T6_T7_T9_mT8_P12ihipStream_tbDpT10_ENKUlT_T0_E_clISt17integral_constantIbLb0EES1B_IbLb1EEEEDaS17_S18_EUlS17_E_NS1_11comp_targetILNS1_3genE9ELNS1_11target_archE1100ELNS1_3gpuE3ELNS1_3repE0EEENS1_30default_config_static_selectorELNS0_4arch9wavefront6targetE1EEEvT1_,comdat
	.globl	_ZN7rocprim17ROCPRIM_400000_NS6detail17trampoline_kernelINS0_14default_configENS1_25partition_config_selectorILNS1_17partition_subalgoE8ElNS0_10empty_typeEbEEZZNS1_14partition_implILS5_8ELb0ES3_jPlPS6_PKS6_NS0_5tupleIJS9_S6_EEENSD_IJSA_SA_EEENS0_18inequality_wrapperIZN2at6native12_GLOBAL__N_124unique_dim_cuda_templateImEESt5tupleIJNSH_6TensorESM_SM_EERKSM_lbbbEUlllE0_EEPmJS6_EEE10hipError_tPvRmT3_T4_T5_T6_T7_T9_mT8_P12ihipStream_tbDpT10_ENKUlT_T0_E_clISt17integral_constantIbLb0EES1B_IbLb1EEEEDaS17_S18_EUlS17_E_NS1_11comp_targetILNS1_3genE9ELNS1_11target_archE1100ELNS1_3gpuE3ELNS1_3repE0EEENS1_30default_config_static_selectorELNS0_4arch9wavefront6targetE1EEEvT1_ ; -- Begin function _ZN7rocprim17ROCPRIM_400000_NS6detail17trampoline_kernelINS0_14default_configENS1_25partition_config_selectorILNS1_17partition_subalgoE8ElNS0_10empty_typeEbEEZZNS1_14partition_implILS5_8ELb0ES3_jPlPS6_PKS6_NS0_5tupleIJS9_S6_EEENSD_IJSA_SA_EEENS0_18inequality_wrapperIZN2at6native12_GLOBAL__N_124unique_dim_cuda_templateImEESt5tupleIJNSH_6TensorESM_SM_EERKSM_lbbbEUlllE0_EEPmJS6_EEE10hipError_tPvRmT3_T4_T5_T6_T7_T9_mT8_P12ihipStream_tbDpT10_ENKUlT_T0_E_clISt17integral_constantIbLb0EES1B_IbLb1EEEEDaS17_S18_EUlS17_E_NS1_11comp_targetILNS1_3genE9ELNS1_11target_archE1100ELNS1_3gpuE3ELNS1_3repE0EEENS1_30default_config_static_selectorELNS0_4arch9wavefront6targetE1EEEvT1_
	.p2align	8
	.type	_ZN7rocprim17ROCPRIM_400000_NS6detail17trampoline_kernelINS0_14default_configENS1_25partition_config_selectorILNS1_17partition_subalgoE8ElNS0_10empty_typeEbEEZZNS1_14partition_implILS5_8ELb0ES3_jPlPS6_PKS6_NS0_5tupleIJS9_S6_EEENSD_IJSA_SA_EEENS0_18inequality_wrapperIZN2at6native12_GLOBAL__N_124unique_dim_cuda_templateImEESt5tupleIJNSH_6TensorESM_SM_EERKSM_lbbbEUlllE0_EEPmJS6_EEE10hipError_tPvRmT3_T4_T5_T6_T7_T9_mT8_P12ihipStream_tbDpT10_ENKUlT_T0_E_clISt17integral_constantIbLb0EES1B_IbLb1EEEEDaS17_S18_EUlS17_E_NS1_11comp_targetILNS1_3genE9ELNS1_11target_archE1100ELNS1_3gpuE3ELNS1_3repE0EEENS1_30default_config_static_selectorELNS0_4arch9wavefront6targetE1EEEvT1_,@function
_ZN7rocprim17ROCPRIM_400000_NS6detail17trampoline_kernelINS0_14default_configENS1_25partition_config_selectorILNS1_17partition_subalgoE8ElNS0_10empty_typeEbEEZZNS1_14partition_implILS5_8ELb0ES3_jPlPS6_PKS6_NS0_5tupleIJS9_S6_EEENSD_IJSA_SA_EEENS0_18inequality_wrapperIZN2at6native12_GLOBAL__N_124unique_dim_cuda_templateImEESt5tupleIJNSH_6TensorESM_SM_EERKSM_lbbbEUlllE0_EEPmJS6_EEE10hipError_tPvRmT3_T4_T5_T6_T7_T9_mT8_P12ihipStream_tbDpT10_ENKUlT_T0_E_clISt17integral_constantIbLb0EES1B_IbLb1EEEEDaS17_S18_EUlS17_E_NS1_11comp_targetILNS1_3genE9ELNS1_11target_archE1100ELNS1_3gpuE3ELNS1_3repE0EEENS1_30default_config_static_selectorELNS0_4arch9wavefront6targetE1EEEvT1_: ; @_ZN7rocprim17ROCPRIM_400000_NS6detail17trampoline_kernelINS0_14default_configENS1_25partition_config_selectorILNS1_17partition_subalgoE8ElNS0_10empty_typeEbEEZZNS1_14partition_implILS5_8ELb0ES3_jPlPS6_PKS6_NS0_5tupleIJS9_S6_EEENSD_IJSA_SA_EEENS0_18inequality_wrapperIZN2at6native12_GLOBAL__N_124unique_dim_cuda_templateImEESt5tupleIJNSH_6TensorESM_SM_EERKSM_lbbbEUlllE0_EEPmJS6_EEE10hipError_tPvRmT3_T4_T5_T6_T7_T9_mT8_P12ihipStream_tbDpT10_ENKUlT_T0_E_clISt17integral_constantIbLb0EES1B_IbLb1EEEEDaS17_S18_EUlS17_E_NS1_11comp_targetILNS1_3genE9ELNS1_11target_archE1100ELNS1_3gpuE3ELNS1_3repE0EEENS1_30default_config_static_selectorELNS0_4arch9wavefront6targetE1EEEvT1_
; %bb.0:
	.section	.rodata,"a",@progbits
	.p2align	6, 0x0
	.amdhsa_kernel _ZN7rocprim17ROCPRIM_400000_NS6detail17trampoline_kernelINS0_14default_configENS1_25partition_config_selectorILNS1_17partition_subalgoE8ElNS0_10empty_typeEbEEZZNS1_14partition_implILS5_8ELb0ES3_jPlPS6_PKS6_NS0_5tupleIJS9_S6_EEENSD_IJSA_SA_EEENS0_18inequality_wrapperIZN2at6native12_GLOBAL__N_124unique_dim_cuda_templateImEESt5tupleIJNSH_6TensorESM_SM_EERKSM_lbbbEUlllE0_EEPmJS6_EEE10hipError_tPvRmT3_T4_T5_T6_T7_T9_mT8_P12ihipStream_tbDpT10_ENKUlT_T0_E_clISt17integral_constantIbLb0EES1B_IbLb1EEEEDaS17_S18_EUlS17_E_NS1_11comp_targetILNS1_3genE9ELNS1_11target_archE1100ELNS1_3gpuE3ELNS1_3repE0EEENS1_30default_config_static_selectorELNS0_4arch9wavefront6targetE1EEEvT1_
		.amdhsa_group_segment_fixed_size 0
		.amdhsa_private_segment_fixed_size 0
		.amdhsa_kernarg_size 136
		.amdhsa_user_sgpr_count 2
		.amdhsa_user_sgpr_dispatch_ptr 0
		.amdhsa_user_sgpr_queue_ptr 0
		.amdhsa_user_sgpr_kernarg_segment_ptr 1
		.amdhsa_user_sgpr_dispatch_id 0
		.amdhsa_user_sgpr_kernarg_preload_length 0
		.amdhsa_user_sgpr_kernarg_preload_offset 0
		.amdhsa_user_sgpr_private_segment_size 0
		.amdhsa_uses_dynamic_stack 0
		.amdhsa_enable_private_segment 0
		.amdhsa_system_sgpr_workgroup_id_x 1
		.amdhsa_system_sgpr_workgroup_id_y 0
		.amdhsa_system_sgpr_workgroup_id_z 0
		.amdhsa_system_sgpr_workgroup_info 0
		.amdhsa_system_vgpr_workitem_id 0
		.amdhsa_next_free_vgpr 1
		.amdhsa_next_free_sgpr 0
		.amdhsa_accum_offset 4
		.amdhsa_reserve_vcc 0
		.amdhsa_float_round_mode_32 0
		.amdhsa_float_round_mode_16_64 0
		.amdhsa_float_denorm_mode_32 3
		.amdhsa_float_denorm_mode_16_64 3
		.amdhsa_dx10_clamp 1
		.amdhsa_ieee_mode 1
		.amdhsa_fp16_overflow 0
		.amdhsa_tg_split 0
		.amdhsa_exception_fp_ieee_invalid_op 0
		.amdhsa_exception_fp_denorm_src 0
		.amdhsa_exception_fp_ieee_div_zero 0
		.amdhsa_exception_fp_ieee_overflow 0
		.amdhsa_exception_fp_ieee_underflow 0
		.amdhsa_exception_fp_ieee_inexact 0
		.amdhsa_exception_int_div_zero 0
	.end_amdhsa_kernel
	.section	.text._ZN7rocprim17ROCPRIM_400000_NS6detail17trampoline_kernelINS0_14default_configENS1_25partition_config_selectorILNS1_17partition_subalgoE8ElNS0_10empty_typeEbEEZZNS1_14partition_implILS5_8ELb0ES3_jPlPS6_PKS6_NS0_5tupleIJS9_S6_EEENSD_IJSA_SA_EEENS0_18inequality_wrapperIZN2at6native12_GLOBAL__N_124unique_dim_cuda_templateImEESt5tupleIJNSH_6TensorESM_SM_EERKSM_lbbbEUlllE0_EEPmJS6_EEE10hipError_tPvRmT3_T4_T5_T6_T7_T9_mT8_P12ihipStream_tbDpT10_ENKUlT_T0_E_clISt17integral_constantIbLb0EES1B_IbLb1EEEEDaS17_S18_EUlS17_E_NS1_11comp_targetILNS1_3genE9ELNS1_11target_archE1100ELNS1_3gpuE3ELNS1_3repE0EEENS1_30default_config_static_selectorELNS0_4arch9wavefront6targetE1EEEvT1_,"axG",@progbits,_ZN7rocprim17ROCPRIM_400000_NS6detail17trampoline_kernelINS0_14default_configENS1_25partition_config_selectorILNS1_17partition_subalgoE8ElNS0_10empty_typeEbEEZZNS1_14partition_implILS5_8ELb0ES3_jPlPS6_PKS6_NS0_5tupleIJS9_S6_EEENSD_IJSA_SA_EEENS0_18inequality_wrapperIZN2at6native12_GLOBAL__N_124unique_dim_cuda_templateImEESt5tupleIJNSH_6TensorESM_SM_EERKSM_lbbbEUlllE0_EEPmJS6_EEE10hipError_tPvRmT3_T4_T5_T6_T7_T9_mT8_P12ihipStream_tbDpT10_ENKUlT_T0_E_clISt17integral_constantIbLb0EES1B_IbLb1EEEEDaS17_S18_EUlS17_E_NS1_11comp_targetILNS1_3genE9ELNS1_11target_archE1100ELNS1_3gpuE3ELNS1_3repE0EEENS1_30default_config_static_selectorELNS0_4arch9wavefront6targetE1EEEvT1_,comdat
.Lfunc_end1704:
	.size	_ZN7rocprim17ROCPRIM_400000_NS6detail17trampoline_kernelINS0_14default_configENS1_25partition_config_selectorILNS1_17partition_subalgoE8ElNS0_10empty_typeEbEEZZNS1_14partition_implILS5_8ELb0ES3_jPlPS6_PKS6_NS0_5tupleIJS9_S6_EEENSD_IJSA_SA_EEENS0_18inequality_wrapperIZN2at6native12_GLOBAL__N_124unique_dim_cuda_templateImEESt5tupleIJNSH_6TensorESM_SM_EERKSM_lbbbEUlllE0_EEPmJS6_EEE10hipError_tPvRmT3_T4_T5_T6_T7_T9_mT8_P12ihipStream_tbDpT10_ENKUlT_T0_E_clISt17integral_constantIbLb0EES1B_IbLb1EEEEDaS17_S18_EUlS17_E_NS1_11comp_targetILNS1_3genE9ELNS1_11target_archE1100ELNS1_3gpuE3ELNS1_3repE0EEENS1_30default_config_static_selectorELNS0_4arch9wavefront6targetE1EEEvT1_, .Lfunc_end1704-_ZN7rocprim17ROCPRIM_400000_NS6detail17trampoline_kernelINS0_14default_configENS1_25partition_config_selectorILNS1_17partition_subalgoE8ElNS0_10empty_typeEbEEZZNS1_14partition_implILS5_8ELb0ES3_jPlPS6_PKS6_NS0_5tupleIJS9_S6_EEENSD_IJSA_SA_EEENS0_18inequality_wrapperIZN2at6native12_GLOBAL__N_124unique_dim_cuda_templateImEESt5tupleIJNSH_6TensorESM_SM_EERKSM_lbbbEUlllE0_EEPmJS6_EEE10hipError_tPvRmT3_T4_T5_T6_T7_T9_mT8_P12ihipStream_tbDpT10_ENKUlT_T0_E_clISt17integral_constantIbLb0EES1B_IbLb1EEEEDaS17_S18_EUlS17_E_NS1_11comp_targetILNS1_3genE9ELNS1_11target_archE1100ELNS1_3gpuE3ELNS1_3repE0EEENS1_30default_config_static_selectorELNS0_4arch9wavefront6targetE1EEEvT1_
                                        ; -- End function
	.section	.AMDGPU.csdata,"",@progbits
; Kernel info:
; codeLenInByte = 0
; NumSgprs: 6
; NumVgprs: 0
; NumAgprs: 0
; TotalNumVgprs: 0
; ScratchSize: 0
; MemoryBound: 0
; FloatMode: 240
; IeeeMode: 1
; LDSByteSize: 0 bytes/workgroup (compile time only)
; SGPRBlocks: 0
; VGPRBlocks: 0
; NumSGPRsForWavesPerEU: 6
; NumVGPRsForWavesPerEU: 1
; AccumOffset: 4
; Occupancy: 8
; WaveLimiterHint : 0
; COMPUTE_PGM_RSRC2:SCRATCH_EN: 0
; COMPUTE_PGM_RSRC2:USER_SGPR: 2
; COMPUTE_PGM_RSRC2:TRAP_HANDLER: 0
; COMPUTE_PGM_RSRC2:TGID_X_EN: 1
; COMPUTE_PGM_RSRC2:TGID_Y_EN: 0
; COMPUTE_PGM_RSRC2:TGID_Z_EN: 0
; COMPUTE_PGM_RSRC2:TIDIG_COMP_CNT: 0
; COMPUTE_PGM_RSRC3_GFX90A:ACCUM_OFFSET: 0
; COMPUTE_PGM_RSRC3_GFX90A:TG_SPLIT: 0
	.section	.text._ZN7rocprim17ROCPRIM_400000_NS6detail17trampoline_kernelINS0_14default_configENS1_25partition_config_selectorILNS1_17partition_subalgoE8ElNS0_10empty_typeEbEEZZNS1_14partition_implILS5_8ELb0ES3_jPlPS6_PKS6_NS0_5tupleIJS9_S6_EEENSD_IJSA_SA_EEENS0_18inequality_wrapperIZN2at6native12_GLOBAL__N_124unique_dim_cuda_templateImEESt5tupleIJNSH_6TensorESM_SM_EERKSM_lbbbEUlllE0_EEPmJS6_EEE10hipError_tPvRmT3_T4_T5_T6_T7_T9_mT8_P12ihipStream_tbDpT10_ENKUlT_T0_E_clISt17integral_constantIbLb0EES1B_IbLb1EEEEDaS17_S18_EUlS17_E_NS1_11comp_targetILNS1_3genE8ELNS1_11target_archE1030ELNS1_3gpuE2ELNS1_3repE0EEENS1_30default_config_static_selectorELNS0_4arch9wavefront6targetE1EEEvT1_,"axG",@progbits,_ZN7rocprim17ROCPRIM_400000_NS6detail17trampoline_kernelINS0_14default_configENS1_25partition_config_selectorILNS1_17partition_subalgoE8ElNS0_10empty_typeEbEEZZNS1_14partition_implILS5_8ELb0ES3_jPlPS6_PKS6_NS0_5tupleIJS9_S6_EEENSD_IJSA_SA_EEENS0_18inequality_wrapperIZN2at6native12_GLOBAL__N_124unique_dim_cuda_templateImEESt5tupleIJNSH_6TensorESM_SM_EERKSM_lbbbEUlllE0_EEPmJS6_EEE10hipError_tPvRmT3_T4_T5_T6_T7_T9_mT8_P12ihipStream_tbDpT10_ENKUlT_T0_E_clISt17integral_constantIbLb0EES1B_IbLb1EEEEDaS17_S18_EUlS17_E_NS1_11comp_targetILNS1_3genE8ELNS1_11target_archE1030ELNS1_3gpuE2ELNS1_3repE0EEENS1_30default_config_static_selectorELNS0_4arch9wavefront6targetE1EEEvT1_,comdat
	.globl	_ZN7rocprim17ROCPRIM_400000_NS6detail17trampoline_kernelINS0_14default_configENS1_25partition_config_selectorILNS1_17partition_subalgoE8ElNS0_10empty_typeEbEEZZNS1_14partition_implILS5_8ELb0ES3_jPlPS6_PKS6_NS0_5tupleIJS9_S6_EEENSD_IJSA_SA_EEENS0_18inequality_wrapperIZN2at6native12_GLOBAL__N_124unique_dim_cuda_templateImEESt5tupleIJNSH_6TensorESM_SM_EERKSM_lbbbEUlllE0_EEPmJS6_EEE10hipError_tPvRmT3_T4_T5_T6_T7_T9_mT8_P12ihipStream_tbDpT10_ENKUlT_T0_E_clISt17integral_constantIbLb0EES1B_IbLb1EEEEDaS17_S18_EUlS17_E_NS1_11comp_targetILNS1_3genE8ELNS1_11target_archE1030ELNS1_3gpuE2ELNS1_3repE0EEENS1_30default_config_static_selectorELNS0_4arch9wavefront6targetE1EEEvT1_ ; -- Begin function _ZN7rocprim17ROCPRIM_400000_NS6detail17trampoline_kernelINS0_14default_configENS1_25partition_config_selectorILNS1_17partition_subalgoE8ElNS0_10empty_typeEbEEZZNS1_14partition_implILS5_8ELb0ES3_jPlPS6_PKS6_NS0_5tupleIJS9_S6_EEENSD_IJSA_SA_EEENS0_18inequality_wrapperIZN2at6native12_GLOBAL__N_124unique_dim_cuda_templateImEESt5tupleIJNSH_6TensorESM_SM_EERKSM_lbbbEUlllE0_EEPmJS6_EEE10hipError_tPvRmT3_T4_T5_T6_T7_T9_mT8_P12ihipStream_tbDpT10_ENKUlT_T0_E_clISt17integral_constantIbLb0EES1B_IbLb1EEEEDaS17_S18_EUlS17_E_NS1_11comp_targetILNS1_3genE8ELNS1_11target_archE1030ELNS1_3gpuE2ELNS1_3repE0EEENS1_30default_config_static_selectorELNS0_4arch9wavefront6targetE1EEEvT1_
	.p2align	8
	.type	_ZN7rocprim17ROCPRIM_400000_NS6detail17trampoline_kernelINS0_14default_configENS1_25partition_config_selectorILNS1_17partition_subalgoE8ElNS0_10empty_typeEbEEZZNS1_14partition_implILS5_8ELb0ES3_jPlPS6_PKS6_NS0_5tupleIJS9_S6_EEENSD_IJSA_SA_EEENS0_18inequality_wrapperIZN2at6native12_GLOBAL__N_124unique_dim_cuda_templateImEESt5tupleIJNSH_6TensorESM_SM_EERKSM_lbbbEUlllE0_EEPmJS6_EEE10hipError_tPvRmT3_T4_T5_T6_T7_T9_mT8_P12ihipStream_tbDpT10_ENKUlT_T0_E_clISt17integral_constantIbLb0EES1B_IbLb1EEEEDaS17_S18_EUlS17_E_NS1_11comp_targetILNS1_3genE8ELNS1_11target_archE1030ELNS1_3gpuE2ELNS1_3repE0EEENS1_30default_config_static_selectorELNS0_4arch9wavefront6targetE1EEEvT1_,@function
_ZN7rocprim17ROCPRIM_400000_NS6detail17trampoline_kernelINS0_14default_configENS1_25partition_config_selectorILNS1_17partition_subalgoE8ElNS0_10empty_typeEbEEZZNS1_14partition_implILS5_8ELb0ES3_jPlPS6_PKS6_NS0_5tupleIJS9_S6_EEENSD_IJSA_SA_EEENS0_18inequality_wrapperIZN2at6native12_GLOBAL__N_124unique_dim_cuda_templateImEESt5tupleIJNSH_6TensorESM_SM_EERKSM_lbbbEUlllE0_EEPmJS6_EEE10hipError_tPvRmT3_T4_T5_T6_T7_T9_mT8_P12ihipStream_tbDpT10_ENKUlT_T0_E_clISt17integral_constantIbLb0EES1B_IbLb1EEEEDaS17_S18_EUlS17_E_NS1_11comp_targetILNS1_3genE8ELNS1_11target_archE1030ELNS1_3gpuE2ELNS1_3repE0EEENS1_30default_config_static_selectorELNS0_4arch9wavefront6targetE1EEEvT1_: ; @_ZN7rocprim17ROCPRIM_400000_NS6detail17trampoline_kernelINS0_14default_configENS1_25partition_config_selectorILNS1_17partition_subalgoE8ElNS0_10empty_typeEbEEZZNS1_14partition_implILS5_8ELb0ES3_jPlPS6_PKS6_NS0_5tupleIJS9_S6_EEENSD_IJSA_SA_EEENS0_18inequality_wrapperIZN2at6native12_GLOBAL__N_124unique_dim_cuda_templateImEESt5tupleIJNSH_6TensorESM_SM_EERKSM_lbbbEUlllE0_EEPmJS6_EEE10hipError_tPvRmT3_T4_T5_T6_T7_T9_mT8_P12ihipStream_tbDpT10_ENKUlT_T0_E_clISt17integral_constantIbLb0EES1B_IbLb1EEEEDaS17_S18_EUlS17_E_NS1_11comp_targetILNS1_3genE8ELNS1_11target_archE1030ELNS1_3gpuE2ELNS1_3repE0EEENS1_30default_config_static_selectorELNS0_4arch9wavefront6targetE1EEEvT1_
; %bb.0:
	.section	.rodata,"a",@progbits
	.p2align	6, 0x0
	.amdhsa_kernel _ZN7rocprim17ROCPRIM_400000_NS6detail17trampoline_kernelINS0_14default_configENS1_25partition_config_selectorILNS1_17partition_subalgoE8ElNS0_10empty_typeEbEEZZNS1_14partition_implILS5_8ELb0ES3_jPlPS6_PKS6_NS0_5tupleIJS9_S6_EEENSD_IJSA_SA_EEENS0_18inequality_wrapperIZN2at6native12_GLOBAL__N_124unique_dim_cuda_templateImEESt5tupleIJNSH_6TensorESM_SM_EERKSM_lbbbEUlllE0_EEPmJS6_EEE10hipError_tPvRmT3_T4_T5_T6_T7_T9_mT8_P12ihipStream_tbDpT10_ENKUlT_T0_E_clISt17integral_constantIbLb0EES1B_IbLb1EEEEDaS17_S18_EUlS17_E_NS1_11comp_targetILNS1_3genE8ELNS1_11target_archE1030ELNS1_3gpuE2ELNS1_3repE0EEENS1_30default_config_static_selectorELNS0_4arch9wavefront6targetE1EEEvT1_
		.amdhsa_group_segment_fixed_size 0
		.amdhsa_private_segment_fixed_size 0
		.amdhsa_kernarg_size 136
		.amdhsa_user_sgpr_count 2
		.amdhsa_user_sgpr_dispatch_ptr 0
		.amdhsa_user_sgpr_queue_ptr 0
		.amdhsa_user_sgpr_kernarg_segment_ptr 1
		.amdhsa_user_sgpr_dispatch_id 0
		.amdhsa_user_sgpr_kernarg_preload_length 0
		.amdhsa_user_sgpr_kernarg_preload_offset 0
		.amdhsa_user_sgpr_private_segment_size 0
		.amdhsa_uses_dynamic_stack 0
		.amdhsa_enable_private_segment 0
		.amdhsa_system_sgpr_workgroup_id_x 1
		.amdhsa_system_sgpr_workgroup_id_y 0
		.amdhsa_system_sgpr_workgroup_id_z 0
		.amdhsa_system_sgpr_workgroup_info 0
		.amdhsa_system_vgpr_workitem_id 0
		.amdhsa_next_free_vgpr 1
		.amdhsa_next_free_sgpr 0
		.amdhsa_accum_offset 4
		.amdhsa_reserve_vcc 0
		.amdhsa_float_round_mode_32 0
		.amdhsa_float_round_mode_16_64 0
		.amdhsa_float_denorm_mode_32 3
		.amdhsa_float_denorm_mode_16_64 3
		.amdhsa_dx10_clamp 1
		.amdhsa_ieee_mode 1
		.amdhsa_fp16_overflow 0
		.amdhsa_tg_split 0
		.amdhsa_exception_fp_ieee_invalid_op 0
		.amdhsa_exception_fp_denorm_src 0
		.amdhsa_exception_fp_ieee_div_zero 0
		.amdhsa_exception_fp_ieee_overflow 0
		.amdhsa_exception_fp_ieee_underflow 0
		.amdhsa_exception_fp_ieee_inexact 0
		.amdhsa_exception_int_div_zero 0
	.end_amdhsa_kernel
	.section	.text._ZN7rocprim17ROCPRIM_400000_NS6detail17trampoline_kernelINS0_14default_configENS1_25partition_config_selectorILNS1_17partition_subalgoE8ElNS0_10empty_typeEbEEZZNS1_14partition_implILS5_8ELb0ES3_jPlPS6_PKS6_NS0_5tupleIJS9_S6_EEENSD_IJSA_SA_EEENS0_18inequality_wrapperIZN2at6native12_GLOBAL__N_124unique_dim_cuda_templateImEESt5tupleIJNSH_6TensorESM_SM_EERKSM_lbbbEUlllE0_EEPmJS6_EEE10hipError_tPvRmT3_T4_T5_T6_T7_T9_mT8_P12ihipStream_tbDpT10_ENKUlT_T0_E_clISt17integral_constantIbLb0EES1B_IbLb1EEEEDaS17_S18_EUlS17_E_NS1_11comp_targetILNS1_3genE8ELNS1_11target_archE1030ELNS1_3gpuE2ELNS1_3repE0EEENS1_30default_config_static_selectorELNS0_4arch9wavefront6targetE1EEEvT1_,"axG",@progbits,_ZN7rocprim17ROCPRIM_400000_NS6detail17trampoline_kernelINS0_14default_configENS1_25partition_config_selectorILNS1_17partition_subalgoE8ElNS0_10empty_typeEbEEZZNS1_14partition_implILS5_8ELb0ES3_jPlPS6_PKS6_NS0_5tupleIJS9_S6_EEENSD_IJSA_SA_EEENS0_18inequality_wrapperIZN2at6native12_GLOBAL__N_124unique_dim_cuda_templateImEESt5tupleIJNSH_6TensorESM_SM_EERKSM_lbbbEUlllE0_EEPmJS6_EEE10hipError_tPvRmT3_T4_T5_T6_T7_T9_mT8_P12ihipStream_tbDpT10_ENKUlT_T0_E_clISt17integral_constantIbLb0EES1B_IbLb1EEEEDaS17_S18_EUlS17_E_NS1_11comp_targetILNS1_3genE8ELNS1_11target_archE1030ELNS1_3gpuE2ELNS1_3repE0EEENS1_30default_config_static_selectorELNS0_4arch9wavefront6targetE1EEEvT1_,comdat
.Lfunc_end1705:
	.size	_ZN7rocprim17ROCPRIM_400000_NS6detail17trampoline_kernelINS0_14default_configENS1_25partition_config_selectorILNS1_17partition_subalgoE8ElNS0_10empty_typeEbEEZZNS1_14partition_implILS5_8ELb0ES3_jPlPS6_PKS6_NS0_5tupleIJS9_S6_EEENSD_IJSA_SA_EEENS0_18inequality_wrapperIZN2at6native12_GLOBAL__N_124unique_dim_cuda_templateImEESt5tupleIJNSH_6TensorESM_SM_EERKSM_lbbbEUlllE0_EEPmJS6_EEE10hipError_tPvRmT3_T4_T5_T6_T7_T9_mT8_P12ihipStream_tbDpT10_ENKUlT_T0_E_clISt17integral_constantIbLb0EES1B_IbLb1EEEEDaS17_S18_EUlS17_E_NS1_11comp_targetILNS1_3genE8ELNS1_11target_archE1030ELNS1_3gpuE2ELNS1_3repE0EEENS1_30default_config_static_selectorELNS0_4arch9wavefront6targetE1EEEvT1_, .Lfunc_end1705-_ZN7rocprim17ROCPRIM_400000_NS6detail17trampoline_kernelINS0_14default_configENS1_25partition_config_selectorILNS1_17partition_subalgoE8ElNS0_10empty_typeEbEEZZNS1_14partition_implILS5_8ELb0ES3_jPlPS6_PKS6_NS0_5tupleIJS9_S6_EEENSD_IJSA_SA_EEENS0_18inequality_wrapperIZN2at6native12_GLOBAL__N_124unique_dim_cuda_templateImEESt5tupleIJNSH_6TensorESM_SM_EERKSM_lbbbEUlllE0_EEPmJS6_EEE10hipError_tPvRmT3_T4_T5_T6_T7_T9_mT8_P12ihipStream_tbDpT10_ENKUlT_T0_E_clISt17integral_constantIbLb0EES1B_IbLb1EEEEDaS17_S18_EUlS17_E_NS1_11comp_targetILNS1_3genE8ELNS1_11target_archE1030ELNS1_3gpuE2ELNS1_3repE0EEENS1_30default_config_static_selectorELNS0_4arch9wavefront6targetE1EEEvT1_
                                        ; -- End function
	.section	.AMDGPU.csdata,"",@progbits
; Kernel info:
; codeLenInByte = 0
; NumSgprs: 6
; NumVgprs: 0
; NumAgprs: 0
; TotalNumVgprs: 0
; ScratchSize: 0
; MemoryBound: 0
; FloatMode: 240
; IeeeMode: 1
; LDSByteSize: 0 bytes/workgroup (compile time only)
; SGPRBlocks: 0
; VGPRBlocks: 0
; NumSGPRsForWavesPerEU: 6
; NumVGPRsForWavesPerEU: 1
; AccumOffset: 4
; Occupancy: 8
; WaveLimiterHint : 0
; COMPUTE_PGM_RSRC2:SCRATCH_EN: 0
; COMPUTE_PGM_RSRC2:USER_SGPR: 2
; COMPUTE_PGM_RSRC2:TRAP_HANDLER: 0
; COMPUTE_PGM_RSRC2:TGID_X_EN: 1
; COMPUTE_PGM_RSRC2:TGID_Y_EN: 0
; COMPUTE_PGM_RSRC2:TGID_Z_EN: 0
; COMPUTE_PGM_RSRC2:TIDIG_COMP_CNT: 0
; COMPUTE_PGM_RSRC3_GFX90A:ACCUM_OFFSET: 0
; COMPUTE_PGM_RSRC3_GFX90A:TG_SPLIT: 0
	.section	.text._ZN7rocprim17ROCPRIM_400000_NS6detail17trampoline_kernelINS0_14default_configENS1_25partition_config_selectorILNS1_17partition_subalgoE9EllbEEZZNS1_14partition_implILS5_9ELb0ES3_jPlS8_PNS0_10empty_typeENS0_5tupleIJS8_S9_EEENSB_IJS8_SA_EEENS0_18inequality_wrapperIZN2at6native12_GLOBAL__N_124unique_dim_cuda_templateImEESt5tupleIJNSF_6TensorESK_SK_EERKSK_lbbbEUlllE0_EEPmJS9_EEE10hipError_tPvRmT3_T4_T5_T6_T7_T9_mT8_P12ihipStream_tbDpT10_ENKUlT_T0_E_clISt17integral_constantIbLb0EES1A_EEDaS15_S16_EUlS15_E_NS1_11comp_targetILNS1_3genE0ELNS1_11target_archE4294967295ELNS1_3gpuE0ELNS1_3repE0EEENS1_30default_config_static_selectorELNS0_4arch9wavefront6targetE1EEEvT1_,"axG",@progbits,_ZN7rocprim17ROCPRIM_400000_NS6detail17trampoline_kernelINS0_14default_configENS1_25partition_config_selectorILNS1_17partition_subalgoE9EllbEEZZNS1_14partition_implILS5_9ELb0ES3_jPlS8_PNS0_10empty_typeENS0_5tupleIJS8_S9_EEENSB_IJS8_SA_EEENS0_18inequality_wrapperIZN2at6native12_GLOBAL__N_124unique_dim_cuda_templateImEESt5tupleIJNSF_6TensorESK_SK_EERKSK_lbbbEUlllE0_EEPmJS9_EEE10hipError_tPvRmT3_T4_T5_T6_T7_T9_mT8_P12ihipStream_tbDpT10_ENKUlT_T0_E_clISt17integral_constantIbLb0EES1A_EEDaS15_S16_EUlS15_E_NS1_11comp_targetILNS1_3genE0ELNS1_11target_archE4294967295ELNS1_3gpuE0ELNS1_3repE0EEENS1_30default_config_static_selectorELNS0_4arch9wavefront6targetE1EEEvT1_,comdat
	.globl	_ZN7rocprim17ROCPRIM_400000_NS6detail17trampoline_kernelINS0_14default_configENS1_25partition_config_selectorILNS1_17partition_subalgoE9EllbEEZZNS1_14partition_implILS5_9ELb0ES3_jPlS8_PNS0_10empty_typeENS0_5tupleIJS8_S9_EEENSB_IJS8_SA_EEENS0_18inequality_wrapperIZN2at6native12_GLOBAL__N_124unique_dim_cuda_templateImEESt5tupleIJNSF_6TensorESK_SK_EERKSK_lbbbEUlllE0_EEPmJS9_EEE10hipError_tPvRmT3_T4_T5_T6_T7_T9_mT8_P12ihipStream_tbDpT10_ENKUlT_T0_E_clISt17integral_constantIbLb0EES1A_EEDaS15_S16_EUlS15_E_NS1_11comp_targetILNS1_3genE0ELNS1_11target_archE4294967295ELNS1_3gpuE0ELNS1_3repE0EEENS1_30default_config_static_selectorELNS0_4arch9wavefront6targetE1EEEvT1_ ; -- Begin function _ZN7rocprim17ROCPRIM_400000_NS6detail17trampoline_kernelINS0_14default_configENS1_25partition_config_selectorILNS1_17partition_subalgoE9EllbEEZZNS1_14partition_implILS5_9ELb0ES3_jPlS8_PNS0_10empty_typeENS0_5tupleIJS8_S9_EEENSB_IJS8_SA_EEENS0_18inequality_wrapperIZN2at6native12_GLOBAL__N_124unique_dim_cuda_templateImEESt5tupleIJNSF_6TensorESK_SK_EERKSK_lbbbEUlllE0_EEPmJS9_EEE10hipError_tPvRmT3_T4_T5_T6_T7_T9_mT8_P12ihipStream_tbDpT10_ENKUlT_T0_E_clISt17integral_constantIbLb0EES1A_EEDaS15_S16_EUlS15_E_NS1_11comp_targetILNS1_3genE0ELNS1_11target_archE4294967295ELNS1_3gpuE0ELNS1_3repE0EEENS1_30default_config_static_selectorELNS0_4arch9wavefront6targetE1EEEvT1_
	.p2align	8
	.type	_ZN7rocprim17ROCPRIM_400000_NS6detail17trampoline_kernelINS0_14default_configENS1_25partition_config_selectorILNS1_17partition_subalgoE9EllbEEZZNS1_14partition_implILS5_9ELb0ES3_jPlS8_PNS0_10empty_typeENS0_5tupleIJS8_S9_EEENSB_IJS8_SA_EEENS0_18inequality_wrapperIZN2at6native12_GLOBAL__N_124unique_dim_cuda_templateImEESt5tupleIJNSF_6TensorESK_SK_EERKSK_lbbbEUlllE0_EEPmJS9_EEE10hipError_tPvRmT3_T4_T5_T6_T7_T9_mT8_P12ihipStream_tbDpT10_ENKUlT_T0_E_clISt17integral_constantIbLb0EES1A_EEDaS15_S16_EUlS15_E_NS1_11comp_targetILNS1_3genE0ELNS1_11target_archE4294967295ELNS1_3gpuE0ELNS1_3repE0EEENS1_30default_config_static_selectorELNS0_4arch9wavefront6targetE1EEEvT1_,@function
_ZN7rocprim17ROCPRIM_400000_NS6detail17trampoline_kernelINS0_14default_configENS1_25partition_config_selectorILNS1_17partition_subalgoE9EllbEEZZNS1_14partition_implILS5_9ELb0ES3_jPlS8_PNS0_10empty_typeENS0_5tupleIJS8_S9_EEENSB_IJS8_SA_EEENS0_18inequality_wrapperIZN2at6native12_GLOBAL__N_124unique_dim_cuda_templateImEESt5tupleIJNSF_6TensorESK_SK_EERKSK_lbbbEUlllE0_EEPmJS9_EEE10hipError_tPvRmT3_T4_T5_T6_T7_T9_mT8_P12ihipStream_tbDpT10_ENKUlT_T0_E_clISt17integral_constantIbLb0EES1A_EEDaS15_S16_EUlS15_E_NS1_11comp_targetILNS1_3genE0ELNS1_11target_archE4294967295ELNS1_3gpuE0ELNS1_3repE0EEENS1_30default_config_static_selectorELNS0_4arch9wavefront6targetE1EEEvT1_: ; @_ZN7rocprim17ROCPRIM_400000_NS6detail17trampoline_kernelINS0_14default_configENS1_25partition_config_selectorILNS1_17partition_subalgoE9EllbEEZZNS1_14partition_implILS5_9ELb0ES3_jPlS8_PNS0_10empty_typeENS0_5tupleIJS8_S9_EEENSB_IJS8_SA_EEENS0_18inequality_wrapperIZN2at6native12_GLOBAL__N_124unique_dim_cuda_templateImEESt5tupleIJNSF_6TensorESK_SK_EERKSK_lbbbEUlllE0_EEPmJS9_EEE10hipError_tPvRmT3_T4_T5_T6_T7_T9_mT8_P12ihipStream_tbDpT10_ENKUlT_T0_E_clISt17integral_constantIbLb0EES1A_EEDaS15_S16_EUlS15_E_NS1_11comp_targetILNS1_3genE0ELNS1_11target_archE4294967295ELNS1_3gpuE0ELNS1_3repE0EEENS1_30default_config_static_selectorELNS0_4arch9wavefront6targetE1EEEvT1_
; %bb.0:
	.section	.rodata,"a",@progbits
	.p2align	6, 0x0
	.amdhsa_kernel _ZN7rocprim17ROCPRIM_400000_NS6detail17trampoline_kernelINS0_14default_configENS1_25partition_config_selectorILNS1_17partition_subalgoE9EllbEEZZNS1_14partition_implILS5_9ELb0ES3_jPlS8_PNS0_10empty_typeENS0_5tupleIJS8_S9_EEENSB_IJS8_SA_EEENS0_18inequality_wrapperIZN2at6native12_GLOBAL__N_124unique_dim_cuda_templateImEESt5tupleIJNSF_6TensorESK_SK_EERKSK_lbbbEUlllE0_EEPmJS9_EEE10hipError_tPvRmT3_T4_T5_T6_T7_T9_mT8_P12ihipStream_tbDpT10_ENKUlT_T0_E_clISt17integral_constantIbLb0EES1A_EEDaS15_S16_EUlS15_E_NS1_11comp_targetILNS1_3genE0ELNS1_11target_archE4294967295ELNS1_3gpuE0ELNS1_3repE0EEENS1_30default_config_static_selectorELNS0_4arch9wavefront6targetE1EEEvT1_
		.amdhsa_group_segment_fixed_size 0
		.amdhsa_private_segment_fixed_size 0
		.amdhsa_kernarg_size 120
		.amdhsa_user_sgpr_count 2
		.amdhsa_user_sgpr_dispatch_ptr 0
		.amdhsa_user_sgpr_queue_ptr 0
		.amdhsa_user_sgpr_kernarg_segment_ptr 1
		.amdhsa_user_sgpr_dispatch_id 0
		.amdhsa_user_sgpr_kernarg_preload_length 0
		.amdhsa_user_sgpr_kernarg_preload_offset 0
		.amdhsa_user_sgpr_private_segment_size 0
		.amdhsa_uses_dynamic_stack 0
		.amdhsa_enable_private_segment 0
		.amdhsa_system_sgpr_workgroup_id_x 1
		.amdhsa_system_sgpr_workgroup_id_y 0
		.amdhsa_system_sgpr_workgroup_id_z 0
		.amdhsa_system_sgpr_workgroup_info 0
		.amdhsa_system_vgpr_workitem_id 0
		.amdhsa_next_free_vgpr 1
		.amdhsa_next_free_sgpr 0
		.amdhsa_accum_offset 4
		.amdhsa_reserve_vcc 0
		.amdhsa_float_round_mode_32 0
		.amdhsa_float_round_mode_16_64 0
		.amdhsa_float_denorm_mode_32 3
		.amdhsa_float_denorm_mode_16_64 3
		.amdhsa_dx10_clamp 1
		.amdhsa_ieee_mode 1
		.amdhsa_fp16_overflow 0
		.amdhsa_tg_split 0
		.amdhsa_exception_fp_ieee_invalid_op 0
		.amdhsa_exception_fp_denorm_src 0
		.amdhsa_exception_fp_ieee_div_zero 0
		.amdhsa_exception_fp_ieee_overflow 0
		.amdhsa_exception_fp_ieee_underflow 0
		.amdhsa_exception_fp_ieee_inexact 0
		.amdhsa_exception_int_div_zero 0
	.end_amdhsa_kernel
	.section	.text._ZN7rocprim17ROCPRIM_400000_NS6detail17trampoline_kernelINS0_14default_configENS1_25partition_config_selectorILNS1_17partition_subalgoE9EllbEEZZNS1_14partition_implILS5_9ELb0ES3_jPlS8_PNS0_10empty_typeENS0_5tupleIJS8_S9_EEENSB_IJS8_SA_EEENS0_18inequality_wrapperIZN2at6native12_GLOBAL__N_124unique_dim_cuda_templateImEESt5tupleIJNSF_6TensorESK_SK_EERKSK_lbbbEUlllE0_EEPmJS9_EEE10hipError_tPvRmT3_T4_T5_T6_T7_T9_mT8_P12ihipStream_tbDpT10_ENKUlT_T0_E_clISt17integral_constantIbLb0EES1A_EEDaS15_S16_EUlS15_E_NS1_11comp_targetILNS1_3genE0ELNS1_11target_archE4294967295ELNS1_3gpuE0ELNS1_3repE0EEENS1_30default_config_static_selectorELNS0_4arch9wavefront6targetE1EEEvT1_,"axG",@progbits,_ZN7rocprim17ROCPRIM_400000_NS6detail17trampoline_kernelINS0_14default_configENS1_25partition_config_selectorILNS1_17partition_subalgoE9EllbEEZZNS1_14partition_implILS5_9ELb0ES3_jPlS8_PNS0_10empty_typeENS0_5tupleIJS8_S9_EEENSB_IJS8_SA_EEENS0_18inequality_wrapperIZN2at6native12_GLOBAL__N_124unique_dim_cuda_templateImEESt5tupleIJNSF_6TensorESK_SK_EERKSK_lbbbEUlllE0_EEPmJS9_EEE10hipError_tPvRmT3_T4_T5_T6_T7_T9_mT8_P12ihipStream_tbDpT10_ENKUlT_T0_E_clISt17integral_constantIbLb0EES1A_EEDaS15_S16_EUlS15_E_NS1_11comp_targetILNS1_3genE0ELNS1_11target_archE4294967295ELNS1_3gpuE0ELNS1_3repE0EEENS1_30default_config_static_selectorELNS0_4arch9wavefront6targetE1EEEvT1_,comdat
.Lfunc_end1706:
	.size	_ZN7rocprim17ROCPRIM_400000_NS6detail17trampoline_kernelINS0_14default_configENS1_25partition_config_selectorILNS1_17partition_subalgoE9EllbEEZZNS1_14partition_implILS5_9ELb0ES3_jPlS8_PNS0_10empty_typeENS0_5tupleIJS8_S9_EEENSB_IJS8_SA_EEENS0_18inequality_wrapperIZN2at6native12_GLOBAL__N_124unique_dim_cuda_templateImEESt5tupleIJNSF_6TensorESK_SK_EERKSK_lbbbEUlllE0_EEPmJS9_EEE10hipError_tPvRmT3_T4_T5_T6_T7_T9_mT8_P12ihipStream_tbDpT10_ENKUlT_T0_E_clISt17integral_constantIbLb0EES1A_EEDaS15_S16_EUlS15_E_NS1_11comp_targetILNS1_3genE0ELNS1_11target_archE4294967295ELNS1_3gpuE0ELNS1_3repE0EEENS1_30default_config_static_selectorELNS0_4arch9wavefront6targetE1EEEvT1_, .Lfunc_end1706-_ZN7rocprim17ROCPRIM_400000_NS6detail17trampoline_kernelINS0_14default_configENS1_25partition_config_selectorILNS1_17partition_subalgoE9EllbEEZZNS1_14partition_implILS5_9ELb0ES3_jPlS8_PNS0_10empty_typeENS0_5tupleIJS8_S9_EEENSB_IJS8_SA_EEENS0_18inequality_wrapperIZN2at6native12_GLOBAL__N_124unique_dim_cuda_templateImEESt5tupleIJNSF_6TensorESK_SK_EERKSK_lbbbEUlllE0_EEPmJS9_EEE10hipError_tPvRmT3_T4_T5_T6_T7_T9_mT8_P12ihipStream_tbDpT10_ENKUlT_T0_E_clISt17integral_constantIbLb0EES1A_EEDaS15_S16_EUlS15_E_NS1_11comp_targetILNS1_3genE0ELNS1_11target_archE4294967295ELNS1_3gpuE0ELNS1_3repE0EEENS1_30default_config_static_selectorELNS0_4arch9wavefront6targetE1EEEvT1_
                                        ; -- End function
	.section	.AMDGPU.csdata,"",@progbits
; Kernel info:
; codeLenInByte = 0
; NumSgprs: 6
; NumVgprs: 0
; NumAgprs: 0
; TotalNumVgprs: 0
; ScratchSize: 0
; MemoryBound: 0
; FloatMode: 240
; IeeeMode: 1
; LDSByteSize: 0 bytes/workgroup (compile time only)
; SGPRBlocks: 0
; VGPRBlocks: 0
; NumSGPRsForWavesPerEU: 6
; NumVGPRsForWavesPerEU: 1
; AccumOffset: 4
; Occupancy: 8
; WaveLimiterHint : 0
; COMPUTE_PGM_RSRC2:SCRATCH_EN: 0
; COMPUTE_PGM_RSRC2:USER_SGPR: 2
; COMPUTE_PGM_RSRC2:TRAP_HANDLER: 0
; COMPUTE_PGM_RSRC2:TGID_X_EN: 1
; COMPUTE_PGM_RSRC2:TGID_Y_EN: 0
; COMPUTE_PGM_RSRC2:TGID_Z_EN: 0
; COMPUTE_PGM_RSRC2:TIDIG_COMP_CNT: 0
; COMPUTE_PGM_RSRC3_GFX90A:ACCUM_OFFSET: 0
; COMPUTE_PGM_RSRC3_GFX90A:TG_SPLIT: 0
	.section	.text._ZN7rocprim17ROCPRIM_400000_NS6detail17trampoline_kernelINS0_14default_configENS1_25partition_config_selectorILNS1_17partition_subalgoE9EllbEEZZNS1_14partition_implILS5_9ELb0ES3_jPlS8_PNS0_10empty_typeENS0_5tupleIJS8_S9_EEENSB_IJS8_SA_EEENS0_18inequality_wrapperIZN2at6native12_GLOBAL__N_124unique_dim_cuda_templateImEESt5tupleIJNSF_6TensorESK_SK_EERKSK_lbbbEUlllE0_EEPmJS9_EEE10hipError_tPvRmT3_T4_T5_T6_T7_T9_mT8_P12ihipStream_tbDpT10_ENKUlT_T0_E_clISt17integral_constantIbLb0EES1A_EEDaS15_S16_EUlS15_E_NS1_11comp_targetILNS1_3genE5ELNS1_11target_archE942ELNS1_3gpuE9ELNS1_3repE0EEENS1_30default_config_static_selectorELNS0_4arch9wavefront6targetE1EEEvT1_,"axG",@progbits,_ZN7rocprim17ROCPRIM_400000_NS6detail17trampoline_kernelINS0_14default_configENS1_25partition_config_selectorILNS1_17partition_subalgoE9EllbEEZZNS1_14partition_implILS5_9ELb0ES3_jPlS8_PNS0_10empty_typeENS0_5tupleIJS8_S9_EEENSB_IJS8_SA_EEENS0_18inequality_wrapperIZN2at6native12_GLOBAL__N_124unique_dim_cuda_templateImEESt5tupleIJNSF_6TensorESK_SK_EERKSK_lbbbEUlllE0_EEPmJS9_EEE10hipError_tPvRmT3_T4_T5_T6_T7_T9_mT8_P12ihipStream_tbDpT10_ENKUlT_T0_E_clISt17integral_constantIbLb0EES1A_EEDaS15_S16_EUlS15_E_NS1_11comp_targetILNS1_3genE5ELNS1_11target_archE942ELNS1_3gpuE9ELNS1_3repE0EEENS1_30default_config_static_selectorELNS0_4arch9wavefront6targetE1EEEvT1_,comdat
	.globl	_ZN7rocprim17ROCPRIM_400000_NS6detail17trampoline_kernelINS0_14default_configENS1_25partition_config_selectorILNS1_17partition_subalgoE9EllbEEZZNS1_14partition_implILS5_9ELb0ES3_jPlS8_PNS0_10empty_typeENS0_5tupleIJS8_S9_EEENSB_IJS8_SA_EEENS0_18inequality_wrapperIZN2at6native12_GLOBAL__N_124unique_dim_cuda_templateImEESt5tupleIJNSF_6TensorESK_SK_EERKSK_lbbbEUlllE0_EEPmJS9_EEE10hipError_tPvRmT3_T4_T5_T6_T7_T9_mT8_P12ihipStream_tbDpT10_ENKUlT_T0_E_clISt17integral_constantIbLb0EES1A_EEDaS15_S16_EUlS15_E_NS1_11comp_targetILNS1_3genE5ELNS1_11target_archE942ELNS1_3gpuE9ELNS1_3repE0EEENS1_30default_config_static_selectorELNS0_4arch9wavefront6targetE1EEEvT1_ ; -- Begin function _ZN7rocprim17ROCPRIM_400000_NS6detail17trampoline_kernelINS0_14default_configENS1_25partition_config_selectorILNS1_17partition_subalgoE9EllbEEZZNS1_14partition_implILS5_9ELb0ES3_jPlS8_PNS0_10empty_typeENS0_5tupleIJS8_S9_EEENSB_IJS8_SA_EEENS0_18inequality_wrapperIZN2at6native12_GLOBAL__N_124unique_dim_cuda_templateImEESt5tupleIJNSF_6TensorESK_SK_EERKSK_lbbbEUlllE0_EEPmJS9_EEE10hipError_tPvRmT3_T4_T5_T6_T7_T9_mT8_P12ihipStream_tbDpT10_ENKUlT_T0_E_clISt17integral_constantIbLb0EES1A_EEDaS15_S16_EUlS15_E_NS1_11comp_targetILNS1_3genE5ELNS1_11target_archE942ELNS1_3gpuE9ELNS1_3repE0EEENS1_30default_config_static_selectorELNS0_4arch9wavefront6targetE1EEEvT1_
	.p2align	8
	.type	_ZN7rocprim17ROCPRIM_400000_NS6detail17trampoline_kernelINS0_14default_configENS1_25partition_config_selectorILNS1_17partition_subalgoE9EllbEEZZNS1_14partition_implILS5_9ELb0ES3_jPlS8_PNS0_10empty_typeENS0_5tupleIJS8_S9_EEENSB_IJS8_SA_EEENS0_18inequality_wrapperIZN2at6native12_GLOBAL__N_124unique_dim_cuda_templateImEESt5tupleIJNSF_6TensorESK_SK_EERKSK_lbbbEUlllE0_EEPmJS9_EEE10hipError_tPvRmT3_T4_T5_T6_T7_T9_mT8_P12ihipStream_tbDpT10_ENKUlT_T0_E_clISt17integral_constantIbLb0EES1A_EEDaS15_S16_EUlS15_E_NS1_11comp_targetILNS1_3genE5ELNS1_11target_archE942ELNS1_3gpuE9ELNS1_3repE0EEENS1_30default_config_static_selectorELNS0_4arch9wavefront6targetE1EEEvT1_,@function
_ZN7rocprim17ROCPRIM_400000_NS6detail17trampoline_kernelINS0_14default_configENS1_25partition_config_selectorILNS1_17partition_subalgoE9EllbEEZZNS1_14partition_implILS5_9ELb0ES3_jPlS8_PNS0_10empty_typeENS0_5tupleIJS8_S9_EEENSB_IJS8_SA_EEENS0_18inequality_wrapperIZN2at6native12_GLOBAL__N_124unique_dim_cuda_templateImEESt5tupleIJNSF_6TensorESK_SK_EERKSK_lbbbEUlllE0_EEPmJS9_EEE10hipError_tPvRmT3_T4_T5_T6_T7_T9_mT8_P12ihipStream_tbDpT10_ENKUlT_T0_E_clISt17integral_constantIbLb0EES1A_EEDaS15_S16_EUlS15_E_NS1_11comp_targetILNS1_3genE5ELNS1_11target_archE942ELNS1_3gpuE9ELNS1_3repE0EEENS1_30default_config_static_selectorELNS0_4arch9wavefront6targetE1EEEvT1_: ; @_ZN7rocprim17ROCPRIM_400000_NS6detail17trampoline_kernelINS0_14default_configENS1_25partition_config_selectorILNS1_17partition_subalgoE9EllbEEZZNS1_14partition_implILS5_9ELb0ES3_jPlS8_PNS0_10empty_typeENS0_5tupleIJS8_S9_EEENSB_IJS8_SA_EEENS0_18inequality_wrapperIZN2at6native12_GLOBAL__N_124unique_dim_cuda_templateImEESt5tupleIJNSF_6TensorESK_SK_EERKSK_lbbbEUlllE0_EEPmJS9_EEE10hipError_tPvRmT3_T4_T5_T6_T7_T9_mT8_P12ihipStream_tbDpT10_ENKUlT_T0_E_clISt17integral_constantIbLb0EES1A_EEDaS15_S16_EUlS15_E_NS1_11comp_targetILNS1_3genE5ELNS1_11target_archE942ELNS1_3gpuE9ELNS1_3repE0EEENS1_30default_config_static_selectorELNS0_4arch9wavefront6targetE1EEEvT1_
; %bb.0:
	s_load_dwordx8 s[20:27], s[0:1], 0x40
	s_load_dwordx4 s[4:7], s[0:1], 0x8
	s_load_dwordx2 s[10:11], s[0:1], 0x18
	s_load_dword s3, s[0:1], 0x70
	s_mul_i32 s12, s2, 0xe00
	s_waitcnt lgkmcnt(0)
	v_mov_b32_e32 v2, s24
	s_lshl_b64 s[14:15], s[6:7], 3
	s_add_u32 s18, s4, s14
	s_mul_i32 s4, s3, 0xe00
	s_addc_u32 s19, s5, s15
	s_add_i32 s8, s3, -1
	s_add_i32 s3, s4, s6
	s_sub_i32 s3, s24, s3
	s_addk_i32 s3, 0xe00
	s_add_u32 s4, s6, s4
	s_addc_u32 s5, s7, 0
	v_mov_b32_e32 v3, s25
	s_cmp_eq_u32 s2, s8
	s_load_dwordx2 s[22:23], s[22:23], 0x0
	v_cmp_ge_u64_e32 vcc, s[4:5], v[2:3]
	s_cselect_b64 s[24:25], -1, 0
	s_mov_b32 s13, 0
	s_and_b64 s[8:9], s[24:25], vcc
	s_xor_b64 s[34:35], s[8:9], -1
	s_lshl_b64 s[16:17], s[12:13], 3
	s_add_u32 s12, s18, s16
	s_mov_b64 s[4:5], -1
	s_addc_u32 s13, s19, s17
	s_and_b64 vcc, exec, s[34:35]
	s_cbranch_vccz .LBB1707_2
; %bb.1:
	v_lshlrev_b32_e32 v2, 3, v0
	v_mov_b32_e32 v3, 0
	v_lshl_add_u64 v[4:5], s[12:13], 0, v[2:3]
	v_add_co_u32_e32 v8, vcc, 0x1000, v4
	global_load_dwordx2 v[6:7], v2, s[12:13]
	s_nop 0
	v_addc_co_u32_e32 v9, vcc, 0, v5, vcc
	v_add_co_u32_e32 v10, vcc, 0x2000, v4
	s_mov_b64 s[4:5], 0
	s_nop 0
	v_addc_co_u32_e32 v11, vcc, 0, v5, vcc
	v_add_co_u32_e32 v12, vcc, 0x3000, v4
	s_nop 1
	v_addc_co_u32_e32 v13, vcc, 0, v5, vcc
	v_add_co_u32_e32 v14, vcc, 0x4000, v4
	s_nop 1
	v_addc_co_u32_e32 v15, vcc, 0, v5, vcc
	global_load_dwordx2 v[16:17], v[8:9], off
	global_load_dwordx2 v[18:19], v[10:11], off
	;; [unrolled: 1-line block ×4, first 2 shown]
	v_add_co_u32_e32 v8, vcc, 0x5000, v4
	s_nop 1
	v_addc_co_u32_e32 v9, vcc, 0, v5, vcc
	v_add_co_u32_e32 v4, vcc, 0x6000, v4
	global_load_dwordx2 v[8:9], v[8:9], off
	s_nop 0
	v_addc_co_u32_e32 v5, vcc, 0, v5, vcc
	global_load_dwordx2 v[4:5], v[4:5], off
	s_waitcnt vmcnt(5)
	ds_write2st64_b64 v2, v[6:7], v[16:17] offset1:8
	s_waitcnt vmcnt(3)
	ds_write2st64_b64 v2, v[18:19], v[20:21] offset0:16 offset1:24
	s_waitcnt vmcnt(1)
	ds_write2st64_b64 v2, v[22:23], v[8:9] offset0:32 offset1:40
	s_waitcnt vmcnt(0)
	ds_write_b64 v2, v[4:5] offset:24576
	s_waitcnt lgkmcnt(0)
	s_barrier
.LBB1707_2:
	s_load_dwordx4 s[28:31], s[0:1], 0x60
	s_andn2_b64 vcc, exec, s[4:5]
	v_cmp_gt_u32_e64 s[4:5], s3, v0
	s_cbranch_vccnz .LBB1707_18
; %bb.3:
                                        ; implicit-def: $vgpr2_vgpr3_vgpr4_vgpr5_vgpr6_vgpr7_vgpr8_vgpr9_vgpr10_vgpr11_vgpr12_vgpr13_vgpr14_vgpr15_vgpr16_vgpr17
	s_and_saveexec_b64 s[18:19], s[4:5]
	s_cbranch_execz .LBB1707_5
; %bb.4:
	v_lshlrev_b32_e32 v1, 3, v0
	global_load_dwordx2 v[2:3], v1, s[12:13]
.LBB1707_5:
	s_or_b64 exec, exec, s[18:19]
	v_or_b32_e32 v1, 0x200, v0
	v_cmp_gt_u32_e32 vcc, s3, v1
	s_and_saveexec_b64 s[4:5], vcc
	s_cbranch_execz .LBB1707_7
; %bb.6:
	v_lshlrev_b32_e32 v1, 3, v1
	global_load_dwordx2 v[4:5], v1, s[12:13]
.LBB1707_7:
	s_or_b64 exec, exec, s[4:5]
	v_or_b32_e32 v1, 0x400, v0
	v_cmp_gt_u32_e32 vcc, s3, v1
	s_and_saveexec_b64 s[4:5], vcc
	;; [unrolled: 9-line block ×6, first 2 shown]
	s_cbranch_execz .LBB1707_17
; %bb.16:
	v_lshlrev_b32_e32 v1, 3, v1
	global_load_dwordx2 v[14:15], v1, s[12:13]
.LBB1707_17:
	s_or_b64 exec, exec, s[4:5]
	v_lshlrev_b32_e32 v1, 3, v0
	s_waitcnt vmcnt(0)
	ds_write2st64_b64 v1, v[2:3], v[4:5] offset1:8
	ds_write2st64_b64 v1, v[6:7], v[8:9] offset0:16 offset1:24
	ds_write2st64_b64 v1, v[10:11], v[12:13] offset0:32 offset1:40
	ds_write_b64 v1, v[14:15] offset:24576
	s_waitcnt lgkmcnt(0)
	s_barrier
.LBB1707_18:
	v_mul_u32_u24_e32 v1, 7, v0
	v_lshlrev_b32_e32 v44, 3, v1
	s_waitcnt lgkmcnt(0)
	ds_read2_b64 v[22:25], v44 offset1:1
	ds_read2_b64 v[18:21], v44 offset0:2 offset1:3
	ds_read2_b64 v[14:17], v44 offset0:4 offset1:5
	ds_read_b64 v[28:29], v44 offset:48
	s_add_u32 s4, s10, s14
	s_addc_u32 s5, s11, s15
	s_add_u32 s4, s4, s16
	s_addc_u32 s5, s5, s17
	s_mov_b64 s[10:11], -1
	s_and_b64 vcc, exec, s[34:35]
	s_waitcnt lgkmcnt(0)
	s_barrier
	s_cbranch_vccz .LBB1707_20
; %bb.19:
	v_lshlrev_b32_e32 v2, 3, v0
	v_mov_b32_e32 v3, 0
	v_lshl_add_u64 v[4:5], s[4:5], 0, v[2:3]
	v_add_co_u32_e32 v8, vcc, 0x1000, v4
	global_load_dwordx2 v[6:7], v2, s[4:5]
	s_nop 0
	v_addc_co_u32_e32 v9, vcc, 0, v5, vcc
	v_add_co_u32_e32 v10, vcc, 0x2000, v4
	s_mov_b64 s[10:11], 0
	s_nop 0
	v_addc_co_u32_e32 v11, vcc, 0, v5, vcc
	v_add_co_u32_e32 v12, vcc, 0x3000, v4
	s_nop 1
	v_addc_co_u32_e32 v13, vcc, 0, v5, vcc
	v_add_co_u32_e32 v26, vcc, 0x4000, v4
	s_nop 1
	v_addc_co_u32_e32 v27, vcc, 0, v5, vcc
	global_load_dwordx2 v[30:31], v[8:9], off
	global_load_dwordx2 v[32:33], v[10:11], off
	;; [unrolled: 1-line block ×4, first 2 shown]
	v_add_co_u32_e32 v8, vcc, 0x5000, v4
	s_nop 1
	v_addc_co_u32_e32 v9, vcc, 0, v5, vcc
	v_add_co_u32_e32 v4, vcc, 0x6000, v4
	global_load_dwordx2 v[8:9], v[8:9], off
	s_nop 0
	v_addc_co_u32_e32 v5, vcc, 0, v5, vcc
	global_load_dwordx2 v[4:5], v[4:5], off
	s_waitcnt vmcnt(5)
	ds_write2st64_b64 v2, v[6:7], v[30:31] offset1:8
	s_waitcnt vmcnt(3)
	ds_write2st64_b64 v2, v[32:33], v[34:35] offset0:16 offset1:24
	s_waitcnt vmcnt(1)
	ds_write2st64_b64 v2, v[36:37], v[8:9] offset0:32 offset1:40
	s_waitcnt vmcnt(0)
	ds_write_b64 v2, v[4:5] offset:24576
	s_waitcnt lgkmcnt(0)
	s_barrier
.LBB1707_20:
	s_andn2_b64 vcc, exec, s[10:11]
	s_cbranch_vccnz .LBB1707_36
; %bb.21:
	v_cmp_gt_u32_e32 vcc, s3, v0
                                        ; implicit-def: $vgpr2_vgpr3
	s_and_saveexec_b64 s[10:11], vcc
	s_cbranch_execz .LBB1707_23
; %bb.22:
	v_lshlrev_b32_e32 v2, 3, v0
	global_load_dwordx2 v[2:3], v2, s[4:5]
.LBB1707_23:
	s_or_b64 exec, exec, s[10:11]
	v_or_b32_e32 v6, 0x200, v0
	v_cmp_gt_u32_e32 vcc, s3, v6
                                        ; implicit-def: $vgpr4_vgpr5
	s_and_saveexec_b64 s[10:11], vcc
	s_cbranch_execz .LBB1707_25
; %bb.24:
	v_lshlrev_b32_e32 v4, 3, v6
	global_load_dwordx2 v[4:5], v4, s[4:5]
.LBB1707_25:
	s_or_b64 exec, exec, s[10:11]
	v_or_b32_e32 v8, 0x400, v0
	v_cmp_gt_u32_e32 vcc, s3, v8
                                        ; implicit-def: $vgpr6_vgpr7
	s_and_saveexec_b64 s[10:11], vcc
	s_cbranch_execz .LBB1707_27
; %bb.26:
	v_lshlrev_b32_e32 v6, 3, v8
	global_load_dwordx2 v[6:7], v6, s[4:5]
.LBB1707_27:
	s_or_b64 exec, exec, s[10:11]
	v_or_b32_e32 v10, 0x600, v0
	v_cmp_gt_u32_e32 vcc, s3, v10
                                        ; implicit-def: $vgpr8_vgpr9
	s_and_saveexec_b64 s[10:11], vcc
	s_cbranch_execz .LBB1707_29
; %bb.28:
	v_lshlrev_b32_e32 v8, 3, v10
	global_load_dwordx2 v[8:9], v8, s[4:5]
.LBB1707_29:
	s_or_b64 exec, exec, s[10:11]
	v_or_b32_e32 v12, 0x800, v0
	v_cmp_gt_u32_e32 vcc, s3, v12
                                        ; implicit-def: $vgpr10_vgpr11
	s_and_saveexec_b64 s[10:11], vcc
	s_cbranch_execz .LBB1707_31
; %bb.30:
	v_lshlrev_b32_e32 v10, 3, v12
	global_load_dwordx2 v[10:11], v10, s[4:5]
.LBB1707_31:
	s_or_b64 exec, exec, s[10:11]
	v_or_b32_e32 v26, 0xa00, v0
	v_cmp_gt_u32_e32 vcc, s3, v26
                                        ; implicit-def: $vgpr12_vgpr13
	s_and_saveexec_b64 s[10:11], vcc
	s_cbranch_execz .LBB1707_33
; %bb.32:
	v_lshlrev_b32_e32 v12, 3, v26
	global_load_dwordx2 v[12:13], v12, s[4:5]
.LBB1707_33:
	s_or_b64 exec, exec, s[10:11]
	v_or_b32_e32 v30, 0xc00, v0
	v_cmp_gt_u32_e32 vcc, s3, v30
                                        ; implicit-def: $vgpr26_vgpr27
	s_and_saveexec_b64 s[10:11], vcc
	s_cbranch_execz .LBB1707_35
; %bb.34:
	v_lshlrev_b32_e32 v26, 3, v30
	global_load_dwordx2 v[26:27], v26, s[4:5]
.LBB1707_35:
	s_or_b64 exec, exec, s[10:11]
	s_movk_i32 s4, 0xffd0
	v_mad_i32_i24 v30, v0, s4, v44
	s_waitcnt vmcnt(0)
	ds_write2st64_b64 v30, v[2:3], v[4:5] offset1:8
	ds_write2st64_b64 v30, v[6:7], v[8:9] offset0:16 offset1:24
	ds_write2st64_b64 v30, v[10:11], v[12:13] offset0:32 offset1:40
	ds_write_b64 v30, v[26:27] offset:24576
	s_waitcnt lgkmcnt(0)
	s_barrier
.LBB1707_36:
	ds_read2_b64 v[10:13], v44 offset1:1
	ds_read2_b64 v[6:9], v44 offset0:2 offset1:3
	ds_read2_b64 v[2:5], v44 offset0:4 offset1:5
	ds_read_b64 v[26:27], v44 offset:48
	s_cmp_lg_u32 s2, 0
	s_cselect_b64 s[16:17], -1, 0
	s_cmp_lg_u64 s[6:7], 0
	s_cselect_b64 s[4:5], -1, 0
	s_or_b64 s[4:5], s[16:17], s[4:5]
	v_add_u32_e32 v41, 1, v1
	v_add_u32_e32 v38, 2, v1
	;; [unrolled: 1-line block ×6, first 2 shown]
	s_mov_b64 s[10:11], 0
	s_and_b64 vcc, exec, s[4:5]
	v_cmp_gt_i64_e64 s[4:5], s[26:27], 0
	s_waitcnt lgkmcnt(0)
	s_barrier
	s_cbranch_vccz .LBB1707_45
; %bb.37:
	s_add_u32 s6, s12, -8
	s_addc_u32 s7, s13, -1
	s_load_dwordx2 s[6:7], s[6:7], 0x0
	v_cndmask_b32_e64 v30, 0, 1, s[4:5]
	v_lshlrev_b32_e32 v45, 3, v0
	s_and_b64 vcc, exec, s[34:35]
	v_cmp_ne_u32_e64 s[4:5], 1, v30
	ds_write_b64 v45, v[28:29]
	s_cbranch_vccz .LBB1707_47
; %bb.38:
	v_mul_lo_u32 v32, v17, s26
	v_mul_lo_u32 v33, v16, s27
	v_mad_u64_u32 v[30:31], s[12:13], v16, s26, 0
	v_add3_u32 v31, v31, v33, v32
	s_and_b64 vcc, exec, s[4:5]
	v_lshl_add_u64 v[30:31], v[30:31], 3, s[28:29]
	s_cbranch_vccnz .LBB1707_50
; %bb.39:
	v_mul_lo_u32 v34, v29, s26
	v_mul_lo_u32 v35, v28, s27
	v_mad_u64_u32 v[32:33], s[10:11], v28, s26, 0
	v_add3_u32 v33, v33, v35, v34
	v_lshl_add_u64 v[32:33], v[32:33], 3, s[28:29]
	global_load_dwordx2 v[34:35], v[30:31], off
	global_load_dwordx2 v[36:37], v[32:33], off
	s_mov_b64 s[10:11], -1
	s_waitcnt vmcnt(0)
	v_cmp_eq_u64_e32 vcc, v[34:35], v[36:37]
	s_and_saveexec_b64 s[12:13], vcc
	s_cbranch_execz .LBB1707_49
; %bb.40:
	s_add_u32 s10, s26, -1
	v_lshl_add_u64 v[32:33], v[32:33], 0, 8
	v_lshl_add_u64 v[34:35], v[30:31], 0, 8
	s_addc_u32 s11, s27, -1
	s_mov_b64 s[14:15], 0
	s_mov_b64 s[36:37], 0
                                        ; implicit-def: $sgpr18_sgpr19
	s_branch .LBB1707_43
.LBB1707_41:                            ;   in Loop: Header=BB1707_43 Depth=1
	global_load_dwordx2 v[36:37], v[34:35], off
	global_load_dwordx2 v[46:47], v[32:33], off
	s_add_u32 s36, s36, 1
	s_addc_u32 s37, s37, 0
	s_andn2_b64 s[18:19], s[18:19], exec
	v_lshl_add_u64 v[32:33], v[32:33], 0, 8
	v_lshl_add_u64 v[34:35], v[34:35], 0, 8
	s_waitcnt vmcnt(0)
	v_cmp_ne_u64_e32 vcc, v[36:37], v[46:47]
	s_and_b64 s[38:39], vcc, exec
	s_or_b64 s[18:19], s[18:19], s[38:39]
.LBB1707_42:                            ;   in Loop: Header=BB1707_43 Depth=1
	s_and_b64 s[38:39], exec, s[18:19]
	s_or_b64 s[14:15], s[38:39], s[14:15]
	v_mov_b64_e32 v[36:37], s[36:37]
	s_andn2_b64 exec, exec, s[14:15]
	s_cbranch_execz .LBB1707_48
.LBB1707_43:                            ; =>This Inner Loop Header: Depth=1
	s_or_b64 s[18:19], s[18:19], exec
	s_cmp_eq_u64 s[10:11], s[36:37]
	s_cbranch_scc0 .LBB1707_41
; %bb.44:                               ;   in Loop: Header=BB1707_43 Depth=1
                                        ; implicit-def: $vgpr32_vgpr33
                                        ; implicit-def: $vgpr34_vgpr35
	s_mov_b64 s[36:37], s[26:27]
	s_branch .LBB1707_42
.LBB1707_45:
                                        ; implicit-def: $sgpr18_sgpr19
                                        ; implicit-def: $vgpr48
                                        ; implicit-def: $vgpr47
                                        ; implicit-def: $vgpr46
                                        ; implicit-def: $vgpr34
	s_branch .LBB1707_188
.LBB1707_46:
                                        ; implicit-def: $vgpr30_vgpr31
	s_branch .LBB1707_336
.LBB1707_47:
                                        ; implicit-def: $sgpr18_sgpr19
                                        ; implicit-def: $vgpr48
                                        ; implicit-def: $vgpr47
                                        ; implicit-def: $vgpr46
                                        ; implicit-def: $vgpr34
	s_cbranch_execnz .LBB1707_107
	s_branch .LBB1707_187
.LBB1707_48:
	s_or_b64 exec, exec, s[14:15]
	v_cmp_gt_i64_e32 vcc, s[26:27], v[36:37]
	s_orn2_b64 s[10:11], vcc, exec
.LBB1707_49:
	s_or_b64 exec, exec, s[12:13]
.LBB1707_50:
	v_mul_lo_u32 v34, v15, s26
	v_mul_lo_u32 v35, v14, s27
	v_mad_u64_u32 v[32:33], s[12:13], v14, s26, 0
	v_add3_u32 v33, v33, v35, v34
	s_mov_b64 s[12:13], 0
	s_and_b64 vcc, exec, s[4:5]
	v_lshl_add_u64 v[32:33], v[32:33], 3, s[28:29]
	s_mov_b64 s[14:15], 0
	s_cbranch_vccnz .LBB1707_59
; %bb.51:
	global_load_dwordx2 v[34:35], v[32:33], off
	global_load_dwordx2 v[36:37], v[30:31], off
	s_mov_b64 s[14:15], -1
	s_waitcnt vmcnt(0)
	v_cmp_eq_u64_e32 vcc, v[34:35], v[36:37]
	s_and_saveexec_b64 s[18:19], vcc
	s_cbranch_execz .LBB1707_58
; %bb.52:
	s_add_u32 s14, s26, -1
	v_lshl_add_u64 v[30:31], v[30:31], 0, 8
	v_lshl_add_u64 v[34:35], v[32:33], 0, 8
	s_addc_u32 s15, s27, -1
	s_mov_b64 s[36:37], 0
	s_mov_b64 s[40:41], 0
                                        ; implicit-def: $sgpr38_sgpr39
	s_branch .LBB1707_55
.LBB1707_53:                            ;   in Loop: Header=BB1707_55 Depth=1
	global_load_dwordx2 v[36:37], v[34:35], off
	global_load_dwordx2 v[46:47], v[30:31], off
	s_add_u32 s40, s40, 1
	s_addc_u32 s41, s41, 0
	s_andn2_b64 s[38:39], s[38:39], exec
	v_lshl_add_u64 v[30:31], v[30:31], 0, 8
	v_lshl_add_u64 v[34:35], v[34:35], 0, 8
	s_waitcnt vmcnt(0)
	v_cmp_ne_u64_e32 vcc, v[36:37], v[46:47]
	s_and_b64 s[42:43], vcc, exec
	s_or_b64 s[38:39], s[38:39], s[42:43]
.LBB1707_54:                            ;   in Loop: Header=BB1707_55 Depth=1
	s_and_b64 s[42:43], exec, s[38:39]
	s_or_b64 s[36:37], s[42:43], s[36:37]
	v_mov_b64_e32 v[36:37], s[40:41]
	s_andn2_b64 exec, exec, s[36:37]
	s_cbranch_execz .LBB1707_57
.LBB1707_55:                            ; =>This Inner Loop Header: Depth=1
	s_or_b64 s[38:39], s[38:39], exec
	s_cmp_eq_u64 s[14:15], s[40:41]
	s_cbranch_scc0 .LBB1707_53
; %bb.56:                               ;   in Loop: Header=BB1707_55 Depth=1
                                        ; implicit-def: $vgpr30_vgpr31
                                        ; implicit-def: $vgpr34_vgpr35
	s_mov_b64 s[40:41], s[26:27]
	s_branch .LBB1707_54
.LBB1707_57:
	s_or_b64 exec, exec, s[36:37]
	v_cmp_gt_i64_e32 vcc, s[26:27], v[36:37]
	s_orn2_b64 s[14:15], vcc, exec
.LBB1707_58:
	s_or_b64 exec, exec, s[18:19]
.LBB1707_59:
	v_mul_lo_u32 v34, v21, s26
	v_mul_lo_u32 v35, v20, s27
	v_mad_u64_u32 v[30:31], s[18:19], v20, s26, 0
	v_add3_u32 v31, v31, v35, v34
	s_and_b64 vcc, exec, s[4:5]
	v_lshl_add_u64 v[30:31], v[30:31], 3, s[28:29]
	s_cbranch_vccnz .LBB1707_68
; %bb.60:
	global_load_dwordx2 v[34:35], v[30:31], off
	global_load_dwordx2 v[36:37], v[32:33], off
	s_mov_b64 s[12:13], -1
	s_waitcnt vmcnt(0)
	v_cmp_eq_u64_e32 vcc, v[34:35], v[36:37]
	s_and_saveexec_b64 s[18:19], vcc
	s_cbranch_execz .LBB1707_67
; %bb.61:
	s_add_u32 s12, s26, -1
	v_lshl_add_u64 v[32:33], v[32:33], 0, 8
	v_lshl_add_u64 v[34:35], v[30:31], 0, 8
	s_addc_u32 s13, s27, -1
	s_mov_b64 s[36:37], 0
	s_mov_b64 s[40:41], 0
                                        ; implicit-def: $sgpr38_sgpr39
	s_branch .LBB1707_64
.LBB1707_62:                            ;   in Loop: Header=BB1707_64 Depth=1
	global_load_dwordx2 v[36:37], v[34:35], off
	global_load_dwordx2 v[46:47], v[32:33], off
	s_add_u32 s40, s40, 1
	s_addc_u32 s41, s41, 0
	s_andn2_b64 s[38:39], s[38:39], exec
	v_lshl_add_u64 v[32:33], v[32:33], 0, 8
	v_lshl_add_u64 v[34:35], v[34:35], 0, 8
	s_waitcnt vmcnt(0)
	v_cmp_ne_u64_e32 vcc, v[36:37], v[46:47]
	s_and_b64 s[42:43], vcc, exec
	s_or_b64 s[38:39], s[38:39], s[42:43]
.LBB1707_63:                            ;   in Loop: Header=BB1707_64 Depth=1
	s_and_b64 s[42:43], exec, s[38:39]
	s_or_b64 s[36:37], s[42:43], s[36:37]
	v_mov_b64_e32 v[36:37], s[40:41]
	s_andn2_b64 exec, exec, s[36:37]
	s_cbranch_execz .LBB1707_66
.LBB1707_64:                            ; =>This Inner Loop Header: Depth=1
	s_or_b64 s[38:39], s[38:39], exec
	s_cmp_eq_u64 s[12:13], s[40:41]
	s_cbranch_scc0 .LBB1707_62
; %bb.65:                               ;   in Loop: Header=BB1707_64 Depth=1
                                        ; implicit-def: $vgpr32_vgpr33
                                        ; implicit-def: $vgpr34_vgpr35
	s_mov_b64 s[40:41], s[26:27]
	s_branch .LBB1707_63
.LBB1707_66:
	s_or_b64 exec, exec, s[36:37]
	v_cmp_gt_i64_e32 vcc, s[26:27], v[36:37]
	s_orn2_b64 s[12:13], vcc, exec
.LBB1707_67:
	s_or_b64 exec, exec, s[18:19]
.LBB1707_68:
	v_mul_lo_u32 v34, v19, s26
	v_mul_lo_u32 v35, v18, s27
	v_mad_u64_u32 v[32:33], s[18:19], v18, s26, 0
	v_add3_u32 v33, v33, v35, v34
	s_mov_b64 s[18:19], 0
	s_and_b64 vcc, exec, s[4:5]
	v_lshl_add_u64 v[34:35], v[32:33], 3, s[28:29]
	s_mov_b64 s[36:37], 0
	s_cbranch_vccnz .LBB1707_77
; %bb.69:
	global_load_dwordx2 v[32:33], v[34:35], off
	global_load_dwordx2 v[36:37], v[30:31], off
	s_mov_b64 s[36:37], -1
	s_waitcnt vmcnt(0)
	v_cmp_eq_u64_e32 vcc, v[32:33], v[36:37]
	s_and_saveexec_b64 s[38:39], vcc
	s_cbranch_execz .LBB1707_76
; %bb.70:
	s_add_u32 s36, s26, -1
	v_lshl_add_u64 v[30:31], v[30:31], 0, 8
	v_lshl_add_u64 v[32:33], v[34:35], 0, 8
	s_addc_u32 s37, s27, -1
	s_mov_b64 s[40:41], 0
	s_mov_b64 s[44:45], 0
                                        ; implicit-def: $sgpr42_sgpr43
	s_branch .LBB1707_73
.LBB1707_71:                            ;   in Loop: Header=BB1707_73 Depth=1
	global_load_dwordx2 v[36:37], v[32:33], off
	global_load_dwordx2 v[46:47], v[30:31], off
	s_add_u32 s44, s44, 1
	s_addc_u32 s45, s45, 0
	s_andn2_b64 s[42:43], s[42:43], exec
	v_lshl_add_u64 v[30:31], v[30:31], 0, 8
	v_lshl_add_u64 v[32:33], v[32:33], 0, 8
	s_waitcnt vmcnt(0)
	v_cmp_ne_u64_e32 vcc, v[36:37], v[46:47]
	s_and_b64 s[46:47], vcc, exec
	s_or_b64 s[42:43], s[42:43], s[46:47]
.LBB1707_72:                            ;   in Loop: Header=BB1707_73 Depth=1
	s_and_b64 s[46:47], exec, s[42:43]
	s_or_b64 s[40:41], s[46:47], s[40:41]
	v_mov_b64_e32 v[36:37], s[44:45]
	s_andn2_b64 exec, exec, s[40:41]
	s_cbranch_execz .LBB1707_75
.LBB1707_73:                            ; =>This Inner Loop Header: Depth=1
	s_or_b64 s[42:43], s[42:43], exec
	s_cmp_eq_u64 s[36:37], s[44:45]
	s_cbranch_scc0 .LBB1707_71
; %bb.74:                               ;   in Loop: Header=BB1707_73 Depth=1
                                        ; implicit-def: $vgpr30_vgpr31
                                        ; implicit-def: $vgpr32_vgpr33
	s_mov_b64 s[44:45], s[26:27]
	s_branch .LBB1707_72
.LBB1707_75:
	s_or_b64 exec, exec, s[40:41]
	v_cmp_gt_i64_e32 vcc, s[26:27], v[36:37]
	s_orn2_b64 s[36:37], vcc, exec
.LBB1707_76:
	s_or_b64 exec, exec, s[38:39]
.LBB1707_77:
	v_mul_lo_u32 v32, v25, s26
	v_mul_lo_u32 v33, v24, s27
	v_mad_u64_u32 v[30:31], s[38:39], v24, s26, 0
	v_add3_u32 v31, v31, v33, v32
	s_and_b64 vcc, exec, s[4:5]
	v_lshl_add_u64 v[32:33], v[30:31], 3, s[28:29]
	s_cbranch_vccnz .LBB1707_86
; %bb.78:
	global_load_dwordx2 v[30:31], v[32:33], off
	global_load_dwordx2 v[36:37], v[34:35], off
	s_mov_b64 s[18:19], -1
	s_waitcnt vmcnt(0)
	v_cmp_eq_u64_e32 vcc, v[30:31], v[36:37]
	s_and_saveexec_b64 s[38:39], vcc
	s_cbranch_execz .LBB1707_85
; %bb.79:
	s_add_u32 s18, s26, -1
	v_lshl_add_u64 v[30:31], v[34:35], 0, 8
	v_lshl_add_u64 v[34:35], v[32:33], 0, 8
	s_addc_u32 s19, s27, -1
	s_mov_b64 s[40:41], 0
	s_mov_b64 s[44:45], 0
                                        ; implicit-def: $sgpr42_sgpr43
	s_branch .LBB1707_82
.LBB1707_80:                            ;   in Loop: Header=BB1707_82 Depth=1
	global_load_dwordx2 v[36:37], v[34:35], off
	global_load_dwordx2 v[46:47], v[30:31], off
	s_add_u32 s44, s44, 1
	s_addc_u32 s45, s45, 0
	s_andn2_b64 s[42:43], s[42:43], exec
	v_lshl_add_u64 v[30:31], v[30:31], 0, 8
	v_lshl_add_u64 v[34:35], v[34:35], 0, 8
	s_waitcnt vmcnt(0)
	v_cmp_ne_u64_e32 vcc, v[36:37], v[46:47]
	s_and_b64 s[46:47], vcc, exec
	s_or_b64 s[42:43], s[42:43], s[46:47]
.LBB1707_81:                            ;   in Loop: Header=BB1707_82 Depth=1
	s_and_b64 s[46:47], exec, s[42:43]
	s_or_b64 s[40:41], s[46:47], s[40:41]
	v_mov_b64_e32 v[36:37], s[44:45]
	s_andn2_b64 exec, exec, s[40:41]
	s_cbranch_execz .LBB1707_84
.LBB1707_82:                            ; =>This Inner Loop Header: Depth=1
	s_or_b64 s[42:43], s[42:43], exec
	s_cmp_eq_u64 s[18:19], s[44:45]
	s_cbranch_scc0 .LBB1707_80
; %bb.83:                               ;   in Loop: Header=BB1707_82 Depth=1
                                        ; implicit-def: $vgpr30_vgpr31
                                        ; implicit-def: $vgpr34_vgpr35
	s_mov_b64 s[44:45], s[26:27]
	s_branch .LBB1707_81
.LBB1707_84:
	s_or_b64 exec, exec, s[40:41]
	v_cmp_gt_i64_e32 vcc, s[26:27], v[36:37]
	s_orn2_b64 s[18:19], vcc, exec
.LBB1707_85:
	s_or_b64 exec, exec, s[38:39]
.LBB1707_86:
	v_mul_lo_u32 v34, v23, s26
	v_mul_lo_u32 v35, v22, s27
	v_mad_u64_u32 v[30:31], s[38:39], v22, s26, 0
	v_add3_u32 v31, v31, v35, v34
	s_mov_b64 s[40:41], 0
	s_and_b64 vcc, exec, s[4:5]
	v_lshl_add_u64 v[30:31], v[30:31], 3, s[28:29]
	s_cbranch_vccnz .LBB1707_95
; %bb.87:
	global_load_dwordx2 v[34:35], v[30:31], off
	global_load_dwordx2 v[36:37], v[32:33], off
	s_mov_b64 s[40:41], -1
	s_waitcnt vmcnt(0)
	v_cmp_eq_u64_e32 vcc, v[34:35], v[36:37]
	s_and_saveexec_b64 s[38:39], vcc
	s_cbranch_execz .LBB1707_94
; %bb.88:
	s_add_u32 s40, s26, -1
	v_lshl_add_u64 v[32:33], v[32:33], 0, 8
	v_lshl_add_u64 v[34:35], v[30:31], 0, 8
	s_addc_u32 s41, s27, -1
	s_mov_b64 s[42:43], 0
	s_mov_b64 s[46:47], 0
                                        ; implicit-def: $sgpr44_sgpr45
	s_branch .LBB1707_91
.LBB1707_89:                            ;   in Loop: Header=BB1707_91 Depth=1
	global_load_dwordx2 v[36:37], v[34:35], off
	global_load_dwordx2 v[46:47], v[32:33], off
	s_add_u32 s46, s46, 1
	s_addc_u32 s47, s47, 0
	s_andn2_b64 s[44:45], s[44:45], exec
	v_lshl_add_u64 v[32:33], v[32:33], 0, 8
	v_lshl_add_u64 v[34:35], v[34:35], 0, 8
	s_waitcnt vmcnt(0)
	v_cmp_ne_u64_e32 vcc, v[36:37], v[46:47]
	s_and_b64 s[48:49], vcc, exec
	s_or_b64 s[44:45], s[44:45], s[48:49]
.LBB1707_90:                            ;   in Loop: Header=BB1707_91 Depth=1
	s_and_b64 s[48:49], exec, s[44:45]
	s_or_b64 s[42:43], s[48:49], s[42:43]
	v_mov_b64_e32 v[36:37], s[46:47]
	s_andn2_b64 exec, exec, s[42:43]
	s_cbranch_execz .LBB1707_93
.LBB1707_91:                            ; =>This Inner Loop Header: Depth=1
	s_or_b64 s[44:45], s[44:45], exec
	s_cmp_eq_u64 s[40:41], s[46:47]
	s_cbranch_scc0 .LBB1707_89
; %bb.92:                               ;   in Loop: Header=BB1707_91 Depth=1
                                        ; implicit-def: $vgpr32_vgpr33
                                        ; implicit-def: $vgpr34_vgpr35
	s_mov_b64 s[46:47], s[26:27]
	s_branch .LBB1707_90
.LBB1707_93:
	s_or_b64 exec, exec, s[42:43]
	v_cmp_gt_i64_e32 vcc, s[26:27], v[36:37]
	s_orn2_b64 s[40:41], vcc, exec
.LBB1707_94:
	s_or_b64 exec, exec, s[38:39]
.LBB1707_95:
	v_cmp_ne_u32_e32 vcc, 0, v0
	s_waitcnt lgkmcnt(0)
	v_mov_b64_e32 v[32:33], s[6:7]
	s_barrier
	s_and_saveexec_b64 s[38:39], vcc
	s_cbranch_execz .LBB1707_97
; %bb.96:
	v_add_u32_e32 v32, -8, v45
	ds_read_b64 v[32:33], v32
.LBB1707_97:
	s_or_b64 exec, exec, s[38:39]
	v_cndmask_b32_e64 v35, 0, 1, s[36:37]
	v_cndmask_b32_e64 v34, 0, 1, s[18:19]
	;; [unrolled: 1-line block ×3, first 2 shown]
	v_lshlrev_b16_e32 v35, 8, v35
	v_lshlrev_b16_e32 v36, 8, v36
	v_or_b32_sdwa v37, v34, v35 dst_sel:WORD_1 dst_unused:UNUSED_PAD src0_sel:DWORD src1_sel:DWORD
	s_mov_b64 s[36:37], 0
	s_and_b64 vcc, exec, s[4:5]
	s_mov_b64 s[18:19], 0
	s_cbranch_vccnz .LBB1707_106
; %bb.98:
	s_waitcnt lgkmcnt(0)
	v_mul_lo_u32 v34, v33, s26
	v_mul_lo_u32 v35, v32, s27
	v_mad_u64_u32 v[32:33], s[18:19], v32, s26, 0
	v_add3_u32 v33, v33, v35, v34
	v_lshl_add_u64 v[32:33], v[32:33], 3, s[28:29]
	global_load_dwordx2 v[34:35], v[32:33], off
	global_load_dwordx2 v[46:47], v[30:31], off
	s_mov_b64 s[18:19], -1
	s_waitcnt vmcnt(0)
	v_cmp_eq_u64_e32 vcc, v[34:35], v[46:47]
	s_and_saveexec_b64 s[38:39], vcc
	s_cbranch_execz .LBB1707_105
; %bb.99:
	s_add_u32 s18, s26, -1
	v_lshl_add_u64 v[30:31], v[30:31], 0, 8
	v_lshl_add_u64 v[32:33], v[32:33], 0, 8
	s_addc_u32 s19, s27, -1
	s_mov_b64 s[40:41], 0
	s_mov_b64 s[44:45], 0
                                        ; implicit-def: $sgpr42_sgpr43
	s_branch .LBB1707_102
.LBB1707_100:                           ;   in Loop: Header=BB1707_102 Depth=1
	global_load_dwordx2 v[34:35], v[32:33], off
	global_load_dwordx2 v[46:47], v[30:31], off
	s_add_u32 s44, s44, 1
	s_addc_u32 s45, s45, 0
	s_andn2_b64 s[42:43], s[42:43], exec
	v_lshl_add_u64 v[30:31], v[30:31], 0, 8
	v_lshl_add_u64 v[32:33], v[32:33], 0, 8
	s_waitcnt vmcnt(0)
	v_cmp_ne_u64_e32 vcc, v[34:35], v[46:47]
	s_and_b64 s[46:47], vcc, exec
	s_or_b64 s[42:43], s[42:43], s[46:47]
.LBB1707_101:                           ;   in Loop: Header=BB1707_102 Depth=1
	s_and_b64 s[46:47], exec, s[42:43]
	s_or_b64 s[40:41], s[46:47], s[40:41]
	v_mov_b64_e32 v[34:35], s[44:45]
	s_andn2_b64 exec, exec, s[40:41]
	s_cbranch_execz .LBB1707_104
.LBB1707_102:                           ; =>This Inner Loop Header: Depth=1
	s_or_b64 s[42:43], s[42:43], exec
	s_cmp_eq_u64 s[18:19], s[44:45]
	s_cbranch_scc0 .LBB1707_100
; %bb.103:                              ;   in Loop: Header=BB1707_102 Depth=1
                                        ; implicit-def: $vgpr30_vgpr31
                                        ; implicit-def: $vgpr32_vgpr33
	s_mov_b64 s[44:45], s[26:27]
	s_branch .LBB1707_101
.LBB1707_104:
	s_or_b64 exec, exec, s[40:41]
	v_cmp_gt_i64_e32 vcc, s[26:27], v[34:35]
	s_orn2_b64 s[18:19], vcc, exec
.LBB1707_105:
	s_or_b64 exec, exec, s[38:39]
.LBB1707_106:
	v_cndmask_b32_e64 v46, 0, 1, s[12:13]
	v_cndmask_b32_e64 v47, 0, 1, s[14:15]
	;; [unrolled: 1-line block ×3, first 2 shown]
	v_or_b32_e32 v34, v36, v37
	s_and_b64 vcc, exec, s[36:37]
	s_cbranch_vccz .LBB1707_187
.LBB1707_107:
	v_cmp_gt_u32_e32 vcc, s3, v40
	s_mov_b64 s[12:13], 0
	s_mov_b64 s[10:11], 0
	s_and_saveexec_b64 s[14:15], vcc
	s_cbranch_execz .LBB1707_118
; %bb.108:
	s_and_b64 vcc, exec, s[4:5]
	s_mov_b64 s[18:19], 0
	s_cbranch_vccnz .LBB1707_117
; %bb.109:
	s_waitcnt lgkmcnt(0)
	v_mul_lo_u32 v32, v17, s26
	v_mul_lo_u32 v33, v16, s27
	v_mad_u64_u32 v[30:31], s[10:11], v16, s26, 0
	v_add3_u32 v31, v31, v33, v32
	v_mul_lo_u32 v32, v29, s26
	v_mul_lo_u32 v33, v28, s27
	v_mad_u64_u32 v[34:35], s[10:11], v28, s26, 0
	v_add3_u32 v35, v35, v33, v32
	v_lshl_add_u64 v[32:33], v[30:31], 3, s[28:29]
	v_lshl_add_u64 v[30:31], v[34:35], 3, s[28:29]
	global_load_dwordx2 v[34:35], v[32:33], off
	global_load_dwordx2 v[36:37], v[30:31], off
	s_mov_b64 s[18:19], -1
	s_waitcnt vmcnt(0)
	v_cmp_eq_u64_e32 vcc, v[34:35], v[36:37]
	s_and_saveexec_b64 s[10:11], vcc
	s_cbranch_execz .LBB1707_116
; %bb.110:
	s_add_u32 s18, s26, -1
	v_lshl_add_u64 v[30:31], v[30:31], 0, 8
	v_lshl_add_u64 v[32:33], v[32:33], 0, 8
	s_addc_u32 s19, s27, -1
	s_mov_b64 s[36:37], 0
	s_mov_b64 s[40:41], 0
                                        ; implicit-def: $sgpr38_sgpr39
	s_branch .LBB1707_113
.LBB1707_111:                           ;   in Loop: Header=BB1707_113 Depth=1
	global_load_dwordx2 v[34:35], v[32:33], off
	global_load_dwordx2 v[36:37], v[30:31], off
	s_add_u32 s40, s40, 1
	s_addc_u32 s41, s41, 0
	s_andn2_b64 s[38:39], s[38:39], exec
	v_lshl_add_u64 v[30:31], v[30:31], 0, 8
	v_lshl_add_u64 v[32:33], v[32:33], 0, 8
	s_waitcnt vmcnt(0)
	v_cmp_ne_u64_e32 vcc, v[34:35], v[36:37]
	s_and_b64 s[42:43], vcc, exec
	s_or_b64 s[38:39], s[38:39], s[42:43]
.LBB1707_112:                           ;   in Loop: Header=BB1707_113 Depth=1
	s_and_b64 s[42:43], exec, s[38:39]
	s_or_b64 s[36:37], s[42:43], s[36:37]
	v_mov_b64_e32 v[34:35], s[40:41]
	s_andn2_b64 exec, exec, s[36:37]
	s_cbranch_execz .LBB1707_115
.LBB1707_113:                           ; =>This Inner Loop Header: Depth=1
	s_or_b64 s[38:39], s[38:39], exec
	s_cmp_eq_u64 s[18:19], s[40:41]
	s_cbranch_scc0 .LBB1707_111
; %bb.114:                              ;   in Loop: Header=BB1707_113 Depth=1
                                        ; implicit-def: $vgpr30_vgpr31
                                        ; implicit-def: $vgpr32_vgpr33
	s_mov_b64 s[40:41], s[26:27]
	s_branch .LBB1707_112
.LBB1707_115:
	s_or_b64 exec, exec, s[36:37]
	v_cmp_gt_i64_e32 vcc, s[26:27], v[34:35]
	s_orn2_b64 s[18:19], vcc, exec
.LBB1707_116:
	s_or_b64 exec, exec, s[10:11]
.LBB1707_117:
	s_and_b64 s[10:11], s[18:19], exec
.LBB1707_118:
	s_or_b64 exec, exec, s[14:15]
	v_cmp_gt_u32_e32 vcc, s3, v43
	s_and_saveexec_b64 s[14:15], vcc
	s_cbranch_execz .LBB1707_129
; %bb.119:
	s_and_b64 vcc, exec, s[4:5]
	s_mov_b64 s[18:19], 0
	s_cbranch_vccnz .LBB1707_128
; %bb.120:
	s_waitcnt lgkmcnt(0)
	v_mul_lo_u32 v32, v15, s26
	v_mul_lo_u32 v33, v14, s27
	v_mad_u64_u32 v[30:31], s[12:13], v14, s26, 0
	v_add3_u32 v31, v31, v33, v32
	v_mul_lo_u32 v32, v17, s26
	v_mul_lo_u32 v33, v16, s27
	v_mad_u64_u32 v[34:35], s[12:13], v16, s26, 0
	v_add3_u32 v35, v35, v33, v32
	v_lshl_add_u64 v[32:33], v[30:31], 3, s[28:29]
	v_lshl_add_u64 v[30:31], v[34:35], 3, s[28:29]
	global_load_dwordx2 v[34:35], v[32:33], off
	global_load_dwordx2 v[36:37], v[30:31], off
	s_mov_b64 s[18:19], -1
	s_waitcnt vmcnt(0)
	v_cmp_eq_u64_e32 vcc, v[34:35], v[36:37]
	s_and_saveexec_b64 s[12:13], vcc
	s_cbranch_execz .LBB1707_127
; %bb.121:
	s_add_u32 s18, s26, -1
	v_lshl_add_u64 v[30:31], v[30:31], 0, 8
	v_lshl_add_u64 v[32:33], v[32:33], 0, 8
	s_addc_u32 s19, s27, -1
	s_mov_b64 s[36:37], 0
	s_mov_b64 s[40:41], 0
                                        ; implicit-def: $sgpr38_sgpr39
	s_branch .LBB1707_124
.LBB1707_122:                           ;   in Loop: Header=BB1707_124 Depth=1
	global_load_dwordx2 v[34:35], v[32:33], off
	global_load_dwordx2 v[36:37], v[30:31], off
	s_add_u32 s40, s40, 1
	s_addc_u32 s41, s41, 0
	s_andn2_b64 s[38:39], s[38:39], exec
	v_lshl_add_u64 v[30:31], v[30:31], 0, 8
	v_lshl_add_u64 v[32:33], v[32:33], 0, 8
	s_waitcnt vmcnt(0)
	v_cmp_ne_u64_e32 vcc, v[34:35], v[36:37]
	s_and_b64 s[42:43], vcc, exec
	s_or_b64 s[38:39], s[38:39], s[42:43]
.LBB1707_123:                           ;   in Loop: Header=BB1707_124 Depth=1
	s_and_b64 s[42:43], exec, s[38:39]
	s_or_b64 s[36:37], s[42:43], s[36:37]
	v_mov_b64_e32 v[34:35], s[40:41]
	s_andn2_b64 exec, exec, s[36:37]
	s_cbranch_execz .LBB1707_126
.LBB1707_124:                           ; =>This Inner Loop Header: Depth=1
	s_or_b64 s[38:39], s[38:39], exec
	s_cmp_eq_u64 s[18:19], s[40:41]
	s_cbranch_scc0 .LBB1707_122
; %bb.125:                              ;   in Loop: Header=BB1707_124 Depth=1
                                        ; implicit-def: $vgpr30_vgpr31
                                        ; implicit-def: $vgpr32_vgpr33
	s_mov_b64 s[40:41], s[26:27]
	s_branch .LBB1707_123
.LBB1707_126:
	s_or_b64 exec, exec, s[36:37]
	v_cmp_gt_i64_e32 vcc, s[26:27], v[34:35]
	s_orn2_b64 s[18:19], vcc, exec
.LBB1707_127:
	s_or_b64 exec, exec, s[12:13]
.LBB1707_128:
	s_and_b64 s[12:13], s[18:19], exec
.LBB1707_129:
	s_or_b64 exec, exec, s[14:15]
	v_cmp_gt_u32_e32 vcc, s3, v39
	s_mov_b64 s[18:19], 0
	s_mov_b64 s[14:15], 0
	s_and_saveexec_b64 s[36:37], vcc
	s_cbranch_execz .LBB1707_140
; %bb.130:
	s_and_b64 vcc, exec, s[4:5]
	s_mov_b64 s[38:39], 0
	s_cbranch_vccnz .LBB1707_139
; %bb.131:
	s_waitcnt lgkmcnt(0)
	v_mul_lo_u32 v32, v21, s26
	v_mul_lo_u32 v33, v20, s27
	v_mad_u64_u32 v[30:31], s[14:15], v20, s26, 0
	v_add3_u32 v31, v31, v33, v32
	v_mul_lo_u32 v32, v15, s26
	v_mul_lo_u32 v33, v14, s27
	v_mad_u64_u32 v[34:35], s[14:15], v14, s26, 0
	v_add3_u32 v35, v35, v33, v32
	v_lshl_add_u64 v[32:33], v[30:31], 3, s[28:29]
	v_lshl_add_u64 v[30:31], v[34:35], 3, s[28:29]
	global_load_dwordx2 v[34:35], v[32:33], off
	global_load_dwordx2 v[36:37], v[30:31], off
	s_mov_b64 s[38:39], -1
	s_waitcnt vmcnt(0)
	v_cmp_eq_u64_e32 vcc, v[34:35], v[36:37]
	s_and_saveexec_b64 s[14:15], vcc
	s_cbranch_execz .LBB1707_138
; %bb.132:
	s_add_u32 s38, s26, -1
	v_lshl_add_u64 v[30:31], v[30:31], 0, 8
	v_lshl_add_u64 v[32:33], v[32:33], 0, 8
	s_addc_u32 s39, s27, -1
	s_mov_b64 s[40:41], 0
	s_mov_b64 s[44:45], 0
                                        ; implicit-def: $sgpr42_sgpr43
	s_branch .LBB1707_135
.LBB1707_133:                           ;   in Loop: Header=BB1707_135 Depth=1
	global_load_dwordx2 v[34:35], v[32:33], off
	global_load_dwordx2 v[36:37], v[30:31], off
	s_add_u32 s44, s44, 1
	s_addc_u32 s45, s45, 0
	s_andn2_b64 s[42:43], s[42:43], exec
	v_lshl_add_u64 v[30:31], v[30:31], 0, 8
	v_lshl_add_u64 v[32:33], v[32:33], 0, 8
	s_waitcnt vmcnt(0)
	v_cmp_ne_u64_e32 vcc, v[34:35], v[36:37]
	s_and_b64 s[46:47], vcc, exec
	s_or_b64 s[42:43], s[42:43], s[46:47]
.LBB1707_134:                           ;   in Loop: Header=BB1707_135 Depth=1
	s_and_b64 s[46:47], exec, s[42:43]
	s_or_b64 s[40:41], s[46:47], s[40:41]
	v_mov_b64_e32 v[34:35], s[44:45]
	s_andn2_b64 exec, exec, s[40:41]
	s_cbranch_execz .LBB1707_137
.LBB1707_135:                           ; =>This Inner Loop Header: Depth=1
	s_or_b64 s[42:43], s[42:43], exec
	s_cmp_eq_u64 s[38:39], s[44:45]
	s_cbranch_scc0 .LBB1707_133
; %bb.136:                              ;   in Loop: Header=BB1707_135 Depth=1
                                        ; implicit-def: $vgpr30_vgpr31
                                        ; implicit-def: $vgpr32_vgpr33
	s_mov_b64 s[44:45], s[26:27]
	s_branch .LBB1707_134
.LBB1707_137:
	s_or_b64 exec, exec, s[40:41]
	v_cmp_gt_i64_e32 vcc, s[26:27], v[34:35]
	s_orn2_b64 s[38:39], vcc, exec
.LBB1707_138:
	s_or_b64 exec, exec, s[14:15]
.LBB1707_139:
	s_and_b64 s[14:15], s[38:39], exec
.LBB1707_140:
	s_or_b64 exec, exec, s[36:37]
	v_cmp_gt_u32_e32 vcc, s3, v42
	s_and_saveexec_b64 s[36:37], vcc
	s_cbranch_execz .LBB1707_151
; %bb.141:
	s_and_b64 vcc, exec, s[4:5]
	s_mov_b64 s[38:39], 0
	s_cbranch_vccnz .LBB1707_150
; %bb.142:
	s_waitcnt lgkmcnt(0)
	v_mul_lo_u32 v32, v19, s26
	v_mul_lo_u32 v33, v18, s27
	v_mad_u64_u32 v[30:31], s[18:19], v18, s26, 0
	v_add3_u32 v31, v31, v33, v32
	v_mul_lo_u32 v32, v21, s26
	v_mul_lo_u32 v33, v20, s27
	v_mad_u64_u32 v[34:35], s[18:19], v20, s26, 0
	v_add3_u32 v35, v35, v33, v32
	v_lshl_add_u64 v[32:33], v[30:31], 3, s[28:29]
	v_lshl_add_u64 v[30:31], v[34:35], 3, s[28:29]
	global_load_dwordx2 v[34:35], v[32:33], off
	global_load_dwordx2 v[36:37], v[30:31], off
	s_mov_b64 s[38:39], -1
	s_waitcnt vmcnt(0)
	v_cmp_eq_u64_e32 vcc, v[34:35], v[36:37]
	s_and_saveexec_b64 s[18:19], vcc
	s_cbranch_execz .LBB1707_149
; %bb.143:
	s_add_u32 s38, s26, -1
	v_lshl_add_u64 v[30:31], v[30:31], 0, 8
	v_lshl_add_u64 v[32:33], v[32:33], 0, 8
	s_addc_u32 s39, s27, -1
	s_mov_b64 s[40:41], 0
	s_mov_b64 s[44:45], 0
                                        ; implicit-def: $sgpr42_sgpr43
	s_branch .LBB1707_146
.LBB1707_144:                           ;   in Loop: Header=BB1707_146 Depth=1
	global_load_dwordx2 v[34:35], v[32:33], off
	global_load_dwordx2 v[36:37], v[30:31], off
	s_add_u32 s44, s44, 1
	s_addc_u32 s45, s45, 0
	s_andn2_b64 s[42:43], s[42:43], exec
	v_lshl_add_u64 v[30:31], v[30:31], 0, 8
	v_lshl_add_u64 v[32:33], v[32:33], 0, 8
	s_waitcnt vmcnt(0)
	v_cmp_ne_u64_e32 vcc, v[34:35], v[36:37]
	s_and_b64 s[46:47], vcc, exec
	s_or_b64 s[42:43], s[42:43], s[46:47]
.LBB1707_145:                           ;   in Loop: Header=BB1707_146 Depth=1
	s_and_b64 s[46:47], exec, s[42:43]
	s_or_b64 s[40:41], s[46:47], s[40:41]
	v_mov_b64_e32 v[34:35], s[44:45]
	s_andn2_b64 exec, exec, s[40:41]
	s_cbranch_execz .LBB1707_148
.LBB1707_146:                           ; =>This Inner Loop Header: Depth=1
	s_or_b64 s[42:43], s[42:43], exec
	s_cmp_eq_u64 s[38:39], s[44:45]
	s_cbranch_scc0 .LBB1707_144
; %bb.147:                              ;   in Loop: Header=BB1707_146 Depth=1
                                        ; implicit-def: $vgpr30_vgpr31
                                        ; implicit-def: $vgpr32_vgpr33
	s_mov_b64 s[44:45], s[26:27]
	s_branch .LBB1707_145
.LBB1707_148:
	s_or_b64 exec, exec, s[40:41]
	v_cmp_gt_i64_e32 vcc, s[26:27], v[34:35]
	s_orn2_b64 s[38:39], vcc, exec
.LBB1707_149:
	s_or_b64 exec, exec, s[18:19]
.LBB1707_150:
	s_and_b64 s[18:19], s[38:39], exec
.LBB1707_151:
	s_or_b64 exec, exec, s[36:37]
	v_cmp_gt_u32_e32 vcc, s3, v38
	s_mov_b64 s[36:37], 0
	s_mov_b64 s[38:39], 0
	s_and_saveexec_b64 s[40:41], vcc
	s_cbranch_execz .LBB1707_162
; %bb.152:
	s_and_b64 vcc, exec, s[4:5]
	s_mov_b64 s[42:43], 0
	s_cbranch_vccnz .LBB1707_161
; %bb.153:
	s_waitcnt lgkmcnt(0)
	v_mul_lo_u32 v32, v25, s26
	v_mul_lo_u32 v33, v24, s27
	v_mad_u64_u32 v[30:31], s[38:39], v24, s26, 0
	v_add3_u32 v31, v31, v33, v32
	v_mul_lo_u32 v32, v19, s26
	v_mul_lo_u32 v33, v18, s27
	v_mad_u64_u32 v[34:35], s[38:39], v18, s26, 0
	v_add3_u32 v35, v35, v33, v32
	v_lshl_add_u64 v[32:33], v[30:31], 3, s[28:29]
	v_lshl_add_u64 v[30:31], v[34:35], 3, s[28:29]
	global_load_dwordx2 v[34:35], v[32:33], off
	global_load_dwordx2 v[36:37], v[30:31], off
	s_mov_b64 s[42:43], -1
	s_waitcnt vmcnt(0)
	v_cmp_eq_u64_e32 vcc, v[34:35], v[36:37]
	s_and_saveexec_b64 s[38:39], vcc
	s_cbranch_execz .LBB1707_160
; %bb.154:
	s_add_u32 s42, s26, -1
	v_lshl_add_u64 v[30:31], v[30:31], 0, 8
	v_lshl_add_u64 v[32:33], v[32:33], 0, 8
	s_addc_u32 s43, s27, -1
	s_mov_b64 s[44:45], 0
	s_mov_b64 s[48:49], 0
                                        ; implicit-def: $sgpr46_sgpr47
	s_branch .LBB1707_157
.LBB1707_155:                           ;   in Loop: Header=BB1707_157 Depth=1
	global_load_dwordx2 v[34:35], v[32:33], off
	global_load_dwordx2 v[36:37], v[30:31], off
	s_add_u32 s48, s48, 1
	s_addc_u32 s49, s49, 0
	s_andn2_b64 s[46:47], s[46:47], exec
	v_lshl_add_u64 v[30:31], v[30:31], 0, 8
	v_lshl_add_u64 v[32:33], v[32:33], 0, 8
	s_waitcnt vmcnt(0)
	v_cmp_ne_u64_e32 vcc, v[34:35], v[36:37]
	s_and_b64 s[50:51], vcc, exec
	s_or_b64 s[46:47], s[46:47], s[50:51]
.LBB1707_156:                           ;   in Loop: Header=BB1707_157 Depth=1
	s_and_b64 s[50:51], exec, s[46:47]
	s_or_b64 s[44:45], s[50:51], s[44:45]
	v_mov_b64_e32 v[34:35], s[48:49]
	s_andn2_b64 exec, exec, s[44:45]
	s_cbranch_execz .LBB1707_159
.LBB1707_157:                           ; =>This Inner Loop Header: Depth=1
	s_or_b64 s[46:47], s[46:47], exec
	s_cmp_eq_u64 s[42:43], s[48:49]
	s_cbranch_scc0 .LBB1707_155
; %bb.158:                              ;   in Loop: Header=BB1707_157 Depth=1
                                        ; implicit-def: $vgpr30_vgpr31
                                        ; implicit-def: $vgpr32_vgpr33
	s_mov_b64 s[48:49], s[26:27]
	s_branch .LBB1707_156
.LBB1707_159:
	s_or_b64 exec, exec, s[44:45]
	v_cmp_gt_i64_e32 vcc, s[26:27], v[34:35]
	s_orn2_b64 s[42:43], vcc, exec
.LBB1707_160:
	s_or_b64 exec, exec, s[38:39]
.LBB1707_161:
	s_and_b64 s[38:39], s[42:43], exec
.LBB1707_162:
	s_or_b64 exec, exec, s[40:41]
	v_cmp_gt_u32_e32 vcc, s3, v41
	s_and_saveexec_b64 s[40:41], vcc
	s_cbranch_execz .LBB1707_173
; %bb.163:
	s_and_b64 vcc, exec, s[4:5]
	s_mov_b64 s[42:43], 0
	s_cbranch_vccnz .LBB1707_172
; %bb.164:
	s_waitcnt lgkmcnt(0)
	v_mul_lo_u32 v32, v23, s26
	v_mul_lo_u32 v33, v22, s27
	v_mad_u64_u32 v[30:31], s[36:37], v22, s26, 0
	v_add3_u32 v31, v31, v33, v32
	v_mul_lo_u32 v32, v25, s26
	v_mul_lo_u32 v33, v24, s27
	v_mad_u64_u32 v[34:35], s[36:37], v24, s26, 0
	v_add3_u32 v35, v35, v33, v32
	v_lshl_add_u64 v[32:33], v[30:31], 3, s[28:29]
	v_lshl_add_u64 v[30:31], v[34:35], 3, s[28:29]
	global_load_dwordx2 v[34:35], v[32:33], off
	global_load_dwordx2 v[36:37], v[30:31], off
	s_mov_b64 s[42:43], -1
	s_waitcnt vmcnt(0)
	v_cmp_eq_u64_e32 vcc, v[34:35], v[36:37]
	s_and_saveexec_b64 s[36:37], vcc
	s_cbranch_execz .LBB1707_171
; %bb.165:
	s_add_u32 s42, s26, -1
	v_lshl_add_u64 v[30:31], v[30:31], 0, 8
	v_lshl_add_u64 v[32:33], v[32:33], 0, 8
	s_addc_u32 s43, s27, -1
	s_mov_b64 s[44:45], 0
	s_mov_b64 s[48:49], 0
                                        ; implicit-def: $sgpr46_sgpr47
	s_branch .LBB1707_168
.LBB1707_166:                           ;   in Loop: Header=BB1707_168 Depth=1
	global_load_dwordx2 v[34:35], v[32:33], off
	global_load_dwordx2 v[36:37], v[30:31], off
	s_add_u32 s48, s48, 1
	s_addc_u32 s49, s49, 0
	s_andn2_b64 s[46:47], s[46:47], exec
	v_lshl_add_u64 v[30:31], v[30:31], 0, 8
	v_lshl_add_u64 v[32:33], v[32:33], 0, 8
	s_waitcnt vmcnt(0)
	v_cmp_ne_u64_e32 vcc, v[34:35], v[36:37]
	s_and_b64 s[50:51], vcc, exec
	s_or_b64 s[46:47], s[46:47], s[50:51]
.LBB1707_167:                           ;   in Loop: Header=BB1707_168 Depth=1
	s_and_b64 s[50:51], exec, s[46:47]
	s_or_b64 s[44:45], s[50:51], s[44:45]
	v_mov_b64_e32 v[34:35], s[48:49]
	s_andn2_b64 exec, exec, s[44:45]
	s_cbranch_execz .LBB1707_170
.LBB1707_168:                           ; =>This Inner Loop Header: Depth=1
	s_or_b64 s[46:47], s[46:47], exec
	s_cmp_eq_u64 s[42:43], s[48:49]
	s_cbranch_scc0 .LBB1707_166
; %bb.169:                              ;   in Loop: Header=BB1707_168 Depth=1
                                        ; implicit-def: $vgpr30_vgpr31
                                        ; implicit-def: $vgpr32_vgpr33
	s_mov_b64 s[48:49], s[26:27]
	s_branch .LBB1707_167
.LBB1707_170:
	s_or_b64 exec, exec, s[44:45]
	v_cmp_gt_i64_e32 vcc, s[26:27], v[34:35]
	s_orn2_b64 s[42:43], vcc, exec
.LBB1707_171:
	s_or_b64 exec, exec, s[36:37]
.LBB1707_172:
	s_and_b64 s[36:37], s[42:43], exec
.LBB1707_173:
	s_or_b64 exec, exec, s[40:41]
	v_cmp_ne_u32_e32 vcc, 0, v0
	s_waitcnt lgkmcnt(0)
	v_mov_b64_e32 v[30:31], s[6:7]
	s_barrier
	s_and_saveexec_b64 s[6:7], vcc
	s_cbranch_execz .LBB1707_175
; %bb.174:
	v_add_u32_e32 v30, -8, v45
	ds_read_b64 v[30:31], v30
.LBB1707_175:
	s_or_b64 exec, exec, s[6:7]
	v_cndmask_b32_e64 v33, 0, 1, s[18:19]
	v_cndmask_b32_e64 v32, 0, 1, s[38:39]
	;; [unrolled: 1-line block ×3, first 2 shown]
	v_lshlrev_b16_e32 v33, 8, v33
	v_cmp_gt_u32_e32 vcc, s3, v1
	v_lshlrev_b16_e32 v36, 8, v34
	v_or_b32_sdwa v37, v32, v33 dst_sel:WORD_1 dst_unused:UNUSED_PAD src0_sel:DWORD src1_sel:DWORD
	s_mov_b64 s[18:19], 0
	s_and_saveexec_b64 s[6:7], vcc
	s_cbranch_execz .LBB1707_186
; %bb.176:
	s_and_b64 vcc, exec, s[4:5]
	s_cbranch_vccnz .LBB1707_185
; %bb.177:
	s_waitcnt lgkmcnt(0)
	v_mul_lo_u32 v32, v31, s26
	v_mul_lo_u32 v33, v30, s27
	v_mad_u64_u32 v[30:31], s[4:5], v30, s26, 0
	v_add3_u32 v31, v31, v33, v32
	v_mul_lo_u32 v32, v23, s26
	v_mul_lo_u32 v33, v22, s27
	v_mad_u64_u32 v[34:35], s[4:5], v22, s26, 0
	v_add3_u32 v35, v35, v33, v32
	v_lshl_add_u64 v[32:33], v[30:31], 3, s[28:29]
	v_lshl_add_u64 v[30:31], v[34:35], 3, s[28:29]
	global_load_dwordx2 v[34:35], v[32:33], off
	global_load_dwordx2 v[46:47], v[30:31], off
	s_mov_b64 s[18:19], -1
	s_waitcnt vmcnt(0)
	v_cmp_eq_u64_e32 vcc, v[34:35], v[46:47]
	s_and_saveexec_b64 s[4:5], vcc
	s_cbranch_execz .LBB1707_184
; %bb.178:
	s_add_u32 s18, s26, -1
	v_lshl_add_u64 v[30:31], v[30:31], 0, 8
	v_lshl_add_u64 v[32:33], v[32:33], 0, 8
	s_addc_u32 s19, s27, -1
	s_mov_b64 s[36:37], 0
	s_mov_b64 s[40:41], 0
                                        ; implicit-def: $sgpr38_sgpr39
	s_branch .LBB1707_181
.LBB1707_179:                           ;   in Loop: Header=BB1707_181 Depth=1
	global_load_dwordx2 v[34:35], v[32:33], off
	global_load_dwordx2 v[46:47], v[30:31], off
	s_add_u32 s40, s40, 1
	s_addc_u32 s41, s41, 0
	s_andn2_b64 s[38:39], s[38:39], exec
	v_lshl_add_u64 v[30:31], v[30:31], 0, 8
	v_lshl_add_u64 v[32:33], v[32:33], 0, 8
	s_waitcnt vmcnt(0)
	v_cmp_ne_u64_e32 vcc, v[34:35], v[46:47]
	s_and_b64 s[42:43], vcc, exec
	s_or_b64 s[38:39], s[38:39], s[42:43]
.LBB1707_180:                           ;   in Loop: Header=BB1707_181 Depth=1
	s_and_b64 s[42:43], exec, s[38:39]
	s_or_b64 s[36:37], s[42:43], s[36:37]
	v_mov_b64_e32 v[34:35], s[40:41]
	s_andn2_b64 exec, exec, s[36:37]
	s_cbranch_execz .LBB1707_183
.LBB1707_181:                           ; =>This Inner Loop Header: Depth=1
	s_or_b64 s[38:39], s[38:39], exec
	s_cmp_eq_u64 s[18:19], s[40:41]
	s_cbranch_scc0 .LBB1707_179
; %bb.182:                              ;   in Loop: Header=BB1707_181 Depth=1
                                        ; implicit-def: $vgpr30_vgpr31
                                        ; implicit-def: $vgpr32_vgpr33
	s_mov_b64 s[40:41], s[26:27]
	s_branch .LBB1707_180
.LBB1707_183:
	s_or_b64 exec, exec, s[36:37]
	v_cmp_gt_i64_e32 vcc, s[26:27], v[34:35]
	s_orn2_b64 s[18:19], vcc, exec
.LBB1707_184:
	s_or_b64 exec, exec, s[4:5]
.LBB1707_185:
	s_and_b64 s[18:19], s[18:19], exec
.LBB1707_186:
	s_or_b64 exec, exec, s[6:7]
	v_cndmask_b32_e64 v46, 0, 1, s[14:15]
	v_cndmask_b32_e64 v47, 0, 1, s[12:13]
	;; [unrolled: 1-line block ×3, first 2 shown]
	v_or_b32_e32 v34, v36, v37
.LBB1707_187:
	s_mov_b64 s[10:11], -1
	s_cbranch_execnz .LBB1707_46
.LBB1707_188:
	s_movk_i32 s4, 0xffd0
	v_mad_i32_i24 v44, v0, s4, v44
	s_mov_b64 s[12:13], 0
	s_waitcnt lgkmcnt(0)
	v_cmp_gt_i64_e64 s[6:7], s[26:27], 0
	s_and_b64 vcc, exec, s[34:35]
	ds_write_b64 v44, v[28:29]
	s_cbranch_vccz .LBB1707_196
; %bb.189:
	v_mul_lo_u32 v32, v17, s26
	v_mul_lo_u32 v33, v16, s27
	v_mad_u64_u32 v[30:31], s[4:5], v16, s26, 0
	v_add3_u32 v31, v31, v33, v32
	v_cndmask_b32_e64 v32, 0, 1, s[6:7]
	v_cmp_ne_u32_e64 s[4:5], 1, v32
	s_andn2_b64 vcc, exec, s[6:7]
	v_lshl_add_u64 v[30:31], v[30:31], 3, s[28:29]
	s_cbranch_vccnz .LBB1707_199
; %bb.190:
	v_mul_lo_u32 v34, v29, s26
	v_mul_lo_u32 v35, v28, s27
	v_mad_u64_u32 v[32:33], s[12:13], v28, s26, 0
	v_add3_u32 v33, v33, v35, v34
	v_lshl_add_u64 v[32:33], v[32:33], 3, s[28:29]
	global_load_dwordx2 v[34:35], v[30:31], off
	global_load_dwordx2 v[36:37], v[32:33], off
	s_mov_b64 s[12:13], -1
	s_waitcnt vmcnt(0)
	v_cmp_eq_u64_e32 vcc, v[34:35], v[36:37]
	s_and_saveexec_b64 s[14:15], vcc
	s_cbranch_execz .LBB1707_198
; %bb.191:
	s_add_u32 s12, s26, -1
	v_lshl_add_u64 v[32:33], v[32:33], 0, 8
	v_lshl_add_u64 v[34:35], v[30:31], 0, 8
	s_addc_u32 s13, s27, -1
	s_mov_b64 s[18:19], 0
	s_mov_b64 s[38:39], 0
                                        ; implicit-def: $sgpr36_sgpr37
	s_branch .LBB1707_194
.LBB1707_192:                           ;   in Loop: Header=BB1707_194 Depth=1
	global_load_dwordx2 v[36:37], v[34:35], off
	global_load_dwordx2 v[46:47], v[32:33], off
	s_add_u32 s38, s38, 1
	s_addc_u32 s39, s39, 0
	s_andn2_b64 s[36:37], s[36:37], exec
	v_lshl_add_u64 v[32:33], v[32:33], 0, 8
	v_lshl_add_u64 v[34:35], v[34:35], 0, 8
	s_waitcnt vmcnt(0)
	v_cmp_ne_u64_e32 vcc, v[36:37], v[46:47]
	s_and_b64 s[40:41], vcc, exec
	s_or_b64 s[36:37], s[36:37], s[40:41]
.LBB1707_193:                           ;   in Loop: Header=BB1707_194 Depth=1
	s_and_b64 s[40:41], exec, s[36:37]
	s_or_b64 s[18:19], s[40:41], s[18:19]
	v_mov_b64_e32 v[36:37], s[38:39]
	s_andn2_b64 exec, exec, s[18:19]
	s_cbranch_execz .LBB1707_197
.LBB1707_194:                           ; =>This Inner Loop Header: Depth=1
	s_or_b64 s[36:37], s[36:37], exec
	s_cmp_eq_u64 s[12:13], s[38:39]
	s_cbranch_scc0 .LBB1707_192
; %bb.195:                              ;   in Loop: Header=BB1707_194 Depth=1
                                        ; implicit-def: $vgpr32_vgpr33
                                        ; implicit-def: $vgpr34_vgpr35
	s_mov_b64 s[38:39], s[26:27]
	s_branch .LBB1707_193
.LBB1707_196:
                                        ; implicit-def: $sgpr18_sgpr19
                                        ; implicit-def: $vgpr48
                                        ; implicit-def: $vgpr47
                                        ; implicit-def: $vgpr46
                                        ; implicit-def: $vgpr34
                                        ; implicit-def: $vgpr30_vgpr31
	s_cbranch_execnz .LBB1707_256
	s_branch .LBB1707_336
.LBB1707_197:
	s_or_b64 exec, exec, s[18:19]
	v_cmp_gt_i64_e32 vcc, s[26:27], v[36:37]
	s_orn2_b64 s[12:13], vcc, exec
.LBB1707_198:
	s_or_b64 exec, exec, s[14:15]
.LBB1707_199:
	v_mul_lo_u32 v34, v15, s26
	v_mul_lo_u32 v35, v14, s27
	v_mad_u64_u32 v[32:33], s[14:15], v14, s26, 0
	v_add3_u32 v33, v33, v35, v34
	s_mov_b64 s[14:15], 0
	s_and_b64 vcc, exec, s[4:5]
	v_lshl_add_u64 v[32:33], v[32:33], 3, s[28:29]
	s_mov_b64 s[18:19], 0
	s_cbranch_vccnz .LBB1707_208
; %bb.200:
	global_load_dwordx2 v[34:35], v[32:33], off
	global_load_dwordx2 v[36:37], v[30:31], off
	s_mov_b64 s[18:19], -1
	s_waitcnt vmcnt(0)
	v_cmp_eq_u64_e32 vcc, v[34:35], v[36:37]
	s_and_saveexec_b64 s[36:37], vcc
	s_cbranch_execz .LBB1707_207
; %bb.201:
	s_add_u32 s18, s26, -1
	v_lshl_add_u64 v[30:31], v[30:31], 0, 8
	v_lshl_add_u64 v[34:35], v[32:33], 0, 8
	s_addc_u32 s19, s27, -1
	s_mov_b64 s[38:39], 0
	s_mov_b64 s[42:43], 0
                                        ; implicit-def: $sgpr40_sgpr41
	s_branch .LBB1707_204
.LBB1707_202:                           ;   in Loop: Header=BB1707_204 Depth=1
	global_load_dwordx2 v[36:37], v[34:35], off
	global_load_dwordx2 v[46:47], v[30:31], off
	s_add_u32 s42, s42, 1
	s_addc_u32 s43, s43, 0
	s_andn2_b64 s[40:41], s[40:41], exec
	v_lshl_add_u64 v[30:31], v[30:31], 0, 8
	v_lshl_add_u64 v[34:35], v[34:35], 0, 8
	s_waitcnt vmcnt(0)
	v_cmp_ne_u64_e32 vcc, v[36:37], v[46:47]
	s_and_b64 s[44:45], vcc, exec
	s_or_b64 s[40:41], s[40:41], s[44:45]
.LBB1707_203:                           ;   in Loop: Header=BB1707_204 Depth=1
	s_and_b64 s[44:45], exec, s[40:41]
	s_or_b64 s[38:39], s[44:45], s[38:39]
	v_mov_b64_e32 v[36:37], s[42:43]
	s_andn2_b64 exec, exec, s[38:39]
	s_cbranch_execz .LBB1707_206
.LBB1707_204:                           ; =>This Inner Loop Header: Depth=1
	s_or_b64 s[40:41], s[40:41], exec
	s_cmp_eq_u64 s[18:19], s[42:43]
	s_cbranch_scc0 .LBB1707_202
; %bb.205:                              ;   in Loop: Header=BB1707_204 Depth=1
                                        ; implicit-def: $vgpr30_vgpr31
                                        ; implicit-def: $vgpr34_vgpr35
	s_mov_b64 s[42:43], s[26:27]
	s_branch .LBB1707_203
.LBB1707_206:
	s_or_b64 exec, exec, s[38:39]
	v_cmp_gt_i64_e32 vcc, s[26:27], v[36:37]
	s_orn2_b64 s[18:19], vcc, exec
.LBB1707_207:
	s_or_b64 exec, exec, s[36:37]
.LBB1707_208:
	v_mul_lo_u32 v34, v21, s26
	v_mul_lo_u32 v35, v20, s27
	v_mad_u64_u32 v[30:31], s[36:37], v20, s26, 0
	v_add3_u32 v31, v31, v35, v34
	s_and_b64 vcc, exec, s[4:5]
	v_lshl_add_u64 v[30:31], v[30:31], 3, s[28:29]
	s_cbranch_vccnz .LBB1707_217
; %bb.209:
	global_load_dwordx2 v[34:35], v[30:31], off
	global_load_dwordx2 v[36:37], v[32:33], off
	s_mov_b64 s[14:15], -1
	s_waitcnt vmcnt(0)
	v_cmp_eq_u64_e32 vcc, v[34:35], v[36:37]
	s_and_saveexec_b64 s[36:37], vcc
	s_cbranch_execz .LBB1707_216
; %bb.210:
	s_add_u32 s14, s26, -1
	v_lshl_add_u64 v[32:33], v[32:33], 0, 8
	v_lshl_add_u64 v[34:35], v[30:31], 0, 8
	s_addc_u32 s15, s27, -1
	s_mov_b64 s[38:39], 0
	s_mov_b64 s[42:43], 0
                                        ; implicit-def: $sgpr40_sgpr41
	s_branch .LBB1707_213
.LBB1707_211:                           ;   in Loop: Header=BB1707_213 Depth=1
	global_load_dwordx2 v[36:37], v[34:35], off
	global_load_dwordx2 v[46:47], v[32:33], off
	s_add_u32 s42, s42, 1
	s_addc_u32 s43, s43, 0
	s_andn2_b64 s[40:41], s[40:41], exec
	v_lshl_add_u64 v[32:33], v[32:33], 0, 8
	v_lshl_add_u64 v[34:35], v[34:35], 0, 8
	s_waitcnt vmcnt(0)
	v_cmp_ne_u64_e32 vcc, v[36:37], v[46:47]
	s_and_b64 s[44:45], vcc, exec
	s_or_b64 s[40:41], s[40:41], s[44:45]
.LBB1707_212:                           ;   in Loop: Header=BB1707_213 Depth=1
	s_and_b64 s[44:45], exec, s[40:41]
	s_or_b64 s[38:39], s[44:45], s[38:39]
	v_mov_b64_e32 v[36:37], s[42:43]
	s_andn2_b64 exec, exec, s[38:39]
	s_cbranch_execz .LBB1707_215
.LBB1707_213:                           ; =>This Inner Loop Header: Depth=1
	s_or_b64 s[40:41], s[40:41], exec
	s_cmp_eq_u64 s[14:15], s[42:43]
	s_cbranch_scc0 .LBB1707_211
; %bb.214:                              ;   in Loop: Header=BB1707_213 Depth=1
                                        ; implicit-def: $vgpr32_vgpr33
                                        ; implicit-def: $vgpr34_vgpr35
	s_mov_b64 s[42:43], s[26:27]
	s_branch .LBB1707_212
.LBB1707_215:
	s_or_b64 exec, exec, s[38:39]
	v_cmp_gt_i64_e32 vcc, s[26:27], v[36:37]
	s_orn2_b64 s[14:15], vcc, exec
.LBB1707_216:
	s_or_b64 exec, exec, s[36:37]
.LBB1707_217:
	v_mul_lo_u32 v34, v19, s26
	v_mul_lo_u32 v35, v18, s27
	v_mad_u64_u32 v[32:33], s[36:37], v18, s26, 0
	v_add3_u32 v33, v33, v35, v34
	s_mov_b64 s[36:37], 0
	s_and_b64 vcc, exec, s[4:5]
	v_lshl_add_u64 v[32:33], v[32:33], 3, s[28:29]
	s_mov_b64 s[38:39], 0
	s_cbranch_vccnz .LBB1707_226
; %bb.218:
	global_load_dwordx2 v[34:35], v[32:33], off
	global_load_dwordx2 v[36:37], v[30:31], off
	s_mov_b64 s[38:39], -1
	s_waitcnt vmcnt(0)
	v_cmp_eq_u64_e32 vcc, v[34:35], v[36:37]
	s_and_saveexec_b64 s[40:41], vcc
	s_cbranch_execz .LBB1707_225
; %bb.219:
	s_add_u32 s38, s26, -1
	v_lshl_add_u64 v[30:31], v[30:31], 0, 8
	v_lshl_add_u64 v[34:35], v[32:33], 0, 8
	s_addc_u32 s39, s27, -1
	s_mov_b64 s[42:43], 0
	s_mov_b64 s[46:47], 0
                                        ; implicit-def: $sgpr44_sgpr45
	s_branch .LBB1707_222
.LBB1707_220:                           ;   in Loop: Header=BB1707_222 Depth=1
	global_load_dwordx2 v[36:37], v[34:35], off
	global_load_dwordx2 v[46:47], v[30:31], off
	s_add_u32 s46, s46, 1
	s_addc_u32 s47, s47, 0
	s_andn2_b64 s[44:45], s[44:45], exec
	v_lshl_add_u64 v[30:31], v[30:31], 0, 8
	v_lshl_add_u64 v[34:35], v[34:35], 0, 8
	s_waitcnt vmcnt(0)
	v_cmp_ne_u64_e32 vcc, v[36:37], v[46:47]
	s_and_b64 s[48:49], vcc, exec
	s_or_b64 s[44:45], s[44:45], s[48:49]
.LBB1707_221:                           ;   in Loop: Header=BB1707_222 Depth=1
	s_and_b64 s[48:49], exec, s[44:45]
	s_or_b64 s[42:43], s[48:49], s[42:43]
	v_mov_b64_e32 v[36:37], s[46:47]
	s_andn2_b64 exec, exec, s[42:43]
	s_cbranch_execz .LBB1707_224
.LBB1707_222:                           ; =>This Inner Loop Header: Depth=1
	s_or_b64 s[44:45], s[44:45], exec
	s_cmp_eq_u64 s[38:39], s[46:47]
	s_cbranch_scc0 .LBB1707_220
; %bb.223:                              ;   in Loop: Header=BB1707_222 Depth=1
                                        ; implicit-def: $vgpr30_vgpr31
                                        ; implicit-def: $vgpr34_vgpr35
	s_mov_b64 s[46:47], s[26:27]
	s_branch .LBB1707_221
.LBB1707_224:
	s_or_b64 exec, exec, s[42:43]
	v_cmp_gt_i64_e32 vcc, s[26:27], v[36:37]
	s_orn2_b64 s[38:39], vcc, exec
.LBB1707_225:
	s_or_b64 exec, exec, s[40:41]
.LBB1707_226:
	v_mul_lo_u32 v34, v25, s26
	v_mul_lo_u32 v35, v24, s27
	v_mad_u64_u32 v[30:31], s[40:41], v24, s26, 0
	v_add3_u32 v31, v31, v35, v34
	s_and_b64 vcc, exec, s[4:5]
	v_lshl_add_u64 v[30:31], v[30:31], 3, s[28:29]
	s_cbranch_vccnz .LBB1707_235
; %bb.227:
	global_load_dwordx2 v[34:35], v[30:31], off
	global_load_dwordx2 v[36:37], v[32:33], off
	s_mov_b64 s[36:37], -1
	s_waitcnt vmcnt(0)
	v_cmp_eq_u64_e32 vcc, v[34:35], v[36:37]
	s_and_saveexec_b64 s[40:41], vcc
	s_cbranch_execz .LBB1707_234
; %bb.228:
	s_add_u32 s36, s26, -1
	v_lshl_add_u64 v[32:33], v[32:33], 0, 8
	v_lshl_add_u64 v[34:35], v[30:31], 0, 8
	s_addc_u32 s37, s27, -1
	s_mov_b64 s[42:43], 0
	s_mov_b64 s[46:47], 0
                                        ; implicit-def: $sgpr44_sgpr45
	s_branch .LBB1707_231
.LBB1707_229:                           ;   in Loop: Header=BB1707_231 Depth=1
	global_load_dwordx2 v[36:37], v[34:35], off
	global_load_dwordx2 v[46:47], v[32:33], off
	s_add_u32 s46, s46, 1
	s_addc_u32 s47, s47, 0
	s_andn2_b64 s[44:45], s[44:45], exec
	v_lshl_add_u64 v[32:33], v[32:33], 0, 8
	v_lshl_add_u64 v[34:35], v[34:35], 0, 8
	s_waitcnt vmcnt(0)
	v_cmp_ne_u64_e32 vcc, v[36:37], v[46:47]
	s_and_b64 s[48:49], vcc, exec
	s_or_b64 s[44:45], s[44:45], s[48:49]
.LBB1707_230:                           ;   in Loop: Header=BB1707_231 Depth=1
	s_and_b64 s[48:49], exec, s[44:45]
	s_or_b64 s[42:43], s[48:49], s[42:43]
	v_mov_b64_e32 v[36:37], s[46:47]
	s_andn2_b64 exec, exec, s[42:43]
	s_cbranch_execz .LBB1707_233
.LBB1707_231:                           ; =>This Inner Loop Header: Depth=1
	s_or_b64 s[44:45], s[44:45], exec
	s_cmp_eq_u64 s[36:37], s[46:47]
	s_cbranch_scc0 .LBB1707_229
; %bb.232:                              ;   in Loop: Header=BB1707_231 Depth=1
                                        ; implicit-def: $vgpr32_vgpr33
                                        ; implicit-def: $vgpr34_vgpr35
	s_mov_b64 s[46:47], s[26:27]
	s_branch .LBB1707_230
.LBB1707_233:
	s_or_b64 exec, exec, s[42:43]
	v_cmp_gt_i64_e32 vcc, s[26:27], v[36:37]
	s_orn2_b64 s[36:37], vcc, exec
.LBB1707_234:
	s_or_b64 exec, exec, s[40:41]
.LBB1707_235:
	v_mul_lo_u32 v34, v23, s26
	v_mul_lo_u32 v35, v22, s27
	v_mad_u64_u32 v[32:33], s[40:41], v22, s26, 0
	v_add3_u32 v33, v33, v35, v34
	s_and_b64 vcc, exec, s[4:5]
	s_mov_b64 s[42:43], 0
	s_cbranch_vccnz .LBB1707_244
; %bb.236:
	v_lshl_add_u64 v[34:35], v[32:33], 3, s[28:29]
	global_load_dwordx2 v[36:37], v[34:35], off
	global_load_dwordx2 v[46:47], v[30:31], off
	s_mov_b64 s[42:43], -1
	s_waitcnt vmcnt(0)
	v_cmp_eq_u64_e32 vcc, v[36:37], v[46:47]
	s_and_saveexec_b64 s[40:41], vcc
	s_cbranch_execz .LBB1707_243
; %bb.237:
	s_add_u32 s42, s26, -1
	v_lshl_add_u64 v[30:31], v[30:31], 0, 8
	v_lshl_add_u64 v[34:35], v[34:35], 0, 8
	s_addc_u32 s43, s27, -1
	s_mov_b64 s[44:45], 0
	s_mov_b64 s[48:49], 0
                                        ; implicit-def: $sgpr46_sgpr47
	s_branch .LBB1707_240
.LBB1707_238:                           ;   in Loop: Header=BB1707_240 Depth=1
	global_load_dwordx2 v[36:37], v[34:35], off
	global_load_dwordx2 v[46:47], v[30:31], off
	s_add_u32 s48, s48, 1
	s_addc_u32 s49, s49, 0
	s_andn2_b64 s[46:47], s[46:47], exec
	v_lshl_add_u64 v[30:31], v[30:31], 0, 8
	v_lshl_add_u64 v[34:35], v[34:35], 0, 8
	s_waitcnt vmcnt(0)
	v_cmp_ne_u64_e32 vcc, v[36:37], v[46:47]
	s_and_b64 s[50:51], vcc, exec
	s_or_b64 s[46:47], s[46:47], s[50:51]
.LBB1707_239:                           ;   in Loop: Header=BB1707_240 Depth=1
	s_and_b64 s[50:51], exec, s[46:47]
	s_or_b64 s[44:45], s[50:51], s[44:45]
	v_mov_b64_e32 v[36:37], s[48:49]
	s_andn2_b64 exec, exec, s[44:45]
	s_cbranch_execz .LBB1707_242
.LBB1707_240:                           ; =>This Inner Loop Header: Depth=1
	s_or_b64 s[46:47], s[46:47], exec
	s_cmp_eq_u64 s[42:43], s[48:49]
	s_cbranch_scc0 .LBB1707_238
; %bb.241:                              ;   in Loop: Header=BB1707_240 Depth=1
                                        ; implicit-def: $vgpr30_vgpr31
                                        ; implicit-def: $vgpr34_vgpr35
	s_mov_b64 s[48:49], s[26:27]
	s_branch .LBB1707_239
.LBB1707_242:
	s_or_b64 exec, exec, s[44:45]
	v_cmp_gt_i64_e32 vcc, s[26:27], v[36:37]
	s_orn2_b64 s[42:43], vcc, exec
.LBB1707_243:
	s_or_b64 exec, exec, s[40:41]
.LBB1707_244:
	v_cndmask_b32_e64 v31, 0, 1, s[38:39]
	v_cndmask_b32_e64 v30, 0, 1, s[36:37]
	v_cndmask_b32_e64 v47, 0, 1, s[18:19]
	v_lshlrev_b16_e32 v31, 8, v31
	v_cndmask_b32_e64 v46, 0, 1, s[14:15]
	v_cndmask_b32_e64 v34, 0, 1, s[42:43]
	v_or_b32_sdwa v30, v30, v31 dst_sel:WORD_1 dst_unused:UNUSED_PAD src0_sel:DWORD src1_sel:DWORD
	v_lshlrev_b16_e32 v31, 8, v47
	v_lshlrev_b16_e32 v34, 8, v34
	v_or_b32_e32 v31, v46, v31
	v_or_b32_e32 v34, 1, v34
	v_and_b32_e32 v31, 0xffff, v31
	v_cndmask_b32_e64 v48, 0, 1, s[12:13]
	v_or_b32_sdwa v30, v34, v30 dst_sel:DWORD dst_unused:UNUSED_PAD src0_sel:WORD_0 src1_sel:DWORD
	v_lshl_or_b32 v31, v48, 16, v31
	v_cmp_ne_u32_e32 vcc, 0, v0
	s_waitcnt lgkmcnt(0)
	s_barrier
	s_waitcnt lgkmcnt(0)
                                        ; implicit-def: $sgpr18_sgpr19
                                        ; implicit-def: $vgpr34
	s_and_saveexec_b64 s[12:13], vcc
	s_xor_b64 s[12:13], exec, s[12:13]
	s_cbranch_execz .LBB1707_255
; %bb.245:
	s_mov_b32 s33, 0x3020104
	s_and_b64 vcc, exec, s[4:5]
	s_mov_b64 s[14:15], 0
	s_cbranch_vccnz .LBB1707_254
; %bb.246:
	v_add_u32_e32 v31, -8, v44
	ds_read_b64 v[34:35], v31
	v_lshl_add_u64 v[32:33], v[32:33], 3, s[28:29]
	s_mov_b64 s[14:15], -1
	s_waitcnt lgkmcnt(0)
	v_mul_lo_u32 v31, v35, s26
	v_mul_lo_u32 v36, v34, s27
	v_mad_u64_u32 v[34:35], s[4:5], v34, s26, 0
	v_add3_u32 v35, v35, v36, v31
	v_lshl_add_u64 v[34:35], v[34:35], 3, s[28:29]
	global_load_dwordx2 v[36:37], v[34:35], off
	global_load_dwordx2 v[50:51], v[32:33], off
	s_waitcnt vmcnt(0)
	v_cmp_eq_u64_e32 vcc, v[36:37], v[50:51]
	s_and_saveexec_b64 s[4:5], vcc
	s_cbranch_execz .LBB1707_253
; %bb.247:
	s_add_u32 s14, s26, -1
	v_lshl_add_u64 v[32:33], v[32:33], 0, 8
	v_lshl_add_u64 v[34:35], v[34:35], 0, 8
	s_addc_u32 s15, s27, -1
	s_mov_b64 s[18:19], 0
	s_mov_b64 s[38:39], 0
                                        ; implicit-def: $sgpr36_sgpr37
	s_branch .LBB1707_250
.LBB1707_248:                           ;   in Loop: Header=BB1707_250 Depth=1
	global_load_dwordx2 v[36:37], v[34:35], off
	global_load_dwordx2 v[50:51], v[32:33], off
	s_add_u32 s38, s38, 1
	s_addc_u32 s39, s39, 0
	s_andn2_b64 s[36:37], s[36:37], exec
	v_lshl_add_u64 v[32:33], v[32:33], 0, 8
	v_lshl_add_u64 v[34:35], v[34:35], 0, 8
	s_waitcnt vmcnt(0)
	v_cmp_ne_u64_e32 vcc, v[36:37], v[50:51]
	s_and_b64 s[40:41], vcc, exec
	s_or_b64 s[36:37], s[36:37], s[40:41]
.LBB1707_249:                           ;   in Loop: Header=BB1707_250 Depth=1
	s_and_b64 s[40:41], exec, s[36:37]
	s_or_b64 s[18:19], s[40:41], s[18:19]
	v_mov_b64_e32 v[36:37], s[38:39]
	s_andn2_b64 exec, exec, s[18:19]
	s_cbranch_execz .LBB1707_252
.LBB1707_250:                           ; =>This Inner Loop Header: Depth=1
	s_or_b64 s[36:37], s[36:37], exec
	s_cmp_eq_u64 s[14:15], s[38:39]
	s_cbranch_scc0 .LBB1707_248
; %bb.251:                              ;   in Loop: Header=BB1707_250 Depth=1
                                        ; implicit-def: $vgpr32_vgpr33
                                        ; implicit-def: $vgpr34_vgpr35
	s_mov_b64 s[38:39], s[26:27]
	s_branch .LBB1707_249
.LBB1707_252:
	s_or_b64 exec, exec, s[18:19]
	v_cmp_gt_i64_e32 vcc, s[26:27], v[36:37]
	s_orn2_b64 s[14:15], vcc, exec
.LBB1707_253:
	s_or_b64 exec, exec, s[4:5]
.LBB1707_254:
	v_perm_b32 v34, v30, v30, s33
	s_and_b64 s[18:19], s[14:15], exec
	s_or_b64 s[10:11], s[10:11], exec
                                        ; implicit-def: $vgpr30_vgpr31
.LBB1707_255:
	s_or_b64 exec, exec, s[12:13]
	s_branch .LBB1707_336
.LBB1707_256:
	v_cmp_gt_u32_e32 vcc, s3, v40
	s_mov_b64 s[12:13], 0
	s_mov_b64 s[4:5], 0
	s_and_saveexec_b64 s[14:15], vcc
	s_cbranch_execz .LBB1707_267
; %bb.257:
	s_andn2_b64 vcc, exec, s[6:7]
	s_mov_b64 s[18:19], 0
	s_cbranch_vccnz .LBB1707_266
; %bb.258:
	v_mul_lo_u32 v32, v17, s26
	v_mul_lo_u32 v33, v16, s27
	v_mad_u64_u32 v[30:31], s[4:5], v16, s26, 0
	v_add3_u32 v31, v31, v33, v32
	v_mul_lo_u32 v32, v29, s26
	v_mul_lo_u32 v33, v28, s27
	v_mad_u64_u32 v[34:35], s[4:5], v28, s26, 0
	v_add3_u32 v35, v35, v33, v32
	v_lshl_add_u64 v[32:33], v[30:31], 3, s[28:29]
	v_lshl_add_u64 v[30:31], v[34:35], 3, s[28:29]
	global_load_dwordx2 v[34:35], v[32:33], off
	global_load_dwordx2 v[36:37], v[30:31], off
	s_mov_b64 s[18:19], -1
	s_waitcnt vmcnt(0)
	v_cmp_eq_u64_e32 vcc, v[34:35], v[36:37]
	s_and_saveexec_b64 s[4:5], vcc
	s_cbranch_execz .LBB1707_265
; %bb.259:
	s_add_u32 s18, s26, -1
	v_lshl_add_u64 v[30:31], v[30:31], 0, 8
	v_lshl_add_u64 v[32:33], v[32:33], 0, 8
	s_addc_u32 s19, s27, -1
	s_mov_b64 s[36:37], 0
	s_mov_b64 s[40:41], 0
                                        ; implicit-def: $sgpr38_sgpr39
	s_branch .LBB1707_262
.LBB1707_260:                           ;   in Loop: Header=BB1707_262 Depth=1
	global_load_dwordx2 v[34:35], v[32:33], off
	global_load_dwordx2 v[36:37], v[30:31], off
	s_add_u32 s40, s40, 1
	s_addc_u32 s41, s41, 0
	s_andn2_b64 s[38:39], s[38:39], exec
	v_lshl_add_u64 v[30:31], v[30:31], 0, 8
	v_lshl_add_u64 v[32:33], v[32:33], 0, 8
	s_waitcnt vmcnt(0)
	v_cmp_ne_u64_e32 vcc, v[34:35], v[36:37]
	s_and_b64 s[42:43], vcc, exec
	s_or_b64 s[38:39], s[38:39], s[42:43]
.LBB1707_261:                           ;   in Loop: Header=BB1707_262 Depth=1
	s_and_b64 s[42:43], exec, s[38:39]
	s_or_b64 s[36:37], s[42:43], s[36:37]
	v_mov_b64_e32 v[34:35], s[40:41]
	s_andn2_b64 exec, exec, s[36:37]
	s_cbranch_execz .LBB1707_264
.LBB1707_262:                           ; =>This Inner Loop Header: Depth=1
	s_or_b64 s[38:39], s[38:39], exec
	s_cmp_eq_u64 s[18:19], s[40:41]
	s_cbranch_scc0 .LBB1707_260
; %bb.263:                              ;   in Loop: Header=BB1707_262 Depth=1
                                        ; implicit-def: $vgpr30_vgpr31
                                        ; implicit-def: $vgpr32_vgpr33
	s_mov_b64 s[40:41], s[26:27]
	s_branch .LBB1707_261
.LBB1707_264:
	s_or_b64 exec, exec, s[36:37]
	v_cmp_gt_i64_e32 vcc, s[26:27], v[34:35]
	s_orn2_b64 s[18:19], vcc, exec
.LBB1707_265:
	s_or_b64 exec, exec, s[4:5]
.LBB1707_266:
	s_and_b64 s[4:5], s[18:19], exec
.LBB1707_267:
	s_or_b64 exec, exec, s[14:15]
	v_cmp_gt_u32_e32 vcc, s3, v43
	s_and_saveexec_b64 s[14:15], vcc
	s_cbranch_execz .LBB1707_278
; %bb.268:
	s_andn2_b64 vcc, exec, s[6:7]
	s_mov_b64 s[18:19], 0
	s_cbranch_vccnz .LBB1707_277
; %bb.269:
	v_mul_lo_u32 v32, v15, s26
	v_mul_lo_u32 v33, v14, s27
	v_mad_u64_u32 v[30:31], s[12:13], v14, s26, 0
	v_add3_u32 v31, v31, v33, v32
	v_mul_lo_u32 v32, v17, s26
	v_mul_lo_u32 v33, v16, s27
	v_mad_u64_u32 v[34:35], s[12:13], v16, s26, 0
	v_add3_u32 v35, v35, v33, v32
	v_lshl_add_u64 v[32:33], v[30:31], 3, s[28:29]
	v_lshl_add_u64 v[30:31], v[34:35], 3, s[28:29]
	global_load_dwordx2 v[34:35], v[32:33], off
	global_load_dwordx2 v[36:37], v[30:31], off
	s_mov_b64 s[18:19], -1
	s_waitcnt vmcnt(0)
	v_cmp_eq_u64_e32 vcc, v[34:35], v[36:37]
	s_and_saveexec_b64 s[12:13], vcc
	s_cbranch_execz .LBB1707_276
; %bb.270:
	s_add_u32 s18, s26, -1
	v_lshl_add_u64 v[30:31], v[30:31], 0, 8
	v_lshl_add_u64 v[32:33], v[32:33], 0, 8
	s_addc_u32 s19, s27, -1
	s_mov_b64 s[36:37], 0
	s_mov_b64 s[40:41], 0
                                        ; implicit-def: $sgpr38_sgpr39
	s_branch .LBB1707_273
.LBB1707_271:                           ;   in Loop: Header=BB1707_273 Depth=1
	global_load_dwordx2 v[34:35], v[32:33], off
	global_load_dwordx2 v[36:37], v[30:31], off
	s_add_u32 s40, s40, 1
	s_addc_u32 s41, s41, 0
	s_andn2_b64 s[38:39], s[38:39], exec
	v_lshl_add_u64 v[30:31], v[30:31], 0, 8
	v_lshl_add_u64 v[32:33], v[32:33], 0, 8
	s_waitcnt vmcnt(0)
	v_cmp_ne_u64_e32 vcc, v[34:35], v[36:37]
	s_and_b64 s[42:43], vcc, exec
	s_or_b64 s[38:39], s[38:39], s[42:43]
.LBB1707_272:                           ;   in Loop: Header=BB1707_273 Depth=1
	s_and_b64 s[42:43], exec, s[38:39]
	s_or_b64 s[36:37], s[42:43], s[36:37]
	v_mov_b64_e32 v[34:35], s[40:41]
	s_andn2_b64 exec, exec, s[36:37]
	s_cbranch_execz .LBB1707_275
.LBB1707_273:                           ; =>This Inner Loop Header: Depth=1
	s_or_b64 s[38:39], s[38:39], exec
	s_cmp_eq_u64 s[18:19], s[40:41]
	s_cbranch_scc0 .LBB1707_271
; %bb.274:                              ;   in Loop: Header=BB1707_273 Depth=1
                                        ; implicit-def: $vgpr30_vgpr31
                                        ; implicit-def: $vgpr32_vgpr33
	s_mov_b64 s[40:41], s[26:27]
	s_branch .LBB1707_272
.LBB1707_275:
	s_or_b64 exec, exec, s[36:37]
	v_cmp_gt_i64_e32 vcc, s[26:27], v[34:35]
	s_orn2_b64 s[18:19], vcc, exec
.LBB1707_276:
	s_or_b64 exec, exec, s[12:13]
.LBB1707_277:
	s_and_b64 s[12:13], s[18:19], exec
.LBB1707_278:
	s_or_b64 exec, exec, s[14:15]
	v_cmp_gt_u32_e32 vcc, s3, v39
	s_mov_b64 s[18:19], 0
	s_mov_b64 s[14:15], 0
	s_and_saveexec_b64 s[36:37], vcc
	s_cbranch_execz .LBB1707_289
; %bb.279:
	s_andn2_b64 vcc, exec, s[6:7]
	s_mov_b64 s[38:39], 0
	s_cbranch_vccnz .LBB1707_288
; %bb.280:
	v_mul_lo_u32 v32, v21, s26
	v_mul_lo_u32 v33, v20, s27
	v_mad_u64_u32 v[30:31], s[14:15], v20, s26, 0
	v_add3_u32 v31, v31, v33, v32
	v_mul_lo_u32 v32, v15, s26
	v_mul_lo_u32 v33, v14, s27
	v_mad_u64_u32 v[34:35], s[14:15], v14, s26, 0
	v_add3_u32 v35, v35, v33, v32
	v_lshl_add_u64 v[32:33], v[30:31], 3, s[28:29]
	v_lshl_add_u64 v[30:31], v[34:35], 3, s[28:29]
	global_load_dwordx2 v[34:35], v[32:33], off
	global_load_dwordx2 v[36:37], v[30:31], off
	s_mov_b64 s[38:39], -1
	s_waitcnt vmcnt(0)
	v_cmp_eq_u64_e32 vcc, v[34:35], v[36:37]
	s_and_saveexec_b64 s[14:15], vcc
	s_cbranch_execz .LBB1707_287
; %bb.281:
	s_add_u32 s38, s26, -1
	v_lshl_add_u64 v[30:31], v[30:31], 0, 8
	v_lshl_add_u64 v[32:33], v[32:33], 0, 8
	s_addc_u32 s39, s27, -1
	s_mov_b64 s[40:41], 0
	s_mov_b64 s[44:45], 0
                                        ; implicit-def: $sgpr42_sgpr43
	s_branch .LBB1707_284
.LBB1707_282:                           ;   in Loop: Header=BB1707_284 Depth=1
	global_load_dwordx2 v[34:35], v[32:33], off
	global_load_dwordx2 v[36:37], v[30:31], off
	s_add_u32 s44, s44, 1
	s_addc_u32 s45, s45, 0
	s_andn2_b64 s[42:43], s[42:43], exec
	v_lshl_add_u64 v[30:31], v[30:31], 0, 8
	v_lshl_add_u64 v[32:33], v[32:33], 0, 8
	s_waitcnt vmcnt(0)
	v_cmp_ne_u64_e32 vcc, v[34:35], v[36:37]
	s_and_b64 s[46:47], vcc, exec
	s_or_b64 s[42:43], s[42:43], s[46:47]
.LBB1707_283:                           ;   in Loop: Header=BB1707_284 Depth=1
	s_and_b64 s[46:47], exec, s[42:43]
	s_or_b64 s[40:41], s[46:47], s[40:41]
	v_mov_b64_e32 v[34:35], s[44:45]
	s_andn2_b64 exec, exec, s[40:41]
	s_cbranch_execz .LBB1707_286
.LBB1707_284:                           ; =>This Inner Loop Header: Depth=1
	s_or_b64 s[42:43], s[42:43], exec
	s_cmp_eq_u64 s[38:39], s[44:45]
	s_cbranch_scc0 .LBB1707_282
; %bb.285:                              ;   in Loop: Header=BB1707_284 Depth=1
                                        ; implicit-def: $vgpr30_vgpr31
                                        ; implicit-def: $vgpr32_vgpr33
	s_mov_b64 s[44:45], s[26:27]
	s_branch .LBB1707_283
.LBB1707_286:
	s_or_b64 exec, exec, s[40:41]
	v_cmp_gt_i64_e32 vcc, s[26:27], v[34:35]
	s_orn2_b64 s[38:39], vcc, exec
.LBB1707_287:
	s_or_b64 exec, exec, s[14:15]
.LBB1707_288:
	s_and_b64 s[14:15], s[38:39], exec
.LBB1707_289:
	s_or_b64 exec, exec, s[36:37]
	v_cmp_gt_u32_e32 vcc, s3, v42
	s_and_saveexec_b64 s[36:37], vcc
	s_cbranch_execz .LBB1707_300
; %bb.290:
	s_andn2_b64 vcc, exec, s[6:7]
	s_mov_b64 s[38:39], 0
	s_cbranch_vccnz .LBB1707_299
; %bb.291:
	v_mul_lo_u32 v32, v19, s26
	v_mul_lo_u32 v33, v18, s27
	v_mad_u64_u32 v[30:31], s[18:19], v18, s26, 0
	v_add3_u32 v31, v31, v33, v32
	v_mul_lo_u32 v32, v21, s26
	v_mul_lo_u32 v33, v20, s27
	v_mad_u64_u32 v[34:35], s[18:19], v20, s26, 0
	v_add3_u32 v35, v35, v33, v32
	v_lshl_add_u64 v[32:33], v[30:31], 3, s[28:29]
	v_lshl_add_u64 v[30:31], v[34:35], 3, s[28:29]
	global_load_dwordx2 v[34:35], v[32:33], off
	global_load_dwordx2 v[36:37], v[30:31], off
	s_mov_b64 s[38:39], -1
	s_waitcnt vmcnt(0)
	v_cmp_eq_u64_e32 vcc, v[34:35], v[36:37]
	s_and_saveexec_b64 s[18:19], vcc
	s_cbranch_execz .LBB1707_298
; %bb.292:
	s_add_u32 s38, s26, -1
	v_lshl_add_u64 v[30:31], v[30:31], 0, 8
	v_lshl_add_u64 v[32:33], v[32:33], 0, 8
	s_addc_u32 s39, s27, -1
	s_mov_b64 s[40:41], 0
	s_mov_b64 s[44:45], 0
                                        ; implicit-def: $sgpr42_sgpr43
	s_branch .LBB1707_295
.LBB1707_293:                           ;   in Loop: Header=BB1707_295 Depth=1
	global_load_dwordx2 v[34:35], v[32:33], off
	global_load_dwordx2 v[36:37], v[30:31], off
	s_add_u32 s44, s44, 1
	s_addc_u32 s45, s45, 0
	s_andn2_b64 s[42:43], s[42:43], exec
	v_lshl_add_u64 v[30:31], v[30:31], 0, 8
	v_lshl_add_u64 v[32:33], v[32:33], 0, 8
	s_waitcnt vmcnt(0)
	v_cmp_ne_u64_e32 vcc, v[34:35], v[36:37]
	s_and_b64 s[46:47], vcc, exec
	s_or_b64 s[42:43], s[42:43], s[46:47]
.LBB1707_294:                           ;   in Loop: Header=BB1707_295 Depth=1
	s_and_b64 s[46:47], exec, s[42:43]
	s_or_b64 s[40:41], s[46:47], s[40:41]
	v_mov_b64_e32 v[34:35], s[44:45]
	s_andn2_b64 exec, exec, s[40:41]
	s_cbranch_execz .LBB1707_297
.LBB1707_295:                           ; =>This Inner Loop Header: Depth=1
	s_or_b64 s[42:43], s[42:43], exec
	s_cmp_eq_u64 s[38:39], s[44:45]
	s_cbranch_scc0 .LBB1707_293
; %bb.296:                              ;   in Loop: Header=BB1707_295 Depth=1
                                        ; implicit-def: $vgpr30_vgpr31
                                        ; implicit-def: $vgpr32_vgpr33
	s_mov_b64 s[44:45], s[26:27]
	s_branch .LBB1707_294
.LBB1707_297:
	s_or_b64 exec, exec, s[40:41]
	v_cmp_gt_i64_e32 vcc, s[26:27], v[34:35]
	s_orn2_b64 s[38:39], vcc, exec
.LBB1707_298:
	s_or_b64 exec, exec, s[18:19]
.LBB1707_299:
	s_and_b64 s[18:19], s[38:39], exec
.LBB1707_300:
	s_or_b64 exec, exec, s[36:37]
	v_cmp_gt_u32_e32 vcc, s3, v38
	s_mov_b64 s[36:37], 0
	s_mov_b64 s[38:39], 0
	s_and_saveexec_b64 s[40:41], vcc
	s_cbranch_execz .LBB1707_311
; %bb.301:
	s_andn2_b64 vcc, exec, s[6:7]
	s_mov_b64 s[42:43], 0
	s_cbranch_vccnz .LBB1707_310
; %bb.302:
	v_mul_lo_u32 v32, v25, s26
	v_mul_lo_u32 v33, v24, s27
	v_mad_u64_u32 v[30:31], s[38:39], v24, s26, 0
	v_add3_u32 v31, v31, v33, v32
	v_mul_lo_u32 v32, v19, s26
	v_mul_lo_u32 v33, v18, s27
	v_mad_u64_u32 v[34:35], s[38:39], v18, s26, 0
	v_add3_u32 v35, v35, v33, v32
	v_lshl_add_u64 v[32:33], v[30:31], 3, s[28:29]
	v_lshl_add_u64 v[30:31], v[34:35], 3, s[28:29]
	global_load_dwordx2 v[34:35], v[32:33], off
	global_load_dwordx2 v[36:37], v[30:31], off
	s_mov_b64 s[42:43], -1
	s_waitcnt vmcnt(0)
	v_cmp_eq_u64_e32 vcc, v[34:35], v[36:37]
	s_and_saveexec_b64 s[38:39], vcc
	s_cbranch_execz .LBB1707_309
; %bb.303:
	s_add_u32 s42, s26, -1
	v_lshl_add_u64 v[30:31], v[30:31], 0, 8
	v_lshl_add_u64 v[32:33], v[32:33], 0, 8
	s_addc_u32 s43, s27, -1
	s_mov_b64 s[44:45], 0
	s_mov_b64 s[48:49], 0
                                        ; implicit-def: $sgpr46_sgpr47
	s_branch .LBB1707_306
.LBB1707_304:                           ;   in Loop: Header=BB1707_306 Depth=1
	global_load_dwordx2 v[34:35], v[32:33], off
	global_load_dwordx2 v[36:37], v[30:31], off
	s_add_u32 s48, s48, 1
	s_addc_u32 s49, s49, 0
	s_andn2_b64 s[46:47], s[46:47], exec
	v_lshl_add_u64 v[30:31], v[30:31], 0, 8
	v_lshl_add_u64 v[32:33], v[32:33], 0, 8
	s_waitcnt vmcnt(0)
	v_cmp_ne_u64_e32 vcc, v[34:35], v[36:37]
	s_and_b64 s[50:51], vcc, exec
	s_or_b64 s[46:47], s[46:47], s[50:51]
.LBB1707_305:                           ;   in Loop: Header=BB1707_306 Depth=1
	s_and_b64 s[50:51], exec, s[46:47]
	s_or_b64 s[44:45], s[50:51], s[44:45]
	v_mov_b64_e32 v[34:35], s[48:49]
	s_andn2_b64 exec, exec, s[44:45]
	s_cbranch_execz .LBB1707_308
.LBB1707_306:                           ; =>This Inner Loop Header: Depth=1
	s_or_b64 s[46:47], s[46:47], exec
	s_cmp_eq_u64 s[42:43], s[48:49]
	s_cbranch_scc0 .LBB1707_304
; %bb.307:                              ;   in Loop: Header=BB1707_306 Depth=1
                                        ; implicit-def: $vgpr30_vgpr31
                                        ; implicit-def: $vgpr32_vgpr33
	s_mov_b64 s[48:49], s[26:27]
	s_branch .LBB1707_305
.LBB1707_308:
	s_or_b64 exec, exec, s[44:45]
	v_cmp_gt_i64_e32 vcc, s[26:27], v[34:35]
	s_orn2_b64 s[42:43], vcc, exec
.LBB1707_309:
	s_or_b64 exec, exec, s[38:39]
.LBB1707_310:
	s_and_b64 s[38:39], s[42:43], exec
.LBB1707_311:
	s_or_b64 exec, exec, s[40:41]
	v_cmp_gt_u32_e32 vcc, s3, v41
	s_and_saveexec_b64 s[40:41], vcc
	s_cbranch_execz .LBB1707_322
; %bb.312:
	s_andn2_b64 vcc, exec, s[6:7]
	s_mov_b64 s[42:43], 0
	s_cbranch_vccnz .LBB1707_321
; %bb.313:
	v_mul_lo_u32 v32, v23, s26
	v_mul_lo_u32 v33, v22, s27
	v_mad_u64_u32 v[30:31], s[36:37], v22, s26, 0
	v_add3_u32 v31, v31, v33, v32
	v_mul_lo_u32 v32, v25, s26
	v_mul_lo_u32 v33, v24, s27
	v_mad_u64_u32 v[34:35], s[36:37], v24, s26, 0
	v_add3_u32 v35, v35, v33, v32
	v_lshl_add_u64 v[32:33], v[30:31], 3, s[28:29]
	v_lshl_add_u64 v[30:31], v[34:35], 3, s[28:29]
	global_load_dwordx2 v[34:35], v[32:33], off
	global_load_dwordx2 v[36:37], v[30:31], off
	s_mov_b64 s[42:43], -1
	s_waitcnt vmcnt(0)
	v_cmp_eq_u64_e32 vcc, v[34:35], v[36:37]
	s_and_saveexec_b64 s[36:37], vcc
	s_cbranch_execz .LBB1707_320
; %bb.314:
	s_add_u32 s42, s26, -1
	v_lshl_add_u64 v[30:31], v[30:31], 0, 8
	v_lshl_add_u64 v[32:33], v[32:33], 0, 8
	s_addc_u32 s43, s27, -1
	s_mov_b64 s[44:45], 0
	s_mov_b64 s[48:49], 0
                                        ; implicit-def: $sgpr46_sgpr47
	s_branch .LBB1707_317
.LBB1707_315:                           ;   in Loop: Header=BB1707_317 Depth=1
	global_load_dwordx2 v[34:35], v[32:33], off
	global_load_dwordx2 v[36:37], v[30:31], off
	s_add_u32 s48, s48, 1
	s_addc_u32 s49, s49, 0
	s_andn2_b64 s[46:47], s[46:47], exec
	v_lshl_add_u64 v[30:31], v[30:31], 0, 8
	v_lshl_add_u64 v[32:33], v[32:33], 0, 8
	s_waitcnt vmcnt(0)
	v_cmp_ne_u64_e32 vcc, v[34:35], v[36:37]
	s_and_b64 s[50:51], vcc, exec
	s_or_b64 s[46:47], s[46:47], s[50:51]
.LBB1707_316:                           ;   in Loop: Header=BB1707_317 Depth=1
	s_and_b64 s[50:51], exec, s[46:47]
	s_or_b64 s[44:45], s[50:51], s[44:45]
	v_mov_b64_e32 v[34:35], s[48:49]
	s_andn2_b64 exec, exec, s[44:45]
	s_cbranch_execz .LBB1707_319
.LBB1707_317:                           ; =>This Inner Loop Header: Depth=1
	s_or_b64 s[46:47], s[46:47], exec
	s_cmp_eq_u64 s[42:43], s[48:49]
	s_cbranch_scc0 .LBB1707_315
; %bb.318:                              ;   in Loop: Header=BB1707_317 Depth=1
                                        ; implicit-def: $vgpr30_vgpr31
                                        ; implicit-def: $vgpr32_vgpr33
	s_mov_b64 s[48:49], s[26:27]
	s_branch .LBB1707_316
.LBB1707_319:
	s_or_b64 exec, exec, s[44:45]
	v_cmp_gt_i64_e32 vcc, s[26:27], v[34:35]
	s_orn2_b64 s[42:43], vcc, exec
.LBB1707_320:
	s_or_b64 exec, exec, s[36:37]
.LBB1707_321:
	s_and_b64 s[36:37], s[42:43], exec
.LBB1707_322:
	s_or_b64 exec, exec, s[40:41]
	v_cndmask_b32_e64 v31, 0, 1, s[18:19]
	v_cndmask_b32_e64 v30, 0, 1, s[38:39]
	;; [unrolled: 1-line block ×3, first 2 shown]
	v_lshlrev_b16_e32 v31, 8, v31
	v_cndmask_b32_e64 v46, 0, 1, s[14:15]
	v_cndmask_b32_e64 v32, 0, 1, s[36:37]
	v_or_b32_sdwa v30, v30, v31 dst_sel:WORD_1 dst_unused:UNUSED_PAD src0_sel:DWORD src1_sel:DWORD
	v_lshlrev_b16_e32 v31, 8, v47
	v_lshlrev_b16_e32 v32, 8, v32
	v_or_b32_e32 v31, v46, v31
	v_or_b32_e32 v32, 1, v32
	v_and_b32_e32 v31, 0xffff, v31
	v_cndmask_b32_e64 v48, 0, 1, s[4:5]
	v_or_b32_sdwa v30, v32, v30 dst_sel:DWORD dst_unused:UNUSED_PAD src0_sel:WORD_0 src1_sel:DWORD
	v_lshl_or_b32 v31, v48, 16, v31
	v_cmp_ne_u32_e32 vcc, 0, v0
	s_waitcnt lgkmcnt(0)
	s_barrier
	s_waitcnt lgkmcnt(0)
                                        ; implicit-def: $sgpr18_sgpr19
                                        ; implicit-def: $vgpr34
	s_and_saveexec_b64 s[4:5], vcc
	s_cbranch_execz .LBB1707_335
; %bb.323:
	v_cmp_gt_u32_e32 vcc, s3, v1
	s_mov_b32 s33, 0x3020104
	s_mov_b64 s[14:15], 0
	s_and_saveexec_b64 s[12:13], vcc
	s_cbranch_execz .LBB1707_334
; %bb.324:
	s_andn2_b64 vcc, exec, s[6:7]
	s_cbranch_vccnz .LBB1707_333
; %bb.325:
	v_add_u32_e32 v31, -8, v44
	ds_read_b64 v[32:33], v31
	v_mul_lo_u32 v31, v23, s26
	v_mad_u64_u32 v[36:37], s[6:7], v22, s26, 0
	s_mov_b64 s[14:15], -1
	s_waitcnt lgkmcnt(0)
	v_mul_lo_u32 v34, v33, s26
	v_mul_lo_u32 v35, v32, s27
	v_mad_u64_u32 v[32:33], s[6:7], v32, s26, 0
	v_add3_u32 v33, v33, v35, v34
	v_mul_lo_u32 v34, v22, s27
	v_add3_u32 v37, v37, v34, v31
	v_lshl_add_u64 v[34:35], v[32:33], 3, s[28:29]
	v_lshl_add_u64 v[32:33], v[36:37], 3, s[28:29]
	global_load_dwordx2 v[36:37], v[34:35], off
	global_load_dwordx2 v[44:45], v[32:33], off
	s_waitcnt vmcnt(0)
	v_cmp_eq_u64_e32 vcc, v[36:37], v[44:45]
	s_and_saveexec_b64 s[6:7], vcc
	s_cbranch_execz .LBB1707_332
; %bb.326:
	s_add_u32 s14, s26, -1
	v_lshl_add_u64 v[32:33], v[32:33], 0, 8
	v_lshl_add_u64 v[34:35], v[34:35], 0, 8
	s_addc_u32 s15, s27, -1
	s_mov_b64 s[18:19], 0
	s_mov_b64 s[36:37], 0
                                        ; implicit-def: $sgpr28_sgpr29
	s_branch .LBB1707_329
.LBB1707_327:                           ;   in Loop: Header=BB1707_329 Depth=1
	global_load_dwordx2 v[36:37], v[34:35], off
	global_load_dwordx2 v[44:45], v[32:33], off
	s_add_u32 s36, s36, 1
	s_addc_u32 s37, s37, 0
	s_andn2_b64 s[28:29], s[28:29], exec
	v_lshl_add_u64 v[32:33], v[32:33], 0, 8
	v_lshl_add_u64 v[34:35], v[34:35], 0, 8
	s_waitcnt vmcnt(0)
	v_cmp_ne_u64_e32 vcc, v[36:37], v[44:45]
	s_and_b64 s[38:39], vcc, exec
	s_or_b64 s[28:29], s[28:29], s[38:39]
.LBB1707_328:                           ;   in Loop: Header=BB1707_329 Depth=1
	s_and_b64 s[38:39], exec, s[28:29]
	s_or_b64 s[18:19], s[38:39], s[18:19]
	v_mov_b64_e32 v[36:37], s[36:37]
	s_andn2_b64 exec, exec, s[18:19]
	s_cbranch_execz .LBB1707_331
.LBB1707_329:                           ; =>This Inner Loop Header: Depth=1
	s_or_b64 s[28:29], s[28:29], exec
	s_cmp_eq_u64 s[14:15], s[36:37]
	s_cbranch_scc0 .LBB1707_327
; %bb.330:                              ;   in Loop: Header=BB1707_329 Depth=1
                                        ; implicit-def: $vgpr32_vgpr33
                                        ; implicit-def: $vgpr34_vgpr35
	s_mov_b64 s[36:37], s[26:27]
	s_branch .LBB1707_328
.LBB1707_331:
	s_or_b64 exec, exec, s[18:19]
	v_cmp_gt_i64_e32 vcc, s[26:27], v[36:37]
	s_orn2_b64 s[14:15], vcc, exec
.LBB1707_332:
	s_or_b64 exec, exec, s[6:7]
.LBB1707_333:
	s_and_b64 s[14:15], s[14:15], exec
.LBB1707_334:
	s_or_b64 exec, exec, s[12:13]
	v_perm_b32 v34, v30, v30, s33
	s_and_b64 s[18:19], s[14:15], exec
	s_or_b64 s[10:11], s[10:11], exec
                                        ; implicit-def: $vgpr30_vgpr31
.LBB1707_335:
	s_or_b64 exec, exec, s[4:5]
.LBB1707_336:
	s_and_saveexec_b64 s[4:5], s[10:11]
	s_cbranch_execz .LBB1707_338
; %bb.337:
	s_waitcnt lgkmcnt(0)
	v_lshlrev_b16_e32 v31, 8, v47
	v_and_b32_e32 v32, 0xff, v48
	v_or_b32_sdwa v31, v46, v31 dst_sel:DWORD dst_unused:UNUSED_PAD src0_sel:BYTE_0 src1_sel:DWORD
	v_lshlrev_b32_e32 v32, 16, v32
	s_movk_i32 s6, 0xff
	v_or_b32_sdwa v31, v31, v32 dst_sel:DWORD dst_unused:UNUSED_PAD src0_sel:WORD_0 src1_sel:DWORD
	v_lshrrev_b32_e32 v32, 24, v34
	v_lshlrev_b16_e32 v32, 8, v32
	v_and_b32_sdwa v33, v34, s6 dst_sel:DWORD dst_unused:UNUSED_PAD src0_sel:WORD_1 src1_sel:DWORD
	v_or_b32_sdwa v32, v33, v32 dst_sel:WORD_1 dst_unused:UNUSED_PAD src0_sel:DWORD src1_sel:DWORD
	v_mov_b32_e32 v33, 8
	v_cndmask_b32_e64 v30, 0, 1, s[18:19]
	v_lshrrev_b32_sdwa v33, v33, v34 dst_sel:BYTE_1 dst_unused:UNUSED_PAD src0_sel:DWORD src1_sel:DWORD
	s_nop 0
	v_or_b32_e32 v30, v30, v33
	v_or_b32_sdwa v30, v30, v32 dst_sel:DWORD dst_unused:UNUSED_PAD src0_sel:WORD_0 src1_sel:DWORD
.LBB1707_338:
	s_or_b64 exec, exec, s[4:5]
	s_andn2_b64 vcc, exec, s[8:9]
	s_cbranch_vccnz .LBB1707_340
; %bb.339:
	s_waitcnt lgkmcnt(0)
	v_and_b32_e32 v32, 0xffff0000, v30
	v_cmp_gt_u32_e32 vcc, s3, v1
	s_mov_b32 s4, 0x40c0100
	s_nop 0
	v_cndmask_b32_e32 v1, v32, v30, vcc
	v_and_b32_e32 v1, 0xffff00ff, v1
	v_cmp_gt_u32_e32 vcc, s3, v41
	s_nop 1
	v_cndmask_b32_e32 v1, v1, v30, vcc
	v_lshrrev_b32_e32 v32, 24, v1
	v_perm_b32 v1, v32, v1, s4
	v_cmp_gt_u32_e32 vcc, s3, v38
	v_and_b32_e32 v32, 0xffffff00, v31
	s_nop 0
	v_cndmask_b32_e32 v1, v1, v30, vcc
	v_and_b32_e32 v1, 0xffffff, v1
	v_cmp_gt_u32_e32 vcc, s3, v42
	s_nop 1
	v_cndmask_b32_e32 v1, v1, v30, vcc
	v_cmp_gt_u32_e32 vcc, s3, v39
	s_nop 1
	v_cndmask_b32_e32 v32, v32, v31, vcc
	v_and_b32_e32 v32, 0xffff00ff, v32
	v_cndmask_b32_e32 v1, v1, v30, vcc
	v_cmp_gt_u32_e32 vcc, s3, v43
	s_nop 1
	v_cndmask_b32_e32 v32, v32, v31, vcc
	v_lshrrev_b32_e32 v33, 24, v32
	v_cndmask_b32_e32 v1, v1, v30, vcc
	v_perm_b32 v32, v33, v32, s4
	v_cmp_gt_u32_e32 vcc, s3, v40
	s_mov_b32 s3, 0x3020104
	s_nop 0
	v_cndmask_b32_e32 v1, v1, v30, vcc
	v_cndmask_b32_e32 v30, v32, v31, vcc
	v_mov_b32_e32 v31, 8
	v_lshrrev_b32_sdwa v31, v31, v30 dst_sel:BYTE_1 dst_unused:UNUSED_PAD src0_sel:DWORD src1_sel:DWORD
	s_nop 0
	v_or_b32_sdwa v31, v30, v31 dst_sel:DWORD dst_unused:UNUSED_PAD src0_sel:BYTE_0 src1_sel:DWORD
	v_and_b32_e32 v31, 0xffff, v31
	v_bfe_u32 v30, v30, 16, 8
	v_lshl_or_b32 v31, v30, 16, v31
	v_perm_b32 v30, v1, v1, s3
.LBB1707_340:
	s_waitcnt lgkmcnt(0)
	v_and_b32_e32 v1, 0xff, v30
	v_bfe_u32 v43, v30, 8, 8
	v_bfe_u32 v45, v30, 16, 8
	v_alignbit_b32 v32, v31, v30, 24
	v_and_b32_e32 v47, 0xff, v32
	v_and_b32_e32 v48, 0xff, v31
	v_add3_u32 v33, v43, v1, v45
	v_bfe_u32 v49, v31, 8, 8
	v_bfe_u32 v32, v31, 16, 8
	v_add3_u32 v33, v33, v47, v48
	v_add3_u32 v52, v33, v49, v32
	v_mbcnt_lo_u32_b32 v32, -1, 0
	v_mbcnt_hi_u32_b32 v50, -1, v32
	v_and_b32_e32 v32, 15, v50
	v_cmp_eq_u32_e64 s[14:15], 0, v32
	v_cmp_lt_u32_e64 s[12:13], 1, v32
	v_cmp_lt_u32_e64 s[10:11], 3, v32
	;; [unrolled: 1-line block ×3, first 2 shown]
	v_and_b32_e32 v32, 16, v50
	v_cmp_eq_u32_e64 s[6:7], 0, v32
	v_or_b32_e32 v32, 63, v0
	v_cmp_lt_u32_e64 s[18:19], 31, v50
	v_lshrrev_b32_e32 v51, 6, v0
	v_cmp_eq_u32_e64 s[4:5], v32, v0
	s_and_b64 vcc, exec, s[16:17]
	s_barrier
	s_cbranch_vccz .LBB1707_367
; %bb.341:
	v_mov_b32_dpp v32, v52 row_shr:1 row_mask:0xf bank_mask:0xf
	v_cndmask_b32_e64 v32, v32, 0, s[14:15]
	v_add_u32_e32 v32, v32, v52
	s_nop 1
	v_mov_b32_dpp v33, v32 row_shr:2 row_mask:0xf bank_mask:0xf
	v_cndmask_b32_e64 v33, 0, v33, s[12:13]
	v_add_u32_e32 v32, v32, v33
	s_nop 1
	;; [unrolled: 4-line block ×4, first 2 shown]
	v_mov_b32_dpp v33, v32 row_bcast:15 row_mask:0xf bank_mask:0xf
	v_cndmask_b32_e64 v33, v33, 0, s[6:7]
	v_add_u32_e32 v32, v32, v33
	s_nop 1
	v_mov_b32_dpp v33, v32 row_bcast:31 row_mask:0xf bank_mask:0xf
	v_cndmask_b32_e64 v33, 0, v33, s[18:19]
	v_add_u32_e32 v32, v32, v33
	s_and_saveexec_b64 s[16:17], s[4:5]
	s_cbranch_execz .LBB1707_343
; %bb.342:
	v_lshlrev_b32_e32 v33, 2, v51
	ds_write_b32 v33, v32
.LBB1707_343:
	s_or_b64 exec, exec, s[16:17]
	v_cmp_gt_u32_e32 vcc, 8, v0
	s_waitcnt lgkmcnt(0)
	s_barrier
	s_and_saveexec_b64 s[16:17], vcc
	s_cbranch_execz .LBB1707_345
; %bb.344:
	v_lshlrev_b32_e32 v33, 2, v0
	ds_read_b32 v34, v33
	v_and_b32_e32 v35, 7, v50
	v_cmp_ne_u32_e32 vcc, 0, v35
	s_waitcnt lgkmcnt(0)
	v_mov_b32_dpp v36, v34 row_shr:1 row_mask:0xf bank_mask:0xf
	v_cndmask_b32_e32 v36, 0, v36, vcc
	v_add_u32_e32 v34, v36, v34
	v_cmp_lt_u32_e32 vcc, 1, v35
	s_nop 0
	v_mov_b32_dpp v36, v34 row_shr:2 row_mask:0xf bank_mask:0xf
	v_cndmask_b32_e32 v36, 0, v36, vcc
	v_add_u32_e32 v34, v34, v36
	v_cmp_lt_u32_e32 vcc, 3, v35
	s_nop 0
	v_mov_b32_dpp v36, v34 row_shr:4 row_mask:0xf bank_mask:0xf
	v_cndmask_b32_e32 v35, 0, v36, vcc
	v_add_u32_e32 v34, v34, v35
	ds_write_b32 v33, v34
.LBB1707_345:
	s_or_b64 exec, exec, s[16:17]
	v_cmp_gt_u32_e32 vcc, 64, v0
	v_cmp_lt_u32_e64 s[16:17], 63, v0
	s_waitcnt lgkmcnt(0)
	s_barrier
	s_waitcnt lgkmcnt(0)
                                        ; implicit-def: $vgpr42
	s_and_saveexec_b64 s[26:27], s[16:17]
	s_cbranch_execz .LBB1707_347
; %bb.346:
	v_lshl_add_u32 v33, v51, 2, -4
	ds_read_b32 v42, v33
	s_waitcnt lgkmcnt(0)
	v_add_u32_e32 v32, v42, v32
.LBB1707_347:
	s_or_b64 exec, exec, s[26:27]
	v_add_u32_e32 v33, -1, v50
	v_and_b32_e32 v34, 64, v50
	v_cmp_lt_i32_e64 s[16:17], v33, v34
	s_nop 1
	v_cndmask_b32_e64 v33, v33, v50, s[16:17]
	v_lshlrev_b32_e32 v33, 2, v33
	ds_bpermute_b32 v44, v33, v32
	v_cmp_eq_u32_e64 s[16:17], 0, v50
	s_and_saveexec_b64 s[26:27], vcc
	s_cbranch_execz .LBB1707_366
; %bb.348:
	v_mov_b32_e32 v39, 0
	ds_read_b32 v32, v39 offset:28
	s_and_saveexec_b64 s[28:29], s[16:17]
	s_cbranch_execz .LBB1707_350
; %bb.349:
	s_add_i32 s36, s2, 64
	s_mov_b32 s37, 0
	s_lshl_b64 s[36:37], s[36:37], 3
	s_add_u32 s36, s30, s36
	v_mov_b32_e32 v33, 1
	s_addc_u32 s37, s31, s37
	s_waitcnt lgkmcnt(0)
	global_store_dwordx2 v39, v[32:33], s[36:37] sc1
.LBB1707_350:
	s_or_b64 exec, exec, s[28:29]
	v_xad_u32 v34, v50, -1, s2
	v_add_u32_e32 v38, 64, v34
	v_lshl_add_u64 v[40:41], v[38:39], 3, s[30:31]
	global_load_dwordx2 v[36:37], v[40:41], off sc1
	s_waitcnt vmcnt(0)
	v_cmp_eq_u16_sdwa s[36:37], v37, v39 src0_sel:BYTE_0 src1_sel:DWORD
	s_and_saveexec_b64 s[28:29], s[36:37]
	s_cbranch_execz .LBB1707_354
; %bb.351:
	s_mov_b64 s[36:37], 0
	v_mov_b32_e32 v33, 0
.LBB1707_352:                           ; =>This Inner Loop Header: Depth=1
	global_load_dwordx2 v[36:37], v[40:41], off sc1
	s_waitcnt vmcnt(0)
	v_cmp_ne_u16_sdwa s[38:39], v37, v33 src0_sel:BYTE_0 src1_sel:DWORD
	s_or_b64 s[36:37], s[38:39], s[36:37]
	s_andn2_b64 exec, exec, s[36:37]
	s_cbranch_execnz .LBB1707_352
; %bb.353:
	s_or_b64 exec, exec, s[36:37]
.LBB1707_354:
	s_or_b64 exec, exec, s[28:29]
	v_and_b32_e32 v46, 63, v50
	v_mov_b32_e32 v33, 2
	v_cmp_ne_u32_e32 vcc, 63, v46
	v_cmp_eq_u16_sdwa s[28:29], v37, v33 src0_sel:BYTE_0 src1_sel:DWORD
	v_lshlrev_b64 v[38:39], v50, -1
	v_addc_co_u32_e32 v41, vcc, 0, v50, vcc
	v_and_b32_e32 v35, s29, v39
	v_lshlrev_b32_e32 v53, 2, v41
	v_or_b32_e32 v35, 0x80000000, v35
	ds_bpermute_b32 v41, v53, v36
	v_and_b32_e32 v40, s28, v38
	v_ffbl_b32_e32 v35, v35
	v_add_u32_e32 v35, 32, v35
	v_ffbl_b32_e32 v40, v40
	v_min_u32_e32 v35, v40, v35
	v_cmp_lt_u32_e32 vcc, v46, v35
	v_add_u32_e32 v55, 2, v46
	v_add_u32_e32 v57, 4, v46
	s_waitcnt lgkmcnt(0)
	v_cndmask_b32_e32 v40, 0, v41, vcc
	v_cmp_gt_u32_e32 vcc, 62, v46
	v_add_u32_e32 v36, v40, v36
	v_add_u32_e32 v59, 8, v46
	v_cndmask_b32_e64 v40, 0, 1, vcc
	v_lshlrev_b32_e32 v40, 1, v40
	v_add_lshl_u32 v54, v40, v50, 2
	ds_bpermute_b32 v40, v54, v36
	v_cmp_le_u32_e32 vcc, v55, v35
	v_add_u32_e32 v62, 16, v46
	v_add_u32_e32 v64, 32, v46
	s_waitcnt lgkmcnt(0)
	v_cndmask_b32_e32 v40, 0, v40, vcc
	v_cmp_gt_u32_e32 vcc, 60, v46
	v_add_u32_e32 v36, v36, v40
	s_nop 0
	v_cndmask_b32_e64 v40, 0, 1, vcc
	v_lshlrev_b32_e32 v40, 2, v40
	v_add_lshl_u32 v56, v40, v50, 2
	ds_bpermute_b32 v40, v56, v36
	v_cmp_le_u32_e32 vcc, v57, v35
	s_waitcnt lgkmcnt(0)
	s_nop 0
	v_cndmask_b32_e32 v40, 0, v40, vcc
	v_cmp_gt_u32_e32 vcc, 56, v46
	v_add_u32_e32 v36, v36, v40
	s_nop 0
	v_cndmask_b32_e64 v40, 0, 1, vcc
	v_lshlrev_b32_e32 v40, 3, v40
	v_add_lshl_u32 v58, v40, v50, 2
	ds_bpermute_b32 v40, v58, v36
	v_cmp_le_u32_e32 vcc, v59, v35
	s_waitcnt lgkmcnt(0)
	s_nop 0
	;; [unrolled: 11-line block ×4, first 2 shown]
	v_cndmask_b32_e32 v35, 0, v40, vcc
	v_add_u32_e32 v36, v36, v35
	v_mov_b32_e32 v35, 0
	s_branch .LBB1707_356
.LBB1707_355:                           ;   in Loop: Header=BB1707_356 Depth=1
	s_or_b64 exec, exec, s[28:29]
	v_cmp_eq_u16_sdwa s[28:29], v37, v33 src0_sel:BYTE_0 src1_sel:DWORD
	ds_bpermute_b32 v65, v53, v36
	v_subrev_u32_e32 v34, 64, v34
	v_and_b32_e32 v40, s29, v39
	v_or_b32_e32 v40, 0x80000000, v40
	v_and_b32_e32 v41, s28, v38
	v_ffbl_b32_e32 v40, v40
	v_add_u32_e32 v40, 32, v40
	v_ffbl_b32_e32 v41, v41
	v_min_u32_e32 v40, v41, v40
	v_cmp_lt_u32_e32 vcc, v46, v40
	s_waitcnt lgkmcnt(0)
	s_nop 0
	v_cndmask_b32_e32 v41, 0, v65, vcc
	v_add_u32_e32 v36, v41, v36
	ds_bpermute_b32 v41, v54, v36
	v_cmp_le_u32_e32 vcc, v55, v40
	s_waitcnt lgkmcnt(0)
	s_nop 0
	v_cndmask_b32_e32 v41, 0, v41, vcc
	v_add_u32_e32 v36, v36, v41
	ds_bpermute_b32 v41, v56, v36
	v_cmp_le_u32_e32 vcc, v57, v40
	;; [unrolled: 6-line block ×5, first 2 shown]
	s_waitcnt lgkmcnt(0)
	s_nop 0
	v_cndmask_b32_e32 v40, 0, v41, vcc
	v_add3_u32 v36, v40, v60, v36
.LBB1707_356:                           ; =>This Loop Header: Depth=1
                                        ;     Child Loop BB1707_359 Depth 2
	v_cmp_ne_u16_sdwa s[28:29], v37, v33 src0_sel:BYTE_0 src1_sel:DWORD
	v_mov_b32_e32 v60, v36
	s_nop 0
	v_cndmask_b32_e64 v37, 0, 1, s[28:29]
	;;#ASMSTART
	;;#ASMEND
	s_nop 0
	v_cmp_ne_u32_e32 vcc, 0, v37
	s_cmp_lg_u64 vcc, exec
	s_cbranch_scc1 .LBB1707_361
; %bb.357:                              ;   in Loop: Header=BB1707_356 Depth=1
	v_lshl_add_u64 v[40:41], v[34:35], 3, s[30:31]
	global_load_dwordx2 v[36:37], v[40:41], off sc1
	s_waitcnt vmcnt(0)
	v_cmp_eq_u16_sdwa s[36:37], v37, v35 src0_sel:BYTE_0 src1_sel:DWORD
	s_and_saveexec_b64 s[28:29], s[36:37]
	s_cbranch_execz .LBB1707_355
; %bb.358:                              ;   in Loop: Header=BB1707_356 Depth=1
	s_mov_b64 s[36:37], 0
.LBB1707_359:                           ;   Parent Loop BB1707_356 Depth=1
                                        ; =>  This Inner Loop Header: Depth=2
	global_load_dwordx2 v[36:37], v[40:41], off sc1
	s_waitcnt vmcnt(0)
	v_cmp_ne_u16_sdwa s[38:39], v37, v35 src0_sel:BYTE_0 src1_sel:DWORD
	s_or_b64 s[36:37], s[38:39], s[36:37]
	s_andn2_b64 exec, exec, s[36:37]
	s_cbranch_execnz .LBB1707_359
; %bb.360:                              ;   in Loop: Header=BB1707_356 Depth=1
	s_or_b64 exec, exec, s[36:37]
	s_branch .LBB1707_355
.LBB1707_361:                           ;   in Loop: Header=BB1707_356 Depth=1
                                        ; implicit-def: $vgpr36
                                        ; implicit-def: $vgpr37
	s_cbranch_execz .LBB1707_356
; %bb.362:
	s_and_saveexec_b64 s[28:29], s[16:17]
	s_cbranch_execz .LBB1707_364
; %bb.363:
	s_add_i32 s2, s2, 64
	s_mov_b32 s3, 0
	s_lshl_b64 s[2:3], s[2:3], 3
	s_add_u32 s2, s30, s2
	v_add_u32_e32 v34, v60, v32
	v_mov_b32_e32 v35, 2
	s_addc_u32 s3, s31, s3
	v_mov_b32_e32 v33, 0
	global_store_dwordx2 v33, v[34:35], s[2:3] sc1
	s_movk_i32 s2, 0x7000
	v_add_u32_e64 v33, s2, 0
	ds_write2_b32 v33, v32, v60 offset1:2
.LBB1707_364:
	s_or_b64 exec, exec, s[28:29]
	v_cmp_eq_u32_e32 vcc, 0, v0
	s_and_b64 exec, exec, vcc
	s_cbranch_execz .LBB1707_366
; %bb.365:
	v_mov_b32_e32 v32, 0
	ds_write_b32 v32, v60 offset:28
.LBB1707_366:
	s_or_b64 exec, exec, s[26:27]
	v_mov_b32_e32 v32, 0
	s_waitcnt lgkmcnt(0)
	s_barrier
	ds_read_b32 v32, v32 offset:28
	v_cndmask_b32_e64 v33, v44, v42, s[16:17]
	v_cmp_ne_u32_e32 vcc, 0, v0
	s_movk_i32 s2, 0x7000
	s_waitcnt lgkmcnt(0)
	v_cndmask_b32_e32 v33, 0, v33, vcc
	v_add_u32_e32 v46, v32, v33
	v_add_u32_e64 v32, s2, 0
	v_add_u32_e32 v44, v46, v1
	s_barrier
	ds_read2_b32 v[32:33], v32 offset1:2
	v_add_u32_e32 v42, v44, v43
	v_add_u32_e32 v40, v42, v45
	;; [unrolled: 1-line block ×5, first 2 shown]
	s_waitcnt lgkmcnt(0)
	v_readfirstlane_b32 s26, v32
	v_readfirstlane_b32 s16, v33
	v_lshrrev_b64 v[32:33], 24, v[30:31]
	s_branch .LBB1707_377
.LBB1707_367:
                                        ; implicit-def: $vgpr34
                                        ; implicit-def: $vgpr36
                                        ; implicit-def: $vgpr38
                                        ; implicit-def: $vgpr40
                                        ; implicit-def: $vgpr42
                                        ; implicit-def: $vgpr44
                                        ; implicit-def: $vgpr46
                                        ; implicit-def: $sgpr16
                                        ; implicit-def: $sgpr26
	v_lshrrev_b64 v[32:33], 24, v[30:31]
	s_cbranch_execz .LBB1707_377
; %bb.368:
	s_nop 0
	v_mov_b32_dpp v33, v52 row_shr:1 row_mask:0xf bank_mask:0xf
	v_cndmask_b32_e64 v33, v33, 0, s[14:15]
	v_add_u32_e32 v33, v33, v52
	s_nop 1
	v_mov_b32_dpp v34, v33 row_shr:2 row_mask:0xf bank_mask:0xf
	v_cndmask_b32_e64 v34, 0, v34, s[12:13]
	v_add_u32_e32 v33, v33, v34
	;; [unrolled: 4-line block ×4, first 2 shown]
	s_nop 1
	v_mov_b32_dpp v34, v33 row_bcast:15 row_mask:0xf bank_mask:0xf
	v_cndmask_b32_e64 v34, v34, 0, s[6:7]
	v_add_u32_e32 v33, v33, v34
	s_nop 1
	v_mov_b32_dpp v34, v33 row_bcast:31 row_mask:0xf bank_mask:0xf
	v_cndmask_b32_e64 v34, 0, v34, s[18:19]
	v_add_u32_e32 v33, v33, v34
	s_and_saveexec_b64 s[2:3], s[4:5]
	s_cbranch_execz .LBB1707_370
; %bb.369:
	v_lshlrev_b32_e32 v34, 2, v51
	ds_write_b32 v34, v33
.LBB1707_370:
	s_or_b64 exec, exec, s[2:3]
	v_cmp_gt_u32_e32 vcc, 8, v0
	s_waitcnt lgkmcnt(0)
	s_barrier
	s_and_saveexec_b64 s[2:3], vcc
	s_cbranch_execz .LBB1707_372
; %bb.371:
	v_lshlrev_b32_e32 v34, 2, v0
	ds_read_b32 v35, v34
	v_and_b32_e32 v36, 7, v50
	v_cmp_ne_u32_e32 vcc, 0, v36
	s_waitcnt lgkmcnt(0)
	v_mov_b32_dpp v37, v35 row_shr:1 row_mask:0xf bank_mask:0xf
	v_cndmask_b32_e32 v37, 0, v37, vcc
	v_add_u32_e32 v35, v37, v35
	v_cmp_lt_u32_e32 vcc, 1, v36
	s_nop 0
	v_mov_b32_dpp v37, v35 row_shr:2 row_mask:0xf bank_mask:0xf
	v_cndmask_b32_e32 v37, 0, v37, vcc
	v_add_u32_e32 v35, v35, v37
	v_cmp_lt_u32_e32 vcc, 3, v36
	s_nop 0
	v_mov_b32_dpp v37, v35 row_shr:4 row_mask:0xf bank_mask:0xf
	v_cndmask_b32_e32 v36, 0, v37, vcc
	v_add_u32_e32 v35, v35, v36
	ds_write_b32 v34, v35
.LBB1707_372:
	s_or_b64 exec, exec, s[2:3]
	v_cmp_lt_u32_e32 vcc, 63, v0
	v_mov_b32_e32 v35, 0
	v_mov_b32_e32 v34, 0
	s_waitcnt lgkmcnt(0)
	s_barrier
	s_and_saveexec_b64 s[2:3], vcc
	s_cbranch_execz .LBB1707_374
; %bb.373:
	v_lshl_add_u32 v34, v51, 2, -4
	ds_read_b32 v34, v34
.LBB1707_374:
	s_or_b64 exec, exec, s[2:3]
	v_add_u32_e32 v36, -1, v50
	v_and_b32_e32 v37, 64, v50
	v_cmp_lt_i32_e32 vcc, v36, v37
	s_waitcnt lgkmcnt(0)
	v_add_u32_e32 v33, v34, v33
	ds_read_b32 v35, v35 offset:28
	v_cndmask_b32_e32 v36, v36, v50, vcc
	v_lshlrev_b32_e32 v36, 2, v36
	ds_bpermute_b32 v33, v36, v33
	s_mov_b32 s16, 0
	v_cmp_eq_u32_e32 vcc, 0, v0
	s_waitcnt lgkmcnt(1)
	v_readfirstlane_b32 s26, v35
	s_and_saveexec_b64 s[2:3], vcc
	s_cbranch_execz .LBB1707_376
; %bb.375:
	v_mov_b32_e32 v35, 0
	v_mov_b32_e32 v36, s26
	;; [unrolled: 1-line block ×3, first 2 shown]
	global_store_dwordx2 v35, v[36:37], s[30:31] offset:512 sc1
.LBB1707_376:
	s_or_b64 exec, exec, s[2:3]
	v_cmp_eq_u32_e64 s[2:3], 0, v50
	s_waitcnt lgkmcnt(0)
	s_barrier
	v_cndmask_b32_e64 v33, v33, v34, s[2:3]
	v_cndmask_b32_e64 v46, v33, 0, vcc
	v_add_u32_e32 v44, v46, v1
	v_add_u32_e32 v42, v44, v43
	v_add_u32_e32 v40, v42, v45
	v_add_u32_e32 v38, v40, v47
	v_add_u32_e32 v36, v38, v48
	v_add_u32_e32 v34, v36, v49
.LBB1707_377:
	s_load_dwordx4 s[4:7], s[0:1], 0x28
	s_cmpk_lt_u32 s26, 0x201
	s_cselect_b64 s[2:3], -1, 0
	v_lshrrev_b32_e32 v33, 8, v30
	v_lshrrev_b32_e32 v1, 8, v31
	s_mov_b64 s[0:1], -1
	s_and_b64 vcc, exec, s[2:3]
	s_cbranch_vccz .LBB1707_400
; %bb.378:
	s_add_i32 s8, s16, s26
	v_cmp_gt_u32_e32 vcc, s8, v46
	s_or_b64 s[10:11], s[34:35], vcc
	s_and_saveexec_b64 s[0:1], s[10:11]
	s_cbranch_execz .LBB1707_381
; %bb.379:
	v_and_b32_e32 v35, 1, v30
	v_cmp_eq_u32_e32 vcc, 1, v35
	s_and_b64 exec, exec, vcc
	s_cbranch_execz .LBB1707_381
; %bb.380:
	s_lshl_b64 s[10:11], s[22:23], 3
	s_waitcnt lgkmcnt(0)
	s_add_u32 s10, s4, s10
	s_addc_u32 s11, s5, s11
	v_mov_b32_e32 v47, 0
	v_lshl_add_u64 v[48:49], v[46:47], 3, s[10:11]
	global_store_dwordx2 v[48:49], v[22:23], off
.LBB1707_381:
	s_or_b64 exec, exec, s[0:1]
	v_cmp_gt_u32_e32 vcc, s8, v44
	s_or_b64 s[10:11], s[34:35], vcc
	s_and_saveexec_b64 s[0:1], s[10:11]
	s_cbranch_execz .LBB1707_384
; %bb.382:
	v_and_b32_e32 v35, 1, v33
	v_cmp_eq_u32_e32 vcc, 1, v35
	s_and_b64 exec, exec, vcc
	s_cbranch_execz .LBB1707_384
; %bb.383:
	s_lshl_b64 s[10:11], s[22:23], 3
	s_waitcnt lgkmcnt(0)
	s_add_u32 s10, s4, s10
	s_addc_u32 s11, s5, s11
	v_mov_b32_e32 v45, 0
	v_lshl_add_u64 v[48:49], v[44:45], 3, s[10:11]
	global_store_dwordx2 v[48:49], v[24:25], off
.LBB1707_384:
	s_or_b64 exec, exec, s[0:1]
	v_cmp_gt_u32_e32 vcc, s8, v42
	s_or_b64 s[10:11], s[34:35], vcc
	s_and_saveexec_b64 s[0:1], s[10:11]
	s_cbranch_execz .LBB1707_387
; %bb.385:
	v_mov_b32_e32 v35, 1
	v_and_b32_sdwa v35, v35, v30 dst_sel:DWORD dst_unused:UNUSED_PAD src0_sel:DWORD src1_sel:WORD_1
	v_cmp_eq_u32_e32 vcc, 1, v35
	s_and_b64 exec, exec, vcc
	s_cbranch_execz .LBB1707_387
; %bb.386:
	s_lshl_b64 s[10:11], s[22:23], 3
	s_waitcnt lgkmcnt(0)
	s_add_u32 s10, s4, s10
	s_addc_u32 s11, s5, s11
	v_mov_b32_e32 v43, 0
	v_lshl_add_u64 v[48:49], v[42:43], 3, s[10:11]
	global_store_dwordx2 v[48:49], v[18:19], off
.LBB1707_387:
	s_or_b64 exec, exec, s[0:1]
	v_cmp_gt_u32_e32 vcc, s8, v40
	s_or_b64 s[10:11], s[34:35], vcc
	s_and_saveexec_b64 s[0:1], s[10:11]
	s_cbranch_execz .LBB1707_390
; %bb.388:
	v_and_b32_e32 v35, 1, v32
	v_cmp_eq_u32_e32 vcc, 1, v35
	s_and_b64 exec, exec, vcc
	s_cbranch_execz .LBB1707_390
; %bb.389:
	s_lshl_b64 s[10:11], s[22:23], 3
	s_waitcnt lgkmcnt(0)
	s_add_u32 s10, s4, s10
	s_addc_u32 s11, s5, s11
	v_mov_b32_e32 v41, 0
	v_lshl_add_u64 v[48:49], v[40:41], 3, s[10:11]
	global_store_dwordx2 v[48:49], v[20:21], off
.LBB1707_390:
	s_or_b64 exec, exec, s[0:1]
	v_cmp_gt_u32_e32 vcc, s8, v38
	s_or_b64 s[10:11], s[34:35], vcc
	s_and_saveexec_b64 s[0:1], s[10:11]
	s_cbranch_execz .LBB1707_393
; %bb.391:
	v_and_b32_e32 v35, 1, v31
	v_cmp_eq_u32_e32 vcc, 1, v35
	s_and_b64 exec, exec, vcc
	s_cbranch_execz .LBB1707_393
; %bb.392:
	s_lshl_b64 s[10:11], s[22:23], 3
	s_waitcnt lgkmcnt(0)
	s_add_u32 s10, s4, s10
	s_addc_u32 s11, s5, s11
	v_mov_b32_e32 v39, 0
	v_lshl_add_u64 v[48:49], v[38:39], 3, s[10:11]
	global_store_dwordx2 v[48:49], v[14:15], off
.LBB1707_393:
	;; [unrolled: 19-line block ×3, first 2 shown]
	s_or_b64 exec, exec, s[0:1]
	v_cmp_gt_u32_e32 vcc, s8, v34
	s_or_b64 s[8:9], s[34:35], vcc
	s_and_saveexec_b64 s[0:1], s[8:9]
	s_cbranch_execz .LBB1707_399
; %bb.397:
	v_mov_b32_e32 v35, 1
	v_and_b32_sdwa v35, v35, v31 dst_sel:DWORD dst_unused:UNUSED_PAD src0_sel:DWORD src1_sel:WORD_1
	v_cmp_eq_u32_e32 vcc, 1, v35
	s_and_b64 exec, exec, vcc
	s_cbranch_execz .LBB1707_399
; %bb.398:
	s_lshl_b64 s[8:9], s[22:23], 3
	s_waitcnt lgkmcnt(0)
	s_add_u32 s8, s4, s8
	s_addc_u32 s9, s5, s9
	v_mov_b32_e32 v35, 0
	v_lshl_add_u64 v[48:49], v[34:35], 3, s[8:9]
	global_store_dwordx2 v[48:49], v[28:29], off
.LBB1707_399:
	s_or_b64 exec, exec, s[0:1]
	s_mov_b64 s[0:1], 0
.LBB1707_400:
	v_and_b32_e32 v48, 1, v30
	s_and_b64 vcc, exec, s[0:1]
	v_cmp_eq_u32_e64 s[0:1], 1, v48
	s_cbranch_vccz .LBB1707_419
; %bb.401:
	s_and_saveexec_b64 s[8:9], s[0:1]
	s_cbranch_execz .LBB1707_403
; %bb.402:
	v_subrev_u32_e32 v35, s16, v46
	v_lshlrev_b32_e32 v35, 3, v35
	ds_write_b64 v35, v[22:23]
.LBB1707_403:
	s_or_b64 exec, exec, s[8:9]
	v_and_b32_e32 v22, 1, v33
	v_cmp_eq_u32_e32 vcc, 1, v22
	s_and_saveexec_b64 s[0:1], vcc
	s_cbranch_execz .LBB1707_405
; %bb.404:
	v_subrev_u32_e32 v22, s16, v44
	v_lshlrev_b32_e32 v22, 3, v22
	ds_write_b64 v22, v[24:25]
.LBB1707_405:
	s_or_b64 exec, exec, s[0:1]
	v_mov_b32_e32 v22, 1
	v_and_b32_sdwa v22, v22, v30 dst_sel:DWORD dst_unused:UNUSED_PAD src0_sel:DWORD src1_sel:WORD_1
	v_cmp_eq_u32_e32 vcc, 1, v22
	s_and_saveexec_b64 s[0:1], vcc
	s_cbranch_execz .LBB1707_407
; %bb.406:
	v_subrev_u32_e32 v22, s16, v42
	v_lshlrev_b32_e32 v22, 3, v22
	ds_write_b64 v22, v[18:19]
.LBB1707_407:
	s_or_b64 exec, exec, s[0:1]
	v_and_b32_e32 v18, 1, v32
	v_cmp_eq_u32_e32 vcc, 1, v18
	s_and_saveexec_b64 s[0:1], vcc
	s_cbranch_execz .LBB1707_409
; %bb.408:
	v_subrev_u32_e32 v18, s16, v40
	v_lshlrev_b32_e32 v18, 3, v18
	ds_write_b64 v18, v[20:21]
.LBB1707_409:
	s_or_b64 exec, exec, s[0:1]
	v_and_b32_e32 v18, 1, v31
	;; [unrolled: 10-line block ×3, first 2 shown]
	v_cmp_eq_u32_e32 vcc, 1, v14
	s_and_saveexec_b64 s[0:1], vcc
	s_cbranch_execz .LBB1707_413
; %bb.412:
	v_subrev_u32_e32 v14, s16, v36
	v_lshlrev_b32_e32 v14, 3, v14
	ds_write_b64 v14, v[16:17]
.LBB1707_413:
	s_or_b64 exec, exec, s[0:1]
	v_mov_b32_e32 v14, 1
	v_and_b32_sdwa v14, v14, v31 dst_sel:DWORD dst_unused:UNUSED_PAD src0_sel:DWORD src1_sel:WORD_1
	v_cmp_eq_u32_e32 vcc, 1, v14
	s_and_saveexec_b64 s[0:1], vcc
	s_cbranch_execz .LBB1707_415
; %bb.414:
	v_subrev_u32_e32 v14, s16, v34
	v_lshlrev_b32_e32 v14, 3, v14
	ds_write_b64 v14, v[28:29]
.LBB1707_415:
	s_or_b64 exec, exec, s[0:1]
	v_cmp_gt_u32_e32 vcc, s26, v0
	s_waitcnt lgkmcnt(0)
	s_barrier
	s_and_saveexec_b64 s[0:1], vcc
	s_cbranch_execz .LBB1707_418
; %bb.416:
	s_mov_b32 s17, 0
	s_lshl_b64 s[8:9], s[22:23], 3
	s_lshl_b64 s[10:11], s[16:17], 3
	s_add_u32 s8, s8, s10
	s_addc_u32 s9, s9, s11
	s_add_u32 s4, s4, s8
	v_lshlrev_b32_e32 v14, 3, v0
	v_mov_b32_e32 v15, 0
	s_addc_u32 s5, s5, s9
	v_lshl_add_u64 v[16:17], s[4:5], 0, v[14:15]
	s_mov_b64 s[4:5], 0
	s_mov_b64 s[8:9], 0x1000
	v_mov_b32_e32 v15, v0
.LBB1707_417:                           ; =>This Inner Loop Header: Depth=1
	ds_read_b64 v[18:19], v14
	v_add_u32_e32 v15, 0x200, v15
	v_cmp_le_u32_e32 vcc, s26, v15
	v_add_u32_e32 v14, 0x1000, v14
	s_or_b64 s[4:5], vcc, s[4:5]
	s_waitcnt lgkmcnt(0)
	global_store_dwordx2 v[16:17], v[18:19], off
	v_lshl_add_u64 v[16:17], v[16:17], 0, s[8:9]
	s_andn2_b64 exec, exec, s[4:5]
	s_cbranch_execnz .LBB1707_417
.LBB1707_418:
	s_or_b64 exec, exec, s[0:1]
.LBB1707_419:
	s_mov_b64 s[0:1], -1
	s_and_b64 vcc, exec, s[2:3]
	s_waitcnt lgkmcnt(0)
	s_barrier
	s_cbranch_vccnz .LBB1707_423
; %bb.420:
	s_and_b64 vcc, exec, s[0:1]
	s_cbranch_vccnz .LBB1707_445
.LBB1707_421:
	v_cmp_eq_u32_e32 vcc, 0, v0
	s_and_b64 s[0:1], vcc, s[24:25]
	s_and_saveexec_b64 s[2:3], s[0:1]
	s_cbranch_execnz .LBB1707_463
.LBB1707_422:
	s_endpgm
.LBB1707_423:
	s_add_i32 s2, s16, s26
	v_cmp_gt_u32_e32 vcc, s2, v46
	s_or_b64 s[4:5], s[34:35], vcc
	s_and_saveexec_b64 s[0:1], s[4:5]
	s_cbranch_execz .LBB1707_426
; %bb.424:
	v_cmp_eq_u32_e32 vcc, 1, v48
	s_and_b64 exec, exec, vcc
	s_cbranch_execz .LBB1707_426
; %bb.425:
	s_lshl_b64 s[4:5], s[22:23], 3
	s_add_u32 s4, s6, s4
	s_addc_u32 s5, s7, s5
	v_mov_b32_e32 v47, 0
	v_lshl_add_u64 v[14:15], v[46:47], 3, s[4:5]
	global_store_dwordx2 v[14:15], v[10:11], off
.LBB1707_426:
	s_or_b64 exec, exec, s[0:1]
	v_cmp_gt_u32_e32 vcc, s2, v44
	s_or_b64 s[4:5], s[34:35], vcc
	s_and_saveexec_b64 s[0:1], s[4:5]
	s_cbranch_execz .LBB1707_429
; %bb.427:
	v_and_b32_e32 v14, 1, v33
	v_cmp_eq_u32_e32 vcc, 1, v14
	s_and_b64 exec, exec, vcc
	s_cbranch_execz .LBB1707_429
; %bb.428:
	s_lshl_b64 s[4:5], s[22:23], 3
	s_add_u32 s4, s6, s4
	s_addc_u32 s5, s7, s5
	v_mov_b32_e32 v45, 0
	v_lshl_add_u64 v[14:15], v[44:45], 3, s[4:5]
	global_store_dwordx2 v[14:15], v[12:13], off
.LBB1707_429:
	s_or_b64 exec, exec, s[0:1]
	v_cmp_gt_u32_e32 vcc, s2, v42
	s_or_b64 s[4:5], s[34:35], vcc
	s_and_saveexec_b64 s[0:1], s[4:5]
	s_cbranch_execz .LBB1707_432
; %bb.430:
	v_mov_b32_e32 v14, 1
	v_and_b32_sdwa v14, v14, v30 dst_sel:DWORD dst_unused:UNUSED_PAD src0_sel:DWORD src1_sel:WORD_1
	v_cmp_eq_u32_e32 vcc, 1, v14
	s_and_b64 exec, exec, vcc
	s_cbranch_execz .LBB1707_432
; %bb.431:
	s_lshl_b64 s[4:5], s[22:23], 3
	s_add_u32 s4, s6, s4
	s_addc_u32 s5, s7, s5
	v_mov_b32_e32 v43, 0
	v_lshl_add_u64 v[14:15], v[42:43], 3, s[4:5]
	global_store_dwordx2 v[14:15], v[6:7], off
.LBB1707_432:
	s_or_b64 exec, exec, s[0:1]
	v_cmp_gt_u32_e32 vcc, s2, v40
	s_or_b64 s[4:5], s[34:35], vcc
	s_and_saveexec_b64 s[0:1], s[4:5]
	s_cbranch_execz .LBB1707_435
; %bb.433:
	v_and_b32_e32 v14, 1, v32
	v_cmp_eq_u32_e32 vcc, 1, v14
	s_and_b64 exec, exec, vcc
	s_cbranch_execz .LBB1707_435
; %bb.434:
	s_lshl_b64 s[4:5], s[22:23], 3
	s_add_u32 s4, s6, s4
	s_addc_u32 s5, s7, s5
	v_mov_b32_e32 v41, 0
	v_lshl_add_u64 v[14:15], v[40:41], 3, s[4:5]
	global_store_dwordx2 v[14:15], v[8:9], off
.LBB1707_435:
	s_or_b64 exec, exec, s[0:1]
	v_cmp_gt_u32_e32 vcc, s2, v38
	s_or_b64 s[4:5], s[34:35], vcc
	s_and_saveexec_b64 s[0:1], s[4:5]
	s_cbranch_execz .LBB1707_438
; %bb.436:
	v_and_b32_e32 v14, 1, v31
	v_cmp_eq_u32_e32 vcc, 1, v14
	s_and_b64 exec, exec, vcc
	s_cbranch_execz .LBB1707_438
; %bb.437:
	s_lshl_b64 s[4:5], s[22:23], 3
	s_add_u32 s4, s6, s4
	s_addc_u32 s5, s7, s5
	v_mov_b32_e32 v39, 0
	v_lshl_add_u64 v[14:15], v[38:39], 3, s[4:5]
	global_store_dwordx2 v[14:15], v[2:3], off
.LBB1707_438:
	;; [unrolled: 18-line block ×3, first 2 shown]
	s_or_b64 exec, exec, s[0:1]
	v_cmp_gt_u32_e32 vcc, s2, v34
	s_or_b64 s[2:3], s[34:35], vcc
	s_and_saveexec_b64 s[0:1], s[2:3]
	s_cbranch_execz .LBB1707_444
; %bb.442:
	v_mov_b32_e32 v14, 1
	v_and_b32_sdwa v14, v14, v31 dst_sel:DWORD dst_unused:UNUSED_PAD src0_sel:DWORD src1_sel:WORD_1
	v_cmp_eq_u32_e32 vcc, 1, v14
	s_and_b64 exec, exec, vcc
	s_cbranch_execz .LBB1707_444
; %bb.443:
	s_lshl_b64 s[2:3], s[22:23], 3
	s_add_u32 s2, s6, s2
	s_addc_u32 s3, s7, s3
	v_mov_b32_e32 v35, 0
	v_lshl_add_u64 v[14:15], v[34:35], 3, s[2:3]
	global_store_dwordx2 v[14:15], v[26:27], off
.LBB1707_444:
	s_or_b64 exec, exec, s[0:1]
	s_branch .LBB1707_421
.LBB1707_445:
	v_cmp_eq_u32_e32 vcc, 1, v48
	s_and_saveexec_b64 s[0:1], vcc
	s_cbranch_execz .LBB1707_447
; %bb.446:
	v_subrev_u32_e32 v14, s16, v46
	v_lshlrev_b32_e32 v14, 3, v14
	ds_write_b64 v14, v[10:11]
.LBB1707_447:
	s_or_b64 exec, exec, s[0:1]
	v_and_b32_e32 v10, 1, v33
	v_cmp_eq_u32_e32 vcc, 1, v10
	s_and_saveexec_b64 s[0:1], vcc
	s_cbranch_execz .LBB1707_449
; %bb.448:
	v_subrev_u32_e32 v10, s16, v44
	v_lshlrev_b32_e32 v10, 3, v10
	ds_write_b64 v10, v[12:13]
.LBB1707_449:
	s_or_b64 exec, exec, s[0:1]
	v_mov_b32_e32 v10, 1
	v_and_b32_sdwa v10, v10, v30 dst_sel:DWORD dst_unused:UNUSED_PAD src0_sel:DWORD src1_sel:WORD_1
	v_cmp_eq_u32_e32 vcc, 1, v10
	s_and_saveexec_b64 s[0:1], vcc
	s_cbranch_execz .LBB1707_451
; %bb.450:
	v_subrev_u32_e32 v10, s16, v42
	v_lshlrev_b32_e32 v10, 3, v10
	ds_write_b64 v10, v[6:7]
.LBB1707_451:
	s_or_b64 exec, exec, s[0:1]
	v_and_b32_e32 v6, 1, v32
	v_cmp_eq_u32_e32 vcc, 1, v6
	s_and_saveexec_b64 s[0:1], vcc
	s_cbranch_execz .LBB1707_453
; %bb.452:
	v_subrev_u32_e32 v6, s16, v40
	v_lshlrev_b32_e32 v6, 3, v6
	ds_write_b64 v6, v[8:9]
.LBB1707_453:
	s_or_b64 exec, exec, s[0:1]
	v_and_b32_e32 v6, 1, v31
	;; [unrolled: 10-line block ×3, first 2 shown]
	v_cmp_eq_u32_e32 vcc, 1, v1
	s_and_saveexec_b64 s[0:1], vcc
	s_cbranch_execz .LBB1707_457
; %bb.456:
	v_subrev_u32_e32 v1, s16, v36
	v_lshlrev_b32_e32 v1, 3, v1
	ds_write_b64 v1, v[4:5]
.LBB1707_457:
	s_or_b64 exec, exec, s[0:1]
	v_mov_b32_e32 v1, 1
	v_and_b32_sdwa v1, v1, v31 dst_sel:DWORD dst_unused:UNUSED_PAD src0_sel:DWORD src1_sel:WORD_1
	v_cmp_eq_u32_e32 vcc, 1, v1
	s_and_saveexec_b64 s[0:1], vcc
	s_cbranch_execz .LBB1707_459
; %bb.458:
	v_subrev_u32_e32 v1, s16, v34
	v_lshlrev_b32_e32 v1, 3, v1
	ds_write_b64 v1, v[26:27]
.LBB1707_459:
	s_or_b64 exec, exec, s[0:1]
	v_cmp_gt_u32_e32 vcc, s26, v0
	s_waitcnt lgkmcnt(0)
	s_barrier
	s_and_saveexec_b64 s[0:1], vcc
	s_cbranch_execz .LBB1707_462
; %bb.460:
	s_mov_b32 s17, 0
	s_lshl_b64 s[2:3], s[22:23], 3
	s_lshl_b64 s[4:5], s[16:17], 3
	s_add_u32 s2, s2, s4
	s_addc_u32 s3, s3, s5
	s_add_u32 s2, s6, s2
	v_lshlrev_b32_e32 v2, 3, v0
	v_mov_b32_e32 v3, 0
	s_addc_u32 s3, s7, s3
	v_lshl_add_u64 v[4:5], s[2:3], 0, v[2:3]
	s_mov_b64 s[2:3], 0
	s_mov_b64 s[4:5], 0x1000
	v_mov_b32_e32 v1, v0
.LBB1707_461:                           ; =>This Inner Loop Header: Depth=1
	ds_read_b64 v[6:7], v2
	v_add_u32_e32 v1, 0x200, v1
	v_cmp_le_u32_e32 vcc, s26, v1
	v_add_u32_e32 v2, 0x1000, v2
	s_or_b64 s[2:3], vcc, s[2:3]
	s_waitcnt lgkmcnt(0)
	global_store_dwordx2 v[4:5], v[6:7], off
	v_lshl_add_u64 v[4:5], v[4:5], 0, s[4:5]
	s_andn2_b64 exec, exec, s[2:3]
	s_cbranch_execnz .LBB1707_461
.LBB1707_462:
	s_or_b64 exec, exec, s[0:1]
	v_cmp_eq_u32_e32 vcc, 0, v0
	s_and_b64 s[0:1], vcc, s[24:25]
	s_and_saveexec_b64 s[2:3], s[0:1]
	s_cbranch_execz .LBB1707_422
.LBB1707_463:
	s_add_u32 s0, s22, s26
	s_addc_u32 s1, s23, 0
	s_add_u32 s0, s0, s16
	s_addc_u32 s1, s1, 0
	v_mov_b32_e32 v2, 0
	v_mov_b64_e32 v[0:1], s[0:1]
	global_store_dwordx2 v2, v[0:1], s[20:21]
	s_endpgm
	.section	.rodata,"a",@progbits
	.p2align	6, 0x0
	.amdhsa_kernel _ZN7rocprim17ROCPRIM_400000_NS6detail17trampoline_kernelINS0_14default_configENS1_25partition_config_selectorILNS1_17partition_subalgoE9EllbEEZZNS1_14partition_implILS5_9ELb0ES3_jPlS8_PNS0_10empty_typeENS0_5tupleIJS8_S9_EEENSB_IJS8_SA_EEENS0_18inequality_wrapperIZN2at6native12_GLOBAL__N_124unique_dim_cuda_templateImEESt5tupleIJNSF_6TensorESK_SK_EERKSK_lbbbEUlllE0_EEPmJS9_EEE10hipError_tPvRmT3_T4_T5_T6_T7_T9_mT8_P12ihipStream_tbDpT10_ENKUlT_T0_E_clISt17integral_constantIbLb0EES1A_EEDaS15_S16_EUlS15_E_NS1_11comp_targetILNS1_3genE5ELNS1_11target_archE942ELNS1_3gpuE9ELNS1_3repE0EEENS1_30default_config_static_selectorELNS0_4arch9wavefront6targetE1EEEvT1_
		.amdhsa_group_segment_fixed_size 28684
		.amdhsa_private_segment_fixed_size 0
		.amdhsa_kernarg_size 120
		.amdhsa_user_sgpr_count 2
		.amdhsa_user_sgpr_dispatch_ptr 0
		.amdhsa_user_sgpr_queue_ptr 0
		.amdhsa_user_sgpr_kernarg_segment_ptr 1
		.amdhsa_user_sgpr_dispatch_id 0
		.amdhsa_user_sgpr_kernarg_preload_length 0
		.amdhsa_user_sgpr_kernarg_preload_offset 0
		.amdhsa_user_sgpr_private_segment_size 0
		.amdhsa_uses_dynamic_stack 0
		.amdhsa_enable_private_segment 0
		.amdhsa_system_sgpr_workgroup_id_x 1
		.amdhsa_system_sgpr_workgroup_id_y 0
		.amdhsa_system_sgpr_workgroup_id_z 0
		.amdhsa_system_sgpr_workgroup_info 0
		.amdhsa_system_vgpr_workitem_id 0
		.amdhsa_next_free_vgpr 66
		.amdhsa_next_free_sgpr 52
		.amdhsa_accum_offset 68
		.amdhsa_reserve_vcc 1
		.amdhsa_float_round_mode_32 0
		.amdhsa_float_round_mode_16_64 0
		.amdhsa_float_denorm_mode_32 3
		.amdhsa_float_denorm_mode_16_64 3
		.amdhsa_dx10_clamp 1
		.amdhsa_ieee_mode 1
		.amdhsa_fp16_overflow 0
		.amdhsa_tg_split 0
		.amdhsa_exception_fp_ieee_invalid_op 0
		.amdhsa_exception_fp_denorm_src 0
		.amdhsa_exception_fp_ieee_div_zero 0
		.amdhsa_exception_fp_ieee_overflow 0
		.amdhsa_exception_fp_ieee_underflow 0
		.amdhsa_exception_fp_ieee_inexact 0
		.amdhsa_exception_int_div_zero 0
	.end_amdhsa_kernel
	.section	.text._ZN7rocprim17ROCPRIM_400000_NS6detail17trampoline_kernelINS0_14default_configENS1_25partition_config_selectorILNS1_17partition_subalgoE9EllbEEZZNS1_14partition_implILS5_9ELb0ES3_jPlS8_PNS0_10empty_typeENS0_5tupleIJS8_S9_EEENSB_IJS8_SA_EEENS0_18inequality_wrapperIZN2at6native12_GLOBAL__N_124unique_dim_cuda_templateImEESt5tupleIJNSF_6TensorESK_SK_EERKSK_lbbbEUlllE0_EEPmJS9_EEE10hipError_tPvRmT3_T4_T5_T6_T7_T9_mT8_P12ihipStream_tbDpT10_ENKUlT_T0_E_clISt17integral_constantIbLb0EES1A_EEDaS15_S16_EUlS15_E_NS1_11comp_targetILNS1_3genE5ELNS1_11target_archE942ELNS1_3gpuE9ELNS1_3repE0EEENS1_30default_config_static_selectorELNS0_4arch9wavefront6targetE1EEEvT1_,"axG",@progbits,_ZN7rocprim17ROCPRIM_400000_NS6detail17trampoline_kernelINS0_14default_configENS1_25partition_config_selectorILNS1_17partition_subalgoE9EllbEEZZNS1_14partition_implILS5_9ELb0ES3_jPlS8_PNS0_10empty_typeENS0_5tupleIJS8_S9_EEENSB_IJS8_SA_EEENS0_18inequality_wrapperIZN2at6native12_GLOBAL__N_124unique_dim_cuda_templateImEESt5tupleIJNSF_6TensorESK_SK_EERKSK_lbbbEUlllE0_EEPmJS9_EEE10hipError_tPvRmT3_T4_T5_T6_T7_T9_mT8_P12ihipStream_tbDpT10_ENKUlT_T0_E_clISt17integral_constantIbLb0EES1A_EEDaS15_S16_EUlS15_E_NS1_11comp_targetILNS1_3genE5ELNS1_11target_archE942ELNS1_3gpuE9ELNS1_3repE0EEENS1_30default_config_static_selectorELNS0_4arch9wavefront6targetE1EEEvT1_,comdat
.Lfunc_end1707:
	.size	_ZN7rocprim17ROCPRIM_400000_NS6detail17trampoline_kernelINS0_14default_configENS1_25partition_config_selectorILNS1_17partition_subalgoE9EllbEEZZNS1_14partition_implILS5_9ELb0ES3_jPlS8_PNS0_10empty_typeENS0_5tupleIJS8_S9_EEENSB_IJS8_SA_EEENS0_18inequality_wrapperIZN2at6native12_GLOBAL__N_124unique_dim_cuda_templateImEESt5tupleIJNSF_6TensorESK_SK_EERKSK_lbbbEUlllE0_EEPmJS9_EEE10hipError_tPvRmT3_T4_T5_T6_T7_T9_mT8_P12ihipStream_tbDpT10_ENKUlT_T0_E_clISt17integral_constantIbLb0EES1A_EEDaS15_S16_EUlS15_E_NS1_11comp_targetILNS1_3genE5ELNS1_11target_archE942ELNS1_3gpuE9ELNS1_3repE0EEENS1_30default_config_static_selectorELNS0_4arch9wavefront6targetE1EEEvT1_, .Lfunc_end1707-_ZN7rocprim17ROCPRIM_400000_NS6detail17trampoline_kernelINS0_14default_configENS1_25partition_config_selectorILNS1_17partition_subalgoE9EllbEEZZNS1_14partition_implILS5_9ELb0ES3_jPlS8_PNS0_10empty_typeENS0_5tupleIJS8_S9_EEENSB_IJS8_SA_EEENS0_18inequality_wrapperIZN2at6native12_GLOBAL__N_124unique_dim_cuda_templateImEESt5tupleIJNSF_6TensorESK_SK_EERKSK_lbbbEUlllE0_EEPmJS9_EEE10hipError_tPvRmT3_T4_T5_T6_T7_T9_mT8_P12ihipStream_tbDpT10_ENKUlT_T0_E_clISt17integral_constantIbLb0EES1A_EEDaS15_S16_EUlS15_E_NS1_11comp_targetILNS1_3genE5ELNS1_11target_archE942ELNS1_3gpuE9ELNS1_3repE0EEENS1_30default_config_static_selectorELNS0_4arch9wavefront6targetE1EEEvT1_
                                        ; -- End function
	.section	.AMDGPU.csdata,"",@progbits
; Kernel info:
; codeLenInByte = 14392
; NumSgprs: 58
; NumVgprs: 66
; NumAgprs: 0
; TotalNumVgprs: 66
; ScratchSize: 0
; MemoryBound: 1
; FloatMode: 240
; IeeeMode: 1
; LDSByteSize: 28684 bytes/workgroup (compile time only)
; SGPRBlocks: 7
; VGPRBlocks: 8
; NumSGPRsForWavesPerEU: 58
; NumVGPRsForWavesPerEU: 66
; AccumOffset: 68
; Occupancy: 4
; WaveLimiterHint : 1
; COMPUTE_PGM_RSRC2:SCRATCH_EN: 0
; COMPUTE_PGM_RSRC2:USER_SGPR: 2
; COMPUTE_PGM_RSRC2:TRAP_HANDLER: 0
; COMPUTE_PGM_RSRC2:TGID_X_EN: 1
; COMPUTE_PGM_RSRC2:TGID_Y_EN: 0
; COMPUTE_PGM_RSRC2:TGID_Z_EN: 0
; COMPUTE_PGM_RSRC2:TIDIG_COMP_CNT: 0
; COMPUTE_PGM_RSRC3_GFX90A:ACCUM_OFFSET: 16
; COMPUTE_PGM_RSRC3_GFX90A:TG_SPLIT: 0
	.section	.text._ZN7rocprim17ROCPRIM_400000_NS6detail17trampoline_kernelINS0_14default_configENS1_25partition_config_selectorILNS1_17partition_subalgoE9EllbEEZZNS1_14partition_implILS5_9ELb0ES3_jPlS8_PNS0_10empty_typeENS0_5tupleIJS8_S9_EEENSB_IJS8_SA_EEENS0_18inequality_wrapperIZN2at6native12_GLOBAL__N_124unique_dim_cuda_templateImEESt5tupleIJNSF_6TensorESK_SK_EERKSK_lbbbEUlllE0_EEPmJS9_EEE10hipError_tPvRmT3_T4_T5_T6_T7_T9_mT8_P12ihipStream_tbDpT10_ENKUlT_T0_E_clISt17integral_constantIbLb0EES1A_EEDaS15_S16_EUlS15_E_NS1_11comp_targetILNS1_3genE4ELNS1_11target_archE910ELNS1_3gpuE8ELNS1_3repE0EEENS1_30default_config_static_selectorELNS0_4arch9wavefront6targetE1EEEvT1_,"axG",@progbits,_ZN7rocprim17ROCPRIM_400000_NS6detail17trampoline_kernelINS0_14default_configENS1_25partition_config_selectorILNS1_17partition_subalgoE9EllbEEZZNS1_14partition_implILS5_9ELb0ES3_jPlS8_PNS0_10empty_typeENS0_5tupleIJS8_S9_EEENSB_IJS8_SA_EEENS0_18inequality_wrapperIZN2at6native12_GLOBAL__N_124unique_dim_cuda_templateImEESt5tupleIJNSF_6TensorESK_SK_EERKSK_lbbbEUlllE0_EEPmJS9_EEE10hipError_tPvRmT3_T4_T5_T6_T7_T9_mT8_P12ihipStream_tbDpT10_ENKUlT_T0_E_clISt17integral_constantIbLb0EES1A_EEDaS15_S16_EUlS15_E_NS1_11comp_targetILNS1_3genE4ELNS1_11target_archE910ELNS1_3gpuE8ELNS1_3repE0EEENS1_30default_config_static_selectorELNS0_4arch9wavefront6targetE1EEEvT1_,comdat
	.globl	_ZN7rocprim17ROCPRIM_400000_NS6detail17trampoline_kernelINS0_14default_configENS1_25partition_config_selectorILNS1_17partition_subalgoE9EllbEEZZNS1_14partition_implILS5_9ELb0ES3_jPlS8_PNS0_10empty_typeENS0_5tupleIJS8_S9_EEENSB_IJS8_SA_EEENS0_18inequality_wrapperIZN2at6native12_GLOBAL__N_124unique_dim_cuda_templateImEESt5tupleIJNSF_6TensorESK_SK_EERKSK_lbbbEUlllE0_EEPmJS9_EEE10hipError_tPvRmT3_T4_T5_T6_T7_T9_mT8_P12ihipStream_tbDpT10_ENKUlT_T0_E_clISt17integral_constantIbLb0EES1A_EEDaS15_S16_EUlS15_E_NS1_11comp_targetILNS1_3genE4ELNS1_11target_archE910ELNS1_3gpuE8ELNS1_3repE0EEENS1_30default_config_static_selectorELNS0_4arch9wavefront6targetE1EEEvT1_ ; -- Begin function _ZN7rocprim17ROCPRIM_400000_NS6detail17trampoline_kernelINS0_14default_configENS1_25partition_config_selectorILNS1_17partition_subalgoE9EllbEEZZNS1_14partition_implILS5_9ELb0ES3_jPlS8_PNS0_10empty_typeENS0_5tupleIJS8_S9_EEENSB_IJS8_SA_EEENS0_18inequality_wrapperIZN2at6native12_GLOBAL__N_124unique_dim_cuda_templateImEESt5tupleIJNSF_6TensorESK_SK_EERKSK_lbbbEUlllE0_EEPmJS9_EEE10hipError_tPvRmT3_T4_T5_T6_T7_T9_mT8_P12ihipStream_tbDpT10_ENKUlT_T0_E_clISt17integral_constantIbLb0EES1A_EEDaS15_S16_EUlS15_E_NS1_11comp_targetILNS1_3genE4ELNS1_11target_archE910ELNS1_3gpuE8ELNS1_3repE0EEENS1_30default_config_static_selectorELNS0_4arch9wavefront6targetE1EEEvT1_
	.p2align	8
	.type	_ZN7rocprim17ROCPRIM_400000_NS6detail17trampoline_kernelINS0_14default_configENS1_25partition_config_selectorILNS1_17partition_subalgoE9EllbEEZZNS1_14partition_implILS5_9ELb0ES3_jPlS8_PNS0_10empty_typeENS0_5tupleIJS8_S9_EEENSB_IJS8_SA_EEENS0_18inequality_wrapperIZN2at6native12_GLOBAL__N_124unique_dim_cuda_templateImEESt5tupleIJNSF_6TensorESK_SK_EERKSK_lbbbEUlllE0_EEPmJS9_EEE10hipError_tPvRmT3_T4_T5_T6_T7_T9_mT8_P12ihipStream_tbDpT10_ENKUlT_T0_E_clISt17integral_constantIbLb0EES1A_EEDaS15_S16_EUlS15_E_NS1_11comp_targetILNS1_3genE4ELNS1_11target_archE910ELNS1_3gpuE8ELNS1_3repE0EEENS1_30default_config_static_selectorELNS0_4arch9wavefront6targetE1EEEvT1_,@function
_ZN7rocprim17ROCPRIM_400000_NS6detail17trampoline_kernelINS0_14default_configENS1_25partition_config_selectorILNS1_17partition_subalgoE9EllbEEZZNS1_14partition_implILS5_9ELb0ES3_jPlS8_PNS0_10empty_typeENS0_5tupleIJS8_S9_EEENSB_IJS8_SA_EEENS0_18inequality_wrapperIZN2at6native12_GLOBAL__N_124unique_dim_cuda_templateImEESt5tupleIJNSF_6TensorESK_SK_EERKSK_lbbbEUlllE0_EEPmJS9_EEE10hipError_tPvRmT3_T4_T5_T6_T7_T9_mT8_P12ihipStream_tbDpT10_ENKUlT_T0_E_clISt17integral_constantIbLb0EES1A_EEDaS15_S16_EUlS15_E_NS1_11comp_targetILNS1_3genE4ELNS1_11target_archE910ELNS1_3gpuE8ELNS1_3repE0EEENS1_30default_config_static_selectorELNS0_4arch9wavefront6targetE1EEEvT1_: ; @_ZN7rocprim17ROCPRIM_400000_NS6detail17trampoline_kernelINS0_14default_configENS1_25partition_config_selectorILNS1_17partition_subalgoE9EllbEEZZNS1_14partition_implILS5_9ELb0ES3_jPlS8_PNS0_10empty_typeENS0_5tupleIJS8_S9_EEENSB_IJS8_SA_EEENS0_18inequality_wrapperIZN2at6native12_GLOBAL__N_124unique_dim_cuda_templateImEESt5tupleIJNSF_6TensorESK_SK_EERKSK_lbbbEUlllE0_EEPmJS9_EEE10hipError_tPvRmT3_T4_T5_T6_T7_T9_mT8_P12ihipStream_tbDpT10_ENKUlT_T0_E_clISt17integral_constantIbLb0EES1A_EEDaS15_S16_EUlS15_E_NS1_11comp_targetILNS1_3genE4ELNS1_11target_archE910ELNS1_3gpuE8ELNS1_3repE0EEENS1_30default_config_static_selectorELNS0_4arch9wavefront6targetE1EEEvT1_
; %bb.0:
	.section	.rodata,"a",@progbits
	.p2align	6, 0x0
	.amdhsa_kernel _ZN7rocprim17ROCPRIM_400000_NS6detail17trampoline_kernelINS0_14default_configENS1_25partition_config_selectorILNS1_17partition_subalgoE9EllbEEZZNS1_14partition_implILS5_9ELb0ES3_jPlS8_PNS0_10empty_typeENS0_5tupleIJS8_S9_EEENSB_IJS8_SA_EEENS0_18inequality_wrapperIZN2at6native12_GLOBAL__N_124unique_dim_cuda_templateImEESt5tupleIJNSF_6TensorESK_SK_EERKSK_lbbbEUlllE0_EEPmJS9_EEE10hipError_tPvRmT3_T4_T5_T6_T7_T9_mT8_P12ihipStream_tbDpT10_ENKUlT_T0_E_clISt17integral_constantIbLb0EES1A_EEDaS15_S16_EUlS15_E_NS1_11comp_targetILNS1_3genE4ELNS1_11target_archE910ELNS1_3gpuE8ELNS1_3repE0EEENS1_30default_config_static_selectorELNS0_4arch9wavefront6targetE1EEEvT1_
		.amdhsa_group_segment_fixed_size 0
		.amdhsa_private_segment_fixed_size 0
		.amdhsa_kernarg_size 120
		.amdhsa_user_sgpr_count 2
		.amdhsa_user_sgpr_dispatch_ptr 0
		.amdhsa_user_sgpr_queue_ptr 0
		.amdhsa_user_sgpr_kernarg_segment_ptr 1
		.amdhsa_user_sgpr_dispatch_id 0
		.amdhsa_user_sgpr_kernarg_preload_length 0
		.amdhsa_user_sgpr_kernarg_preload_offset 0
		.amdhsa_user_sgpr_private_segment_size 0
		.amdhsa_uses_dynamic_stack 0
		.amdhsa_enable_private_segment 0
		.amdhsa_system_sgpr_workgroup_id_x 1
		.amdhsa_system_sgpr_workgroup_id_y 0
		.amdhsa_system_sgpr_workgroup_id_z 0
		.amdhsa_system_sgpr_workgroup_info 0
		.amdhsa_system_vgpr_workitem_id 0
		.amdhsa_next_free_vgpr 1
		.amdhsa_next_free_sgpr 0
		.amdhsa_accum_offset 4
		.amdhsa_reserve_vcc 0
		.amdhsa_float_round_mode_32 0
		.amdhsa_float_round_mode_16_64 0
		.amdhsa_float_denorm_mode_32 3
		.amdhsa_float_denorm_mode_16_64 3
		.amdhsa_dx10_clamp 1
		.amdhsa_ieee_mode 1
		.amdhsa_fp16_overflow 0
		.amdhsa_tg_split 0
		.amdhsa_exception_fp_ieee_invalid_op 0
		.amdhsa_exception_fp_denorm_src 0
		.amdhsa_exception_fp_ieee_div_zero 0
		.amdhsa_exception_fp_ieee_overflow 0
		.amdhsa_exception_fp_ieee_underflow 0
		.amdhsa_exception_fp_ieee_inexact 0
		.amdhsa_exception_int_div_zero 0
	.end_amdhsa_kernel
	.section	.text._ZN7rocprim17ROCPRIM_400000_NS6detail17trampoline_kernelINS0_14default_configENS1_25partition_config_selectorILNS1_17partition_subalgoE9EllbEEZZNS1_14partition_implILS5_9ELb0ES3_jPlS8_PNS0_10empty_typeENS0_5tupleIJS8_S9_EEENSB_IJS8_SA_EEENS0_18inequality_wrapperIZN2at6native12_GLOBAL__N_124unique_dim_cuda_templateImEESt5tupleIJNSF_6TensorESK_SK_EERKSK_lbbbEUlllE0_EEPmJS9_EEE10hipError_tPvRmT3_T4_T5_T6_T7_T9_mT8_P12ihipStream_tbDpT10_ENKUlT_T0_E_clISt17integral_constantIbLb0EES1A_EEDaS15_S16_EUlS15_E_NS1_11comp_targetILNS1_3genE4ELNS1_11target_archE910ELNS1_3gpuE8ELNS1_3repE0EEENS1_30default_config_static_selectorELNS0_4arch9wavefront6targetE1EEEvT1_,"axG",@progbits,_ZN7rocprim17ROCPRIM_400000_NS6detail17trampoline_kernelINS0_14default_configENS1_25partition_config_selectorILNS1_17partition_subalgoE9EllbEEZZNS1_14partition_implILS5_9ELb0ES3_jPlS8_PNS0_10empty_typeENS0_5tupleIJS8_S9_EEENSB_IJS8_SA_EEENS0_18inequality_wrapperIZN2at6native12_GLOBAL__N_124unique_dim_cuda_templateImEESt5tupleIJNSF_6TensorESK_SK_EERKSK_lbbbEUlllE0_EEPmJS9_EEE10hipError_tPvRmT3_T4_T5_T6_T7_T9_mT8_P12ihipStream_tbDpT10_ENKUlT_T0_E_clISt17integral_constantIbLb0EES1A_EEDaS15_S16_EUlS15_E_NS1_11comp_targetILNS1_3genE4ELNS1_11target_archE910ELNS1_3gpuE8ELNS1_3repE0EEENS1_30default_config_static_selectorELNS0_4arch9wavefront6targetE1EEEvT1_,comdat
.Lfunc_end1708:
	.size	_ZN7rocprim17ROCPRIM_400000_NS6detail17trampoline_kernelINS0_14default_configENS1_25partition_config_selectorILNS1_17partition_subalgoE9EllbEEZZNS1_14partition_implILS5_9ELb0ES3_jPlS8_PNS0_10empty_typeENS0_5tupleIJS8_S9_EEENSB_IJS8_SA_EEENS0_18inequality_wrapperIZN2at6native12_GLOBAL__N_124unique_dim_cuda_templateImEESt5tupleIJNSF_6TensorESK_SK_EERKSK_lbbbEUlllE0_EEPmJS9_EEE10hipError_tPvRmT3_T4_T5_T6_T7_T9_mT8_P12ihipStream_tbDpT10_ENKUlT_T0_E_clISt17integral_constantIbLb0EES1A_EEDaS15_S16_EUlS15_E_NS1_11comp_targetILNS1_3genE4ELNS1_11target_archE910ELNS1_3gpuE8ELNS1_3repE0EEENS1_30default_config_static_selectorELNS0_4arch9wavefront6targetE1EEEvT1_, .Lfunc_end1708-_ZN7rocprim17ROCPRIM_400000_NS6detail17trampoline_kernelINS0_14default_configENS1_25partition_config_selectorILNS1_17partition_subalgoE9EllbEEZZNS1_14partition_implILS5_9ELb0ES3_jPlS8_PNS0_10empty_typeENS0_5tupleIJS8_S9_EEENSB_IJS8_SA_EEENS0_18inequality_wrapperIZN2at6native12_GLOBAL__N_124unique_dim_cuda_templateImEESt5tupleIJNSF_6TensorESK_SK_EERKSK_lbbbEUlllE0_EEPmJS9_EEE10hipError_tPvRmT3_T4_T5_T6_T7_T9_mT8_P12ihipStream_tbDpT10_ENKUlT_T0_E_clISt17integral_constantIbLb0EES1A_EEDaS15_S16_EUlS15_E_NS1_11comp_targetILNS1_3genE4ELNS1_11target_archE910ELNS1_3gpuE8ELNS1_3repE0EEENS1_30default_config_static_selectorELNS0_4arch9wavefront6targetE1EEEvT1_
                                        ; -- End function
	.section	.AMDGPU.csdata,"",@progbits
; Kernel info:
; codeLenInByte = 0
; NumSgprs: 6
; NumVgprs: 0
; NumAgprs: 0
; TotalNumVgprs: 0
; ScratchSize: 0
; MemoryBound: 0
; FloatMode: 240
; IeeeMode: 1
; LDSByteSize: 0 bytes/workgroup (compile time only)
; SGPRBlocks: 0
; VGPRBlocks: 0
; NumSGPRsForWavesPerEU: 6
; NumVGPRsForWavesPerEU: 1
; AccumOffset: 4
; Occupancy: 8
; WaveLimiterHint : 0
; COMPUTE_PGM_RSRC2:SCRATCH_EN: 0
; COMPUTE_PGM_RSRC2:USER_SGPR: 2
; COMPUTE_PGM_RSRC2:TRAP_HANDLER: 0
; COMPUTE_PGM_RSRC2:TGID_X_EN: 1
; COMPUTE_PGM_RSRC2:TGID_Y_EN: 0
; COMPUTE_PGM_RSRC2:TGID_Z_EN: 0
; COMPUTE_PGM_RSRC2:TIDIG_COMP_CNT: 0
; COMPUTE_PGM_RSRC3_GFX90A:ACCUM_OFFSET: 0
; COMPUTE_PGM_RSRC3_GFX90A:TG_SPLIT: 0
	.section	.text._ZN7rocprim17ROCPRIM_400000_NS6detail17trampoline_kernelINS0_14default_configENS1_25partition_config_selectorILNS1_17partition_subalgoE9EllbEEZZNS1_14partition_implILS5_9ELb0ES3_jPlS8_PNS0_10empty_typeENS0_5tupleIJS8_S9_EEENSB_IJS8_SA_EEENS0_18inequality_wrapperIZN2at6native12_GLOBAL__N_124unique_dim_cuda_templateImEESt5tupleIJNSF_6TensorESK_SK_EERKSK_lbbbEUlllE0_EEPmJS9_EEE10hipError_tPvRmT3_T4_T5_T6_T7_T9_mT8_P12ihipStream_tbDpT10_ENKUlT_T0_E_clISt17integral_constantIbLb0EES1A_EEDaS15_S16_EUlS15_E_NS1_11comp_targetILNS1_3genE3ELNS1_11target_archE908ELNS1_3gpuE7ELNS1_3repE0EEENS1_30default_config_static_selectorELNS0_4arch9wavefront6targetE1EEEvT1_,"axG",@progbits,_ZN7rocprim17ROCPRIM_400000_NS6detail17trampoline_kernelINS0_14default_configENS1_25partition_config_selectorILNS1_17partition_subalgoE9EllbEEZZNS1_14partition_implILS5_9ELb0ES3_jPlS8_PNS0_10empty_typeENS0_5tupleIJS8_S9_EEENSB_IJS8_SA_EEENS0_18inequality_wrapperIZN2at6native12_GLOBAL__N_124unique_dim_cuda_templateImEESt5tupleIJNSF_6TensorESK_SK_EERKSK_lbbbEUlllE0_EEPmJS9_EEE10hipError_tPvRmT3_T4_T5_T6_T7_T9_mT8_P12ihipStream_tbDpT10_ENKUlT_T0_E_clISt17integral_constantIbLb0EES1A_EEDaS15_S16_EUlS15_E_NS1_11comp_targetILNS1_3genE3ELNS1_11target_archE908ELNS1_3gpuE7ELNS1_3repE0EEENS1_30default_config_static_selectorELNS0_4arch9wavefront6targetE1EEEvT1_,comdat
	.globl	_ZN7rocprim17ROCPRIM_400000_NS6detail17trampoline_kernelINS0_14default_configENS1_25partition_config_selectorILNS1_17partition_subalgoE9EllbEEZZNS1_14partition_implILS5_9ELb0ES3_jPlS8_PNS0_10empty_typeENS0_5tupleIJS8_S9_EEENSB_IJS8_SA_EEENS0_18inequality_wrapperIZN2at6native12_GLOBAL__N_124unique_dim_cuda_templateImEESt5tupleIJNSF_6TensorESK_SK_EERKSK_lbbbEUlllE0_EEPmJS9_EEE10hipError_tPvRmT3_T4_T5_T6_T7_T9_mT8_P12ihipStream_tbDpT10_ENKUlT_T0_E_clISt17integral_constantIbLb0EES1A_EEDaS15_S16_EUlS15_E_NS1_11comp_targetILNS1_3genE3ELNS1_11target_archE908ELNS1_3gpuE7ELNS1_3repE0EEENS1_30default_config_static_selectorELNS0_4arch9wavefront6targetE1EEEvT1_ ; -- Begin function _ZN7rocprim17ROCPRIM_400000_NS6detail17trampoline_kernelINS0_14default_configENS1_25partition_config_selectorILNS1_17partition_subalgoE9EllbEEZZNS1_14partition_implILS5_9ELb0ES3_jPlS8_PNS0_10empty_typeENS0_5tupleIJS8_S9_EEENSB_IJS8_SA_EEENS0_18inequality_wrapperIZN2at6native12_GLOBAL__N_124unique_dim_cuda_templateImEESt5tupleIJNSF_6TensorESK_SK_EERKSK_lbbbEUlllE0_EEPmJS9_EEE10hipError_tPvRmT3_T4_T5_T6_T7_T9_mT8_P12ihipStream_tbDpT10_ENKUlT_T0_E_clISt17integral_constantIbLb0EES1A_EEDaS15_S16_EUlS15_E_NS1_11comp_targetILNS1_3genE3ELNS1_11target_archE908ELNS1_3gpuE7ELNS1_3repE0EEENS1_30default_config_static_selectorELNS0_4arch9wavefront6targetE1EEEvT1_
	.p2align	8
	.type	_ZN7rocprim17ROCPRIM_400000_NS6detail17trampoline_kernelINS0_14default_configENS1_25partition_config_selectorILNS1_17partition_subalgoE9EllbEEZZNS1_14partition_implILS5_9ELb0ES3_jPlS8_PNS0_10empty_typeENS0_5tupleIJS8_S9_EEENSB_IJS8_SA_EEENS0_18inequality_wrapperIZN2at6native12_GLOBAL__N_124unique_dim_cuda_templateImEESt5tupleIJNSF_6TensorESK_SK_EERKSK_lbbbEUlllE0_EEPmJS9_EEE10hipError_tPvRmT3_T4_T5_T6_T7_T9_mT8_P12ihipStream_tbDpT10_ENKUlT_T0_E_clISt17integral_constantIbLb0EES1A_EEDaS15_S16_EUlS15_E_NS1_11comp_targetILNS1_3genE3ELNS1_11target_archE908ELNS1_3gpuE7ELNS1_3repE0EEENS1_30default_config_static_selectorELNS0_4arch9wavefront6targetE1EEEvT1_,@function
_ZN7rocprim17ROCPRIM_400000_NS6detail17trampoline_kernelINS0_14default_configENS1_25partition_config_selectorILNS1_17partition_subalgoE9EllbEEZZNS1_14partition_implILS5_9ELb0ES3_jPlS8_PNS0_10empty_typeENS0_5tupleIJS8_S9_EEENSB_IJS8_SA_EEENS0_18inequality_wrapperIZN2at6native12_GLOBAL__N_124unique_dim_cuda_templateImEESt5tupleIJNSF_6TensorESK_SK_EERKSK_lbbbEUlllE0_EEPmJS9_EEE10hipError_tPvRmT3_T4_T5_T6_T7_T9_mT8_P12ihipStream_tbDpT10_ENKUlT_T0_E_clISt17integral_constantIbLb0EES1A_EEDaS15_S16_EUlS15_E_NS1_11comp_targetILNS1_3genE3ELNS1_11target_archE908ELNS1_3gpuE7ELNS1_3repE0EEENS1_30default_config_static_selectorELNS0_4arch9wavefront6targetE1EEEvT1_: ; @_ZN7rocprim17ROCPRIM_400000_NS6detail17trampoline_kernelINS0_14default_configENS1_25partition_config_selectorILNS1_17partition_subalgoE9EllbEEZZNS1_14partition_implILS5_9ELb0ES3_jPlS8_PNS0_10empty_typeENS0_5tupleIJS8_S9_EEENSB_IJS8_SA_EEENS0_18inequality_wrapperIZN2at6native12_GLOBAL__N_124unique_dim_cuda_templateImEESt5tupleIJNSF_6TensorESK_SK_EERKSK_lbbbEUlllE0_EEPmJS9_EEE10hipError_tPvRmT3_T4_T5_T6_T7_T9_mT8_P12ihipStream_tbDpT10_ENKUlT_T0_E_clISt17integral_constantIbLb0EES1A_EEDaS15_S16_EUlS15_E_NS1_11comp_targetILNS1_3genE3ELNS1_11target_archE908ELNS1_3gpuE7ELNS1_3repE0EEENS1_30default_config_static_selectorELNS0_4arch9wavefront6targetE1EEEvT1_
; %bb.0:
	.section	.rodata,"a",@progbits
	.p2align	6, 0x0
	.amdhsa_kernel _ZN7rocprim17ROCPRIM_400000_NS6detail17trampoline_kernelINS0_14default_configENS1_25partition_config_selectorILNS1_17partition_subalgoE9EllbEEZZNS1_14partition_implILS5_9ELb0ES3_jPlS8_PNS0_10empty_typeENS0_5tupleIJS8_S9_EEENSB_IJS8_SA_EEENS0_18inequality_wrapperIZN2at6native12_GLOBAL__N_124unique_dim_cuda_templateImEESt5tupleIJNSF_6TensorESK_SK_EERKSK_lbbbEUlllE0_EEPmJS9_EEE10hipError_tPvRmT3_T4_T5_T6_T7_T9_mT8_P12ihipStream_tbDpT10_ENKUlT_T0_E_clISt17integral_constantIbLb0EES1A_EEDaS15_S16_EUlS15_E_NS1_11comp_targetILNS1_3genE3ELNS1_11target_archE908ELNS1_3gpuE7ELNS1_3repE0EEENS1_30default_config_static_selectorELNS0_4arch9wavefront6targetE1EEEvT1_
		.amdhsa_group_segment_fixed_size 0
		.amdhsa_private_segment_fixed_size 0
		.amdhsa_kernarg_size 120
		.amdhsa_user_sgpr_count 2
		.amdhsa_user_sgpr_dispatch_ptr 0
		.amdhsa_user_sgpr_queue_ptr 0
		.amdhsa_user_sgpr_kernarg_segment_ptr 1
		.amdhsa_user_sgpr_dispatch_id 0
		.amdhsa_user_sgpr_kernarg_preload_length 0
		.amdhsa_user_sgpr_kernarg_preload_offset 0
		.amdhsa_user_sgpr_private_segment_size 0
		.amdhsa_uses_dynamic_stack 0
		.amdhsa_enable_private_segment 0
		.amdhsa_system_sgpr_workgroup_id_x 1
		.amdhsa_system_sgpr_workgroup_id_y 0
		.amdhsa_system_sgpr_workgroup_id_z 0
		.amdhsa_system_sgpr_workgroup_info 0
		.amdhsa_system_vgpr_workitem_id 0
		.amdhsa_next_free_vgpr 1
		.amdhsa_next_free_sgpr 0
		.amdhsa_accum_offset 4
		.amdhsa_reserve_vcc 0
		.amdhsa_float_round_mode_32 0
		.amdhsa_float_round_mode_16_64 0
		.amdhsa_float_denorm_mode_32 3
		.amdhsa_float_denorm_mode_16_64 3
		.amdhsa_dx10_clamp 1
		.amdhsa_ieee_mode 1
		.amdhsa_fp16_overflow 0
		.amdhsa_tg_split 0
		.amdhsa_exception_fp_ieee_invalid_op 0
		.amdhsa_exception_fp_denorm_src 0
		.amdhsa_exception_fp_ieee_div_zero 0
		.amdhsa_exception_fp_ieee_overflow 0
		.amdhsa_exception_fp_ieee_underflow 0
		.amdhsa_exception_fp_ieee_inexact 0
		.amdhsa_exception_int_div_zero 0
	.end_amdhsa_kernel
	.section	.text._ZN7rocprim17ROCPRIM_400000_NS6detail17trampoline_kernelINS0_14default_configENS1_25partition_config_selectorILNS1_17partition_subalgoE9EllbEEZZNS1_14partition_implILS5_9ELb0ES3_jPlS8_PNS0_10empty_typeENS0_5tupleIJS8_S9_EEENSB_IJS8_SA_EEENS0_18inequality_wrapperIZN2at6native12_GLOBAL__N_124unique_dim_cuda_templateImEESt5tupleIJNSF_6TensorESK_SK_EERKSK_lbbbEUlllE0_EEPmJS9_EEE10hipError_tPvRmT3_T4_T5_T6_T7_T9_mT8_P12ihipStream_tbDpT10_ENKUlT_T0_E_clISt17integral_constantIbLb0EES1A_EEDaS15_S16_EUlS15_E_NS1_11comp_targetILNS1_3genE3ELNS1_11target_archE908ELNS1_3gpuE7ELNS1_3repE0EEENS1_30default_config_static_selectorELNS0_4arch9wavefront6targetE1EEEvT1_,"axG",@progbits,_ZN7rocprim17ROCPRIM_400000_NS6detail17trampoline_kernelINS0_14default_configENS1_25partition_config_selectorILNS1_17partition_subalgoE9EllbEEZZNS1_14partition_implILS5_9ELb0ES3_jPlS8_PNS0_10empty_typeENS0_5tupleIJS8_S9_EEENSB_IJS8_SA_EEENS0_18inequality_wrapperIZN2at6native12_GLOBAL__N_124unique_dim_cuda_templateImEESt5tupleIJNSF_6TensorESK_SK_EERKSK_lbbbEUlllE0_EEPmJS9_EEE10hipError_tPvRmT3_T4_T5_T6_T7_T9_mT8_P12ihipStream_tbDpT10_ENKUlT_T0_E_clISt17integral_constantIbLb0EES1A_EEDaS15_S16_EUlS15_E_NS1_11comp_targetILNS1_3genE3ELNS1_11target_archE908ELNS1_3gpuE7ELNS1_3repE0EEENS1_30default_config_static_selectorELNS0_4arch9wavefront6targetE1EEEvT1_,comdat
.Lfunc_end1709:
	.size	_ZN7rocprim17ROCPRIM_400000_NS6detail17trampoline_kernelINS0_14default_configENS1_25partition_config_selectorILNS1_17partition_subalgoE9EllbEEZZNS1_14partition_implILS5_9ELb0ES3_jPlS8_PNS0_10empty_typeENS0_5tupleIJS8_S9_EEENSB_IJS8_SA_EEENS0_18inequality_wrapperIZN2at6native12_GLOBAL__N_124unique_dim_cuda_templateImEESt5tupleIJNSF_6TensorESK_SK_EERKSK_lbbbEUlllE0_EEPmJS9_EEE10hipError_tPvRmT3_T4_T5_T6_T7_T9_mT8_P12ihipStream_tbDpT10_ENKUlT_T0_E_clISt17integral_constantIbLb0EES1A_EEDaS15_S16_EUlS15_E_NS1_11comp_targetILNS1_3genE3ELNS1_11target_archE908ELNS1_3gpuE7ELNS1_3repE0EEENS1_30default_config_static_selectorELNS0_4arch9wavefront6targetE1EEEvT1_, .Lfunc_end1709-_ZN7rocprim17ROCPRIM_400000_NS6detail17trampoline_kernelINS0_14default_configENS1_25partition_config_selectorILNS1_17partition_subalgoE9EllbEEZZNS1_14partition_implILS5_9ELb0ES3_jPlS8_PNS0_10empty_typeENS0_5tupleIJS8_S9_EEENSB_IJS8_SA_EEENS0_18inequality_wrapperIZN2at6native12_GLOBAL__N_124unique_dim_cuda_templateImEESt5tupleIJNSF_6TensorESK_SK_EERKSK_lbbbEUlllE0_EEPmJS9_EEE10hipError_tPvRmT3_T4_T5_T6_T7_T9_mT8_P12ihipStream_tbDpT10_ENKUlT_T0_E_clISt17integral_constantIbLb0EES1A_EEDaS15_S16_EUlS15_E_NS1_11comp_targetILNS1_3genE3ELNS1_11target_archE908ELNS1_3gpuE7ELNS1_3repE0EEENS1_30default_config_static_selectorELNS0_4arch9wavefront6targetE1EEEvT1_
                                        ; -- End function
	.section	.AMDGPU.csdata,"",@progbits
; Kernel info:
; codeLenInByte = 0
; NumSgprs: 6
; NumVgprs: 0
; NumAgprs: 0
; TotalNumVgprs: 0
; ScratchSize: 0
; MemoryBound: 0
; FloatMode: 240
; IeeeMode: 1
; LDSByteSize: 0 bytes/workgroup (compile time only)
; SGPRBlocks: 0
; VGPRBlocks: 0
; NumSGPRsForWavesPerEU: 6
; NumVGPRsForWavesPerEU: 1
; AccumOffset: 4
; Occupancy: 8
; WaveLimiterHint : 0
; COMPUTE_PGM_RSRC2:SCRATCH_EN: 0
; COMPUTE_PGM_RSRC2:USER_SGPR: 2
; COMPUTE_PGM_RSRC2:TRAP_HANDLER: 0
; COMPUTE_PGM_RSRC2:TGID_X_EN: 1
; COMPUTE_PGM_RSRC2:TGID_Y_EN: 0
; COMPUTE_PGM_RSRC2:TGID_Z_EN: 0
; COMPUTE_PGM_RSRC2:TIDIG_COMP_CNT: 0
; COMPUTE_PGM_RSRC3_GFX90A:ACCUM_OFFSET: 0
; COMPUTE_PGM_RSRC3_GFX90A:TG_SPLIT: 0
	.section	.text._ZN7rocprim17ROCPRIM_400000_NS6detail17trampoline_kernelINS0_14default_configENS1_25partition_config_selectorILNS1_17partition_subalgoE9EllbEEZZNS1_14partition_implILS5_9ELb0ES3_jPlS8_PNS0_10empty_typeENS0_5tupleIJS8_S9_EEENSB_IJS8_SA_EEENS0_18inequality_wrapperIZN2at6native12_GLOBAL__N_124unique_dim_cuda_templateImEESt5tupleIJNSF_6TensorESK_SK_EERKSK_lbbbEUlllE0_EEPmJS9_EEE10hipError_tPvRmT3_T4_T5_T6_T7_T9_mT8_P12ihipStream_tbDpT10_ENKUlT_T0_E_clISt17integral_constantIbLb0EES1A_EEDaS15_S16_EUlS15_E_NS1_11comp_targetILNS1_3genE2ELNS1_11target_archE906ELNS1_3gpuE6ELNS1_3repE0EEENS1_30default_config_static_selectorELNS0_4arch9wavefront6targetE1EEEvT1_,"axG",@progbits,_ZN7rocprim17ROCPRIM_400000_NS6detail17trampoline_kernelINS0_14default_configENS1_25partition_config_selectorILNS1_17partition_subalgoE9EllbEEZZNS1_14partition_implILS5_9ELb0ES3_jPlS8_PNS0_10empty_typeENS0_5tupleIJS8_S9_EEENSB_IJS8_SA_EEENS0_18inequality_wrapperIZN2at6native12_GLOBAL__N_124unique_dim_cuda_templateImEESt5tupleIJNSF_6TensorESK_SK_EERKSK_lbbbEUlllE0_EEPmJS9_EEE10hipError_tPvRmT3_T4_T5_T6_T7_T9_mT8_P12ihipStream_tbDpT10_ENKUlT_T0_E_clISt17integral_constantIbLb0EES1A_EEDaS15_S16_EUlS15_E_NS1_11comp_targetILNS1_3genE2ELNS1_11target_archE906ELNS1_3gpuE6ELNS1_3repE0EEENS1_30default_config_static_selectorELNS0_4arch9wavefront6targetE1EEEvT1_,comdat
	.globl	_ZN7rocprim17ROCPRIM_400000_NS6detail17trampoline_kernelINS0_14default_configENS1_25partition_config_selectorILNS1_17partition_subalgoE9EllbEEZZNS1_14partition_implILS5_9ELb0ES3_jPlS8_PNS0_10empty_typeENS0_5tupleIJS8_S9_EEENSB_IJS8_SA_EEENS0_18inequality_wrapperIZN2at6native12_GLOBAL__N_124unique_dim_cuda_templateImEESt5tupleIJNSF_6TensorESK_SK_EERKSK_lbbbEUlllE0_EEPmJS9_EEE10hipError_tPvRmT3_T4_T5_T6_T7_T9_mT8_P12ihipStream_tbDpT10_ENKUlT_T0_E_clISt17integral_constantIbLb0EES1A_EEDaS15_S16_EUlS15_E_NS1_11comp_targetILNS1_3genE2ELNS1_11target_archE906ELNS1_3gpuE6ELNS1_3repE0EEENS1_30default_config_static_selectorELNS0_4arch9wavefront6targetE1EEEvT1_ ; -- Begin function _ZN7rocprim17ROCPRIM_400000_NS6detail17trampoline_kernelINS0_14default_configENS1_25partition_config_selectorILNS1_17partition_subalgoE9EllbEEZZNS1_14partition_implILS5_9ELb0ES3_jPlS8_PNS0_10empty_typeENS0_5tupleIJS8_S9_EEENSB_IJS8_SA_EEENS0_18inequality_wrapperIZN2at6native12_GLOBAL__N_124unique_dim_cuda_templateImEESt5tupleIJNSF_6TensorESK_SK_EERKSK_lbbbEUlllE0_EEPmJS9_EEE10hipError_tPvRmT3_T4_T5_T6_T7_T9_mT8_P12ihipStream_tbDpT10_ENKUlT_T0_E_clISt17integral_constantIbLb0EES1A_EEDaS15_S16_EUlS15_E_NS1_11comp_targetILNS1_3genE2ELNS1_11target_archE906ELNS1_3gpuE6ELNS1_3repE0EEENS1_30default_config_static_selectorELNS0_4arch9wavefront6targetE1EEEvT1_
	.p2align	8
	.type	_ZN7rocprim17ROCPRIM_400000_NS6detail17trampoline_kernelINS0_14default_configENS1_25partition_config_selectorILNS1_17partition_subalgoE9EllbEEZZNS1_14partition_implILS5_9ELb0ES3_jPlS8_PNS0_10empty_typeENS0_5tupleIJS8_S9_EEENSB_IJS8_SA_EEENS0_18inequality_wrapperIZN2at6native12_GLOBAL__N_124unique_dim_cuda_templateImEESt5tupleIJNSF_6TensorESK_SK_EERKSK_lbbbEUlllE0_EEPmJS9_EEE10hipError_tPvRmT3_T4_T5_T6_T7_T9_mT8_P12ihipStream_tbDpT10_ENKUlT_T0_E_clISt17integral_constantIbLb0EES1A_EEDaS15_S16_EUlS15_E_NS1_11comp_targetILNS1_3genE2ELNS1_11target_archE906ELNS1_3gpuE6ELNS1_3repE0EEENS1_30default_config_static_selectorELNS0_4arch9wavefront6targetE1EEEvT1_,@function
_ZN7rocprim17ROCPRIM_400000_NS6detail17trampoline_kernelINS0_14default_configENS1_25partition_config_selectorILNS1_17partition_subalgoE9EllbEEZZNS1_14partition_implILS5_9ELb0ES3_jPlS8_PNS0_10empty_typeENS0_5tupleIJS8_S9_EEENSB_IJS8_SA_EEENS0_18inequality_wrapperIZN2at6native12_GLOBAL__N_124unique_dim_cuda_templateImEESt5tupleIJNSF_6TensorESK_SK_EERKSK_lbbbEUlllE0_EEPmJS9_EEE10hipError_tPvRmT3_T4_T5_T6_T7_T9_mT8_P12ihipStream_tbDpT10_ENKUlT_T0_E_clISt17integral_constantIbLb0EES1A_EEDaS15_S16_EUlS15_E_NS1_11comp_targetILNS1_3genE2ELNS1_11target_archE906ELNS1_3gpuE6ELNS1_3repE0EEENS1_30default_config_static_selectorELNS0_4arch9wavefront6targetE1EEEvT1_: ; @_ZN7rocprim17ROCPRIM_400000_NS6detail17trampoline_kernelINS0_14default_configENS1_25partition_config_selectorILNS1_17partition_subalgoE9EllbEEZZNS1_14partition_implILS5_9ELb0ES3_jPlS8_PNS0_10empty_typeENS0_5tupleIJS8_S9_EEENSB_IJS8_SA_EEENS0_18inequality_wrapperIZN2at6native12_GLOBAL__N_124unique_dim_cuda_templateImEESt5tupleIJNSF_6TensorESK_SK_EERKSK_lbbbEUlllE0_EEPmJS9_EEE10hipError_tPvRmT3_T4_T5_T6_T7_T9_mT8_P12ihipStream_tbDpT10_ENKUlT_T0_E_clISt17integral_constantIbLb0EES1A_EEDaS15_S16_EUlS15_E_NS1_11comp_targetILNS1_3genE2ELNS1_11target_archE906ELNS1_3gpuE6ELNS1_3repE0EEENS1_30default_config_static_selectorELNS0_4arch9wavefront6targetE1EEEvT1_
; %bb.0:
	.section	.rodata,"a",@progbits
	.p2align	6, 0x0
	.amdhsa_kernel _ZN7rocprim17ROCPRIM_400000_NS6detail17trampoline_kernelINS0_14default_configENS1_25partition_config_selectorILNS1_17partition_subalgoE9EllbEEZZNS1_14partition_implILS5_9ELb0ES3_jPlS8_PNS0_10empty_typeENS0_5tupleIJS8_S9_EEENSB_IJS8_SA_EEENS0_18inequality_wrapperIZN2at6native12_GLOBAL__N_124unique_dim_cuda_templateImEESt5tupleIJNSF_6TensorESK_SK_EERKSK_lbbbEUlllE0_EEPmJS9_EEE10hipError_tPvRmT3_T4_T5_T6_T7_T9_mT8_P12ihipStream_tbDpT10_ENKUlT_T0_E_clISt17integral_constantIbLb0EES1A_EEDaS15_S16_EUlS15_E_NS1_11comp_targetILNS1_3genE2ELNS1_11target_archE906ELNS1_3gpuE6ELNS1_3repE0EEENS1_30default_config_static_selectorELNS0_4arch9wavefront6targetE1EEEvT1_
		.amdhsa_group_segment_fixed_size 0
		.amdhsa_private_segment_fixed_size 0
		.amdhsa_kernarg_size 120
		.amdhsa_user_sgpr_count 2
		.amdhsa_user_sgpr_dispatch_ptr 0
		.amdhsa_user_sgpr_queue_ptr 0
		.amdhsa_user_sgpr_kernarg_segment_ptr 1
		.amdhsa_user_sgpr_dispatch_id 0
		.amdhsa_user_sgpr_kernarg_preload_length 0
		.amdhsa_user_sgpr_kernarg_preload_offset 0
		.amdhsa_user_sgpr_private_segment_size 0
		.amdhsa_uses_dynamic_stack 0
		.amdhsa_enable_private_segment 0
		.amdhsa_system_sgpr_workgroup_id_x 1
		.amdhsa_system_sgpr_workgroup_id_y 0
		.amdhsa_system_sgpr_workgroup_id_z 0
		.amdhsa_system_sgpr_workgroup_info 0
		.amdhsa_system_vgpr_workitem_id 0
		.amdhsa_next_free_vgpr 1
		.amdhsa_next_free_sgpr 0
		.amdhsa_accum_offset 4
		.amdhsa_reserve_vcc 0
		.amdhsa_float_round_mode_32 0
		.amdhsa_float_round_mode_16_64 0
		.amdhsa_float_denorm_mode_32 3
		.amdhsa_float_denorm_mode_16_64 3
		.amdhsa_dx10_clamp 1
		.amdhsa_ieee_mode 1
		.amdhsa_fp16_overflow 0
		.amdhsa_tg_split 0
		.amdhsa_exception_fp_ieee_invalid_op 0
		.amdhsa_exception_fp_denorm_src 0
		.amdhsa_exception_fp_ieee_div_zero 0
		.amdhsa_exception_fp_ieee_overflow 0
		.amdhsa_exception_fp_ieee_underflow 0
		.amdhsa_exception_fp_ieee_inexact 0
		.amdhsa_exception_int_div_zero 0
	.end_amdhsa_kernel
	.section	.text._ZN7rocprim17ROCPRIM_400000_NS6detail17trampoline_kernelINS0_14default_configENS1_25partition_config_selectorILNS1_17partition_subalgoE9EllbEEZZNS1_14partition_implILS5_9ELb0ES3_jPlS8_PNS0_10empty_typeENS0_5tupleIJS8_S9_EEENSB_IJS8_SA_EEENS0_18inequality_wrapperIZN2at6native12_GLOBAL__N_124unique_dim_cuda_templateImEESt5tupleIJNSF_6TensorESK_SK_EERKSK_lbbbEUlllE0_EEPmJS9_EEE10hipError_tPvRmT3_T4_T5_T6_T7_T9_mT8_P12ihipStream_tbDpT10_ENKUlT_T0_E_clISt17integral_constantIbLb0EES1A_EEDaS15_S16_EUlS15_E_NS1_11comp_targetILNS1_3genE2ELNS1_11target_archE906ELNS1_3gpuE6ELNS1_3repE0EEENS1_30default_config_static_selectorELNS0_4arch9wavefront6targetE1EEEvT1_,"axG",@progbits,_ZN7rocprim17ROCPRIM_400000_NS6detail17trampoline_kernelINS0_14default_configENS1_25partition_config_selectorILNS1_17partition_subalgoE9EllbEEZZNS1_14partition_implILS5_9ELb0ES3_jPlS8_PNS0_10empty_typeENS0_5tupleIJS8_S9_EEENSB_IJS8_SA_EEENS0_18inequality_wrapperIZN2at6native12_GLOBAL__N_124unique_dim_cuda_templateImEESt5tupleIJNSF_6TensorESK_SK_EERKSK_lbbbEUlllE0_EEPmJS9_EEE10hipError_tPvRmT3_T4_T5_T6_T7_T9_mT8_P12ihipStream_tbDpT10_ENKUlT_T0_E_clISt17integral_constantIbLb0EES1A_EEDaS15_S16_EUlS15_E_NS1_11comp_targetILNS1_3genE2ELNS1_11target_archE906ELNS1_3gpuE6ELNS1_3repE0EEENS1_30default_config_static_selectorELNS0_4arch9wavefront6targetE1EEEvT1_,comdat
.Lfunc_end1710:
	.size	_ZN7rocprim17ROCPRIM_400000_NS6detail17trampoline_kernelINS0_14default_configENS1_25partition_config_selectorILNS1_17partition_subalgoE9EllbEEZZNS1_14partition_implILS5_9ELb0ES3_jPlS8_PNS0_10empty_typeENS0_5tupleIJS8_S9_EEENSB_IJS8_SA_EEENS0_18inequality_wrapperIZN2at6native12_GLOBAL__N_124unique_dim_cuda_templateImEESt5tupleIJNSF_6TensorESK_SK_EERKSK_lbbbEUlllE0_EEPmJS9_EEE10hipError_tPvRmT3_T4_T5_T6_T7_T9_mT8_P12ihipStream_tbDpT10_ENKUlT_T0_E_clISt17integral_constantIbLb0EES1A_EEDaS15_S16_EUlS15_E_NS1_11comp_targetILNS1_3genE2ELNS1_11target_archE906ELNS1_3gpuE6ELNS1_3repE0EEENS1_30default_config_static_selectorELNS0_4arch9wavefront6targetE1EEEvT1_, .Lfunc_end1710-_ZN7rocprim17ROCPRIM_400000_NS6detail17trampoline_kernelINS0_14default_configENS1_25partition_config_selectorILNS1_17partition_subalgoE9EllbEEZZNS1_14partition_implILS5_9ELb0ES3_jPlS8_PNS0_10empty_typeENS0_5tupleIJS8_S9_EEENSB_IJS8_SA_EEENS0_18inequality_wrapperIZN2at6native12_GLOBAL__N_124unique_dim_cuda_templateImEESt5tupleIJNSF_6TensorESK_SK_EERKSK_lbbbEUlllE0_EEPmJS9_EEE10hipError_tPvRmT3_T4_T5_T6_T7_T9_mT8_P12ihipStream_tbDpT10_ENKUlT_T0_E_clISt17integral_constantIbLb0EES1A_EEDaS15_S16_EUlS15_E_NS1_11comp_targetILNS1_3genE2ELNS1_11target_archE906ELNS1_3gpuE6ELNS1_3repE0EEENS1_30default_config_static_selectorELNS0_4arch9wavefront6targetE1EEEvT1_
                                        ; -- End function
	.section	.AMDGPU.csdata,"",@progbits
; Kernel info:
; codeLenInByte = 0
; NumSgprs: 6
; NumVgprs: 0
; NumAgprs: 0
; TotalNumVgprs: 0
; ScratchSize: 0
; MemoryBound: 0
; FloatMode: 240
; IeeeMode: 1
; LDSByteSize: 0 bytes/workgroup (compile time only)
; SGPRBlocks: 0
; VGPRBlocks: 0
; NumSGPRsForWavesPerEU: 6
; NumVGPRsForWavesPerEU: 1
; AccumOffset: 4
; Occupancy: 8
; WaveLimiterHint : 0
; COMPUTE_PGM_RSRC2:SCRATCH_EN: 0
; COMPUTE_PGM_RSRC2:USER_SGPR: 2
; COMPUTE_PGM_RSRC2:TRAP_HANDLER: 0
; COMPUTE_PGM_RSRC2:TGID_X_EN: 1
; COMPUTE_PGM_RSRC2:TGID_Y_EN: 0
; COMPUTE_PGM_RSRC2:TGID_Z_EN: 0
; COMPUTE_PGM_RSRC2:TIDIG_COMP_CNT: 0
; COMPUTE_PGM_RSRC3_GFX90A:ACCUM_OFFSET: 0
; COMPUTE_PGM_RSRC3_GFX90A:TG_SPLIT: 0
	.section	.text._ZN7rocprim17ROCPRIM_400000_NS6detail17trampoline_kernelINS0_14default_configENS1_25partition_config_selectorILNS1_17partition_subalgoE9EllbEEZZNS1_14partition_implILS5_9ELb0ES3_jPlS8_PNS0_10empty_typeENS0_5tupleIJS8_S9_EEENSB_IJS8_SA_EEENS0_18inequality_wrapperIZN2at6native12_GLOBAL__N_124unique_dim_cuda_templateImEESt5tupleIJNSF_6TensorESK_SK_EERKSK_lbbbEUlllE0_EEPmJS9_EEE10hipError_tPvRmT3_T4_T5_T6_T7_T9_mT8_P12ihipStream_tbDpT10_ENKUlT_T0_E_clISt17integral_constantIbLb0EES1A_EEDaS15_S16_EUlS15_E_NS1_11comp_targetILNS1_3genE10ELNS1_11target_archE1200ELNS1_3gpuE4ELNS1_3repE0EEENS1_30default_config_static_selectorELNS0_4arch9wavefront6targetE1EEEvT1_,"axG",@progbits,_ZN7rocprim17ROCPRIM_400000_NS6detail17trampoline_kernelINS0_14default_configENS1_25partition_config_selectorILNS1_17partition_subalgoE9EllbEEZZNS1_14partition_implILS5_9ELb0ES3_jPlS8_PNS0_10empty_typeENS0_5tupleIJS8_S9_EEENSB_IJS8_SA_EEENS0_18inequality_wrapperIZN2at6native12_GLOBAL__N_124unique_dim_cuda_templateImEESt5tupleIJNSF_6TensorESK_SK_EERKSK_lbbbEUlllE0_EEPmJS9_EEE10hipError_tPvRmT3_T4_T5_T6_T7_T9_mT8_P12ihipStream_tbDpT10_ENKUlT_T0_E_clISt17integral_constantIbLb0EES1A_EEDaS15_S16_EUlS15_E_NS1_11comp_targetILNS1_3genE10ELNS1_11target_archE1200ELNS1_3gpuE4ELNS1_3repE0EEENS1_30default_config_static_selectorELNS0_4arch9wavefront6targetE1EEEvT1_,comdat
	.globl	_ZN7rocprim17ROCPRIM_400000_NS6detail17trampoline_kernelINS0_14default_configENS1_25partition_config_selectorILNS1_17partition_subalgoE9EllbEEZZNS1_14partition_implILS5_9ELb0ES3_jPlS8_PNS0_10empty_typeENS0_5tupleIJS8_S9_EEENSB_IJS8_SA_EEENS0_18inequality_wrapperIZN2at6native12_GLOBAL__N_124unique_dim_cuda_templateImEESt5tupleIJNSF_6TensorESK_SK_EERKSK_lbbbEUlllE0_EEPmJS9_EEE10hipError_tPvRmT3_T4_T5_T6_T7_T9_mT8_P12ihipStream_tbDpT10_ENKUlT_T0_E_clISt17integral_constantIbLb0EES1A_EEDaS15_S16_EUlS15_E_NS1_11comp_targetILNS1_3genE10ELNS1_11target_archE1200ELNS1_3gpuE4ELNS1_3repE0EEENS1_30default_config_static_selectorELNS0_4arch9wavefront6targetE1EEEvT1_ ; -- Begin function _ZN7rocprim17ROCPRIM_400000_NS6detail17trampoline_kernelINS0_14default_configENS1_25partition_config_selectorILNS1_17partition_subalgoE9EllbEEZZNS1_14partition_implILS5_9ELb0ES3_jPlS8_PNS0_10empty_typeENS0_5tupleIJS8_S9_EEENSB_IJS8_SA_EEENS0_18inequality_wrapperIZN2at6native12_GLOBAL__N_124unique_dim_cuda_templateImEESt5tupleIJNSF_6TensorESK_SK_EERKSK_lbbbEUlllE0_EEPmJS9_EEE10hipError_tPvRmT3_T4_T5_T6_T7_T9_mT8_P12ihipStream_tbDpT10_ENKUlT_T0_E_clISt17integral_constantIbLb0EES1A_EEDaS15_S16_EUlS15_E_NS1_11comp_targetILNS1_3genE10ELNS1_11target_archE1200ELNS1_3gpuE4ELNS1_3repE0EEENS1_30default_config_static_selectorELNS0_4arch9wavefront6targetE1EEEvT1_
	.p2align	8
	.type	_ZN7rocprim17ROCPRIM_400000_NS6detail17trampoline_kernelINS0_14default_configENS1_25partition_config_selectorILNS1_17partition_subalgoE9EllbEEZZNS1_14partition_implILS5_9ELb0ES3_jPlS8_PNS0_10empty_typeENS0_5tupleIJS8_S9_EEENSB_IJS8_SA_EEENS0_18inequality_wrapperIZN2at6native12_GLOBAL__N_124unique_dim_cuda_templateImEESt5tupleIJNSF_6TensorESK_SK_EERKSK_lbbbEUlllE0_EEPmJS9_EEE10hipError_tPvRmT3_T4_T5_T6_T7_T9_mT8_P12ihipStream_tbDpT10_ENKUlT_T0_E_clISt17integral_constantIbLb0EES1A_EEDaS15_S16_EUlS15_E_NS1_11comp_targetILNS1_3genE10ELNS1_11target_archE1200ELNS1_3gpuE4ELNS1_3repE0EEENS1_30default_config_static_selectorELNS0_4arch9wavefront6targetE1EEEvT1_,@function
_ZN7rocprim17ROCPRIM_400000_NS6detail17trampoline_kernelINS0_14default_configENS1_25partition_config_selectorILNS1_17partition_subalgoE9EllbEEZZNS1_14partition_implILS5_9ELb0ES3_jPlS8_PNS0_10empty_typeENS0_5tupleIJS8_S9_EEENSB_IJS8_SA_EEENS0_18inequality_wrapperIZN2at6native12_GLOBAL__N_124unique_dim_cuda_templateImEESt5tupleIJNSF_6TensorESK_SK_EERKSK_lbbbEUlllE0_EEPmJS9_EEE10hipError_tPvRmT3_T4_T5_T6_T7_T9_mT8_P12ihipStream_tbDpT10_ENKUlT_T0_E_clISt17integral_constantIbLb0EES1A_EEDaS15_S16_EUlS15_E_NS1_11comp_targetILNS1_3genE10ELNS1_11target_archE1200ELNS1_3gpuE4ELNS1_3repE0EEENS1_30default_config_static_selectorELNS0_4arch9wavefront6targetE1EEEvT1_: ; @_ZN7rocprim17ROCPRIM_400000_NS6detail17trampoline_kernelINS0_14default_configENS1_25partition_config_selectorILNS1_17partition_subalgoE9EllbEEZZNS1_14partition_implILS5_9ELb0ES3_jPlS8_PNS0_10empty_typeENS0_5tupleIJS8_S9_EEENSB_IJS8_SA_EEENS0_18inequality_wrapperIZN2at6native12_GLOBAL__N_124unique_dim_cuda_templateImEESt5tupleIJNSF_6TensorESK_SK_EERKSK_lbbbEUlllE0_EEPmJS9_EEE10hipError_tPvRmT3_T4_T5_T6_T7_T9_mT8_P12ihipStream_tbDpT10_ENKUlT_T0_E_clISt17integral_constantIbLb0EES1A_EEDaS15_S16_EUlS15_E_NS1_11comp_targetILNS1_3genE10ELNS1_11target_archE1200ELNS1_3gpuE4ELNS1_3repE0EEENS1_30default_config_static_selectorELNS0_4arch9wavefront6targetE1EEEvT1_
; %bb.0:
	.section	.rodata,"a",@progbits
	.p2align	6, 0x0
	.amdhsa_kernel _ZN7rocprim17ROCPRIM_400000_NS6detail17trampoline_kernelINS0_14default_configENS1_25partition_config_selectorILNS1_17partition_subalgoE9EllbEEZZNS1_14partition_implILS5_9ELb0ES3_jPlS8_PNS0_10empty_typeENS0_5tupleIJS8_S9_EEENSB_IJS8_SA_EEENS0_18inequality_wrapperIZN2at6native12_GLOBAL__N_124unique_dim_cuda_templateImEESt5tupleIJNSF_6TensorESK_SK_EERKSK_lbbbEUlllE0_EEPmJS9_EEE10hipError_tPvRmT3_T4_T5_T6_T7_T9_mT8_P12ihipStream_tbDpT10_ENKUlT_T0_E_clISt17integral_constantIbLb0EES1A_EEDaS15_S16_EUlS15_E_NS1_11comp_targetILNS1_3genE10ELNS1_11target_archE1200ELNS1_3gpuE4ELNS1_3repE0EEENS1_30default_config_static_selectorELNS0_4arch9wavefront6targetE1EEEvT1_
		.amdhsa_group_segment_fixed_size 0
		.amdhsa_private_segment_fixed_size 0
		.amdhsa_kernarg_size 120
		.amdhsa_user_sgpr_count 2
		.amdhsa_user_sgpr_dispatch_ptr 0
		.amdhsa_user_sgpr_queue_ptr 0
		.amdhsa_user_sgpr_kernarg_segment_ptr 1
		.amdhsa_user_sgpr_dispatch_id 0
		.amdhsa_user_sgpr_kernarg_preload_length 0
		.amdhsa_user_sgpr_kernarg_preload_offset 0
		.amdhsa_user_sgpr_private_segment_size 0
		.amdhsa_uses_dynamic_stack 0
		.amdhsa_enable_private_segment 0
		.amdhsa_system_sgpr_workgroup_id_x 1
		.amdhsa_system_sgpr_workgroup_id_y 0
		.amdhsa_system_sgpr_workgroup_id_z 0
		.amdhsa_system_sgpr_workgroup_info 0
		.amdhsa_system_vgpr_workitem_id 0
		.amdhsa_next_free_vgpr 1
		.amdhsa_next_free_sgpr 0
		.amdhsa_accum_offset 4
		.amdhsa_reserve_vcc 0
		.amdhsa_float_round_mode_32 0
		.amdhsa_float_round_mode_16_64 0
		.amdhsa_float_denorm_mode_32 3
		.amdhsa_float_denorm_mode_16_64 3
		.amdhsa_dx10_clamp 1
		.amdhsa_ieee_mode 1
		.amdhsa_fp16_overflow 0
		.amdhsa_tg_split 0
		.amdhsa_exception_fp_ieee_invalid_op 0
		.amdhsa_exception_fp_denorm_src 0
		.amdhsa_exception_fp_ieee_div_zero 0
		.amdhsa_exception_fp_ieee_overflow 0
		.amdhsa_exception_fp_ieee_underflow 0
		.amdhsa_exception_fp_ieee_inexact 0
		.amdhsa_exception_int_div_zero 0
	.end_amdhsa_kernel
	.section	.text._ZN7rocprim17ROCPRIM_400000_NS6detail17trampoline_kernelINS0_14default_configENS1_25partition_config_selectorILNS1_17partition_subalgoE9EllbEEZZNS1_14partition_implILS5_9ELb0ES3_jPlS8_PNS0_10empty_typeENS0_5tupleIJS8_S9_EEENSB_IJS8_SA_EEENS0_18inequality_wrapperIZN2at6native12_GLOBAL__N_124unique_dim_cuda_templateImEESt5tupleIJNSF_6TensorESK_SK_EERKSK_lbbbEUlllE0_EEPmJS9_EEE10hipError_tPvRmT3_T4_T5_T6_T7_T9_mT8_P12ihipStream_tbDpT10_ENKUlT_T0_E_clISt17integral_constantIbLb0EES1A_EEDaS15_S16_EUlS15_E_NS1_11comp_targetILNS1_3genE10ELNS1_11target_archE1200ELNS1_3gpuE4ELNS1_3repE0EEENS1_30default_config_static_selectorELNS0_4arch9wavefront6targetE1EEEvT1_,"axG",@progbits,_ZN7rocprim17ROCPRIM_400000_NS6detail17trampoline_kernelINS0_14default_configENS1_25partition_config_selectorILNS1_17partition_subalgoE9EllbEEZZNS1_14partition_implILS5_9ELb0ES3_jPlS8_PNS0_10empty_typeENS0_5tupleIJS8_S9_EEENSB_IJS8_SA_EEENS0_18inequality_wrapperIZN2at6native12_GLOBAL__N_124unique_dim_cuda_templateImEESt5tupleIJNSF_6TensorESK_SK_EERKSK_lbbbEUlllE0_EEPmJS9_EEE10hipError_tPvRmT3_T4_T5_T6_T7_T9_mT8_P12ihipStream_tbDpT10_ENKUlT_T0_E_clISt17integral_constantIbLb0EES1A_EEDaS15_S16_EUlS15_E_NS1_11comp_targetILNS1_3genE10ELNS1_11target_archE1200ELNS1_3gpuE4ELNS1_3repE0EEENS1_30default_config_static_selectorELNS0_4arch9wavefront6targetE1EEEvT1_,comdat
.Lfunc_end1711:
	.size	_ZN7rocprim17ROCPRIM_400000_NS6detail17trampoline_kernelINS0_14default_configENS1_25partition_config_selectorILNS1_17partition_subalgoE9EllbEEZZNS1_14partition_implILS5_9ELb0ES3_jPlS8_PNS0_10empty_typeENS0_5tupleIJS8_S9_EEENSB_IJS8_SA_EEENS0_18inequality_wrapperIZN2at6native12_GLOBAL__N_124unique_dim_cuda_templateImEESt5tupleIJNSF_6TensorESK_SK_EERKSK_lbbbEUlllE0_EEPmJS9_EEE10hipError_tPvRmT3_T4_T5_T6_T7_T9_mT8_P12ihipStream_tbDpT10_ENKUlT_T0_E_clISt17integral_constantIbLb0EES1A_EEDaS15_S16_EUlS15_E_NS1_11comp_targetILNS1_3genE10ELNS1_11target_archE1200ELNS1_3gpuE4ELNS1_3repE0EEENS1_30default_config_static_selectorELNS0_4arch9wavefront6targetE1EEEvT1_, .Lfunc_end1711-_ZN7rocprim17ROCPRIM_400000_NS6detail17trampoline_kernelINS0_14default_configENS1_25partition_config_selectorILNS1_17partition_subalgoE9EllbEEZZNS1_14partition_implILS5_9ELb0ES3_jPlS8_PNS0_10empty_typeENS0_5tupleIJS8_S9_EEENSB_IJS8_SA_EEENS0_18inequality_wrapperIZN2at6native12_GLOBAL__N_124unique_dim_cuda_templateImEESt5tupleIJNSF_6TensorESK_SK_EERKSK_lbbbEUlllE0_EEPmJS9_EEE10hipError_tPvRmT3_T4_T5_T6_T7_T9_mT8_P12ihipStream_tbDpT10_ENKUlT_T0_E_clISt17integral_constantIbLb0EES1A_EEDaS15_S16_EUlS15_E_NS1_11comp_targetILNS1_3genE10ELNS1_11target_archE1200ELNS1_3gpuE4ELNS1_3repE0EEENS1_30default_config_static_selectorELNS0_4arch9wavefront6targetE1EEEvT1_
                                        ; -- End function
	.section	.AMDGPU.csdata,"",@progbits
; Kernel info:
; codeLenInByte = 0
; NumSgprs: 6
; NumVgprs: 0
; NumAgprs: 0
; TotalNumVgprs: 0
; ScratchSize: 0
; MemoryBound: 0
; FloatMode: 240
; IeeeMode: 1
; LDSByteSize: 0 bytes/workgroup (compile time only)
; SGPRBlocks: 0
; VGPRBlocks: 0
; NumSGPRsForWavesPerEU: 6
; NumVGPRsForWavesPerEU: 1
; AccumOffset: 4
; Occupancy: 8
; WaveLimiterHint : 0
; COMPUTE_PGM_RSRC2:SCRATCH_EN: 0
; COMPUTE_PGM_RSRC2:USER_SGPR: 2
; COMPUTE_PGM_RSRC2:TRAP_HANDLER: 0
; COMPUTE_PGM_RSRC2:TGID_X_EN: 1
; COMPUTE_PGM_RSRC2:TGID_Y_EN: 0
; COMPUTE_PGM_RSRC2:TGID_Z_EN: 0
; COMPUTE_PGM_RSRC2:TIDIG_COMP_CNT: 0
; COMPUTE_PGM_RSRC3_GFX90A:ACCUM_OFFSET: 0
; COMPUTE_PGM_RSRC3_GFX90A:TG_SPLIT: 0
	.section	.text._ZN7rocprim17ROCPRIM_400000_NS6detail17trampoline_kernelINS0_14default_configENS1_25partition_config_selectorILNS1_17partition_subalgoE9EllbEEZZNS1_14partition_implILS5_9ELb0ES3_jPlS8_PNS0_10empty_typeENS0_5tupleIJS8_S9_EEENSB_IJS8_SA_EEENS0_18inequality_wrapperIZN2at6native12_GLOBAL__N_124unique_dim_cuda_templateImEESt5tupleIJNSF_6TensorESK_SK_EERKSK_lbbbEUlllE0_EEPmJS9_EEE10hipError_tPvRmT3_T4_T5_T6_T7_T9_mT8_P12ihipStream_tbDpT10_ENKUlT_T0_E_clISt17integral_constantIbLb0EES1A_EEDaS15_S16_EUlS15_E_NS1_11comp_targetILNS1_3genE9ELNS1_11target_archE1100ELNS1_3gpuE3ELNS1_3repE0EEENS1_30default_config_static_selectorELNS0_4arch9wavefront6targetE1EEEvT1_,"axG",@progbits,_ZN7rocprim17ROCPRIM_400000_NS6detail17trampoline_kernelINS0_14default_configENS1_25partition_config_selectorILNS1_17partition_subalgoE9EllbEEZZNS1_14partition_implILS5_9ELb0ES3_jPlS8_PNS0_10empty_typeENS0_5tupleIJS8_S9_EEENSB_IJS8_SA_EEENS0_18inequality_wrapperIZN2at6native12_GLOBAL__N_124unique_dim_cuda_templateImEESt5tupleIJNSF_6TensorESK_SK_EERKSK_lbbbEUlllE0_EEPmJS9_EEE10hipError_tPvRmT3_T4_T5_T6_T7_T9_mT8_P12ihipStream_tbDpT10_ENKUlT_T0_E_clISt17integral_constantIbLb0EES1A_EEDaS15_S16_EUlS15_E_NS1_11comp_targetILNS1_3genE9ELNS1_11target_archE1100ELNS1_3gpuE3ELNS1_3repE0EEENS1_30default_config_static_selectorELNS0_4arch9wavefront6targetE1EEEvT1_,comdat
	.globl	_ZN7rocprim17ROCPRIM_400000_NS6detail17trampoline_kernelINS0_14default_configENS1_25partition_config_selectorILNS1_17partition_subalgoE9EllbEEZZNS1_14partition_implILS5_9ELb0ES3_jPlS8_PNS0_10empty_typeENS0_5tupleIJS8_S9_EEENSB_IJS8_SA_EEENS0_18inequality_wrapperIZN2at6native12_GLOBAL__N_124unique_dim_cuda_templateImEESt5tupleIJNSF_6TensorESK_SK_EERKSK_lbbbEUlllE0_EEPmJS9_EEE10hipError_tPvRmT3_T4_T5_T6_T7_T9_mT8_P12ihipStream_tbDpT10_ENKUlT_T0_E_clISt17integral_constantIbLb0EES1A_EEDaS15_S16_EUlS15_E_NS1_11comp_targetILNS1_3genE9ELNS1_11target_archE1100ELNS1_3gpuE3ELNS1_3repE0EEENS1_30default_config_static_selectorELNS0_4arch9wavefront6targetE1EEEvT1_ ; -- Begin function _ZN7rocprim17ROCPRIM_400000_NS6detail17trampoline_kernelINS0_14default_configENS1_25partition_config_selectorILNS1_17partition_subalgoE9EllbEEZZNS1_14partition_implILS5_9ELb0ES3_jPlS8_PNS0_10empty_typeENS0_5tupleIJS8_S9_EEENSB_IJS8_SA_EEENS0_18inequality_wrapperIZN2at6native12_GLOBAL__N_124unique_dim_cuda_templateImEESt5tupleIJNSF_6TensorESK_SK_EERKSK_lbbbEUlllE0_EEPmJS9_EEE10hipError_tPvRmT3_T4_T5_T6_T7_T9_mT8_P12ihipStream_tbDpT10_ENKUlT_T0_E_clISt17integral_constantIbLb0EES1A_EEDaS15_S16_EUlS15_E_NS1_11comp_targetILNS1_3genE9ELNS1_11target_archE1100ELNS1_3gpuE3ELNS1_3repE0EEENS1_30default_config_static_selectorELNS0_4arch9wavefront6targetE1EEEvT1_
	.p2align	8
	.type	_ZN7rocprim17ROCPRIM_400000_NS6detail17trampoline_kernelINS0_14default_configENS1_25partition_config_selectorILNS1_17partition_subalgoE9EllbEEZZNS1_14partition_implILS5_9ELb0ES3_jPlS8_PNS0_10empty_typeENS0_5tupleIJS8_S9_EEENSB_IJS8_SA_EEENS0_18inequality_wrapperIZN2at6native12_GLOBAL__N_124unique_dim_cuda_templateImEESt5tupleIJNSF_6TensorESK_SK_EERKSK_lbbbEUlllE0_EEPmJS9_EEE10hipError_tPvRmT3_T4_T5_T6_T7_T9_mT8_P12ihipStream_tbDpT10_ENKUlT_T0_E_clISt17integral_constantIbLb0EES1A_EEDaS15_S16_EUlS15_E_NS1_11comp_targetILNS1_3genE9ELNS1_11target_archE1100ELNS1_3gpuE3ELNS1_3repE0EEENS1_30default_config_static_selectorELNS0_4arch9wavefront6targetE1EEEvT1_,@function
_ZN7rocprim17ROCPRIM_400000_NS6detail17trampoline_kernelINS0_14default_configENS1_25partition_config_selectorILNS1_17partition_subalgoE9EllbEEZZNS1_14partition_implILS5_9ELb0ES3_jPlS8_PNS0_10empty_typeENS0_5tupleIJS8_S9_EEENSB_IJS8_SA_EEENS0_18inequality_wrapperIZN2at6native12_GLOBAL__N_124unique_dim_cuda_templateImEESt5tupleIJNSF_6TensorESK_SK_EERKSK_lbbbEUlllE0_EEPmJS9_EEE10hipError_tPvRmT3_T4_T5_T6_T7_T9_mT8_P12ihipStream_tbDpT10_ENKUlT_T0_E_clISt17integral_constantIbLb0EES1A_EEDaS15_S16_EUlS15_E_NS1_11comp_targetILNS1_3genE9ELNS1_11target_archE1100ELNS1_3gpuE3ELNS1_3repE0EEENS1_30default_config_static_selectorELNS0_4arch9wavefront6targetE1EEEvT1_: ; @_ZN7rocprim17ROCPRIM_400000_NS6detail17trampoline_kernelINS0_14default_configENS1_25partition_config_selectorILNS1_17partition_subalgoE9EllbEEZZNS1_14partition_implILS5_9ELb0ES3_jPlS8_PNS0_10empty_typeENS0_5tupleIJS8_S9_EEENSB_IJS8_SA_EEENS0_18inequality_wrapperIZN2at6native12_GLOBAL__N_124unique_dim_cuda_templateImEESt5tupleIJNSF_6TensorESK_SK_EERKSK_lbbbEUlllE0_EEPmJS9_EEE10hipError_tPvRmT3_T4_T5_T6_T7_T9_mT8_P12ihipStream_tbDpT10_ENKUlT_T0_E_clISt17integral_constantIbLb0EES1A_EEDaS15_S16_EUlS15_E_NS1_11comp_targetILNS1_3genE9ELNS1_11target_archE1100ELNS1_3gpuE3ELNS1_3repE0EEENS1_30default_config_static_selectorELNS0_4arch9wavefront6targetE1EEEvT1_
; %bb.0:
	.section	.rodata,"a",@progbits
	.p2align	6, 0x0
	.amdhsa_kernel _ZN7rocprim17ROCPRIM_400000_NS6detail17trampoline_kernelINS0_14default_configENS1_25partition_config_selectorILNS1_17partition_subalgoE9EllbEEZZNS1_14partition_implILS5_9ELb0ES3_jPlS8_PNS0_10empty_typeENS0_5tupleIJS8_S9_EEENSB_IJS8_SA_EEENS0_18inequality_wrapperIZN2at6native12_GLOBAL__N_124unique_dim_cuda_templateImEESt5tupleIJNSF_6TensorESK_SK_EERKSK_lbbbEUlllE0_EEPmJS9_EEE10hipError_tPvRmT3_T4_T5_T6_T7_T9_mT8_P12ihipStream_tbDpT10_ENKUlT_T0_E_clISt17integral_constantIbLb0EES1A_EEDaS15_S16_EUlS15_E_NS1_11comp_targetILNS1_3genE9ELNS1_11target_archE1100ELNS1_3gpuE3ELNS1_3repE0EEENS1_30default_config_static_selectorELNS0_4arch9wavefront6targetE1EEEvT1_
		.amdhsa_group_segment_fixed_size 0
		.amdhsa_private_segment_fixed_size 0
		.amdhsa_kernarg_size 120
		.amdhsa_user_sgpr_count 2
		.amdhsa_user_sgpr_dispatch_ptr 0
		.amdhsa_user_sgpr_queue_ptr 0
		.amdhsa_user_sgpr_kernarg_segment_ptr 1
		.amdhsa_user_sgpr_dispatch_id 0
		.amdhsa_user_sgpr_kernarg_preload_length 0
		.amdhsa_user_sgpr_kernarg_preload_offset 0
		.amdhsa_user_sgpr_private_segment_size 0
		.amdhsa_uses_dynamic_stack 0
		.amdhsa_enable_private_segment 0
		.amdhsa_system_sgpr_workgroup_id_x 1
		.amdhsa_system_sgpr_workgroup_id_y 0
		.amdhsa_system_sgpr_workgroup_id_z 0
		.amdhsa_system_sgpr_workgroup_info 0
		.amdhsa_system_vgpr_workitem_id 0
		.amdhsa_next_free_vgpr 1
		.amdhsa_next_free_sgpr 0
		.amdhsa_accum_offset 4
		.amdhsa_reserve_vcc 0
		.amdhsa_float_round_mode_32 0
		.amdhsa_float_round_mode_16_64 0
		.amdhsa_float_denorm_mode_32 3
		.amdhsa_float_denorm_mode_16_64 3
		.amdhsa_dx10_clamp 1
		.amdhsa_ieee_mode 1
		.amdhsa_fp16_overflow 0
		.amdhsa_tg_split 0
		.amdhsa_exception_fp_ieee_invalid_op 0
		.amdhsa_exception_fp_denorm_src 0
		.amdhsa_exception_fp_ieee_div_zero 0
		.amdhsa_exception_fp_ieee_overflow 0
		.amdhsa_exception_fp_ieee_underflow 0
		.amdhsa_exception_fp_ieee_inexact 0
		.amdhsa_exception_int_div_zero 0
	.end_amdhsa_kernel
	.section	.text._ZN7rocprim17ROCPRIM_400000_NS6detail17trampoline_kernelINS0_14default_configENS1_25partition_config_selectorILNS1_17partition_subalgoE9EllbEEZZNS1_14partition_implILS5_9ELb0ES3_jPlS8_PNS0_10empty_typeENS0_5tupleIJS8_S9_EEENSB_IJS8_SA_EEENS0_18inequality_wrapperIZN2at6native12_GLOBAL__N_124unique_dim_cuda_templateImEESt5tupleIJNSF_6TensorESK_SK_EERKSK_lbbbEUlllE0_EEPmJS9_EEE10hipError_tPvRmT3_T4_T5_T6_T7_T9_mT8_P12ihipStream_tbDpT10_ENKUlT_T0_E_clISt17integral_constantIbLb0EES1A_EEDaS15_S16_EUlS15_E_NS1_11comp_targetILNS1_3genE9ELNS1_11target_archE1100ELNS1_3gpuE3ELNS1_3repE0EEENS1_30default_config_static_selectorELNS0_4arch9wavefront6targetE1EEEvT1_,"axG",@progbits,_ZN7rocprim17ROCPRIM_400000_NS6detail17trampoline_kernelINS0_14default_configENS1_25partition_config_selectorILNS1_17partition_subalgoE9EllbEEZZNS1_14partition_implILS5_9ELb0ES3_jPlS8_PNS0_10empty_typeENS0_5tupleIJS8_S9_EEENSB_IJS8_SA_EEENS0_18inequality_wrapperIZN2at6native12_GLOBAL__N_124unique_dim_cuda_templateImEESt5tupleIJNSF_6TensorESK_SK_EERKSK_lbbbEUlllE0_EEPmJS9_EEE10hipError_tPvRmT3_T4_T5_T6_T7_T9_mT8_P12ihipStream_tbDpT10_ENKUlT_T0_E_clISt17integral_constantIbLb0EES1A_EEDaS15_S16_EUlS15_E_NS1_11comp_targetILNS1_3genE9ELNS1_11target_archE1100ELNS1_3gpuE3ELNS1_3repE0EEENS1_30default_config_static_selectorELNS0_4arch9wavefront6targetE1EEEvT1_,comdat
.Lfunc_end1712:
	.size	_ZN7rocprim17ROCPRIM_400000_NS6detail17trampoline_kernelINS0_14default_configENS1_25partition_config_selectorILNS1_17partition_subalgoE9EllbEEZZNS1_14partition_implILS5_9ELb0ES3_jPlS8_PNS0_10empty_typeENS0_5tupleIJS8_S9_EEENSB_IJS8_SA_EEENS0_18inequality_wrapperIZN2at6native12_GLOBAL__N_124unique_dim_cuda_templateImEESt5tupleIJNSF_6TensorESK_SK_EERKSK_lbbbEUlllE0_EEPmJS9_EEE10hipError_tPvRmT3_T4_T5_T6_T7_T9_mT8_P12ihipStream_tbDpT10_ENKUlT_T0_E_clISt17integral_constantIbLb0EES1A_EEDaS15_S16_EUlS15_E_NS1_11comp_targetILNS1_3genE9ELNS1_11target_archE1100ELNS1_3gpuE3ELNS1_3repE0EEENS1_30default_config_static_selectorELNS0_4arch9wavefront6targetE1EEEvT1_, .Lfunc_end1712-_ZN7rocprim17ROCPRIM_400000_NS6detail17trampoline_kernelINS0_14default_configENS1_25partition_config_selectorILNS1_17partition_subalgoE9EllbEEZZNS1_14partition_implILS5_9ELb0ES3_jPlS8_PNS0_10empty_typeENS0_5tupleIJS8_S9_EEENSB_IJS8_SA_EEENS0_18inequality_wrapperIZN2at6native12_GLOBAL__N_124unique_dim_cuda_templateImEESt5tupleIJNSF_6TensorESK_SK_EERKSK_lbbbEUlllE0_EEPmJS9_EEE10hipError_tPvRmT3_T4_T5_T6_T7_T9_mT8_P12ihipStream_tbDpT10_ENKUlT_T0_E_clISt17integral_constantIbLb0EES1A_EEDaS15_S16_EUlS15_E_NS1_11comp_targetILNS1_3genE9ELNS1_11target_archE1100ELNS1_3gpuE3ELNS1_3repE0EEENS1_30default_config_static_selectorELNS0_4arch9wavefront6targetE1EEEvT1_
                                        ; -- End function
	.section	.AMDGPU.csdata,"",@progbits
; Kernel info:
; codeLenInByte = 0
; NumSgprs: 6
; NumVgprs: 0
; NumAgprs: 0
; TotalNumVgprs: 0
; ScratchSize: 0
; MemoryBound: 0
; FloatMode: 240
; IeeeMode: 1
; LDSByteSize: 0 bytes/workgroup (compile time only)
; SGPRBlocks: 0
; VGPRBlocks: 0
; NumSGPRsForWavesPerEU: 6
; NumVGPRsForWavesPerEU: 1
; AccumOffset: 4
; Occupancy: 8
; WaveLimiterHint : 0
; COMPUTE_PGM_RSRC2:SCRATCH_EN: 0
; COMPUTE_PGM_RSRC2:USER_SGPR: 2
; COMPUTE_PGM_RSRC2:TRAP_HANDLER: 0
; COMPUTE_PGM_RSRC2:TGID_X_EN: 1
; COMPUTE_PGM_RSRC2:TGID_Y_EN: 0
; COMPUTE_PGM_RSRC2:TGID_Z_EN: 0
; COMPUTE_PGM_RSRC2:TIDIG_COMP_CNT: 0
; COMPUTE_PGM_RSRC3_GFX90A:ACCUM_OFFSET: 0
; COMPUTE_PGM_RSRC3_GFX90A:TG_SPLIT: 0
	.section	.text._ZN7rocprim17ROCPRIM_400000_NS6detail17trampoline_kernelINS0_14default_configENS1_25partition_config_selectorILNS1_17partition_subalgoE9EllbEEZZNS1_14partition_implILS5_9ELb0ES3_jPlS8_PNS0_10empty_typeENS0_5tupleIJS8_S9_EEENSB_IJS8_SA_EEENS0_18inequality_wrapperIZN2at6native12_GLOBAL__N_124unique_dim_cuda_templateImEESt5tupleIJNSF_6TensorESK_SK_EERKSK_lbbbEUlllE0_EEPmJS9_EEE10hipError_tPvRmT3_T4_T5_T6_T7_T9_mT8_P12ihipStream_tbDpT10_ENKUlT_T0_E_clISt17integral_constantIbLb0EES1A_EEDaS15_S16_EUlS15_E_NS1_11comp_targetILNS1_3genE8ELNS1_11target_archE1030ELNS1_3gpuE2ELNS1_3repE0EEENS1_30default_config_static_selectorELNS0_4arch9wavefront6targetE1EEEvT1_,"axG",@progbits,_ZN7rocprim17ROCPRIM_400000_NS6detail17trampoline_kernelINS0_14default_configENS1_25partition_config_selectorILNS1_17partition_subalgoE9EllbEEZZNS1_14partition_implILS5_9ELb0ES3_jPlS8_PNS0_10empty_typeENS0_5tupleIJS8_S9_EEENSB_IJS8_SA_EEENS0_18inequality_wrapperIZN2at6native12_GLOBAL__N_124unique_dim_cuda_templateImEESt5tupleIJNSF_6TensorESK_SK_EERKSK_lbbbEUlllE0_EEPmJS9_EEE10hipError_tPvRmT3_T4_T5_T6_T7_T9_mT8_P12ihipStream_tbDpT10_ENKUlT_T0_E_clISt17integral_constantIbLb0EES1A_EEDaS15_S16_EUlS15_E_NS1_11comp_targetILNS1_3genE8ELNS1_11target_archE1030ELNS1_3gpuE2ELNS1_3repE0EEENS1_30default_config_static_selectorELNS0_4arch9wavefront6targetE1EEEvT1_,comdat
	.globl	_ZN7rocprim17ROCPRIM_400000_NS6detail17trampoline_kernelINS0_14default_configENS1_25partition_config_selectorILNS1_17partition_subalgoE9EllbEEZZNS1_14partition_implILS5_9ELb0ES3_jPlS8_PNS0_10empty_typeENS0_5tupleIJS8_S9_EEENSB_IJS8_SA_EEENS0_18inequality_wrapperIZN2at6native12_GLOBAL__N_124unique_dim_cuda_templateImEESt5tupleIJNSF_6TensorESK_SK_EERKSK_lbbbEUlllE0_EEPmJS9_EEE10hipError_tPvRmT3_T4_T5_T6_T7_T9_mT8_P12ihipStream_tbDpT10_ENKUlT_T0_E_clISt17integral_constantIbLb0EES1A_EEDaS15_S16_EUlS15_E_NS1_11comp_targetILNS1_3genE8ELNS1_11target_archE1030ELNS1_3gpuE2ELNS1_3repE0EEENS1_30default_config_static_selectorELNS0_4arch9wavefront6targetE1EEEvT1_ ; -- Begin function _ZN7rocprim17ROCPRIM_400000_NS6detail17trampoline_kernelINS0_14default_configENS1_25partition_config_selectorILNS1_17partition_subalgoE9EllbEEZZNS1_14partition_implILS5_9ELb0ES3_jPlS8_PNS0_10empty_typeENS0_5tupleIJS8_S9_EEENSB_IJS8_SA_EEENS0_18inequality_wrapperIZN2at6native12_GLOBAL__N_124unique_dim_cuda_templateImEESt5tupleIJNSF_6TensorESK_SK_EERKSK_lbbbEUlllE0_EEPmJS9_EEE10hipError_tPvRmT3_T4_T5_T6_T7_T9_mT8_P12ihipStream_tbDpT10_ENKUlT_T0_E_clISt17integral_constantIbLb0EES1A_EEDaS15_S16_EUlS15_E_NS1_11comp_targetILNS1_3genE8ELNS1_11target_archE1030ELNS1_3gpuE2ELNS1_3repE0EEENS1_30default_config_static_selectorELNS0_4arch9wavefront6targetE1EEEvT1_
	.p2align	8
	.type	_ZN7rocprim17ROCPRIM_400000_NS6detail17trampoline_kernelINS0_14default_configENS1_25partition_config_selectorILNS1_17partition_subalgoE9EllbEEZZNS1_14partition_implILS5_9ELb0ES3_jPlS8_PNS0_10empty_typeENS0_5tupleIJS8_S9_EEENSB_IJS8_SA_EEENS0_18inequality_wrapperIZN2at6native12_GLOBAL__N_124unique_dim_cuda_templateImEESt5tupleIJNSF_6TensorESK_SK_EERKSK_lbbbEUlllE0_EEPmJS9_EEE10hipError_tPvRmT3_T4_T5_T6_T7_T9_mT8_P12ihipStream_tbDpT10_ENKUlT_T0_E_clISt17integral_constantIbLb0EES1A_EEDaS15_S16_EUlS15_E_NS1_11comp_targetILNS1_3genE8ELNS1_11target_archE1030ELNS1_3gpuE2ELNS1_3repE0EEENS1_30default_config_static_selectorELNS0_4arch9wavefront6targetE1EEEvT1_,@function
_ZN7rocprim17ROCPRIM_400000_NS6detail17trampoline_kernelINS0_14default_configENS1_25partition_config_selectorILNS1_17partition_subalgoE9EllbEEZZNS1_14partition_implILS5_9ELb0ES3_jPlS8_PNS0_10empty_typeENS0_5tupleIJS8_S9_EEENSB_IJS8_SA_EEENS0_18inequality_wrapperIZN2at6native12_GLOBAL__N_124unique_dim_cuda_templateImEESt5tupleIJNSF_6TensorESK_SK_EERKSK_lbbbEUlllE0_EEPmJS9_EEE10hipError_tPvRmT3_T4_T5_T6_T7_T9_mT8_P12ihipStream_tbDpT10_ENKUlT_T0_E_clISt17integral_constantIbLb0EES1A_EEDaS15_S16_EUlS15_E_NS1_11comp_targetILNS1_3genE8ELNS1_11target_archE1030ELNS1_3gpuE2ELNS1_3repE0EEENS1_30default_config_static_selectorELNS0_4arch9wavefront6targetE1EEEvT1_: ; @_ZN7rocprim17ROCPRIM_400000_NS6detail17trampoline_kernelINS0_14default_configENS1_25partition_config_selectorILNS1_17partition_subalgoE9EllbEEZZNS1_14partition_implILS5_9ELb0ES3_jPlS8_PNS0_10empty_typeENS0_5tupleIJS8_S9_EEENSB_IJS8_SA_EEENS0_18inequality_wrapperIZN2at6native12_GLOBAL__N_124unique_dim_cuda_templateImEESt5tupleIJNSF_6TensorESK_SK_EERKSK_lbbbEUlllE0_EEPmJS9_EEE10hipError_tPvRmT3_T4_T5_T6_T7_T9_mT8_P12ihipStream_tbDpT10_ENKUlT_T0_E_clISt17integral_constantIbLb0EES1A_EEDaS15_S16_EUlS15_E_NS1_11comp_targetILNS1_3genE8ELNS1_11target_archE1030ELNS1_3gpuE2ELNS1_3repE0EEENS1_30default_config_static_selectorELNS0_4arch9wavefront6targetE1EEEvT1_
; %bb.0:
	.section	.rodata,"a",@progbits
	.p2align	6, 0x0
	.amdhsa_kernel _ZN7rocprim17ROCPRIM_400000_NS6detail17trampoline_kernelINS0_14default_configENS1_25partition_config_selectorILNS1_17partition_subalgoE9EllbEEZZNS1_14partition_implILS5_9ELb0ES3_jPlS8_PNS0_10empty_typeENS0_5tupleIJS8_S9_EEENSB_IJS8_SA_EEENS0_18inequality_wrapperIZN2at6native12_GLOBAL__N_124unique_dim_cuda_templateImEESt5tupleIJNSF_6TensorESK_SK_EERKSK_lbbbEUlllE0_EEPmJS9_EEE10hipError_tPvRmT3_T4_T5_T6_T7_T9_mT8_P12ihipStream_tbDpT10_ENKUlT_T0_E_clISt17integral_constantIbLb0EES1A_EEDaS15_S16_EUlS15_E_NS1_11comp_targetILNS1_3genE8ELNS1_11target_archE1030ELNS1_3gpuE2ELNS1_3repE0EEENS1_30default_config_static_selectorELNS0_4arch9wavefront6targetE1EEEvT1_
		.amdhsa_group_segment_fixed_size 0
		.amdhsa_private_segment_fixed_size 0
		.amdhsa_kernarg_size 120
		.amdhsa_user_sgpr_count 2
		.amdhsa_user_sgpr_dispatch_ptr 0
		.amdhsa_user_sgpr_queue_ptr 0
		.amdhsa_user_sgpr_kernarg_segment_ptr 1
		.amdhsa_user_sgpr_dispatch_id 0
		.amdhsa_user_sgpr_kernarg_preload_length 0
		.amdhsa_user_sgpr_kernarg_preload_offset 0
		.amdhsa_user_sgpr_private_segment_size 0
		.amdhsa_uses_dynamic_stack 0
		.amdhsa_enable_private_segment 0
		.amdhsa_system_sgpr_workgroup_id_x 1
		.amdhsa_system_sgpr_workgroup_id_y 0
		.amdhsa_system_sgpr_workgroup_id_z 0
		.amdhsa_system_sgpr_workgroup_info 0
		.amdhsa_system_vgpr_workitem_id 0
		.amdhsa_next_free_vgpr 1
		.amdhsa_next_free_sgpr 0
		.amdhsa_accum_offset 4
		.amdhsa_reserve_vcc 0
		.amdhsa_float_round_mode_32 0
		.amdhsa_float_round_mode_16_64 0
		.amdhsa_float_denorm_mode_32 3
		.amdhsa_float_denorm_mode_16_64 3
		.amdhsa_dx10_clamp 1
		.amdhsa_ieee_mode 1
		.amdhsa_fp16_overflow 0
		.amdhsa_tg_split 0
		.amdhsa_exception_fp_ieee_invalid_op 0
		.amdhsa_exception_fp_denorm_src 0
		.amdhsa_exception_fp_ieee_div_zero 0
		.amdhsa_exception_fp_ieee_overflow 0
		.amdhsa_exception_fp_ieee_underflow 0
		.amdhsa_exception_fp_ieee_inexact 0
		.amdhsa_exception_int_div_zero 0
	.end_amdhsa_kernel
	.section	.text._ZN7rocprim17ROCPRIM_400000_NS6detail17trampoline_kernelINS0_14default_configENS1_25partition_config_selectorILNS1_17partition_subalgoE9EllbEEZZNS1_14partition_implILS5_9ELb0ES3_jPlS8_PNS0_10empty_typeENS0_5tupleIJS8_S9_EEENSB_IJS8_SA_EEENS0_18inequality_wrapperIZN2at6native12_GLOBAL__N_124unique_dim_cuda_templateImEESt5tupleIJNSF_6TensorESK_SK_EERKSK_lbbbEUlllE0_EEPmJS9_EEE10hipError_tPvRmT3_T4_T5_T6_T7_T9_mT8_P12ihipStream_tbDpT10_ENKUlT_T0_E_clISt17integral_constantIbLb0EES1A_EEDaS15_S16_EUlS15_E_NS1_11comp_targetILNS1_3genE8ELNS1_11target_archE1030ELNS1_3gpuE2ELNS1_3repE0EEENS1_30default_config_static_selectorELNS0_4arch9wavefront6targetE1EEEvT1_,"axG",@progbits,_ZN7rocprim17ROCPRIM_400000_NS6detail17trampoline_kernelINS0_14default_configENS1_25partition_config_selectorILNS1_17partition_subalgoE9EllbEEZZNS1_14partition_implILS5_9ELb0ES3_jPlS8_PNS0_10empty_typeENS0_5tupleIJS8_S9_EEENSB_IJS8_SA_EEENS0_18inequality_wrapperIZN2at6native12_GLOBAL__N_124unique_dim_cuda_templateImEESt5tupleIJNSF_6TensorESK_SK_EERKSK_lbbbEUlllE0_EEPmJS9_EEE10hipError_tPvRmT3_T4_T5_T6_T7_T9_mT8_P12ihipStream_tbDpT10_ENKUlT_T0_E_clISt17integral_constantIbLb0EES1A_EEDaS15_S16_EUlS15_E_NS1_11comp_targetILNS1_3genE8ELNS1_11target_archE1030ELNS1_3gpuE2ELNS1_3repE0EEENS1_30default_config_static_selectorELNS0_4arch9wavefront6targetE1EEEvT1_,comdat
.Lfunc_end1713:
	.size	_ZN7rocprim17ROCPRIM_400000_NS6detail17trampoline_kernelINS0_14default_configENS1_25partition_config_selectorILNS1_17partition_subalgoE9EllbEEZZNS1_14partition_implILS5_9ELb0ES3_jPlS8_PNS0_10empty_typeENS0_5tupleIJS8_S9_EEENSB_IJS8_SA_EEENS0_18inequality_wrapperIZN2at6native12_GLOBAL__N_124unique_dim_cuda_templateImEESt5tupleIJNSF_6TensorESK_SK_EERKSK_lbbbEUlllE0_EEPmJS9_EEE10hipError_tPvRmT3_T4_T5_T6_T7_T9_mT8_P12ihipStream_tbDpT10_ENKUlT_T0_E_clISt17integral_constantIbLb0EES1A_EEDaS15_S16_EUlS15_E_NS1_11comp_targetILNS1_3genE8ELNS1_11target_archE1030ELNS1_3gpuE2ELNS1_3repE0EEENS1_30default_config_static_selectorELNS0_4arch9wavefront6targetE1EEEvT1_, .Lfunc_end1713-_ZN7rocprim17ROCPRIM_400000_NS6detail17trampoline_kernelINS0_14default_configENS1_25partition_config_selectorILNS1_17partition_subalgoE9EllbEEZZNS1_14partition_implILS5_9ELb0ES3_jPlS8_PNS0_10empty_typeENS0_5tupleIJS8_S9_EEENSB_IJS8_SA_EEENS0_18inequality_wrapperIZN2at6native12_GLOBAL__N_124unique_dim_cuda_templateImEESt5tupleIJNSF_6TensorESK_SK_EERKSK_lbbbEUlllE0_EEPmJS9_EEE10hipError_tPvRmT3_T4_T5_T6_T7_T9_mT8_P12ihipStream_tbDpT10_ENKUlT_T0_E_clISt17integral_constantIbLb0EES1A_EEDaS15_S16_EUlS15_E_NS1_11comp_targetILNS1_3genE8ELNS1_11target_archE1030ELNS1_3gpuE2ELNS1_3repE0EEENS1_30default_config_static_selectorELNS0_4arch9wavefront6targetE1EEEvT1_
                                        ; -- End function
	.section	.AMDGPU.csdata,"",@progbits
; Kernel info:
; codeLenInByte = 0
; NumSgprs: 6
; NumVgprs: 0
; NumAgprs: 0
; TotalNumVgprs: 0
; ScratchSize: 0
; MemoryBound: 0
; FloatMode: 240
; IeeeMode: 1
; LDSByteSize: 0 bytes/workgroup (compile time only)
; SGPRBlocks: 0
; VGPRBlocks: 0
; NumSGPRsForWavesPerEU: 6
; NumVGPRsForWavesPerEU: 1
; AccumOffset: 4
; Occupancy: 8
; WaveLimiterHint : 0
; COMPUTE_PGM_RSRC2:SCRATCH_EN: 0
; COMPUTE_PGM_RSRC2:USER_SGPR: 2
; COMPUTE_PGM_RSRC2:TRAP_HANDLER: 0
; COMPUTE_PGM_RSRC2:TGID_X_EN: 1
; COMPUTE_PGM_RSRC2:TGID_Y_EN: 0
; COMPUTE_PGM_RSRC2:TGID_Z_EN: 0
; COMPUTE_PGM_RSRC2:TIDIG_COMP_CNT: 0
; COMPUTE_PGM_RSRC3_GFX90A:ACCUM_OFFSET: 0
; COMPUTE_PGM_RSRC3_GFX90A:TG_SPLIT: 0
	.section	.text._ZN7rocprim17ROCPRIM_400000_NS6detail17trampoline_kernelINS0_14default_configENS1_25partition_config_selectorILNS1_17partition_subalgoE9EllbEEZZNS1_14partition_implILS5_9ELb0ES3_jPlS8_PNS0_10empty_typeENS0_5tupleIJS8_S9_EEENSB_IJS8_SA_EEENS0_18inequality_wrapperIZN2at6native12_GLOBAL__N_124unique_dim_cuda_templateImEESt5tupleIJNSF_6TensorESK_SK_EERKSK_lbbbEUlllE0_EEPmJS9_EEE10hipError_tPvRmT3_T4_T5_T6_T7_T9_mT8_P12ihipStream_tbDpT10_ENKUlT_T0_E_clISt17integral_constantIbLb1EES1A_EEDaS15_S16_EUlS15_E_NS1_11comp_targetILNS1_3genE0ELNS1_11target_archE4294967295ELNS1_3gpuE0ELNS1_3repE0EEENS1_30default_config_static_selectorELNS0_4arch9wavefront6targetE1EEEvT1_,"axG",@progbits,_ZN7rocprim17ROCPRIM_400000_NS6detail17trampoline_kernelINS0_14default_configENS1_25partition_config_selectorILNS1_17partition_subalgoE9EllbEEZZNS1_14partition_implILS5_9ELb0ES3_jPlS8_PNS0_10empty_typeENS0_5tupleIJS8_S9_EEENSB_IJS8_SA_EEENS0_18inequality_wrapperIZN2at6native12_GLOBAL__N_124unique_dim_cuda_templateImEESt5tupleIJNSF_6TensorESK_SK_EERKSK_lbbbEUlllE0_EEPmJS9_EEE10hipError_tPvRmT3_T4_T5_T6_T7_T9_mT8_P12ihipStream_tbDpT10_ENKUlT_T0_E_clISt17integral_constantIbLb1EES1A_EEDaS15_S16_EUlS15_E_NS1_11comp_targetILNS1_3genE0ELNS1_11target_archE4294967295ELNS1_3gpuE0ELNS1_3repE0EEENS1_30default_config_static_selectorELNS0_4arch9wavefront6targetE1EEEvT1_,comdat
	.globl	_ZN7rocprim17ROCPRIM_400000_NS6detail17trampoline_kernelINS0_14default_configENS1_25partition_config_selectorILNS1_17partition_subalgoE9EllbEEZZNS1_14partition_implILS5_9ELb0ES3_jPlS8_PNS0_10empty_typeENS0_5tupleIJS8_S9_EEENSB_IJS8_SA_EEENS0_18inequality_wrapperIZN2at6native12_GLOBAL__N_124unique_dim_cuda_templateImEESt5tupleIJNSF_6TensorESK_SK_EERKSK_lbbbEUlllE0_EEPmJS9_EEE10hipError_tPvRmT3_T4_T5_T6_T7_T9_mT8_P12ihipStream_tbDpT10_ENKUlT_T0_E_clISt17integral_constantIbLb1EES1A_EEDaS15_S16_EUlS15_E_NS1_11comp_targetILNS1_3genE0ELNS1_11target_archE4294967295ELNS1_3gpuE0ELNS1_3repE0EEENS1_30default_config_static_selectorELNS0_4arch9wavefront6targetE1EEEvT1_ ; -- Begin function _ZN7rocprim17ROCPRIM_400000_NS6detail17trampoline_kernelINS0_14default_configENS1_25partition_config_selectorILNS1_17partition_subalgoE9EllbEEZZNS1_14partition_implILS5_9ELb0ES3_jPlS8_PNS0_10empty_typeENS0_5tupleIJS8_S9_EEENSB_IJS8_SA_EEENS0_18inequality_wrapperIZN2at6native12_GLOBAL__N_124unique_dim_cuda_templateImEESt5tupleIJNSF_6TensorESK_SK_EERKSK_lbbbEUlllE0_EEPmJS9_EEE10hipError_tPvRmT3_T4_T5_T6_T7_T9_mT8_P12ihipStream_tbDpT10_ENKUlT_T0_E_clISt17integral_constantIbLb1EES1A_EEDaS15_S16_EUlS15_E_NS1_11comp_targetILNS1_3genE0ELNS1_11target_archE4294967295ELNS1_3gpuE0ELNS1_3repE0EEENS1_30default_config_static_selectorELNS0_4arch9wavefront6targetE1EEEvT1_
	.p2align	8
	.type	_ZN7rocprim17ROCPRIM_400000_NS6detail17trampoline_kernelINS0_14default_configENS1_25partition_config_selectorILNS1_17partition_subalgoE9EllbEEZZNS1_14partition_implILS5_9ELb0ES3_jPlS8_PNS0_10empty_typeENS0_5tupleIJS8_S9_EEENSB_IJS8_SA_EEENS0_18inequality_wrapperIZN2at6native12_GLOBAL__N_124unique_dim_cuda_templateImEESt5tupleIJNSF_6TensorESK_SK_EERKSK_lbbbEUlllE0_EEPmJS9_EEE10hipError_tPvRmT3_T4_T5_T6_T7_T9_mT8_P12ihipStream_tbDpT10_ENKUlT_T0_E_clISt17integral_constantIbLb1EES1A_EEDaS15_S16_EUlS15_E_NS1_11comp_targetILNS1_3genE0ELNS1_11target_archE4294967295ELNS1_3gpuE0ELNS1_3repE0EEENS1_30default_config_static_selectorELNS0_4arch9wavefront6targetE1EEEvT1_,@function
_ZN7rocprim17ROCPRIM_400000_NS6detail17trampoline_kernelINS0_14default_configENS1_25partition_config_selectorILNS1_17partition_subalgoE9EllbEEZZNS1_14partition_implILS5_9ELb0ES3_jPlS8_PNS0_10empty_typeENS0_5tupleIJS8_S9_EEENSB_IJS8_SA_EEENS0_18inequality_wrapperIZN2at6native12_GLOBAL__N_124unique_dim_cuda_templateImEESt5tupleIJNSF_6TensorESK_SK_EERKSK_lbbbEUlllE0_EEPmJS9_EEE10hipError_tPvRmT3_T4_T5_T6_T7_T9_mT8_P12ihipStream_tbDpT10_ENKUlT_T0_E_clISt17integral_constantIbLb1EES1A_EEDaS15_S16_EUlS15_E_NS1_11comp_targetILNS1_3genE0ELNS1_11target_archE4294967295ELNS1_3gpuE0ELNS1_3repE0EEENS1_30default_config_static_selectorELNS0_4arch9wavefront6targetE1EEEvT1_: ; @_ZN7rocprim17ROCPRIM_400000_NS6detail17trampoline_kernelINS0_14default_configENS1_25partition_config_selectorILNS1_17partition_subalgoE9EllbEEZZNS1_14partition_implILS5_9ELb0ES3_jPlS8_PNS0_10empty_typeENS0_5tupleIJS8_S9_EEENSB_IJS8_SA_EEENS0_18inequality_wrapperIZN2at6native12_GLOBAL__N_124unique_dim_cuda_templateImEESt5tupleIJNSF_6TensorESK_SK_EERKSK_lbbbEUlllE0_EEPmJS9_EEE10hipError_tPvRmT3_T4_T5_T6_T7_T9_mT8_P12ihipStream_tbDpT10_ENKUlT_T0_E_clISt17integral_constantIbLb1EES1A_EEDaS15_S16_EUlS15_E_NS1_11comp_targetILNS1_3genE0ELNS1_11target_archE4294967295ELNS1_3gpuE0ELNS1_3repE0EEENS1_30default_config_static_selectorELNS0_4arch9wavefront6targetE1EEEvT1_
; %bb.0:
	.section	.rodata,"a",@progbits
	.p2align	6, 0x0
	.amdhsa_kernel _ZN7rocprim17ROCPRIM_400000_NS6detail17trampoline_kernelINS0_14default_configENS1_25partition_config_selectorILNS1_17partition_subalgoE9EllbEEZZNS1_14partition_implILS5_9ELb0ES3_jPlS8_PNS0_10empty_typeENS0_5tupleIJS8_S9_EEENSB_IJS8_SA_EEENS0_18inequality_wrapperIZN2at6native12_GLOBAL__N_124unique_dim_cuda_templateImEESt5tupleIJNSF_6TensorESK_SK_EERKSK_lbbbEUlllE0_EEPmJS9_EEE10hipError_tPvRmT3_T4_T5_T6_T7_T9_mT8_P12ihipStream_tbDpT10_ENKUlT_T0_E_clISt17integral_constantIbLb1EES1A_EEDaS15_S16_EUlS15_E_NS1_11comp_targetILNS1_3genE0ELNS1_11target_archE4294967295ELNS1_3gpuE0ELNS1_3repE0EEENS1_30default_config_static_selectorELNS0_4arch9wavefront6targetE1EEEvT1_
		.amdhsa_group_segment_fixed_size 0
		.amdhsa_private_segment_fixed_size 0
		.amdhsa_kernarg_size 136
		.amdhsa_user_sgpr_count 2
		.amdhsa_user_sgpr_dispatch_ptr 0
		.amdhsa_user_sgpr_queue_ptr 0
		.amdhsa_user_sgpr_kernarg_segment_ptr 1
		.amdhsa_user_sgpr_dispatch_id 0
		.amdhsa_user_sgpr_kernarg_preload_length 0
		.amdhsa_user_sgpr_kernarg_preload_offset 0
		.amdhsa_user_sgpr_private_segment_size 0
		.amdhsa_uses_dynamic_stack 0
		.amdhsa_enable_private_segment 0
		.amdhsa_system_sgpr_workgroup_id_x 1
		.amdhsa_system_sgpr_workgroup_id_y 0
		.amdhsa_system_sgpr_workgroup_id_z 0
		.amdhsa_system_sgpr_workgroup_info 0
		.amdhsa_system_vgpr_workitem_id 0
		.amdhsa_next_free_vgpr 1
		.amdhsa_next_free_sgpr 0
		.amdhsa_accum_offset 4
		.amdhsa_reserve_vcc 0
		.amdhsa_float_round_mode_32 0
		.amdhsa_float_round_mode_16_64 0
		.amdhsa_float_denorm_mode_32 3
		.amdhsa_float_denorm_mode_16_64 3
		.amdhsa_dx10_clamp 1
		.amdhsa_ieee_mode 1
		.amdhsa_fp16_overflow 0
		.amdhsa_tg_split 0
		.amdhsa_exception_fp_ieee_invalid_op 0
		.amdhsa_exception_fp_denorm_src 0
		.amdhsa_exception_fp_ieee_div_zero 0
		.amdhsa_exception_fp_ieee_overflow 0
		.amdhsa_exception_fp_ieee_underflow 0
		.amdhsa_exception_fp_ieee_inexact 0
		.amdhsa_exception_int_div_zero 0
	.end_amdhsa_kernel
	.section	.text._ZN7rocprim17ROCPRIM_400000_NS6detail17trampoline_kernelINS0_14default_configENS1_25partition_config_selectorILNS1_17partition_subalgoE9EllbEEZZNS1_14partition_implILS5_9ELb0ES3_jPlS8_PNS0_10empty_typeENS0_5tupleIJS8_S9_EEENSB_IJS8_SA_EEENS0_18inequality_wrapperIZN2at6native12_GLOBAL__N_124unique_dim_cuda_templateImEESt5tupleIJNSF_6TensorESK_SK_EERKSK_lbbbEUlllE0_EEPmJS9_EEE10hipError_tPvRmT3_T4_T5_T6_T7_T9_mT8_P12ihipStream_tbDpT10_ENKUlT_T0_E_clISt17integral_constantIbLb1EES1A_EEDaS15_S16_EUlS15_E_NS1_11comp_targetILNS1_3genE0ELNS1_11target_archE4294967295ELNS1_3gpuE0ELNS1_3repE0EEENS1_30default_config_static_selectorELNS0_4arch9wavefront6targetE1EEEvT1_,"axG",@progbits,_ZN7rocprim17ROCPRIM_400000_NS6detail17trampoline_kernelINS0_14default_configENS1_25partition_config_selectorILNS1_17partition_subalgoE9EllbEEZZNS1_14partition_implILS5_9ELb0ES3_jPlS8_PNS0_10empty_typeENS0_5tupleIJS8_S9_EEENSB_IJS8_SA_EEENS0_18inequality_wrapperIZN2at6native12_GLOBAL__N_124unique_dim_cuda_templateImEESt5tupleIJNSF_6TensorESK_SK_EERKSK_lbbbEUlllE0_EEPmJS9_EEE10hipError_tPvRmT3_T4_T5_T6_T7_T9_mT8_P12ihipStream_tbDpT10_ENKUlT_T0_E_clISt17integral_constantIbLb1EES1A_EEDaS15_S16_EUlS15_E_NS1_11comp_targetILNS1_3genE0ELNS1_11target_archE4294967295ELNS1_3gpuE0ELNS1_3repE0EEENS1_30default_config_static_selectorELNS0_4arch9wavefront6targetE1EEEvT1_,comdat
.Lfunc_end1714:
	.size	_ZN7rocprim17ROCPRIM_400000_NS6detail17trampoline_kernelINS0_14default_configENS1_25partition_config_selectorILNS1_17partition_subalgoE9EllbEEZZNS1_14partition_implILS5_9ELb0ES3_jPlS8_PNS0_10empty_typeENS0_5tupleIJS8_S9_EEENSB_IJS8_SA_EEENS0_18inequality_wrapperIZN2at6native12_GLOBAL__N_124unique_dim_cuda_templateImEESt5tupleIJNSF_6TensorESK_SK_EERKSK_lbbbEUlllE0_EEPmJS9_EEE10hipError_tPvRmT3_T4_T5_T6_T7_T9_mT8_P12ihipStream_tbDpT10_ENKUlT_T0_E_clISt17integral_constantIbLb1EES1A_EEDaS15_S16_EUlS15_E_NS1_11comp_targetILNS1_3genE0ELNS1_11target_archE4294967295ELNS1_3gpuE0ELNS1_3repE0EEENS1_30default_config_static_selectorELNS0_4arch9wavefront6targetE1EEEvT1_, .Lfunc_end1714-_ZN7rocprim17ROCPRIM_400000_NS6detail17trampoline_kernelINS0_14default_configENS1_25partition_config_selectorILNS1_17partition_subalgoE9EllbEEZZNS1_14partition_implILS5_9ELb0ES3_jPlS8_PNS0_10empty_typeENS0_5tupleIJS8_S9_EEENSB_IJS8_SA_EEENS0_18inequality_wrapperIZN2at6native12_GLOBAL__N_124unique_dim_cuda_templateImEESt5tupleIJNSF_6TensorESK_SK_EERKSK_lbbbEUlllE0_EEPmJS9_EEE10hipError_tPvRmT3_T4_T5_T6_T7_T9_mT8_P12ihipStream_tbDpT10_ENKUlT_T0_E_clISt17integral_constantIbLb1EES1A_EEDaS15_S16_EUlS15_E_NS1_11comp_targetILNS1_3genE0ELNS1_11target_archE4294967295ELNS1_3gpuE0ELNS1_3repE0EEENS1_30default_config_static_selectorELNS0_4arch9wavefront6targetE1EEEvT1_
                                        ; -- End function
	.section	.AMDGPU.csdata,"",@progbits
; Kernel info:
; codeLenInByte = 0
; NumSgprs: 6
; NumVgprs: 0
; NumAgprs: 0
; TotalNumVgprs: 0
; ScratchSize: 0
; MemoryBound: 0
; FloatMode: 240
; IeeeMode: 1
; LDSByteSize: 0 bytes/workgroup (compile time only)
; SGPRBlocks: 0
; VGPRBlocks: 0
; NumSGPRsForWavesPerEU: 6
; NumVGPRsForWavesPerEU: 1
; AccumOffset: 4
; Occupancy: 8
; WaveLimiterHint : 0
; COMPUTE_PGM_RSRC2:SCRATCH_EN: 0
; COMPUTE_PGM_RSRC2:USER_SGPR: 2
; COMPUTE_PGM_RSRC2:TRAP_HANDLER: 0
; COMPUTE_PGM_RSRC2:TGID_X_EN: 1
; COMPUTE_PGM_RSRC2:TGID_Y_EN: 0
; COMPUTE_PGM_RSRC2:TGID_Z_EN: 0
; COMPUTE_PGM_RSRC2:TIDIG_COMP_CNT: 0
; COMPUTE_PGM_RSRC3_GFX90A:ACCUM_OFFSET: 0
; COMPUTE_PGM_RSRC3_GFX90A:TG_SPLIT: 0
	.section	.text._ZN7rocprim17ROCPRIM_400000_NS6detail17trampoline_kernelINS0_14default_configENS1_25partition_config_selectorILNS1_17partition_subalgoE9EllbEEZZNS1_14partition_implILS5_9ELb0ES3_jPlS8_PNS0_10empty_typeENS0_5tupleIJS8_S9_EEENSB_IJS8_SA_EEENS0_18inequality_wrapperIZN2at6native12_GLOBAL__N_124unique_dim_cuda_templateImEESt5tupleIJNSF_6TensorESK_SK_EERKSK_lbbbEUlllE0_EEPmJS9_EEE10hipError_tPvRmT3_T4_T5_T6_T7_T9_mT8_P12ihipStream_tbDpT10_ENKUlT_T0_E_clISt17integral_constantIbLb1EES1A_EEDaS15_S16_EUlS15_E_NS1_11comp_targetILNS1_3genE5ELNS1_11target_archE942ELNS1_3gpuE9ELNS1_3repE0EEENS1_30default_config_static_selectorELNS0_4arch9wavefront6targetE1EEEvT1_,"axG",@progbits,_ZN7rocprim17ROCPRIM_400000_NS6detail17trampoline_kernelINS0_14default_configENS1_25partition_config_selectorILNS1_17partition_subalgoE9EllbEEZZNS1_14partition_implILS5_9ELb0ES3_jPlS8_PNS0_10empty_typeENS0_5tupleIJS8_S9_EEENSB_IJS8_SA_EEENS0_18inequality_wrapperIZN2at6native12_GLOBAL__N_124unique_dim_cuda_templateImEESt5tupleIJNSF_6TensorESK_SK_EERKSK_lbbbEUlllE0_EEPmJS9_EEE10hipError_tPvRmT3_T4_T5_T6_T7_T9_mT8_P12ihipStream_tbDpT10_ENKUlT_T0_E_clISt17integral_constantIbLb1EES1A_EEDaS15_S16_EUlS15_E_NS1_11comp_targetILNS1_3genE5ELNS1_11target_archE942ELNS1_3gpuE9ELNS1_3repE0EEENS1_30default_config_static_selectorELNS0_4arch9wavefront6targetE1EEEvT1_,comdat
	.globl	_ZN7rocprim17ROCPRIM_400000_NS6detail17trampoline_kernelINS0_14default_configENS1_25partition_config_selectorILNS1_17partition_subalgoE9EllbEEZZNS1_14partition_implILS5_9ELb0ES3_jPlS8_PNS0_10empty_typeENS0_5tupleIJS8_S9_EEENSB_IJS8_SA_EEENS0_18inequality_wrapperIZN2at6native12_GLOBAL__N_124unique_dim_cuda_templateImEESt5tupleIJNSF_6TensorESK_SK_EERKSK_lbbbEUlllE0_EEPmJS9_EEE10hipError_tPvRmT3_T4_T5_T6_T7_T9_mT8_P12ihipStream_tbDpT10_ENKUlT_T0_E_clISt17integral_constantIbLb1EES1A_EEDaS15_S16_EUlS15_E_NS1_11comp_targetILNS1_3genE5ELNS1_11target_archE942ELNS1_3gpuE9ELNS1_3repE0EEENS1_30default_config_static_selectorELNS0_4arch9wavefront6targetE1EEEvT1_ ; -- Begin function _ZN7rocprim17ROCPRIM_400000_NS6detail17trampoline_kernelINS0_14default_configENS1_25partition_config_selectorILNS1_17partition_subalgoE9EllbEEZZNS1_14partition_implILS5_9ELb0ES3_jPlS8_PNS0_10empty_typeENS0_5tupleIJS8_S9_EEENSB_IJS8_SA_EEENS0_18inequality_wrapperIZN2at6native12_GLOBAL__N_124unique_dim_cuda_templateImEESt5tupleIJNSF_6TensorESK_SK_EERKSK_lbbbEUlllE0_EEPmJS9_EEE10hipError_tPvRmT3_T4_T5_T6_T7_T9_mT8_P12ihipStream_tbDpT10_ENKUlT_T0_E_clISt17integral_constantIbLb1EES1A_EEDaS15_S16_EUlS15_E_NS1_11comp_targetILNS1_3genE5ELNS1_11target_archE942ELNS1_3gpuE9ELNS1_3repE0EEENS1_30default_config_static_selectorELNS0_4arch9wavefront6targetE1EEEvT1_
	.p2align	8
	.type	_ZN7rocprim17ROCPRIM_400000_NS6detail17trampoline_kernelINS0_14default_configENS1_25partition_config_selectorILNS1_17partition_subalgoE9EllbEEZZNS1_14partition_implILS5_9ELb0ES3_jPlS8_PNS0_10empty_typeENS0_5tupleIJS8_S9_EEENSB_IJS8_SA_EEENS0_18inequality_wrapperIZN2at6native12_GLOBAL__N_124unique_dim_cuda_templateImEESt5tupleIJNSF_6TensorESK_SK_EERKSK_lbbbEUlllE0_EEPmJS9_EEE10hipError_tPvRmT3_T4_T5_T6_T7_T9_mT8_P12ihipStream_tbDpT10_ENKUlT_T0_E_clISt17integral_constantIbLb1EES1A_EEDaS15_S16_EUlS15_E_NS1_11comp_targetILNS1_3genE5ELNS1_11target_archE942ELNS1_3gpuE9ELNS1_3repE0EEENS1_30default_config_static_selectorELNS0_4arch9wavefront6targetE1EEEvT1_,@function
_ZN7rocprim17ROCPRIM_400000_NS6detail17trampoline_kernelINS0_14default_configENS1_25partition_config_selectorILNS1_17partition_subalgoE9EllbEEZZNS1_14partition_implILS5_9ELb0ES3_jPlS8_PNS0_10empty_typeENS0_5tupleIJS8_S9_EEENSB_IJS8_SA_EEENS0_18inequality_wrapperIZN2at6native12_GLOBAL__N_124unique_dim_cuda_templateImEESt5tupleIJNSF_6TensorESK_SK_EERKSK_lbbbEUlllE0_EEPmJS9_EEE10hipError_tPvRmT3_T4_T5_T6_T7_T9_mT8_P12ihipStream_tbDpT10_ENKUlT_T0_E_clISt17integral_constantIbLb1EES1A_EEDaS15_S16_EUlS15_E_NS1_11comp_targetILNS1_3genE5ELNS1_11target_archE942ELNS1_3gpuE9ELNS1_3repE0EEENS1_30default_config_static_selectorELNS0_4arch9wavefront6targetE1EEEvT1_: ; @_ZN7rocprim17ROCPRIM_400000_NS6detail17trampoline_kernelINS0_14default_configENS1_25partition_config_selectorILNS1_17partition_subalgoE9EllbEEZZNS1_14partition_implILS5_9ELb0ES3_jPlS8_PNS0_10empty_typeENS0_5tupleIJS8_S9_EEENSB_IJS8_SA_EEENS0_18inequality_wrapperIZN2at6native12_GLOBAL__N_124unique_dim_cuda_templateImEESt5tupleIJNSF_6TensorESK_SK_EERKSK_lbbbEUlllE0_EEPmJS9_EEE10hipError_tPvRmT3_T4_T5_T6_T7_T9_mT8_P12ihipStream_tbDpT10_ENKUlT_T0_E_clISt17integral_constantIbLb1EES1A_EEDaS15_S16_EUlS15_E_NS1_11comp_targetILNS1_3genE5ELNS1_11target_archE942ELNS1_3gpuE9ELNS1_3repE0EEENS1_30default_config_static_selectorELNS0_4arch9wavefront6targetE1EEEvT1_
; %bb.0:
	s_load_dwordx4 s[4:7], s[0:1], 0x8
	s_load_dwordx2 s[10:11], s[0:1], 0x18
	s_load_dwordx8 s[20:27], s[0:1], 0x40
	s_load_dwordx4 s[36:39], s[0:1], 0x60
	v_cmp_ne_u32_e64 s[2:3], 0, v0
	v_cmp_eq_u32_e64 s[18:19], 0, v0
	s_and_saveexec_b64 s[8:9], s[18:19]
	s_cbranch_execz .LBB1715_4
; %bb.1:
	s_mov_b64 s[14:15], exec
	v_mbcnt_lo_u32_b32 v1, s14, 0
	v_mbcnt_hi_u32_b32 v1, s15, v1
	v_cmp_eq_u32_e32 vcc, 0, v1
                                        ; implicit-def: $vgpr2
	s_and_saveexec_b64 s[12:13], vcc
	s_cbranch_execz .LBB1715_3
; %bb.2:
	s_load_dwordx2 s[16:17], s[0:1], 0x78
	s_bcnt1_i32_b64 s14, s[14:15]
	v_mov_b32_e32 v2, 0
	v_mov_b32_e32 v3, s14
	s_waitcnt lgkmcnt(0)
	global_atomic_add v2, v2, v3, s[16:17] sc0
.LBB1715_3:
	s_or_b64 exec, exec, s[12:13]
	s_waitcnt vmcnt(0)
	v_readfirstlane_b32 s12, v2
	v_mov_b32_e32 v2, 0
	s_nop 0
	v_add_u32_e32 v1, s12, v1
	ds_write_b32 v2, v1
.LBB1715_4:
	s_or_b64 exec, exec, s[8:9]
	v_mov_b32_e32 v3, 0
	s_load_dwordx4 s[28:31], s[0:1], 0x28
	s_load_dword s8, s[0:1], 0x70
	s_waitcnt lgkmcnt(0)
	s_barrier
	ds_read_b32 v1, v3
	s_waitcnt lgkmcnt(0)
	s_barrier
	global_load_dwordx2 v[4:5], v3, s[22:23]
	s_lshl_b64 s[12:13], s[6:7], 3
	s_mul_i32 s14, s8, 0xe00
	s_add_u32 s16, s4, s12
	s_addc_u32 s17, s5, s13
	s_add_i32 s4, s14, s6
	s_sub_i32 s54, s24, s4
	s_add_i32 s15, s8, -1
	s_addk_i32 s54, 0xe00
	s_add_u32 s4, s6, s14
	v_readfirstlane_b32 s33, v1
	s_addc_u32 s5, s7, 0
	v_mov_b32_e32 v6, s24
	v_mov_b32_e32 v7, s25
	s_cmp_eq_u32 s33, s15
	s_mov_b32 s9, 0
	s_mul_i32 s8, s33, 0xe00
	v_cmp_ge_u64_e32 vcc, s[4:5], v[6:7]
	s_cselect_b64 s[24:25], -1, 0
	s_lshl_b64 s[14:15], s[8:9], 3
	s_and_b64 s[8:9], vcc, s[24:25]
	s_xor_b64 s[34:35], s[8:9], -1
	s_add_u32 s4, s16, s14
	s_mov_b64 s[0:1], -1
	s_addc_u32 s5, s17, s15
	s_and_b64 vcc, exec, s[34:35]
	s_waitcnt vmcnt(0)
	v_readfirstlane_b32 s22, v4
	v_readfirstlane_b32 s23, v5
	s_cbranch_vccz .LBB1715_6
; %bb.5:
	v_lshlrev_b32_e32 v2, 3, v0
	v_lshl_add_u64 v[4:5], s[4:5], 0, v[2:3]
	v_add_co_u32_e32 v8, vcc, 0x1000, v4
	global_load_dwordx2 v[6:7], v2, s[4:5]
	s_nop 0
	v_addc_co_u32_e32 v9, vcc, 0, v5, vcc
	v_add_co_u32_e32 v10, vcc, 0x2000, v4
	s_mov_b64 s[0:1], 0
	s_nop 0
	v_addc_co_u32_e32 v11, vcc, 0, v5, vcc
	v_add_co_u32_e32 v12, vcc, 0x3000, v4
	s_nop 1
	v_addc_co_u32_e32 v13, vcc, 0, v5, vcc
	v_add_co_u32_e32 v14, vcc, 0x4000, v4
	s_nop 1
	v_addc_co_u32_e32 v15, vcc, 0, v5, vcc
	global_load_dwordx2 v[16:17], v[8:9], off
	global_load_dwordx2 v[18:19], v[10:11], off
	;; [unrolled: 1-line block ×4, first 2 shown]
	v_add_co_u32_e32 v8, vcc, 0x5000, v4
	s_nop 1
	v_addc_co_u32_e32 v9, vcc, 0, v5, vcc
	v_add_co_u32_e32 v4, vcc, 0x6000, v4
	global_load_dwordx2 v[8:9], v[8:9], off
	s_nop 0
	v_addc_co_u32_e32 v5, vcc, 0, v5, vcc
	global_load_dwordx2 v[4:5], v[4:5], off
	s_waitcnt vmcnt(5)
	ds_write2st64_b64 v2, v[6:7], v[16:17] offset1:8
	s_waitcnt vmcnt(3)
	ds_write2st64_b64 v2, v[18:19], v[20:21] offset0:16 offset1:24
	s_waitcnt vmcnt(1)
	ds_write2st64_b64 v2, v[22:23], v[8:9] offset0:32 offset1:40
	s_waitcnt vmcnt(0)
	ds_write_b64 v2, v[4:5] offset:24576
	s_waitcnt lgkmcnt(0)
	s_barrier
.LBB1715_6:
	s_andn2_b64 vcc, exec, s[0:1]
	v_cmp_gt_u32_e64 s[0:1], s54, v0
	s_cbranch_vccnz .LBB1715_22
; %bb.7:
                                        ; implicit-def: $vgpr2_vgpr3_vgpr4_vgpr5_vgpr6_vgpr7_vgpr8_vgpr9_vgpr10_vgpr11_vgpr12_vgpr13_vgpr14_vgpr15_vgpr16_vgpr17
	s_and_saveexec_b64 s[16:17], s[0:1]
	s_cbranch_execz .LBB1715_9
; %bb.8:
	v_lshlrev_b32_e32 v1, 3, v0
	global_load_dwordx2 v[2:3], v1, s[4:5]
.LBB1715_9:
	s_or_b64 exec, exec, s[16:17]
	v_or_b32_e32 v1, 0x200, v0
	v_cmp_gt_u32_e32 vcc, s54, v1
	s_and_saveexec_b64 s[0:1], vcc
	s_cbranch_execz .LBB1715_11
; %bb.10:
	v_lshlrev_b32_e32 v1, 3, v1
	global_load_dwordx2 v[4:5], v1, s[4:5]
.LBB1715_11:
	s_or_b64 exec, exec, s[0:1]
	v_or_b32_e32 v1, 0x400, v0
	v_cmp_gt_u32_e32 vcc, s54, v1
	s_and_saveexec_b64 s[0:1], vcc
	;; [unrolled: 9-line block ×6, first 2 shown]
	s_cbranch_execz .LBB1715_21
; %bb.20:
	v_lshlrev_b32_e32 v1, 3, v1
	global_load_dwordx2 v[14:15], v1, s[4:5]
.LBB1715_21:
	s_or_b64 exec, exec, s[0:1]
	v_lshlrev_b32_e32 v1, 3, v0
	s_waitcnt vmcnt(0)
	ds_write2st64_b64 v1, v[2:3], v[4:5] offset1:8
	ds_write2st64_b64 v1, v[6:7], v[8:9] offset0:16 offset1:24
	ds_write2st64_b64 v1, v[10:11], v[12:13] offset0:32 offset1:40
	ds_write_b64 v1, v[14:15] offset:24576
	s_waitcnt lgkmcnt(0)
	s_barrier
.LBB1715_22:
	v_mul_u32_u24_e32 v1, 7, v0
	v_lshlrev_b32_e32 v46, 3, v1
	ds_read2_b64 v[22:25], v46 offset1:1
	ds_read2_b64 v[18:21], v46 offset0:2 offset1:3
	ds_read2_b64 v[14:17], v46 offset0:4 offset1:5
	ds_read_b64 v[28:29], v46 offset:48
	s_add_u32 s0, s10, s12
	s_addc_u32 s1, s11, s13
	s_add_u32 s0, s0, s14
	s_addc_u32 s1, s1, s15
	s_mov_b64 s[10:11], -1
	s_and_b64 vcc, exec, s[34:35]
	s_waitcnt lgkmcnt(0)
	s_barrier
	s_cbranch_vccz .LBB1715_24
; %bb.23:
	v_lshlrev_b32_e32 v2, 3, v0
	v_mov_b32_e32 v3, 0
	v_lshl_add_u64 v[4:5], s[0:1], 0, v[2:3]
	v_add_co_u32_e32 v8, vcc, 0x1000, v4
	global_load_dwordx2 v[6:7], v2, s[0:1]
	s_nop 0
	v_addc_co_u32_e32 v9, vcc, 0, v5, vcc
	v_add_co_u32_e32 v10, vcc, 0x2000, v4
	s_mov_b64 s[10:11], 0
	s_nop 0
	v_addc_co_u32_e32 v11, vcc, 0, v5, vcc
	v_add_co_u32_e32 v12, vcc, 0x3000, v4
	s_nop 1
	v_addc_co_u32_e32 v13, vcc, 0, v5, vcc
	v_add_co_u32_e32 v26, vcc, 0x4000, v4
	s_nop 1
	v_addc_co_u32_e32 v27, vcc, 0, v5, vcc
	global_load_dwordx2 v[30:31], v[8:9], off
	global_load_dwordx2 v[32:33], v[10:11], off
	;; [unrolled: 1-line block ×4, first 2 shown]
	v_add_co_u32_e32 v8, vcc, 0x5000, v4
	s_nop 1
	v_addc_co_u32_e32 v9, vcc, 0, v5, vcc
	v_add_co_u32_e32 v4, vcc, 0x6000, v4
	global_load_dwordx2 v[8:9], v[8:9], off
	s_nop 0
	v_addc_co_u32_e32 v5, vcc, 0, v5, vcc
	global_load_dwordx2 v[4:5], v[4:5], off
	s_waitcnt vmcnt(5)
	ds_write2st64_b64 v2, v[6:7], v[30:31] offset1:8
	s_waitcnt vmcnt(3)
	ds_write2st64_b64 v2, v[32:33], v[34:35] offset0:16 offset1:24
	s_waitcnt vmcnt(1)
	ds_write2st64_b64 v2, v[36:37], v[8:9] offset0:32 offset1:40
	s_waitcnt vmcnt(0)
	ds_write_b64 v2, v[4:5] offset:24576
	s_waitcnt lgkmcnt(0)
	s_barrier
.LBB1715_24:
	s_andn2_b64 vcc, exec, s[10:11]
	s_cbranch_vccnz .LBB1715_40
; %bb.25:
	v_cmp_gt_u32_e32 vcc, s54, v0
                                        ; implicit-def: $vgpr2_vgpr3
	s_and_saveexec_b64 s[10:11], vcc
	s_cbranch_execz .LBB1715_27
; %bb.26:
	v_lshlrev_b32_e32 v2, 3, v0
	global_load_dwordx2 v[2:3], v2, s[0:1]
.LBB1715_27:
	s_or_b64 exec, exec, s[10:11]
	v_or_b32_e32 v6, 0x200, v0
	v_cmp_gt_u32_e32 vcc, s54, v6
                                        ; implicit-def: $vgpr4_vgpr5
	s_and_saveexec_b64 s[10:11], vcc
	s_cbranch_execz .LBB1715_29
; %bb.28:
	v_lshlrev_b32_e32 v4, 3, v6
	global_load_dwordx2 v[4:5], v4, s[0:1]
.LBB1715_29:
	s_or_b64 exec, exec, s[10:11]
	v_or_b32_e32 v8, 0x400, v0
	v_cmp_gt_u32_e32 vcc, s54, v8
                                        ; implicit-def: $vgpr6_vgpr7
	s_and_saveexec_b64 s[10:11], vcc
	s_cbranch_execz .LBB1715_31
; %bb.30:
	v_lshlrev_b32_e32 v6, 3, v8
	global_load_dwordx2 v[6:7], v6, s[0:1]
.LBB1715_31:
	s_or_b64 exec, exec, s[10:11]
	v_or_b32_e32 v10, 0x600, v0
	v_cmp_gt_u32_e32 vcc, s54, v10
                                        ; implicit-def: $vgpr8_vgpr9
	s_and_saveexec_b64 s[10:11], vcc
	s_cbranch_execz .LBB1715_33
; %bb.32:
	v_lshlrev_b32_e32 v8, 3, v10
	global_load_dwordx2 v[8:9], v8, s[0:1]
.LBB1715_33:
	s_or_b64 exec, exec, s[10:11]
	v_or_b32_e32 v12, 0x800, v0
	v_cmp_gt_u32_e32 vcc, s54, v12
                                        ; implicit-def: $vgpr10_vgpr11
	s_and_saveexec_b64 s[10:11], vcc
	s_cbranch_execz .LBB1715_35
; %bb.34:
	v_lshlrev_b32_e32 v10, 3, v12
	global_load_dwordx2 v[10:11], v10, s[0:1]
.LBB1715_35:
	s_or_b64 exec, exec, s[10:11]
	v_or_b32_e32 v26, 0xa00, v0
	v_cmp_gt_u32_e32 vcc, s54, v26
                                        ; implicit-def: $vgpr12_vgpr13
	s_and_saveexec_b64 s[10:11], vcc
	s_cbranch_execz .LBB1715_37
; %bb.36:
	v_lshlrev_b32_e32 v12, 3, v26
	global_load_dwordx2 v[12:13], v12, s[0:1]
.LBB1715_37:
	s_or_b64 exec, exec, s[10:11]
	v_or_b32_e32 v30, 0xc00, v0
	v_cmp_gt_u32_e32 vcc, s54, v30
                                        ; implicit-def: $vgpr26_vgpr27
	s_and_saveexec_b64 s[10:11], vcc
	s_cbranch_execz .LBB1715_39
; %bb.38:
	v_lshlrev_b32_e32 v26, 3, v30
	global_load_dwordx2 v[26:27], v26, s[0:1]
.LBB1715_39:
	s_or_b64 exec, exec, s[10:11]
	s_movk_i32 s0, 0xffd0
	v_mad_i32_i24 v30, v0, s0, v46
	s_waitcnt vmcnt(0)
	ds_write2st64_b64 v30, v[2:3], v[4:5] offset1:8
	ds_write2st64_b64 v30, v[6:7], v[8:9] offset0:16 offset1:24
	ds_write2st64_b64 v30, v[10:11], v[12:13] offset0:32 offset1:40
	ds_write_b64 v30, v[26:27] offset:24576
	s_waitcnt lgkmcnt(0)
	s_barrier
.LBB1715_40:
	ds_read2_b64 v[10:13], v46 offset1:1
	ds_read2_b64 v[6:9], v46 offset0:2 offset1:3
	ds_read2_b64 v[2:5], v46 offset0:4 offset1:5
	ds_read_b64 v[26:27], v46 offset:48
	s_cmp_lg_u32 s33, 0
	s_cselect_b64 s[0:1], -1, 0
	s_cmp_lg_u64 s[6:7], 0
	s_cselect_b64 s[6:7], -1, 0
	s_or_b64 s[6:7], s[6:7], s[0:1]
	v_add_u32_e32 v43, 1, v1
	v_add_u32_e32 v40, 2, v1
	;; [unrolled: 1-line block ×6, first 2 shown]
	s_mov_b64 s[10:11], 0
	s_and_b64 vcc, exec, s[6:7]
	v_cmp_gt_i64_e64 s[12:13], s[26:27], 0
	s_waitcnt lgkmcnt(0)
	s_barrier
	s_cbranch_vccz .LBB1715_49
; %bb.41:
	v_mov_b32_e32 v30, 0
	global_load_dwordx2 v[30:31], v30, s[4:5] offset:-8
	v_cndmask_b32_e64 v32, 0, 1, s[12:13]
	v_lshlrev_b32_e32 v47, 3, v0
	s_mov_b64 s[6:7], 0
	s_and_b64 vcc, exec, s[34:35]
	v_cmp_ne_u32_e64 s[4:5], 1, v32
	ds_write_b64 v47, v[28:29]
	s_cbranch_vccz .LBB1715_51
; %bb.42:
	v_mul_lo_u32 v34, v17, s26
	v_mul_lo_u32 v35, v16, s27
	v_mad_u64_u32 v[32:33], s[10:11], v16, s26, 0
	v_add3_u32 v33, v33, v35, v34
	s_and_b64 vcc, exec, s[4:5]
	v_lshl_add_u64 v[32:33], v[32:33], 3, s[36:37]
	s_cbranch_vccnz .LBB1715_54
; %bb.43:
	v_mul_lo_u32 v36, v29, s26
	v_mul_lo_u32 v37, v28, s27
	v_mad_u64_u32 v[34:35], s[6:7], v28, s26, 0
	v_add3_u32 v35, v35, v37, v36
	v_lshl_add_u64 v[34:35], v[34:35], 3, s[36:37]
	global_load_dwordx2 v[36:37], v[32:33], off
	global_load_dwordx2 v[38:39], v[34:35], off
	s_mov_b64 s[6:7], -1
	s_waitcnt vmcnt(0)
	v_cmp_eq_u64_e32 vcc, v[36:37], v[38:39]
	s_and_saveexec_b64 s[10:11], vcc
	s_cbranch_execz .LBB1715_53
; %bb.44:
	s_add_u32 s6, s26, -1
	v_lshl_add_u64 v[34:35], v[34:35], 0, 8
	v_lshl_add_u64 v[36:37], v[32:33], 0, 8
	s_addc_u32 s7, s27, -1
	s_mov_b64 s[12:13], 0
	s_mov_b64 s[16:17], 0
                                        ; implicit-def: $sgpr14_sgpr15
	s_branch .LBB1715_47
.LBB1715_45:                            ;   in Loop: Header=BB1715_47 Depth=1
	global_load_dwordx2 v[38:39], v[36:37], off
	global_load_dwordx2 v[48:49], v[34:35], off
	s_add_u32 s16, s16, 1
	s_addc_u32 s17, s17, 0
	s_andn2_b64 s[14:15], s[14:15], exec
	v_lshl_add_u64 v[34:35], v[34:35], 0, 8
	v_lshl_add_u64 v[36:37], v[36:37], 0, 8
	s_waitcnt vmcnt(0)
	v_cmp_ne_u64_e32 vcc, v[38:39], v[48:49]
	s_and_b64 s[40:41], vcc, exec
	s_or_b64 s[14:15], s[14:15], s[40:41]
.LBB1715_46:                            ;   in Loop: Header=BB1715_47 Depth=1
	s_and_b64 s[40:41], exec, s[14:15]
	s_or_b64 s[12:13], s[40:41], s[12:13]
	v_mov_b64_e32 v[38:39], s[16:17]
	s_andn2_b64 exec, exec, s[12:13]
	s_cbranch_execz .LBB1715_52
.LBB1715_47:                            ; =>This Inner Loop Header: Depth=1
	s_or_b64 s[14:15], s[14:15], exec
	s_cmp_eq_u64 s[6:7], s[16:17]
	s_cbranch_scc0 .LBB1715_45
; %bb.48:                               ;   in Loop: Header=BB1715_47 Depth=1
                                        ; implicit-def: $vgpr34_vgpr35
                                        ; implicit-def: $vgpr36_vgpr37
	s_mov_b64 s[16:17], s[26:27]
	s_branch .LBB1715_46
.LBB1715_49:
                                        ; implicit-def: $sgpr14_sgpr15
                                        ; implicit-def: $vgpr49
                                        ; implicit-def: $vgpr48
                                        ; implicit-def: $vgpr39
                                        ; implicit-def: $vgpr34
	s_branch .LBB1715_192
.LBB1715_50:
                                        ; implicit-def: $vgpr30_vgpr31
	s_branch .LBB1715_340
.LBB1715_51:
                                        ; implicit-def: $sgpr14_sgpr15
                                        ; implicit-def: $vgpr49
                                        ; implicit-def: $vgpr48
                                        ; implicit-def: $vgpr39
                                        ; implicit-def: $vgpr34
	s_cbranch_execnz .LBB1715_111
	s_branch .LBB1715_191
.LBB1715_52:
	s_or_b64 exec, exec, s[12:13]
	v_cmp_gt_i64_e32 vcc, s[26:27], v[38:39]
	s_orn2_b64 s[6:7], vcc, exec
.LBB1715_53:
	s_or_b64 exec, exec, s[10:11]
.LBB1715_54:
	v_mul_lo_u32 v36, v15, s26
	v_mul_lo_u32 v37, v14, s27
	v_mad_u64_u32 v[34:35], s[10:11], v14, s26, 0
	v_add3_u32 v35, v35, v37, v36
	s_mov_b64 s[10:11], 0
	s_and_b64 vcc, exec, s[4:5]
	v_lshl_add_u64 v[34:35], v[34:35], 3, s[36:37]
	s_mov_b64 s[12:13], 0
	s_cbranch_vccnz .LBB1715_63
; %bb.55:
	global_load_dwordx2 v[36:37], v[34:35], off
	global_load_dwordx2 v[38:39], v[32:33], off
	s_mov_b64 s[12:13], -1
	s_waitcnt vmcnt(0)
	v_cmp_eq_u64_e32 vcc, v[36:37], v[38:39]
	s_and_saveexec_b64 s[14:15], vcc
	s_cbranch_execz .LBB1715_62
; %bb.56:
	s_add_u32 s12, s26, -1
	v_lshl_add_u64 v[32:33], v[32:33], 0, 8
	v_lshl_add_u64 v[36:37], v[34:35], 0, 8
	s_addc_u32 s13, s27, -1
	s_mov_b64 s[16:17], 0
	s_mov_b64 s[42:43], 0
                                        ; implicit-def: $sgpr40_sgpr41
	s_branch .LBB1715_59
.LBB1715_57:                            ;   in Loop: Header=BB1715_59 Depth=1
	global_load_dwordx2 v[38:39], v[36:37], off
	global_load_dwordx2 v[48:49], v[32:33], off
	s_add_u32 s42, s42, 1
	s_addc_u32 s43, s43, 0
	s_andn2_b64 s[40:41], s[40:41], exec
	v_lshl_add_u64 v[32:33], v[32:33], 0, 8
	v_lshl_add_u64 v[36:37], v[36:37], 0, 8
	s_waitcnt vmcnt(0)
	v_cmp_ne_u64_e32 vcc, v[38:39], v[48:49]
	s_and_b64 s[44:45], vcc, exec
	s_or_b64 s[40:41], s[40:41], s[44:45]
.LBB1715_58:                            ;   in Loop: Header=BB1715_59 Depth=1
	s_and_b64 s[44:45], exec, s[40:41]
	s_or_b64 s[16:17], s[44:45], s[16:17]
	v_mov_b64_e32 v[38:39], s[42:43]
	s_andn2_b64 exec, exec, s[16:17]
	s_cbranch_execz .LBB1715_61
.LBB1715_59:                            ; =>This Inner Loop Header: Depth=1
	s_or_b64 s[40:41], s[40:41], exec
	s_cmp_eq_u64 s[12:13], s[42:43]
	s_cbranch_scc0 .LBB1715_57
; %bb.60:                               ;   in Loop: Header=BB1715_59 Depth=1
                                        ; implicit-def: $vgpr32_vgpr33
                                        ; implicit-def: $vgpr36_vgpr37
	s_mov_b64 s[42:43], s[26:27]
	s_branch .LBB1715_58
.LBB1715_61:
	s_or_b64 exec, exec, s[16:17]
	v_cmp_gt_i64_e32 vcc, s[26:27], v[38:39]
	s_orn2_b64 s[12:13], vcc, exec
.LBB1715_62:
	s_or_b64 exec, exec, s[14:15]
.LBB1715_63:
	v_mul_lo_u32 v36, v21, s26
	v_mul_lo_u32 v37, v20, s27
	v_mad_u64_u32 v[32:33], s[14:15], v20, s26, 0
	v_add3_u32 v33, v33, v37, v36
	s_and_b64 vcc, exec, s[4:5]
	v_lshl_add_u64 v[32:33], v[32:33], 3, s[36:37]
	s_cbranch_vccnz .LBB1715_72
; %bb.64:
	global_load_dwordx2 v[36:37], v[32:33], off
	global_load_dwordx2 v[38:39], v[34:35], off
	s_mov_b64 s[10:11], -1
	s_waitcnt vmcnt(0)
	v_cmp_eq_u64_e32 vcc, v[36:37], v[38:39]
	s_and_saveexec_b64 s[14:15], vcc
	s_cbranch_execz .LBB1715_71
; %bb.65:
	s_add_u32 s10, s26, -1
	v_lshl_add_u64 v[34:35], v[34:35], 0, 8
	v_lshl_add_u64 v[36:37], v[32:33], 0, 8
	s_addc_u32 s11, s27, -1
	s_mov_b64 s[16:17], 0
	s_mov_b64 s[42:43], 0
                                        ; implicit-def: $sgpr40_sgpr41
	s_branch .LBB1715_68
.LBB1715_66:                            ;   in Loop: Header=BB1715_68 Depth=1
	global_load_dwordx2 v[38:39], v[36:37], off
	global_load_dwordx2 v[48:49], v[34:35], off
	s_add_u32 s42, s42, 1
	s_addc_u32 s43, s43, 0
	s_andn2_b64 s[40:41], s[40:41], exec
	v_lshl_add_u64 v[34:35], v[34:35], 0, 8
	v_lshl_add_u64 v[36:37], v[36:37], 0, 8
	s_waitcnt vmcnt(0)
	v_cmp_ne_u64_e32 vcc, v[38:39], v[48:49]
	s_and_b64 s[44:45], vcc, exec
	s_or_b64 s[40:41], s[40:41], s[44:45]
.LBB1715_67:                            ;   in Loop: Header=BB1715_68 Depth=1
	s_and_b64 s[44:45], exec, s[40:41]
	s_or_b64 s[16:17], s[44:45], s[16:17]
	v_mov_b64_e32 v[38:39], s[42:43]
	s_andn2_b64 exec, exec, s[16:17]
	s_cbranch_execz .LBB1715_70
.LBB1715_68:                            ; =>This Inner Loop Header: Depth=1
	s_or_b64 s[40:41], s[40:41], exec
	s_cmp_eq_u64 s[10:11], s[42:43]
	s_cbranch_scc0 .LBB1715_66
; %bb.69:                               ;   in Loop: Header=BB1715_68 Depth=1
                                        ; implicit-def: $vgpr34_vgpr35
                                        ; implicit-def: $vgpr36_vgpr37
	s_mov_b64 s[42:43], s[26:27]
	s_branch .LBB1715_67
.LBB1715_70:
	s_or_b64 exec, exec, s[16:17]
	v_cmp_gt_i64_e32 vcc, s[26:27], v[38:39]
	s_orn2_b64 s[10:11], vcc, exec
.LBB1715_71:
	s_or_b64 exec, exec, s[14:15]
.LBB1715_72:
	v_mul_lo_u32 v36, v19, s26
	v_mul_lo_u32 v37, v18, s27
	v_mad_u64_u32 v[34:35], s[14:15], v18, s26, 0
	v_add3_u32 v35, v35, v37, v36
	s_mov_b64 s[14:15], 0
	s_and_b64 vcc, exec, s[4:5]
	v_lshl_add_u64 v[36:37], v[34:35], 3, s[36:37]
	s_mov_b64 s[16:17], 0
	s_cbranch_vccnz .LBB1715_81
; %bb.73:
	global_load_dwordx2 v[34:35], v[36:37], off
	global_load_dwordx2 v[38:39], v[32:33], off
	s_mov_b64 s[16:17], -1
	s_waitcnt vmcnt(0)
	v_cmp_eq_u64_e32 vcc, v[34:35], v[38:39]
	s_and_saveexec_b64 s[40:41], vcc
	s_cbranch_execz .LBB1715_80
; %bb.74:
	s_add_u32 s16, s26, -1
	v_lshl_add_u64 v[32:33], v[32:33], 0, 8
	v_lshl_add_u64 v[34:35], v[36:37], 0, 8
	s_addc_u32 s17, s27, -1
	s_mov_b64 s[42:43], 0
	s_mov_b64 s[46:47], 0
                                        ; implicit-def: $sgpr44_sgpr45
	s_branch .LBB1715_77
.LBB1715_75:                            ;   in Loop: Header=BB1715_77 Depth=1
	global_load_dwordx2 v[38:39], v[34:35], off
	global_load_dwordx2 v[48:49], v[32:33], off
	s_add_u32 s46, s46, 1
	s_addc_u32 s47, s47, 0
	s_andn2_b64 s[44:45], s[44:45], exec
	v_lshl_add_u64 v[32:33], v[32:33], 0, 8
	v_lshl_add_u64 v[34:35], v[34:35], 0, 8
	s_waitcnt vmcnt(0)
	v_cmp_ne_u64_e32 vcc, v[38:39], v[48:49]
	s_and_b64 s[48:49], vcc, exec
	s_or_b64 s[44:45], s[44:45], s[48:49]
.LBB1715_76:                            ;   in Loop: Header=BB1715_77 Depth=1
	s_and_b64 s[48:49], exec, s[44:45]
	s_or_b64 s[42:43], s[48:49], s[42:43]
	v_mov_b64_e32 v[38:39], s[46:47]
	s_andn2_b64 exec, exec, s[42:43]
	s_cbranch_execz .LBB1715_79
.LBB1715_77:                            ; =>This Inner Loop Header: Depth=1
	s_or_b64 s[44:45], s[44:45], exec
	s_cmp_eq_u64 s[16:17], s[46:47]
	s_cbranch_scc0 .LBB1715_75
; %bb.78:                               ;   in Loop: Header=BB1715_77 Depth=1
                                        ; implicit-def: $vgpr32_vgpr33
                                        ; implicit-def: $vgpr34_vgpr35
	s_mov_b64 s[46:47], s[26:27]
	s_branch .LBB1715_76
.LBB1715_79:
	s_or_b64 exec, exec, s[42:43]
	v_cmp_gt_i64_e32 vcc, s[26:27], v[38:39]
	s_orn2_b64 s[16:17], vcc, exec
.LBB1715_80:
	s_or_b64 exec, exec, s[40:41]
.LBB1715_81:
	v_mul_lo_u32 v34, v25, s26
	v_mul_lo_u32 v35, v24, s27
	v_mad_u64_u32 v[32:33], s[40:41], v24, s26, 0
	v_add3_u32 v33, v33, v35, v34
	s_and_b64 vcc, exec, s[4:5]
	v_lshl_add_u64 v[34:35], v[32:33], 3, s[36:37]
	s_cbranch_vccnz .LBB1715_90
; %bb.82:
	global_load_dwordx2 v[32:33], v[34:35], off
	global_load_dwordx2 v[38:39], v[36:37], off
	s_mov_b64 s[14:15], -1
	s_waitcnt vmcnt(0)
	v_cmp_eq_u64_e32 vcc, v[32:33], v[38:39]
	s_and_saveexec_b64 s[40:41], vcc
	s_cbranch_execz .LBB1715_89
; %bb.83:
	s_add_u32 s14, s26, -1
	v_lshl_add_u64 v[32:33], v[36:37], 0, 8
	v_lshl_add_u64 v[36:37], v[34:35], 0, 8
	s_addc_u32 s15, s27, -1
	s_mov_b64 s[42:43], 0
	s_mov_b64 s[46:47], 0
                                        ; implicit-def: $sgpr44_sgpr45
	s_branch .LBB1715_86
.LBB1715_84:                            ;   in Loop: Header=BB1715_86 Depth=1
	global_load_dwordx2 v[38:39], v[36:37], off
	global_load_dwordx2 v[48:49], v[32:33], off
	s_add_u32 s46, s46, 1
	s_addc_u32 s47, s47, 0
	s_andn2_b64 s[44:45], s[44:45], exec
	v_lshl_add_u64 v[32:33], v[32:33], 0, 8
	v_lshl_add_u64 v[36:37], v[36:37], 0, 8
	s_waitcnt vmcnt(0)
	v_cmp_ne_u64_e32 vcc, v[38:39], v[48:49]
	s_and_b64 s[48:49], vcc, exec
	s_or_b64 s[44:45], s[44:45], s[48:49]
.LBB1715_85:                            ;   in Loop: Header=BB1715_86 Depth=1
	s_and_b64 s[48:49], exec, s[44:45]
	s_or_b64 s[42:43], s[48:49], s[42:43]
	v_mov_b64_e32 v[38:39], s[46:47]
	s_andn2_b64 exec, exec, s[42:43]
	s_cbranch_execz .LBB1715_88
.LBB1715_86:                            ; =>This Inner Loop Header: Depth=1
	s_or_b64 s[44:45], s[44:45], exec
	s_cmp_eq_u64 s[14:15], s[46:47]
	s_cbranch_scc0 .LBB1715_84
; %bb.87:                               ;   in Loop: Header=BB1715_86 Depth=1
                                        ; implicit-def: $vgpr32_vgpr33
                                        ; implicit-def: $vgpr36_vgpr37
	s_mov_b64 s[46:47], s[26:27]
	s_branch .LBB1715_85
.LBB1715_88:
	s_or_b64 exec, exec, s[42:43]
	v_cmp_gt_i64_e32 vcc, s[26:27], v[38:39]
	s_orn2_b64 s[14:15], vcc, exec
.LBB1715_89:
	s_or_b64 exec, exec, s[40:41]
.LBB1715_90:
	v_mul_lo_u32 v36, v23, s26
	v_mul_lo_u32 v37, v22, s27
	v_mad_u64_u32 v[32:33], s[40:41], v22, s26, 0
	v_add3_u32 v33, v33, v37, v36
	s_mov_b64 s[42:43], 0
	s_and_b64 vcc, exec, s[4:5]
	v_lshl_add_u64 v[32:33], v[32:33], 3, s[36:37]
	s_cbranch_vccnz .LBB1715_99
; %bb.91:
	global_load_dwordx2 v[36:37], v[32:33], off
	global_load_dwordx2 v[38:39], v[34:35], off
	s_mov_b64 s[42:43], -1
	s_waitcnt vmcnt(0)
	v_cmp_eq_u64_e32 vcc, v[36:37], v[38:39]
	s_and_saveexec_b64 s[40:41], vcc
	s_cbranch_execz .LBB1715_98
; %bb.92:
	s_add_u32 s42, s26, -1
	v_lshl_add_u64 v[34:35], v[34:35], 0, 8
	v_lshl_add_u64 v[36:37], v[32:33], 0, 8
	s_addc_u32 s43, s27, -1
	s_mov_b64 s[44:45], 0
	s_mov_b64 s[48:49], 0
                                        ; implicit-def: $sgpr46_sgpr47
	s_branch .LBB1715_95
.LBB1715_93:                            ;   in Loop: Header=BB1715_95 Depth=1
	global_load_dwordx2 v[38:39], v[36:37], off
	global_load_dwordx2 v[48:49], v[34:35], off
	s_add_u32 s48, s48, 1
	s_addc_u32 s49, s49, 0
	s_andn2_b64 s[46:47], s[46:47], exec
	v_lshl_add_u64 v[34:35], v[34:35], 0, 8
	v_lshl_add_u64 v[36:37], v[36:37], 0, 8
	s_waitcnt vmcnt(0)
	v_cmp_ne_u64_e32 vcc, v[38:39], v[48:49]
	s_and_b64 s[50:51], vcc, exec
	s_or_b64 s[46:47], s[46:47], s[50:51]
.LBB1715_94:                            ;   in Loop: Header=BB1715_95 Depth=1
	s_and_b64 s[50:51], exec, s[46:47]
	s_or_b64 s[44:45], s[50:51], s[44:45]
	v_mov_b64_e32 v[38:39], s[48:49]
	s_andn2_b64 exec, exec, s[44:45]
	s_cbranch_execz .LBB1715_97
.LBB1715_95:                            ; =>This Inner Loop Header: Depth=1
	s_or_b64 s[46:47], s[46:47], exec
	s_cmp_eq_u64 s[42:43], s[48:49]
	s_cbranch_scc0 .LBB1715_93
; %bb.96:                               ;   in Loop: Header=BB1715_95 Depth=1
                                        ; implicit-def: $vgpr34_vgpr35
                                        ; implicit-def: $vgpr36_vgpr37
	s_mov_b64 s[48:49], s[26:27]
	s_branch .LBB1715_94
.LBB1715_97:
	s_or_b64 exec, exec, s[44:45]
	v_cmp_gt_i64_e32 vcc, s[26:27], v[38:39]
	s_orn2_b64 s[42:43], vcc, exec
.LBB1715_98:
	s_or_b64 exec, exec, s[40:41]
.LBB1715_99:
	s_waitcnt vmcnt(0)
	v_mov_b64_e32 v[34:35], v[30:31]
	s_waitcnt lgkmcnt(0)
	s_barrier
	s_and_saveexec_b64 s[40:41], s[2:3]
	s_cbranch_execz .LBB1715_101
; %bb.100:
	v_add_u32_e32 v34, -8, v47
	ds_read_b64 v[34:35], v34
.LBB1715_101:
	s_or_b64 exec, exec, s[40:41]
	v_cndmask_b32_e64 v37, 0, 1, s[16:17]
	v_cndmask_b32_e64 v36, 0, 1, s[14:15]
	;; [unrolled: 1-line block ×3, first 2 shown]
	v_lshlrev_b16_e32 v37, 8, v37
	v_lshlrev_b16_e32 v38, 8, v38
	v_or_b32_sdwa v50, v36, v37 dst_sel:WORD_1 dst_unused:UNUSED_PAD src0_sel:DWORD src1_sel:DWORD
	s_mov_b64 s[16:17], 0
	s_and_b64 vcc, exec, s[4:5]
	s_mov_b64 s[14:15], 0
	s_cbranch_vccnz .LBB1715_110
; %bb.102:
	s_waitcnt lgkmcnt(0)
	v_mul_lo_u32 v36, v35, s26
	v_mul_lo_u32 v37, v34, s27
	v_mad_u64_u32 v[34:35], s[14:15], v34, s26, 0
	v_add3_u32 v35, v35, v37, v36
	v_lshl_add_u64 v[34:35], v[34:35], 3, s[36:37]
	global_load_dwordx2 v[36:37], v[34:35], off
	global_load_dwordx2 v[48:49], v[32:33], off
	s_mov_b64 s[14:15], -1
	s_waitcnt vmcnt(0)
	v_cmp_eq_u64_e32 vcc, v[36:37], v[48:49]
	s_and_saveexec_b64 s[40:41], vcc
	s_cbranch_execz .LBB1715_109
; %bb.103:
	s_add_u32 s14, s26, -1
	v_lshl_add_u64 v[32:33], v[32:33], 0, 8
	v_lshl_add_u64 v[34:35], v[34:35], 0, 8
	s_addc_u32 s15, s27, -1
	s_mov_b64 s[42:43], 0
	s_mov_b64 s[46:47], 0
                                        ; implicit-def: $sgpr44_sgpr45
	s_branch .LBB1715_106
.LBB1715_104:                           ;   in Loop: Header=BB1715_106 Depth=1
	global_load_dwordx2 v[36:37], v[34:35], off
	global_load_dwordx2 v[48:49], v[32:33], off
	s_add_u32 s46, s46, 1
	s_addc_u32 s47, s47, 0
	s_andn2_b64 s[44:45], s[44:45], exec
	v_lshl_add_u64 v[32:33], v[32:33], 0, 8
	v_lshl_add_u64 v[34:35], v[34:35], 0, 8
	s_waitcnt vmcnt(0)
	v_cmp_ne_u64_e32 vcc, v[36:37], v[48:49]
	s_and_b64 s[48:49], vcc, exec
	s_or_b64 s[44:45], s[44:45], s[48:49]
.LBB1715_105:                           ;   in Loop: Header=BB1715_106 Depth=1
	s_and_b64 s[48:49], exec, s[44:45]
	s_or_b64 s[42:43], s[48:49], s[42:43]
	v_mov_b64_e32 v[36:37], s[46:47]
	s_andn2_b64 exec, exec, s[42:43]
	s_cbranch_execz .LBB1715_108
.LBB1715_106:                           ; =>This Inner Loop Header: Depth=1
	s_or_b64 s[44:45], s[44:45], exec
	s_cmp_eq_u64 s[14:15], s[46:47]
	s_cbranch_scc0 .LBB1715_104
; %bb.107:                              ;   in Loop: Header=BB1715_106 Depth=1
                                        ; implicit-def: $vgpr32_vgpr33
                                        ; implicit-def: $vgpr34_vgpr35
	s_mov_b64 s[46:47], s[26:27]
	s_branch .LBB1715_105
.LBB1715_108:
	s_or_b64 exec, exec, s[42:43]
	v_cmp_gt_i64_e32 vcc, s[26:27], v[36:37]
	s_orn2_b64 s[14:15], vcc, exec
.LBB1715_109:
	s_or_b64 exec, exec, s[40:41]
.LBB1715_110:
	v_cndmask_b32_e64 v39, 0, 1, s[10:11]
	v_cndmask_b32_e64 v48, 0, 1, s[12:13]
	;; [unrolled: 1-line block ×3, first 2 shown]
	s_waitcnt lgkmcnt(0)
	v_or_b32_e32 v34, v38, v50
	s_and_b64 vcc, exec, s[16:17]
	s_cbranch_vccz .LBB1715_191
.LBB1715_111:
	v_cmp_gt_u32_e32 vcc, s54, v42
	s_mov_b64 s[10:11], 0
	s_mov_b64 s[6:7], 0
	s_and_saveexec_b64 s[12:13], vcc
	s_cbranch_execz .LBB1715_122
; %bb.112:
	s_and_b64 vcc, exec, s[4:5]
	s_mov_b64 s[14:15], 0
	s_cbranch_vccnz .LBB1715_121
; %bb.113:
	v_mul_lo_u32 v34, v17, s26
	v_mul_lo_u32 v35, v16, s27
	v_mad_u64_u32 v[32:33], s[6:7], v16, s26, 0
	v_add3_u32 v33, v33, v35, v34
	v_mul_lo_u32 v34, v29, s26
	v_mul_lo_u32 v35, v28, s27
	v_mad_u64_u32 v[36:37], s[6:7], v28, s26, 0
	v_add3_u32 v37, v37, v35, v34
	v_lshl_add_u64 v[34:35], v[32:33], 3, s[36:37]
	v_lshl_add_u64 v[32:33], v[36:37], 3, s[36:37]
	global_load_dwordx2 v[36:37], v[34:35], off
	global_load_dwordx2 v[38:39], v[32:33], off
	s_mov_b64 s[14:15], -1
	s_waitcnt vmcnt(0)
	v_cmp_eq_u64_e32 vcc, v[36:37], v[38:39]
	s_and_saveexec_b64 s[6:7], vcc
	s_cbranch_execz .LBB1715_120
; %bb.114:
	s_add_u32 s14, s26, -1
	v_lshl_add_u64 v[32:33], v[32:33], 0, 8
	v_lshl_add_u64 v[34:35], v[34:35], 0, 8
	s_addc_u32 s15, s27, -1
	s_mov_b64 s[16:17], 0
	s_mov_b64 s[42:43], 0
                                        ; implicit-def: $sgpr40_sgpr41
	s_branch .LBB1715_117
.LBB1715_115:                           ;   in Loop: Header=BB1715_117 Depth=1
	global_load_dwordx2 v[36:37], v[34:35], off
	global_load_dwordx2 v[38:39], v[32:33], off
	s_add_u32 s42, s42, 1
	s_addc_u32 s43, s43, 0
	s_andn2_b64 s[40:41], s[40:41], exec
	v_lshl_add_u64 v[32:33], v[32:33], 0, 8
	v_lshl_add_u64 v[34:35], v[34:35], 0, 8
	s_waitcnt vmcnt(0)
	v_cmp_ne_u64_e32 vcc, v[36:37], v[38:39]
	s_and_b64 s[44:45], vcc, exec
	s_or_b64 s[40:41], s[40:41], s[44:45]
.LBB1715_116:                           ;   in Loop: Header=BB1715_117 Depth=1
	s_and_b64 s[44:45], exec, s[40:41]
	s_or_b64 s[16:17], s[44:45], s[16:17]
	v_mov_b64_e32 v[36:37], s[42:43]
	s_andn2_b64 exec, exec, s[16:17]
	s_cbranch_execz .LBB1715_119
.LBB1715_117:                           ; =>This Inner Loop Header: Depth=1
	s_or_b64 s[40:41], s[40:41], exec
	s_cmp_eq_u64 s[14:15], s[42:43]
	s_cbranch_scc0 .LBB1715_115
; %bb.118:                              ;   in Loop: Header=BB1715_117 Depth=1
                                        ; implicit-def: $vgpr32_vgpr33
                                        ; implicit-def: $vgpr34_vgpr35
	s_mov_b64 s[42:43], s[26:27]
	s_branch .LBB1715_116
.LBB1715_119:
	s_or_b64 exec, exec, s[16:17]
	v_cmp_gt_i64_e32 vcc, s[26:27], v[36:37]
	s_orn2_b64 s[14:15], vcc, exec
.LBB1715_120:
	s_or_b64 exec, exec, s[6:7]
.LBB1715_121:
	s_and_b64 s[6:7], s[14:15], exec
.LBB1715_122:
	s_or_b64 exec, exec, s[12:13]
	v_cmp_gt_u32_e32 vcc, s54, v45
	s_and_saveexec_b64 s[12:13], vcc
	s_cbranch_execz .LBB1715_133
; %bb.123:
	s_and_b64 vcc, exec, s[4:5]
	s_mov_b64 s[14:15], 0
	s_cbranch_vccnz .LBB1715_132
; %bb.124:
	v_mul_lo_u32 v34, v15, s26
	v_mul_lo_u32 v35, v14, s27
	v_mad_u64_u32 v[32:33], s[10:11], v14, s26, 0
	v_add3_u32 v33, v33, v35, v34
	v_mul_lo_u32 v34, v17, s26
	v_mul_lo_u32 v35, v16, s27
	v_mad_u64_u32 v[36:37], s[10:11], v16, s26, 0
	v_add3_u32 v37, v37, v35, v34
	v_lshl_add_u64 v[34:35], v[32:33], 3, s[36:37]
	v_lshl_add_u64 v[32:33], v[36:37], 3, s[36:37]
	global_load_dwordx2 v[36:37], v[34:35], off
	global_load_dwordx2 v[38:39], v[32:33], off
	s_mov_b64 s[14:15], -1
	s_waitcnt vmcnt(0)
	v_cmp_eq_u64_e32 vcc, v[36:37], v[38:39]
	s_and_saveexec_b64 s[10:11], vcc
	s_cbranch_execz .LBB1715_131
; %bb.125:
	s_add_u32 s14, s26, -1
	v_lshl_add_u64 v[32:33], v[32:33], 0, 8
	v_lshl_add_u64 v[34:35], v[34:35], 0, 8
	s_addc_u32 s15, s27, -1
	s_mov_b64 s[16:17], 0
	s_mov_b64 s[42:43], 0
                                        ; implicit-def: $sgpr40_sgpr41
	s_branch .LBB1715_128
.LBB1715_126:                           ;   in Loop: Header=BB1715_128 Depth=1
	global_load_dwordx2 v[36:37], v[34:35], off
	global_load_dwordx2 v[38:39], v[32:33], off
	s_add_u32 s42, s42, 1
	s_addc_u32 s43, s43, 0
	s_andn2_b64 s[40:41], s[40:41], exec
	v_lshl_add_u64 v[32:33], v[32:33], 0, 8
	v_lshl_add_u64 v[34:35], v[34:35], 0, 8
	s_waitcnt vmcnt(0)
	v_cmp_ne_u64_e32 vcc, v[36:37], v[38:39]
	s_and_b64 s[44:45], vcc, exec
	s_or_b64 s[40:41], s[40:41], s[44:45]
.LBB1715_127:                           ;   in Loop: Header=BB1715_128 Depth=1
	s_and_b64 s[44:45], exec, s[40:41]
	s_or_b64 s[16:17], s[44:45], s[16:17]
	v_mov_b64_e32 v[36:37], s[42:43]
	s_andn2_b64 exec, exec, s[16:17]
	s_cbranch_execz .LBB1715_130
.LBB1715_128:                           ; =>This Inner Loop Header: Depth=1
	s_or_b64 s[40:41], s[40:41], exec
	s_cmp_eq_u64 s[14:15], s[42:43]
	s_cbranch_scc0 .LBB1715_126
; %bb.129:                              ;   in Loop: Header=BB1715_128 Depth=1
                                        ; implicit-def: $vgpr32_vgpr33
                                        ; implicit-def: $vgpr34_vgpr35
	s_mov_b64 s[42:43], s[26:27]
	s_branch .LBB1715_127
.LBB1715_130:
	s_or_b64 exec, exec, s[16:17]
	v_cmp_gt_i64_e32 vcc, s[26:27], v[36:37]
	s_orn2_b64 s[14:15], vcc, exec
.LBB1715_131:
	s_or_b64 exec, exec, s[10:11]
.LBB1715_132:
	s_and_b64 s[10:11], s[14:15], exec
.LBB1715_133:
	s_or_b64 exec, exec, s[12:13]
	v_cmp_gt_u32_e32 vcc, s54, v41
	s_mov_b64 s[14:15], 0
	s_mov_b64 s[12:13], 0
	s_and_saveexec_b64 s[16:17], vcc
	s_cbranch_execz .LBB1715_144
; %bb.134:
	s_and_b64 vcc, exec, s[4:5]
	s_mov_b64 s[40:41], 0
	s_cbranch_vccnz .LBB1715_143
; %bb.135:
	v_mul_lo_u32 v34, v21, s26
	v_mul_lo_u32 v35, v20, s27
	v_mad_u64_u32 v[32:33], s[12:13], v20, s26, 0
	v_add3_u32 v33, v33, v35, v34
	v_mul_lo_u32 v34, v15, s26
	v_mul_lo_u32 v35, v14, s27
	v_mad_u64_u32 v[36:37], s[12:13], v14, s26, 0
	v_add3_u32 v37, v37, v35, v34
	v_lshl_add_u64 v[34:35], v[32:33], 3, s[36:37]
	v_lshl_add_u64 v[32:33], v[36:37], 3, s[36:37]
	global_load_dwordx2 v[36:37], v[34:35], off
	global_load_dwordx2 v[38:39], v[32:33], off
	s_mov_b64 s[40:41], -1
	s_waitcnt vmcnt(0)
	v_cmp_eq_u64_e32 vcc, v[36:37], v[38:39]
	s_and_saveexec_b64 s[12:13], vcc
	s_cbranch_execz .LBB1715_142
; %bb.136:
	s_add_u32 s40, s26, -1
	v_lshl_add_u64 v[32:33], v[32:33], 0, 8
	v_lshl_add_u64 v[34:35], v[34:35], 0, 8
	s_addc_u32 s41, s27, -1
	s_mov_b64 s[42:43], 0
	s_mov_b64 s[46:47], 0
                                        ; implicit-def: $sgpr44_sgpr45
	s_branch .LBB1715_139
.LBB1715_137:                           ;   in Loop: Header=BB1715_139 Depth=1
	global_load_dwordx2 v[36:37], v[34:35], off
	global_load_dwordx2 v[38:39], v[32:33], off
	s_add_u32 s46, s46, 1
	s_addc_u32 s47, s47, 0
	s_andn2_b64 s[44:45], s[44:45], exec
	v_lshl_add_u64 v[32:33], v[32:33], 0, 8
	v_lshl_add_u64 v[34:35], v[34:35], 0, 8
	s_waitcnt vmcnt(0)
	v_cmp_ne_u64_e32 vcc, v[36:37], v[38:39]
	s_and_b64 s[48:49], vcc, exec
	s_or_b64 s[44:45], s[44:45], s[48:49]
.LBB1715_138:                           ;   in Loop: Header=BB1715_139 Depth=1
	s_and_b64 s[48:49], exec, s[44:45]
	s_or_b64 s[42:43], s[48:49], s[42:43]
	v_mov_b64_e32 v[36:37], s[46:47]
	s_andn2_b64 exec, exec, s[42:43]
	s_cbranch_execz .LBB1715_141
.LBB1715_139:                           ; =>This Inner Loop Header: Depth=1
	s_or_b64 s[44:45], s[44:45], exec
	s_cmp_eq_u64 s[40:41], s[46:47]
	s_cbranch_scc0 .LBB1715_137
; %bb.140:                              ;   in Loop: Header=BB1715_139 Depth=1
                                        ; implicit-def: $vgpr32_vgpr33
                                        ; implicit-def: $vgpr34_vgpr35
	s_mov_b64 s[46:47], s[26:27]
	s_branch .LBB1715_138
.LBB1715_141:
	s_or_b64 exec, exec, s[42:43]
	v_cmp_gt_i64_e32 vcc, s[26:27], v[36:37]
	s_orn2_b64 s[40:41], vcc, exec
.LBB1715_142:
	s_or_b64 exec, exec, s[12:13]
.LBB1715_143:
	s_and_b64 s[12:13], s[40:41], exec
.LBB1715_144:
	s_or_b64 exec, exec, s[16:17]
	v_cmp_gt_u32_e32 vcc, s54, v44
	s_and_saveexec_b64 s[16:17], vcc
	s_cbranch_execz .LBB1715_155
; %bb.145:
	s_and_b64 vcc, exec, s[4:5]
	s_mov_b64 s[40:41], 0
	s_cbranch_vccnz .LBB1715_154
; %bb.146:
	v_mul_lo_u32 v34, v19, s26
	v_mul_lo_u32 v35, v18, s27
	v_mad_u64_u32 v[32:33], s[14:15], v18, s26, 0
	v_add3_u32 v33, v33, v35, v34
	v_mul_lo_u32 v34, v21, s26
	v_mul_lo_u32 v35, v20, s27
	v_mad_u64_u32 v[36:37], s[14:15], v20, s26, 0
	v_add3_u32 v37, v37, v35, v34
	v_lshl_add_u64 v[34:35], v[32:33], 3, s[36:37]
	v_lshl_add_u64 v[32:33], v[36:37], 3, s[36:37]
	global_load_dwordx2 v[36:37], v[34:35], off
	global_load_dwordx2 v[38:39], v[32:33], off
	s_mov_b64 s[40:41], -1
	s_waitcnt vmcnt(0)
	v_cmp_eq_u64_e32 vcc, v[36:37], v[38:39]
	s_and_saveexec_b64 s[14:15], vcc
	s_cbranch_execz .LBB1715_153
; %bb.147:
	s_add_u32 s40, s26, -1
	v_lshl_add_u64 v[32:33], v[32:33], 0, 8
	v_lshl_add_u64 v[34:35], v[34:35], 0, 8
	s_addc_u32 s41, s27, -1
	s_mov_b64 s[42:43], 0
	s_mov_b64 s[46:47], 0
                                        ; implicit-def: $sgpr44_sgpr45
	s_branch .LBB1715_150
.LBB1715_148:                           ;   in Loop: Header=BB1715_150 Depth=1
	global_load_dwordx2 v[36:37], v[34:35], off
	global_load_dwordx2 v[38:39], v[32:33], off
	s_add_u32 s46, s46, 1
	s_addc_u32 s47, s47, 0
	s_andn2_b64 s[44:45], s[44:45], exec
	v_lshl_add_u64 v[32:33], v[32:33], 0, 8
	v_lshl_add_u64 v[34:35], v[34:35], 0, 8
	s_waitcnt vmcnt(0)
	v_cmp_ne_u64_e32 vcc, v[36:37], v[38:39]
	s_and_b64 s[48:49], vcc, exec
	s_or_b64 s[44:45], s[44:45], s[48:49]
.LBB1715_149:                           ;   in Loop: Header=BB1715_150 Depth=1
	s_and_b64 s[48:49], exec, s[44:45]
	s_or_b64 s[42:43], s[48:49], s[42:43]
	v_mov_b64_e32 v[36:37], s[46:47]
	s_andn2_b64 exec, exec, s[42:43]
	s_cbranch_execz .LBB1715_152
.LBB1715_150:                           ; =>This Inner Loop Header: Depth=1
	s_or_b64 s[44:45], s[44:45], exec
	s_cmp_eq_u64 s[40:41], s[46:47]
	s_cbranch_scc0 .LBB1715_148
; %bb.151:                              ;   in Loop: Header=BB1715_150 Depth=1
                                        ; implicit-def: $vgpr32_vgpr33
                                        ; implicit-def: $vgpr34_vgpr35
	s_mov_b64 s[46:47], s[26:27]
	s_branch .LBB1715_149
.LBB1715_152:
	s_or_b64 exec, exec, s[42:43]
	v_cmp_gt_i64_e32 vcc, s[26:27], v[36:37]
	s_orn2_b64 s[40:41], vcc, exec
.LBB1715_153:
	s_or_b64 exec, exec, s[14:15]
.LBB1715_154:
	s_and_b64 s[14:15], s[40:41], exec
.LBB1715_155:
	s_or_b64 exec, exec, s[16:17]
	v_cmp_gt_u32_e32 vcc, s54, v40
	s_mov_b64 s[16:17], 0
	s_mov_b64 s[40:41], 0
	s_and_saveexec_b64 s[42:43], vcc
	s_cbranch_execz .LBB1715_166
; %bb.156:
	s_and_b64 vcc, exec, s[4:5]
	s_mov_b64 s[44:45], 0
	s_cbranch_vccnz .LBB1715_165
; %bb.157:
	v_mul_lo_u32 v34, v25, s26
	v_mul_lo_u32 v35, v24, s27
	v_mad_u64_u32 v[32:33], s[40:41], v24, s26, 0
	v_add3_u32 v33, v33, v35, v34
	v_mul_lo_u32 v34, v19, s26
	v_mul_lo_u32 v35, v18, s27
	v_mad_u64_u32 v[36:37], s[40:41], v18, s26, 0
	v_add3_u32 v37, v37, v35, v34
	v_lshl_add_u64 v[34:35], v[32:33], 3, s[36:37]
	v_lshl_add_u64 v[32:33], v[36:37], 3, s[36:37]
	global_load_dwordx2 v[36:37], v[34:35], off
	global_load_dwordx2 v[38:39], v[32:33], off
	s_mov_b64 s[44:45], -1
	s_waitcnt vmcnt(0)
	v_cmp_eq_u64_e32 vcc, v[36:37], v[38:39]
	s_and_saveexec_b64 s[40:41], vcc
	s_cbranch_execz .LBB1715_164
; %bb.158:
	s_add_u32 s44, s26, -1
	v_lshl_add_u64 v[32:33], v[32:33], 0, 8
	v_lshl_add_u64 v[34:35], v[34:35], 0, 8
	s_addc_u32 s45, s27, -1
	s_mov_b64 s[46:47], 0
	s_mov_b64 s[50:51], 0
                                        ; implicit-def: $sgpr48_sgpr49
	s_branch .LBB1715_161
.LBB1715_159:                           ;   in Loop: Header=BB1715_161 Depth=1
	global_load_dwordx2 v[36:37], v[34:35], off
	global_load_dwordx2 v[38:39], v[32:33], off
	s_add_u32 s50, s50, 1
	s_addc_u32 s51, s51, 0
	s_andn2_b64 s[48:49], s[48:49], exec
	v_lshl_add_u64 v[32:33], v[32:33], 0, 8
	v_lshl_add_u64 v[34:35], v[34:35], 0, 8
	s_waitcnt vmcnt(0)
	v_cmp_ne_u64_e32 vcc, v[36:37], v[38:39]
	s_and_b64 s[52:53], vcc, exec
	s_or_b64 s[48:49], s[48:49], s[52:53]
.LBB1715_160:                           ;   in Loop: Header=BB1715_161 Depth=1
	s_and_b64 s[52:53], exec, s[48:49]
	s_or_b64 s[46:47], s[52:53], s[46:47]
	v_mov_b64_e32 v[36:37], s[50:51]
	s_andn2_b64 exec, exec, s[46:47]
	s_cbranch_execz .LBB1715_163
.LBB1715_161:                           ; =>This Inner Loop Header: Depth=1
	s_or_b64 s[48:49], s[48:49], exec
	s_cmp_eq_u64 s[44:45], s[50:51]
	s_cbranch_scc0 .LBB1715_159
; %bb.162:                              ;   in Loop: Header=BB1715_161 Depth=1
                                        ; implicit-def: $vgpr32_vgpr33
                                        ; implicit-def: $vgpr34_vgpr35
	s_mov_b64 s[50:51], s[26:27]
	s_branch .LBB1715_160
.LBB1715_163:
	s_or_b64 exec, exec, s[46:47]
	v_cmp_gt_i64_e32 vcc, s[26:27], v[36:37]
	s_orn2_b64 s[44:45], vcc, exec
.LBB1715_164:
	s_or_b64 exec, exec, s[40:41]
.LBB1715_165:
	s_and_b64 s[40:41], s[44:45], exec
.LBB1715_166:
	s_or_b64 exec, exec, s[42:43]
	v_cmp_gt_u32_e32 vcc, s54, v43
	s_and_saveexec_b64 s[42:43], vcc
	s_cbranch_execz .LBB1715_177
; %bb.167:
	s_and_b64 vcc, exec, s[4:5]
	s_mov_b64 s[44:45], 0
	s_cbranch_vccnz .LBB1715_176
; %bb.168:
	v_mul_lo_u32 v34, v23, s26
	v_mul_lo_u32 v35, v22, s27
	v_mad_u64_u32 v[32:33], s[16:17], v22, s26, 0
	v_add3_u32 v33, v33, v35, v34
	v_mul_lo_u32 v34, v25, s26
	v_mul_lo_u32 v35, v24, s27
	v_mad_u64_u32 v[36:37], s[16:17], v24, s26, 0
	v_add3_u32 v37, v37, v35, v34
	v_lshl_add_u64 v[34:35], v[32:33], 3, s[36:37]
	v_lshl_add_u64 v[32:33], v[36:37], 3, s[36:37]
	global_load_dwordx2 v[36:37], v[34:35], off
	global_load_dwordx2 v[38:39], v[32:33], off
	s_mov_b64 s[44:45], -1
	s_waitcnt vmcnt(0)
	v_cmp_eq_u64_e32 vcc, v[36:37], v[38:39]
	s_and_saveexec_b64 s[16:17], vcc
	s_cbranch_execz .LBB1715_175
; %bb.169:
	s_add_u32 s44, s26, -1
	v_lshl_add_u64 v[32:33], v[32:33], 0, 8
	v_lshl_add_u64 v[34:35], v[34:35], 0, 8
	s_addc_u32 s45, s27, -1
	s_mov_b64 s[46:47], 0
	s_mov_b64 s[50:51], 0
                                        ; implicit-def: $sgpr48_sgpr49
	s_branch .LBB1715_172
.LBB1715_170:                           ;   in Loop: Header=BB1715_172 Depth=1
	global_load_dwordx2 v[36:37], v[34:35], off
	global_load_dwordx2 v[38:39], v[32:33], off
	s_add_u32 s50, s50, 1
	s_addc_u32 s51, s51, 0
	s_andn2_b64 s[48:49], s[48:49], exec
	v_lshl_add_u64 v[32:33], v[32:33], 0, 8
	v_lshl_add_u64 v[34:35], v[34:35], 0, 8
	s_waitcnt vmcnt(0)
	v_cmp_ne_u64_e32 vcc, v[36:37], v[38:39]
	s_and_b64 s[52:53], vcc, exec
	s_or_b64 s[48:49], s[48:49], s[52:53]
.LBB1715_171:                           ;   in Loop: Header=BB1715_172 Depth=1
	s_and_b64 s[52:53], exec, s[48:49]
	s_or_b64 s[46:47], s[52:53], s[46:47]
	v_mov_b64_e32 v[36:37], s[50:51]
	s_andn2_b64 exec, exec, s[46:47]
	s_cbranch_execz .LBB1715_174
.LBB1715_172:                           ; =>This Inner Loop Header: Depth=1
	s_or_b64 s[48:49], s[48:49], exec
	s_cmp_eq_u64 s[44:45], s[50:51]
	s_cbranch_scc0 .LBB1715_170
; %bb.173:                              ;   in Loop: Header=BB1715_172 Depth=1
                                        ; implicit-def: $vgpr32_vgpr33
                                        ; implicit-def: $vgpr34_vgpr35
	s_mov_b64 s[50:51], s[26:27]
	s_branch .LBB1715_171
.LBB1715_174:
	s_or_b64 exec, exec, s[46:47]
	v_cmp_gt_i64_e32 vcc, s[26:27], v[36:37]
	s_orn2_b64 s[44:45], vcc, exec
.LBB1715_175:
	s_or_b64 exec, exec, s[16:17]
.LBB1715_176:
	s_and_b64 s[16:17], s[44:45], exec
.LBB1715_177:
	s_or_b64 exec, exec, s[42:43]
	s_waitcnt lgkmcnt(0)
	s_barrier
	s_and_saveexec_b64 s[42:43], s[2:3]
	s_cbranch_execz .LBB1715_179
; %bb.178:
	s_waitcnt vmcnt(0)
	v_add_u32_e32 v30, -8, v47
	ds_read_b64 v[30:31], v30
.LBB1715_179:
	s_or_b64 exec, exec, s[42:43]
	v_cndmask_b32_e64 v33, 0, 1, s[14:15]
	v_cndmask_b32_e64 v32, 0, 1, s[40:41]
	;; [unrolled: 1-line block ×3, first 2 shown]
	v_lshlrev_b16_e32 v33, 8, v33
	v_cmp_gt_u32_e32 vcc, s54, v1
	v_lshlrev_b16_e32 v36, 8, v34
	v_or_b32_sdwa v37, v32, v33 dst_sel:WORD_1 dst_unused:UNUSED_PAD src0_sel:DWORD src1_sel:DWORD
	s_mov_b64 s[14:15], 0
	s_and_saveexec_b64 s[16:17], vcc
	s_cbranch_execz .LBB1715_190
; %bb.180:
	s_and_b64 vcc, exec, s[4:5]
	s_cbranch_vccnz .LBB1715_189
; %bb.181:
	s_waitcnt vmcnt(0) lgkmcnt(0)
	v_mul_lo_u32 v32, v31, s26
	v_mul_lo_u32 v33, v30, s27
	v_mad_u64_u32 v[30:31], s[4:5], v30, s26, 0
	v_add3_u32 v31, v31, v33, v32
	v_mul_lo_u32 v32, v23, s26
	v_mul_lo_u32 v33, v22, s27
	v_mad_u64_u32 v[34:35], s[4:5], v22, s26, 0
	v_add3_u32 v35, v35, v33, v32
	v_lshl_add_u64 v[32:33], v[30:31], 3, s[36:37]
	v_lshl_add_u64 v[30:31], v[34:35], 3, s[36:37]
	global_load_dwordx2 v[34:35], v[32:33], off
	global_load_dwordx2 v[38:39], v[30:31], off
	s_mov_b64 s[14:15], -1
	s_waitcnt vmcnt(0)
	v_cmp_eq_u64_e32 vcc, v[34:35], v[38:39]
	s_and_saveexec_b64 s[4:5], vcc
	s_cbranch_execz .LBB1715_188
; %bb.182:
	s_add_u32 s14, s26, -1
	v_lshl_add_u64 v[30:31], v[30:31], 0, 8
	v_lshl_add_u64 v[32:33], v[32:33], 0, 8
	s_addc_u32 s15, s27, -1
	s_mov_b64 s[40:41], 0
	s_mov_b64 s[44:45], 0
                                        ; implicit-def: $sgpr42_sgpr43
	s_branch .LBB1715_185
.LBB1715_183:                           ;   in Loop: Header=BB1715_185 Depth=1
	global_load_dwordx2 v[34:35], v[32:33], off
	global_load_dwordx2 v[38:39], v[30:31], off
	s_add_u32 s44, s44, 1
	s_addc_u32 s45, s45, 0
	s_andn2_b64 s[42:43], s[42:43], exec
	v_lshl_add_u64 v[30:31], v[30:31], 0, 8
	v_lshl_add_u64 v[32:33], v[32:33], 0, 8
	s_waitcnt vmcnt(0)
	v_cmp_ne_u64_e32 vcc, v[34:35], v[38:39]
	s_and_b64 s[46:47], vcc, exec
	s_or_b64 s[42:43], s[42:43], s[46:47]
.LBB1715_184:                           ;   in Loop: Header=BB1715_185 Depth=1
	s_and_b64 s[46:47], exec, s[42:43]
	s_or_b64 s[40:41], s[46:47], s[40:41]
	v_mov_b64_e32 v[34:35], s[44:45]
	s_andn2_b64 exec, exec, s[40:41]
	s_cbranch_execz .LBB1715_187
.LBB1715_185:                           ; =>This Inner Loop Header: Depth=1
	s_or_b64 s[42:43], s[42:43], exec
	s_cmp_eq_u64 s[14:15], s[44:45]
	s_cbranch_scc0 .LBB1715_183
; %bb.186:                              ;   in Loop: Header=BB1715_185 Depth=1
                                        ; implicit-def: $vgpr30_vgpr31
                                        ; implicit-def: $vgpr32_vgpr33
	s_mov_b64 s[44:45], s[26:27]
	s_branch .LBB1715_184
.LBB1715_187:
	s_or_b64 exec, exec, s[40:41]
	v_cmp_gt_i64_e32 vcc, s[26:27], v[34:35]
	s_orn2_b64 s[14:15], vcc, exec
.LBB1715_188:
	s_or_b64 exec, exec, s[4:5]
.LBB1715_189:
	s_and_b64 s[14:15], s[14:15], exec
.LBB1715_190:
	s_or_b64 exec, exec, s[16:17]
	v_cndmask_b32_e64 v39, 0, 1, s[12:13]
	v_cndmask_b32_e64 v48, 0, 1, s[10:11]
	;; [unrolled: 1-line block ×3, first 2 shown]
	v_or_b32_e32 v34, v36, v37
.LBB1715_191:
	s_mov_b64 s[10:11], -1
	s_cbranch_execnz .LBB1715_50
.LBB1715_192:
	s_movk_i32 s4, 0xffd0
	v_mad_i32_i24 v38, v0, s4, v46
	s_mov_b64 s[12:13], 0
	v_cmp_gt_i64_e64 s[6:7], s[26:27], 0
	s_and_b64 vcc, exec, s[34:35]
	ds_write_b64 v38, v[28:29]
	s_cbranch_vccz .LBB1715_200
; %bb.193:
	v_mul_lo_u32 v32, v17, s26
	v_mul_lo_u32 v33, v16, s27
	s_waitcnt vmcnt(0) lgkmcnt(1)
	v_mad_u64_u32 v[30:31], s[4:5], v16, s26, 0
	v_add3_u32 v31, v31, v33, v32
	v_cndmask_b32_e64 v32, 0, 1, s[6:7]
	v_cmp_ne_u32_e64 s[4:5], 1, v32
	s_andn2_b64 vcc, exec, s[6:7]
	v_lshl_add_u64 v[30:31], v[30:31], 3, s[36:37]
	s_cbranch_vccnz .LBB1715_203
; %bb.194:
	v_mul_lo_u32 v34, v29, s26
	v_mul_lo_u32 v35, v28, s27
	v_mad_u64_u32 v[32:33], s[12:13], v28, s26, 0
	v_add3_u32 v33, v33, v35, v34
	v_lshl_add_u64 v[32:33], v[32:33], 3, s[36:37]
	global_load_dwordx2 v[34:35], v[30:31], off
	global_load_dwordx2 v[36:37], v[32:33], off
	s_mov_b64 s[12:13], -1
	s_waitcnt vmcnt(0)
	v_cmp_eq_u64_e32 vcc, v[34:35], v[36:37]
	s_and_saveexec_b64 s[14:15], vcc
	s_cbranch_execz .LBB1715_202
; %bb.195:
	s_add_u32 s12, s26, -1
	v_lshl_add_u64 v[32:33], v[32:33], 0, 8
	v_lshl_add_u64 v[34:35], v[30:31], 0, 8
	s_addc_u32 s13, s27, -1
	s_mov_b64 s[16:17], 0
	s_mov_b64 s[42:43], 0
                                        ; implicit-def: $sgpr40_sgpr41
	s_branch .LBB1715_198
.LBB1715_196:                           ;   in Loop: Header=BB1715_198 Depth=1
	global_load_dwordx2 v[36:37], v[34:35], off
	global_load_dwordx2 v[46:47], v[32:33], off
	s_add_u32 s42, s42, 1
	s_addc_u32 s43, s43, 0
	s_andn2_b64 s[40:41], s[40:41], exec
	v_lshl_add_u64 v[32:33], v[32:33], 0, 8
	v_lshl_add_u64 v[34:35], v[34:35], 0, 8
	s_waitcnt vmcnt(0)
	v_cmp_ne_u64_e32 vcc, v[36:37], v[46:47]
	s_and_b64 s[44:45], vcc, exec
	s_or_b64 s[40:41], s[40:41], s[44:45]
.LBB1715_197:                           ;   in Loop: Header=BB1715_198 Depth=1
	s_and_b64 s[44:45], exec, s[40:41]
	s_or_b64 s[16:17], s[44:45], s[16:17]
	v_mov_b64_e32 v[36:37], s[42:43]
	s_andn2_b64 exec, exec, s[16:17]
	s_cbranch_execz .LBB1715_201
.LBB1715_198:                           ; =>This Inner Loop Header: Depth=1
	s_or_b64 s[40:41], s[40:41], exec
	s_cmp_eq_u64 s[12:13], s[42:43]
	s_cbranch_scc0 .LBB1715_196
; %bb.199:                              ;   in Loop: Header=BB1715_198 Depth=1
                                        ; implicit-def: $vgpr32_vgpr33
                                        ; implicit-def: $vgpr34_vgpr35
	s_mov_b64 s[42:43], s[26:27]
	s_branch .LBB1715_197
.LBB1715_200:
                                        ; implicit-def: $sgpr14_sgpr15
                                        ; implicit-def: $vgpr49
                                        ; implicit-def: $vgpr48
                                        ; implicit-def: $vgpr39
                                        ; implicit-def: $vgpr34
                                        ; implicit-def: $vgpr30_vgpr31
	s_cbranch_execnz .LBB1715_260
	s_branch .LBB1715_340
.LBB1715_201:
	s_or_b64 exec, exec, s[16:17]
	v_cmp_gt_i64_e32 vcc, s[26:27], v[36:37]
	s_orn2_b64 s[12:13], vcc, exec
.LBB1715_202:
	s_or_b64 exec, exec, s[14:15]
.LBB1715_203:
	v_mul_lo_u32 v34, v15, s26
	v_mul_lo_u32 v35, v14, s27
	v_mad_u64_u32 v[32:33], s[14:15], v14, s26, 0
	v_add3_u32 v33, v33, v35, v34
	s_mov_b64 s[14:15], 0
	s_and_b64 vcc, exec, s[4:5]
	v_lshl_add_u64 v[32:33], v[32:33], 3, s[36:37]
	s_mov_b64 s[16:17], 0
	s_cbranch_vccnz .LBB1715_212
; %bb.204:
	global_load_dwordx2 v[34:35], v[32:33], off
	global_load_dwordx2 v[36:37], v[30:31], off
	s_mov_b64 s[16:17], -1
	s_waitcnt vmcnt(0)
	v_cmp_eq_u64_e32 vcc, v[34:35], v[36:37]
	s_and_saveexec_b64 s[40:41], vcc
	s_cbranch_execz .LBB1715_211
; %bb.205:
	s_add_u32 s16, s26, -1
	v_lshl_add_u64 v[30:31], v[30:31], 0, 8
	v_lshl_add_u64 v[34:35], v[32:33], 0, 8
	s_addc_u32 s17, s27, -1
	s_mov_b64 s[42:43], 0
	s_mov_b64 s[46:47], 0
                                        ; implicit-def: $sgpr44_sgpr45
	s_branch .LBB1715_208
.LBB1715_206:                           ;   in Loop: Header=BB1715_208 Depth=1
	global_load_dwordx2 v[36:37], v[34:35], off
	global_load_dwordx2 v[46:47], v[30:31], off
	s_add_u32 s46, s46, 1
	s_addc_u32 s47, s47, 0
	s_andn2_b64 s[44:45], s[44:45], exec
	v_lshl_add_u64 v[30:31], v[30:31], 0, 8
	v_lshl_add_u64 v[34:35], v[34:35], 0, 8
	s_waitcnt vmcnt(0)
	v_cmp_ne_u64_e32 vcc, v[36:37], v[46:47]
	s_and_b64 s[48:49], vcc, exec
	s_or_b64 s[44:45], s[44:45], s[48:49]
.LBB1715_207:                           ;   in Loop: Header=BB1715_208 Depth=1
	s_and_b64 s[48:49], exec, s[44:45]
	s_or_b64 s[42:43], s[48:49], s[42:43]
	v_mov_b64_e32 v[36:37], s[46:47]
	s_andn2_b64 exec, exec, s[42:43]
	s_cbranch_execz .LBB1715_210
.LBB1715_208:                           ; =>This Inner Loop Header: Depth=1
	s_or_b64 s[44:45], s[44:45], exec
	s_cmp_eq_u64 s[16:17], s[46:47]
	s_cbranch_scc0 .LBB1715_206
; %bb.209:                              ;   in Loop: Header=BB1715_208 Depth=1
                                        ; implicit-def: $vgpr30_vgpr31
                                        ; implicit-def: $vgpr34_vgpr35
	s_mov_b64 s[46:47], s[26:27]
	s_branch .LBB1715_207
.LBB1715_210:
	s_or_b64 exec, exec, s[42:43]
	v_cmp_gt_i64_e32 vcc, s[26:27], v[36:37]
	s_orn2_b64 s[16:17], vcc, exec
.LBB1715_211:
	s_or_b64 exec, exec, s[40:41]
.LBB1715_212:
	v_mul_lo_u32 v34, v21, s26
	v_mul_lo_u32 v35, v20, s27
	v_mad_u64_u32 v[30:31], s[40:41], v20, s26, 0
	v_add3_u32 v31, v31, v35, v34
	s_and_b64 vcc, exec, s[4:5]
	v_lshl_add_u64 v[30:31], v[30:31], 3, s[36:37]
	s_cbranch_vccnz .LBB1715_221
; %bb.213:
	global_load_dwordx2 v[34:35], v[30:31], off
	global_load_dwordx2 v[36:37], v[32:33], off
	s_mov_b64 s[14:15], -1
	s_waitcnt vmcnt(0)
	v_cmp_eq_u64_e32 vcc, v[34:35], v[36:37]
	s_and_saveexec_b64 s[40:41], vcc
	s_cbranch_execz .LBB1715_220
; %bb.214:
	s_add_u32 s14, s26, -1
	v_lshl_add_u64 v[32:33], v[32:33], 0, 8
	v_lshl_add_u64 v[34:35], v[30:31], 0, 8
	s_addc_u32 s15, s27, -1
	s_mov_b64 s[42:43], 0
	s_mov_b64 s[46:47], 0
                                        ; implicit-def: $sgpr44_sgpr45
	s_branch .LBB1715_217
.LBB1715_215:                           ;   in Loop: Header=BB1715_217 Depth=1
	global_load_dwordx2 v[36:37], v[34:35], off
	global_load_dwordx2 v[46:47], v[32:33], off
	s_add_u32 s46, s46, 1
	s_addc_u32 s47, s47, 0
	s_andn2_b64 s[44:45], s[44:45], exec
	v_lshl_add_u64 v[32:33], v[32:33], 0, 8
	v_lshl_add_u64 v[34:35], v[34:35], 0, 8
	s_waitcnt vmcnt(0)
	v_cmp_ne_u64_e32 vcc, v[36:37], v[46:47]
	s_and_b64 s[48:49], vcc, exec
	s_or_b64 s[44:45], s[44:45], s[48:49]
.LBB1715_216:                           ;   in Loop: Header=BB1715_217 Depth=1
	s_and_b64 s[48:49], exec, s[44:45]
	s_or_b64 s[42:43], s[48:49], s[42:43]
	v_mov_b64_e32 v[36:37], s[46:47]
	s_andn2_b64 exec, exec, s[42:43]
	s_cbranch_execz .LBB1715_219
.LBB1715_217:                           ; =>This Inner Loop Header: Depth=1
	s_or_b64 s[44:45], s[44:45], exec
	s_cmp_eq_u64 s[14:15], s[46:47]
	s_cbranch_scc0 .LBB1715_215
; %bb.218:                              ;   in Loop: Header=BB1715_217 Depth=1
                                        ; implicit-def: $vgpr32_vgpr33
                                        ; implicit-def: $vgpr34_vgpr35
	s_mov_b64 s[46:47], s[26:27]
	s_branch .LBB1715_216
.LBB1715_219:
	s_or_b64 exec, exec, s[42:43]
	v_cmp_gt_i64_e32 vcc, s[26:27], v[36:37]
	s_orn2_b64 s[14:15], vcc, exec
.LBB1715_220:
	s_or_b64 exec, exec, s[40:41]
.LBB1715_221:
	v_mul_lo_u32 v34, v19, s26
	v_mul_lo_u32 v35, v18, s27
	v_mad_u64_u32 v[32:33], s[40:41], v18, s26, 0
	v_add3_u32 v33, v33, v35, v34
	s_mov_b64 s[40:41], 0
	s_and_b64 vcc, exec, s[4:5]
	v_lshl_add_u64 v[32:33], v[32:33], 3, s[36:37]
	s_mov_b64 s[42:43], 0
	s_cbranch_vccnz .LBB1715_230
; %bb.222:
	global_load_dwordx2 v[34:35], v[32:33], off
	global_load_dwordx2 v[36:37], v[30:31], off
	s_mov_b64 s[42:43], -1
	s_waitcnt vmcnt(0)
	v_cmp_eq_u64_e32 vcc, v[34:35], v[36:37]
	s_and_saveexec_b64 s[44:45], vcc
	s_cbranch_execz .LBB1715_229
; %bb.223:
	s_add_u32 s42, s26, -1
	v_lshl_add_u64 v[30:31], v[30:31], 0, 8
	v_lshl_add_u64 v[34:35], v[32:33], 0, 8
	s_addc_u32 s43, s27, -1
	s_mov_b64 s[46:47], 0
	s_mov_b64 s[50:51], 0
                                        ; implicit-def: $sgpr48_sgpr49
	s_branch .LBB1715_226
.LBB1715_224:                           ;   in Loop: Header=BB1715_226 Depth=1
	global_load_dwordx2 v[36:37], v[34:35], off
	global_load_dwordx2 v[46:47], v[30:31], off
	s_add_u32 s50, s50, 1
	s_addc_u32 s51, s51, 0
	s_andn2_b64 s[48:49], s[48:49], exec
	v_lshl_add_u64 v[30:31], v[30:31], 0, 8
	v_lshl_add_u64 v[34:35], v[34:35], 0, 8
	s_waitcnt vmcnt(0)
	v_cmp_ne_u64_e32 vcc, v[36:37], v[46:47]
	s_and_b64 s[52:53], vcc, exec
	s_or_b64 s[48:49], s[48:49], s[52:53]
.LBB1715_225:                           ;   in Loop: Header=BB1715_226 Depth=1
	s_and_b64 s[52:53], exec, s[48:49]
	s_or_b64 s[46:47], s[52:53], s[46:47]
	v_mov_b64_e32 v[36:37], s[50:51]
	s_andn2_b64 exec, exec, s[46:47]
	s_cbranch_execz .LBB1715_228
.LBB1715_226:                           ; =>This Inner Loop Header: Depth=1
	s_or_b64 s[48:49], s[48:49], exec
	s_cmp_eq_u64 s[42:43], s[50:51]
	s_cbranch_scc0 .LBB1715_224
; %bb.227:                              ;   in Loop: Header=BB1715_226 Depth=1
                                        ; implicit-def: $vgpr30_vgpr31
                                        ; implicit-def: $vgpr34_vgpr35
	s_mov_b64 s[50:51], s[26:27]
	s_branch .LBB1715_225
.LBB1715_228:
	s_or_b64 exec, exec, s[46:47]
	v_cmp_gt_i64_e32 vcc, s[26:27], v[36:37]
	s_orn2_b64 s[42:43], vcc, exec
.LBB1715_229:
	s_or_b64 exec, exec, s[44:45]
.LBB1715_230:
	v_mul_lo_u32 v34, v25, s26
	v_mul_lo_u32 v35, v24, s27
	v_mad_u64_u32 v[30:31], s[44:45], v24, s26, 0
	v_add3_u32 v31, v31, v35, v34
	s_and_b64 vcc, exec, s[4:5]
	v_lshl_add_u64 v[30:31], v[30:31], 3, s[36:37]
	s_cbranch_vccnz .LBB1715_239
; %bb.231:
	global_load_dwordx2 v[34:35], v[30:31], off
	global_load_dwordx2 v[36:37], v[32:33], off
	s_mov_b64 s[40:41], -1
	s_waitcnt vmcnt(0)
	v_cmp_eq_u64_e32 vcc, v[34:35], v[36:37]
	s_and_saveexec_b64 s[44:45], vcc
	s_cbranch_execz .LBB1715_238
; %bb.232:
	s_add_u32 s40, s26, -1
	v_lshl_add_u64 v[32:33], v[32:33], 0, 8
	v_lshl_add_u64 v[34:35], v[30:31], 0, 8
	s_addc_u32 s41, s27, -1
	s_mov_b64 s[46:47], 0
	s_mov_b64 s[50:51], 0
                                        ; implicit-def: $sgpr48_sgpr49
	s_branch .LBB1715_235
.LBB1715_233:                           ;   in Loop: Header=BB1715_235 Depth=1
	global_load_dwordx2 v[36:37], v[34:35], off
	global_load_dwordx2 v[46:47], v[32:33], off
	s_add_u32 s50, s50, 1
	s_addc_u32 s51, s51, 0
	s_andn2_b64 s[48:49], s[48:49], exec
	v_lshl_add_u64 v[32:33], v[32:33], 0, 8
	v_lshl_add_u64 v[34:35], v[34:35], 0, 8
	s_waitcnt vmcnt(0)
	v_cmp_ne_u64_e32 vcc, v[36:37], v[46:47]
	s_and_b64 s[52:53], vcc, exec
	s_or_b64 s[48:49], s[48:49], s[52:53]
.LBB1715_234:                           ;   in Loop: Header=BB1715_235 Depth=1
	s_and_b64 s[52:53], exec, s[48:49]
	s_or_b64 s[46:47], s[52:53], s[46:47]
	v_mov_b64_e32 v[36:37], s[50:51]
	s_andn2_b64 exec, exec, s[46:47]
	s_cbranch_execz .LBB1715_237
.LBB1715_235:                           ; =>This Inner Loop Header: Depth=1
	s_or_b64 s[48:49], s[48:49], exec
	s_cmp_eq_u64 s[40:41], s[50:51]
	s_cbranch_scc0 .LBB1715_233
; %bb.236:                              ;   in Loop: Header=BB1715_235 Depth=1
                                        ; implicit-def: $vgpr32_vgpr33
                                        ; implicit-def: $vgpr34_vgpr35
	s_mov_b64 s[50:51], s[26:27]
	s_branch .LBB1715_234
.LBB1715_237:
	s_or_b64 exec, exec, s[46:47]
	v_cmp_gt_i64_e32 vcc, s[26:27], v[36:37]
	s_orn2_b64 s[40:41], vcc, exec
.LBB1715_238:
	s_or_b64 exec, exec, s[44:45]
.LBB1715_239:
	v_mul_lo_u32 v34, v23, s26
	v_mul_lo_u32 v35, v22, s27
	v_mad_u64_u32 v[32:33], s[44:45], v22, s26, 0
	v_add3_u32 v33, v33, v35, v34
	s_and_b64 vcc, exec, s[4:5]
	s_mov_b64 s[46:47], 0
	s_cbranch_vccnz .LBB1715_248
; %bb.240:
	v_lshl_add_u64 v[34:35], v[32:33], 3, s[36:37]
	global_load_dwordx2 v[36:37], v[34:35], off
	global_load_dwordx2 v[46:47], v[30:31], off
	s_mov_b64 s[46:47], -1
	s_waitcnt vmcnt(0)
	v_cmp_eq_u64_e32 vcc, v[36:37], v[46:47]
	s_and_saveexec_b64 s[44:45], vcc
	s_cbranch_execz .LBB1715_247
; %bb.241:
	s_add_u32 s46, s26, -1
	v_lshl_add_u64 v[30:31], v[30:31], 0, 8
	v_lshl_add_u64 v[34:35], v[34:35], 0, 8
	s_addc_u32 s47, s27, -1
	s_mov_b64 s[48:49], 0
	s_mov_b64 s[52:53], 0
                                        ; implicit-def: $sgpr50_sgpr51
	s_branch .LBB1715_244
.LBB1715_242:                           ;   in Loop: Header=BB1715_244 Depth=1
	global_load_dwordx2 v[36:37], v[34:35], off
	global_load_dwordx2 v[46:47], v[30:31], off
	s_add_u32 s52, s52, 1
	s_addc_u32 s53, s53, 0
	s_andn2_b64 s[50:51], s[50:51], exec
	v_lshl_add_u64 v[30:31], v[30:31], 0, 8
	v_lshl_add_u64 v[34:35], v[34:35], 0, 8
	s_waitcnt vmcnt(0)
	v_cmp_ne_u64_e32 vcc, v[36:37], v[46:47]
	s_and_b64 s[56:57], vcc, exec
	s_or_b64 s[50:51], s[50:51], s[56:57]
.LBB1715_243:                           ;   in Loop: Header=BB1715_244 Depth=1
	s_and_b64 s[56:57], exec, s[50:51]
	s_or_b64 s[48:49], s[56:57], s[48:49]
	v_mov_b64_e32 v[36:37], s[52:53]
	s_andn2_b64 exec, exec, s[48:49]
	s_cbranch_execz .LBB1715_246
.LBB1715_244:                           ; =>This Inner Loop Header: Depth=1
	s_or_b64 s[50:51], s[50:51], exec
	s_cmp_eq_u64 s[46:47], s[52:53]
	s_cbranch_scc0 .LBB1715_242
; %bb.245:                              ;   in Loop: Header=BB1715_244 Depth=1
                                        ; implicit-def: $vgpr30_vgpr31
                                        ; implicit-def: $vgpr34_vgpr35
	s_mov_b64 s[52:53], s[26:27]
	s_branch .LBB1715_243
.LBB1715_246:
	s_or_b64 exec, exec, s[48:49]
	v_cmp_gt_i64_e32 vcc, s[26:27], v[36:37]
	s_orn2_b64 s[46:47], vcc, exec
.LBB1715_247:
	s_or_b64 exec, exec, s[44:45]
.LBB1715_248:
	v_cndmask_b32_e64 v31, 0, 1, s[42:43]
	v_cndmask_b32_e64 v30, 0, 1, s[40:41]
	;; [unrolled: 1-line block ×3, first 2 shown]
	v_lshlrev_b16_e32 v31, 8, v31
	v_cndmask_b32_e64 v39, 0, 1, s[14:15]
	v_cndmask_b32_e64 v34, 0, 1, s[46:47]
	v_or_b32_sdwa v30, v30, v31 dst_sel:WORD_1 dst_unused:UNUSED_PAD src0_sel:DWORD src1_sel:DWORD
	v_lshlrev_b16_e32 v31, 8, v48
	v_lshlrev_b16_e32 v34, 8, v34
	v_or_b32_e32 v31, v39, v31
	v_or_b32_e32 v34, 1, v34
	v_and_b32_e32 v31, 0xffff, v31
	v_cndmask_b32_e64 v49, 0, 1, s[12:13]
	v_or_b32_sdwa v30, v34, v30 dst_sel:DWORD dst_unused:UNUSED_PAD src0_sel:WORD_0 src1_sel:DWORD
	v_lshl_or_b32 v31, v49, 16, v31
	s_waitcnt lgkmcnt(0)
	s_barrier
	s_waitcnt lgkmcnt(0)
                                        ; implicit-def: $sgpr14_sgpr15
                                        ; implicit-def: $vgpr34
	s_and_saveexec_b64 s[12:13], s[2:3]
	s_xor_b64 s[12:13], exec, s[12:13]
	s_cbranch_execz .LBB1715_259
; %bb.249:
	s_mov_b32 s44, 0x3020104
	s_and_b64 vcc, exec, s[4:5]
	s_mov_b64 s[14:15], 0
	s_cbranch_vccnz .LBB1715_258
; %bb.250:
	v_add_u32_e32 v31, -8, v38
	ds_read_b64 v[34:35], v31
	v_lshl_add_u64 v[32:33], v[32:33], 3, s[36:37]
	s_mov_b64 s[14:15], -1
	s_waitcnt lgkmcnt(0)
	v_mul_lo_u32 v31, v35, s26
	v_mul_lo_u32 v36, v34, s27
	v_mad_u64_u32 v[34:35], s[4:5], v34, s26, 0
	v_add3_u32 v35, v35, v36, v31
	v_lshl_add_u64 v[34:35], v[34:35], 3, s[36:37]
	global_load_dwordx2 v[36:37], v[34:35], off
	global_load_dwordx2 v[46:47], v[32:33], off
	s_waitcnt vmcnt(0)
	v_cmp_eq_u64_e32 vcc, v[36:37], v[46:47]
	s_and_saveexec_b64 s[4:5], vcc
	s_cbranch_execz .LBB1715_257
; %bb.251:
	s_add_u32 s14, s26, -1
	v_lshl_add_u64 v[32:33], v[32:33], 0, 8
	v_lshl_add_u64 v[34:35], v[34:35], 0, 8
	s_addc_u32 s15, s27, -1
	s_mov_b64 s[16:17], 0
	s_mov_b64 s[42:43], 0
                                        ; implicit-def: $sgpr40_sgpr41
	s_branch .LBB1715_254
.LBB1715_252:                           ;   in Loop: Header=BB1715_254 Depth=1
	global_load_dwordx2 v[36:37], v[34:35], off
	global_load_dwordx2 v[46:47], v[32:33], off
	s_add_u32 s42, s42, 1
	s_addc_u32 s43, s43, 0
	s_andn2_b64 s[40:41], s[40:41], exec
	v_lshl_add_u64 v[32:33], v[32:33], 0, 8
	v_lshl_add_u64 v[34:35], v[34:35], 0, 8
	s_waitcnt vmcnt(0)
	v_cmp_ne_u64_e32 vcc, v[36:37], v[46:47]
	s_and_b64 s[46:47], vcc, exec
	s_or_b64 s[40:41], s[40:41], s[46:47]
.LBB1715_253:                           ;   in Loop: Header=BB1715_254 Depth=1
	s_and_b64 s[46:47], exec, s[40:41]
	s_or_b64 s[16:17], s[46:47], s[16:17]
	v_mov_b64_e32 v[36:37], s[42:43]
	s_andn2_b64 exec, exec, s[16:17]
	s_cbranch_execz .LBB1715_256
.LBB1715_254:                           ; =>This Inner Loop Header: Depth=1
	s_or_b64 s[40:41], s[40:41], exec
	s_cmp_eq_u64 s[14:15], s[42:43]
	s_cbranch_scc0 .LBB1715_252
; %bb.255:                              ;   in Loop: Header=BB1715_254 Depth=1
                                        ; implicit-def: $vgpr32_vgpr33
                                        ; implicit-def: $vgpr34_vgpr35
	s_mov_b64 s[42:43], s[26:27]
	s_branch .LBB1715_253
.LBB1715_256:
	s_or_b64 exec, exec, s[16:17]
	v_cmp_gt_i64_e32 vcc, s[26:27], v[36:37]
	s_orn2_b64 s[14:15], vcc, exec
.LBB1715_257:
	s_or_b64 exec, exec, s[4:5]
.LBB1715_258:
	v_perm_b32 v34, v30, v30, s44
	s_and_b64 s[14:15], s[14:15], exec
	s_or_b64 s[10:11], s[10:11], exec
                                        ; implicit-def: $vgpr30_vgpr31
.LBB1715_259:
	s_or_b64 exec, exec, s[12:13]
	s_branch .LBB1715_340
.LBB1715_260:
	v_cmp_gt_u32_e32 vcc, s54, v42
	s_mov_b64 s[12:13], 0
	s_mov_b64 s[4:5], 0
	s_and_saveexec_b64 s[14:15], vcc
	s_cbranch_execz .LBB1715_271
; %bb.261:
	s_andn2_b64 vcc, exec, s[6:7]
	s_mov_b64 s[16:17], 0
	s_cbranch_vccnz .LBB1715_270
; %bb.262:
	v_mul_lo_u32 v32, v17, s26
	v_mul_lo_u32 v33, v16, s27
	s_waitcnt vmcnt(0) lgkmcnt(1)
	v_mad_u64_u32 v[30:31], s[4:5], v16, s26, 0
	v_add3_u32 v31, v31, v33, v32
	v_mul_lo_u32 v32, v29, s26
	v_mul_lo_u32 v33, v28, s27
	v_mad_u64_u32 v[34:35], s[4:5], v28, s26, 0
	v_add3_u32 v35, v35, v33, v32
	v_lshl_add_u64 v[32:33], v[30:31], 3, s[36:37]
	v_lshl_add_u64 v[30:31], v[34:35], 3, s[36:37]
	global_load_dwordx2 v[34:35], v[32:33], off
	global_load_dwordx2 v[36:37], v[30:31], off
	s_mov_b64 s[16:17], -1
	s_waitcnt vmcnt(0)
	v_cmp_eq_u64_e32 vcc, v[34:35], v[36:37]
	s_and_saveexec_b64 s[4:5], vcc
	s_cbranch_execz .LBB1715_269
; %bb.263:
	s_add_u32 s16, s26, -1
	v_lshl_add_u64 v[30:31], v[30:31], 0, 8
	v_lshl_add_u64 v[32:33], v[32:33], 0, 8
	s_addc_u32 s17, s27, -1
	s_mov_b64 s[40:41], 0
	s_mov_b64 s[44:45], 0
                                        ; implicit-def: $sgpr42_sgpr43
	s_branch .LBB1715_266
.LBB1715_264:                           ;   in Loop: Header=BB1715_266 Depth=1
	global_load_dwordx2 v[34:35], v[32:33], off
	global_load_dwordx2 v[36:37], v[30:31], off
	s_add_u32 s44, s44, 1
	s_addc_u32 s45, s45, 0
	s_andn2_b64 s[42:43], s[42:43], exec
	v_lshl_add_u64 v[30:31], v[30:31], 0, 8
	v_lshl_add_u64 v[32:33], v[32:33], 0, 8
	s_waitcnt vmcnt(0)
	v_cmp_ne_u64_e32 vcc, v[34:35], v[36:37]
	s_and_b64 s[46:47], vcc, exec
	s_or_b64 s[42:43], s[42:43], s[46:47]
.LBB1715_265:                           ;   in Loop: Header=BB1715_266 Depth=1
	s_and_b64 s[46:47], exec, s[42:43]
	s_or_b64 s[40:41], s[46:47], s[40:41]
	v_mov_b64_e32 v[34:35], s[44:45]
	s_andn2_b64 exec, exec, s[40:41]
	s_cbranch_execz .LBB1715_268
.LBB1715_266:                           ; =>This Inner Loop Header: Depth=1
	s_or_b64 s[42:43], s[42:43], exec
	s_cmp_eq_u64 s[16:17], s[44:45]
	s_cbranch_scc0 .LBB1715_264
; %bb.267:                              ;   in Loop: Header=BB1715_266 Depth=1
                                        ; implicit-def: $vgpr30_vgpr31
                                        ; implicit-def: $vgpr32_vgpr33
	s_mov_b64 s[44:45], s[26:27]
	s_branch .LBB1715_265
.LBB1715_268:
	s_or_b64 exec, exec, s[40:41]
	v_cmp_gt_i64_e32 vcc, s[26:27], v[34:35]
	s_orn2_b64 s[16:17], vcc, exec
.LBB1715_269:
	s_or_b64 exec, exec, s[4:5]
.LBB1715_270:
	s_and_b64 s[4:5], s[16:17], exec
.LBB1715_271:
	s_or_b64 exec, exec, s[14:15]
	v_cmp_gt_u32_e32 vcc, s54, v45
	s_and_saveexec_b64 s[14:15], vcc
	s_cbranch_execz .LBB1715_282
; %bb.272:
	s_andn2_b64 vcc, exec, s[6:7]
	s_mov_b64 s[16:17], 0
	s_cbranch_vccnz .LBB1715_281
; %bb.273:
	v_mul_lo_u32 v32, v15, s26
	v_mul_lo_u32 v33, v14, s27
	s_waitcnt vmcnt(0) lgkmcnt(1)
	v_mad_u64_u32 v[30:31], s[12:13], v14, s26, 0
	v_add3_u32 v31, v31, v33, v32
	v_mul_lo_u32 v32, v17, s26
	v_mul_lo_u32 v33, v16, s27
	v_mad_u64_u32 v[34:35], s[12:13], v16, s26, 0
	v_add3_u32 v35, v35, v33, v32
	v_lshl_add_u64 v[32:33], v[30:31], 3, s[36:37]
	v_lshl_add_u64 v[30:31], v[34:35], 3, s[36:37]
	global_load_dwordx2 v[34:35], v[32:33], off
	global_load_dwordx2 v[36:37], v[30:31], off
	s_mov_b64 s[16:17], -1
	s_waitcnt vmcnt(0)
	v_cmp_eq_u64_e32 vcc, v[34:35], v[36:37]
	s_and_saveexec_b64 s[12:13], vcc
	s_cbranch_execz .LBB1715_280
; %bb.274:
	s_add_u32 s16, s26, -1
	v_lshl_add_u64 v[30:31], v[30:31], 0, 8
	v_lshl_add_u64 v[32:33], v[32:33], 0, 8
	s_addc_u32 s17, s27, -1
	s_mov_b64 s[40:41], 0
	s_mov_b64 s[44:45], 0
                                        ; implicit-def: $sgpr42_sgpr43
	s_branch .LBB1715_277
.LBB1715_275:                           ;   in Loop: Header=BB1715_277 Depth=1
	global_load_dwordx2 v[34:35], v[32:33], off
	global_load_dwordx2 v[36:37], v[30:31], off
	s_add_u32 s44, s44, 1
	s_addc_u32 s45, s45, 0
	s_andn2_b64 s[42:43], s[42:43], exec
	v_lshl_add_u64 v[30:31], v[30:31], 0, 8
	v_lshl_add_u64 v[32:33], v[32:33], 0, 8
	s_waitcnt vmcnt(0)
	v_cmp_ne_u64_e32 vcc, v[34:35], v[36:37]
	s_and_b64 s[46:47], vcc, exec
	s_or_b64 s[42:43], s[42:43], s[46:47]
.LBB1715_276:                           ;   in Loop: Header=BB1715_277 Depth=1
	s_and_b64 s[46:47], exec, s[42:43]
	s_or_b64 s[40:41], s[46:47], s[40:41]
	v_mov_b64_e32 v[34:35], s[44:45]
	s_andn2_b64 exec, exec, s[40:41]
	s_cbranch_execz .LBB1715_279
.LBB1715_277:                           ; =>This Inner Loop Header: Depth=1
	s_or_b64 s[42:43], s[42:43], exec
	s_cmp_eq_u64 s[16:17], s[44:45]
	s_cbranch_scc0 .LBB1715_275
; %bb.278:                              ;   in Loop: Header=BB1715_277 Depth=1
                                        ; implicit-def: $vgpr30_vgpr31
                                        ; implicit-def: $vgpr32_vgpr33
	s_mov_b64 s[44:45], s[26:27]
	s_branch .LBB1715_276
.LBB1715_279:
	s_or_b64 exec, exec, s[40:41]
	v_cmp_gt_i64_e32 vcc, s[26:27], v[34:35]
	s_orn2_b64 s[16:17], vcc, exec
.LBB1715_280:
	s_or_b64 exec, exec, s[12:13]
.LBB1715_281:
	s_and_b64 s[12:13], s[16:17], exec
.LBB1715_282:
	s_or_b64 exec, exec, s[14:15]
	v_cmp_gt_u32_e32 vcc, s54, v41
	s_mov_b64 s[16:17], 0
	s_mov_b64 s[14:15], 0
	s_and_saveexec_b64 s[40:41], vcc
	s_cbranch_execz .LBB1715_293
; %bb.283:
	s_andn2_b64 vcc, exec, s[6:7]
	s_mov_b64 s[42:43], 0
	s_cbranch_vccnz .LBB1715_292
; %bb.284:
	v_mul_lo_u32 v32, v21, s26
	v_mul_lo_u32 v33, v20, s27
	s_waitcnt vmcnt(0) lgkmcnt(1)
	v_mad_u64_u32 v[30:31], s[14:15], v20, s26, 0
	v_add3_u32 v31, v31, v33, v32
	v_mul_lo_u32 v32, v15, s26
	v_mul_lo_u32 v33, v14, s27
	v_mad_u64_u32 v[34:35], s[14:15], v14, s26, 0
	v_add3_u32 v35, v35, v33, v32
	v_lshl_add_u64 v[32:33], v[30:31], 3, s[36:37]
	v_lshl_add_u64 v[30:31], v[34:35], 3, s[36:37]
	global_load_dwordx2 v[34:35], v[32:33], off
	global_load_dwordx2 v[36:37], v[30:31], off
	s_mov_b64 s[42:43], -1
	s_waitcnt vmcnt(0)
	v_cmp_eq_u64_e32 vcc, v[34:35], v[36:37]
	s_and_saveexec_b64 s[14:15], vcc
	s_cbranch_execz .LBB1715_291
; %bb.285:
	s_add_u32 s42, s26, -1
	v_lshl_add_u64 v[30:31], v[30:31], 0, 8
	v_lshl_add_u64 v[32:33], v[32:33], 0, 8
	s_addc_u32 s43, s27, -1
	s_mov_b64 s[44:45], 0
	s_mov_b64 s[48:49], 0
                                        ; implicit-def: $sgpr46_sgpr47
	s_branch .LBB1715_288
.LBB1715_286:                           ;   in Loop: Header=BB1715_288 Depth=1
	global_load_dwordx2 v[34:35], v[32:33], off
	global_load_dwordx2 v[36:37], v[30:31], off
	s_add_u32 s48, s48, 1
	s_addc_u32 s49, s49, 0
	s_andn2_b64 s[46:47], s[46:47], exec
	v_lshl_add_u64 v[30:31], v[30:31], 0, 8
	v_lshl_add_u64 v[32:33], v[32:33], 0, 8
	s_waitcnt vmcnt(0)
	v_cmp_ne_u64_e32 vcc, v[34:35], v[36:37]
	s_and_b64 s[50:51], vcc, exec
	s_or_b64 s[46:47], s[46:47], s[50:51]
.LBB1715_287:                           ;   in Loop: Header=BB1715_288 Depth=1
	s_and_b64 s[50:51], exec, s[46:47]
	s_or_b64 s[44:45], s[50:51], s[44:45]
	v_mov_b64_e32 v[34:35], s[48:49]
	s_andn2_b64 exec, exec, s[44:45]
	s_cbranch_execz .LBB1715_290
.LBB1715_288:                           ; =>This Inner Loop Header: Depth=1
	s_or_b64 s[46:47], s[46:47], exec
	s_cmp_eq_u64 s[42:43], s[48:49]
	s_cbranch_scc0 .LBB1715_286
; %bb.289:                              ;   in Loop: Header=BB1715_288 Depth=1
                                        ; implicit-def: $vgpr30_vgpr31
                                        ; implicit-def: $vgpr32_vgpr33
	s_mov_b64 s[48:49], s[26:27]
	s_branch .LBB1715_287
.LBB1715_290:
	s_or_b64 exec, exec, s[44:45]
	v_cmp_gt_i64_e32 vcc, s[26:27], v[34:35]
	s_orn2_b64 s[42:43], vcc, exec
.LBB1715_291:
	s_or_b64 exec, exec, s[14:15]
.LBB1715_292:
	s_and_b64 s[14:15], s[42:43], exec
.LBB1715_293:
	s_or_b64 exec, exec, s[40:41]
	v_cmp_gt_u32_e32 vcc, s54, v44
	s_and_saveexec_b64 s[40:41], vcc
	s_cbranch_execz .LBB1715_304
; %bb.294:
	s_andn2_b64 vcc, exec, s[6:7]
	s_mov_b64 s[42:43], 0
	s_cbranch_vccnz .LBB1715_303
; %bb.295:
	v_mul_lo_u32 v32, v19, s26
	v_mul_lo_u32 v33, v18, s27
	s_waitcnt vmcnt(0) lgkmcnt(1)
	v_mad_u64_u32 v[30:31], s[16:17], v18, s26, 0
	v_add3_u32 v31, v31, v33, v32
	v_mul_lo_u32 v32, v21, s26
	v_mul_lo_u32 v33, v20, s27
	v_mad_u64_u32 v[34:35], s[16:17], v20, s26, 0
	v_add3_u32 v35, v35, v33, v32
	v_lshl_add_u64 v[32:33], v[30:31], 3, s[36:37]
	v_lshl_add_u64 v[30:31], v[34:35], 3, s[36:37]
	global_load_dwordx2 v[34:35], v[32:33], off
	global_load_dwordx2 v[36:37], v[30:31], off
	s_mov_b64 s[42:43], -1
	s_waitcnt vmcnt(0)
	v_cmp_eq_u64_e32 vcc, v[34:35], v[36:37]
	s_and_saveexec_b64 s[16:17], vcc
	s_cbranch_execz .LBB1715_302
; %bb.296:
	s_add_u32 s42, s26, -1
	v_lshl_add_u64 v[30:31], v[30:31], 0, 8
	v_lshl_add_u64 v[32:33], v[32:33], 0, 8
	s_addc_u32 s43, s27, -1
	s_mov_b64 s[44:45], 0
	s_mov_b64 s[48:49], 0
                                        ; implicit-def: $sgpr46_sgpr47
	s_branch .LBB1715_299
.LBB1715_297:                           ;   in Loop: Header=BB1715_299 Depth=1
	global_load_dwordx2 v[34:35], v[32:33], off
	global_load_dwordx2 v[36:37], v[30:31], off
	s_add_u32 s48, s48, 1
	s_addc_u32 s49, s49, 0
	s_andn2_b64 s[46:47], s[46:47], exec
	v_lshl_add_u64 v[30:31], v[30:31], 0, 8
	v_lshl_add_u64 v[32:33], v[32:33], 0, 8
	s_waitcnt vmcnt(0)
	v_cmp_ne_u64_e32 vcc, v[34:35], v[36:37]
	s_and_b64 s[50:51], vcc, exec
	s_or_b64 s[46:47], s[46:47], s[50:51]
.LBB1715_298:                           ;   in Loop: Header=BB1715_299 Depth=1
	s_and_b64 s[50:51], exec, s[46:47]
	s_or_b64 s[44:45], s[50:51], s[44:45]
	v_mov_b64_e32 v[34:35], s[48:49]
	s_andn2_b64 exec, exec, s[44:45]
	s_cbranch_execz .LBB1715_301
.LBB1715_299:                           ; =>This Inner Loop Header: Depth=1
	s_or_b64 s[46:47], s[46:47], exec
	s_cmp_eq_u64 s[42:43], s[48:49]
	s_cbranch_scc0 .LBB1715_297
; %bb.300:                              ;   in Loop: Header=BB1715_299 Depth=1
                                        ; implicit-def: $vgpr30_vgpr31
                                        ; implicit-def: $vgpr32_vgpr33
	s_mov_b64 s[48:49], s[26:27]
	s_branch .LBB1715_298
.LBB1715_301:
	s_or_b64 exec, exec, s[44:45]
	v_cmp_gt_i64_e32 vcc, s[26:27], v[34:35]
	s_orn2_b64 s[42:43], vcc, exec
.LBB1715_302:
	s_or_b64 exec, exec, s[16:17]
.LBB1715_303:
	s_and_b64 s[16:17], s[42:43], exec
.LBB1715_304:
	s_or_b64 exec, exec, s[40:41]
	v_cmp_gt_u32_e32 vcc, s54, v40
	s_mov_b64 s[40:41], 0
	s_mov_b64 s[42:43], 0
	s_and_saveexec_b64 s[44:45], vcc
	s_cbranch_execz .LBB1715_315
; %bb.305:
	s_andn2_b64 vcc, exec, s[6:7]
	s_mov_b64 s[46:47], 0
	s_cbranch_vccnz .LBB1715_314
; %bb.306:
	v_mul_lo_u32 v32, v25, s26
	v_mul_lo_u32 v33, v24, s27
	s_waitcnt vmcnt(0) lgkmcnt(1)
	v_mad_u64_u32 v[30:31], s[42:43], v24, s26, 0
	v_add3_u32 v31, v31, v33, v32
	v_mul_lo_u32 v32, v19, s26
	v_mul_lo_u32 v33, v18, s27
	v_mad_u64_u32 v[34:35], s[42:43], v18, s26, 0
	v_add3_u32 v35, v35, v33, v32
	v_lshl_add_u64 v[32:33], v[30:31], 3, s[36:37]
	v_lshl_add_u64 v[30:31], v[34:35], 3, s[36:37]
	global_load_dwordx2 v[34:35], v[32:33], off
	global_load_dwordx2 v[36:37], v[30:31], off
	s_mov_b64 s[46:47], -1
	s_waitcnt vmcnt(0)
	v_cmp_eq_u64_e32 vcc, v[34:35], v[36:37]
	s_and_saveexec_b64 s[42:43], vcc
	s_cbranch_execz .LBB1715_313
; %bb.307:
	s_add_u32 s46, s26, -1
	v_lshl_add_u64 v[30:31], v[30:31], 0, 8
	v_lshl_add_u64 v[32:33], v[32:33], 0, 8
	s_addc_u32 s47, s27, -1
	s_mov_b64 s[48:49], 0
	s_mov_b64 s[52:53], 0
                                        ; implicit-def: $sgpr50_sgpr51
	s_branch .LBB1715_310
.LBB1715_308:                           ;   in Loop: Header=BB1715_310 Depth=1
	global_load_dwordx2 v[34:35], v[32:33], off
	global_load_dwordx2 v[36:37], v[30:31], off
	s_add_u32 s52, s52, 1
	s_addc_u32 s53, s53, 0
	s_andn2_b64 s[50:51], s[50:51], exec
	v_lshl_add_u64 v[30:31], v[30:31], 0, 8
	v_lshl_add_u64 v[32:33], v[32:33], 0, 8
	s_waitcnt vmcnt(0)
	v_cmp_ne_u64_e32 vcc, v[34:35], v[36:37]
	s_and_b64 s[56:57], vcc, exec
	s_or_b64 s[50:51], s[50:51], s[56:57]
.LBB1715_309:                           ;   in Loop: Header=BB1715_310 Depth=1
	s_and_b64 s[56:57], exec, s[50:51]
	s_or_b64 s[48:49], s[56:57], s[48:49]
	v_mov_b64_e32 v[34:35], s[52:53]
	s_andn2_b64 exec, exec, s[48:49]
	s_cbranch_execz .LBB1715_312
.LBB1715_310:                           ; =>This Inner Loop Header: Depth=1
	s_or_b64 s[50:51], s[50:51], exec
	s_cmp_eq_u64 s[46:47], s[52:53]
	s_cbranch_scc0 .LBB1715_308
; %bb.311:                              ;   in Loop: Header=BB1715_310 Depth=1
                                        ; implicit-def: $vgpr30_vgpr31
                                        ; implicit-def: $vgpr32_vgpr33
	s_mov_b64 s[52:53], s[26:27]
	s_branch .LBB1715_309
.LBB1715_312:
	s_or_b64 exec, exec, s[48:49]
	v_cmp_gt_i64_e32 vcc, s[26:27], v[34:35]
	s_orn2_b64 s[46:47], vcc, exec
.LBB1715_313:
	s_or_b64 exec, exec, s[42:43]
.LBB1715_314:
	s_and_b64 s[42:43], s[46:47], exec
.LBB1715_315:
	s_or_b64 exec, exec, s[44:45]
	v_cmp_gt_u32_e32 vcc, s54, v43
	s_and_saveexec_b64 s[44:45], vcc
	s_cbranch_execz .LBB1715_326
; %bb.316:
	s_andn2_b64 vcc, exec, s[6:7]
	s_mov_b64 s[46:47], 0
	s_cbranch_vccnz .LBB1715_325
; %bb.317:
	v_mul_lo_u32 v32, v23, s26
	v_mul_lo_u32 v33, v22, s27
	s_waitcnt vmcnt(0) lgkmcnt(1)
	v_mad_u64_u32 v[30:31], s[40:41], v22, s26, 0
	v_add3_u32 v31, v31, v33, v32
	v_mul_lo_u32 v32, v25, s26
	v_mul_lo_u32 v33, v24, s27
	v_mad_u64_u32 v[34:35], s[40:41], v24, s26, 0
	v_add3_u32 v35, v35, v33, v32
	v_lshl_add_u64 v[32:33], v[30:31], 3, s[36:37]
	v_lshl_add_u64 v[30:31], v[34:35], 3, s[36:37]
	global_load_dwordx2 v[34:35], v[32:33], off
	global_load_dwordx2 v[36:37], v[30:31], off
	s_mov_b64 s[46:47], -1
	s_waitcnt vmcnt(0)
	v_cmp_eq_u64_e32 vcc, v[34:35], v[36:37]
	s_and_saveexec_b64 s[40:41], vcc
	s_cbranch_execz .LBB1715_324
; %bb.318:
	s_add_u32 s46, s26, -1
	v_lshl_add_u64 v[30:31], v[30:31], 0, 8
	v_lshl_add_u64 v[32:33], v[32:33], 0, 8
	s_addc_u32 s47, s27, -1
	s_mov_b64 s[48:49], 0
	s_mov_b64 s[52:53], 0
                                        ; implicit-def: $sgpr50_sgpr51
	s_branch .LBB1715_321
.LBB1715_319:                           ;   in Loop: Header=BB1715_321 Depth=1
	global_load_dwordx2 v[34:35], v[32:33], off
	global_load_dwordx2 v[36:37], v[30:31], off
	s_add_u32 s52, s52, 1
	s_addc_u32 s53, s53, 0
	s_andn2_b64 s[50:51], s[50:51], exec
	v_lshl_add_u64 v[30:31], v[30:31], 0, 8
	v_lshl_add_u64 v[32:33], v[32:33], 0, 8
	s_waitcnt vmcnt(0)
	v_cmp_ne_u64_e32 vcc, v[34:35], v[36:37]
	s_and_b64 s[56:57], vcc, exec
	s_or_b64 s[50:51], s[50:51], s[56:57]
.LBB1715_320:                           ;   in Loop: Header=BB1715_321 Depth=1
	s_and_b64 s[56:57], exec, s[50:51]
	s_or_b64 s[48:49], s[56:57], s[48:49]
	v_mov_b64_e32 v[34:35], s[52:53]
	s_andn2_b64 exec, exec, s[48:49]
	s_cbranch_execz .LBB1715_323
.LBB1715_321:                           ; =>This Inner Loop Header: Depth=1
	s_or_b64 s[50:51], s[50:51], exec
	s_cmp_eq_u64 s[46:47], s[52:53]
	s_cbranch_scc0 .LBB1715_319
; %bb.322:                              ;   in Loop: Header=BB1715_321 Depth=1
                                        ; implicit-def: $vgpr30_vgpr31
                                        ; implicit-def: $vgpr32_vgpr33
	s_mov_b64 s[52:53], s[26:27]
	s_branch .LBB1715_320
.LBB1715_323:
	s_or_b64 exec, exec, s[48:49]
	v_cmp_gt_i64_e32 vcc, s[26:27], v[34:35]
	s_orn2_b64 s[46:47], vcc, exec
.LBB1715_324:
	s_or_b64 exec, exec, s[40:41]
.LBB1715_325:
	s_and_b64 s[40:41], s[46:47], exec
.LBB1715_326:
	s_or_b64 exec, exec, s[44:45]
	s_waitcnt vmcnt(0) lgkmcnt(1)
	v_cndmask_b32_e64 v31, 0, 1, s[16:17]
	v_cndmask_b32_e64 v30, 0, 1, s[42:43]
	;; [unrolled: 1-line block ×3, first 2 shown]
	v_lshlrev_b16_e32 v31, 8, v31
	v_cndmask_b32_e64 v39, 0, 1, s[14:15]
	v_cndmask_b32_e64 v32, 0, 1, s[40:41]
	v_or_b32_sdwa v30, v30, v31 dst_sel:WORD_1 dst_unused:UNUSED_PAD src0_sel:DWORD src1_sel:DWORD
	v_lshlrev_b16_e32 v31, 8, v48
	v_lshlrev_b16_e32 v32, 8, v32
	v_or_b32_e32 v31, v39, v31
	v_or_b32_e32 v32, 1, v32
	v_and_b32_e32 v31, 0xffff, v31
	v_cndmask_b32_e64 v49, 0, 1, s[4:5]
	v_or_b32_sdwa v30, v32, v30 dst_sel:DWORD dst_unused:UNUSED_PAD src0_sel:WORD_0 src1_sel:DWORD
	v_lshl_or_b32 v31, v49, 16, v31
	s_waitcnt lgkmcnt(0)
	s_barrier
	s_waitcnt lgkmcnt(0)
                                        ; implicit-def: $sgpr14_sgpr15
                                        ; implicit-def: $vgpr34
	s_and_saveexec_b64 s[4:5], s[2:3]
	s_cbranch_execz .LBB1715_339
; %bb.327:
	v_cmp_gt_u32_e32 vcc, s54, v1
	s_mov_b32 s40, 0x3020104
	s_mov_b64 s[12:13], 0
	s_and_saveexec_b64 s[2:3], vcc
	s_cbranch_execz .LBB1715_338
; %bb.328:
	s_andn2_b64 vcc, exec, s[6:7]
	s_cbranch_vccnz .LBB1715_337
; %bb.329:
	v_add_u32_e32 v31, -8, v38
	ds_read_b64 v[32:33], v31
	v_mul_lo_u32 v31, v23, s26
	v_mad_u64_u32 v[36:37], s[6:7], v22, s26, 0
	s_mov_b64 s[12:13], -1
	s_waitcnt lgkmcnt(0)
	v_mul_lo_u32 v34, v33, s26
	v_mul_lo_u32 v35, v32, s27
	v_mad_u64_u32 v[32:33], s[6:7], v32, s26, 0
	v_add3_u32 v33, v33, v35, v34
	v_mul_lo_u32 v34, v22, s27
	v_add3_u32 v37, v37, v34, v31
	v_lshl_add_u64 v[34:35], v[32:33], 3, s[36:37]
	v_lshl_add_u64 v[32:33], v[36:37], 3, s[36:37]
	global_load_dwordx2 v[36:37], v[34:35], off
	global_load_dwordx2 v[46:47], v[32:33], off
	s_waitcnt vmcnt(0)
	v_cmp_eq_u64_e32 vcc, v[36:37], v[46:47]
	s_and_saveexec_b64 s[6:7], vcc
	s_cbranch_execz .LBB1715_336
; %bb.330:
	s_add_u32 s12, s26, -1
	v_lshl_add_u64 v[32:33], v[32:33], 0, 8
	v_lshl_add_u64 v[34:35], v[34:35], 0, 8
	s_addc_u32 s13, s27, -1
	s_mov_b64 s[14:15], 0
	s_mov_b64 s[36:37], 0
                                        ; implicit-def: $sgpr16_sgpr17
	s_branch .LBB1715_333
.LBB1715_331:                           ;   in Loop: Header=BB1715_333 Depth=1
	global_load_dwordx2 v[36:37], v[34:35], off
	global_load_dwordx2 v[46:47], v[32:33], off
	s_add_u32 s36, s36, 1
	s_addc_u32 s37, s37, 0
	s_andn2_b64 s[16:17], s[16:17], exec
	v_lshl_add_u64 v[32:33], v[32:33], 0, 8
	v_lshl_add_u64 v[34:35], v[34:35], 0, 8
	s_waitcnt vmcnt(0)
	v_cmp_ne_u64_e32 vcc, v[36:37], v[46:47]
	s_and_b64 s[42:43], vcc, exec
	s_or_b64 s[16:17], s[16:17], s[42:43]
.LBB1715_332:                           ;   in Loop: Header=BB1715_333 Depth=1
	s_and_b64 s[42:43], exec, s[16:17]
	s_or_b64 s[14:15], s[42:43], s[14:15]
	v_mov_b64_e32 v[36:37], s[36:37]
	s_andn2_b64 exec, exec, s[14:15]
	s_cbranch_execz .LBB1715_335
.LBB1715_333:                           ; =>This Inner Loop Header: Depth=1
	s_or_b64 s[16:17], s[16:17], exec
	s_cmp_eq_u64 s[12:13], s[36:37]
	s_cbranch_scc0 .LBB1715_331
; %bb.334:                              ;   in Loop: Header=BB1715_333 Depth=1
                                        ; implicit-def: $vgpr32_vgpr33
                                        ; implicit-def: $vgpr34_vgpr35
	s_mov_b64 s[36:37], s[26:27]
	s_branch .LBB1715_332
.LBB1715_335:
	s_or_b64 exec, exec, s[14:15]
	v_cmp_gt_i64_e32 vcc, s[26:27], v[36:37]
	s_orn2_b64 s[12:13], vcc, exec
.LBB1715_336:
	s_or_b64 exec, exec, s[6:7]
.LBB1715_337:
	s_and_b64 s[12:13], s[12:13], exec
.LBB1715_338:
	s_or_b64 exec, exec, s[2:3]
	v_perm_b32 v34, v30, v30, s40
	s_and_b64 s[14:15], s[12:13], exec
	s_or_b64 s[10:11], s[10:11], exec
                                        ; implicit-def: $vgpr30_vgpr31
.LBB1715_339:
	s_or_b64 exec, exec, s[4:5]
.LBB1715_340:
	s_and_saveexec_b64 s[2:3], s[10:11]
	s_cbranch_execz .LBB1715_342
; %bb.341:
	s_waitcnt vmcnt(0) lgkmcnt(0)
	v_lshlrev_b16_e32 v31, 8, v48
	v_and_b32_e32 v32, 0xff, v49
	v_or_b32_sdwa v31, v39, v31 dst_sel:DWORD dst_unused:UNUSED_PAD src0_sel:BYTE_0 src1_sel:DWORD
	v_lshlrev_b32_e32 v32, 16, v32
	s_movk_i32 s4, 0xff
	v_or_b32_sdwa v31, v31, v32 dst_sel:DWORD dst_unused:UNUSED_PAD src0_sel:WORD_0 src1_sel:DWORD
	v_lshrrev_b32_e32 v32, 24, v34
	v_lshlrev_b16_e32 v32, 8, v32
	v_and_b32_sdwa v33, v34, s4 dst_sel:DWORD dst_unused:UNUSED_PAD src0_sel:WORD_1 src1_sel:DWORD
	v_or_b32_sdwa v32, v33, v32 dst_sel:WORD_1 dst_unused:UNUSED_PAD src0_sel:DWORD src1_sel:DWORD
	v_mov_b32_e32 v33, 8
	v_cndmask_b32_e64 v30, 0, 1, s[14:15]
	v_lshrrev_b32_sdwa v33, v33, v34 dst_sel:BYTE_1 dst_unused:UNUSED_PAD src0_sel:DWORD src1_sel:DWORD
	s_nop 0
	v_or_b32_e32 v30, v30, v33
	v_or_b32_sdwa v30, v30, v32 dst_sel:DWORD dst_unused:UNUSED_PAD src0_sel:WORD_0 src1_sel:DWORD
.LBB1715_342:
	s_or_b64 exec, exec, s[2:3]
	s_andn2_b64 vcc, exec, s[8:9]
	s_cbranch_vccnz .LBB1715_344
; %bb.343:
	s_waitcnt vmcnt(0) lgkmcnt(0)
	v_and_b32_e32 v32, 0xffff0000, v30
	v_cmp_gt_u32_e32 vcc, s54, v1
	s_mov_b32 s2, 0x40c0100
	s_nop 0
	v_cndmask_b32_e32 v1, v32, v30, vcc
	v_and_b32_e32 v1, 0xffff00ff, v1
	v_cmp_gt_u32_e32 vcc, s54, v43
	s_nop 1
	v_cndmask_b32_e32 v1, v1, v30, vcc
	v_lshrrev_b32_e32 v32, 24, v1
	v_perm_b32 v1, v32, v1, s2
	v_cmp_gt_u32_e32 vcc, s54, v40
	v_and_b32_e32 v32, 0xffffff00, v31
	s_nop 0
	v_cndmask_b32_e32 v1, v1, v30, vcc
	v_and_b32_e32 v1, 0xffffff, v1
	v_cmp_gt_u32_e32 vcc, s54, v44
	s_nop 1
	v_cndmask_b32_e32 v1, v1, v30, vcc
	v_cmp_gt_u32_e32 vcc, s54, v41
	s_nop 1
	v_cndmask_b32_e32 v32, v32, v31, vcc
	v_and_b32_e32 v32, 0xffff00ff, v32
	v_cndmask_b32_e32 v1, v1, v30, vcc
	v_cmp_gt_u32_e32 vcc, s54, v45
	s_nop 1
	v_cndmask_b32_e32 v32, v32, v31, vcc
	v_lshrrev_b32_e32 v33, 24, v32
	v_cndmask_b32_e32 v1, v1, v30, vcc
	v_perm_b32 v32, v33, v32, s2
	v_cmp_gt_u32_e32 vcc, s54, v42
	s_mov_b32 s2, 0x3020104
	s_nop 0
	v_cndmask_b32_e32 v1, v1, v30, vcc
	v_cndmask_b32_e32 v30, v32, v31, vcc
	v_mov_b32_e32 v31, 8
	v_lshrrev_b32_sdwa v31, v31, v30 dst_sel:BYTE_1 dst_unused:UNUSED_PAD src0_sel:DWORD src1_sel:DWORD
	s_nop 0
	v_or_b32_sdwa v31, v30, v31 dst_sel:DWORD dst_unused:UNUSED_PAD src0_sel:BYTE_0 src1_sel:DWORD
	v_and_b32_e32 v31, 0xffff, v31
	v_bfe_u32 v30, v30, 16, 8
	v_lshl_or_b32 v31, v30, 16, v31
	v_perm_b32 v30, v1, v1, s2
.LBB1715_344:
	s_waitcnt vmcnt(0) lgkmcnt(0)
	v_and_b32_e32 v1, 0xff, v30
	v_bfe_u32 v43, v30, 8, 8
	v_bfe_u32 v45, v30, 16, 8
	v_alignbit_b32 v32, v31, v30, 24
	v_and_b32_e32 v47, 0xff, v32
	v_and_b32_e32 v48, 0xff, v31
	v_add3_u32 v33, v43, v1, v45
	v_bfe_u32 v49, v31, 8, 8
	v_bfe_u32 v32, v31, 16, 8
	v_add3_u32 v33, v33, v47, v48
	v_add3_u32 v52, v33, v49, v32
	v_mbcnt_lo_u32_b32 v32, -1, 0
	v_mbcnt_hi_u32_b32 v50, -1, v32
	v_and_b32_e32 v32, 15, v50
	v_cmp_eq_u32_e64 s[14:15], 0, v32
	v_cmp_lt_u32_e64 s[12:13], 1, v32
	v_cmp_lt_u32_e64 s[10:11], 3, v32
	v_cmp_lt_u32_e64 s[8:9], 7, v32
	v_and_b32_e32 v32, 16, v50
	v_cmp_eq_u32_e64 s[6:7], 0, v32
	v_or_b32_e32 v32, 63, v0
	v_cmp_lt_u32_e64 s[2:3], 31, v50
	v_lshrrev_b32_e32 v51, 6, v0
	v_cmp_eq_u32_e64 s[4:5], v32, v0
	s_and_b64 vcc, exec, s[0:1]
	s_barrier
	s_cbranch_vccz .LBB1715_375
; %bb.345:
	v_mov_b32_dpp v32, v52 row_shr:1 row_mask:0xf bank_mask:0xf
	v_cndmask_b32_e64 v32, v32, 0, s[14:15]
	v_add_u32_e32 v32, v32, v52
	s_nop 1
	v_mov_b32_dpp v33, v32 row_shr:2 row_mask:0xf bank_mask:0xf
	v_cndmask_b32_e64 v33, 0, v33, s[12:13]
	v_add_u32_e32 v32, v32, v33
	s_nop 1
	;; [unrolled: 4-line block ×4, first 2 shown]
	v_mov_b32_dpp v33, v32 row_bcast:15 row_mask:0xf bank_mask:0xf
	v_cndmask_b32_e64 v33, v33, 0, s[6:7]
	v_add_u32_e32 v32, v32, v33
	s_nop 1
	v_mov_b32_dpp v33, v32 row_bcast:31 row_mask:0xf bank_mask:0xf
	v_cndmask_b32_e64 v33, 0, v33, s[2:3]
	v_add_u32_e32 v32, v32, v33
	s_and_saveexec_b64 s[0:1], s[4:5]
	s_cbranch_execz .LBB1715_347
; %bb.346:
	v_lshlrev_b32_e32 v33, 2, v51
	ds_write_b32 v33, v32
.LBB1715_347:
	s_or_b64 exec, exec, s[0:1]
	v_cmp_gt_u32_e32 vcc, 8, v0
	s_waitcnt lgkmcnt(0)
	s_barrier
	s_and_saveexec_b64 s[0:1], vcc
	s_cbranch_execz .LBB1715_349
; %bb.348:
	v_lshlrev_b32_e32 v33, 2, v0
	ds_read_b32 v34, v33
	v_and_b32_e32 v35, 7, v50
	v_cmp_ne_u32_e32 vcc, 0, v35
	s_waitcnt lgkmcnt(0)
	v_mov_b32_dpp v36, v34 row_shr:1 row_mask:0xf bank_mask:0xf
	v_cndmask_b32_e32 v36, 0, v36, vcc
	v_add_u32_e32 v34, v36, v34
	v_cmp_lt_u32_e32 vcc, 1, v35
	s_nop 0
	v_mov_b32_dpp v36, v34 row_shr:2 row_mask:0xf bank_mask:0xf
	v_cndmask_b32_e32 v36, 0, v36, vcc
	v_add_u32_e32 v34, v34, v36
	v_cmp_lt_u32_e32 vcc, 3, v35
	s_nop 0
	v_mov_b32_dpp v36, v34 row_shr:4 row_mask:0xf bank_mask:0xf
	v_cndmask_b32_e32 v35, 0, v36, vcc
	v_add_u32_e32 v34, v34, v35
	ds_write_b32 v33, v34
.LBB1715_349:
	s_or_b64 exec, exec, s[0:1]
	v_cmp_gt_u32_e32 vcc, 64, v0
	v_cmp_lt_u32_e64 s[0:1], 63, v0
	s_waitcnt lgkmcnt(0)
	s_barrier
	s_waitcnt lgkmcnt(0)
                                        ; implicit-def: $vgpr42
	s_and_saveexec_b64 s[16:17], s[0:1]
	s_cbranch_execz .LBB1715_351
; %bb.350:
	v_lshl_add_u32 v33, v51, 2, -4
	ds_read_b32 v42, v33
	s_waitcnt lgkmcnt(0)
	v_add_u32_e32 v32, v42, v32
.LBB1715_351:
	s_or_b64 exec, exec, s[16:17]
	v_add_u32_e32 v33, -1, v50
	v_and_b32_e32 v34, 64, v50
	v_cmp_lt_i32_e64 s[0:1], v33, v34
	v_cmp_eq_u32_e64 s[16:17], 0, v50
	s_nop 0
	v_cndmask_b32_e64 v33, v33, v50, s[0:1]
	v_lshlrev_b32_e32 v33, 2, v33
	ds_bpermute_b32 v44, v33, v32
	s_and_saveexec_b64 s[0:1], vcc
	s_cbranch_execz .LBB1715_374
; %bb.352:
	v_mov_b32_e32 v41, 0
	ds_read_b32 v32, v41 offset:28
	s_and_saveexec_b64 s[26:27], s[16:17]
	s_cbranch_execz .LBB1715_354
; %bb.353:
	s_add_i32 s36, s33, 64
	s_mov_b32 s37, 0
	s_lshl_b64 s[36:37], s[36:37], 3
	s_add_u32 s36, s38, s36
	v_mov_b32_e32 v33, 1
	s_addc_u32 s37, s39, s37
	s_waitcnt lgkmcnt(0)
	global_store_dwordx2 v41, v[32:33], s[36:37] sc1
.LBB1715_354:
	s_or_b64 exec, exec, s[26:27]
	v_xad_u32 v34, v50, -1, s33
	v_add_u32_e32 v40, 64, v34
	v_lshl_add_u64 v[36:37], v[40:41], 3, s[38:39]
	global_load_dwordx2 v[38:39], v[36:37], off sc1
	s_waitcnt vmcnt(0)
	v_cmp_eq_u16_sdwa s[36:37], v39, v41 src0_sel:BYTE_0 src1_sel:DWORD
	s_and_saveexec_b64 s[26:27], s[36:37]
	s_cbranch_execz .LBB1715_360
; %bb.355:
	s_mov_b32 s40, 1
	s_mov_b64 s[36:37], 0
	v_mov_b32_e32 v33, 0
.LBB1715_356:                           ; =>This Loop Header: Depth=1
                                        ;     Child Loop BB1715_357 Depth 2
	s_max_u32 s41, s40, 1
.LBB1715_357:                           ;   Parent Loop BB1715_356 Depth=1
                                        ; =>  This Inner Loop Header: Depth=2
	s_add_i32 s41, s41, -1
	s_cmp_eq_u32 s41, 0
	s_sleep 1
	s_cbranch_scc0 .LBB1715_357
; %bb.358:                              ;   in Loop: Header=BB1715_356 Depth=1
	global_load_dwordx2 v[38:39], v[36:37], off sc1
	s_cmp_lt_u32 s40, 32
	s_cselect_b64 s[42:43], -1, 0
	s_cmp_lg_u64 s[42:43], 0
	s_addc_u32 s40, s40, 0
	s_waitcnt vmcnt(0)
	v_cmp_ne_u16_sdwa s[42:43], v39, v33 src0_sel:BYTE_0 src1_sel:DWORD
	s_or_b64 s[36:37], s[42:43], s[36:37]
	s_andn2_b64 exec, exec, s[36:37]
	s_cbranch_execnz .LBB1715_356
; %bb.359:
	s_or_b64 exec, exec, s[36:37]
.LBB1715_360:
	s_or_b64 exec, exec, s[26:27]
	v_and_b32_e32 v46, 63, v50
	v_mov_b32_e32 v33, 2
	v_cmp_ne_u32_e32 vcc, 63, v46
	v_cmp_eq_u16_sdwa s[26:27], v39, v33 src0_sel:BYTE_0 src1_sel:DWORD
	v_lshlrev_b64 v[36:37], v50, -1
	v_addc_co_u32_e32 v41, vcc, 0, v50, vcc
	v_and_b32_e32 v35, s27, v37
	v_lshlrev_b32_e32 v53, 2, v41
	v_or_b32_e32 v35, 0x80000000, v35
	ds_bpermute_b32 v41, v53, v38
	v_and_b32_e32 v40, s26, v36
	v_ffbl_b32_e32 v35, v35
	v_add_u32_e32 v35, 32, v35
	v_ffbl_b32_e32 v40, v40
	v_min_u32_e32 v35, v40, v35
	v_cmp_lt_u32_e32 vcc, v46, v35
	v_add_u32_e32 v55, 2, v46
	v_add_u32_e32 v57, 4, v46
	s_waitcnt lgkmcnt(0)
	v_cndmask_b32_e32 v40, 0, v41, vcc
	v_cmp_gt_u32_e32 vcc, 62, v46
	v_add_u32_e32 v38, v40, v38
	v_add_u32_e32 v59, 8, v46
	v_cndmask_b32_e64 v40, 0, 1, vcc
	v_lshlrev_b32_e32 v40, 1, v40
	v_add_lshl_u32 v54, v40, v50, 2
	ds_bpermute_b32 v40, v54, v38
	v_cmp_le_u32_e32 vcc, v55, v35
	v_add_u32_e32 v62, 16, v46
	v_add_u32_e32 v64, 32, v46
	s_waitcnt lgkmcnt(0)
	v_cndmask_b32_e32 v40, 0, v40, vcc
	v_cmp_gt_u32_e32 vcc, 60, v46
	v_add_u32_e32 v38, v38, v40
	s_nop 0
	v_cndmask_b32_e64 v40, 0, 1, vcc
	v_lshlrev_b32_e32 v40, 2, v40
	v_add_lshl_u32 v56, v40, v50, 2
	ds_bpermute_b32 v40, v56, v38
	v_cmp_le_u32_e32 vcc, v57, v35
	s_waitcnt lgkmcnt(0)
	s_nop 0
	v_cndmask_b32_e32 v40, 0, v40, vcc
	v_cmp_gt_u32_e32 vcc, 56, v46
	v_add_u32_e32 v38, v38, v40
	s_nop 0
	v_cndmask_b32_e64 v40, 0, 1, vcc
	v_lshlrev_b32_e32 v40, 3, v40
	v_add_lshl_u32 v58, v40, v50, 2
	ds_bpermute_b32 v40, v58, v38
	v_cmp_le_u32_e32 vcc, v59, v35
	s_waitcnt lgkmcnt(0)
	s_nop 0
	v_cndmask_b32_e32 v40, 0, v40, vcc
	v_cmp_gt_u32_e32 vcc, 48, v46
	v_add_u32_e32 v38, v38, v40
	s_nop 0
	v_cndmask_b32_e64 v40, 0, 1, vcc
	v_lshlrev_b32_e32 v40, 4, v40
	v_add_lshl_u32 v61, v40, v50, 2
	ds_bpermute_b32 v40, v61, v38
	v_cmp_le_u32_e32 vcc, v62, v35
	s_waitcnt lgkmcnt(0)
	s_nop 0
	v_cndmask_b32_e32 v40, 0, v40, vcc
	v_cmp_gt_u32_e32 vcc, 32, v46
	v_add_u32_e32 v38, v38, v40
	s_nop 0
	v_cndmask_b32_e64 v40, 0, 1, vcc
	v_lshlrev_b32_e32 v40, 5, v40
	v_add_lshl_u32 v63, v40, v50, 2
	ds_bpermute_b32 v40, v63, v38
	v_cmp_le_u32_e32 vcc, v64, v35
	s_waitcnt lgkmcnt(0)
	s_nop 0
	v_cndmask_b32_e32 v35, 0, v40, vcc
	v_add_u32_e32 v38, v38, v35
	v_mov_b32_e32 v35, 0
	s_branch .LBB1715_362
.LBB1715_361:                           ;   in Loop: Header=BB1715_362 Depth=1
	s_or_b64 exec, exec, s[26:27]
	v_cmp_eq_u16_sdwa s[26:27], v39, v33 src0_sel:BYTE_0 src1_sel:DWORD
	ds_bpermute_b32 v65, v53, v38
	v_subrev_u32_e32 v34, 64, v34
	v_and_b32_e32 v40, s27, v37
	v_or_b32_e32 v40, 0x80000000, v40
	v_and_b32_e32 v41, s26, v36
	v_ffbl_b32_e32 v40, v40
	v_add_u32_e32 v40, 32, v40
	v_ffbl_b32_e32 v41, v41
	v_min_u32_e32 v40, v41, v40
	v_cmp_lt_u32_e32 vcc, v46, v40
	s_waitcnt lgkmcnt(0)
	s_nop 0
	v_cndmask_b32_e32 v41, 0, v65, vcc
	v_add_u32_e32 v38, v41, v38
	ds_bpermute_b32 v41, v54, v38
	v_cmp_le_u32_e32 vcc, v55, v40
	s_waitcnt lgkmcnt(0)
	s_nop 0
	v_cndmask_b32_e32 v41, 0, v41, vcc
	v_add_u32_e32 v38, v38, v41
	ds_bpermute_b32 v41, v56, v38
	v_cmp_le_u32_e32 vcc, v57, v40
	;; [unrolled: 6-line block ×5, first 2 shown]
	s_waitcnt lgkmcnt(0)
	s_nop 0
	v_cndmask_b32_e32 v40, 0, v41, vcc
	v_add3_u32 v38, v40, v60, v38
.LBB1715_362:                           ; =>This Loop Header: Depth=1
                                        ;     Child Loop BB1715_365 Depth 2
                                        ;       Child Loop BB1715_366 Depth 3
	v_cmp_ne_u16_sdwa s[26:27], v39, v33 src0_sel:BYTE_0 src1_sel:DWORD
	v_mov_b32_e32 v60, v38
	s_nop 0
	v_cndmask_b32_e64 v39, 0, 1, s[26:27]
	;;#ASMSTART
	;;#ASMEND
	s_nop 0
	v_cmp_ne_u32_e32 vcc, 0, v39
	s_cmp_lg_u64 vcc, exec
	s_cbranch_scc1 .LBB1715_369
; %bb.363:                              ;   in Loop: Header=BB1715_362 Depth=1
	v_lshl_add_u64 v[40:41], v[34:35], 3, s[38:39]
	global_load_dwordx2 v[38:39], v[40:41], off sc1
	s_waitcnt vmcnt(0)
	v_cmp_eq_u16_sdwa s[36:37], v39, v35 src0_sel:BYTE_0 src1_sel:DWORD
	s_and_saveexec_b64 s[26:27], s[36:37]
	s_cbranch_execz .LBB1715_361
; %bb.364:                              ;   in Loop: Header=BB1715_362 Depth=1
	s_mov_b32 s40, 1
	s_mov_b64 s[36:37], 0
.LBB1715_365:                           ;   Parent Loop BB1715_362 Depth=1
                                        ; =>  This Loop Header: Depth=2
                                        ;       Child Loop BB1715_366 Depth 3
	s_max_u32 s41, s40, 1
.LBB1715_366:                           ;   Parent Loop BB1715_362 Depth=1
                                        ;     Parent Loop BB1715_365 Depth=2
                                        ; =>    This Inner Loop Header: Depth=3
	s_add_i32 s41, s41, -1
	s_cmp_eq_u32 s41, 0
	s_sleep 1
	s_cbranch_scc0 .LBB1715_366
; %bb.367:                              ;   in Loop: Header=BB1715_365 Depth=2
	global_load_dwordx2 v[38:39], v[40:41], off sc1
	s_cmp_lt_u32 s40, 32
	s_cselect_b64 s[42:43], -1, 0
	s_cmp_lg_u64 s[42:43], 0
	s_addc_u32 s40, s40, 0
	s_waitcnt vmcnt(0)
	v_cmp_ne_u16_sdwa s[42:43], v39, v35 src0_sel:BYTE_0 src1_sel:DWORD
	s_or_b64 s[36:37], s[42:43], s[36:37]
	s_andn2_b64 exec, exec, s[36:37]
	s_cbranch_execnz .LBB1715_365
; %bb.368:                              ;   in Loop: Header=BB1715_362 Depth=1
	s_or_b64 exec, exec, s[36:37]
	s_branch .LBB1715_361
.LBB1715_369:                           ;   in Loop: Header=BB1715_362 Depth=1
                                        ; implicit-def: $vgpr38
                                        ; implicit-def: $vgpr39
	s_cbranch_execz .LBB1715_362
; %bb.370:
	s_and_saveexec_b64 s[26:27], s[16:17]
	s_cbranch_execz .LBB1715_372
; %bb.371:
	s_add_i32 s36, s33, 64
	s_mov_b32 s37, 0
	s_lshl_b64 s[36:37], s[36:37], 3
	s_add_u32 s36, s38, s36
	v_add_u32_e32 v34, v60, v32
	v_mov_b32_e32 v35, 2
	s_addc_u32 s37, s39, s37
	v_mov_b32_e32 v33, 0
	s_movk_i32 s33, 0x7000
	global_store_dwordx2 v33, v[34:35], s[36:37] sc1
	v_add_u32_e64 v33, s33, 0
	ds_write2_b32 v33, v32, v60 offset1:2
.LBB1715_372:
	s_or_b64 exec, exec, s[26:27]
	s_and_b64 exec, exec, s[18:19]
	s_cbranch_execz .LBB1715_374
; %bb.373:
	v_mov_b32_e32 v32, 0
	ds_write_b32 v32, v60 offset:28
.LBB1715_374:
	s_or_b64 exec, exec, s[0:1]
	v_mov_b32_e32 v32, 0
	s_waitcnt lgkmcnt(0)
	s_barrier
	ds_read_b32 v32, v32 offset:28
	v_cndmask_b32_e64 v33, v44, v42, s[16:17]
	v_cndmask_b32_e64 v33, v33, 0, s[18:19]
	s_movk_i32 s0, 0x7000
	s_waitcnt lgkmcnt(0)
	v_add_u32_e32 v46, v32, v33
	v_add_u32_e64 v32, s0, 0
	v_add_u32_e32 v44, v46, v1
	s_barrier
	ds_read2_b32 v[32:33], v32 offset1:2
	v_add_u32_e32 v42, v44, v43
	v_add_u32_e32 v40, v42, v45
	;; [unrolled: 1-line block ×5, first 2 shown]
	s_waitcnt lgkmcnt(0)
	v_readfirstlane_b32 s26, v32
	v_readfirstlane_b32 s16, v33
	v_lshrrev_b64 v[32:33], 24, v[30:31]
	s_branch .LBB1715_385
.LBB1715_375:
                                        ; implicit-def: $vgpr34
                                        ; implicit-def: $vgpr36
                                        ; implicit-def: $vgpr38
                                        ; implicit-def: $vgpr40
                                        ; implicit-def: $vgpr42
                                        ; implicit-def: $vgpr44
                                        ; implicit-def: $vgpr46
                                        ; implicit-def: $sgpr16
                                        ; implicit-def: $sgpr26
	v_lshrrev_b64 v[32:33], 24, v[30:31]
	s_cbranch_execz .LBB1715_385
; %bb.376:
	s_nop 0
	v_mov_b32_dpp v33, v52 row_shr:1 row_mask:0xf bank_mask:0xf
	v_cndmask_b32_e64 v33, v33, 0, s[14:15]
	v_add_u32_e32 v33, v33, v52
	s_nop 1
	v_mov_b32_dpp v34, v33 row_shr:2 row_mask:0xf bank_mask:0xf
	v_cndmask_b32_e64 v34, 0, v34, s[12:13]
	v_add_u32_e32 v33, v33, v34
	;; [unrolled: 4-line block ×4, first 2 shown]
	s_nop 1
	v_mov_b32_dpp v34, v33 row_bcast:15 row_mask:0xf bank_mask:0xf
	v_cndmask_b32_e64 v34, v34, 0, s[6:7]
	v_add_u32_e32 v33, v33, v34
	s_nop 1
	v_mov_b32_dpp v34, v33 row_bcast:31 row_mask:0xf bank_mask:0xf
	v_cndmask_b32_e64 v34, 0, v34, s[2:3]
	v_add_u32_e32 v33, v33, v34
	s_and_saveexec_b64 s[0:1], s[4:5]
	s_cbranch_execz .LBB1715_378
; %bb.377:
	v_lshlrev_b32_e32 v34, 2, v51
	ds_write_b32 v34, v33
.LBB1715_378:
	s_or_b64 exec, exec, s[0:1]
	v_cmp_gt_u32_e32 vcc, 8, v0
	s_waitcnt lgkmcnt(0)
	s_barrier
	s_and_saveexec_b64 s[0:1], vcc
	s_cbranch_execz .LBB1715_380
; %bb.379:
	v_lshlrev_b32_e32 v34, 2, v0
	ds_read_b32 v35, v34
	v_and_b32_e32 v36, 7, v50
	v_cmp_ne_u32_e32 vcc, 0, v36
	s_waitcnt lgkmcnt(0)
	v_mov_b32_dpp v37, v35 row_shr:1 row_mask:0xf bank_mask:0xf
	v_cndmask_b32_e32 v37, 0, v37, vcc
	v_add_u32_e32 v35, v37, v35
	v_cmp_lt_u32_e32 vcc, 1, v36
	s_nop 0
	v_mov_b32_dpp v37, v35 row_shr:2 row_mask:0xf bank_mask:0xf
	v_cndmask_b32_e32 v37, 0, v37, vcc
	v_add_u32_e32 v35, v35, v37
	v_cmp_lt_u32_e32 vcc, 3, v36
	s_nop 0
	v_mov_b32_dpp v37, v35 row_shr:4 row_mask:0xf bank_mask:0xf
	v_cndmask_b32_e32 v36, 0, v37, vcc
	v_add_u32_e32 v35, v35, v36
	ds_write_b32 v34, v35
.LBB1715_380:
	s_or_b64 exec, exec, s[0:1]
	v_cmp_lt_u32_e32 vcc, 63, v0
	v_mov_b32_e32 v35, 0
	v_mov_b32_e32 v34, 0
	s_waitcnt lgkmcnt(0)
	s_barrier
	s_and_saveexec_b64 s[0:1], vcc
	s_cbranch_execz .LBB1715_382
; %bb.381:
	v_lshl_add_u32 v34, v51, 2, -4
	ds_read_b32 v34, v34
.LBB1715_382:
	s_or_b64 exec, exec, s[0:1]
	v_add_u32_e32 v36, -1, v50
	v_and_b32_e32 v37, 64, v50
	v_cmp_lt_i32_e32 vcc, v36, v37
	s_waitcnt lgkmcnt(0)
	v_add_u32_e32 v33, v34, v33
	ds_read_b32 v35, v35 offset:28
	v_cndmask_b32_e32 v36, v36, v50, vcc
	v_lshlrev_b32_e32 v36, 2, v36
	ds_bpermute_b32 v33, v36, v33
	s_waitcnt lgkmcnt(1)
	v_readfirstlane_b32 s26, v35
	s_and_saveexec_b64 s[0:1], s[18:19]
	s_cbranch_execz .LBB1715_384
; %bb.383:
	v_mov_b32_e32 v35, 0
	v_mov_b32_e32 v36, s26
	;; [unrolled: 1-line block ×3, first 2 shown]
	global_store_dwordx2 v35, v[36:37], s[38:39] offset:512 sc1
.LBB1715_384:
	s_or_b64 exec, exec, s[0:1]
	v_cmp_eq_u32_e32 vcc, 0, v50
	s_mov_b32 s16, 0
	s_waitcnt lgkmcnt(0)
	v_cndmask_b32_e32 v33, v33, v34, vcc
	v_cndmask_b32_e64 v46, v33, 0, s[18:19]
	v_add_u32_e32 v44, v46, v1
	v_add_u32_e32 v42, v44, v43
	;; [unrolled: 1-line block ×6, first 2 shown]
	s_barrier
.LBB1715_385:
	s_cmpk_lt_u32 s26, 0x201
	s_cselect_b64 s[2:3], -1, 0
	v_lshrrev_b32_e32 v33, 8, v30
	v_lshrrev_b32_e32 v1, 8, v31
	s_mov_b64 s[0:1], -1
	s_and_b64 vcc, exec, s[2:3]
	s_cbranch_vccz .LBB1715_408
; %bb.386:
	s_add_i32 s4, s16, s26
	v_cmp_gt_u32_e32 vcc, s4, v46
	s_or_b64 s[6:7], s[34:35], vcc
	s_and_saveexec_b64 s[0:1], s[6:7]
	s_cbranch_execz .LBB1715_389
; %bb.387:
	v_and_b32_e32 v35, 1, v30
	v_cmp_eq_u32_e32 vcc, 1, v35
	s_and_b64 exec, exec, vcc
	s_cbranch_execz .LBB1715_389
; %bb.388:
	s_lshl_b64 s[6:7], s[22:23], 3
	s_add_u32 s6, s28, s6
	s_addc_u32 s7, s29, s7
	v_mov_b32_e32 v47, 0
	v_lshl_add_u64 v[48:49], v[46:47], 3, s[6:7]
	global_store_dwordx2 v[48:49], v[22:23], off
.LBB1715_389:
	s_or_b64 exec, exec, s[0:1]
	v_cmp_gt_u32_e32 vcc, s4, v44
	s_or_b64 s[6:7], s[34:35], vcc
	s_and_saveexec_b64 s[0:1], s[6:7]
	s_cbranch_execz .LBB1715_392
; %bb.390:
	v_and_b32_e32 v35, 1, v33
	v_cmp_eq_u32_e32 vcc, 1, v35
	s_and_b64 exec, exec, vcc
	s_cbranch_execz .LBB1715_392
; %bb.391:
	s_lshl_b64 s[6:7], s[22:23], 3
	s_add_u32 s6, s28, s6
	s_addc_u32 s7, s29, s7
	v_mov_b32_e32 v45, 0
	v_lshl_add_u64 v[48:49], v[44:45], 3, s[6:7]
	global_store_dwordx2 v[48:49], v[24:25], off
.LBB1715_392:
	s_or_b64 exec, exec, s[0:1]
	v_cmp_gt_u32_e32 vcc, s4, v42
	s_or_b64 s[6:7], s[34:35], vcc
	s_and_saveexec_b64 s[0:1], s[6:7]
	s_cbranch_execz .LBB1715_395
; %bb.393:
	v_mov_b32_e32 v35, 1
	v_and_b32_sdwa v35, v35, v30 dst_sel:DWORD dst_unused:UNUSED_PAD src0_sel:DWORD src1_sel:WORD_1
	v_cmp_eq_u32_e32 vcc, 1, v35
	s_and_b64 exec, exec, vcc
	s_cbranch_execz .LBB1715_395
; %bb.394:
	s_lshl_b64 s[6:7], s[22:23], 3
	s_add_u32 s6, s28, s6
	s_addc_u32 s7, s29, s7
	v_mov_b32_e32 v43, 0
	v_lshl_add_u64 v[48:49], v[42:43], 3, s[6:7]
	global_store_dwordx2 v[48:49], v[18:19], off
.LBB1715_395:
	s_or_b64 exec, exec, s[0:1]
	v_cmp_gt_u32_e32 vcc, s4, v40
	s_or_b64 s[6:7], s[34:35], vcc
	s_and_saveexec_b64 s[0:1], s[6:7]
	s_cbranch_execz .LBB1715_398
; %bb.396:
	v_and_b32_e32 v35, 1, v32
	v_cmp_eq_u32_e32 vcc, 1, v35
	s_and_b64 exec, exec, vcc
	s_cbranch_execz .LBB1715_398
; %bb.397:
	s_lshl_b64 s[6:7], s[22:23], 3
	s_add_u32 s6, s28, s6
	s_addc_u32 s7, s29, s7
	v_mov_b32_e32 v41, 0
	v_lshl_add_u64 v[48:49], v[40:41], 3, s[6:7]
	global_store_dwordx2 v[48:49], v[20:21], off
.LBB1715_398:
	s_or_b64 exec, exec, s[0:1]
	v_cmp_gt_u32_e32 vcc, s4, v38
	s_or_b64 s[6:7], s[34:35], vcc
	s_and_saveexec_b64 s[0:1], s[6:7]
	s_cbranch_execz .LBB1715_401
; %bb.399:
	v_and_b32_e32 v35, 1, v31
	v_cmp_eq_u32_e32 vcc, 1, v35
	s_and_b64 exec, exec, vcc
	s_cbranch_execz .LBB1715_401
; %bb.400:
	s_lshl_b64 s[6:7], s[22:23], 3
	s_add_u32 s6, s28, s6
	s_addc_u32 s7, s29, s7
	v_mov_b32_e32 v39, 0
	v_lshl_add_u64 v[48:49], v[38:39], 3, s[6:7]
	global_store_dwordx2 v[48:49], v[14:15], off
.LBB1715_401:
	;; [unrolled: 18-line block ×3, first 2 shown]
	s_or_b64 exec, exec, s[0:1]
	v_cmp_gt_u32_e32 vcc, s4, v34
	s_or_b64 s[4:5], s[34:35], vcc
	s_and_saveexec_b64 s[0:1], s[4:5]
	s_cbranch_execz .LBB1715_407
; %bb.405:
	v_mov_b32_e32 v35, 1
	v_and_b32_sdwa v35, v35, v31 dst_sel:DWORD dst_unused:UNUSED_PAD src0_sel:DWORD src1_sel:WORD_1
	v_cmp_eq_u32_e32 vcc, 1, v35
	s_and_b64 exec, exec, vcc
	s_cbranch_execz .LBB1715_407
; %bb.406:
	s_lshl_b64 s[4:5], s[22:23], 3
	s_add_u32 s4, s28, s4
	s_addc_u32 s5, s29, s5
	v_mov_b32_e32 v35, 0
	v_lshl_add_u64 v[48:49], v[34:35], 3, s[4:5]
	global_store_dwordx2 v[48:49], v[28:29], off
.LBB1715_407:
	s_or_b64 exec, exec, s[0:1]
	s_mov_b64 s[0:1], 0
.LBB1715_408:
	v_and_b32_e32 v48, 1, v30
	s_and_b64 vcc, exec, s[0:1]
	v_cmp_eq_u32_e64 s[0:1], 1, v48
	s_cbranch_vccz .LBB1715_427
; %bb.409:
	s_and_saveexec_b64 s[4:5], s[0:1]
	s_cbranch_execz .LBB1715_411
; %bb.410:
	v_subrev_u32_e32 v35, s16, v46
	v_lshlrev_b32_e32 v35, 3, v35
	ds_write_b64 v35, v[22:23]
.LBB1715_411:
	s_or_b64 exec, exec, s[4:5]
	v_and_b32_e32 v22, 1, v33
	v_cmp_eq_u32_e32 vcc, 1, v22
	s_and_saveexec_b64 s[0:1], vcc
	s_cbranch_execz .LBB1715_413
; %bb.412:
	v_subrev_u32_e32 v22, s16, v44
	v_lshlrev_b32_e32 v22, 3, v22
	ds_write_b64 v22, v[24:25]
.LBB1715_413:
	s_or_b64 exec, exec, s[0:1]
	v_mov_b32_e32 v22, 1
	v_and_b32_sdwa v22, v22, v30 dst_sel:DWORD dst_unused:UNUSED_PAD src0_sel:DWORD src1_sel:WORD_1
	v_cmp_eq_u32_e32 vcc, 1, v22
	s_and_saveexec_b64 s[0:1], vcc
	s_cbranch_execz .LBB1715_415
; %bb.414:
	v_subrev_u32_e32 v22, s16, v42
	v_lshlrev_b32_e32 v22, 3, v22
	ds_write_b64 v22, v[18:19]
.LBB1715_415:
	s_or_b64 exec, exec, s[0:1]
	v_and_b32_e32 v18, 1, v32
	v_cmp_eq_u32_e32 vcc, 1, v18
	s_and_saveexec_b64 s[0:1], vcc
	s_cbranch_execz .LBB1715_417
; %bb.416:
	v_subrev_u32_e32 v18, s16, v40
	v_lshlrev_b32_e32 v18, 3, v18
	ds_write_b64 v18, v[20:21]
.LBB1715_417:
	s_or_b64 exec, exec, s[0:1]
	v_and_b32_e32 v18, 1, v31
	;; [unrolled: 10-line block ×3, first 2 shown]
	v_cmp_eq_u32_e32 vcc, 1, v14
	s_and_saveexec_b64 s[0:1], vcc
	s_cbranch_execz .LBB1715_421
; %bb.420:
	v_subrev_u32_e32 v14, s16, v36
	v_lshlrev_b32_e32 v14, 3, v14
	ds_write_b64 v14, v[16:17]
.LBB1715_421:
	s_or_b64 exec, exec, s[0:1]
	v_mov_b32_e32 v14, 1
	v_and_b32_sdwa v14, v14, v31 dst_sel:DWORD dst_unused:UNUSED_PAD src0_sel:DWORD src1_sel:WORD_1
	v_cmp_eq_u32_e32 vcc, 1, v14
	s_and_saveexec_b64 s[0:1], vcc
	s_cbranch_execz .LBB1715_423
; %bb.422:
	v_subrev_u32_e32 v14, s16, v34
	v_lshlrev_b32_e32 v14, 3, v14
	ds_write_b64 v14, v[28:29]
.LBB1715_423:
	s_or_b64 exec, exec, s[0:1]
	v_cmp_gt_u32_e32 vcc, s26, v0
	s_waitcnt lgkmcnt(0)
	s_barrier
	s_and_saveexec_b64 s[0:1], vcc
	s_cbranch_execz .LBB1715_426
; %bb.424:
	s_mov_b32 s17, 0
	s_lshl_b64 s[4:5], s[22:23], 3
	s_lshl_b64 s[6:7], s[16:17], 3
	s_add_u32 s4, s4, s6
	s_addc_u32 s5, s5, s7
	s_add_u32 s4, s28, s4
	v_lshlrev_b32_e32 v14, 3, v0
	v_mov_b32_e32 v15, 0
	s_addc_u32 s5, s29, s5
	v_lshl_add_u64 v[16:17], s[4:5], 0, v[14:15]
	s_mov_b64 s[4:5], 0
	s_mov_b64 s[6:7], 0x1000
	v_mov_b32_e32 v15, v0
.LBB1715_425:                           ; =>This Inner Loop Header: Depth=1
	ds_read_b64 v[18:19], v14
	v_add_u32_e32 v15, 0x200, v15
	v_cmp_le_u32_e32 vcc, s26, v15
	v_add_u32_e32 v14, 0x1000, v14
	s_or_b64 s[4:5], vcc, s[4:5]
	s_waitcnt lgkmcnt(0)
	global_store_dwordx2 v[16:17], v[18:19], off
	v_lshl_add_u64 v[16:17], v[16:17], 0, s[6:7]
	s_andn2_b64 exec, exec, s[4:5]
	s_cbranch_execnz .LBB1715_425
.LBB1715_426:
	s_or_b64 exec, exec, s[0:1]
.LBB1715_427:
	s_mov_b64 s[0:1], -1
	s_and_b64 vcc, exec, s[2:3]
	s_barrier
	s_cbranch_vccnz .LBB1715_431
; %bb.428:
	s_and_b64 vcc, exec, s[0:1]
	s_cbranch_vccnz .LBB1715_453
.LBB1715_429:
	s_and_b64 s[0:1], s[18:19], s[24:25]
	s_and_saveexec_b64 s[2:3], s[0:1]
	s_cbranch_execnz .LBB1715_471
.LBB1715_430:
	s_endpgm
.LBB1715_431:
	s_add_i32 s2, s16, s26
	v_cmp_gt_u32_e32 vcc, s2, v46
	s_or_b64 s[4:5], s[34:35], vcc
	s_and_saveexec_b64 s[0:1], s[4:5]
	s_cbranch_execz .LBB1715_434
; %bb.432:
	v_cmp_eq_u32_e32 vcc, 1, v48
	s_and_b64 exec, exec, vcc
	s_cbranch_execz .LBB1715_434
; %bb.433:
	s_lshl_b64 s[4:5], s[22:23], 3
	s_add_u32 s4, s30, s4
	s_addc_u32 s5, s31, s5
	v_mov_b32_e32 v47, 0
	v_lshl_add_u64 v[14:15], v[46:47], 3, s[4:5]
	global_store_dwordx2 v[14:15], v[10:11], off
.LBB1715_434:
	s_or_b64 exec, exec, s[0:1]
	v_cmp_gt_u32_e32 vcc, s2, v44
	s_or_b64 s[4:5], s[34:35], vcc
	s_and_saveexec_b64 s[0:1], s[4:5]
	s_cbranch_execz .LBB1715_437
; %bb.435:
	v_and_b32_e32 v14, 1, v33
	v_cmp_eq_u32_e32 vcc, 1, v14
	s_and_b64 exec, exec, vcc
	s_cbranch_execz .LBB1715_437
; %bb.436:
	s_lshl_b64 s[4:5], s[22:23], 3
	s_add_u32 s4, s30, s4
	s_addc_u32 s5, s31, s5
	v_mov_b32_e32 v45, 0
	v_lshl_add_u64 v[14:15], v[44:45], 3, s[4:5]
	global_store_dwordx2 v[14:15], v[12:13], off
.LBB1715_437:
	s_or_b64 exec, exec, s[0:1]
	v_cmp_gt_u32_e32 vcc, s2, v42
	s_or_b64 s[4:5], s[34:35], vcc
	s_and_saveexec_b64 s[0:1], s[4:5]
	s_cbranch_execz .LBB1715_440
; %bb.438:
	v_mov_b32_e32 v14, 1
	v_and_b32_sdwa v14, v14, v30 dst_sel:DWORD dst_unused:UNUSED_PAD src0_sel:DWORD src1_sel:WORD_1
	v_cmp_eq_u32_e32 vcc, 1, v14
	s_and_b64 exec, exec, vcc
	s_cbranch_execz .LBB1715_440
; %bb.439:
	s_lshl_b64 s[4:5], s[22:23], 3
	s_add_u32 s4, s30, s4
	s_addc_u32 s5, s31, s5
	v_mov_b32_e32 v43, 0
	v_lshl_add_u64 v[14:15], v[42:43], 3, s[4:5]
	global_store_dwordx2 v[14:15], v[6:7], off
.LBB1715_440:
	s_or_b64 exec, exec, s[0:1]
	v_cmp_gt_u32_e32 vcc, s2, v40
	s_or_b64 s[4:5], s[34:35], vcc
	s_and_saveexec_b64 s[0:1], s[4:5]
	s_cbranch_execz .LBB1715_443
; %bb.441:
	v_and_b32_e32 v14, 1, v32
	v_cmp_eq_u32_e32 vcc, 1, v14
	s_and_b64 exec, exec, vcc
	s_cbranch_execz .LBB1715_443
; %bb.442:
	s_lshl_b64 s[4:5], s[22:23], 3
	s_add_u32 s4, s30, s4
	s_addc_u32 s5, s31, s5
	v_mov_b32_e32 v41, 0
	v_lshl_add_u64 v[14:15], v[40:41], 3, s[4:5]
	global_store_dwordx2 v[14:15], v[8:9], off
.LBB1715_443:
	s_or_b64 exec, exec, s[0:1]
	v_cmp_gt_u32_e32 vcc, s2, v38
	s_or_b64 s[4:5], s[34:35], vcc
	s_and_saveexec_b64 s[0:1], s[4:5]
	s_cbranch_execz .LBB1715_446
; %bb.444:
	v_and_b32_e32 v14, 1, v31
	v_cmp_eq_u32_e32 vcc, 1, v14
	s_and_b64 exec, exec, vcc
	s_cbranch_execz .LBB1715_446
; %bb.445:
	s_lshl_b64 s[4:5], s[22:23], 3
	s_add_u32 s4, s30, s4
	s_addc_u32 s5, s31, s5
	v_mov_b32_e32 v39, 0
	v_lshl_add_u64 v[14:15], v[38:39], 3, s[4:5]
	global_store_dwordx2 v[14:15], v[2:3], off
.LBB1715_446:
	;; [unrolled: 18-line block ×3, first 2 shown]
	s_or_b64 exec, exec, s[0:1]
	v_cmp_gt_u32_e32 vcc, s2, v34
	s_or_b64 s[2:3], s[34:35], vcc
	s_and_saveexec_b64 s[0:1], s[2:3]
	s_cbranch_execz .LBB1715_452
; %bb.450:
	v_mov_b32_e32 v14, 1
	v_and_b32_sdwa v14, v14, v31 dst_sel:DWORD dst_unused:UNUSED_PAD src0_sel:DWORD src1_sel:WORD_1
	v_cmp_eq_u32_e32 vcc, 1, v14
	s_and_b64 exec, exec, vcc
	s_cbranch_execz .LBB1715_452
; %bb.451:
	s_lshl_b64 s[2:3], s[22:23], 3
	s_add_u32 s2, s30, s2
	s_addc_u32 s3, s31, s3
	v_mov_b32_e32 v35, 0
	v_lshl_add_u64 v[14:15], v[34:35], 3, s[2:3]
	global_store_dwordx2 v[14:15], v[26:27], off
.LBB1715_452:
	s_or_b64 exec, exec, s[0:1]
	s_branch .LBB1715_429
.LBB1715_453:
	v_cmp_eq_u32_e32 vcc, 1, v48
	s_and_saveexec_b64 s[0:1], vcc
	s_cbranch_execz .LBB1715_455
; %bb.454:
	v_subrev_u32_e32 v14, s16, v46
	v_lshlrev_b32_e32 v14, 3, v14
	ds_write_b64 v14, v[10:11]
.LBB1715_455:
	s_or_b64 exec, exec, s[0:1]
	v_and_b32_e32 v10, 1, v33
	v_cmp_eq_u32_e32 vcc, 1, v10
	s_and_saveexec_b64 s[0:1], vcc
	s_cbranch_execz .LBB1715_457
; %bb.456:
	v_subrev_u32_e32 v10, s16, v44
	v_lshlrev_b32_e32 v10, 3, v10
	ds_write_b64 v10, v[12:13]
.LBB1715_457:
	s_or_b64 exec, exec, s[0:1]
	v_mov_b32_e32 v10, 1
	v_and_b32_sdwa v10, v10, v30 dst_sel:DWORD dst_unused:UNUSED_PAD src0_sel:DWORD src1_sel:WORD_1
	v_cmp_eq_u32_e32 vcc, 1, v10
	s_and_saveexec_b64 s[0:1], vcc
	s_cbranch_execz .LBB1715_459
; %bb.458:
	v_subrev_u32_e32 v10, s16, v42
	v_lshlrev_b32_e32 v10, 3, v10
	ds_write_b64 v10, v[6:7]
.LBB1715_459:
	s_or_b64 exec, exec, s[0:1]
	v_and_b32_e32 v6, 1, v32
	v_cmp_eq_u32_e32 vcc, 1, v6
	s_and_saveexec_b64 s[0:1], vcc
	s_cbranch_execz .LBB1715_461
; %bb.460:
	v_subrev_u32_e32 v6, s16, v40
	v_lshlrev_b32_e32 v6, 3, v6
	ds_write_b64 v6, v[8:9]
.LBB1715_461:
	s_or_b64 exec, exec, s[0:1]
	v_and_b32_e32 v6, 1, v31
	;; [unrolled: 10-line block ×3, first 2 shown]
	v_cmp_eq_u32_e32 vcc, 1, v1
	s_and_saveexec_b64 s[0:1], vcc
	s_cbranch_execz .LBB1715_465
; %bb.464:
	v_subrev_u32_e32 v1, s16, v36
	v_lshlrev_b32_e32 v1, 3, v1
	ds_write_b64 v1, v[4:5]
.LBB1715_465:
	s_or_b64 exec, exec, s[0:1]
	v_mov_b32_e32 v1, 1
	v_and_b32_sdwa v1, v1, v31 dst_sel:DWORD dst_unused:UNUSED_PAD src0_sel:DWORD src1_sel:WORD_1
	v_cmp_eq_u32_e32 vcc, 1, v1
	s_and_saveexec_b64 s[0:1], vcc
	s_cbranch_execz .LBB1715_467
; %bb.466:
	v_subrev_u32_e32 v1, s16, v34
	v_lshlrev_b32_e32 v1, 3, v1
	ds_write_b64 v1, v[26:27]
.LBB1715_467:
	s_or_b64 exec, exec, s[0:1]
	v_cmp_gt_u32_e32 vcc, s26, v0
	s_waitcnt lgkmcnt(0)
	s_barrier
	s_and_saveexec_b64 s[0:1], vcc
	s_cbranch_execz .LBB1715_470
; %bb.468:
	s_mov_b32 s17, 0
	s_lshl_b64 s[2:3], s[22:23], 3
	s_lshl_b64 s[4:5], s[16:17], 3
	s_add_u32 s2, s2, s4
	s_addc_u32 s3, s3, s5
	s_add_u32 s2, s30, s2
	v_lshlrev_b32_e32 v2, 3, v0
	v_mov_b32_e32 v3, 0
	s_addc_u32 s3, s31, s3
	v_lshl_add_u64 v[4:5], s[2:3], 0, v[2:3]
	s_mov_b64 s[2:3], 0
	s_mov_b64 s[4:5], 0x1000
.LBB1715_469:                           ; =>This Inner Loop Header: Depth=1
	ds_read_b64 v[6:7], v2
	v_add_u32_e32 v0, 0x200, v0
	v_cmp_le_u32_e32 vcc, s26, v0
	v_add_u32_e32 v2, 0x1000, v2
	s_or_b64 s[2:3], vcc, s[2:3]
	s_waitcnt lgkmcnt(0)
	global_store_dwordx2 v[4:5], v[6:7], off
	v_lshl_add_u64 v[4:5], v[4:5], 0, s[4:5]
	s_andn2_b64 exec, exec, s[2:3]
	s_cbranch_execnz .LBB1715_469
.LBB1715_470:
	s_or_b64 exec, exec, s[0:1]
	s_and_b64 s[0:1], s[18:19], s[24:25]
	s_and_saveexec_b64 s[2:3], s[0:1]
	s_cbranch_execz .LBB1715_430
.LBB1715_471:
	s_add_u32 s0, s22, s26
	s_addc_u32 s1, s23, 0
	s_add_u32 s0, s0, s16
	s_addc_u32 s1, s1, 0
	v_mov_b32_e32 v2, 0
	v_mov_b64_e32 v[0:1], s[0:1]
	global_store_dwordx2 v2, v[0:1], s[20:21]
	s_endpgm
	.section	.rodata,"a",@progbits
	.p2align	6, 0x0
	.amdhsa_kernel _ZN7rocprim17ROCPRIM_400000_NS6detail17trampoline_kernelINS0_14default_configENS1_25partition_config_selectorILNS1_17partition_subalgoE9EllbEEZZNS1_14partition_implILS5_9ELb0ES3_jPlS8_PNS0_10empty_typeENS0_5tupleIJS8_S9_EEENSB_IJS8_SA_EEENS0_18inequality_wrapperIZN2at6native12_GLOBAL__N_124unique_dim_cuda_templateImEESt5tupleIJNSF_6TensorESK_SK_EERKSK_lbbbEUlllE0_EEPmJS9_EEE10hipError_tPvRmT3_T4_T5_T6_T7_T9_mT8_P12ihipStream_tbDpT10_ENKUlT_T0_E_clISt17integral_constantIbLb1EES1A_EEDaS15_S16_EUlS15_E_NS1_11comp_targetILNS1_3genE5ELNS1_11target_archE942ELNS1_3gpuE9ELNS1_3repE0EEENS1_30default_config_static_selectorELNS0_4arch9wavefront6targetE1EEEvT1_
		.amdhsa_group_segment_fixed_size 28684
		.amdhsa_private_segment_fixed_size 0
		.amdhsa_kernarg_size 136
		.amdhsa_user_sgpr_count 2
		.amdhsa_user_sgpr_dispatch_ptr 0
		.amdhsa_user_sgpr_queue_ptr 0
		.amdhsa_user_sgpr_kernarg_segment_ptr 1
		.amdhsa_user_sgpr_dispatch_id 0
		.amdhsa_user_sgpr_kernarg_preload_length 0
		.amdhsa_user_sgpr_kernarg_preload_offset 0
		.amdhsa_user_sgpr_private_segment_size 0
		.amdhsa_uses_dynamic_stack 0
		.amdhsa_enable_private_segment 0
		.amdhsa_system_sgpr_workgroup_id_x 1
		.amdhsa_system_sgpr_workgroup_id_y 0
		.amdhsa_system_sgpr_workgroup_id_z 0
		.amdhsa_system_sgpr_workgroup_info 0
		.amdhsa_system_vgpr_workitem_id 0
		.amdhsa_next_free_vgpr 66
		.amdhsa_next_free_sgpr 58
		.amdhsa_accum_offset 68
		.amdhsa_reserve_vcc 1
		.amdhsa_float_round_mode_32 0
		.amdhsa_float_round_mode_16_64 0
		.amdhsa_float_denorm_mode_32 3
		.amdhsa_float_denorm_mode_16_64 3
		.amdhsa_dx10_clamp 1
		.amdhsa_ieee_mode 1
		.amdhsa_fp16_overflow 0
		.amdhsa_tg_split 0
		.amdhsa_exception_fp_ieee_invalid_op 0
		.amdhsa_exception_fp_denorm_src 0
		.amdhsa_exception_fp_ieee_div_zero 0
		.amdhsa_exception_fp_ieee_overflow 0
		.amdhsa_exception_fp_ieee_underflow 0
		.amdhsa_exception_fp_ieee_inexact 0
		.amdhsa_exception_int_div_zero 0
	.end_amdhsa_kernel
	.section	.text._ZN7rocprim17ROCPRIM_400000_NS6detail17trampoline_kernelINS0_14default_configENS1_25partition_config_selectorILNS1_17partition_subalgoE9EllbEEZZNS1_14partition_implILS5_9ELb0ES3_jPlS8_PNS0_10empty_typeENS0_5tupleIJS8_S9_EEENSB_IJS8_SA_EEENS0_18inequality_wrapperIZN2at6native12_GLOBAL__N_124unique_dim_cuda_templateImEESt5tupleIJNSF_6TensorESK_SK_EERKSK_lbbbEUlllE0_EEPmJS9_EEE10hipError_tPvRmT3_T4_T5_T6_T7_T9_mT8_P12ihipStream_tbDpT10_ENKUlT_T0_E_clISt17integral_constantIbLb1EES1A_EEDaS15_S16_EUlS15_E_NS1_11comp_targetILNS1_3genE5ELNS1_11target_archE942ELNS1_3gpuE9ELNS1_3repE0EEENS1_30default_config_static_selectorELNS0_4arch9wavefront6targetE1EEEvT1_,"axG",@progbits,_ZN7rocprim17ROCPRIM_400000_NS6detail17trampoline_kernelINS0_14default_configENS1_25partition_config_selectorILNS1_17partition_subalgoE9EllbEEZZNS1_14partition_implILS5_9ELb0ES3_jPlS8_PNS0_10empty_typeENS0_5tupleIJS8_S9_EEENSB_IJS8_SA_EEENS0_18inequality_wrapperIZN2at6native12_GLOBAL__N_124unique_dim_cuda_templateImEESt5tupleIJNSF_6TensorESK_SK_EERKSK_lbbbEUlllE0_EEPmJS9_EEE10hipError_tPvRmT3_T4_T5_T6_T7_T9_mT8_P12ihipStream_tbDpT10_ENKUlT_T0_E_clISt17integral_constantIbLb1EES1A_EEDaS15_S16_EUlS15_E_NS1_11comp_targetILNS1_3genE5ELNS1_11target_archE942ELNS1_3gpuE9ELNS1_3repE0EEENS1_30default_config_static_selectorELNS0_4arch9wavefront6targetE1EEEvT1_,comdat
.Lfunc_end1715:
	.size	_ZN7rocprim17ROCPRIM_400000_NS6detail17trampoline_kernelINS0_14default_configENS1_25partition_config_selectorILNS1_17partition_subalgoE9EllbEEZZNS1_14partition_implILS5_9ELb0ES3_jPlS8_PNS0_10empty_typeENS0_5tupleIJS8_S9_EEENSB_IJS8_SA_EEENS0_18inequality_wrapperIZN2at6native12_GLOBAL__N_124unique_dim_cuda_templateImEESt5tupleIJNSF_6TensorESK_SK_EERKSK_lbbbEUlllE0_EEPmJS9_EEE10hipError_tPvRmT3_T4_T5_T6_T7_T9_mT8_P12ihipStream_tbDpT10_ENKUlT_T0_E_clISt17integral_constantIbLb1EES1A_EEDaS15_S16_EUlS15_E_NS1_11comp_targetILNS1_3genE5ELNS1_11target_archE942ELNS1_3gpuE9ELNS1_3repE0EEENS1_30default_config_static_selectorELNS0_4arch9wavefront6targetE1EEEvT1_, .Lfunc_end1715-_ZN7rocprim17ROCPRIM_400000_NS6detail17trampoline_kernelINS0_14default_configENS1_25partition_config_selectorILNS1_17partition_subalgoE9EllbEEZZNS1_14partition_implILS5_9ELb0ES3_jPlS8_PNS0_10empty_typeENS0_5tupleIJS8_S9_EEENSB_IJS8_SA_EEENS0_18inequality_wrapperIZN2at6native12_GLOBAL__N_124unique_dim_cuda_templateImEESt5tupleIJNSF_6TensorESK_SK_EERKSK_lbbbEUlllE0_EEPmJS9_EEE10hipError_tPvRmT3_T4_T5_T6_T7_T9_mT8_P12ihipStream_tbDpT10_ENKUlT_T0_E_clISt17integral_constantIbLb1EES1A_EEDaS15_S16_EUlS15_E_NS1_11comp_targetILNS1_3genE5ELNS1_11target_archE942ELNS1_3gpuE9ELNS1_3repE0EEENS1_30default_config_static_selectorELNS0_4arch9wavefront6targetE1EEEvT1_
                                        ; -- End function
	.section	.AMDGPU.csdata,"",@progbits
; Kernel info:
; codeLenInByte = 14564
; NumSgprs: 64
; NumVgprs: 66
; NumAgprs: 0
; TotalNumVgprs: 66
; ScratchSize: 0
; MemoryBound: 1
; FloatMode: 240
; IeeeMode: 1
; LDSByteSize: 28684 bytes/workgroup (compile time only)
; SGPRBlocks: 7
; VGPRBlocks: 8
; NumSGPRsForWavesPerEU: 64
; NumVGPRsForWavesPerEU: 66
; AccumOffset: 68
; Occupancy: 4
; WaveLimiterHint : 1
; COMPUTE_PGM_RSRC2:SCRATCH_EN: 0
; COMPUTE_PGM_RSRC2:USER_SGPR: 2
; COMPUTE_PGM_RSRC2:TRAP_HANDLER: 0
; COMPUTE_PGM_RSRC2:TGID_X_EN: 1
; COMPUTE_PGM_RSRC2:TGID_Y_EN: 0
; COMPUTE_PGM_RSRC2:TGID_Z_EN: 0
; COMPUTE_PGM_RSRC2:TIDIG_COMP_CNT: 0
; COMPUTE_PGM_RSRC3_GFX90A:ACCUM_OFFSET: 16
; COMPUTE_PGM_RSRC3_GFX90A:TG_SPLIT: 0
	.section	.text._ZN7rocprim17ROCPRIM_400000_NS6detail17trampoline_kernelINS0_14default_configENS1_25partition_config_selectorILNS1_17partition_subalgoE9EllbEEZZNS1_14partition_implILS5_9ELb0ES3_jPlS8_PNS0_10empty_typeENS0_5tupleIJS8_S9_EEENSB_IJS8_SA_EEENS0_18inequality_wrapperIZN2at6native12_GLOBAL__N_124unique_dim_cuda_templateImEESt5tupleIJNSF_6TensorESK_SK_EERKSK_lbbbEUlllE0_EEPmJS9_EEE10hipError_tPvRmT3_T4_T5_T6_T7_T9_mT8_P12ihipStream_tbDpT10_ENKUlT_T0_E_clISt17integral_constantIbLb1EES1A_EEDaS15_S16_EUlS15_E_NS1_11comp_targetILNS1_3genE4ELNS1_11target_archE910ELNS1_3gpuE8ELNS1_3repE0EEENS1_30default_config_static_selectorELNS0_4arch9wavefront6targetE1EEEvT1_,"axG",@progbits,_ZN7rocprim17ROCPRIM_400000_NS6detail17trampoline_kernelINS0_14default_configENS1_25partition_config_selectorILNS1_17partition_subalgoE9EllbEEZZNS1_14partition_implILS5_9ELb0ES3_jPlS8_PNS0_10empty_typeENS0_5tupleIJS8_S9_EEENSB_IJS8_SA_EEENS0_18inequality_wrapperIZN2at6native12_GLOBAL__N_124unique_dim_cuda_templateImEESt5tupleIJNSF_6TensorESK_SK_EERKSK_lbbbEUlllE0_EEPmJS9_EEE10hipError_tPvRmT3_T4_T5_T6_T7_T9_mT8_P12ihipStream_tbDpT10_ENKUlT_T0_E_clISt17integral_constantIbLb1EES1A_EEDaS15_S16_EUlS15_E_NS1_11comp_targetILNS1_3genE4ELNS1_11target_archE910ELNS1_3gpuE8ELNS1_3repE0EEENS1_30default_config_static_selectorELNS0_4arch9wavefront6targetE1EEEvT1_,comdat
	.globl	_ZN7rocprim17ROCPRIM_400000_NS6detail17trampoline_kernelINS0_14default_configENS1_25partition_config_selectorILNS1_17partition_subalgoE9EllbEEZZNS1_14partition_implILS5_9ELb0ES3_jPlS8_PNS0_10empty_typeENS0_5tupleIJS8_S9_EEENSB_IJS8_SA_EEENS0_18inequality_wrapperIZN2at6native12_GLOBAL__N_124unique_dim_cuda_templateImEESt5tupleIJNSF_6TensorESK_SK_EERKSK_lbbbEUlllE0_EEPmJS9_EEE10hipError_tPvRmT3_T4_T5_T6_T7_T9_mT8_P12ihipStream_tbDpT10_ENKUlT_T0_E_clISt17integral_constantIbLb1EES1A_EEDaS15_S16_EUlS15_E_NS1_11comp_targetILNS1_3genE4ELNS1_11target_archE910ELNS1_3gpuE8ELNS1_3repE0EEENS1_30default_config_static_selectorELNS0_4arch9wavefront6targetE1EEEvT1_ ; -- Begin function _ZN7rocprim17ROCPRIM_400000_NS6detail17trampoline_kernelINS0_14default_configENS1_25partition_config_selectorILNS1_17partition_subalgoE9EllbEEZZNS1_14partition_implILS5_9ELb0ES3_jPlS8_PNS0_10empty_typeENS0_5tupleIJS8_S9_EEENSB_IJS8_SA_EEENS0_18inequality_wrapperIZN2at6native12_GLOBAL__N_124unique_dim_cuda_templateImEESt5tupleIJNSF_6TensorESK_SK_EERKSK_lbbbEUlllE0_EEPmJS9_EEE10hipError_tPvRmT3_T4_T5_T6_T7_T9_mT8_P12ihipStream_tbDpT10_ENKUlT_T0_E_clISt17integral_constantIbLb1EES1A_EEDaS15_S16_EUlS15_E_NS1_11comp_targetILNS1_3genE4ELNS1_11target_archE910ELNS1_3gpuE8ELNS1_3repE0EEENS1_30default_config_static_selectorELNS0_4arch9wavefront6targetE1EEEvT1_
	.p2align	8
	.type	_ZN7rocprim17ROCPRIM_400000_NS6detail17trampoline_kernelINS0_14default_configENS1_25partition_config_selectorILNS1_17partition_subalgoE9EllbEEZZNS1_14partition_implILS5_9ELb0ES3_jPlS8_PNS0_10empty_typeENS0_5tupleIJS8_S9_EEENSB_IJS8_SA_EEENS0_18inequality_wrapperIZN2at6native12_GLOBAL__N_124unique_dim_cuda_templateImEESt5tupleIJNSF_6TensorESK_SK_EERKSK_lbbbEUlllE0_EEPmJS9_EEE10hipError_tPvRmT3_T4_T5_T6_T7_T9_mT8_P12ihipStream_tbDpT10_ENKUlT_T0_E_clISt17integral_constantIbLb1EES1A_EEDaS15_S16_EUlS15_E_NS1_11comp_targetILNS1_3genE4ELNS1_11target_archE910ELNS1_3gpuE8ELNS1_3repE0EEENS1_30default_config_static_selectorELNS0_4arch9wavefront6targetE1EEEvT1_,@function
_ZN7rocprim17ROCPRIM_400000_NS6detail17trampoline_kernelINS0_14default_configENS1_25partition_config_selectorILNS1_17partition_subalgoE9EllbEEZZNS1_14partition_implILS5_9ELb0ES3_jPlS8_PNS0_10empty_typeENS0_5tupleIJS8_S9_EEENSB_IJS8_SA_EEENS0_18inequality_wrapperIZN2at6native12_GLOBAL__N_124unique_dim_cuda_templateImEESt5tupleIJNSF_6TensorESK_SK_EERKSK_lbbbEUlllE0_EEPmJS9_EEE10hipError_tPvRmT3_T4_T5_T6_T7_T9_mT8_P12ihipStream_tbDpT10_ENKUlT_T0_E_clISt17integral_constantIbLb1EES1A_EEDaS15_S16_EUlS15_E_NS1_11comp_targetILNS1_3genE4ELNS1_11target_archE910ELNS1_3gpuE8ELNS1_3repE0EEENS1_30default_config_static_selectorELNS0_4arch9wavefront6targetE1EEEvT1_: ; @_ZN7rocprim17ROCPRIM_400000_NS6detail17trampoline_kernelINS0_14default_configENS1_25partition_config_selectorILNS1_17partition_subalgoE9EllbEEZZNS1_14partition_implILS5_9ELb0ES3_jPlS8_PNS0_10empty_typeENS0_5tupleIJS8_S9_EEENSB_IJS8_SA_EEENS0_18inequality_wrapperIZN2at6native12_GLOBAL__N_124unique_dim_cuda_templateImEESt5tupleIJNSF_6TensorESK_SK_EERKSK_lbbbEUlllE0_EEPmJS9_EEE10hipError_tPvRmT3_T4_T5_T6_T7_T9_mT8_P12ihipStream_tbDpT10_ENKUlT_T0_E_clISt17integral_constantIbLb1EES1A_EEDaS15_S16_EUlS15_E_NS1_11comp_targetILNS1_3genE4ELNS1_11target_archE910ELNS1_3gpuE8ELNS1_3repE0EEENS1_30default_config_static_selectorELNS0_4arch9wavefront6targetE1EEEvT1_
; %bb.0:
	.section	.rodata,"a",@progbits
	.p2align	6, 0x0
	.amdhsa_kernel _ZN7rocprim17ROCPRIM_400000_NS6detail17trampoline_kernelINS0_14default_configENS1_25partition_config_selectorILNS1_17partition_subalgoE9EllbEEZZNS1_14partition_implILS5_9ELb0ES3_jPlS8_PNS0_10empty_typeENS0_5tupleIJS8_S9_EEENSB_IJS8_SA_EEENS0_18inequality_wrapperIZN2at6native12_GLOBAL__N_124unique_dim_cuda_templateImEESt5tupleIJNSF_6TensorESK_SK_EERKSK_lbbbEUlllE0_EEPmJS9_EEE10hipError_tPvRmT3_T4_T5_T6_T7_T9_mT8_P12ihipStream_tbDpT10_ENKUlT_T0_E_clISt17integral_constantIbLb1EES1A_EEDaS15_S16_EUlS15_E_NS1_11comp_targetILNS1_3genE4ELNS1_11target_archE910ELNS1_3gpuE8ELNS1_3repE0EEENS1_30default_config_static_selectorELNS0_4arch9wavefront6targetE1EEEvT1_
		.amdhsa_group_segment_fixed_size 0
		.amdhsa_private_segment_fixed_size 0
		.amdhsa_kernarg_size 136
		.amdhsa_user_sgpr_count 2
		.amdhsa_user_sgpr_dispatch_ptr 0
		.amdhsa_user_sgpr_queue_ptr 0
		.amdhsa_user_sgpr_kernarg_segment_ptr 1
		.amdhsa_user_sgpr_dispatch_id 0
		.amdhsa_user_sgpr_kernarg_preload_length 0
		.amdhsa_user_sgpr_kernarg_preload_offset 0
		.amdhsa_user_sgpr_private_segment_size 0
		.amdhsa_uses_dynamic_stack 0
		.amdhsa_enable_private_segment 0
		.amdhsa_system_sgpr_workgroup_id_x 1
		.amdhsa_system_sgpr_workgroup_id_y 0
		.amdhsa_system_sgpr_workgroup_id_z 0
		.amdhsa_system_sgpr_workgroup_info 0
		.amdhsa_system_vgpr_workitem_id 0
		.amdhsa_next_free_vgpr 1
		.amdhsa_next_free_sgpr 0
		.amdhsa_accum_offset 4
		.amdhsa_reserve_vcc 0
		.amdhsa_float_round_mode_32 0
		.amdhsa_float_round_mode_16_64 0
		.amdhsa_float_denorm_mode_32 3
		.amdhsa_float_denorm_mode_16_64 3
		.amdhsa_dx10_clamp 1
		.amdhsa_ieee_mode 1
		.amdhsa_fp16_overflow 0
		.amdhsa_tg_split 0
		.amdhsa_exception_fp_ieee_invalid_op 0
		.amdhsa_exception_fp_denorm_src 0
		.amdhsa_exception_fp_ieee_div_zero 0
		.amdhsa_exception_fp_ieee_overflow 0
		.amdhsa_exception_fp_ieee_underflow 0
		.amdhsa_exception_fp_ieee_inexact 0
		.amdhsa_exception_int_div_zero 0
	.end_amdhsa_kernel
	.section	.text._ZN7rocprim17ROCPRIM_400000_NS6detail17trampoline_kernelINS0_14default_configENS1_25partition_config_selectorILNS1_17partition_subalgoE9EllbEEZZNS1_14partition_implILS5_9ELb0ES3_jPlS8_PNS0_10empty_typeENS0_5tupleIJS8_S9_EEENSB_IJS8_SA_EEENS0_18inequality_wrapperIZN2at6native12_GLOBAL__N_124unique_dim_cuda_templateImEESt5tupleIJNSF_6TensorESK_SK_EERKSK_lbbbEUlllE0_EEPmJS9_EEE10hipError_tPvRmT3_T4_T5_T6_T7_T9_mT8_P12ihipStream_tbDpT10_ENKUlT_T0_E_clISt17integral_constantIbLb1EES1A_EEDaS15_S16_EUlS15_E_NS1_11comp_targetILNS1_3genE4ELNS1_11target_archE910ELNS1_3gpuE8ELNS1_3repE0EEENS1_30default_config_static_selectorELNS0_4arch9wavefront6targetE1EEEvT1_,"axG",@progbits,_ZN7rocprim17ROCPRIM_400000_NS6detail17trampoline_kernelINS0_14default_configENS1_25partition_config_selectorILNS1_17partition_subalgoE9EllbEEZZNS1_14partition_implILS5_9ELb0ES3_jPlS8_PNS0_10empty_typeENS0_5tupleIJS8_S9_EEENSB_IJS8_SA_EEENS0_18inequality_wrapperIZN2at6native12_GLOBAL__N_124unique_dim_cuda_templateImEESt5tupleIJNSF_6TensorESK_SK_EERKSK_lbbbEUlllE0_EEPmJS9_EEE10hipError_tPvRmT3_T4_T5_T6_T7_T9_mT8_P12ihipStream_tbDpT10_ENKUlT_T0_E_clISt17integral_constantIbLb1EES1A_EEDaS15_S16_EUlS15_E_NS1_11comp_targetILNS1_3genE4ELNS1_11target_archE910ELNS1_3gpuE8ELNS1_3repE0EEENS1_30default_config_static_selectorELNS0_4arch9wavefront6targetE1EEEvT1_,comdat
.Lfunc_end1716:
	.size	_ZN7rocprim17ROCPRIM_400000_NS6detail17trampoline_kernelINS0_14default_configENS1_25partition_config_selectorILNS1_17partition_subalgoE9EllbEEZZNS1_14partition_implILS5_9ELb0ES3_jPlS8_PNS0_10empty_typeENS0_5tupleIJS8_S9_EEENSB_IJS8_SA_EEENS0_18inequality_wrapperIZN2at6native12_GLOBAL__N_124unique_dim_cuda_templateImEESt5tupleIJNSF_6TensorESK_SK_EERKSK_lbbbEUlllE0_EEPmJS9_EEE10hipError_tPvRmT3_T4_T5_T6_T7_T9_mT8_P12ihipStream_tbDpT10_ENKUlT_T0_E_clISt17integral_constantIbLb1EES1A_EEDaS15_S16_EUlS15_E_NS1_11comp_targetILNS1_3genE4ELNS1_11target_archE910ELNS1_3gpuE8ELNS1_3repE0EEENS1_30default_config_static_selectorELNS0_4arch9wavefront6targetE1EEEvT1_, .Lfunc_end1716-_ZN7rocprim17ROCPRIM_400000_NS6detail17trampoline_kernelINS0_14default_configENS1_25partition_config_selectorILNS1_17partition_subalgoE9EllbEEZZNS1_14partition_implILS5_9ELb0ES3_jPlS8_PNS0_10empty_typeENS0_5tupleIJS8_S9_EEENSB_IJS8_SA_EEENS0_18inequality_wrapperIZN2at6native12_GLOBAL__N_124unique_dim_cuda_templateImEESt5tupleIJNSF_6TensorESK_SK_EERKSK_lbbbEUlllE0_EEPmJS9_EEE10hipError_tPvRmT3_T4_T5_T6_T7_T9_mT8_P12ihipStream_tbDpT10_ENKUlT_T0_E_clISt17integral_constantIbLb1EES1A_EEDaS15_S16_EUlS15_E_NS1_11comp_targetILNS1_3genE4ELNS1_11target_archE910ELNS1_3gpuE8ELNS1_3repE0EEENS1_30default_config_static_selectorELNS0_4arch9wavefront6targetE1EEEvT1_
                                        ; -- End function
	.section	.AMDGPU.csdata,"",@progbits
; Kernel info:
; codeLenInByte = 0
; NumSgprs: 6
; NumVgprs: 0
; NumAgprs: 0
; TotalNumVgprs: 0
; ScratchSize: 0
; MemoryBound: 0
; FloatMode: 240
; IeeeMode: 1
; LDSByteSize: 0 bytes/workgroup (compile time only)
; SGPRBlocks: 0
; VGPRBlocks: 0
; NumSGPRsForWavesPerEU: 6
; NumVGPRsForWavesPerEU: 1
; AccumOffset: 4
; Occupancy: 8
; WaveLimiterHint : 0
; COMPUTE_PGM_RSRC2:SCRATCH_EN: 0
; COMPUTE_PGM_RSRC2:USER_SGPR: 2
; COMPUTE_PGM_RSRC2:TRAP_HANDLER: 0
; COMPUTE_PGM_RSRC2:TGID_X_EN: 1
; COMPUTE_PGM_RSRC2:TGID_Y_EN: 0
; COMPUTE_PGM_RSRC2:TGID_Z_EN: 0
; COMPUTE_PGM_RSRC2:TIDIG_COMP_CNT: 0
; COMPUTE_PGM_RSRC3_GFX90A:ACCUM_OFFSET: 0
; COMPUTE_PGM_RSRC3_GFX90A:TG_SPLIT: 0
	.section	.text._ZN7rocprim17ROCPRIM_400000_NS6detail17trampoline_kernelINS0_14default_configENS1_25partition_config_selectorILNS1_17partition_subalgoE9EllbEEZZNS1_14partition_implILS5_9ELb0ES3_jPlS8_PNS0_10empty_typeENS0_5tupleIJS8_S9_EEENSB_IJS8_SA_EEENS0_18inequality_wrapperIZN2at6native12_GLOBAL__N_124unique_dim_cuda_templateImEESt5tupleIJNSF_6TensorESK_SK_EERKSK_lbbbEUlllE0_EEPmJS9_EEE10hipError_tPvRmT3_T4_T5_T6_T7_T9_mT8_P12ihipStream_tbDpT10_ENKUlT_T0_E_clISt17integral_constantIbLb1EES1A_EEDaS15_S16_EUlS15_E_NS1_11comp_targetILNS1_3genE3ELNS1_11target_archE908ELNS1_3gpuE7ELNS1_3repE0EEENS1_30default_config_static_selectorELNS0_4arch9wavefront6targetE1EEEvT1_,"axG",@progbits,_ZN7rocprim17ROCPRIM_400000_NS6detail17trampoline_kernelINS0_14default_configENS1_25partition_config_selectorILNS1_17partition_subalgoE9EllbEEZZNS1_14partition_implILS5_9ELb0ES3_jPlS8_PNS0_10empty_typeENS0_5tupleIJS8_S9_EEENSB_IJS8_SA_EEENS0_18inequality_wrapperIZN2at6native12_GLOBAL__N_124unique_dim_cuda_templateImEESt5tupleIJNSF_6TensorESK_SK_EERKSK_lbbbEUlllE0_EEPmJS9_EEE10hipError_tPvRmT3_T4_T5_T6_T7_T9_mT8_P12ihipStream_tbDpT10_ENKUlT_T0_E_clISt17integral_constantIbLb1EES1A_EEDaS15_S16_EUlS15_E_NS1_11comp_targetILNS1_3genE3ELNS1_11target_archE908ELNS1_3gpuE7ELNS1_3repE0EEENS1_30default_config_static_selectorELNS0_4arch9wavefront6targetE1EEEvT1_,comdat
	.globl	_ZN7rocprim17ROCPRIM_400000_NS6detail17trampoline_kernelINS0_14default_configENS1_25partition_config_selectorILNS1_17partition_subalgoE9EllbEEZZNS1_14partition_implILS5_9ELb0ES3_jPlS8_PNS0_10empty_typeENS0_5tupleIJS8_S9_EEENSB_IJS8_SA_EEENS0_18inequality_wrapperIZN2at6native12_GLOBAL__N_124unique_dim_cuda_templateImEESt5tupleIJNSF_6TensorESK_SK_EERKSK_lbbbEUlllE0_EEPmJS9_EEE10hipError_tPvRmT3_T4_T5_T6_T7_T9_mT8_P12ihipStream_tbDpT10_ENKUlT_T0_E_clISt17integral_constantIbLb1EES1A_EEDaS15_S16_EUlS15_E_NS1_11comp_targetILNS1_3genE3ELNS1_11target_archE908ELNS1_3gpuE7ELNS1_3repE0EEENS1_30default_config_static_selectorELNS0_4arch9wavefront6targetE1EEEvT1_ ; -- Begin function _ZN7rocprim17ROCPRIM_400000_NS6detail17trampoline_kernelINS0_14default_configENS1_25partition_config_selectorILNS1_17partition_subalgoE9EllbEEZZNS1_14partition_implILS5_9ELb0ES3_jPlS8_PNS0_10empty_typeENS0_5tupleIJS8_S9_EEENSB_IJS8_SA_EEENS0_18inequality_wrapperIZN2at6native12_GLOBAL__N_124unique_dim_cuda_templateImEESt5tupleIJNSF_6TensorESK_SK_EERKSK_lbbbEUlllE0_EEPmJS9_EEE10hipError_tPvRmT3_T4_T5_T6_T7_T9_mT8_P12ihipStream_tbDpT10_ENKUlT_T0_E_clISt17integral_constantIbLb1EES1A_EEDaS15_S16_EUlS15_E_NS1_11comp_targetILNS1_3genE3ELNS1_11target_archE908ELNS1_3gpuE7ELNS1_3repE0EEENS1_30default_config_static_selectorELNS0_4arch9wavefront6targetE1EEEvT1_
	.p2align	8
	.type	_ZN7rocprim17ROCPRIM_400000_NS6detail17trampoline_kernelINS0_14default_configENS1_25partition_config_selectorILNS1_17partition_subalgoE9EllbEEZZNS1_14partition_implILS5_9ELb0ES3_jPlS8_PNS0_10empty_typeENS0_5tupleIJS8_S9_EEENSB_IJS8_SA_EEENS0_18inequality_wrapperIZN2at6native12_GLOBAL__N_124unique_dim_cuda_templateImEESt5tupleIJNSF_6TensorESK_SK_EERKSK_lbbbEUlllE0_EEPmJS9_EEE10hipError_tPvRmT3_T4_T5_T6_T7_T9_mT8_P12ihipStream_tbDpT10_ENKUlT_T0_E_clISt17integral_constantIbLb1EES1A_EEDaS15_S16_EUlS15_E_NS1_11comp_targetILNS1_3genE3ELNS1_11target_archE908ELNS1_3gpuE7ELNS1_3repE0EEENS1_30default_config_static_selectorELNS0_4arch9wavefront6targetE1EEEvT1_,@function
_ZN7rocprim17ROCPRIM_400000_NS6detail17trampoline_kernelINS0_14default_configENS1_25partition_config_selectorILNS1_17partition_subalgoE9EllbEEZZNS1_14partition_implILS5_9ELb0ES3_jPlS8_PNS0_10empty_typeENS0_5tupleIJS8_S9_EEENSB_IJS8_SA_EEENS0_18inequality_wrapperIZN2at6native12_GLOBAL__N_124unique_dim_cuda_templateImEESt5tupleIJNSF_6TensorESK_SK_EERKSK_lbbbEUlllE0_EEPmJS9_EEE10hipError_tPvRmT3_T4_T5_T6_T7_T9_mT8_P12ihipStream_tbDpT10_ENKUlT_T0_E_clISt17integral_constantIbLb1EES1A_EEDaS15_S16_EUlS15_E_NS1_11comp_targetILNS1_3genE3ELNS1_11target_archE908ELNS1_3gpuE7ELNS1_3repE0EEENS1_30default_config_static_selectorELNS0_4arch9wavefront6targetE1EEEvT1_: ; @_ZN7rocprim17ROCPRIM_400000_NS6detail17trampoline_kernelINS0_14default_configENS1_25partition_config_selectorILNS1_17partition_subalgoE9EllbEEZZNS1_14partition_implILS5_9ELb0ES3_jPlS8_PNS0_10empty_typeENS0_5tupleIJS8_S9_EEENSB_IJS8_SA_EEENS0_18inequality_wrapperIZN2at6native12_GLOBAL__N_124unique_dim_cuda_templateImEESt5tupleIJNSF_6TensorESK_SK_EERKSK_lbbbEUlllE0_EEPmJS9_EEE10hipError_tPvRmT3_T4_T5_T6_T7_T9_mT8_P12ihipStream_tbDpT10_ENKUlT_T0_E_clISt17integral_constantIbLb1EES1A_EEDaS15_S16_EUlS15_E_NS1_11comp_targetILNS1_3genE3ELNS1_11target_archE908ELNS1_3gpuE7ELNS1_3repE0EEENS1_30default_config_static_selectorELNS0_4arch9wavefront6targetE1EEEvT1_
; %bb.0:
	.section	.rodata,"a",@progbits
	.p2align	6, 0x0
	.amdhsa_kernel _ZN7rocprim17ROCPRIM_400000_NS6detail17trampoline_kernelINS0_14default_configENS1_25partition_config_selectorILNS1_17partition_subalgoE9EllbEEZZNS1_14partition_implILS5_9ELb0ES3_jPlS8_PNS0_10empty_typeENS0_5tupleIJS8_S9_EEENSB_IJS8_SA_EEENS0_18inequality_wrapperIZN2at6native12_GLOBAL__N_124unique_dim_cuda_templateImEESt5tupleIJNSF_6TensorESK_SK_EERKSK_lbbbEUlllE0_EEPmJS9_EEE10hipError_tPvRmT3_T4_T5_T6_T7_T9_mT8_P12ihipStream_tbDpT10_ENKUlT_T0_E_clISt17integral_constantIbLb1EES1A_EEDaS15_S16_EUlS15_E_NS1_11comp_targetILNS1_3genE3ELNS1_11target_archE908ELNS1_3gpuE7ELNS1_3repE0EEENS1_30default_config_static_selectorELNS0_4arch9wavefront6targetE1EEEvT1_
		.amdhsa_group_segment_fixed_size 0
		.amdhsa_private_segment_fixed_size 0
		.amdhsa_kernarg_size 136
		.amdhsa_user_sgpr_count 2
		.amdhsa_user_sgpr_dispatch_ptr 0
		.amdhsa_user_sgpr_queue_ptr 0
		.amdhsa_user_sgpr_kernarg_segment_ptr 1
		.amdhsa_user_sgpr_dispatch_id 0
		.amdhsa_user_sgpr_kernarg_preload_length 0
		.amdhsa_user_sgpr_kernarg_preload_offset 0
		.amdhsa_user_sgpr_private_segment_size 0
		.amdhsa_uses_dynamic_stack 0
		.amdhsa_enable_private_segment 0
		.amdhsa_system_sgpr_workgroup_id_x 1
		.amdhsa_system_sgpr_workgroup_id_y 0
		.amdhsa_system_sgpr_workgroup_id_z 0
		.amdhsa_system_sgpr_workgroup_info 0
		.amdhsa_system_vgpr_workitem_id 0
		.amdhsa_next_free_vgpr 1
		.amdhsa_next_free_sgpr 0
		.amdhsa_accum_offset 4
		.amdhsa_reserve_vcc 0
		.amdhsa_float_round_mode_32 0
		.amdhsa_float_round_mode_16_64 0
		.amdhsa_float_denorm_mode_32 3
		.amdhsa_float_denorm_mode_16_64 3
		.amdhsa_dx10_clamp 1
		.amdhsa_ieee_mode 1
		.amdhsa_fp16_overflow 0
		.amdhsa_tg_split 0
		.amdhsa_exception_fp_ieee_invalid_op 0
		.amdhsa_exception_fp_denorm_src 0
		.amdhsa_exception_fp_ieee_div_zero 0
		.amdhsa_exception_fp_ieee_overflow 0
		.amdhsa_exception_fp_ieee_underflow 0
		.amdhsa_exception_fp_ieee_inexact 0
		.amdhsa_exception_int_div_zero 0
	.end_amdhsa_kernel
	.section	.text._ZN7rocprim17ROCPRIM_400000_NS6detail17trampoline_kernelINS0_14default_configENS1_25partition_config_selectorILNS1_17partition_subalgoE9EllbEEZZNS1_14partition_implILS5_9ELb0ES3_jPlS8_PNS0_10empty_typeENS0_5tupleIJS8_S9_EEENSB_IJS8_SA_EEENS0_18inequality_wrapperIZN2at6native12_GLOBAL__N_124unique_dim_cuda_templateImEESt5tupleIJNSF_6TensorESK_SK_EERKSK_lbbbEUlllE0_EEPmJS9_EEE10hipError_tPvRmT3_T4_T5_T6_T7_T9_mT8_P12ihipStream_tbDpT10_ENKUlT_T0_E_clISt17integral_constantIbLb1EES1A_EEDaS15_S16_EUlS15_E_NS1_11comp_targetILNS1_3genE3ELNS1_11target_archE908ELNS1_3gpuE7ELNS1_3repE0EEENS1_30default_config_static_selectorELNS0_4arch9wavefront6targetE1EEEvT1_,"axG",@progbits,_ZN7rocprim17ROCPRIM_400000_NS6detail17trampoline_kernelINS0_14default_configENS1_25partition_config_selectorILNS1_17partition_subalgoE9EllbEEZZNS1_14partition_implILS5_9ELb0ES3_jPlS8_PNS0_10empty_typeENS0_5tupleIJS8_S9_EEENSB_IJS8_SA_EEENS0_18inequality_wrapperIZN2at6native12_GLOBAL__N_124unique_dim_cuda_templateImEESt5tupleIJNSF_6TensorESK_SK_EERKSK_lbbbEUlllE0_EEPmJS9_EEE10hipError_tPvRmT3_T4_T5_T6_T7_T9_mT8_P12ihipStream_tbDpT10_ENKUlT_T0_E_clISt17integral_constantIbLb1EES1A_EEDaS15_S16_EUlS15_E_NS1_11comp_targetILNS1_3genE3ELNS1_11target_archE908ELNS1_3gpuE7ELNS1_3repE0EEENS1_30default_config_static_selectorELNS0_4arch9wavefront6targetE1EEEvT1_,comdat
.Lfunc_end1717:
	.size	_ZN7rocprim17ROCPRIM_400000_NS6detail17trampoline_kernelINS0_14default_configENS1_25partition_config_selectorILNS1_17partition_subalgoE9EllbEEZZNS1_14partition_implILS5_9ELb0ES3_jPlS8_PNS0_10empty_typeENS0_5tupleIJS8_S9_EEENSB_IJS8_SA_EEENS0_18inequality_wrapperIZN2at6native12_GLOBAL__N_124unique_dim_cuda_templateImEESt5tupleIJNSF_6TensorESK_SK_EERKSK_lbbbEUlllE0_EEPmJS9_EEE10hipError_tPvRmT3_T4_T5_T6_T7_T9_mT8_P12ihipStream_tbDpT10_ENKUlT_T0_E_clISt17integral_constantIbLb1EES1A_EEDaS15_S16_EUlS15_E_NS1_11comp_targetILNS1_3genE3ELNS1_11target_archE908ELNS1_3gpuE7ELNS1_3repE0EEENS1_30default_config_static_selectorELNS0_4arch9wavefront6targetE1EEEvT1_, .Lfunc_end1717-_ZN7rocprim17ROCPRIM_400000_NS6detail17trampoline_kernelINS0_14default_configENS1_25partition_config_selectorILNS1_17partition_subalgoE9EllbEEZZNS1_14partition_implILS5_9ELb0ES3_jPlS8_PNS0_10empty_typeENS0_5tupleIJS8_S9_EEENSB_IJS8_SA_EEENS0_18inequality_wrapperIZN2at6native12_GLOBAL__N_124unique_dim_cuda_templateImEESt5tupleIJNSF_6TensorESK_SK_EERKSK_lbbbEUlllE0_EEPmJS9_EEE10hipError_tPvRmT3_T4_T5_T6_T7_T9_mT8_P12ihipStream_tbDpT10_ENKUlT_T0_E_clISt17integral_constantIbLb1EES1A_EEDaS15_S16_EUlS15_E_NS1_11comp_targetILNS1_3genE3ELNS1_11target_archE908ELNS1_3gpuE7ELNS1_3repE0EEENS1_30default_config_static_selectorELNS0_4arch9wavefront6targetE1EEEvT1_
                                        ; -- End function
	.section	.AMDGPU.csdata,"",@progbits
; Kernel info:
; codeLenInByte = 0
; NumSgprs: 6
; NumVgprs: 0
; NumAgprs: 0
; TotalNumVgprs: 0
; ScratchSize: 0
; MemoryBound: 0
; FloatMode: 240
; IeeeMode: 1
; LDSByteSize: 0 bytes/workgroup (compile time only)
; SGPRBlocks: 0
; VGPRBlocks: 0
; NumSGPRsForWavesPerEU: 6
; NumVGPRsForWavesPerEU: 1
; AccumOffset: 4
; Occupancy: 8
; WaveLimiterHint : 0
; COMPUTE_PGM_RSRC2:SCRATCH_EN: 0
; COMPUTE_PGM_RSRC2:USER_SGPR: 2
; COMPUTE_PGM_RSRC2:TRAP_HANDLER: 0
; COMPUTE_PGM_RSRC2:TGID_X_EN: 1
; COMPUTE_PGM_RSRC2:TGID_Y_EN: 0
; COMPUTE_PGM_RSRC2:TGID_Z_EN: 0
; COMPUTE_PGM_RSRC2:TIDIG_COMP_CNT: 0
; COMPUTE_PGM_RSRC3_GFX90A:ACCUM_OFFSET: 0
; COMPUTE_PGM_RSRC3_GFX90A:TG_SPLIT: 0
	.section	.text._ZN7rocprim17ROCPRIM_400000_NS6detail17trampoline_kernelINS0_14default_configENS1_25partition_config_selectorILNS1_17partition_subalgoE9EllbEEZZNS1_14partition_implILS5_9ELb0ES3_jPlS8_PNS0_10empty_typeENS0_5tupleIJS8_S9_EEENSB_IJS8_SA_EEENS0_18inequality_wrapperIZN2at6native12_GLOBAL__N_124unique_dim_cuda_templateImEESt5tupleIJNSF_6TensorESK_SK_EERKSK_lbbbEUlllE0_EEPmJS9_EEE10hipError_tPvRmT3_T4_T5_T6_T7_T9_mT8_P12ihipStream_tbDpT10_ENKUlT_T0_E_clISt17integral_constantIbLb1EES1A_EEDaS15_S16_EUlS15_E_NS1_11comp_targetILNS1_3genE2ELNS1_11target_archE906ELNS1_3gpuE6ELNS1_3repE0EEENS1_30default_config_static_selectorELNS0_4arch9wavefront6targetE1EEEvT1_,"axG",@progbits,_ZN7rocprim17ROCPRIM_400000_NS6detail17trampoline_kernelINS0_14default_configENS1_25partition_config_selectorILNS1_17partition_subalgoE9EllbEEZZNS1_14partition_implILS5_9ELb0ES3_jPlS8_PNS0_10empty_typeENS0_5tupleIJS8_S9_EEENSB_IJS8_SA_EEENS0_18inequality_wrapperIZN2at6native12_GLOBAL__N_124unique_dim_cuda_templateImEESt5tupleIJNSF_6TensorESK_SK_EERKSK_lbbbEUlllE0_EEPmJS9_EEE10hipError_tPvRmT3_T4_T5_T6_T7_T9_mT8_P12ihipStream_tbDpT10_ENKUlT_T0_E_clISt17integral_constantIbLb1EES1A_EEDaS15_S16_EUlS15_E_NS1_11comp_targetILNS1_3genE2ELNS1_11target_archE906ELNS1_3gpuE6ELNS1_3repE0EEENS1_30default_config_static_selectorELNS0_4arch9wavefront6targetE1EEEvT1_,comdat
	.globl	_ZN7rocprim17ROCPRIM_400000_NS6detail17trampoline_kernelINS0_14default_configENS1_25partition_config_selectorILNS1_17partition_subalgoE9EllbEEZZNS1_14partition_implILS5_9ELb0ES3_jPlS8_PNS0_10empty_typeENS0_5tupleIJS8_S9_EEENSB_IJS8_SA_EEENS0_18inequality_wrapperIZN2at6native12_GLOBAL__N_124unique_dim_cuda_templateImEESt5tupleIJNSF_6TensorESK_SK_EERKSK_lbbbEUlllE0_EEPmJS9_EEE10hipError_tPvRmT3_T4_T5_T6_T7_T9_mT8_P12ihipStream_tbDpT10_ENKUlT_T0_E_clISt17integral_constantIbLb1EES1A_EEDaS15_S16_EUlS15_E_NS1_11comp_targetILNS1_3genE2ELNS1_11target_archE906ELNS1_3gpuE6ELNS1_3repE0EEENS1_30default_config_static_selectorELNS0_4arch9wavefront6targetE1EEEvT1_ ; -- Begin function _ZN7rocprim17ROCPRIM_400000_NS6detail17trampoline_kernelINS0_14default_configENS1_25partition_config_selectorILNS1_17partition_subalgoE9EllbEEZZNS1_14partition_implILS5_9ELb0ES3_jPlS8_PNS0_10empty_typeENS0_5tupleIJS8_S9_EEENSB_IJS8_SA_EEENS0_18inequality_wrapperIZN2at6native12_GLOBAL__N_124unique_dim_cuda_templateImEESt5tupleIJNSF_6TensorESK_SK_EERKSK_lbbbEUlllE0_EEPmJS9_EEE10hipError_tPvRmT3_T4_T5_T6_T7_T9_mT8_P12ihipStream_tbDpT10_ENKUlT_T0_E_clISt17integral_constantIbLb1EES1A_EEDaS15_S16_EUlS15_E_NS1_11comp_targetILNS1_3genE2ELNS1_11target_archE906ELNS1_3gpuE6ELNS1_3repE0EEENS1_30default_config_static_selectorELNS0_4arch9wavefront6targetE1EEEvT1_
	.p2align	8
	.type	_ZN7rocprim17ROCPRIM_400000_NS6detail17trampoline_kernelINS0_14default_configENS1_25partition_config_selectorILNS1_17partition_subalgoE9EllbEEZZNS1_14partition_implILS5_9ELb0ES3_jPlS8_PNS0_10empty_typeENS0_5tupleIJS8_S9_EEENSB_IJS8_SA_EEENS0_18inequality_wrapperIZN2at6native12_GLOBAL__N_124unique_dim_cuda_templateImEESt5tupleIJNSF_6TensorESK_SK_EERKSK_lbbbEUlllE0_EEPmJS9_EEE10hipError_tPvRmT3_T4_T5_T6_T7_T9_mT8_P12ihipStream_tbDpT10_ENKUlT_T0_E_clISt17integral_constantIbLb1EES1A_EEDaS15_S16_EUlS15_E_NS1_11comp_targetILNS1_3genE2ELNS1_11target_archE906ELNS1_3gpuE6ELNS1_3repE0EEENS1_30default_config_static_selectorELNS0_4arch9wavefront6targetE1EEEvT1_,@function
_ZN7rocprim17ROCPRIM_400000_NS6detail17trampoline_kernelINS0_14default_configENS1_25partition_config_selectorILNS1_17partition_subalgoE9EllbEEZZNS1_14partition_implILS5_9ELb0ES3_jPlS8_PNS0_10empty_typeENS0_5tupleIJS8_S9_EEENSB_IJS8_SA_EEENS0_18inequality_wrapperIZN2at6native12_GLOBAL__N_124unique_dim_cuda_templateImEESt5tupleIJNSF_6TensorESK_SK_EERKSK_lbbbEUlllE0_EEPmJS9_EEE10hipError_tPvRmT3_T4_T5_T6_T7_T9_mT8_P12ihipStream_tbDpT10_ENKUlT_T0_E_clISt17integral_constantIbLb1EES1A_EEDaS15_S16_EUlS15_E_NS1_11comp_targetILNS1_3genE2ELNS1_11target_archE906ELNS1_3gpuE6ELNS1_3repE0EEENS1_30default_config_static_selectorELNS0_4arch9wavefront6targetE1EEEvT1_: ; @_ZN7rocprim17ROCPRIM_400000_NS6detail17trampoline_kernelINS0_14default_configENS1_25partition_config_selectorILNS1_17partition_subalgoE9EllbEEZZNS1_14partition_implILS5_9ELb0ES3_jPlS8_PNS0_10empty_typeENS0_5tupleIJS8_S9_EEENSB_IJS8_SA_EEENS0_18inequality_wrapperIZN2at6native12_GLOBAL__N_124unique_dim_cuda_templateImEESt5tupleIJNSF_6TensorESK_SK_EERKSK_lbbbEUlllE0_EEPmJS9_EEE10hipError_tPvRmT3_T4_T5_T6_T7_T9_mT8_P12ihipStream_tbDpT10_ENKUlT_T0_E_clISt17integral_constantIbLb1EES1A_EEDaS15_S16_EUlS15_E_NS1_11comp_targetILNS1_3genE2ELNS1_11target_archE906ELNS1_3gpuE6ELNS1_3repE0EEENS1_30default_config_static_selectorELNS0_4arch9wavefront6targetE1EEEvT1_
; %bb.0:
	.section	.rodata,"a",@progbits
	.p2align	6, 0x0
	.amdhsa_kernel _ZN7rocprim17ROCPRIM_400000_NS6detail17trampoline_kernelINS0_14default_configENS1_25partition_config_selectorILNS1_17partition_subalgoE9EllbEEZZNS1_14partition_implILS5_9ELb0ES3_jPlS8_PNS0_10empty_typeENS0_5tupleIJS8_S9_EEENSB_IJS8_SA_EEENS0_18inequality_wrapperIZN2at6native12_GLOBAL__N_124unique_dim_cuda_templateImEESt5tupleIJNSF_6TensorESK_SK_EERKSK_lbbbEUlllE0_EEPmJS9_EEE10hipError_tPvRmT3_T4_T5_T6_T7_T9_mT8_P12ihipStream_tbDpT10_ENKUlT_T0_E_clISt17integral_constantIbLb1EES1A_EEDaS15_S16_EUlS15_E_NS1_11comp_targetILNS1_3genE2ELNS1_11target_archE906ELNS1_3gpuE6ELNS1_3repE0EEENS1_30default_config_static_selectorELNS0_4arch9wavefront6targetE1EEEvT1_
		.amdhsa_group_segment_fixed_size 0
		.amdhsa_private_segment_fixed_size 0
		.amdhsa_kernarg_size 136
		.amdhsa_user_sgpr_count 2
		.amdhsa_user_sgpr_dispatch_ptr 0
		.amdhsa_user_sgpr_queue_ptr 0
		.amdhsa_user_sgpr_kernarg_segment_ptr 1
		.amdhsa_user_sgpr_dispatch_id 0
		.amdhsa_user_sgpr_kernarg_preload_length 0
		.amdhsa_user_sgpr_kernarg_preload_offset 0
		.amdhsa_user_sgpr_private_segment_size 0
		.amdhsa_uses_dynamic_stack 0
		.amdhsa_enable_private_segment 0
		.amdhsa_system_sgpr_workgroup_id_x 1
		.amdhsa_system_sgpr_workgroup_id_y 0
		.amdhsa_system_sgpr_workgroup_id_z 0
		.amdhsa_system_sgpr_workgroup_info 0
		.amdhsa_system_vgpr_workitem_id 0
		.amdhsa_next_free_vgpr 1
		.amdhsa_next_free_sgpr 0
		.amdhsa_accum_offset 4
		.amdhsa_reserve_vcc 0
		.amdhsa_float_round_mode_32 0
		.amdhsa_float_round_mode_16_64 0
		.amdhsa_float_denorm_mode_32 3
		.amdhsa_float_denorm_mode_16_64 3
		.amdhsa_dx10_clamp 1
		.amdhsa_ieee_mode 1
		.amdhsa_fp16_overflow 0
		.amdhsa_tg_split 0
		.amdhsa_exception_fp_ieee_invalid_op 0
		.amdhsa_exception_fp_denorm_src 0
		.amdhsa_exception_fp_ieee_div_zero 0
		.amdhsa_exception_fp_ieee_overflow 0
		.amdhsa_exception_fp_ieee_underflow 0
		.amdhsa_exception_fp_ieee_inexact 0
		.amdhsa_exception_int_div_zero 0
	.end_amdhsa_kernel
	.section	.text._ZN7rocprim17ROCPRIM_400000_NS6detail17trampoline_kernelINS0_14default_configENS1_25partition_config_selectorILNS1_17partition_subalgoE9EllbEEZZNS1_14partition_implILS5_9ELb0ES3_jPlS8_PNS0_10empty_typeENS0_5tupleIJS8_S9_EEENSB_IJS8_SA_EEENS0_18inequality_wrapperIZN2at6native12_GLOBAL__N_124unique_dim_cuda_templateImEESt5tupleIJNSF_6TensorESK_SK_EERKSK_lbbbEUlllE0_EEPmJS9_EEE10hipError_tPvRmT3_T4_T5_T6_T7_T9_mT8_P12ihipStream_tbDpT10_ENKUlT_T0_E_clISt17integral_constantIbLb1EES1A_EEDaS15_S16_EUlS15_E_NS1_11comp_targetILNS1_3genE2ELNS1_11target_archE906ELNS1_3gpuE6ELNS1_3repE0EEENS1_30default_config_static_selectorELNS0_4arch9wavefront6targetE1EEEvT1_,"axG",@progbits,_ZN7rocprim17ROCPRIM_400000_NS6detail17trampoline_kernelINS0_14default_configENS1_25partition_config_selectorILNS1_17partition_subalgoE9EllbEEZZNS1_14partition_implILS5_9ELb0ES3_jPlS8_PNS0_10empty_typeENS0_5tupleIJS8_S9_EEENSB_IJS8_SA_EEENS0_18inequality_wrapperIZN2at6native12_GLOBAL__N_124unique_dim_cuda_templateImEESt5tupleIJNSF_6TensorESK_SK_EERKSK_lbbbEUlllE0_EEPmJS9_EEE10hipError_tPvRmT3_T4_T5_T6_T7_T9_mT8_P12ihipStream_tbDpT10_ENKUlT_T0_E_clISt17integral_constantIbLb1EES1A_EEDaS15_S16_EUlS15_E_NS1_11comp_targetILNS1_3genE2ELNS1_11target_archE906ELNS1_3gpuE6ELNS1_3repE0EEENS1_30default_config_static_selectorELNS0_4arch9wavefront6targetE1EEEvT1_,comdat
.Lfunc_end1718:
	.size	_ZN7rocprim17ROCPRIM_400000_NS6detail17trampoline_kernelINS0_14default_configENS1_25partition_config_selectorILNS1_17partition_subalgoE9EllbEEZZNS1_14partition_implILS5_9ELb0ES3_jPlS8_PNS0_10empty_typeENS0_5tupleIJS8_S9_EEENSB_IJS8_SA_EEENS0_18inequality_wrapperIZN2at6native12_GLOBAL__N_124unique_dim_cuda_templateImEESt5tupleIJNSF_6TensorESK_SK_EERKSK_lbbbEUlllE0_EEPmJS9_EEE10hipError_tPvRmT3_T4_T5_T6_T7_T9_mT8_P12ihipStream_tbDpT10_ENKUlT_T0_E_clISt17integral_constantIbLb1EES1A_EEDaS15_S16_EUlS15_E_NS1_11comp_targetILNS1_3genE2ELNS1_11target_archE906ELNS1_3gpuE6ELNS1_3repE0EEENS1_30default_config_static_selectorELNS0_4arch9wavefront6targetE1EEEvT1_, .Lfunc_end1718-_ZN7rocprim17ROCPRIM_400000_NS6detail17trampoline_kernelINS0_14default_configENS1_25partition_config_selectorILNS1_17partition_subalgoE9EllbEEZZNS1_14partition_implILS5_9ELb0ES3_jPlS8_PNS0_10empty_typeENS0_5tupleIJS8_S9_EEENSB_IJS8_SA_EEENS0_18inequality_wrapperIZN2at6native12_GLOBAL__N_124unique_dim_cuda_templateImEESt5tupleIJNSF_6TensorESK_SK_EERKSK_lbbbEUlllE0_EEPmJS9_EEE10hipError_tPvRmT3_T4_T5_T6_T7_T9_mT8_P12ihipStream_tbDpT10_ENKUlT_T0_E_clISt17integral_constantIbLb1EES1A_EEDaS15_S16_EUlS15_E_NS1_11comp_targetILNS1_3genE2ELNS1_11target_archE906ELNS1_3gpuE6ELNS1_3repE0EEENS1_30default_config_static_selectorELNS0_4arch9wavefront6targetE1EEEvT1_
                                        ; -- End function
	.section	.AMDGPU.csdata,"",@progbits
; Kernel info:
; codeLenInByte = 0
; NumSgprs: 6
; NumVgprs: 0
; NumAgprs: 0
; TotalNumVgprs: 0
; ScratchSize: 0
; MemoryBound: 0
; FloatMode: 240
; IeeeMode: 1
; LDSByteSize: 0 bytes/workgroup (compile time only)
; SGPRBlocks: 0
; VGPRBlocks: 0
; NumSGPRsForWavesPerEU: 6
; NumVGPRsForWavesPerEU: 1
; AccumOffset: 4
; Occupancy: 8
; WaveLimiterHint : 0
; COMPUTE_PGM_RSRC2:SCRATCH_EN: 0
; COMPUTE_PGM_RSRC2:USER_SGPR: 2
; COMPUTE_PGM_RSRC2:TRAP_HANDLER: 0
; COMPUTE_PGM_RSRC2:TGID_X_EN: 1
; COMPUTE_PGM_RSRC2:TGID_Y_EN: 0
; COMPUTE_PGM_RSRC2:TGID_Z_EN: 0
; COMPUTE_PGM_RSRC2:TIDIG_COMP_CNT: 0
; COMPUTE_PGM_RSRC3_GFX90A:ACCUM_OFFSET: 0
; COMPUTE_PGM_RSRC3_GFX90A:TG_SPLIT: 0
	.section	.text._ZN7rocprim17ROCPRIM_400000_NS6detail17trampoline_kernelINS0_14default_configENS1_25partition_config_selectorILNS1_17partition_subalgoE9EllbEEZZNS1_14partition_implILS5_9ELb0ES3_jPlS8_PNS0_10empty_typeENS0_5tupleIJS8_S9_EEENSB_IJS8_SA_EEENS0_18inequality_wrapperIZN2at6native12_GLOBAL__N_124unique_dim_cuda_templateImEESt5tupleIJNSF_6TensorESK_SK_EERKSK_lbbbEUlllE0_EEPmJS9_EEE10hipError_tPvRmT3_T4_T5_T6_T7_T9_mT8_P12ihipStream_tbDpT10_ENKUlT_T0_E_clISt17integral_constantIbLb1EES1A_EEDaS15_S16_EUlS15_E_NS1_11comp_targetILNS1_3genE10ELNS1_11target_archE1200ELNS1_3gpuE4ELNS1_3repE0EEENS1_30default_config_static_selectorELNS0_4arch9wavefront6targetE1EEEvT1_,"axG",@progbits,_ZN7rocprim17ROCPRIM_400000_NS6detail17trampoline_kernelINS0_14default_configENS1_25partition_config_selectorILNS1_17partition_subalgoE9EllbEEZZNS1_14partition_implILS5_9ELb0ES3_jPlS8_PNS0_10empty_typeENS0_5tupleIJS8_S9_EEENSB_IJS8_SA_EEENS0_18inequality_wrapperIZN2at6native12_GLOBAL__N_124unique_dim_cuda_templateImEESt5tupleIJNSF_6TensorESK_SK_EERKSK_lbbbEUlllE0_EEPmJS9_EEE10hipError_tPvRmT3_T4_T5_T6_T7_T9_mT8_P12ihipStream_tbDpT10_ENKUlT_T0_E_clISt17integral_constantIbLb1EES1A_EEDaS15_S16_EUlS15_E_NS1_11comp_targetILNS1_3genE10ELNS1_11target_archE1200ELNS1_3gpuE4ELNS1_3repE0EEENS1_30default_config_static_selectorELNS0_4arch9wavefront6targetE1EEEvT1_,comdat
	.globl	_ZN7rocprim17ROCPRIM_400000_NS6detail17trampoline_kernelINS0_14default_configENS1_25partition_config_selectorILNS1_17partition_subalgoE9EllbEEZZNS1_14partition_implILS5_9ELb0ES3_jPlS8_PNS0_10empty_typeENS0_5tupleIJS8_S9_EEENSB_IJS8_SA_EEENS0_18inequality_wrapperIZN2at6native12_GLOBAL__N_124unique_dim_cuda_templateImEESt5tupleIJNSF_6TensorESK_SK_EERKSK_lbbbEUlllE0_EEPmJS9_EEE10hipError_tPvRmT3_T4_T5_T6_T7_T9_mT8_P12ihipStream_tbDpT10_ENKUlT_T0_E_clISt17integral_constantIbLb1EES1A_EEDaS15_S16_EUlS15_E_NS1_11comp_targetILNS1_3genE10ELNS1_11target_archE1200ELNS1_3gpuE4ELNS1_3repE0EEENS1_30default_config_static_selectorELNS0_4arch9wavefront6targetE1EEEvT1_ ; -- Begin function _ZN7rocprim17ROCPRIM_400000_NS6detail17trampoline_kernelINS0_14default_configENS1_25partition_config_selectorILNS1_17partition_subalgoE9EllbEEZZNS1_14partition_implILS5_9ELb0ES3_jPlS8_PNS0_10empty_typeENS0_5tupleIJS8_S9_EEENSB_IJS8_SA_EEENS0_18inequality_wrapperIZN2at6native12_GLOBAL__N_124unique_dim_cuda_templateImEESt5tupleIJNSF_6TensorESK_SK_EERKSK_lbbbEUlllE0_EEPmJS9_EEE10hipError_tPvRmT3_T4_T5_T6_T7_T9_mT8_P12ihipStream_tbDpT10_ENKUlT_T0_E_clISt17integral_constantIbLb1EES1A_EEDaS15_S16_EUlS15_E_NS1_11comp_targetILNS1_3genE10ELNS1_11target_archE1200ELNS1_3gpuE4ELNS1_3repE0EEENS1_30default_config_static_selectorELNS0_4arch9wavefront6targetE1EEEvT1_
	.p2align	8
	.type	_ZN7rocprim17ROCPRIM_400000_NS6detail17trampoline_kernelINS0_14default_configENS1_25partition_config_selectorILNS1_17partition_subalgoE9EllbEEZZNS1_14partition_implILS5_9ELb0ES3_jPlS8_PNS0_10empty_typeENS0_5tupleIJS8_S9_EEENSB_IJS8_SA_EEENS0_18inequality_wrapperIZN2at6native12_GLOBAL__N_124unique_dim_cuda_templateImEESt5tupleIJNSF_6TensorESK_SK_EERKSK_lbbbEUlllE0_EEPmJS9_EEE10hipError_tPvRmT3_T4_T5_T6_T7_T9_mT8_P12ihipStream_tbDpT10_ENKUlT_T0_E_clISt17integral_constantIbLb1EES1A_EEDaS15_S16_EUlS15_E_NS1_11comp_targetILNS1_3genE10ELNS1_11target_archE1200ELNS1_3gpuE4ELNS1_3repE0EEENS1_30default_config_static_selectorELNS0_4arch9wavefront6targetE1EEEvT1_,@function
_ZN7rocprim17ROCPRIM_400000_NS6detail17trampoline_kernelINS0_14default_configENS1_25partition_config_selectorILNS1_17partition_subalgoE9EllbEEZZNS1_14partition_implILS5_9ELb0ES3_jPlS8_PNS0_10empty_typeENS0_5tupleIJS8_S9_EEENSB_IJS8_SA_EEENS0_18inequality_wrapperIZN2at6native12_GLOBAL__N_124unique_dim_cuda_templateImEESt5tupleIJNSF_6TensorESK_SK_EERKSK_lbbbEUlllE0_EEPmJS9_EEE10hipError_tPvRmT3_T4_T5_T6_T7_T9_mT8_P12ihipStream_tbDpT10_ENKUlT_T0_E_clISt17integral_constantIbLb1EES1A_EEDaS15_S16_EUlS15_E_NS1_11comp_targetILNS1_3genE10ELNS1_11target_archE1200ELNS1_3gpuE4ELNS1_3repE0EEENS1_30default_config_static_selectorELNS0_4arch9wavefront6targetE1EEEvT1_: ; @_ZN7rocprim17ROCPRIM_400000_NS6detail17trampoline_kernelINS0_14default_configENS1_25partition_config_selectorILNS1_17partition_subalgoE9EllbEEZZNS1_14partition_implILS5_9ELb0ES3_jPlS8_PNS0_10empty_typeENS0_5tupleIJS8_S9_EEENSB_IJS8_SA_EEENS0_18inequality_wrapperIZN2at6native12_GLOBAL__N_124unique_dim_cuda_templateImEESt5tupleIJNSF_6TensorESK_SK_EERKSK_lbbbEUlllE0_EEPmJS9_EEE10hipError_tPvRmT3_T4_T5_T6_T7_T9_mT8_P12ihipStream_tbDpT10_ENKUlT_T0_E_clISt17integral_constantIbLb1EES1A_EEDaS15_S16_EUlS15_E_NS1_11comp_targetILNS1_3genE10ELNS1_11target_archE1200ELNS1_3gpuE4ELNS1_3repE0EEENS1_30default_config_static_selectorELNS0_4arch9wavefront6targetE1EEEvT1_
; %bb.0:
	.section	.rodata,"a",@progbits
	.p2align	6, 0x0
	.amdhsa_kernel _ZN7rocprim17ROCPRIM_400000_NS6detail17trampoline_kernelINS0_14default_configENS1_25partition_config_selectorILNS1_17partition_subalgoE9EllbEEZZNS1_14partition_implILS5_9ELb0ES3_jPlS8_PNS0_10empty_typeENS0_5tupleIJS8_S9_EEENSB_IJS8_SA_EEENS0_18inequality_wrapperIZN2at6native12_GLOBAL__N_124unique_dim_cuda_templateImEESt5tupleIJNSF_6TensorESK_SK_EERKSK_lbbbEUlllE0_EEPmJS9_EEE10hipError_tPvRmT3_T4_T5_T6_T7_T9_mT8_P12ihipStream_tbDpT10_ENKUlT_T0_E_clISt17integral_constantIbLb1EES1A_EEDaS15_S16_EUlS15_E_NS1_11comp_targetILNS1_3genE10ELNS1_11target_archE1200ELNS1_3gpuE4ELNS1_3repE0EEENS1_30default_config_static_selectorELNS0_4arch9wavefront6targetE1EEEvT1_
		.amdhsa_group_segment_fixed_size 0
		.amdhsa_private_segment_fixed_size 0
		.amdhsa_kernarg_size 136
		.amdhsa_user_sgpr_count 2
		.amdhsa_user_sgpr_dispatch_ptr 0
		.amdhsa_user_sgpr_queue_ptr 0
		.amdhsa_user_sgpr_kernarg_segment_ptr 1
		.amdhsa_user_sgpr_dispatch_id 0
		.amdhsa_user_sgpr_kernarg_preload_length 0
		.amdhsa_user_sgpr_kernarg_preload_offset 0
		.amdhsa_user_sgpr_private_segment_size 0
		.amdhsa_uses_dynamic_stack 0
		.amdhsa_enable_private_segment 0
		.amdhsa_system_sgpr_workgroup_id_x 1
		.amdhsa_system_sgpr_workgroup_id_y 0
		.amdhsa_system_sgpr_workgroup_id_z 0
		.amdhsa_system_sgpr_workgroup_info 0
		.amdhsa_system_vgpr_workitem_id 0
		.amdhsa_next_free_vgpr 1
		.amdhsa_next_free_sgpr 0
		.amdhsa_accum_offset 4
		.amdhsa_reserve_vcc 0
		.amdhsa_float_round_mode_32 0
		.amdhsa_float_round_mode_16_64 0
		.amdhsa_float_denorm_mode_32 3
		.amdhsa_float_denorm_mode_16_64 3
		.amdhsa_dx10_clamp 1
		.amdhsa_ieee_mode 1
		.amdhsa_fp16_overflow 0
		.amdhsa_tg_split 0
		.amdhsa_exception_fp_ieee_invalid_op 0
		.amdhsa_exception_fp_denorm_src 0
		.amdhsa_exception_fp_ieee_div_zero 0
		.amdhsa_exception_fp_ieee_overflow 0
		.amdhsa_exception_fp_ieee_underflow 0
		.amdhsa_exception_fp_ieee_inexact 0
		.amdhsa_exception_int_div_zero 0
	.end_amdhsa_kernel
	.section	.text._ZN7rocprim17ROCPRIM_400000_NS6detail17trampoline_kernelINS0_14default_configENS1_25partition_config_selectorILNS1_17partition_subalgoE9EllbEEZZNS1_14partition_implILS5_9ELb0ES3_jPlS8_PNS0_10empty_typeENS0_5tupleIJS8_S9_EEENSB_IJS8_SA_EEENS0_18inequality_wrapperIZN2at6native12_GLOBAL__N_124unique_dim_cuda_templateImEESt5tupleIJNSF_6TensorESK_SK_EERKSK_lbbbEUlllE0_EEPmJS9_EEE10hipError_tPvRmT3_T4_T5_T6_T7_T9_mT8_P12ihipStream_tbDpT10_ENKUlT_T0_E_clISt17integral_constantIbLb1EES1A_EEDaS15_S16_EUlS15_E_NS1_11comp_targetILNS1_3genE10ELNS1_11target_archE1200ELNS1_3gpuE4ELNS1_3repE0EEENS1_30default_config_static_selectorELNS0_4arch9wavefront6targetE1EEEvT1_,"axG",@progbits,_ZN7rocprim17ROCPRIM_400000_NS6detail17trampoline_kernelINS0_14default_configENS1_25partition_config_selectorILNS1_17partition_subalgoE9EllbEEZZNS1_14partition_implILS5_9ELb0ES3_jPlS8_PNS0_10empty_typeENS0_5tupleIJS8_S9_EEENSB_IJS8_SA_EEENS0_18inequality_wrapperIZN2at6native12_GLOBAL__N_124unique_dim_cuda_templateImEESt5tupleIJNSF_6TensorESK_SK_EERKSK_lbbbEUlllE0_EEPmJS9_EEE10hipError_tPvRmT3_T4_T5_T6_T7_T9_mT8_P12ihipStream_tbDpT10_ENKUlT_T0_E_clISt17integral_constantIbLb1EES1A_EEDaS15_S16_EUlS15_E_NS1_11comp_targetILNS1_3genE10ELNS1_11target_archE1200ELNS1_3gpuE4ELNS1_3repE0EEENS1_30default_config_static_selectorELNS0_4arch9wavefront6targetE1EEEvT1_,comdat
.Lfunc_end1719:
	.size	_ZN7rocprim17ROCPRIM_400000_NS6detail17trampoline_kernelINS0_14default_configENS1_25partition_config_selectorILNS1_17partition_subalgoE9EllbEEZZNS1_14partition_implILS5_9ELb0ES3_jPlS8_PNS0_10empty_typeENS0_5tupleIJS8_S9_EEENSB_IJS8_SA_EEENS0_18inequality_wrapperIZN2at6native12_GLOBAL__N_124unique_dim_cuda_templateImEESt5tupleIJNSF_6TensorESK_SK_EERKSK_lbbbEUlllE0_EEPmJS9_EEE10hipError_tPvRmT3_T4_T5_T6_T7_T9_mT8_P12ihipStream_tbDpT10_ENKUlT_T0_E_clISt17integral_constantIbLb1EES1A_EEDaS15_S16_EUlS15_E_NS1_11comp_targetILNS1_3genE10ELNS1_11target_archE1200ELNS1_3gpuE4ELNS1_3repE0EEENS1_30default_config_static_selectorELNS0_4arch9wavefront6targetE1EEEvT1_, .Lfunc_end1719-_ZN7rocprim17ROCPRIM_400000_NS6detail17trampoline_kernelINS0_14default_configENS1_25partition_config_selectorILNS1_17partition_subalgoE9EllbEEZZNS1_14partition_implILS5_9ELb0ES3_jPlS8_PNS0_10empty_typeENS0_5tupleIJS8_S9_EEENSB_IJS8_SA_EEENS0_18inequality_wrapperIZN2at6native12_GLOBAL__N_124unique_dim_cuda_templateImEESt5tupleIJNSF_6TensorESK_SK_EERKSK_lbbbEUlllE0_EEPmJS9_EEE10hipError_tPvRmT3_T4_T5_T6_T7_T9_mT8_P12ihipStream_tbDpT10_ENKUlT_T0_E_clISt17integral_constantIbLb1EES1A_EEDaS15_S16_EUlS15_E_NS1_11comp_targetILNS1_3genE10ELNS1_11target_archE1200ELNS1_3gpuE4ELNS1_3repE0EEENS1_30default_config_static_selectorELNS0_4arch9wavefront6targetE1EEEvT1_
                                        ; -- End function
	.section	.AMDGPU.csdata,"",@progbits
; Kernel info:
; codeLenInByte = 0
; NumSgprs: 6
; NumVgprs: 0
; NumAgprs: 0
; TotalNumVgprs: 0
; ScratchSize: 0
; MemoryBound: 0
; FloatMode: 240
; IeeeMode: 1
; LDSByteSize: 0 bytes/workgroup (compile time only)
; SGPRBlocks: 0
; VGPRBlocks: 0
; NumSGPRsForWavesPerEU: 6
; NumVGPRsForWavesPerEU: 1
; AccumOffset: 4
; Occupancy: 8
; WaveLimiterHint : 0
; COMPUTE_PGM_RSRC2:SCRATCH_EN: 0
; COMPUTE_PGM_RSRC2:USER_SGPR: 2
; COMPUTE_PGM_RSRC2:TRAP_HANDLER: 0
; COMPUTE_PGM_RSRC2:TGID_X_EN: 1
; COMPUTE_PGM_RSRC2:TGID_Y_EN: 0
; COMPUTE_PGM_RSRC2:TGID_Z_EN: 0
; COMPUTE_PGM_RSRC2:TIDIG_COMP_CNT: 0
; COMPUTE_PGM_RSRC3_GFX90A:ACCUM_OFFSET: 0
; COMPUTE_PGM_RSRC3_GFX90A:TG_SPLIT: 0
	.section	.text._ZN7rocprim17ROCPRIM_400000_NS6detail17trampoline_kernelINS0_14default_configENS1_25partition_config_selectorILNS1_17partition_subalgoE9EllbEEZZNS1_14partition_implILS5_9ELb0ES3_jPlS8_PNS0_10empty_typeENS0_5tupleIJS8_S9_EEENSB_IJS8_SA_EEENS0_18inequality_wrapperIZN2at6native12_GLOBAL__N_124unique_dim_cuda_templateImEESt5tupleIJNSF_6TensorESK_SK_EERKSK_lbbbEUlllE0_EEPmJS9_EEE10hipError_tPvRmT3_T4_T5_T6_T7_T9_mT8_P12ihipStream_tbDpT10_ENKUlT_T0_E_clISt17integral_constantIbLb1EES1A_EEDaS15_S16_EUlS15_E_NS1_11comp_targetILNS1_3genE9ELNS1_11target_archE1100ELNS1_3gpuE3ELNS1_3repE0EEENS1_30default_config_static_selectorELNS0_4arch9wavefront6targetE1EEEvT1_,"axG",@progbits,_ZN7rocprim17ROCPRIM_400000_NS6detail17trampoline_kernelINS0_14default_configENS1_25partition_config_selectorILNS1_17partition_subalgoE9EllbEEZZNS1_14partition_implILS5_9ELb0ES3_jPlS8_PNS0_10empty_typeENS0_5tupleIJS8_S9_EEENSB_IJS8_SA_EEENS0_18inequality_wrapperIZN2at6native12_GLOBAL__N_124unique_dim_cuda_templateImEESt5tupleIJNSF_6TensorESK_SK_EERKSK_lbbbEUlllE0_EEPmJS9_EEE10hipError_tPvRmT3_T4_T5_T6_T7_T9_mT8_P12ihipStream_tbDpT10_ENKUlT_T0_E_clISt17integral_constantIbLb1EES1A_EEDaS15_S16_EUlS15_E_NS1_11comp_targetILNS1_3genE9ELNS1_11target_archE1100ELNS1_3gpuE3ELNS1_3repE0EEENS1_30default_config_static_selectorELNS0_4arch9wavefront6targetE1EEEvT1_,comdat
	.globl	_ZN7rocprim17ROCPRIM_400000_NS6detail17trampoline_kernelINS0_14default_configENS1_25partition_config_selectorILNS1_17partition_subalgoE9EllbEEZZNS1_14partition_implILS5_9ELb0ES3_jPlS8_PNS0_10empty_typeENS0_5tupleIJS8_S9_EEENSB_IJS8_SA_EEENS0_18inequality_wrapperIZN2at6native12_GLOBAL__N_124unique_dim_cuda_templateImEESt5tupleIJNSF_6TensorESK_SK_EERKSK_lbbbEUlllE0_EEPmJS9_EEE10hipError_tPvRmT3_T4_T5_T6_T7_T9_mT8_P12ihipStream_tbDpT10_ENKUlT_T0_E_clISt17integral_constantIbLb1EES1A_EEDaS15_S16_EUlS15_E_NS1_11comp_targetILNS1_3genE9ELNS1_11target_archE1100ELNS1_3gpuE3ELNS1_3repE0EEENS1_30default_config_static_selectorELNS0_4arch9wavefront6targetE1EEEvT1_ ; -- Begin function _ZN7rocprim17ROCPRIM_400000_NS6detail17trampoline_kernelINS0_14default_configENS1_25partition_config_selectorILNS1_17partition_subalgoE9EllbEEZZNS1_14partition_implILS5_9ELb0ES3_jPlS8_PNS0_10empty_typeENS0_5tupleIJS8_S9_EEENSB_IJS8_SA_EEENS0_18inequality_wrapperIZN2at6native12_GLOBAL__N_124unique_dim_cuda_templateImEESt5tupleIJNSF_6TensorESK_SK_EERKSK_lbbbEUlllE0_EEPmJS9_EEE10hipError_tPvRmT3_T4_T5_T6_T7_T9_mT8_P12ihipStream_tbDpT10_ENKUlT_T0_E_clISt17integral_constantIbLb1EES1A_EEDaS15_S16_EUlS15_E_NS1_11comp_targetILNS1_3genE9ELNS1_11target_archE1100ELNS1_3gpuE3ELNS1_3repE0EEENS1_30default_config_static_selectorELNS0_4arch9wavefront6targetE1EEEvT1_
	.p2align	8
	.type	_ZN7rocprim17ROCPRIM_400000_NS6detail17trampoline_kernelINS0_14default_configENS1_25partition_config_selectorILNS1_17partition_subalgoE9EllbEEZZNS1_14partition_implILS5_9ELb0ES3_jPlS8_PNS0_10empty_typeENS0_5tupleIJS8_S9_EEENSB_IJS8_SA_EEENS0_18inequality_wrapperIZN2at6native12_GLOBAL__N_124unique_dim_cuda_templateImEESt5tupleIJNSF_6TensorESK_SK_EERKSK_lbbbEUlllE0_EEPmJS9_EEE10hipError_tPvRmT3_T4_T5_T6_T7_T9_mT8_P12ihipStream_tbDpT10_ENKUlT_T0_E_clISt17integral_constantIbLb1EES1A_EEDaS15_S16_EUlS15_E_NS1_11comp_targetILNS1_3genE9ELNS1_11target_archE1100ELNS1_3gpuE3ELNS1_3repE0EEENS1_30default_config_static_selectorELNS0_4arch9wavefront6targetE1EEEvT1_,@function
_ZN7rocprim17ROCPRIM_400000_NS6detail17trampoline_kernelINS0_14default_configENS1_25partition_config_selectorILNS1_17partition_subalgoE9EllbEEZZNS1_14partition_implILS5_9ELb0ES3_jPlS8_PNS0_10empty_typeENS0_5tupleIJS8_S9_EEENSB_IJS8_SA_EEENS0_18inequality_wrapperIZN2at6native12_GLOBAL__N_124unique_dim_cuda_templateImEESt5tupleIJNSF_6TensorESK_SK_EERKSK_lbbbEUlllE0_EEPmJS9_EEE10hipError_tPvRmT3_T4_T5_T6_T7_T9_mT8_P12ihipStream_tbDpT10_ENKUlT_T0_E_clISt17integral_constantIbLb1EES1A_EEDaS15_S16_EUlS15_E_NS1_11comp_targetILNS1_3genE9ELNS1_11target_archE1100ELNS1_3gpuE3ELNS1_3repE0EEENS1_30default_config_static_selectorELNS0_4arch9wavefront6targetE1EEEvT1_: ; @_ZN7rocprim17ROCPRIM_400000_NS6detail17trampoline_kernelINS0_14default_configENS1_25partition_config_selectorILNS1_17partition_subalgoE9EllbEEZZNS1_14partition_implILS5_9ELb0ES3_jPlS8_PNS0_10empty_typeENS0_5tupleIJS8_S9_EEENSB_IJS8_SA_EEENS0_18inequality_wrapperIZN2at6native12_GLOBAL__N_124unique_dim_cuda_templateImEESt5tupleIJNSF_6TensorESK_SK_EERKSK_lbbbEUlllE0_EEPmJS9_EEE10hipError_tPvRmT3_T4_T5_T6_T7_T9_mT8_P12ihipStream_tbDpT10_ENKUlT_T0_E_clISt17integral_constantIbLb1EES1A_EEDaS15_S16_EUlS15_E_NS1_11comp_targetILNS1_3genE9ELNS1_11target_archE1100ELNS1_3gpuE3ELNS1_3repE0EEENS1_30default_config_static_selectorELNS0_4arch9wavefront6targetE1EEEvT1_
; %bb.0:
	.section	.rodata,"a",@progbits
	.p2align	6, 0x0
	.amdhsa_kernel _ZN7rocprim17ROCPRIM_400000_NS6detail17trampoline_kernelINS0_14default_configENS1_25partition_config_selectorILNS1_17partition_subalgoE9EllbEEZZNS1_14partition_implILS5_9ELb0ES3_jPlS8_PNS0_10empty_typeENS0_5tupleIJS8_S9_EEENSB_IJS8_SA_EEENS0_18inequality_wrapperIZN2at6native12_GLOBAL__N_124unique_dim_cuda_templateImEESt5tupleIJNSF_6TensorESK_SK_EERKSK_lbbbEUlllE0_EEPmJS9_EEE10hipError_tPvRmT3_T4_T5_T6_T7_T9_mT8_P12ihipStream_tbDpT10_ENKUlT_T0_E_clISt17integral_constantIbLb1EES1A_EEDaS15_S16_EUlS15_E_NS1_11comp_targetILNS1_3genE9ELNS1_11target_archE1100ELNS1_3gpuE3ELNS1_3repE0EEENS1_30default_config_static_selectorELNS0_4arch9wavefront6targetE1EEEvT1_
		.amdhsa_group_segment_fixed_size 0
		.amdhsa_private_segment_fixed_size 0
		.amdhsa_kernarg_size 136
		.amdhsa_user_sgpr_count 2
		.amdhsa_user_sgpr_dispatch_ptr 0
		.amdhsa_user_sgpr_queue_ptr 0
		.amdhsa_user_sgpr_kernarg_segment_ptr 1
		.amdhsa_user_sgpr_dispatch_id 0
		.amdhsa_user_sgpr_kernarg_preload_length 0
		.amdhsa_user_sgpr_kernarg_preload_offset 0
		.amdhsa_user_sgpr_private_segment_size 0
		.amdhsa_uses_dynamic_stack 0
		.amdhsa_enable_private_segment 0
		.amdhsa_system_sgpr_workgroup_id_x 1
		.amdhsa_system_sgpr_workgroup_id_y 0
		.amdhsa_system_sgpr_workgroup_id_z 0
		.amdhsa_system_sgpr_workgroup_info 0
		.amdhsa_system_vgpr_workitem_id 0
		.amdhsa_next_free_vgpr 1
		.amdhsa_next_free_sgpr 0
		.amdhsa_accum_offset 4
		.amdhsa_reserve_vcc 0
		.amdhsa_float_round_mode_32 0
		.amdhsa_float_round_mode_16_64 0
		.amdhsa_float_denorm_mode_32 3
		.amdhsa_float_denorm_mode_16_64 3
		.amdhsa_dx10_clamp 1
		.amdhsa_ieee_mode 1
		.amdhsa_fp16_overflow 0
		.amdhsa_tg_split 0
		.amdhsa_exception_fp_ieee_invalid_op 0
		.amdhsa_exception_fp_denorm_src 0
		.amdhsa_exception_fp_ieee_div_zero 0
		.amdhsa_exception_fp_ieee_overflow 0
		.amdhsa_exception_fp_ieee_underflow 0
		.amdhsa_exception_fp_ieee_inexact 0
		.amdhsa_exception_int_div_zero 0
	.end_amdhsa_kernel
	.section	.text._ZN7rocprim17ROCPRIM_400000_NS6detail17trampoline_kernelINS0_14default_configENS1_25partition_config_selectorILNS1_17partition_subalgoE9EllbEEZZNS1_14partition_implILS5_9ELb0ES3_jPlS8_PNS0_10empty_typeENS0_5tupleIJS8_S9_EEENSB_IJS8_SA_EEENS0_18inequality_wrapperIZN2at6native12_GLOBAL__N_124unique_dim_cuda_templateImEESt5tupleIJNSF_6TensorESK_SK_EERKSK_lbbbEUlllE0_EEPmJS9_EEE10hipError_tPvRmT3_T4_T5_T6_T7_T9_mT8_P12ihipStream_tbDpT10_ENKUlT_T0_E_clISt17integral_constantIbLb1EES1A_EEDaS15_S16_EUlS15_E_NS1_11comp_targetILNS1_3genE9ELNS1_11target_archE1100ELNS1_3gpuE3ELNS1_3repE0EEENS1_30default_config_static_selectorELNS0_4arch9wavefront6targetE1EEEvT1_,"axG",@progbits,_ZN7rocprim17ROCPRIM_400000_NS6detail17trampoline_kernelINS0_14default_configENS1_25partition_config_selectorILNS1_17partition_subalgoE9EllbEEZZNS1_14partition_implILS5_9ELb0ES3_jPlS8_PNS0_10empty_typeENS0_5tupleIJS8_S9_EEENSB_IJS8_SA_EEENS0_18inequality_wrapperIZN2at6native12_GLOBAL__N_124unique_dim_cuda_templateImEESt5tupleIJNSF_6TensorESK_SK_EERKSK_lbbbEUlllE0_EEPmJS9_EEE10hipError_tPvRmT3_T4_T5_T6_T7_T9_mT8_P12ihipStream_tbDpT10_ENKUlT_T0_E_clISt17integral_constantIbLb1EES1A_EEDaS15_S16_EUlS15_E_NS1_11comp_targetILNS1_3genE9ELNS1_11target_archE1100ELNS1_3gpuE3ELNS1_3repE0EEENS1_30default_config_static_selectorELNS0_4arch9wavefront6targetE1EEEvT1_,comdat
.Lfunc_end1720:
	.size	_ZN7rocprim17ROCPRIM_400000_NS6detail17trampoline_kernelINS0_14default_configENS1_25partition_config_selectorILNS1_17partition_subalgoE9EllbEEZZNS1_14partition_implILS5_9ELb0ES3_jPlS8_PNS0_10empty_typeENS0_5tupleIJS8_S9_EEENSB_IJS8_SA_EEENS0_18inequality_wrapperIZN2at6native12_GLOBAL__N_124unique_dim_cuda_templateImEESt5tupleIJNSF_6TensorESK_SK_EERKSK_lbbbEUlllE0_EEPmJS9_EEE10hipError_tPvRmT3_T4_T5_T6_T7_T9_mT8_P12ihipStream_tbDpT10_ENKUlT_T0_E_clISt17integral_constantIbLb1EES1A_EEDaS15_S16_EUlS15_E_NS1_11comp_targetILNS1_3genE9ELNS1_11target_archE1100ELNS1_3gpuE3ELNS1_3repE0EEENS1_30default_config_static_selectorELNS0_4arch9wavefront6targetE1EEEvT1_, .Lfunc_end1720-_ZN7rocprim17ROCPRIM_400000_NS6detail17trampoline_kernelINS0_14default_configENS1_25partition_config_selectorILNS1_17partition_subalgoE9EllbEEZZNS1_14partition_implILS5_9ELb0ES3_jPlS8_PNS0_10empty_typeENS0_5tupleIJS8_S9_EEENSB_IJS8_SA_EEENS0_18inequality_wrapperIZN2at6native12_GLOBAL__N_124unique_dim_cuda_templateImEESt5tupleIJNSF_6TensorESK_SK_EERKSK_lbbbEUlllE0_EEPmJS9_EEE10hipError_tPvRmT3_T4_T5_T6_T7_T9_mT8_P12ihipStream_tbDpT10_ENKUlT_T0_E_clISt17integral_constantIbLb1EES1A_EEDaS15_S16_EUlS15_E_NS1_11comp_targetILNS1_3genE9ELNS1_11target_archE1100ELNS1_3gpuE3ELNS1_3repE0EEENS1_30default_config_static_selectorELNS0_4arch9wavefront6targetE1EEEvT1_
                                        ; -- End function
	.section	.AMDGPU.csdata,"",@progbits
; Kernel info:
; codeLenInByte = 0
; NumSgprs: 6
; NumVgprs: 0
; NumAgprs: 0
; TotalNumVgprs: 0
; ScratchSize: 0
; MemoryBound: 0
; FloatMode: 240
; IeeeMode: 1
; LDSByteSize: 0 bytes/workgroup (compile time only)
; SGPRBlocks: 0
; VGPRBlocks: 0
; NumSGPRsForWavesPerEU: 6
; NumVGPRsForWavesPerEU: 1
; AccumOffset: 4
; Occupancy: 8
; WaveLimiterHint : 0
; COMPUTE_PGM_RSRC2:SCRATCH_EN: 0
; COMPUTE_PGM_RSRC2:USER_SGPR: 2
; COMPUTE_PGM_RSRC2:TRAP_HANDLER: 0
; COMPUTE_PGM_RSRC2:TGID_X_EN: 1
; COMPUTE_PGM_RSRC2:TGID_Y_EN: 0
; COMPUTE_PGM_RSRC2:TGID_Z_EN: 0
; COMPUTE_PGM_RSRC2:TIDIG_COMP_CNT: 0
; COMPUTE_PGM_RSRC3_GFX90A:ACCUM_OFFSET: 0
; COMPUTE_PGM_RSRC3_GFX90A:TG_SPLIT: 0
	.section	.text._ZN7rocprim17ROCPRIM_400000_NS6detail17trampoline_kernelINS0_14default_configENS1_25partition_config_selectorILNS1_17partition_subalgoE9EllbEEZZNS1_14partition_implILS5_9ELb0ES3_jPlS8_PNS0_10empty_typeENS0_5tupleIJS8_S9_EEENSB_IJS8_SA_EEENS0_18inequality_wrapperIZN2at6native12_GLOBAL__N_124unique_dim_cuda_templateImEESt5tupleIJNSF_6TensorESK_SK_EERKSK_lbbbEUlllE0_EEPmJS9_EEE10hipError_tPvRmT3_T4_T5_T6_T7_T9_mT8_P12ihipStream_tbDpT10_ENKUlT_T0_E_clISt17integral_constantIbLb1EES1A_EEDaS15_S16_EUlS15_E_NS1_11comp_targetILNS1_3genE8ELNS1_11target_archE1030ELNS1_3gpuE2ELNS1_3repE0EEENS1_30default_config_static_selectorELNS0_4arch9wavefront6targetE1EEEvT1_,"axG",@progbits,_ZN7rocprim17ROCPRIM_400000_NS6detail17trampoline_kernelINS0_14default_configENS1_25partition_config_selectorILNS1_17partition_subalgoE9EllbEEZZNS1_14partition_implILS5_9ELb0ES3_jPlS8_PNS0_10empty_typeENS0_5tupleIJS8_S9_EEENSB_IJS8_SA_EEENS0_18inequality_wrapperIZN2at6native12_GLOBAL__N_124unique_dim_cuda_templateImEESt5tupleIJNSF_6TensorESK_SK_EERKSK_lbbbEUlllE0_EEPmJS9_EEE10hipError_tPvRmT3_T4_T5_T6_T7_T9_mT8_P12ihipStream_tbDpT10_ENKUlT_T0_E_clISt17integral_constantIbLb1EES1A_EEDaS15_S16_EUlS15_E_NS1_11comp_targetILNS1_3genE8ELNS1_11target_archE1030ELNS1_3gpuE2ELNS1_3repE0EEENS1_30default_config_static_selectorELNS0_4arch9wavefront6targetE1EEEvT1_,comdat
	.globl	_ZN7rocprim17ROCPRIM_400000_NS6detail17trampoline_kernelINS0_14default_configENS1_25partition_config_selectorILNS1_17partition_subalgoE9EllbEEZZNS1_14partition_implILS5_9ELb0ES3_jPlS8_PNS0_10empty_typeENS0_5tupleIJS8_S9_EEENSB_IJS8_SA_EEENS0_18inequality_wrapperIZN2at6native12_GLOBAL__N_124unique_dim_cuda_templateImEESt5tupleIJNSF_6TensorESK_SK_EERKSK_lbbbEUlllE0_EEPmJS9_EEE10hipError_tPvRmT3_T4_T5_T6_T7_T9_mT8_P12ihipStream_tbDpT10_ENKUlT_T0_E_clISt17integral_constantIbLb1EES1A_EEDaS15_S16_EUlS15_E_NS1_11comp_targetILNS1_3genE8ELNS1_11target_archE1030ELNS1_3gpuE2ELNS1_3repE0EEENS1_30default_config_static_selectorELNS0_4arch9wavefront6targetE1EEEvT1_ ; -- Begin function _ZN7rocprim17ROCPRIM_400000_NS6detail17trampoline_kernelINS0_14default_configENS1_25partition_config_selectorILNS1_17partition_subalgoE9EllbEEZZNS1_14partition_implILS5_9ELb0ES3_jPlS8_PNS0_10empty_typeENS0_5tupleIJS8_S9_EEENSB_IJS8_SA_EEENS0_18inequality_wrapperIZN2at6native12_GLOBAL__N_124unique_dim_cuda_templateImEESt5tupleIJNSF_6TensorESK_SK_EERKSK_lbbbEUlllE0_EEPmJS9_EEE10hipError_tPvRmT3_T4_T5_T6_T7_T9_mT8_P12ihipStream_tbDpT10_ENKUlT_T0_E_clISt17integral_constantIbLb1EES1A_EEDaS15_S16_EUlS15_E_NS1_11comp_targetILNS1_3genE8ELNS1_11target_archE1030ELNS1_3gpuE2ELNS1_3repE0EEENS1_30default_config_static_selectorELNS0_4arch9wavefront6targetE1EEEvT1_
	.p2align	8
	.type	_ZN7rocprim17ROCPRIM_400000_NS6detail17trampoline_kernelINS0_14default_configENS1_25partition_config_selectorILNS1_17partition_subalgoE9EllbEEZZNS1_14partition_implILS5_9ELb0ES3_jPlS8_PNS0_10empty_typeENS0_5tupleIJS8_S9_EEENSB_IJS8_SA_EEENS0_18inequality_wrapperIZN2at6native12_GLOBAL__N_124unique_dim_cuda_templateImEESt5tupleIJNSF_6TensorESK_SK_EERKSK_lbbbEUlllE0_EEPmJS9_EEE10hipError_tPvRmT3_T4_T5_T6_T7_T9_mT8_P12ihipStream_tbDpT10_ENKUlT_T0_E_clISt17integral_constantIbLb1EES1A_EEDaS15_S16_EUlS15_E_NS1_11comp_targetILNS1_3genE8ELNS1_11target_archE1030ELNS1_3gpuE2ELNS1_3repE0EEENS1_30default_config_static_selectorELNS0_4arch9wavefront6targetE1EEEvT1_,@function
_ZN7rocprim17ROCPRIM_400000_NS6detail17trampoline_kernelINS0_14default_configENS1_25partition_config_selectorILNS1_17partition_subalgoE9EllbEEZZNS1_14partition_implILS5_9ELb0ES3_jPlS8_PNS0_10empty_typeENS0_5tupleIJS8_S9_EEENSB_IJS8_SA_EEENS0_18inequality_wrapperIZN2at6native12_GLOBAL__N_124unique_dim_cuda_templateImEESt5tupleIJNSF_6TensorESK_SK_EERKSK_lbbbEUlllE0_EEPmJS9_EEE10hipError_tPvRmT3_T4_T5_T6_T7_T9_mT8_P12ihipStream_tbDpT10_ENKUlT_T0_E_clISt17integral_constantIbLb1EES1A_EEDaS15_S16_EUlS15_E_NS1_11comp_targetILNS1_3genE8ELNS1_11target_archE1030ELNS1_3gpuE2ELNS1_3repE0EEENS1_30default_config_static_selectorELNS0_4arch9wavefront6targetE1EEEvT1_: ; @_ZN7rocprim17ROCPRIM_400000_NS6detail17trampoline_kernelINS0_14default_configENS1_25partition_config_selectorILNS1_17partition_subalgoE9EllbEEZZNS1_14partition_implILS5_9ELb0ES3_jPlS8_PNS0_10empty_typeENS0_5tupleIJS8_S9_EEENSB_IJS8_SA_EEENS0_18inequality_wrapperIZN2at6native12_GLOBAL__N_124unique_dim_cuda_templateImEESt5tupleIJNSF_6TensorESK_SK_EERKSK_lbbbEUlllE0_EEPmJS9_EEE10hipError_tPvRmT3_T4_T5_T6_T7_T9_mT8_P12ihipStream_tbDpT10_ENKUlT_T0_E_clISt17integral_constantIbLb1EES1A_EEDaS15_S16_EUlS15_E_NS1_11comp_targetILNS1_3genE8ELNS1_11target_archE1030ELNS1_3gpuE2ELNS1_3repE0EEENS1_30default_config_static_selectorELNS0_4arch9wavefront6targetE1EEEvT1_
; %bb.0:
	.section	.rodata,"a",@progbits
	.p2align	6, 0x0
	.amdhsa_kernel _ZN7rocprim17ROCPRIM_400000_NS6detail17trampoline_kernelINS0_14default_configENS1_25partition_config_selectorILNS1_17partition_subalgoE9EllbEEZZNS1_14partition_implILS5_9ELb0ES3_jPlS8_PNS0_10empty_typeENS0_5tupleIJS8_S9_EEENSB_IJS8_SA_EEENS0_18inequality_wrapperIZN2at6native12_GLOBAL__N_124unique_dim_cuda_templateImEESt5tupleIJNSF_6TensorESK_SK_EERKSK_lbbbEUlllE0_EEPmJS9_EEE10hipError_tPvRmT3_T4_T5_T6_T7_T9_mT8_P12ihipStream_tbDpT10_ENKUlT_T0_E_clISt17integral_constantIbLb1EES1A_EEDaS15_S16_EUlS15_E_NS1_11comp_targetILNS1_3genE8ELNS1_11target_archE1030ELNS1_3gpuE2ELNS1_3repE0EEENS1_30default_config_static_selectorELNS0_4arch9wavefront6targetE1EEEvT1_
		.amdhsa_group_segment_fixed_size 0
		.amdhsa_private_segment_fixed_size 0
		.amdhsa_kernarg_size 136
		.amdhsa_user_sgpr_count 2
		.amdhsa_user_sgpr_dispatch_ptr 0
		.amdhsa_user_sgpr_queue_ptr 0
		.amdhsa_user_sgpr_kernarg_segment_ptr 1
		.amdhsa_user_sgpr_dispatch_id 0
		.amdhsa_user_sgpr_kernarg_preload_length 0
		.amdhsa_user_sgpr_kernarg_preload_offset 0
		.amdhsa_user_sgpr_private_segment_size 0
		.amdhsa_uses_dynamic_stack 0
		.amdhsa_enable_private_segment 0
		.amdhsa_system_sgpr_workgroup_id_x 1
		.amdhsa_system_sgpr_workgroup_id_y 0
		.amdhsa_system_sgpr_workgroup_id_z 0
		.amdhsa_system_sgpr_workgroup_info 0
		.amdhsa_system_vgpr_workitem_id 0
		.amdhsa_next_free_vgpr 1
		.amdhsa_next_free_sgpr 0
		.amdhsa_accum_offset 4
		.amdhsa_reserve_vcc 0
		.amdhsa_float_round_mode_32 0
		.amdhsa_float_round_mode_16_64 0
		.amdhsa_float_denorm_mode_32 3
		.amdhsa_float_denorm_mode_16_64 3
		.amdhsa_dx10_clamp 1
		.amdhsa_ieee_mode 1
		.amdhsa_fp16_overflow 0
		.amdhsa_tg_split 0
		.amdhsa_exception_fp_ieee_invalid_op 0
		.amdhsa_exception_fp_denorm_src 0
		.amdhsa_exception_fp_ieee_div_zero 0
		.amdhsa_exception_fp_ieee_overflow 0
		.amdhsa_exception_fp_ieee_underflow 0
		.amdhsa_exception_fp_ieee_inexact 0
		.amdhsa_exception_int_div_zero 0
	.end_amdhsa_kernel
	.section	.text._ZN7rocprim17ROCPRIM_400000_NS6detail17trampoline_kernelINS0_14default_configENS1_25partition_config_selectorILNS1_17partition_subalgoE9EllbEEZZNS1_14partition_implILS5_9ELb0ES3_jPlS8_PNS0_10empty_typeENS0_5tupleIJS8_S9_EEENSB_IJS8_SA_EEENS0_18inequality_wrapperIZN2at6native12_GLOBAL__N_124unique_dim_cuda_templateImEESt5tupleIJNSF_6TensorESK_SK_EERKSK_lbbbEUlllE0_EEPmJS9_EEE10hipError_tPvRmT3_T4_T5_T6_T7_T9_mT8_P12ihipStream_tbDpT10_ENKUlT_T0_E_clISt17integral_constantIbLb1EES1A_EEDaS15_S16_EUlS15_E_NS1_11comp_targetILNS1_3genE8ELNS1_11target_archE1030ELNS1_3gpuE2ELNS1_3repE0EEENS1_30default_config_static_selectorELNS0_4arch9wavefront6targetE1EEEvT1_,"axG",@progbits,_ZN7rocprim17ROCPRIM_400000_NS6detail17trampoline_kernelINS0_14default_configENS1_25partition_config_selectorILNS1_17partition_subalgoE9EllbEEZZNS1_14partition_implILS5_9ELb0ES3_jPlS8_PNS0_10empty_typeENS0_5tupleIJS8_S9_EEENSB_IJS8_SA_EEENS0_18inequality_wrapperIZN2at6native12_GLOBAL__N_124unique_dim_cuda_templateImEESt5tupleIJNSF_6TensorESK_SK_EERKSK_lbbbEUlllE0_EEPmJS9_EEE10hipError_tPvRmT3_T4_T5_T6_T7_T9_mT8_P12ihipStream_tbDpT10_ENKUlT_T0_E_clISt17integral_constantIbLb1EES1A_EEDaS15_S16_EUlS15_E_NS1_11comp_targetILNS1_3genE8ELNS1_11target_archE1030ELNS1_3gpuE2ELNS1_3repE0EEENS1_30default_config_static_selectorELNS0_4arch9wavefront6targetE1EEEvT1_,comdat
.Lfunc_end1721:
	.size	_ZN7rocprim17ROCPRIM_400000_NS6detail17trampoline_kernelINS0_14default_configENS1_25partition_config_selectorILNS1_17partition_subalgoE9EllbEEZZNS1_14partition_implILS5_9ELb0ES3_jPlS8_PNS0_10empty_typeENS0_5tupleIJS8_S9_EEENSB_IJS8_SA_EEENS0_18inequality_wrapperIZN2at6native12_GLOBAL__N_124unique_dim_cuda_templateImEESt5tupleIJNSF_6TensorESK_SK_EERKSK_lbbbEUlllE0_EEPmJS9_EEE10hipError_tPvRmT3_T4_T5_T6_T7_T9_mT8_P12ihipStream_tbDpT10_ENKUlT_T0_E_clISt17integral_constantIbLb1EES1A_EEDaS15_S16_EUlS15_E_NS1_11comp_targetILNS1_3genE8ELNS1_11target_archE1030ELNS1_3gpuE2ELNS1_3repE0EEENS1_30default_config_static_selectorELNS0_4arch9wavefront6targetE1EEEvT1_, .Lfunc_end1721-_ZN7rocprim17ROCPRIM_400000_NS6detail17trampoline_kernelINS0_14default_configENS1_25partition_config_selectorILNS1_17partition_subalgoE9EllbEEZZNS1_14partition_implILS5_9ELb0ES3_jPlS8_PNS0_10empty_typeENS0_5tupleIJS8_S9_EEENSB_IJS8_SA_EEENS0_18inequality_wrapperIZN2at6native12_GLOBAL__N_124unique_dim_cuda_templateImEESt5tupleIJNSF_6TensorESK_SK_EERKSK_lbbbEUlllE0_EEPmJS9_EEE10hipError_tPvRmT3_T4_T5_T6_T7_T9_mT8_P12ihipStream_tbDpT10_ENKUlT_T0_E_clISt17integral_constantIbLb1EES1A_EEDaS15_S16_EUlS15_E_NS1_11comp_targetILNS1_3genE8ELNS1_11target_archE1030ELNS1_3gpuE2ELNS1_3repE0EEENS1_30default_config_static_selectorELNS0_4arch9wavefront6targetE1EEEvT1_
                                        ; -- End function
	.section	.AMDGPU.csdata,"",@progbits
; Kernel info:
; codeLenInByte = 0
; NumSgprs: 6
; NumVgprs: 0
; NumAgprs: 0
; TotalNumVgprs: 0
; ScratchSize: 0
; MemoryBound: 0
; FloatMode: 240
; IeeeMode: 1
; LDSByteSize: 0 bytes/workgroup (compile time only)
; SGPRBlocks: 0
; VGPRBlocks: 0
; NumSGPRsForWavesPerEU: 6
; NumVGPRsForWavesPerEU: 1
; AccumOffset: 4
; Occupancy: 8
; WaveLimiterHint : 0
; COMPUTE_PGM_RSRC2:SCRATCH_EN: 0
; COMPUTE_PGM_RSRC2:USER_SGPR: 2
; COMPUTE_PGM_RSRC2:TRAP_HANDLER: 0
; COMPUTE_PGM_RSRC2:TGID_X_EN: 1
; COMPUTE_PGM_RSRC2:TGID_Y_EN: 0
; COMPUTE_PGM_RSRC2:TGID_Z_EN: 0
; COMPUTE_PGM_RSRC2:TIDIG_COMP_CNT: 0
; COMPUTE_PGM_RSRC3_GFX90A:ACCUM_OFFSET: 0
; COMPUTE_PGM_RSRC3_GFX90A:TG_SPLIT: 0
	.section	.text._ZN7rocprim17ROCPRIM_400000_NS6detail17trampoline_kernelINS0_14default_configENS1_25partition_config_selectorILNS1_17partition_subalgoE9EllbEEZZNS1_14partition_implILS5_9ELb0ES3_jPlS8_PNS0_10empty_typeENS0_5tupleIJS8_S9_EEENSB_IJS8_SA_EEENS0_18inequality_wrapperIZN2at6native12_GLOBAL__N_124unique_dim_cuda_templateImEESt5tupleIJNSF_6TensorESK_SK_EERKSK_lbbbEUlllE0_EEPmJS9_EEE10hipError_tPvRmT3_T4_T5_T6_T7_T9_mT8_P12ihipStream_tbDpT10_ENKUlT_T0_E_clISt17integral_constantIbLb1EES19_IbLb0EEEEDaS15_S16_EUlS15_E_NS1_11comp_targetILNS1_3genE0ELNS1_11target_archE4294967295ELNS1_3gpuE0ELNS1_3repE0EEENS1_30default_config_static_selectorELNS0_4arch9wavefront6targetE1EEEvT1_,"axG",@progbits,_ZN7rocprim17ROCPRIM_400000_NS6detail17trampoline_kernelINS0_14default_configENS1_25partition_config_selectorILNS1_17partition_subalgoE9EllbEEZZNS1_14partition_implILS5_9ELb0ES3_jPlS8_PNS0_10empty_typeENS0_5tupleIJS8_S9_EEENSB_IJS8_SA_EEENS0_18inequality_wrapperIZN2at6native12_GLOBAL__N_124unique_dim_cuda_templateImEESt5tupleIJNSF_6TensorESK_SK_EERKSK_lbbbEUlllE0_EEPmJS9_EEE10hipError_tPvRmT3_T4_T5_T6_T7_T9_mT8_P12ihipStream_tbDpT10_ENKUlT_T0_E_clISt17integral_constantIbLb1EES19_IbLb0EEEEDaS15_S16_EUlS15_E_NS1_11comp_targetILNS1_3genE0ELNS1_11target_archE4294967295ELNS1_3gpuE0ELNS1_3repE0EEENS1_30default_config_static_selectorELNS0_4arch9wavefront6targetE1EEEvT1_,comdat
	.globl	_ZN7rocprim17ROCPRIM_400000_NS6detail17trampoline_kernelINS0_14default_configENS1_25partition_config_selectorILNS1_17partition_subalgoE9EllbEEZZNS1_14partition_implILS5_9ELb0ES3_jPlS8_PNS0_10empty_typeENS0_5tupleIJS8_S9_EEENSB_IJS8_SA_EEENS0_18inequality_wrapperIZN2at6native12_GLOBAL__N_124unique_dim_cuda_templateImEESt5tupleIJNSF_6TensorESK_SK_EERKSK_lbbbEUlllE0_EEPmJS9_EEE10hipError_tPvRmT3_T4_T5_T6_T7_T9_mT8_P12ihipStream_tbDpT10_ENKUlT_T0_E_clISt17integral_constantIbLb1EES19_IbLb0EEEEDaS15_S16_EUlS15_E_NS1_11comp_targetILNS1_3genE0ELNS1_11target_archE4294967295ELNS1_3gpuE0ELNS1_3repE0EEENS1_30default_config_static_selectorELNS0_4arch9wavefront6targetE1EEEvT1_ ; -- Begin function _ZN7rocprim17ROCPRIM_400000_NS6detail17trampoline_kernelINS0_14default_configENS1_25partition_config_selectorILNS1_17partition_subalgoE9EllbEEZZNS1_14partition_implILS5_9ELb0ES3_jPlS8_PNS0_10empty_typeENS0_5tupleIJS8_S9_EEENSB_IJS8_SA_EEENS0_18inequality_wrapperIZN2at6native12_GLOBAL__N_124unique_dim_cuda_templateImEESt5tupleIJNSF_6TensorESK_SK_EERKSK_lbbbEUlllE0_EEPmJS9_EEE10hipError_tPvRmT3_T4_T5_T6_T7_T9_mT8_P12ihipStream_tbDpT10_ENKUlT_T0_E_clISt17integral_constantIbLb1EES19_IbLb0EEEEDaS15_S16_EUlS15_E_NS1_11comp_targetILNS1_3genE0ELNS1_11target_archE4294967295ELNS1_3gpuE0ELNS1_3repE0EEENS1_30default_config_static_selectorELNS0_4arch9wavefront6targetE1EEEvT1_
	.p2align	8
	.type	_ZN7rocprim17ROCPRIM_400000_NS6detail17trampoline_kernelINS0_14default_configENS1_25partition_config_selectorILNS1_17partition_subalgoE9EllbEEZZNS1_14partition_implILS5_9ELb0ES3_jPlS8_PNS0_10empty_typeENS0_5tupleIJS8_S9_EEENSB_IJS8_SA_EEENS0_18inequality_wrapperIZN2at6native12_GLOBAL__N_124unique_dim_cuda_templateImEESt5tupleIJNSF_6TensorESK_SK_EERKSK_lbbbEUlllE0_EEPmJS9_EEE10hipError_tPvRmT3_T4_T5_T6_T7_T9_mT8_P12ihipStream_tbDpT10_ENKUlT_T0_E_clISt17integral_constantIbLb1EES19_IbLb0EEEEDaS15_S16_EUlS15_E_NS1_11comp_targetILNS1_3genE0ELNS1_11target_archE4294967295ELNS1_3gpuE0ELNS1_3repE0EEENS1_30default_config_static_selectorELNS0_4arch9wavefront6targetE1EEEvT1_,@function
_ZN7rocprim17ROCPRIM_400000_NS6detail17trampoline_kernelINS0_14default_configENS1_25partition_config_selectorILNS1_17partition_subalgoE9EllbEEZZNS1_14partition_implILS5_9ELb0ES3_jPlS8_PNS0_10empty_typeENS0_5tupleIJS8_S9_EEENSB_IJS8_SA_EEENS0_18inequality_wrapperIZN2at6native12_GLOBAL__N_124unique_dim_cuda_templateImEESt5tupleIJNSF_6TensorESK_SK_EERKSK_lbbbEUlllE0_EEPmJS9_EEE10hipError_tPvRmT3_T4_T5_T6_T7_T9_mT8_P12ihipStream_tbDpT10_ENKUlT_T0_E_clISt17integral_constantIbLb1EES19_IbLb0EEEEDaS15_S16_EUlS15_E_NS1_11comp_targetILNS1_3genE0ELNS1_11target_archE4294967295ELNS1_3gpuE0ELNS1_3repE0EEENS1_30default_config_static_selectorELNS0_4arch9wavefront6targetE1EEEvT1_: ; @_ZN7rocprim17ROCPRIM_400000_NS6detail17trampoline_kernelINS0_14default_configENS1_25partition_config_selectorILNS1_17partition_subalgoE9EllbEEZZNS1_14partition_implILS5_9ELb0ES3_jPlS8_PNS0_10empty_typeENS0_5tupleIJS8_S9_EEENSB_IJS8_SA_EEENS0_18inequality_wrapperIZN2at6native12_GLOBAL__N_124unique_dim_cuda_templateImEESt5tupleIJNSF_6TensorESK_SK_EERKSK_lbbbEUlllE0_EEPmJS9_EEE10hipError_tPvRmT3_T4_T5_T6_T7_T9_mT8_P12ihipStream_tbDpT10_ENKUlT_T0_E_clISt17integral_constantIbLb1EES19_IbLb0EEEEDaS15_S16_EUlS15_E_NS1_11comp_targetILNS1_3genE0ELNS1_11target_archE4294967295ELNS1_3gpuE0ELNS1_3repE0EEENS1_30default_config_static_selectorELNS0_4arch9wavefront6targetE1EEEvT1_
; %bb.0:
	.section	.rodata,"a",@progbits
	.p2align	6, 0x0
	.amdhsa_kernel _ZN7rocprim17ROCPRIM_400000_NS6detail17trampoline_kernelINS0_14default_configENS1_25partition_config_selectorILNS1_17partition_subalgoE9EllbEEZZNS1_14partition_implILS5_9ELb0ES3_jPlS8_PNS0_10empty_typeENS0_5tupleIJS8_S9_EEENSB_IJS8_SA_EEENS0_18inequality_wrapperIZN2at6native12_GLOBAL__N_124unique_dim_cuda_templateImEESt5tupleIJNSF_6TensorESK_SK_EERKSK_lbbbEUlllE0_EEPmJS9_EEE10hipError_tPvRmT3_T4_T5_T6_T7_T9_mT8_P12ihipStream_tbDpT10_ENKUlT_T0_E_clISt17integral_constantIbLb1EES19_IbLb0EEEEDaS15_S16_EUlS15_E_NS1_11comp_targetILNS1_3genE0ELNS1_11target_archE4294967295ELNS1_3gpuE0ELNS1_3repE0EEENS1_30default_config_static_selectorELNS0_4arch9wavefront6targetE1EEEvT1_
		.amdhsa_group_segment_fixed_size 0
		.amdhsa_private_segment_fixed_size 0
		.amdhsa_kernarg_size 120
		.amdhsa_user_sgpr_count 2
		.amdhsa_user_sgpr_dispatch_ptr 0
		.amdhsa_user_sgpr_queue_ptr 0
		.amdhsa_user_sgpr_kernarg_segment_ptr 1
		.amdhsa_user_sgpr_dispatch_id 0
		.amdhsa_user_sgpr_kernarg_preload_length 0
		.amdhsa_user_sgpr_kernarg_preload_offset 0
		.amdhsa_user_sgpr_private_segment_size 0
		.amdhsa_uses_dynamic_stack 0
		.amdhsa_enable_private_segment 0
		.amdhsa_system_sgpr_workgroup_id_x 1
		.amdhsa_system_sgpr_workgroup_id_y 0
		.amdhsa_system_sgpr_workgroup_id_z 0
		.amdhsa_system_sgpr_workgroup_info 0
		.amdhsa_system_vgpr_workitem_id 0
		.amdhsa_next_free_vgpr 1
		.amdhsa_next_free_sgpr 0
		.amdhsa_accum_offset 4
		.amdhsa_reserve_vcc 0
		.amdhsa_float_round_mode_32 0
		.amdhsa_float_round_mode_16_64 0
		.amdhsa_float_denorm_mode_32 3
		.amdhsa_float_denorm_mode_16_64 3
		.amdhsa_dx10_clamp 1
		.amdhsa_ieee_mode 1
		.amdhsa_fp16_overflow 0
		.amdhsa_tg_split 0
		.amdhsa_exception_fp_ieee_invalid_op 0
		.amdhsa_exception_fp_denorm_src 0
		.amdhsa_exception_fp_ieee_div_zero 0
		.amdhsa_exception_fp_ieee_overflow 0
		.amdhsa_exception_fp_ieee_underflow 0
		.amdhsa_exception_fp_ieee_inexact 0
		.amdhsa_exception_int_div_zero 0
	.end_amdhsa_kernel
	.section	.text._ZN7rocprim17ROCPRIM_400000_NS6detail17trampoline_kernelINS0_14default_configENS1_25partition_config_selectorILNS1_17partition_subalgoE9EllbEEZZNS1_14partition_implILS5_9ELb0ES3_jPlS8_PNS0_10empty_typeENS0_5tupleIJS8_S9_EEENSB_IJS8_SA_EEENS0_18inequality_wrapperIZN2at6native12_GLOBAL__N_124unique_dim_cuda_templateImEESt5tupleIJNSF_6TensorESK_SK_EERKSK_lbbbEUlllE0_EEPmJS9_EEE10hipError_tPvRmT3_T4_T5_T6_T7_T9_mT8_P12ihipStream_tbDpT10_ENKUlT_T0_E_clISt17integral_constantIbLb1EES19_IbLb0EEEEDaS15_S16_EUlS15_E_NS1_11comp_targetILNS1_3genE0ELNS1_11target_archE4294967295ELNS1_3gpuE0ELNS1_3repE0EEENS1_30default_config_static_selectorELNS0_4arch9wavefront6targetE1EEEvT1_,"axG",@progbits,_ZN7rocprim17ROCPRIM_400000_NS6detail17trampoline_kernelINS0_14default_configENS1_25partition_config_selectorILNS1_17partition_subalgoE9EllbEEZZNS1_14partition_implILS5_9ELb0ES3_jPlS8_PNS0_10empty_typeENS0_5tupleIJS8_S9_EEENSB_IJS8_SA_EEENS0_18inequality_wrapperIZN2at6native12_GLOBAL__N_124unique_dim_cuda_templateImEESt5tupleIJNSF_6TensorESK_SK_EERKSK_lbbbEUlllE0_EEPmJS9_EEE10hipError_tPvRmT3_T4_T5_T6_T7_T9_mT8_P12ihipStream_tbDpT10_ENKUlT_T0_E_clISt17integral_constantIbLb1EES19_IbLb0EEEEDaS15_S16_EUlS15_E_NS1_11comp_targetILNS1_3genE0ELNS1_11target_archE4294967295ELNS1_3gpuE0ELNS1_3repE0EEENS1_30default_config_static_selectorELNS0_4arch9wavefront6targetE1EEEvT1_,comdat
.Lfunc_end1722:
	.size	_ZN7rocprim17ROCPRIM_400000_NS6detail17trampoline_kernelINS0_14default_configENS1_25partition_config_selectorILNS1_17partition_subalgoE9EllbEEZZNS1_14partition_implILS5_9ELb0ES3_jPlS8_PNS0_10empty_typeENS0_5tupleIJS8_S9_EEENSB_IJS8_SA_EEENS0_18inequality_wrapperIZN2at6native12_GLOBAL__N_124unique_dim_cuda_templateImEESt5tupleIJNSF_6TensorESK_SK_EERKSK_lbbbEUlllE0_EEPmJS9_EEE10hipError_tPvRmT3_T4_T5_T6_T7_T9_mT8_P12ihipStream_tbDpT10_ENKUlT_T0_E_clISt17integral_constantIbLb1EES19_IbLb0EEEEDaS15_S16_EUlS15_E_NS1_11comp_targetILNS1_3genE0ELNS1_11target_archE4294967295ELNS1_3gpuE0ELNS1_3repE0EEENS1_30default_config_static_selectorELNS0_4arch9wavefront6targetE1EEEvT1_, .Lfunc_end1722-_ZN7rocprim17ROCPRIM_400000_NS6detail17trampoline_kernelINS0_14default_configENS1_25partition_config_selectorILNS1_17partition_subalgoE9EllbEEZZNS1_14partition_implILS5_9ELb0ES3_jPlS8_PNS0_10empty_typeENS0_5tupleIJS8_S9_EEENSB_IJS8_SA_EEENS0_18inequality_wrapperIZN2at6native12_GLOBAL__N_124unique_dim_cuda_templateImEESt5tupleIJNSF_6TensorESK_SK_EERKSK_lbbbEUlllE0_EEPmJS9_EEE10hipError_tPvRmT3_T4_T5_T6_T7_T9_mT8_P12ihipStream_tbDpT10_ENKUlT_T0_E_clISt17integral_constantIbLb1EES19_IbLb0EEEEDaS15_S16_EUlS15_E_NS1_11comp_targetILNS1_3genE0ELNS1_11target_archE4294967295ELNS1_3gpuE0ELNS1_3repE0EEENS1_30default_config_static_selectorELNS0_4arch9wavefront6targetE1EEEvT1_
                                        ; -- End function
	.section	.AMDGPU.csdata,"",@progbits
; Kernel info:
; codeLenInByte = 0
; NumSgprs: 6
; NumVgprs: 0
; NumAgprs: 0
; TotalNumVgprs: 0
; ScratchSize: 0
; MemoryBound: 0
; FloatMode: 240
; IeeeMode: 1
; LDSByteSize: 0 bytes/workgroup (compile time only)
; SGPRBlocks: 0
; VGPRBlocks: 0
; NumSGPRsForWavesPerEU: 6
; NumVGPRsForWavesPerEU: 1
; AccumOffset: 4
; Occupancy: 8
; WaveLimiterHint : 0
; COMPUTE_PGM_RSRC2:SCRATCH_EN: 0
; COMPUTE_PGM_RSRC2:USER_SGPR: 2
; COMPUTE_PGM_RSRC2:TRAP_HANDLER: 0
; COMPUTE_PGM_RSRC2:TGID_X_EN: 1
; COMPUTE_PGM_RSRC2:TGID_Y_EN: 0
; COMPUTE_PGM_RSRC2:TGID_Z_EN: 0
; COMPUTE_PGM_RSRC2:TIDIG_COMP_CNT: 0
; COMPUTE_PGM_RSRC3_GFX90A:ACCUM_OFFSET: 0
; COMPUTE_PGM_RSRC3_GFX90A:TG_SPLIT: 0
	.section	.text._ZN7rocprim17ROCPRIM_400000_NS6detail17trampoline_kernelINS0_14default_configENS1_25partition_config_selectorILNS1_17partition_subalgoE9EllbEEZZNS1_14partition_implILS5_9ELb0ES3_jPlS8_PNS0_10empty_typeENS0_5tupleIJS8_S9_EEENSB_IJS8_SA_EEENS0_18inequality_wrapperIZN2at6native12_GLOBAL__N_124unique_dim_cuda_templateImEESt5tupleIJNSF_6TensorESK_SK_EERKSK_lbbbEUlllE0_EEPmJS9_EEE10hipError_tPvRmT3_T4_T5_T6_T7_T9_mT8_P12ihipStream_tbDpT10_ENKUlT_T0_E_clISt17integral_constantIbLb1EES19_IbLb0EEEEDaS15_S16_EUlS15_E_NS1_11comp_targetILNS1_3genE5ELNS1_11target_archE942ELNS1_3gpuE9ELNS1_3repE0EEENS1_30default_config_static_selectorELNS0_4arch9wavefront6targetE1EEEvT1_,"axG",@progbits,_ZN7rocprim17ROCPRIM_400000_NS6detail17trampoline_kernelINS0_14default_configENS1_25partition_config_selectorILNS1_17partition_subalgoE9EllbEEZZNS1_14partition_implILS5_9ELb0ES3_jPlS8_PNS0_10empty_typeENS0_5tupleIJS8_S9_EEENSB_IJS8_SA_EEENS0_18inequality_wrapperIZN2at6native12_GLOBAL__N_124unique_dim_cuda_templateImEESt5tupleIJNSF_6TensorESK_SK_EERKSK_lbbbEUlllE0_EEPmJS9_EEE10hipError_tPvRmT3_T4_T5_T6_T7_T9_mT8_P12ihipStream_tbDpT10_ENKUlT_T0_E_clISt17integral_constantIbLb1EES19_IbLb0EEEEDaS15_S16_EUlS15_E_NS1_11comp_targetILNS1_3genE5ELNS1_11target_archE942ELNS1_3gpuE9ELNS1_3repE0EEENS1_30default_config_static_selectorELNS0_4arch9wavefront6targetE1EEEvT1_,comdat
	.globl	_ZN7rocprim17ROCPRIM_400000_NS6detail17trampoline_kernelINS0_14default_configENS1_25partition_config_selectorILNS1_17partition_subalgoE9EllbEEZZNS1_14partition_implILS5_9ELb0ES3_jPlS8_PNS0_10empty_typeENS0_5tupleIJS8_S9_EEENSB_IJS8_SA_EEENS0_18inequality_wrapperIZN2at6native12_GLOBAL__N_124unique_dim_cuda_templateImEESt5tupleIJNSF_6TensorESK_SK_EERKSK_lbbbEUlllE0_EEPmJS9_EEE10hipError_tPvRmT3_T4_T5_T6_T7_T9_mT8_P12ihipStream_tbDpT10_ENKUlT_T0_E_clISt17integral_constantIbLb1EES19_IbLb0EEEEDaS15_S16_EUlS15_E_NS1_11comp_targetILNS1_3genE5ELNS1_11target_archE942ELNS1_3gpuE9ELNS1_3repE0EEENS1_30default_config_static_selectorELNS0_4arch9wavefront6targetE1EEEvT1_ ; -- Begin function _ZN7rocprim17ROCPRIM_400000_NS6detail17trampoline_kernelINS0_14default_configENS1_25partition_config_selectorILNS1_17partition_subalgoE9EllbEEZZNS1_14partition_implILS5_9ELb0ES3_jPlS8_PNS0_10empty_typeENS0_5tupleIJS8_S9_EEENSB_IJS8_SA_EEENS0_18inequality_wrapperIZN2at6native12_GLOBAL__N_124unique_dim_cuda_templateImEESt5tupleIJNSF_6TensorESK_SK_EERKSK_lbbbEUlllE0_EEPmJS9_EEE10hipError_tPvRmT3_T4_T5_T6_T7_T9_mT8_P12ihipStream_tbDpT10_ENKUlT_T0_E_clISt17integral_constantIbLb1EES19_IbLb0EEEEDaS15_S16_EUlS15_E_NS1_11comp_targetILNS1_3genE5ELNS1_11target_archE942ELNS1_3gpuE9ELNS1_3repE0EEENS1_30default_config_static_selectorELNS0_4arch9wavefront6targetE1EEEvT1_
	.p2align	8
	.type	_ZN7rocprim17ROCPRIM_400000_NS6detail17trampoline_kernelINS0_14default_configENS1_25partition_config_selectorILNS1_17partition_subalgoE9EllbEEZZNS1_14partition_implILS5_9ELb0ES3_jPlS8_PNS0_10empty_typeENS0_5tupleIJS8_S9_EEENSB_IJS8_SA_EEENS0_18inequality_wrapperIZN2at6native12_GLOBAL__N_124unique_dim_cuda_templateImEESt5tupleIJNSF_6TensorESK_SK_EERKSK_lbbbEUlllE0_EEPmJS9_EEE10hipError_tPvRmT3_T4_T5_T6_T7_T9_mT8_P12ihipStream_tbDpT10_ENKUlT_T0_E_clISt17integral_constantIbLb1EES19_IbLb0EEEEDaS15_S16_EUlS15_E_NS1_11comp_targetILNS1_3genE5ELNS1_11target_archE942ELNS1_3gpuE9ELNS1_3repE0EEENS1_30default_config_static_selectorELNS0_4arch9wavefront6targetE1EEEvT1_,@function
_ZN7rocprim17ROCPRIM_400000_NS6detail17trampoline_kernelINS0_14default_configENS1_25partition_config_selectorILNS1_17partition_subalgoE9EllbEEZZNS1_14partition_implILS5_9ELb0ES3_jPlS8_PNS0_10empty_typeENS0_5tupleIJS8_S9_EEENSB_IJS8_SA_EEENS0_18inequality_wrapperIZN2at6native12_GLOBAL__N_124unique_dim_cuda_templateImEESt5tupleIJNSF_6TensorESK_SK_EERKSK_lbbbEUlllE0_EEPmJS9_EEE10hipError_tPvRmT3_T4_T5_T6_T7_T9_mT8_P12ihipStream_tbDpT10_ENKUlT_T0_E_clISt17integral_constantIbLb1EES19_IbLb0EEEEDaS15_S16_EUlS15_E_NS1_11comp_targetILNS1_3genE5ELNS1_11target_archE942ELNS1_3gpuE9ELNS1_3repE0EEENS1_30default_config_static_selectorELNS0_4arch9wavefront6targetE1EEEvT1_: ; @_ZN7rocprim17ROCPRIM_400000_NS6detail17trampoline_kernelINS0_14default_configENS1_25partition_config_selectorILNS1_17partition_subalgoE9EllbEEZZNS1_14partition_implILS5_9ELb0ES3_jPlS8_PNS0_10empty_typeENS0_5tupleIJS8_S9_EEENSB_IJS8_SA_EEENS0_18inequality_wrapperIZN2at6native12_GLOBAL__N_124unique_dim_cuda_templateImEESt5tupleIJNSF_6TensorESK_SK_EERKSK_lbbbEUlllE0_EEPmJS9_EEE10hipError_tPvRmT3_T4_T5_T6_T7_T9_mT8_P12ihipStream_tbDpT10_ENKUlT_T0_E_clISt17integral_constantIbLb1EES19_IbLb0EEEEDaS15_S16_EUlS15_E_NS1_11comp_targetILNS1_3genE5ELNS1_11target_archE942ELNS1_3gpuE9ELNS1_3repE0EEENS1_30default_config_static_selectorELNS0_4arch9wavefront6targetE1EEEvT1_
; %bb.0:
	s_load_dwordx8 s[20:27], s[0:1], 0x40
	s_load_dwordx4 s[4:7], s[0:1], 0x8
	s_load_dwordx2 s[10:11], s[0:1], 0x18
	s_load_dword s3, s[0:1], 0x70
	s_mul_i32 s12, s2, 0xe00
	s_waitcnt lgkmcnt(0)
	v_mov_b32_e32 v2, s24
	s_lshl_b64 s[14:15], s[6:7], 3
	s_add_u32 s18, s4, s14
	s_mul_i32 s4, s3, 0xe00
	s_addc_u32 s19, s5, s15
	s_add_i32 s8, s3, -1
	s_add_i32 s3, s4, s6
	s_sub_i32 s3, s24, s3
	s_addk_i32 s3, 0xe00
	s_add_u32 s4, s6, s4
	s_addc_u32 s5, s7, 0
	v_mov_b32_e32 v3, s25
	s_cmp_eq_u32 s2, s8
	s_load_dwordx2 s[22:23], s[22:23], 0x0
	v_cmp_ge_u64_e32 vcc, s[4:5], v[2:3]
	s_cselect_b64 s[24:25], -1, 0
	s_mov_b32 s13, 0
	s_and_b64 s[8:9], s[24:25], vcc
	s_xor_b64 s[34:35], s[8:9], -1
	s_lshl_b64 s[16:17], s[12:13], 3
	s_add_u32 s12, s18, s16
	s_mov_b64 s[4:5], -1
	s_addc_u32 s13, s19, s17
	s_and_b64 vcc, exec, s[34:35]
	s_cbranch_vccz .LBB1723_2
; %bb.1:
	v_lshlrev_b32_e32 v2, 3, v0
	v_mov_b32_e32 v3, 0
	v_lshl_add_u64 v[4:5], s[12:13], 0, v[2:3]
	v_add_co_u32_e32 v8, vcc, 0x1000, v4
	global_load_dwordx2 v[6:7], v2, s[12:13]
	s_nop 0
	v_addc_co_u32_e32 v9, vcc, 0, v5, vcc
	v_add_co_u32_e32 v10, vcc, 0x2000, v4
	s_mov_b64 s[4:5], 0
	s_nop 0
	v_addc_co_u32_e32 v11, vcc, 0, v5, vcc
	v_add_co_u32_e32 v12, vcc, 0x3000, v4
	s_nop 1
	v_addc_co_u32_e32 v13, vcc, 0, v5, vcc
	v_add_co_u32_e32 v14, vcc, 0x4000, v4
	s_nop 1
	v_addc_co_u32_e32 v15, vcc, 0, v5, vcc
	global_load_dwordx2 v[16:17], v[8:9], off
	global_load_dwordx2 v[18:19], v[10:11], off
	;; [unrolled: 1-line block ×4, first 2 shown]
	v_add_co_u32_e32 v8, vcc, 0x5000, v4
	s_nop 1
	v_addc_co_u32_e32 v9, vcc, 0, v5, vcc
	v_add_co_u32_e32 v4, vcc, 0x6000, v4
	global_load_dwordx2 v[8:9], v[8:9], off
	s_nop 0
	v_addc_co_u32_e32 v5, vcc, 0, v5, vcc
	global_load_dwordx2 v[4:5], v[4:5], off
	s_waitcnt vmcnt(5)
	ds_write2st64_b64 v2, v[6:7], v[16:17] offset1:8
	s_waitcnt vmcnt(3)
	ds_write2st64_b64 v2, v[18:19], v[20:21] offset0:16 offset1:24
	s_waitcnt vmcnt(1)
	ds_write2st64_b64 v2, v[22:23], v[8:9] offset0:32 offset1:40
	s_waitcnt vmcnt(0)
	ds_write_b64 v2, v[4:5] offset:24576
	s_waitcnt lgkmcnt(0)
	s_barrier
.LBB1723_2:
	s_load_dwordx4 s[28:31], s[0:1], 0x60
	s_andn2_b64 vcc, exec, s[4:5]
	v_cmp_gt_u32_e64 s[4:5], s3, v0
	s_cbranch_vccnz .LBB1723_18
; %bb.3:
                                        ; implicit-def: $vgpr2_vgpr3_vgpr4_vgpr5_vgpr6_vgpr7_vgpr8_vgpr9_vgpr10_vgpr11_vgpr12_vgpr13_vgpr14_vgpr15_vgpr16_vgpr17
	s_and_saveexec_b64 s[18:19], s[4:5]
	s_cbranch_execz .LBB1723_5
; %bb.4:
	v_lshlrev_b32_e32 v1, 3, v0
	global_load_dwordx2 v[2:3], v1, s[12:13]
.LBB1723_5:
	s_or_b64 exec, exec, s[18:19]
	v_or_b32_e32 v1, 0x200, v0
	v_cmp_gt_u32_e32 vcc, s3, v1
	s_and_saveexec_b64 s[4:5], vcc
	s_cbranch_execz .LBB1723_7
; %bb.6:
	v_lshlrev_b32_e32 v1, 3, v1
	global_load_dwordx2 v[4:5], v1, s[12:13]
.LBB1723_7:
	s_or_b64 exec, exec, s[4:5]
	v_or_b32_e32 v1, 0x400, v0
	v_cmp_gt_u32_e32 vcc, s3, v1
	s_and_saveexec_b64 s[4:5], vcc
	;; [unrolled: 9-line block ×6, first 2 shown]
	s_cbranch_execz .LBB1723_17
; %bb.16:
	v_lshlrev_b32_e32 v1, 3, v1
	global_load_dwordx2 v[14:15], v1, s[12:13]
.LBB1723_17:
	s_or_b64 exec, exec, s[4:5]
	v_lshlrev_b32_e32 v1, 3, v0
	s_waitcnt vmcnt(0)
	ds_write2st64_b64 v1, v[2:3], v[4:5] offset1:8
	ds_write2st64_b64 v1, v[6:7], v[8:9] offset0:16 offset1:24
	ds_write2st64_b64 v1, v[10:11], v[12:13] offset0:32 offset1:40
	ds_write_b64 v1, v[14:15] offset:24576
	s_waitcnt lgkmcnt(0)
	s_barrier
.LBB1723_18:
	v_mul_u32_u24_e32 v1, 7, v0
	v_lshlrev_b32_e32 v44, 3, v1
	s_waitcnt lgkmcnt(0)
	ds_read2_b64 v[22:25], v44 offset1:1
	ds_read2_b64 v[18:21], v44 offset0:2 offset1:3
	ds_read2_b64 v[14:17], v44 offset0:4 offset1:5
	ds_read_b64 v[28:29], v44 offset:48
	s_add_u32 s4, s10, s14
	s_addc_u32 s5, s11, s15
	s_add_u32 s4, s4, s16
	s_addc_u32 s5, s5, s17
	s_mov_b64 s[10:11], -1
	s_and_b64 vcc, exec, s[34:35]
	s_waitcnt lgkmcnt(0)
	s_barrier
	s_cbranch_vccz .LBB1723_20
; %bb.19:
	v_lshlrev_b32_e32 v2, 3, v0
	v_mov_b32_e32 v3, 0
	v_lshl_add_u64 v[4:5], s[4:5], 0, v[2:3]
	v_add_co_u32_e32 v8, vcc, 0x1000, v4
	global_load_dwordx2 v[6:7], v2, s[4:5]
	s_nop 0
	v_addc_co_u32_e32 v9, vcc, 0, v5, vcc
	v_add_co_u32_e32 v10, vcc, 0x2000, v4
	s_mov_b64 s[10:11], 0
	s_nop 0
	v_addc_co_u32_e32 v11, vcc, 0, v5, vcc
	v_add_co_u32_e32 v12, vcc, 0x3000, v4
	s_nop 1
	v_addc_co_u32_e32 v13, vcc, 0, v5, vcc
	v_add_co_u32_e32 v26, vcc, 0x4000, v4
	s_nop 1
	v_addc_co_u32_e32 v27, vcc, 0, v5, vcc
	global_load_dwordx2 v[30:31], v[8:9], off
	global_load_dwordx2 v[32:33], v[10:11], off
	;; [unrolled: 1-line block ×4, first 2 shown]
	v_add_co_u32_e32 v8, vcc, 0x5000, v4
	s_nop 1
	v_addc_co_u32_e32 v9, vcc, 0, v5, vcc
	v_add_co_u32_e32 v4, vcc, 0x6000, v4
	global_load_dwordx2 v[8:9], v[8:9], off
	s_nop 0
	v_addc_co_u32_e32 v5, vcc, 0, v5, vcc
	global_load_dwordx2 v[4:5], v[4:5], off
	s_waitcnt vmcnt(5)
	ds_write2st64_b64 v2, v[6:7], v[30:31] offset1:8
	s_waitcnt vmcnt(3)
	ds_write2st64_b64 v2, v[32:33], v[34:35] offset0:16 offset1:24
	s_waitcnt vmcnt(1)
	ds_write2st64_b64 v2, v[36:37], v[8:9] offset0:32 offset1:40
	s_waitcnt vmcnt(0)
	ds_write_b64 v2, v[4:5] offset:24576
	s_waitcnt lgkmcnt(0)
	s_barrier
.LBB1723_20:
	s_andn2_b64 vcc, exec, s[10:11]
	s_cbranch_vccnz .LBB1723_36
; %bb.21:
	v_cmp_gt_u32_e32 vcc, s3, v0
                                        ; implicit-def: $vgpr2_vgpr3
	s_and_saveexec_b64 s[10:11], vcc
	s_cbranch_execz .LBB1723_23
; %bb.22:
	v_lshlrev_b32_e32 v2, 3, v0
	global_load_dwordx2 v[2:3], v2, s[4:5]
.LBB1723_23:
	s_or_b64 exec, exec, s[10:11]
	v_or_b32_e32 v6, 0x200, v0
	v_cmp_gt_u32_e32 vcc, s3, v6
                                        ; implicit-def: $vgpr4_vgpr5
	s_and_saveexec_b64 s[10:11], vcc
	s_cbranch_execz .LBB1723_25
; %bb.24:
	v_lshlrev_b32_e32 v4, 3, v6
	global_load_dwordx2 v[4:5], v4, s[4:5]
.LBB1723_25:
	s_or_b64 exec, exec, s[10:11]
	v_or_b32_e32 v8, 0x400, v0
	v_cmp_gt_u32_e32 vcc, s3, v8
                                        ; implicit-def: $vgpr6_vgpr7
	s_and_saveexec_b64 s[10:11], vcc
	s_cbranch_execz .LBB1723_27
; %bb.26:
	v_lshlrev_b32_e32 v6, 3, v8
	global_load_dwordx2 v[6:7], v6, s[4:5]
.LBB1723_27:
	s_or_b64 exec, exec, s[10:11]
	v_or_b32_e32 v10, 0x600, v0
	v_cmp_gt_u32_e32 vcc, s3, v10
                                        ; implicit-def: $vgpr8_vgpr9
	s_and_saveexec_b64 s[10:11], vcc
	s_cbranch_execz .LBB1723_29
; %bb.28:
	v_lshlrev_b32_e32 v8, 3, v10
	global_load_dwordx2 v[8:9], v8, s[4:5]
.LBB1723_29:
	s_or_b64 exec, exec, s[10:11]
	v_or_b32_e32 v12, 0x800, v0
	v_cmp_gt_u32_e32 vcc, s3, v12
                                        ; implicit-def: $vgpr10_vgpr11
	s_and_saveexec_b64 s[10:11], vcc
	s_cbranch_execz .LBB1723_31
; %bb.30:
	v_lshlrev_b32_e32 v10, 3, v12
	global_load_dwordx2 v[10:11], v10, s[4:5]
.LBB1723_31:
	s_or_b64 exec, exec, s[10:11]
	v_or_b32_e32 v26, 0xa00, v0
	v_cmp_gt_u32_e32 vcc, s3, v26
                                        ; implicit-def: $vgpr12_vgpr13
	s_and_saveexec_b64 s[10:11], vcc
	s_cbranch_execz .LBB1723_33
; %bb.32:
	v_lshlrev_b32_e32 v12, 3, v26
	global_load_dwordx2 v[12:13], v12, s[4:5]
.LBB1723_33:
	s_or_b64 exec, exec, s[10:11]
	v_or_b32_e32 v30, 0xc00, v0
	v_cmp_gt_u32_e32 vcc, s3, v30
                                        ; implicit-def: $vgpr26_vgpr27
	s_and_saveexec_b64 s[10:11], vcc
	s_cbranch_execz .LBB1723_35
; %bb.34:
	v_lshlrev_b32_e32 v26, 3, v30
	global_load_dwordx2 v[26:27], v26, s[4:5]
.LBB1723_35:
	s_or_b64 exec, exec, s[10:11]
	s_movk_i32 s4, 0xffd0
	v_mad_i32_i24 v30, v0, s4, v44
	s_waitcnt vmcnt(0)
	ds_write2st64_b64 v30, v[2:3], v[4:5] offset1:8
	ds_write2st64_b64 v30, v[6:7], v[8:9] offset0:16 offset1:24
	ds_write2st64_b64 v30, v[10:11], v[12:13] offset0:32 offset1:40
	ds_write_b64 v30, v[26:27] offset:24576
	s_waitcnt lgkmcnt(0)
	s_barrier
.LBB1723_36:
	ds_read2_b64 v[10:13], v44 offset1:1
	ds_read2_b64 v[6:9], v44 offset0:2 offset1:3
	ds_read2_b64 v[2:5], v44 offset0:4 offset1:5
	ds_read_b64 v[26:27], v44 offset:48
	s_cmp_lg_u32 s2, 0
	s_cselect_b64 s[16:17], -1, 0
	s_cmp_lg_u64 s[6:7], 0
	s_cselect_b64 s[4:5], -1, 0
	s_or_b64 s[4:5], s[16:17], s[4:5]
	v_add_u32_e32 v41, 1, v1
	v_add_u32_e32 v38, 2, v1
	;; [unrolled: 1-line block ×6, first 2 shown]
	s_mov_b64 s[10:11], 0
	s_and_b64 vcc, exec, s[4:5]
	v_cmp_gt_i64_e64 s[4:5], s[26:27], 0
	s_waitcnt lgkmcnt(0)
	s_barrier
	s_cbranch_vccz .LBB1723_45
; %bb.37:
	s_add_u32 s6, s12, -8
	s_addc_u32 s7, s13, -1
	s_load_dwordx2 s[6:7], s[6:7], 0x0
	v_cndmask_b32_e64 v30, 0, 1, s[4:5]
	v_lshlrev_b32_e32 v45, 3, v0
	s_and_b64 vcc, exec, s[34:35]
	v_cmp_ne_u32_e64 s[4:5], 1, v30
	ds_write_b64 v45, v[28:29]
	s_cbranch_vccz .LBB1723_47
; %bb.38:
	v_mul_lo_u32 v32, v17, s26
	v_mul_lo_u32 v33, v16, s27
	v_mad_u64_u32 v[30:31], s[12:13], v16, s26, 0
	v_add3_u32 v31, v31, v33, v32
	s_and_b64 vcc, exec, s[4:5]
	v_lshl_add_u64 v[30:31], v[30:31], 3, s[28:29]
	s_cbranch_vccnz .LBB1723_50
; %bb.39:
	v_mul_lo_u32 v34, v29, s26
	v_mul_lo_u32 v35, v28, s27
	v_mad_u64_u32 v[32:33], s[10:11], v28, s26, 0
	v_add3_u32 v33, v33, v35, v34
	v_lshl_add_u64 v[32:33], v[32:33], 3, s[28:29]
	global_load_dwordx2 v[34:35], v[30:31], off
	global_load_dwordx2 v[36:37], v[32:33], off
	s_mov_b64 s[10:11], -1
	s_waitcnt vmcnt(0)
	v_cmp_eq_u64_e32 vcc, v[34:35], v[36:37]
	s_and_saveexec_b64 s[12:13], vcc
	s_cbranch_execz .LBB1723_49
; %bb.40:
	s_add_u32 s10, s26, -1
	v_lshl_add_u64 v[32:33], v[32:33], 0, 8
	v_lshl_add_u64 v[34:35], v[30:31], 0, 8
	s_addc_u32 s11, s27, -1
	s_mov_b64 s[14:15], 0
	s_mov_b64 s[36:37], 0
                                        ; implicit-def: $sgpr18_sgpr19
	s_branch .LBB1723_43
.LBB1723_41:                            ;   in Loop: Header=BB1723_43 Depth=1
	global_load_dwordx2 v[36:37], v[34:35], off
	global_load_dwordx2 v[46:47], v[32:33], off
	s_add_u32 s36, s36, 1
	s_addc_u32 s37, s37, 0
	s_andn2_b64 s[18:19], s[18:19], exec
	v_lshl_add_u64 v[32:33], v[32:33], 0, 8
	v_lshl_add_u64 v[34:35], v[34:35], 0, 8
	s_waitcnt vmcnt(0)
	v_cmp_ne_u64_e32 vcc, v[36:37], v[46:47]
	s_and_b64 s[38:39], vcc, exec
	s_or_b64 s[18:19], s[18:19], s[38:39]
.LBB1723_42:                            ;   in Loop: Header=BB1723_43 Depth=1
	s_and_b64 s[38:39], exec, s[18:19]
	s_or_b64 s[14:15], s[38:39], s[14:15]
	v_mov_b64_e32 v[36:37], s[36:37]
	s_andn2_b64 exec, exec, s[14:15]
	s_cbranch_execz .LBB1723_48
.LBB1723_43:                            ; =>This Inner Loop Header: Depth=1
	s_or_b64 s[18:19], s[18:19], exec
	s_cmp_eq_u64 s[10:11], s[36:37]
	s_cbranch_scc0 .LBB1723_41
; %bb.44:                               ;   in Loop: Header=BB1723_43 Depth=1
                                        ; implicit-def: $vgpr32_vgpr33
                                        ; implicit-def: $vgpr34_vgpr35
	s_mov_b64 s[36:37], s[26:27]
	s_branch .LBB1723_42
.LBB1723_45:
                                        ; implicit-def: $sgpr18_sgpr19
                                        ; implicit-def: $vgpr48
                                        ; implicit-def: $vgpr47
                                        ; implicit-def: $vgpr46
                                        ; implicit-def: $vgpr34
	s_branch .LBB1723_188
.LBB1723_46:
                                        ; implicit-def: $vgpr30_vgpr31
	s_branch .LBB1723_336
.LBB1723_47:
                                        ; implicit-def: $sgpr18_sgpr19
                                        ; implicit-def: $vgpr48
                                        ; implicit-def: $vgpr47
                                        ; implicit-def: $vgpr46
                                        ; implicit-def: $vgpr34
	s_cbranch_execnz .LBB1723_107
	s_branch .LBB1723_187
.LBB1723_48:
	s_or_b64 exec, exec, s[14:15]
	v_cmp_gt_i64_e32 vcc, s[26:27], v[36:37]
	s_orn2_b64 s[10:11], vcc, exec
.LBB1723_49:
	s_or_b64 exec, exec, s[12:13]
.LBB1723_50:
	v_mul_lo_u32 v34, v15, s26
	v_mul_lo_u32 v35, v14, s27
	v_mad_u64_u32 v[32:33], s[12:13], v14, s26, 0
	v_add3_u32 v33, v33, v35, v34
	s_mov_b64 s[12:13], 0
	s_and_b64 vcc, exec, s[4:5]
	v_lshl_add_u64 v[32:33], v[32:33], 3, s[28:29]
	s_mov_b64 s[14:15], 0
	s_cbranch_vccnz .LBB1723_59
; %bb.51:
	global_load_dwordx2 v[34:35], v[32:33], off
	global_load_dwordx2 v[36:37], v[30:31], off
	s_mov_b64 s[14:15], -1
	s_waitcnt vmcnt(0)
	v_cmp_eq_u64_e32 vcc, v[34:35], v[36:37]
	s_and_saveexec_b64 s[18:19], vcc
	s_cbranch_execz .LBB1723_58
; %bb.52:
	s_add_u32 s14, s26, -1
	v_lshl_add_u64 v[30:31], v[30:31], 0, 8
	v_lshl_add_u64 v[34:35], v[32:33], 0, 8
	s_addc_u32 s15, s27, -1
	s_mov_b64 s[36:37], 0
	s_mov_b64 s[40:41], 0
                                        ; implicit-def: $sgpr38_sgpr39
	s_branch .LBB1723_55
.LBB1723_53:                            ;   in Loop: Header=BB1723_55 Depth=1
	global_load_dwordx2 v[36:37], v[34:35], off
	global_load_dwordx2 v[46:47], v[30:31], off
	s_add_u32 s40, s40, 1
	s_addc_u32 s41, s41, 0
	s_andn2_b64 s[38:39], s[38:39], exec
	v_lshl_add_u64 v[30:31], v[30:31], 0, 8
	v_lshl_add_u64 v[34:35], v[34:35], 0, 8
	s_waitcnt vmcnt(0)
	v_cmp_ne_u64_e32 vcc, v[36:37], v[46:47]
	s_and_b64 s[42:43], vcc, exec
	s_or_b64 s[38:39], s[38:39], s[42:43]
.LBB1723_54:                            ;   in Loop: Header=BB1723_55 Depth=1
	s_and_b64 s[42:43], exec, s[38:39]
	s_or_b64 s[36:37], s[42:43], s[36:37]
	v_mov_b64_e32 v[36:37], s[40:41]
	s_andn2_b64 exec, exec, s[36:37]
	s_cbranch_execz .LBB1723_57
.LBB1723_55:                            ; =>This Inner Loop Header: Depth=1
	s_or_b64 s[38:39], s[38:39], exec
	s_cmp_eq_u64 s[14:15], s[40:41]
	s_cbranch_scc0 .LBB1723_53
; %bb.56:                               ;   in Loop: Header=BB1723_55 Depth=1
                                        ; implicit-def: $vgpr30_vgpr31
                                        ; implicit-def: $vgpr34_vgpr35
	s_mov_b64 s[40:41], s[26:27]
	s_branch .LBB1723_54
.LBB1723_57:
	s_or_b64 exec, exec, s[36:37]
	v_cmp_gt_i64_e32 vcc, s[26:27], v[36:37]
	s_orn2_b64 s[14:15], vcc, exec
.LBB1723_58:
	s_or_b64 exec, exec, s[18:19]
.LBB1723_59:
	v_mul_lo_u32 v34, v21, s26
	v_mul_lo_u32 v35, v20, s27
	v_mad_u64_u32 v[30:31], s[18:19], v20, s26, 0
	v_add3_u32 v31, v31, v35, v34
	s_and_b64 vcc, exec, s[4:5]
	v_lshl_add_u64 v[30:31], v[30:31], 3, s[28:29]
	s_cbranch_vccnz .LBB1723_68
; %bb.60:
	global_load_dwordx2 v[34:35], v[30:31], off
	global_load_dwordx2 v[36:37], v[32:33], off
	s_mov_b64 s[12:13], -1
	s_waitcnt vmcnt(0)
	v_cmp_eq_u64_e32 vcc, v[34:35], v[36:37]
	s_and_saveexec_b64 s[18:19], vcc
	s_cbranch_execz .LBB1723_67
; %bb.61:
	s_add_u32 s12, s26, -1
	v_lshl_add_u64 v[32:33], v[32:33], 0, 8
	v_lshl_add_u64 v[34:35], v[30:31], 0, 8
	s_addc_u32 s13, s27, -1
	s_mov_b64 s[36:37], 0
	s_mov_b64 s[40:41], 0
                                        ; implicit-def: $sgpr38_sgpr39
	s_branch .LBB1723_64
.LBB1723_62:                            ;   in Loop: Header=BB1723_64 Depth=1
	global_load_dwordx2 v[36:37], v[34:35], off
	global_load_dwordx2 v[46:47], v[32:33], off
	s_add_u32 s40, s40, 1
	s_addc_u32 s41, s41, 0
	s_andn2_b64 s[38:39], s[38:39], exec
	v_lshl_add_u64 v[32:33], v[32:33], 0, 8
	v_lshl_add_u64 v[34:35], v[34:35], 0, 8
	s_waitcnt vmcnt(0)
	v_cmp_ne_u64_e32 vcc, v[36:37], v[46:47]
	s_and_b64 s[42:43], vcc, exec
	s_or_b64 s[38:39], s[38:39], s[42:43]
.LBB1723_63:                            ;   in Loop: Header=BB1723_64 Depth=1
	s_and_b64 s[42:43], exec, s[38:39]
	s_or_b64 s[36:37], s[42:43], s[36:37]
	v_mov_b64_e32 v[36:37], s[40:41]
	s_andn2_b64 exec, exec, s[36:37]
	s_cbranch_execz .LBB1723_66
.LBB1723_64:                            ; =>This Inner Loop Header: Depth=1
	s_or_b64 s[38:39], s[38:39], exec
	s_cmp_eq_u64 s[12:13], s[40:41]
	s_cbranch_scc0 .LBB1723_62
; %bb.65:                               ;   in Loop: Header=BB1723_64 Depth=1
                                        ; implicit-def: $vgpr32_vgpr33
                                        ; implicit-def: $vgpr34_vgpr35
	s_mov_b64 s[40:41], s[26:27]
	s_branch .LBB1723_63
.LBB1723_66:
	s_or_b64 exec, exec, s[36:37]
	v_cmp_gt_i64_e32 vcc, s[26:27], v[36:37]
	s_orn2_b64 s[12:13], vcc, exec
.LBB1723_67:
	s_or_b64 exec, exec, s[18:19]
.LBB1723_68:
	v_mul_lo_u32 v34, v19, s26
	v_mul_lo_u32 v35, v18, s27
	v_mad_u64_u32 v[32:33], s[18:19], v18, s26, 0
	v_add3_u32 v33, v33, v35, v34
	s_mov_b64 s[18:19], 0
	s_and_b64 vcc, exec, s[4:5]
	v_lshl_add_u64 v[34:35], v[32:33], 3, s[28:29]
	s_mov_b64 s[36:37], 0
	s_cbranch_vccnz .LBB1723_77
; %bb.69:
	global_load_dwordx2 v[32:33], v[34:35], off
	global_load_dwordx2 v[36:37], v[30:31], off
	s_mov_b64 s[36:37], -1
	s_waitcnt vmcnt(0)
	v_cmp_eq_u64_e32 vcc, v[32:33], v[36:37]
	s_and_saveexec_b64 s[38:39], vcc
	s_cbranch_execz .LBB1723_76
; %bb.70:
	s_add_u32 s36, s26, -1
	v_lshl_add_u64 v[30:31], v[30:31], 0, 8
	v_lshl_add_u64 v[32:33], v[34:35], 0, 8
	s_addc_u32 s37, s27, -1
	s_mov_b64 s[40:41], 0
	s_mov_b64 s[44:45], 0
                                        ; implicit-def: $sgpr42_sgpr43
	s_branch .LBB1723_73
.LBB1723_71:                            ;   in Loop: Header=BB1723_73 Depth=1
	global_load_dwordx2 v[36:37], v[32:33], off
	global_load_dwordx2 v[46:47], v[30:31], off
	s_add_u32 s44, s44, 1
	s_addc_u32 s45, s45, 0
	s_andn2_b64 s[42:43], s[42:43], exec
	v_lshl_add_u64 v[30:31], v[30:31], 0, 8
	v_lshl_add_u64 v[32:33], v[32:33], 0, 8
	s_waitcnt vmcnt(0)
	v_cmp_ne_u64_e32 vcc, v[36:37], v[46:47]
	s_and_b64 s[46:47], vcc, exec
	s_or_b64 s[42:43], s[42:43], s[46:47]
.LBB1723_72:                            ;   in Loop: Header=BB1723_73 Depth=1
	s_and_b64 s[46:47], exec, s[42:43]
	s_or_b64 s[40:41], s[46:47], s[40:41]
	v_mov_b64_e32 v[36:37], s[44:45]
	s_andn2_b64 exec, exec, s[40:41]
	s_cbranch_execz .LBB1723_75
.LBB1723_73:                            ; =>This Inner Loop Header: Depth=1
	s_or_b64 s[42:43], s[42:43], exec
	s_cmp_eq_u64 s[36:37], s[44:45]
	s_cbranch_scc0 .LBB1723_71
; %bb.74:                               ;   in Loop: Header=BB1723_73 Depth=1
                                        ; implicit-def: $vgpr30_vgpr31
                                        ; implicit-def: $vgpr32_vgpr33
	s_mov_b64 s[44:45], s[26:27]
	s_branch .LBB1723_72
.LBB1723_75:
	s_or_b64 exec, exec, s[40:41]
	v_cmp_gt_i64_e32 vcc, s[26:27], v[36:37]
	s_orn2_b64 s[36:37], vcc, exec
.LBB1723_76:
	s_or_b64 exec, exec, s[38:39]
.LBB1723_77:
	v_mul_lo_u32 v32, v25, s26
	v_mul_lo_u32 v33, v24, s27
	v_mad_u64_u32 v[30:31], s[38:39], v24, s26, 0
	v_add3_u32 v31, v31, v33, v32
	s_and_b64 vcc, exec, s[4:5]
	v_lshl_add_u64 v[32:33], v[30:31], 3, s[28:29]
	s_cbranch_vccnz .LBB1723_86
; %bb.78:
	global_load_dwordx2 v[30:31], v[32:33], off
	global_load_dwordx2 v[36:37], v[34:35], off
	s_mov_b64 s[18:19], -1
	s_waitcnt vmcnt(0)
	v_cmp_eq_u64_e32 vcc, v[30:31], v[36:37]
	s_and_saveexec_b64 s[38:39], vcc
	s_cbranch_execz .LBB1723_85
; %bb.79:
	s_add_u32 s18, s26, -1
	v_lshl_add_u64 v[30:31], v[34:35], 0, 8
	v_lshl_add_u64 v[34:35], v[32:33], 0, 8
	s_addc_u32 s19, s27, -1
	s_mov_b64 s[40:41], 0
	s_mov_b64 s[44:45], 0
                                        ; implicit-def: $sgpr42_sgpr43
	s_branch .LBB1723_82
.LBB1723_80:                            ;   in Loop: Header=BB1723_82 Depth=1
	global_load_dwordx2 v[36:37], v[34:35], off
	global_load_dwordx2 v[46:47], v[30:31], off
	s_add_u32 s44, s44, 1
	s_addc_u32 s45, s45, 0
	s_andn2_b64 s[42:43], s[42:43], exec
	v_lshl_add_u64 v[30:31], v[30:31], 0, 8
	v_lshl_add_u64 v[34:35], v[34:35], 0, 8
	s_waitcnt vmcnt(0)
	v_cmp_ne_u64_e32 vcc, v[36:37], v[46:47]
	s_and_b64 s[46:47], vcc, exec
	s_or_b64 s[42:43], s[42:43], s[46:47]
.LBB1723_81:                            ;   in Loop: Header=BB1723_82 Depth=1
	s_and_b64 s[46:47], exec, s[42:43]
	s_or_b64 s[40:41], s[46:47], s[40:41]
	v_mov_b64_e32 v[36:37], s[44:45]
	s_andn2_b64 exec, exec, s[40:41]
	s_cbranch_execz .LBB1723_84
.LBB1723_82:                            ; =>This Inner Loop Header: Depth=1
	s_or_b64 s[42:43], s[42:43], exec
	s_cmp_eq_u64 s[18:19], s[44:45]
	s_cbranch_scc0 .LBB1723_80
; %bb.83:                               ;   in Loop: Header=BB1723_82 Depth=1
                                        ; implicit-def: $vgpr30_vgpr31
                                        ; implicit-def: $vgpr34_vgpr35
	s_mov_b64 s[44:45], s[26:27]
	s_branch .LBB1723_81
.LBB1723_84:
	s_or_b64 exec, exec, s[40:41]
	v_cmp_gt_i64_e32 vcc, s[26:27], v[36:37]
	s_orn2_b64 s[18:19], vcc, exec
.LBB1723_85:
	s_or_b64 exec, exec, s[38:39]
.LBB1723_86:
	v_mul_lo_u32 v34, v23, s26
	v_mul_lo_u32 v35, v22, s27
	v_mad_u64_u32 v[30:31], s[38:39], v22, s26, 0
	v_add3_u32 v31, v31, v35, v34
	s_mov_b64 s[40:41], 0
	s_and_b64 vcc, exec, s[4:5]
	v_lshl_add_u64 v[30:31], v[30:31], 3, s[28:29]
	s_cbranch_vccnz .LBB1723_95
; %bb.87:
	global_load_dwordx2 v[34:35], v[30:31], off
	global_load_dwordx2 v[36:37], v[32:33], off
	s_mov_b64 s[40:41], -1
	s_waitcnt vmcnt(0)
	v_cmp_eq_u64_e32 vcc, v[34:35], v[36:37]
	s_and_saveexec_b64 s[38:39], vcc
	s_cbranch_execz .LBB1723_94
; %bb.88:
	s_add_u32 s40, s26, -1
	v_lshl_add_u64 v[32:33], v[32:33], 0, 8
	v_lshl_add_u64 v[34:35], v[30:31], 0, 8
	s_addc_u32 s41, s27, -1
	s_mov_b64 s[42:43], 0
	s_mov_b64 s[46:47], 0
                                        ; implicit-def: $sgpr44_sgpr45
	s_branch .LBB1723_91
.LBB1723_89:                            ;   in Loop: Header=BB1723_91 Depth=1
	global_load_dwordx2 v[36:37], v[34:35], off
	global_load_dwordx2 v[46:47], v[32:33], off
	s_add_u32 s46, s46, 1
	s_addc_u32 s47, s47, 0
	s_andn2_b64 s[44:45], s[44:45], exec
	v_lshl_add_u64 v[32:33], v[32:33], 0, 8
	v_lshl_add_u64 v[34:35], v[34:35], 0, 8
	s_waitcnt vmcnt(0)
	v_cmp_ne_u64_e32 vcc, v[36:37], v[46:47]
	s_and_b64 s[48:49], vcc, exec
	s_or_b64 s[44:45], s[44:45], s[48:49]
.LBB1723_90:                            ;   in Loop: Header=BB1723_91 Depth=1
	s_and_b64 s[48:49], exec, s[44:45]
	s_or_b64 s[42:43], s[48:49], s[42:43]
	v_mov_b64_e32 v[36:37], s[46:47]
	s_andn2_b64 exec, exec, s[42:43]
	s_cbranch_execz .LBB1723_93
.LBB1723_91:                            ; =>This Inner Loop Header: Depth=1
	s_or_b64 s[44:45], s[44:45], exec
	s_cmp_eq_u64 s[40:41], s[46:47]
	s_cbranch_scc0 .LBB1723_89
; %bb.92:                               ;   in Loop: Header=BB1723_91 Depth=1
                                        ; implicit-def: $vgpr32_vgpr33
                                        ; implicit-def: $vgpr34_vgpr35
	s_mov_b64 s[46:47], s[26:27]
	s_branch .LBB1723_90
.LBB1723_93:
	s_or_b64 exec, exec, s[42:43]
	v_cmp_gt_i64_e32 vcc, s[26:27], v[36:37]
	s_orn2_b64 s[40:41], vcc, exec
.LBB1723_94:
	s_or_b64 exec, exec, s[38:39]
.LBB1723_95:
	v_cmp_ne_u32_e32 vcc, 0, v0
	s_waitcnt lgkmcnt(0)
	v_mov_b64_e32 v[32:33], s[6:7]
	s_barrier
	s_and_saveexec_b64 s[38:39], vcc
	s_cbranch_execz .LBB1723_97
; %bb.96:
	v_add_u32_e32 v32, -8, v45
	ds_read_b64 v[32:33], v32
.LBB1723_97:
	s_or_b64 exec, exec, s[38:39]
	v_cndmask_b32_e64 v35, 0, 1, s[36:37]
	v_cndmask_b32_e64 v34, 0, 1, s[18:19]
	v_cndmask_b32_e64 v36, 0, 1, s[40:41]
	v_lshlrev_b16_e32 v35, 8, v35
	v_lshlrev_b16_e32 v36, 8, v36
	v_or_b32_sdwa v37, v34, v35 dst_sel:WORD_1 dst_unused:UNUSED_PAD src0_sel:DWORD src1_sel:DWORD
	s_mov_b64 s[36:37], 0
	s_and_b64 vcc, exec, s[4:5]
	s_mov_b64 s[18:19], 0
	s_cbranch_vccnz .LBB1723_106
; %bb.98:
	s_waitcnt lgkmcnt(0)
	v_mul_lo_u32 v34, v33, s26
	v_mul_lo_u32 v35, v32, s27
	v_mad_u64_u32 v[32:33], s[18:19], v32, s26, 0
	v_add3_u32 v33, v33, v35, v34
	v_lshl_add_u64 v[32:33], v[32:33], 3, s[28:29]
	global_load_dwordx2 v[34:35], v[32:33], off
	global_load_dwordx2 v[46:47], v[30:31], off
	s_mov_b64 s[18:19], -1
	s_waitcnt vmcnt(0)
	v_cmp_eq_u64_e32 vcc, v[34:35], v[46:47]
	s_and_saveexec_b64 s[38:39], vcc
	s_cbranch_execz .LBB1723_105
; %bb.99:
	s_add_u32 s18, s26, -1
	v_lshl_add_u64 v[30:31], v[30:31], 0, 8
	v_lshl_add_u64 v[32:33], v[32:33], 0, 8
	s_addc_u32 s19, s27, -1
	s_mov_b64 s[40:41], 0
	s_mov_b64 s[44:45], 0
                                        ; implicit-def: $sgpr42_sgpr43
	s_branch .LBB1723_102
.LBB1723_100:                           ;   in Loop: Header=BB1723_102 Depth=1
	global_load_dwordx2 v[34:35], v[32:33], off
	global_load_dwordx2 v[46:47], v[30:31], off
	s_add_u32 s44, s44, 1
	s_addc_u32 s45, s45, 0
	s_andn2_b64 s[42:43], s[42:43], exec
	v_lshl_add_u64 v[30:31], v[30:31], 0, 8
	v_lshl_add_u64 v[32:33], v[32:33], 0, 8
	s_waitcnt vmcnt(0)
	v_cmp_ne_u64_e32 vcc, v[34:35], v[46:47]
	s_and_b64 s[46:47], vcc, exec
	s_or_b64 s[42:43], s[42:43], s[46:47]
.LBB1723_101:                           ;   in Loop: Header=BB1723_102 Depth=1
	s_and_b64 s[46:47], exec, s[42:43]
	s_or_b64 s[40:41], s[46:47], s[40:41]
	v_mov_b64_e32 v[34:35], s[44:45]
	s_andn2_b64 exec, exec, s[40:41]
	s_cbranch_execz .LBB1723_104
.LBB1723_102:                           ; =>This Inner Loop Header: Depth=1
	s_or_b64 s[42:43], s[42:43], exec
	s_cmp_eq_u64 s[18:19], s[44:45]
	s_cbranch_scc0 .LBB1723_100
; %bb.103:                              ;   in Loop: Header=BB1723_102 Depth=1
                                        ; implicit-def: $vgpr30_vgpr31
                                        ; implicit-def: $vgpr32_vgpr33
	s_mov_b64 s[44:45], s[26:27]
	s_branch .LBB1723_101
.LBB1723_104:
	s_or_b64 exec, exec, s[40:41]
	v_cmp_gt_i64_e32 vcc, s[26:27], v[34:35]
	s_orn2_b64 s[18:19], vcc, exec
.LBB1723_105:
	s_or_b64 exec, exec, s[38:39]
.LBB1723_106:
	v_cndmask_b32_e64 v46, 0, 1, s[12:13]
	v_cndmask_b32_e64 v47, 0, 1, s[14:15]
	;; [unrolled: 1-line block ×3, first 2 shown]
	v_or_b32_e32 v34, v36, v37
	s_and_b64 vcc, exec, s[36:37]
	s_cbranch_vccz .LBB1723_187
.LBB1723_107:
	v_cmp_gt_u32_e32 vcc, s3, v40
	s_mov_b64 s[12:13], 0
	s_mov_b64 s[10:11], 0
	s_and_saveexec_b64 s[14:15], vcc
	s_cbranch_execz .LBB1723_118
; %bb.108:
	s_and_b64 vcc, exec, s[4:5]
	s_mov_b64 s[18:19], 0
	s_cbranch_vccnz .LBB1723_117
; %bb.109:
	s_waitcnt lgkmcnt(0)
	v_mul_lo_u32 v32, v17, s26
	v_mul_lo_u32 v33, v16, s27
	v_mad_u64_u32 v[30:31], s[10:11], v16, s26, 0
	v_add3_u32 v31, v31, v33, v32
	v_mul_lo_u32 v32, v29, s26
	v_mul_lo_u32 v33, v28, s27
	v_mad_u64_u32 v[34:35], s[10:11], v28, s26, 0
	v_add3_u32 v35, v35, v33, v32
	v_lshl_add_u64 v[32:33], v[30:31], 3, s[28:29]
	v_lshl_add_u64 v[30:31], v[34:35], 3, s[28:29]
	global_load_dwordx2 v[34:35], v[32:33], off
	global_load_dwordx2 v[36:37], v[30:31], off
	s_mov_b64 s[18:19], -1
	s_waitcnt vmcnt(0)
	v_cmp_eq_u64_e32 vcc, v[34:35], v[36:37]
	s_and_saveexec_b64 s[10:11], vcc
	s_cbranch_execz .LBB1723_116
; %bb.110:
	s_add_u32 s18, s26, -1
	v_lshl_add_u64 v[30:31], v[30:31], 0, 8
	v_lshl_add_u64 v[32:33], v[32:33], 0, 8
	s_addc_u32 s19, s27, -1
	s_mov_b64 s[36:37], 0
	s_mov_b64 s[40:41], 0
                                        ; implicit-def: $sgpr38_sgpr39
	s_branch .LBB1723_113
.LBB1723_111:                           ;   in Loop: Header=BB1723_113 Depth=1
	global_load_dwordx2 v[34:35], v[32:33], off
	global_load_dwordx2 v[36:37], v[30:31], off
	s_add_u32 s40, s40, 1
	s_addc_u32 s41, s41, 0
	s_andn2_b64 s[38:39], s[38:39], exec
	v_lshl_add_u64 v[30:31], v[30:31], 0, 8
	v_lshl_add_u64 v[32:33], v[32:33], 0, 8
	s_waitcnt vmcnt(0)
	v_cmp_ne_u64_e32 vcc, v[34:35], v[36:37]
	s_and_b64 s[42:43], vcc, exec
	s_or_b64 s[38:39], s[38:39], s[42:43]
.LBB1723_112:                           ;   in Loop: Header=BB1723_113 Depth=1
	s_and_b64 s[42:43], exec, s[38:39]
	s_or_b64 s[36:37], s[42:43], s[36:37]
	v_mov_b64_e32 v[34:35], s[40:41]
	s_andn2_b64 exec, exec, s[36:37]
	s_cbranch_execz .LBB1723_115
.LBB1723_113:                           ; =>This Inner Loop Header: Depth=1
	s_or_b64 s[38:39], s[38:39], exec
	s_cmp_eq_u64 s[18:19], s[40:41]
	s_cbranch_scc0 .LBB1723_111
; %bb.114:                              ;   in Loop: Header=BB1723_113 Depth=1
                                        ; implicit-def: $vgpr30_vgpr31
                                        ; implicit-def: $vgpr32_vgpr33
	s_mov_b64 s[40:41], s[26:27]
	s_branch .LBB1723_112
.LBB1723_115:
	s_or_b64 exec, exec, s[36:37]
	v_cmp_gt_i64_e32 vcc, s[26:27], v[34:35]
	s_orn2_b64 s[18:19], vcc, exec
.LBB1723_116:
	s_or_b64 exec, exec, s[10:11]
.LBB1723_117:
	s_and_b64 s[10:11], s[18:19], exec
.LBB1723_118:
	s_or_b64 exec, exec, s[14:15]
	v_cmp_gt_u32_e32 vcc, s3, v43
	s_and_saveexec_b64 s[14:15], vcc
	s_cbranch_execz .LBB1723_129
; %bb.119:
	s_and_b64 vcc, exec, s[4:5]
	s_mov_b64 s[18:19], 0
	s_cbranch_vccnz .LBB1723_128
; %bb.120:
	s_waitcnt lgkmcnt(0)
	v_mul_lo_u32 v32, v15, s26
	v_mul_lo_u32 v33, v14, s27
	v_mad_u64_u32 v[30:31], s[12:13], v14, s26, 0
	v_add3_u32 v31, v31, v33, v32
	v_mul_lo_u32 v32, v17, s26
	v_mul_lo_u32 v33, v16, s27
	v_mad_u64_u32 v[34:35], s[12:13], v16, s26, 0
	v_add3_u32 v35, v35, v33, v32
	v_lshl_add_u64 v[32:33], v[30:31], 3, s[28:29]
	v_lshl_add_u64 v[30:31], v[34:35], 3, s[28:29]
	global_load_dwordx2 v[34:35], v[32:33], off
	global_load_dwordx2 v[36:37], v[30:31], off
	s_mov_b64 s[18:19], -1
	s_waitcnt vmcnt(0)
	v_cmp_eq_u64_e32 vcc, v[34:35], v[36:37]
	s_and_saveexec_b64 s[12:13], vcc
	s_cbranch_execz .LBB1723_127
; %bb.121:
	s_add_u32 s18, s26, -1
	v_lshl_add_u64 v[30:31], v[30:31], 0, 8
	v_lshl_add_u64 v[32:33], v[32:33], 0, 8
	s_addc_u32 s19, s27, -1
	s_mov_b64 s[36:37], 0
	s_mov_b64 s[40:41], 0
                                        ; implicit-def: $sgpr38_sgpr39
	s_branch .LBB1723_124
.LBB1723_122:                           ;   in Loop: Header=BB1723_124 Depth=1
	global_load_dwordx2 v[34:35], v[32:33], off
	global_load_dwordx2 v[36:37], v[30:31], off
	s_add_u32 s40, s40, 1
	s_addc_u32 s41, s41, 0
	s_andn2_b64 s[38:39], s[38:39], exec
	v_lshl_add_u64 v[30:31], v[30:31], 0, 8
	v_lshl_add_u64 v[32:33], v[32:33], 0, 8
	s_waitcnt vmcnt(0)
	v_cmp_ne_u64_e32 vcc, v[34:35], v[36:37]
	s_and_b64 s[42:43], vcc, exec
	s_or_b64 s[38:39], s[38:39], s[42:43]
.LBB1723_123:                           ;   in Loop: Header=BB1723_124 Depth=1
	s_and_b64 s[42:43], exec, s[38:39]
	s_or_b64 s[36:37], s[42:43], s[36:37]
	v_mov_b64_e32 v[34:35], s[40:41]
	s_andn2_b64 exec, exec, s[36:37]
	s_cbranch_execz .LBB1723_126
.LBB1723_124:                           ; =>This Inner Loop Header: Depth=1
	s_or_b64 s[38:39], s[38:39], exec
	s_cmp_eq_u64 s[18:19], s[40:41]
	s_cbranch_scc0 .LBB1723_122
; %bb.125:                              ;   in Loop: Header=BB1723_124 Depth=1
                                        ; implicit-def: $vgpr30_vgpr31
                                        ; implicit-def: $vgpr32_vgpr33
	s_mov_b64 s[40:41], s[26:27]
	s_branch .LBB1723_123
.LBB1723_126:
	s_or_b64 exec, exec, s[36:37]
	v_cmp_gt_i64_e32 vcc, s[26:27], v[34:35]
	s_orn2_b64 s[18:19], vcc, exec
.LBB1723_127:
	s_or_b64 exec, exec, s[12:13]
.LBB1723_128:
	s_and_b64 s[12:13], s[18:19], exec
.LBB1723_129:
	s_or_b64 exec, exec, s[14:15]
	v_cmp_gt_u32_e32 vcc, s3, v39
	s_mov_b64 s[18:19], 0
	s_mov_b64 s[14:15], 0
	s_and_saveexec_b64 s[36:37], vcc
	s_cbranch_execz .LBB1723_140
; %bb.130:
	s_and_b64 vcc, exec, s[4:5]
	s_mov_b64 s[38:39], 0
	s_cbranch_vccnz .LBB1723_139
; %bb.131:
	s_waitcnt lgkmcnt(0)
	v_mul_lo_u32 v32, v21, s26
	v_mul_lo_u32 v33, v20, s27
	v_mad_u64_u32 v[30:31], s[14:15], v20, s26, 0
	v_add3_u32 v31, v31, v33, v32
	v_mul_lo_u32 v32, v15, s26
	v_mul_lo_u32 v33, v14, s27
	v_mad_u64_u32 v[34:35], s[14:15], v14, s26, 0
	v_add3_u32 v35, v35, v33, v32
	v_lshl_add_u64 v[32:33], v[30:31], 3, s[28:29]
	v_lshl_add_u64 v[30:31], v[34:35], 3, s[28:29]
	global_load_dwordx2 v[34:35], v[32:33], off
	global_load_dwordx2 v[36:37], v[30:31], off
	s_mov_b64 s[38:39], -1
	s_waitcnt vmcnt(0)
	v_cmp_eq_u64_e32 vcc, v[34:35], v[36:37]
	s_and_saveexec_b64 s[14:15], vcc
	s_cbranch_execz .LBB1723_138
; %bb.132:
	s_add_u32 s38, s26, -1
	v_lshl_add_u64 v[30:31], v[30:31], 0, 8
	v_lshl_add_u64 v[32:33], v[32:33], 0, 8
	s_addc_u32 s39, s27, -1
	s_mov_b64 s[40:41], 0
	s_mov_b64 s[44:45], 0
                                        ; implicit-def: $sgpr42_sgpr43
	s_branch .LBB1723_135
.LBB1723_133:                           ;   in Loop: Header=BB1723_135 Depth=1
	global_load_dwordx2 v[34:35], v[32:33], off
	global_load_dwordx2 v[36:37], v[30:31], off
	s_add_u32 s44, s44, 1
	s_addc_u32 s45, s45, 0
	s_andn2_b64 s[42:43], s[42:43], exec
	v_lshl_add_u64 v[30:31], v[30:31], 0, 8
	v_lshl_add_u64 v[32:33], v[32:33], 0, 8
	s_waitcnt vmcnt(0)
	v_cmp_ne_u64_e32 vcc, v[34:35], v[36:37]
	s_and_b64 s[46:47], vcc, exec
	s_or_b64 s[42:43], s[42:43], s[46:47]
.LBB1723_134:                           ;   in Loop: Header=BB1723_135 Depth=1
	s_and_b64 s[46:47], exec, s[42:43]
	s_or_b64 s[40:41], s[46:47], s[40:41]
	v_mov_b64_e32 v[34:35], s[44:45]
	s_andn2_b64 exec, exec, s[40:41]
	s_cbranch_execz .LBB1723_137
.LBB1723_135:                           ; =>This Inner Loop Header: Depth=1
	s_or_b64 s[42:43], s[42:43], exec
	s_cmp_eq_u64 s[38:39], s[44:45]
	s_cbranch_scc0 .LBB1723_133
; %bb.136:                              ;   in Loop: Header=BB1723_135 Depth=1
                                        ; implicit-def: $vgpr30_vgpr31
                                        ; implicit-def: $vgpr32_vgpr33
	s_mov_b64 s[44:45], s[26:27]
	s_branch .LBB1723_134
.LBB1723_137:
	s_or_b64 exec, exec, s[40:41]
	v_cmp_gt_i64_e32 vcc, s[26:27], v[34:35]
	s_orn2_b64 s[38:39], vcc, exec
.LBB1723_138:
	s_or_b64 exec, exec, s[14:15]
.LBB1723_139:
	s_and_b64 s[14:15], s[38:39], exec
.LBB1723_140:
	s_or_b64 exec, exec, s[36:37]
	v_cmp_gt_u32_e32 vcc, s3, v42
	s_and_saveexec_b64 s[36:37], vcc
	s_cbranch_execz .LBB1723_151
; %bb.141:
	s_and_b64 vcc, exec, s[4:5]
	s_mov_b64 s[38:39], 0
	s_cbranch_vccnz .LBB1723_150
; %bb.142:
	s_waitcnt lgkmcnt(0)
	v_mul_lo_u32 v32, v19, s26
	v_mul_lo_u32 v33, v18, s27
	v_mad_u64_u32 v[30:31], s[18:19], v18, s26, 0
	v_add3_u32 v31, v31, v33, v32
	v_mul_lo_u32 v32, v21, s26
	v_mul_lo_u32 v33, v20, s27
	v_mad_u64_u32 v[34:35], s[18:19], v20, s26, 0
	v_add3_u32 v35, v35, v33, v32
	v_lshl_add_u64 v[32:33], v[30:31], 3, s[28:29]
	v_lshl_add_u64 v[30:31], v[34:35], 3, s[28:29]
	global_load_dwordx2 v[34:35], v[32:33], off
	global_load_dwordx2 v[36:37], v[30:31], off
	s_mov_b64 s[38:39], -1
	s_waitcnt vmcnt(0)
	v_cmp_eq_u64_e32 vcc, v[34:35], v[36:37]
	s_and_saveexec_b64 s[18:19], vcc
	s_cbranch_execz .LBB1723_149
; %bb.143:
	s_add_u32 s38, s26, -1
	v_lshl_add_u64 v[30:31], v[30:31], 0, 8
	v_lshl_add_u64 v[32:33], v[32:33], 0, 8
	s_addc_u32 s39, s27, -1
	s_mov_b64 s[40:41], 0
	s_mov_b64 s[44:45], 0
                                        ; implicit-def: $sgpr42_sgpr43
	s_branch .LBB1723_146
.LBB1723_144:                           ;   in Loop: Header=BB1723_146 Depth=1
	global_load_dwordx2 v[34:35], v[32:33], off
	global_load_dwordx2 v[36:37], v[30:31], off
	s_add_u32 s44, s44, 1
	s_addc_u32 s45, s45, 0
	s_andn2_b64 s[42:43], s[42:43], exec
	v_lshl_add_u64 v[30:31], v[30:31], 0, 8
	v_lshl_add_u64 v[32:33], v[32:33], 0, 8
	s_waitcnt vmcnt(0)
	v_cmp_ne_u64_e32 vcc, v[34:35], v[36:37]
	s_and_b64 s[46:47], vcc, exec
	s_or_b64 s[42:43], s[42:43], s[46:47]
.LBB1723_145:                           ;   in Loop: Header=BB1723_146 Depth=1
	s_and_b64 s[46:47], exec, s[42:43]
	s_or_b64 s[40:41], s[46:47], s[40:41]
	v_mov_b64_e32 v[34:35], s[44:45]
	s_andn2_b64 exec, exec, s[40:41]
	s_cbranch_execz .LBB1723_148
.LBB1723_146:                           ; =>This Inner Loop Header: Depth=1
	s_or_b64 s[42:43], s[42:43], exec
	s_cmp_eq_u64 s[38:39], s[44:45]
	s_cbranch_scc0 .LBB1723_144
; %bb.147:                              ;   in Loop: Header=BB1723_146 Depth=1
                                        ; implicit-def: $vgpr30_vgpr31
                                        ; implicit-def: $vgpr32_vgpr33
	s_mov_b64 s[44:45], s[26:27]
	s_branch .LBB1723_145
.LBB1723_148:
	s_or_b64 exec, exec, s[40:41]
	v_cmp_gt_i64_e32 vcc, s[26:27], v[34:35]
	s_orn2_b64 s[38:39], vcc, exec
.LBB1723_149:
	s_or_b64 exec, exec, s[18:19]
.LBB1723_150:
	s_and_b64 s[18:19], s[38:39], exec
.LBB1723_151:
	s_or_b64 exec, exec, s[36:37]
	v_cmp_gt_u32_e32 vcc, s3, v38
	s_mov_b64 s[36:37], 0
	s_mov_b64 s[38:39], 0
	s_and_saveexec_b64 s[40:41], vcc
	s_cbranch_execz .LBB1723_162
; %bb.152:
	s_and_b64 vcc, exec, s[4:5]
	s_mov_b64 s[42:43], 0
	s_cbranch_vccnz .LBB1723_161
; %bb.153:
	s_waitcnt lgkmcnt(0)
	v_mul_lo_u32 v32, v25, s26
	v_mul_lo_u32 v33, v24, s27
	v_mad_u64_u32 v[30:31], s[38:39], v24, s26, 0
	v_add3_u32 v31, v31, v33, v32
	v_mul_lo_u32 v32, v19, s26
	v_mul_lo_u32 v33, v18, s27
	v_mad_u64_u32 v[34:35], s[38:39], v18, s26, 0
	v_add3_u32 v35, v35, v33, v32
	v_lshl_add_u64 v[32:33], v[30:31], 3, s[28:29]
	v_lshl_add_u64 v[30:31], v[34:35], 3, s[28:29]
	global_load_dwordx2 v[34:35], v[32:33], off
	global_load_dwordx2 v[36:37], v[30:31], off
	s_mov_b64 s[42:43], -1
	s_waitcnt vmcnt(0)
	v_cmp_eq_u64_e32 vcc, v[34:35], v[36:37]
	s_and_saveexec_b64 s[38:39], vcc
	s_cbranch_execz .LBB1723_160
; %bb.154:
	s_add_u32 s42, s26, -1
	v_lshl_add_u64 v[30:31], v[30:31], 0, 8
	v_lshl_add_u64 v[32:33], v[32:33], 0, 8
	s_addc_u32 s43, s27, -1
	s_mov_b64 s[44:45], 0
	s_mov_b64 s[48:49], 0
                                        ; implicit-def: $sgpr46_sgpr47
	s_branch .LBB1723_157
.LBB1723_155:                           ;   in Loop: Header=BB1723_157 Depth=1
	global_load_dwordx2 v[34:35], v[32:33], off
	global_load_dwordx2 v[36:37], v[30:31], off
	s_add_u32 s48, s48, 1
	s_addc_u32 s49, s49, 0
	s_andn2_b64 s[46:47], s[46:47], exec
	v_lshl_add_u64 v[30:31], v[30:31], 0, 8
	v_lshl_add_u64 v[32:33], v[32:33], 0, 8
	s_waitcnt vmcnt(0)
	v_cmp_ne_u64_e32 vcc, v[34:35], v[36:37]
	s_and_b64 s[50:51], vcc, exec
	s_or_b64 s[46:47], s[46:47], s[50:51]
.LBB1723_156:                           ;   in Loop: Header=BB1723_157 Depth=1
	s_and_b64 s[50:51], exec, s[46:47]
	s_or_b64 s[44:45], s[50:51], s[44:45]
	v_mov_b64_e32 v[34:35], s[48:49]
	s_andn2_b64 exec, exec, s[44:45]
	s_cbranch_execz .LBB1723_159
.LBB1723_157:                           ; =>This Inner Loop Header: Depth=1
	s_or_b64 s[46:47], s[46:47], exec
	s_cmp_eq_u64 s[42:43], s[48:49]
	s_cbranch_scc0 .LBB1723_155
; %bb.158:                              ;   in Loop: Header=BB1723_157 Depth=1
                                        ; implicit-def: $vgpr30_vgpr31
                                        ; implicit-def: $vgpr32_vgpr33
	s_mov_b64 s[48:49], s[26:27]
	s_branch .LBB1723_156
.LBB1723_159:
	s_or_b64 exec, exec, s[44:45]
	v_cmp_gt_i64_e32 vcc, s[26:27], v[34:35]
	s_orn2_b64 s[42:43], vcc, exec
.LBB1723_160:
	s_or_b64 exec, exec, s[38:39]
.LBB1723_161:
	s_and_b64 s[38:39], s[42:43], exec
.LBB1723_162:
	s_or_b64 exec, exec, s[40:41]
	v_cmp_gt_u32_e32 vcc, s3, v41
	s_and_saveexec_b64 s[40:41], vcc
	s_cbranch_execz .LBB1723_173
; %bb.163:
	s_and_b64 vcc, exec, s[4:5]
	s_mov_b64 s[42:43], 0
	s_cbranch_vccnz .LBB1723_172
; %bb.164:
	s_waitcnt lgkmcnt(0)
	v_mul_lo_u32 v32, v23, s26
	v_mul_lo_u32 v33, v22, s27
	v_mad_u64_u32 v[30:31], s[36:37], v22, s26, 0
	v_add3_u32 v31, v31, v33, v32
	v_mul_lo_u32 v32, v25, s26
	v_mul_lo_u32 v33, v24, s27
	v_mad_u64_u32 v[34:35], s[36:37], v24, s26, 0
	v_add3_u32 v35, v35, v33, v32
	v_lshl_add_u64 v[32:33], v[30:31], 3, s[28:29]
	v_lshl_add_u64 v[30:31], v[34:35], 3, s[28:29]
	global_load_dwordx2 v[34:35], v[32:33], off
	global_load_dwordx2 v[36:37], v[30:31], off
	s_mov_b64 s[42:43], -1
	s_waitcnt vmcnt(0)
	v_cmp_eq_u64_e32 vcc, v[34:35], v[36:37]
	s_and_saveexec_b64 s[36:37], vcc
	s_cbranch_execz .LBB1723_171
; %bb.165:
	s_add_u32 s42, s26, -1
	v_lshl_add_u64 v[30:31], v[30:31], 0, 8
	v_lshl_add_u64 v[32:33], v[32:33], 0, 8
	s_addc_u32 s43, s27, -1
	s_mov_b64 s[44:45], 0
	s_mov_b64 s[48:49], 0
                                        ; implicit-def: $sgpr46_sgpr47
	s_branch .LBB1723_168
.LBB1723_166:                           ;   in Loop: Header=BB1723_168 Depth=1
	global_load_dwordx2 v[34:35], v[32:33], off
	global_load_dwordx2 v[36:37], v[30:31], off
	s_add_u32 s48, s48, 1
	s_addc_u32 s49, s49, 0
	s_andn2_b64 s[46:47], s[46:47], exec
	v_lshl_add_u64 v[30:31], v[30:31], 0, 8
	v_lshl_add_u64 v[32:33], v[32:33], 0, 8
	s_waitcnt vmcnt(0)
	v_cmp_ne_u64_e32 vcc, v[34:35], v[36:37]
	s_and_b64 s[50:51], vcc, exec
	s_or_b64 s[46:47], s[46:47], s[50:51]
.LBB1723_167:                           ;   in Loop: Header=BB1723_168 Depth=1
	s_and_b64 s[50:51], exec, s[46:47]
	s_or_b64 s[44:45], s[50:51], s[44:45]
	v_mov_b64_e32 v[34:35], s[48:49]
	s_andn2_b64 exec, exec, s[44:45]
	s_cbranch_execz .LBB1723_170
.LBB1723_168:                           ; =>This Inner Loop Header: Depth=1
	s_or_b64 s[46:47], s[46:47], exec
	s_cmp_eq_u64 s[42:43], s[48:49]
	s_cbranch_scc0 .LBB1723_166
; %bb.169:                              ;   in Loop: Header=BB1723_168 Depth=1
                                        ; implicit-def: $vgpr30_vgpr31
                                        ; implicit-def: $vgpr32_vgpr33
	s_mov_b64 s[48:49], s[26:27]
	s_branch .LBB1723_167
.LBB1723_170:
	s_or_b64 exec, exec, s[44:45]
	v_cmp_gt_i64_e32 vcc, s[26:27], v[34:35]
	s_orn2_b64 s[42:43], vcc, exec
.LBB1723_171:
	s_or_b64 exec, exec, s[36:37]
.LBB1723_172:
	s_and_b64 s[36:37], s[42:43], exec
.LBB1723_173:
	s_or_b64 exec, exec, s[40:41]
	v_cmp_ne_u32_e32 vcc, 0, v0
	s_waitcnt lgkmcnt(0)
	v_mov_b64_e32 v[30:31], s[6:7]
	s_barrier
	s_and_saveexec_b64 s[6:7], vcc
	s_cbranch_execz .LBB1723_175
; %bb.174:
	v_add_u32_e32 v30, -8, v45
	ds_read_b64 v[30:31], v30
.LBB1723_175:
	s_or_b64 exec, exec, s[6:7]
	v_cndmask_b32_e64 v33, 0, 1, s[18:19]
	v_cndmask_b32_e64 v32, 0, 1, s[38:39]
	;; [unrolled: 1-line block ×3, first 2 shown]
	v_lshlrev_b16_e32 v33, 8, v33
	v_cmp_gt_u32_e32 vcc, s3, v1
	v_lshlrev_b16_e32 v36, 8, v34
	v_or_b32_sdwa v37, v32, v33 dst_sel:WORD_1 dst_unused:UNUSED_PAD src0_sel:DWORD src1_sel:DWORD
	s_mov_b64 s[18:19], 0
	s_and_saveexec_b64 s[6:7], vcc
	s_cbranch_execz .LBB1723_186
; %bb.176:
	s_and_b64 vcc, exec, s[4:5]
	s_cbranch_vccnz .LBB1723_185
; %bb.177:
	s_waitcnt lgkmcnt(0)
	v_mul_lo_u32 v32, v31, s26
	v_mul_lo_u32 v33, v30, s27
	v_mad_u64_u32 v[30:31], s[4:5], v30, s26, 0
	v_add3_u32 v31, v31, v33, v32
	v_mul_lo_u32 v32, v23, s26
	v_mul_lo_u32 v33, v22, s27
	v_mad_u64_u32 v[34:35], s[4:5], v22, s26, 0
	v_add3_u32 v35, v35, v33, v32
	v_lshl_add_u64 v[32:33], v[30:31], 3, s[28:29]
	v_lshl_add_u64 v[30:31], v[34:35], 3, s[28:29]
	global_load_dwordx2 v[34:35], v[32:33], off
	global_load_dwordx2 v[46:47], v[30:31], off
	s_mov_b64 s[18:19], -1
	s_waitcnt vmcnt(0)
	v_cmp_eq_u64_e32 vcc, v[34:35], v[46:47]
	s_and_saveexec_b64 s[4:5], vcc
	s_cbranch_execz .LBB1723_184
; %bb.178:
	s_add_u32 s18, s26, -1
	v_lshl_add_u64 v[30:31], v[30:31], 0, 8
	v_lshl_add_u64 v[32:33], v[32:33], 0, 8
	s_addc_u32 s19, s27, -1
	s_mov_b64 s[36:37], 0
	s_mov_b64 s[40:41], 0
                                        ; implicit-def: $sgpr38_sgpr39
	s_branch .LBB1723_181
.LBB1723_179:                           ;   in Loop: Header=BB1723_181 Depth=1
	global_load_dwordx2 v[34:35], v[32:33], off
	global_load_dwordx2 v[46:47], v[30:31], off
	s_add_u32 s40, s40, 1
	s_addc_u32 s41, s41, 0
	s_andn2_b64 s[38:39], s[38:39], exec
	v_lshl_add_u64 v[30:31], v[30:31], 0, 8
	v_lshl_add_u64 v[32:33], v[32:33], 0, 8
	s_waitcnt vmcnt(0)
	v_cmp_ne_u64_e32 vcc, v[34:35], v[46:47]
	s_and_b64 s[42:43], vcc, exec
	s_or_b64 s[38:39], s[38:39], s[42:43]
.LBB1723_180:                           ;   in Loop: Header=BB1723_181 Depth=1
	s_and_b64 s[42:43], exec, s[38:39]
	s_or_b64 s[36:37], s[42:43], s[36:37]
	v_mov_b64_e32 v[34:35], s[40:41]
	s_andn2_b64 exec, exec, s[36:37]
	s_cbranch_execz .LBB1723_183
.LBB1723_181:                           ; =>This Inner Loop Header: Depth=1
	s_or_b64 s[38:39], s[38:39], exec
	s_cmp_eq_u64 s[18:19], s[40:41]
	s_cbranch_scc0 .LBB1723_179
; %bb.182:                              ;   in Loop: Header=BB1723_181 Depth=1
                                        ; implicit-def: $vgpr30_vgpr31
                                        ; implicit-def: $vgpr32_vgpr33
	s_mov_b64 s[40:41], s[26:27]
	s_branch .LBB1723_180
.LBB1723_183:
	s_or_b64 exec, exec, s[36:37]
	v_cmp_gt_i64_e32 vcc, s[26:27], v[34:35]
	s_orn2_b64 s[18:19], vcc, exec
.LBB1723_184:
	s_or_b64 exec, exec, s[4:5]
.LBB1723_185:
	s_and_b64 s[18:19], s[18:19], exec
.LBB1723_186:
	s_or_b64 exec, exec, s[6:7]
	v_cndmask_b32_e64 v46, 0, 1, s[14:15]
	v_cndmask_b32_e64 v47, 0, 1, s[12:13]
	;; [unrolled: 1-line block ×3, first 2 shown]
	v_or_b32_e32 v34, v36, v37
.LBB1723_187:
	s_mov_b64 s[10:11], -1
	s_cbranch_execnz .LBB1723_46
.LBB1723_188:
	s_movk_i32 s4, 0xffd0
	v_mad_i32_i24 v44, v0, s4, v44
	s_mov_b64 s[12:13], 0
	s_waitcnt lgkmcnt(0)
	v_cmp_gt_i64_e64 s[6:7], s[26:27], 0
	s_and_b64 vcc, exec, s[34:35]
	ds_write_b64 v44, v[28:29]
	s_cbranch_vccz .LBB1723_196
; %bb.189:
	v_mul_lo_u32 v32, v17, s26
	v_mul_lo_u32 v33, v16, s27
	v_mad_u64_u32 v[30:31], s[4:5], v16, s26, 0
	v_add3_u32 v31, v31, v33, v32
	v_cndmask_b32_e64 v32, 0, 1, s[6:7]
	v_cmp_ne_u32_e64 s[4:5], 1, v32
	s_andn2_b64 vcc, exec, s[6:7]
	v_lshl_add_u64 v[30:31], v[30:31], 3, s[28:29]
	s_cbranch_vccnz .LBB1723_199
; %bb.190:
	v_mul_lo_u32 v34, v29, s26
	v_mul_lo_u32 v35, v28, s27
	v_mad_u64_u32 v[32:33], s[12:13], v28, s26, 0
	v_add3_u32 v33, v33, v35, v34
	v_lshl_add_u64 v[32:33], v[32:33], 3, s[28:29]
	global_load_dwordx2 v[34:35], v[30:31], off
	global_load_dwordx2 v[36:37], v[32:33], off
	s_mov_b64 s[12:13], -1
	s_waitcnt vmcnt(0)
	v_cmp_eq_u64_e32 vcc, v[34:35], v[36:37]
	s_and_saveexec_b64 s[14:15], vcc
	s_cbranch_execz .LBB1723_198
; %bb.191:
	s_add_u32 s12, s26, -1
	v_lshl_add_u64 v[32:33], v[32:33], 0, 8
	v_lshl_add_u64 v[34:35], v[30:31], 0, 8
	s_addc_u32 s13, s27, -1
	s_mov_b64 s[18:19], 0
	s_mov_b64 s[38:39], 0
                                        ; implicit-def: $sgpr36_sgpr37
	s_branch .LBB1723_194
.LBB1723_192:                           ;   in Loop: Header=BB1723_194 Depth=1
	global_load_dwordx2 v[36:37], v[34:35], off
	global_load_dwordx2 v[46:47], v[32:33], off
	s_add_u32 s38, s38, 1
	s_addc_u32 s39, s39, 0
	s_andn2_b64 s[36:37], s[36:37], exec
	v_lshl_add_u64 v[32:33], v[32:33], 0, 8
	v_lshl_add_u64 v[34:35], v[34:35], 0, 8
	s_waitcnt vmcnt(0)
	v_cmp_ne_u64_e32 vcc, v[36:37], v[46:47]
	s_and_b64 s[40:41], vcc, exec
	s_or_b64 s[36:37], s[36:37], s[40:41]
.LBB1723_193:                           ;   in Loop: Header=BB1723_194 Depth=1
	s_and_b64 s[40:41], exec, s[36:37]
	s_or_b64 s[18:19], s[40:41], s[18:19]
	v_mov_b64_e32 v[36:37], s[38:39]
	s_andn2_b64 exec, exec, s[18:19]
	s_cbranch_execz .LBB1723_197
.LBB1723_194:                           ; =>This Inner Loop Header: Depth=1
	s_or_b64 s[36:37], s[36:37], exec
	s_cmp_eq_u64 s[12:13], s[38:39]
	s_cbranch_scc0 .LBB1723_192
; %bb.195:                              ;   in Loop: Header=BB1723_194 Depth=1
                                        ; implicit-def: $vgpr32_vgpr33
                                        ; implicit-def: $vgpr34_vgpr35
	s_mov_b64 s[38:39], s[26:27]
	s_branch .LBB1723_193
.LBB1723_196:
                                        ; implicit-def: $sgpr18_sgpr19
                                        ; implicit-def: $vgpr48
                                        ; implicit-def: $vgpr47
                                        ; implicit-def: $vgpr46
                                        ; implicit-def: $vgpr34
                                        ; implicit-def: $vgpr30_vgpr31
	s_cbranch_execnz .LBB1723_256
	s_branch .LBB1723_336
.LBB1723_197:
	s_or_b64 exec, exec, s[18:19]
	v_cmp_gt_i64_e32 vcc, s[26:27], v[36:37]
	s_orn2_b64 s[12:13], vcc, exec
.LBB1723_198:
	s_or_b64 exec, exec, s[14:15]
.LBB1723_199:
	v_mul_lo_u32 v34, v15, s26
	v_mul_lo_u32 v35, v14, s27
	v_mad_u64_u32 v[32:33], s[14:15], v14, s26, 0
	v_add3_u32 v33, v33, v35, v34
	s_mov_b64 s[14:15], 0
	s_and_b64 vcc, exec, s[4:5]
	v_lshl_add_u64 v[32:33], v[32:33], 3, s[28:29]
	s_mov_b64 s[18:19], 0
	s_cbranch_vccnz .LBB1723_208
; %bb.200:
	global_load_dwordx2 v[34:35], v[32:33], off
	global_load_dwordx2 v[36:37], v[30:31], off
	s_mov_b64 s[18:19], -1
	s_waitcnt vmcnt(0)
	v_cmp_eq_u64_e32 vcc, v[34:35], v[36:37]
	s_and_saveexec_b64 s[36:37], vcc
	s_cbranch_execz .LBB1723_207
; %bb.201:
	s_add_u32 s18, s26, -1
	v_lshl_add_u64 v[30:31], v[30:31], 0, 8
	v_lshl_add_u64 v[34:35], v[32:33], 0, 8
	s_addc_u32 s19, s27, -1
	s_mov_b64 s[38:39], 0
	s_mov_b64 s[42:43], 0
                                        ; implicit-def: $sgpr40_sgpr41
	s_branch .LBB1723_204
.LBB1723_202:                           ;   in Loop: Header=BB1723_204 Depth=1
	global_load_dwordx2 v[36:37], v[34:35], off
	global_load_dwordx2 v[46:47], v[30:31], off
	s_add_u32 s42, s42, 1
	s_addc_u32 s43, s43, 0
	s_andn2_b64 s[40:41], s[40:41], exec
	v_lshl_add_u64 v[30:31], v[30:31], 0, 8
	v_lshl_add_u64 v[34:35], v[34:35], 0, 8
	s_waitcnt vmcnt(0)
	v_cmp_ne_u64_e32 vcc, v[36:37], v[46:47]
	s_and_b64 s[44:45], vcc, exec
	s_or_b64 s[40:41], s[40:41], s[44:45]
.LBB1723_203:                           ;   in Loop: Header=BB1723_204 Depth=1
	s_and_b64 s[44:45], exec, s[40:41]
	s_or_b64 s[38:39], s[44:45], s[38:39]
	v_mov_b64_e32 v[36:37], s[42:43]
	s_andn2_b64 exec, exec, s[38:39]
	s_cbranch_execz .LBB1723_206
.LBB1723_204:                           ; =>This Inner Loop Header: Depth=1
	s_or_b64 s[40:41], s[40:41], exec
	s_cmp_eq_u64 s[18:19], s[42:43]
	s_cbranch_scc0 .LBB1723_202
; %bb.205:                              ;   in Loop: Header=BB1723_204 Depth=1
                                        ; implicit-def: $vgpr30_vgpr31
                                        ; implicit-def: $vgpr34_vgpr35
	s_mov_b64 s[42:43], s[26:27]
	s_branch .LBB1723_203
.LBB1723_206:
	s_or_b64 exec, exec, s[38:39]
	v_cmp_gt_i64_e32 vcc, s[26:27], v[36:37]
	s_orn2_b64 s[18:19], vcc, exec
.LBB1723_207:
	s_or_b64 exec, exec, s[36:37]
.LBB1723_208:
	v_mul_lo_u32 v34, v21, s26
	v_mul_lo_u32 v35, v20, s27
	v_mad_u64_u32 v[30:31], s[36:37], v20, s26, 0
	v_add3_u32 v31, v31, v35, v34
	s_and_b64 vcc, exec, s[4:5]
	v_lshl_add_u64 v[30:31], v[30:31], 3, s[28:29]
	s_cbranch_vccnz .LBB1723_217
; %bb.209:
	global_load_dwordx2 v[34:35], v[30:31], off
	global_load_dwordx2 v[36:37], v[32:33], off
	s_mov_b64 s[14:15], -1
	s_waitcnt vmcnt(0)
	v_cmp_eq_u64_e32 vcc, v[34:35], v[36:37]
	s_and_saveexec_b64 s[36:37], vcc
	s_cbranch_execz .LBB1723_216
; %bb.210:
	s_add_u32 s14, s26, -1
	v_lshl_add_u64 v[32:33], v[32:33], 0, 8
	v_lshl_add_u64 v[34:35], v[30:31], 0, 8
	s_addc_u32 s15, s27, -1
	s_mov_b64 s[38:39], 0
	s_mov_b64 s[42:43], 0
                                        ; implicit-def: $sgpr40_sgpr41
	s_branch .LBB1723_213
.LBB1723_211:                           ;   in Loop: Header=BB1723_213 Depth=1
	global_load_dwordx2 v[36:37], v[34:35], off
	global_load_dwordx2 v[46:47], v[32:33], off
	s_add_u32 s42, s42, 1
	s_addc_u32 s43, s43, 0
	s_andn2_b64 s[40:41], s[40:41], exec
	v_lshl_add_u64 v[32:33], v[32:33], 0, 8
	v_lshl_add_u64 v[34:35], v[34:35], 0, 8
	s_waitcnt vmcnt(0)
	v_cmp_ne_u64_e32 vcc, v[36:37], v[46:47]
	s_and_b64 s[44:45], vcc, exec
	s_or_b64 s[40:41], s[40:41], s[44:45]
.LBB1723_212:                           ;   in Loop: Header=BB1723_213 Depth=1
	s_and_b64 s[44:45], exec, s[40:41]
	s_or_b64 s[38:39], s[44:45], s[38:39]
	v_mov_b64_e32 v[36:37], s[42:43]
	s_andn2_b64 exec, exec, s[38:39]
	s_cbranch_execz .LBB1723_215
.LBB1723_213:                           ; =>This Inner Loop Header: Depth=1
	s_or_b64 s[40:41], s[40:41], exec
	s_cmp_eq_u64 s[14:15], s[42:43]
	s_cbranch_scc0 .LBB1723_211
; %bb.214:                              ;   in Loop: Header=BB1723_213 Depth=1
                                        ; implicit-def: $vgpr32_vgpr33
                                        ; implicit-def: $vgpr34_vgpr35
	s_mov_b64 s[42:43], s[26:27]
	s_branch .LBB1723_212
.LBB1723_215:
	s_or_b64 exec, exec, s[38:39]
	v_cmp_gt_i64_e32 vcc, s[26:27], v[36:37]
	s_orn2_b64 s[14:15], vcc, exec
.LBB1723_216:
	s_or_b64 exec, exec, s[36:37]
.LBB1723_217:
	v_mul_lo_u32 v34, v19, s26
	v_mul_lo_u32 v35, v18, s27
	v_mad_u64_u32 v[32:33], s[36:37], v18, s26, 0
	v_add3_u32 v33, v33, v35, v34
	s_mov_b64 s[36:37], 0
	s_and_b64 vcc, exec, s[4:5]
	v_lshl_add_u64 v[32:33], v[32:33], 3, s[28:29]
	s_mov_b64 s[38:39], 0
	s_cbranch_vccnz .LBB1723_226
; %bb.218:
	global_load_dwordx2 v[34:35], v[32:33], off
	global_load_dwordx2 v[36:37], v[30:31], off
	s_mov_b64 s[38:39], -1
	s_waitcnt vmcnt(0)
	v_cmp_eq_u64_e32 vcc, v[34:35], v[36:37]
	s_and_saveexec_b64 s[40:41], vcc
	s_cbranch_execz .LBB1723_225
; %bb.219:
	s_add_u32 s38, s26, -1
	v_lshl_add_u64 v[30:31], v[30:31], 0, 8
	v_lshl_add_u64 v[34:35], v[32:33], 0, 8
	s_addc_u32 s39, s27, -1
	s_mov_b64 s[42:43], 0
	s_mov_b64 s[46:47], 0
                                        ; implicit-def: $sgpr44_sgpr45
	s_branch .LBB1723_222
.LBB1723_220:                           ;   in Loop: Header=BB1723_222 Depth=1
	global_load_dwordx2 v[36:37], v[34:35], off
	global_load_dwordx2 v[46:47], v[30:31], off
	s_add_u32 s46, s46, 1
	s_addc_u32 s47, s47, 0
	s_andn2_b64 s[44:45], s[44:45], exec
	v_lshl_add_u64 v[30:31], v[30:31], 0, 8
	v_lshl_add_u64 v[34:35], v[34:35], 0, 8
	s_waitcnt vmcnt(0)
	v_cmp_ne_u64_e32 vcc, v[36:37], v[46:47]
	s_and_b64 s[48:49], vcc, exec
	s_or_b64 s[44:45], s[44:45], s[48:49]
.LBB1723_221:                           ;   in Loop: Header=BB1723_222 Depth=1
	s_and_b64 s[48:49], exec, s[44:45]
	s_or_b64 s[42:43], s[48:49], s[42:43]
	v_mov_b64_e32 v[36:37], s[46:47]
	s_andn2_b64 exec, exec, s[42:43]
	s_cbranch_execz .LBB1723_224
.LBB1723_222:                           ; =>This Inner Loop Header: Depth=1
	s_or_b64 s[44:45], s[44:45], exec
	s_cmp_eq_u64 s[38:39], s[46:47]
	s_cbranch_scc0 .LBB1723_220
; %bb.223:                              ;   in Loop: Header=BB1723_222 Depth=1
                                        ; implicit-def: $vgpr30_vgpr31
                                        ; implicit-def: $vgpr34_vgpr35
	s_mov_b64 s[46:47], s[26:27]
	s_branch .LBB1723_221
.LBB1723_224:
	s_or_b64 exec, exec, s[42:43]
	v_cmp_gt_i64_e32 vcc, s[26:27], v[36:37]
	s_orn2_b64 s[38:39], vcc, exec
.LBB1723_225:
	s_or_b64 exec, exec, s[40:41]
.LBB1723_226:
	v_mul_lo_u32 v34, v25, s26
	v_mul_lo_u32 v35, v24, s27
	v_mad_u64_u32 v[30:31], s[40:41], v24, s26, 0
	v_add3_u32 v31, v31, v35, v34
	s_and_b64 vcc, exec, s[4:5]
	v_lshl_add_u64 v[30:31], v[30:31], 3, s[28:29]
	s_cbranch_vccnz .LBB1723_235
; %bb.227:
	global_load_dwordx2 v[34:35], v[30:31], off
	global_load_dwordx2 v[36:37], v[32:33], off
	s_mov_b64 s[36:37], -1
	s_waitcnt vmcnt(0)
	v_cmp_eq_u64_e32 vcc, v[34:35], v[36:37]
	s_and_saveexec_b64 s[40:41], vcc
	s_cbranch_execz .LBB1723_234
; %bb.228:
	s_add_u32 s36, s26, -1
	v_lshl_add_u64 v[32:33], v[32:33], 0, 8
	v_lshl_add_u64 v[34:35], v[30:31], 0, 8
	s_addc_u32 s37, s27, -1
	s_mov_b64 s[42:43], 0
	s_mov_b64 s[46:47], 0
                                        ; implicit-def: $sgpr44_sgpr45
	s_branch .LBB1723_231
.LBB1723_229:                           ;   in Loop: Header=BB1723_231 Depth=1
	global_load_dwordx2 v[36:37], v[34:35], off
	global_load_dwordx2 v[46:47], v[32:33], off
	s_add_u32 s46, s46, 1
	s_addc_u32 s47, s47, 0
	s_andn2_b64 s[44:45], s[44:45], exec
	v_lshl_add_u64 v[32:33], v[32:33], 0, 8
	v_lshl_add_u64 v[34:35], v[34:35], 0, 8
	s_waitcnt vmcnt(0)
	v_cmp_ne_u64_e32 vcc, v[36:37], v[46:47]
	s_and_b64 s[48:49], vcc, exec
	s_or_b64 s[44:45], s[44:45], s[48:49]
.LBB1723_230:                           ;   in Loop: Header=BB1723_231 Depth=1
	s_and_b64 s[48:49], exec, s[44:45]
	s_or_b64 s[42:43], s[48:49], s[42:43]
	v_mov_b64_e32 v[36:37], s[46:47]
	s_andn2_b64 exec, exec, s[42:43]
	s_cbranch_execz .LBB1723_233
.LBB1723_231:                           ; =>This Inner Loop Header: Depth=1
	s_or_b64 s[44:45], s[44:45], exec
	s_cmp_eq_u64 s[36:37], s[46:47]
	s_cbranch_scc0 .LBB1723_229
; %bb.232:                              ;   in Loop: Header=BB1723_231 Depth=1
                                        ; implicit-def: $vgpr32_vgpr33
                                        ; implicit-def: $vgpr34_vgpr35
	s_mov_b64 s[46:47], s[26:27]
	s_branch .LBB1723_230
.LBB1723_233:
	s_or_b64 exec, exec, s[42:43]
	v_cmp_gt_i64_e32 vcc, s[26:27], v[36:37]
	s_orn2_b64 s[36:37], vcc, exec
.LBB1723_234:
	s_or_b64 exec, exec, s[40:41]
.LBB1723_235:
	v_mul_lo_u32 v34, v23, s26
	v_mul_lo_u32 v35, v22, s27
	v_mad_u64_u32 v[32:33], s[40:41], v22, s26, 0
	v_add3_u32 v33, v33, v35, v34
	s_and_b64 vcc, exec, s[4:5]
	s_mov_b64 s[42:43], 0
	s_cbranch_vccnz .LBB1723_244
; %bb.236:
	v_lshl_add_u64 v[34:35], v[32:33], 3, s[28:29]
	global_load_dwordx2 v[36:37], v[34:35], off
	global_load_dwordx2 v[46:47], v[30:31], off
	s_mov_b64 s[42:43], -1
	s_waitcnt vmcnt(0)
	v_cmp_eq_u64_e32 vcc, v[36:37], v[46:47]
	s_and_saveexec_b64 s[40:41], vcc
	s_cbranch_execz .LBB1723_243
; %bb.237:
	s_add_u32 s42, s26, -1
	v_lshl_add_u64 v[30:31], v[30:31], 0, 8
	v_lshl_add_u64 v[34:35], v[34:35], 0, 8
	s_addc_u32 s43, s27, -1
	s_mov_b64 s[44:45], 0
	s_mov_b64 s[48:49], 0
                                        ; implicit-def: $sgpr46_sgpr47
	s_branch .LBB1723_240
.LBB1723_238:                           ;   in Loop: Header=BB1723_240 Depth=1
	global_load_dwordx2 v[36:37], v[34:35], off
	global_load_dwordx2 v[46:47], v[30:31], off
	s_add_u32 s48, s48, 1
	s_addc_u32 s49, s49, 0
	s_andn2_b64 s[46:47], s[46:47], exec
	v_lshl_add_u64 v[30:31], v[30:31], 0, 8
	v_lshl_add_u64 v[34:35], v[34:35], 0, 8
	s_waitcnt vmcnt(0)
	v_cmp_ne_u64_e32 vcc, v[36:37], v[46:47]
	s_and_b64 s[50:51], vcc, exec
	s_or_b64 s[46:47], s[46:47], s[50:51]
.LBB1723_239:                           ;   in Loop: Header=BB1723_240 Depth=1
	s_and_b64 s[50:51], exec, s[46:47]
	s_or_b64 s[44:45], s[50:51], s[44:45]
	v_mov_b64_e32 v[36:37], s[48:49]
	s_andn2_b64 exec, exec, s[44:45]
	s_cbranch_execz .LBB1723_242
.LBB1723_240:                           ; =>This Inner Loop Header: Depth=1
	s_or_b64 s[46:47], s[46:47], exec
	s_cmp_eq_u64 s[42:43], s[48:49]
	s_cbranch_scc0 .LBB1723_238
; %bb.241:                              ;   in Loop: Header=BB1723_240 Depth=1
                                        ; implicit-def: $vgpr30_vgpr31
                                        ; implicit-def: $vgpr34_vgpr35
	s_mov_b64 s[48:49], s[26:27]
	s_branch .LBB1723_239
.LBB1723_242:
	s_or_b64 exec, exec, s[44:45]
	v_cmp_gt_i64_e32 vcc, s[26:27], v[36:37]
	s_orn2_b64 s[42:43], vcc, exec
.LBB1723_243:
	s_or_b64 exec, exec, s[40:41]
.LBB1723_244:
	v_cndmask_b32_e64 v31, 0, 1, s[38:39]
	v_cndmask_b32_e64 v30, 0, 1, s[36:37]
	;; [unrolled: 1-line block ×3, first 2 shown]
	v_lshlrev_b16_e32 v31, 8, v31
	v_cndmask_b32_e64 v46, 0, 1, s[14:15]
	v_cndmask_b32_e64 v34, 0, 1, s[42:43]
	v_or_b32_sdwa v30, v30, v31 dst_sel:WORD_1 dst_unused:UNUSED_PAD src0_sel:DWORD src1_sel:DWORD
	v_lshlrev_b16_e32 v31, 8, v47
	v_lshlrev_b16_e32 v34, 8, v34
	v_or_b32_e32 v31, v46, v31
	v_or_b32_e32 v34, 1, v34
	v_and_b32_e32 v31, 0xffff, v31
	v_cndmask_b32_e64 v48, 0, 1, s[12:13]
	v_or_b32_sdwa v30, v34, v30 dst_sel:DWORD dst_unused:UNUSED_PAD src0_sel:WORD_0 src1_sel:DWORD
	v_lshl_or_b32 v31, v48, 16, v31
	v_cmp_ne_u32_e32 vcc, 0, v0
	s_waitcnt lgkmcnt(0)
	s_barrier
	s_waitcnt lgkmcnt(0)
                                        ; implicit-def: $sgpr18_sgpr19
                                        ; implicit-def: $vgpr34
	s_and_saveexec_b64 s[12:13], vcc
	s_xor_b64 s[12:13], exec, s[12:13]
	s_cbranch_execz .LBB1723_255
; %bb.245:
	s_mov_b32 s33, 0x3020104
	s_and_b64 vcc, exec, s[4:5]
	s_mov_b64 s[14:15], 0
	s_cbranch_vccnz .LBB1723_254
; %bb.246:
	v_add_u32_e32 v31, -8, v44
	ds_read_b64 v[34:35], v31
	v_lshl_add_u64 v[32:33], v[32:33], 3, s[28:29]
	s_mov_b64 s[14:15], -1
	s_waitcnt lgkmcnt(0)
	v_mul_lo_u32 v31, v35, s26
	v_mul_lo_u32 v36, v34, s27
	v_mad_u64_u32 v[34:35], s[4:5], v34, s26, 0
	v_add3_u32 v35, v35, v36, v31
	v_lshl_add_u64 v[34:35], v[34:35], 3, s[28:29]
	global_load_dwordx2 v[36:37], v[34:35], off
	global_load_dwordx2 v[50:51], v[32:33], off
	s_waitcnt vmcnt(0)
	v_cmp_eq_u64_e32 vcc, v[36:37], v[50:51]
	s_and_saveexec_b64 s[4:5], vcc
	s_cbranch_execz .LBB1723_253
; %bb.247:
	s_add_u32 s14, s26, -1
	v_lshl_add_u64 v[32:33], v[32:33], 0, 8
	v_lshl_add_u64 v[34:35], v[34:35], 0, 8
	s_addc_u32 s15, s27, -1
	s_mov_b64 s[18:19], 0
	s_mov_b64 s[38:39], 0
                                        ; implicit-def: $sgpr36_sgpr37
	s_branch .LBB1723_250
.LBB1723_248:                           ;   in Loop: Header=BB1723_250 Depth=1
	global_load_dwordx2 v[36:37], v[34:35], off
	global_load_dwordx2 v[50:51], v[32:33], off
	s_add_u32 s38, s38, 1
	s_addc_u32 s39, s39, 0
	s_andn2_b64 s[36:37], s[36:37], exec
	v_lshl_add_u64 v[32:33], v[32:33], 0, 8
	v_lshl_add_u64 v[34:35], v[34:35], 0, 8
	s_waitcnt vmcnt(0)
	v_cmp_ne_u64_e32 vcc, v[36:37], v[50:51]
	s_and_b64 s[40:41], vcc, exec
	s_or_b64 s[36:37], s[36:37], s[40:41]
.LBB1723_249:                           ;   in Loop: Header=BB1723_250 Depth=1
	s_and_b64 s[40:41], exec, s[36:37]
	s_or_b64 s[18:19], s[40:41], s[18:19]
	v_mov_b64_e32 v[36:37], s[38:39]
	s_andn2_b64 exec, exec, s[18:19]
	s_cbranch_execz .LBB1723_252
.LBB1723_250:                           ; =>This Inner Loop Header: Depth=1
	s_or_b64 s[36:37], s[36:37], exec
	s_cmp_eq_u64 s[14:15], s[38:39]
	s_cbranch_scc0 .LBB1723_248
; %bb.251:                              ;   in Loop: Header=BB1723_250 Depth=1
                                        ; implicit-def: $vgpr32_vgpr33
                                        ; implicit-def: $vgpr34_vgpr35
	s_mov_b64 s[38:39], s[26:27]
	s_branch .LBB1723_249
.LBB1723_252:
	s_or_b64 exec, exec, s[18:19]
	v_cmp_gt_i64_e32 vcc, s[26:27], v[36:37]
	s_orn2_b64 s[14:15], vcc, exec
.LBB1723_253:
	s_or_b64 exec, exec, s[4:5]
.LBB1723_254:
	v_perm_b32 v34, v30, v30, s33
	s_and_b64 s[18:19], s[14:15], exec
	s_or_b64 s[10:11], s[10:11], exec
                                        ; implicit-def: $vgpr30_vgpr31
.LBB1723_255:
	s_or_b64 exec, exec, s[12:13]
	s_branch .LBB1723_336
.LBB1723_256:
	v_cmp_gt_u32_e32 vcc, s3, v40
	s_mov_b64 s[12:13], 0
	s_mov_b64 s[4:5], 0
	s_and_saveexec_b64 s[14:15], vcc
	s_cbranch_execz .LBB1723_267
; %bb.257:
	s_andn2_b64 vcc, exec, s[6:7]
	s_mov_b64 s[18:19], 0
	s_cbranch_vccnz .LBB1723_266
; %bb.258:
	v_mul_lo_u32 v32, v17, s26
	v_mul_lo_u32 v33, v16, s27
	v_mad_u64_u32 v[30:31], s[4:5], v16, s26, 0
	v_add3_u32 v31, v31, v33, v32
	v_mul_lo_u32 v32, v29, s26
	v_mul_lo_u32 v33, v28, s27
	v_mad_u64_u32 v[34:35], s[4:5], v28, s26, 0
	v_add3_u32 v35, v35, v33, v32
	v_lshl_add_u64 v[32:33], v[30:31], 3, s[28:29]
	v_lshl_add_u64 v[30:31], v[34:35], 3, s[28:29]
	global_load_dwordx2 v[34:35], v[32:33], off
	global_load_dwordx2 v[36:37], v[30:31], off
	s_mov_b64 s[18:19], -1
	s_waitcnt vmcnt(0)
	v_cmp_eq_u64_e32 vcc, v[34:35], v[36:37]
	s_and_saveexec_b64 s[4:5], vcc
	s_cbranch_execz .LBB1723_265
; %bb.259:
	s_add_u32 s18, s26, -1
	v_lshl_add_u64 v[30:31], v[30:31], 0, 8
	v_lshl_add_u64 v[32:33], v[32:33], 0, 8
	s_addc_u32 s19, s27, -1
	s_mov_b64 s[36:37], 0
	s_mov_b64 s[40:41], 0
                                        ; implicit-def: $sgpr38_sgpr39
	s_branch .LBB1723_262
.LBB1723_260:                           ;   in Loop: Header=BB1723_262 Depth=1
	global_load_dwordx2 v[34:35], v[32:33], off
	global_load_dwordx2 v[36:37], v[30:31], off
	s_add_u32 s40, s40, 1
	s_addc_u32 s41, s41, 0
	s_andn2_b64 s[38:39], s[38:39], exec
	v_lshl_add_u64 v[30:31], v[30:31], 0, 8
	v_lshl_add_u64 v[32:33], v[32:33], 0, 8
	s_waitcnt vmcnt(0)
	v_cmp_ne_u64_e32 vcc, v[34:35], v[36:37]
	s_and_b64 s[42:43], vcc, exec
	s_or_b64 s[38:39], s[38:39], s[42:43]
.LBB1723_261:                           ;   in Loop: Header=BB1723_262 Depth=1
	s_and_b64 s[42:43], exec, s[38:39]
	s_or_b64 s[36:37], s[42:43], s[36:37]
	v_mov_b64_e32 v[34:35], s[40:41]
	s_andn2_b64 exec, exec, s[36:37]
	s_cbranch_execz .LBB1723_264
.LBB1723_262:                           ; =>This Inner Loop Header: Depth=1
	s_or_b64 s[38:39], s[38:39], exec
	s_cmp_eq_u64 s[18:19], s[40:41]
	s_cbranch_scc0 .LBB1723_260
; %bb.263:                              ;   in Loop: Header=BB1723_262 Depth=1
                                        ; implicit-def: $vgpr30_vgpr31
                                        ; implicit-def: $vgpr32_vgpr33
	s_mov_b64 s[40:41], s[26:27]
	s_branch .LBB1723_261
.LBB1723_264:
	s_or_b64 exec, exec, s[36:37]
	v_cmp_gt_i64_e32 vcc, s[26:27], v[34:35]
	s_orn2_b64 s[18:19], vcc, exec
.LBB1723_265:
	s_or_b64 exec, exec, s[4:5]
.LBB1723_266:
	s_and_b64 s[4:5], s[18:19], exec
.LBB1723_267:
	s_or_b64 exec, exec, s[14:15]
	v_cmp_gt_u32_e32 vcc, s3, v43
	s_and_saveexec_b64 s[14:15], vcc
	s_cbranch_execz .LBB1723_278
; %bb.268:
	s_andn2_b64 vcc, exec, s[6:7]
	s_mov_b64 s[18:19], 0
	s_cbranch_vccnz .LBB1723_277
; %bb.269:
	v_mul_lo_u32 v32, v15, s26
	v_mul_lo_u32 v33, v14, s27
	v_mad_u64_u32 v[30:31], s[12:13], v14, s26, 0
	v_add3_u32 v31, v31, v33, v32
	v_mul_lo_u32 v32, v17, s26
	v_mul_lo_u32 v33, v16, s27
	v_mad_u64_u32 v[34:35], s[12:13], v16, s26, 0
	v_add3_u32 v35, v35, v33, v32
	v_lshl_add_u64 v[32:33], v[30:31], 3, s[28:29]
	v_lshl_add_u64 v[30:31], v[34:35], 3, s[28:29]
	global_load_dwordx2 v[34:35], v[32:33], off
	global_load_dwordx2 v[36:37], v[30:31], off
	s_mov_b64 s[18:19], -1
	s_waitcnt vmcnt(0)
	v_cmp_eq_u64_e32 vcc, v[34:35], v[36:37]
	s_and_saveexec_b64 s[12:13], vcc
	s_cbranch_execz .LBB1723_276
; %bb.270:
	s_add_u32 s18, s26, -1
	v_lshl_add_u64 v[30:31], v[30:31], 0, 8
	v_lshl_add_u64 v[32:33], v[32:33], 0, 8
	s_addc_u32 s19, s27, -1
	s_mov_b64 s[36:37], 0
	s_mov_b64 s[40:41], 0
                                        ; implicit-def: $sgpr38_sgpr39
	s_branch .LBB1723_273
.LBB1723_271:                           ;   in Loop: Header=BB1723_273 Depth=1
	global_load_dwordx2 v[34:35], v[32:33], off
	global_load_dwordx2 v[36:37], v[30:31], off
	s_add_u32 s40, s40, 1
	s_addc_u32 s41, s41, 0
	s_andn2_b64 s[38:39], s[38:39], exec
	v_lshl_add_u64 v[30:31], v[30:31], 0, 8
	v_lshl_add_u64 v[32:33], v[32:33], 0, 8
	s_waitcnt vmcnt(0)
	v_cmp_ne_u64_e32 vcc, v[34:35], v[36:37]
	s_and_b64 s[42:43], vcc, exec
	s_or_b64 s[38:39], s[38:39], s[42:43]
.LBB1723_272:                           ;   in Loop: Header=BB1723_273 Depth=1
	s_and_b64 s[42:43], exec, s[38:39]
	s_or_b64 s[36:37], s[42:43], s[36:37]
	v_mov_b64_e32 v[34:35], s[40:41]
	s_andn2_b64 exec, exec, s[36:37]
	s_cbranch_execz .LBB1723_275
.LBB1723_273:                           ; =>This Inner Loop Header: Depth=1
	s_or_b64 s[38:39], s[38:39], exec
	s_cmp_eq_u64 s[18:19], s[40:41]
	s_cbranch_scc0 .LBB1723_271
; %bb.274:                              ;   in Loop: Header=BB1723_273 Depth=1
                                        ; implicit-def: $vgpr30_vgpr31
                                        ; implicit-def: $vgpr32_vgpr33
	s_mov_b64 s[40:41], s[26:27]
	s_branch .LBB1723_272
.LBB1723_275:
	s_or_b64 exec, exec, s[36:37]
	v_cmp_gt_i64_e32 vcc, s[26:27], v[34:35]
	s_orn2_b64 s[18:19], vcc, exec
.LBB1723_276:
	s_or_b64 exec, exec, s[12:13]
.LBB1723_277:
	s_and_b64 s[12:13], s[18:19], exec
.LBB1723_278:
	s_or_b64 exec, exec, s[14:15]
	v_cmp_gt_u32_e32 vcc, s3, v39
	s_mov_b64 s[18:19], 0
	s_mov_b64 s[14:15], 0
	s_and_saveexec_b64 s[36:37], vcc
	s_cbranch_execz .LBB1723_289
; %bb.279:
	s_andn2_b64 vcc, exec, s[6:7]
	s_mov_b64 s[38:39], 0
	s_cbranch_vccnz .LBB1723_288
; %bb.280:
	v_mul_lo_u32 v32, v21, s26
	v_mul_lo_u32 v33, v20, s27
	v_mad_u64_u32 v[30:31], s[14:15], v20, s26, 0
	v_add3_u32 v31, v31, v33, v32
	v_mul_lo_u32 v32, v15, s26
	v_mul_lo_u32 v33, v14, s27
	v_mad_u64_u32 v[34:35], s[14:15], v14, s26, 0
	v_add3_u32 v35, v35, v33, v32
	v_lshl_add_u64 v[32:33], v[30:31], 3, s[28:29]
	v_lshl_add_u64 v[30:31], v[34:35], 3, s[28:29]
	global_load_dwordx2 v[34:35], v[32:33], off
	global_load_dwordx2 v[36:37], v[30:31], off
	s_mov_b64 s[38:39], -1
	s_waitcnt vmcnt(0)
	v_cmp_eq_u64_e32 vcc, v[34:35], v[36:37]
	s_and_saveexec_b64 s[14:15], vcc
	s_cbranch_execz .LBB1723_287
; %bb.281:
	s_add_u32 s38, s26, -1
	v_lshl_add_u64 v[30:31], v[30:31], 0, 8
	v_lshl_add_u64 v[32:33], v[32:33], 0, 8
	s_addc_u32 s39, s27, -1
	s_mov_b64 s[40:41], 0
	s_mov_b64 s[44:45], 0
                                        ; implicit-def: $sgpr42_sgpr43
	s_branch .LBB1723_284
.LBB1723_282:                           ;   in Loop: Header=BB1723_284 Depth=1
	global_load_dwordx2 v[34:35], v[32:33], off
	global_load_dwordx2 v[36:37], v[30:31], off
	s_add_u32 s44, s44, 1
	s_addc_u32 s45, s45, 0
	s_andn2_b64 s[42:43], s[42:43], exec
	v_lshl_add_u64 v[30:31], v[30:31], 0, 8
	v_lshl_add_u64 v[32:33], v[32:33], 0, 8
	s_waitcnt vmcnt(0)
	v_cmp_ne_u64_e32 vcc, v[34:35], v[36:37]
	s_and_b64 s[46:47], vcc, exec
	s_or_b64 s[42:43], s[42:43], s[46:47]
.LBB1723_283:                           ;   in Loop: Header=BB1723_284 Depth=1
	s_and_b64 s[46:47], exec, s[42:43]
	s_or_b64 s[40:41], s[46:47], s[40:41]
	v_mov_b64_e32 v[34:35], s[44:45]
	s_andn2_b64 exec, exec, s[40:41]
	s_cbranch_execz .LBB1723_286
.LBB1723_284:                           ; =>This Inner Loop Header: Depth=1
	s_or_b64 s[42:43], s[42:43], exec
	s_cmp_eq_u64 s[38:39], s[44:45]
	s_cbranch_scc0 .LBB1723_282
; %bb.285:                              ;   in Loop: Header=BB1723_284 Depth=1
                                        ; implicit-def: $vgpr30_vgpr31
                                        ; implicit-def: $vgpr32_vgpr33
	s_mov_b64 s[44:45], s[26:27]
	s_branch .LBB1723_283
.LBB1723_286:
	s_or_b64 exec, exec, s[40:41]
	v_cmp_gt_i64_e32 vcc, s[26:27], v[34:35]
	s_orn2_b64 s[38:39], vcc, exec
.LBB1723_287:
	s_or_b64 exec, exec, s[14:15]
.LBB1723_288:
	s_and_b64 s[14:15], s[38:39], exec
.LBB1723_289:
	s_or_b64 exec, exec, s[36:37]
	v_cmp_gt_u32_e32 vcc, s3, v42
	s_and_saveexec_b64 s[36:37], vcc
	s_cbranch_execz .LBB1723_300
; %bb.290:
	s_andn2_b64 vcc, exec, s[6:7]
	s_mov_b64 s[38:39], 0
	s_cbranch_vccnz .LBB1723_299
; %bb.291:
	v_mul_lo_u32 v32, v19, s26
	v_mul_lo_u32 v33, v18, s27
	v_mad_u64_u32 v[30:31], s[18:19], v18, s26, 0
	v_add3_u32 v31, v31, v33, v32
	v_mul_lo_u32 v32, v21, s26
	v_mul_lo_u32 v33, v20, s27
	v_mad_u64_u32 v[34:35], s[18:19], v20, s26, 0
	v_add3_u32 v35, v35, v33, v32
	v_lshl_add_u64 v[32:33], v[30:31], 3, s[28:29]
	v_lshl_add_u64 v[30:31], v[34:35], 3, s[28:29]
	global_load_dwordx2 v[34:35], v[32:33], off
	global_load_dwordx2 v[36:37], v[30:31], off
	s_mov_b64 s[38:39], -1
	s_waitcnt vmcnt(0)
	v_cmp_eq_u64_e32 vcc, v[34:35], v[36:37]
	s_and_saveexec_b64 s[18:19], vcc
	s_cbranch_execz .LBB1723_298
; %bb.292:
	s_add_u32 s38, s26, -1
	v_lshl_add_u64 v[30:31], v[30:31], 0, 8
	v_lshl_add_u64 v[32:33], v[32:33], 0, 8
	s_addc_u32 s39, s27, -1
	s_mov_b64 s[40:41], 0
	s_mov_b64 s[44:45], 0
                                        ; implicit-def: $sgpr42_sgpr43
	s_branch .LBB1723_295
.LBB1723_293:                           ;   in Loop: Header=BB1723_295 Depth=1
	global_load_dwordx2 v[34:35], v[32:33], off
	global_load_dwordx2 v[36:37], v[30:31], off
	s_add_u32 s44, s44, 1
	s_addc_u32 s45, s45, 0
	s_andn2_b64 s[42:43], s[42:43], exec
	v_lshl_add_u64 v[30:31], v[30:31], 0, 8
	v_lshl_add_u64 v[32:33], v[32:33], 0, 8
	s_waitcnt vmcnt(0)
	v_cmp_ne_u64_e32 vcc, v[34:35], v[36:37]
	s_and_b64 s[46:47], vcc, exec
	s_or_b64 s[42:43], s[42:43], s[46:47]
.LBB1723_294:                           ;   in Loop: Header=BB1723_295 Depth=1
	s_and_b64 s[46:47], exec, s[42:43]
	s_or_b64 s[40:41], s[46:47], s[40:41]
	v_mov_b64_e32 v[34:35], s[44:45]
	s_andn2_b64 exec, exec, s[40:41]
	s_cbranch_execz .LBB1723_297
.LBB1723_295:                           ; =>This Inner Loop Header: Depth=1
	s_or_b64 s[42:43], s[42:43], exec
	s_cmp_eq_u64 s[38:39], s[44:45]
	s_cbranch_scc0 .LBB1723_293
; %bb.296:                              ;   in Loop: Header=BB1723_295 Depth=1
                                        ; implicit-def: $vgpr30_vgpr31
                                        ; implicit-def: $vgpr32_vgpr33
	s_mov_b64 s[44:45], s[26:27]
	s_branch .LBB1723_294
.LBB1723_297:
	s_or_b64 exec, exec, s[40:41]
	v_cmp_gt_i64_e32 vcc, s[26:27], v[34:35]
	s_orn2_b64 s[38:39], vcc, exec
.LBB1723_298:
	s_or_b64 exec, exec, s[18:19]
.LBB1723_299:
	s_and_b64 s[18:19], s[38:39], exec
.LBB1723_300:
	s_or_b64 exec, exec, s[36:37]
	v_cmp_gt_u32_e32 vcc, s3, v38
	s_mov_b64 s[36:37], 0
	s_mov_b64 s[38:39], 0
	s_and_saveexec_b64 s[40:41], vcc
	s_cbranch_execz .LBB1723_311
; %bb.301:
	s_andn2_b64 vcc, exec, s[6:7]
	s_mov_b64 s[42:43], 0
	s_cbranch_vccnz .LBB1723_310
; %bb.302:
	v_mul_lo_u32 v32, v25, s26
	v_mul_lo_u32 v33, v24, s27
	v_mad_u64_u32 v[30:31], s[38:39], v24, s26, 0
	v_add3_u32 v31, v31, v33, v32
	v_mul_lo_u32 v32, v19, s26
	v_mul_lo_u32 v33, v18, s27
	v_mad_u64_u32 v[34:35], s[38:39], v18, s26, 0
	v_add3_u32 v35, v35, v33, v32
	v_lshl_add_u64 v[32:33], v[30:31], 3, s[28:29]
	v_lshl_add_u64 v[30:31], v[34:35], 3, s[28:29]
	global_load_dwordx2 v[34:35], v[32:33], off
	global_load_dwordx2 v[36:37], v[30:31], off
	s_mov_b64 s[42:43], -1
	s_waitcnt vmcnt(0)
	v_cmp_eq_u64_e32 vcc, v[34:35], v[36:37]
	s_and_saveexec_b64 s[38:39], vcc
	s_cbranch_execz .LBB1723_309
; %bb.303:
	s_add_u32 s42, s26, -1
	v_lshl_add_u64 v[30:31], v[30:31], 0, 8
	v_lshl_add_u64 v[32:33], v[32:33], 0, 8
	s_addc_u32 s43, s27, -1
	s_mov_b64 s[44:45], 0
	s_mov_b64 s[48:49], 0
                                        ; implicit-def: $sgpr46_sgpr47
	s_branch .LBB1723_306
.LBB1723_304:                           ;   in Loop: Header=BB1723_306 Depth=1
	global_load_dwordx2 v[34:35], v[32:33], off
	global_load_dwordx2 v[36:37], v[30:31], off
	s_add_u32 s48, s48, 1
	s_addc_u32 s49, s49, 0
	s_andn2_b64 s[46:47], s[46:47], exec
	v_lshl_add_u64 v[30:31], v[30:31], 0, 8
	v_lshl_add_u64 v[32:33], v[32:33], 0, 8
	s_waitcnt vmcnt(0)
	v_cmp_ne_u64_e32 vcc, v[34:35], v[36:37]
	s_and_b64 s[50:51], vcc, exec
	s_or_b64 s[46:47], s[46:47], s[50:51]
.LBB1723_305:                           ;   in Loop: Header=BB1723_306 Depth=1
	s_and_b64 s[50:51], exec, s[46:47]
	s_or_b64 s[44:45], s[50:51], s[44:45]
	v_mov_b64_e32 v[34:35], s[48:49]
	s_andn2_b64 exec, exec, s[44:45]
	s_cbranch_execz .LBB1723_308
.LBB1723_306:                           ; =>This Inner Loop Header: Depth=1
	s_or_b64 s[46:47], s[46:47], exec
	s_cmp_eq_u64 s[42:43], s[48:49]
	s_cbranch_scc0 .LBB1723_304
; %bb.307:                              ;   in Loop: Header=BB1723_306 Depth=1
                                        ; implicit-def: $vgpr30_vgpr31
                                        ; implicit-def: $vgpr32_vgpr33
	s_mov_b64 s[48:49], s[26:27]
	s_branch .LBB1723_305
.LBB1723_308:
	s_or_b64 exec, exec, s[44:45]
	v_cmp_gt_i64_e32 vcc, s[26:27], v[34:35]
	s_orn2_b64 s[42:43], vcc, exec
.LBB1723_309:
	s_or_b64 exec, exec, s[38:39]
.LBB1723_310:
	s_and_b64 s[38:39], s[42:43], exec
.LBB1723_311:
	s_or_b64 exec, exec, s[40:41]
	v_cmp_gt_u32_e32 vcc, s3, v41
	s_and_saveexec_b64 s[40:41], vcc
	s_cbranch_execz .LBB1723_322
; %bb.312:
	s_andn2_b64 vcc, exec, s[6:7]
	s_mov_b64 s[42:43], 0
	s_cbranch_vccnz .LBB1723_321
; %bb.313:
	v_mul_lo_u32 v32, v23, s26
	v_mul_lo_u32 v33, v22, s27
	v_mad_u64_u32 v[30:31], s[36:37], v22, s26, 0
	v_add3_u32 v31, v31, v33, v32
	v_mul_lo_u32 v32, v25, s26
	v_mul_lo_u32 v33, v24, s27
	v_mad_u64_u32 v[34:35], s[36:37], v24, s26, 0
	v_add3_u32 v35, v35, v33, v32
	v_lshl_add_u64 v[32:33], v[30:31], 3, s[28:29]
	v_lshl_add_u64 v[30:31], v[34:35], 3, s[28:29]
	global_load_dwordx2 v[34:35], v[32:33], off
	global_load_dwordx2 v[36:37], v[30:31], off
	s_mov_b64 s[42:43], -1
	s_waitcnt vmcnt(0)
	v_cmp_eq_u64_e32 vcc, v[34:35], v[36:37]
	s_and_saveexec_b64 s[36:37], vcc
	s_cbranch_execz .LBB1723_320
; %bb.314:
	s_add_u32 s42, s26, -1
	v_lshl_add_u64 v[30:31], v[30:31], 0, 8
	v_lshl_add_u64 v[32:33], v[32:33], 0, 8
	s_addc_u32 s43, s27, -1
	s_mov_b64 s[44:45], 0
	s_mov_b64 s[48:49], 0
                                        ; implicit-def: $sgpr46_sgpr47
	s_branch .LBB1723_317
.LBB1723_315:                           ;   in Loop: Header=BB1723_317 Depth=1
	global_load_dwordx2 v[34:35], v[32:33], off
	global_load_dwordx2 v[36:37], v[30:31], off
	s_add_u32 s48, s48, 1
	s_addc_u32 s49, s49, 0
	s_andn2_b64 s[46:47], s[46:47], exec
	v_lshl_add_u64 v[30:31], v[30:31], 0, 8
	v_lshl_add_u64 v[32:33], v[32:33], 0, 8
	s_waitcnt vmcnt(0)
	v_cmp_ne_u64_e32 vcc, v[34:35], v[36:37]
	s_and_b64 s[50:51], vcc, exec
	s_or_b64 s[46:47], s[46:47], s[50:51]
.LBB1723_316:                           ;   in Loop: Header=BB1723_317 Depth=1
	s_and_b64 s[50:51], exec, s[46:47]
	s_or_b64 s[44:45], s[50:51], s[44:45]
	v_mov_b64_e32 v[34:35], s[48:49]
	s_andn2_b64 exec, exec, s[44:45]
	s_cbranch_execz .LBB1723_319
.LBB1723_317:                           ; =>This Inner Loop Header: Depth=1
	s_or_b64 s[46:47], s[46:47], exec
	s_cmp_eq_u64 s[42:43], s[48:49]
	s_cbranch_scc0 .LBB1723_315
; %bb.318:                              ;   in Loop: Header=BB1723_317 Depth=1
                                        ; implicit-def: $vgpr30_vgpr31
                                        ; implicit-def: $vgpr32_vgpr33
	s_mov_b64 s[48:49], s[26:27]
	s_branch .LBB1723_316
.LBB1723_319:
	s_or_b64 exec, exec, s[44:45]
	v_cmp_gt_i64_e32 vcc, s[26:27], v[34:35]
	s_orn2_b64 s[42:43], vcc, exec
.LBB1723_320:
	s_or_b64 exec, exec, s[36:37]
.LBB1723_321:
	s_and_b64 s[36:37], s[42:43], exec
.LBB1723_322:
	s_or_b64 exec, exec, s[40:41]
	v_cndmask_b32_e64 v31, 0, 1, s[18:19]
	v_cndmask_b32_e64 v30, 0, 1, s[38:39]
	;; [unrolled: 1-line block ×3, first 2 shown]
	v_lshlrev_b16_e32 v31, 8, v31
	v_cndmask_b32_e64 v46, 0, 1, s[14:15]
	v_cndmask_b32_e64 v32, 0, 1, s[36:37]
	v_or_b32_sdwa v30, v30, v31 dst_sel:WORD_1 dst_unused:UNUSED_PAD src0_sel:DWORD src1_sel:DWORD
	v_lshlrev_b16_e32 v31, 8, v47
	v_lshlrev_b16_e32 v32, 8, v32
	v_or_b32_e32 v31, v46, v31
	v_or_b32_e32 v32, 1, v32
	v_and_b32_e32 v31, 0xffff, v31
	v_cndmask_b32_e64 v48, 0, 1, s[4:5]
	v_or_b32_sdwa v30, v32, v30 dst_sel:DWORD dst_unused:UNUSED_PAD src0_sel:WORD_0 src1_sel:DWORD
	v_lshl_or_b32 v31, v48, 16, v31
	v_cmp_ne_u32_e32 vcc, 0, v0
	s_waitcnt lgkmcnt(0)
	s_barrier
	s_waitcnt lgkmcnt(0)
                                        ; implicit-def: $sgpr18_sgpr19
                                        ; implicit-def: $vgpr34
	s_and_saveexec_b64 s[4:5], vcc
	s_cbranch_execz .LBB1723_335
; %bb.323:
	v_cmp_gt_u32_e32 vcc, s3, v1
	s_mov_b32 s33, 0x3020104
	s_mov_b64 s[14:15], 0
	s_and_saveexec_b64 s[12:13], vcc
	s_cbranch_execz .LBB1723_334
; %bb.324:
	s_andn2_b64 vcc, exec, s[6:7]
	s_cbranch_vccnz .LBB1723_333
; %bb.325:
	v_add_u32_e32 v31, -8, v44
	ds_read_b64 v[32:33], v31
	v_mul_lo_u32 v31, v23, s26
	v_mad_u64_u32 v[36:37], s[6:7], v22, s26, 0
	s_mov_b64 s[14:15], -1
	s_waitcnt lgkmcnt(0)
	v_mul_lo_u32 v34, v33, s26
	v_mul_lo_u32 v35, v32, s27
	v_mad_u64_u32 v[32:33], s[6:7], v32, s26, 0
	v_add3_u32 v33, v33, v35, v34
	v_mul_lo_u32 v34, v22, s27
	v_add3_u32 v37, v37, v34, v31
	v_lshl_add_u64 v[34:35], v[32:33], 3, s[28:29]
	v_lshl_add_u64 v[32:33], v[36:37], 3, s[28:29]
	global_load_dwordx2 v[36:37], v[34:35], off
	global_load_dwordx2 v[44:45], v[32:33], off
	s_waitcnt vmcnt(0)
	v_cmp_eq_u64_e32 vcc, v[36:37], v[44:45]
	s_and_saveexec_b64 s[6:7], vcc
	s_cbranch_execz .LBB1723_332
; %bb.326:
	s_add_u32 s14, s26, -1
	v_lshl_add_u64 v[32:33], v[32:33], 0, 8
	v_lshl_add_u64 v[34:35], v[34:35], 0, 8
	s_addc_u32 s15, s27, -1
	s_mov_b64 s[18:19], 0
	s_mov_b64 s[36:37], 0
                                        ; implicit-def: $sgpr28_sgpr29
	s_branch .LBB1723_329
.LBB1723_327:                           ;   in Loop: Header=BB1723_329 Depth=1
	global_load_dwordx2 v[36:37], v[34:35], off
	global_load_dwordx2 v[44:45], v[32:33], off
	s_add_u32 s36, s36, 1
	s_addc_u32 s37, s37, 0
	s_andn2_b64 s[28:29], s[28:29], exec
	v_lshl_add_u64 v[32:33], v[32:33], 0, 8
	v_lshl_add_u64 v[34:35], v[34:35], 0, 8
	s_waitcnt vmcnt(0)
	v_cmp_ne_u64_e32 vcc, v[36:37], v[44:45]
	s_and_b64 s[38:39], vcc, exec
	s_or_b64 s[28:29], s[28:29], s[38:39]
.LBB1723_328:                           ;   in Loop: Header=BB1723_329 Depth=1
	s_and_b64 s[38:39], exec, s[28:29]
	s_or_b64 s[18:19], s[38:39], s[18:19]
	v_mov_b64_e32 v[36:37], s[36:37]
	s_andn2_b64 exec, exec, s[18:19]
	s_cbranch_execz .LBB1723_331
.LBB1723_329:                           ; =>This Inner Loop Header: Depth=1
	s_or_b64 s[28:29], s[28:29], exec
	s_cmp_eq_u64 s[14:15], s[36:37]
	s_cbranch_scc0 .LBB1723_327
; %bb.330:                              ;   in Loop: Header=BB1723_329 Depth=1
                                        ; implicit-def: $vgpr32_vgpr33
                                        ; implicit-def: $vgpr34_vgpr35
	s_mov_b64 s[36:37], s[26:27]
	s_branch .LBB1723_328
.LBB1723_331:
	s_or_b64 exec, exec, s[18:19]
	v_cmp_gt_i64_e32 vcc, s[26:27], v[36:37]
	s_orn2_b64 s[14:15], vcc, exec
.LBB1723_332:
	s_or_b64 exec, exec, s[6:7]
.LBB1723_333:
	s_and_b64 s[14:15], s[14:15], exec
.LBB1723_334:
	s_or_b64 exec, exec, s[12:13]
	v_perm_b32 v34, v30, v30, s33
	s_and_b64 s[18:19], s[14:15], exec
	s_or_b64 s[10:11], s[10:11], exec
                                        ; implicit-def: $vgpr30_vgpr31
.LBB1723_335:
	s_or_b64 exec, exec, s[4:5]
.LBB1723_336:
	s_and_saveexec_b64 s[4:5], s[10:11]
	s_cbranch_execz .LBB1723_338
; %bb.337:
	s_waitcnt lgkmcnt(0)
	v_lshlrev_b16_e32 v31, 8, v47
	v_and_b32_e32 v32, 0xff, v48
	v_or_b32_sdwa v31, v46, v31 dst_sel:DWORD dst_unused:UNUSED_PAD src0_sel:BYTE_0 src1_sel:DWORD
	v_lshlrev_b32_e32 v32, 16, v32
	s_movk_i32 s6, 0xff
	v_or_b32_sdwa v31, v31, v32 dst_sel:DWORD dst_unused:UNUSED_PAD src0_sel:WORD_0 src1_sel:DWORD
	v_lshrrev_b32_e32 v32, 24, v34
	v_lshlrev_b16_e32 v32, 8, v32
	v_and_b32_sdwa v33, v34, s6 dst_sel:DWORD dst_unused:UNUSED_PAD src0_sel:WORD_1 src1_sel:DWORD
	v_or_b32_sdwa v32, v33, v32 dst_sel:WORD_1 dst_unused:UNUSED_PAD src0_sel:DWORD src1_sel:DWORD
	v_mov_b32_e32 v33, 8
	v_cndmask_b32_e64 v30, 0, 1, s[18:19]
	v_lshrrev_b32_sdwa v33, v33, v34 dst_sel:BYTE_1 dst_unused:UNUSED_PAD src0_sel:DWORD src1_sel:DWORD
	s_nop 0
	v_or_b32_e32 v30, v30, v33
	v_or_b32_sdwa v30, v30, v32 dst_sel:DWORD dst_unused:UNUSED_PAD src0_sel:WORD_0 src1_sel:DWORD
.LBB1723_338:
	s_or_b64 exec, exec, s[4:5]
	s_andn2_b64 vcc, exec, s[8:9]
	s_cbranch_vccnz .LBB1723_340
; %bb.339:
	s_waitcnt lgkmcnt(0)
	v_and_b32_e32 v32, 0xffff0000, v30
	v_cmp_gt_u32_e32 vcc, s3, v1
	s_mov_b32 s4, 0x40c0100
	s_nop 0
	v_cndmask_b32_e32 v1, v32, v30, vcc
	v_and_b32_e32 v1, 0xffff00ff, v1
	v_cmp_gt_u32_e32 vcc, s3, v41
	s_nop 1
	v_cndmask_b32_e32 v1, v1, v30, vcc
	v_lshrrev_b32_e32 v32, 24, v1
	v_perm_b32 v1, v32, v1, s4
	v_cmp_gt_u32_e32 vcc, s3, v38
	v_and_b32_e32 v32, 0xffffff00, v31
	s_nop 0
	v_cndmask_b32_e32 v1, v1, v30, vcc
	v_and_b32_e32 v1, 0xffffff, v1
	v_cmp_gt_u32_e32 vcc, s3, v42
	s_nop 1
	v_cndmask_b32_e32 v1, v1, v30, vcc
	v_cmp_gt_u32_e32 vcc, s3, v39
	s_nop 1
	v_cndmask_b32_e32 v32, v32, v31, vcc
	v_and_b32_e32 v32, 0xffff00ff, v32
	v_cndmask_b32_e32 v1, v1, v30, vcc
	v_cmp_gt_u32_e32 vcc, s3, v43
	s_nop 1
	v_cndmask_b32_e32 v32, v32, v31, vcc
	v_lshrrev_b32_e32 v33, 24, v32
	v_cndmask_b32_e32 v1, v1, v30, vcc
	v_perm_b32 v32, v33, v32, s4
	v_cmp_gt_u32_e32 vcc, s3, v40
	s_mov_b32 s3, 0x3020104
	s_nop 0
	v_cndmask_b32_e32 v1, v1, v30, vcc
	v_cndmask_b32_e32 v30, v32, v31, vcc
	v_mov_b32_e32 v31, 8
	v_lshrrev_b32_sdwa v31, v31, v30 dst_sel:BYTE_1 dst_unused:UNUSED_PAD src0_sel:DWORD src1_sel:DWORD
	s_nop 0
	v_or_b32_sdwa v31, v30, v31 dst_sel:DWORD dst_unused:UNUSED_PAD src0_sel:BYTE_0 src1_sel:DWORD
	v_and_b32_e32 v31, 0xffff, v31
	v_bfe_u32 v30, v30, 16, 8
	v_lshl_or_b32 v31, v30, 16, v31
	v_perm_b32 v30, v1, v1, s3
.LBB1723_340:
	s_waitcnt lgkmcnt(0)
	v_and_b32_e32 v1, 0xff, v30
	v_bfe_u32 v43, v30, 8, 8
	v_bfe_u32 v45, v30, 16, 8
	v_alignbit_b32 v32, v31, v30, 24
	v_and_b32_e32 v47, 0xff, v32
	v_and_b32_e32 v48, 0xff, v31
	v_add3_u32 v33, v43, v1, v45
	v_bfe_u32 v49, v31, 8, 8
	v_bfe_u32 v32, v31, 16, 8
	v_add3_u32 v33, v33, v47, v48
	v_add3_u32 v52, v33, v49, v32
	v_mbcnt_lo_u32_b32 v32, -1, 0
	v_mbcnt_hi_u32_b32 v50, -1, v32
	v_and_b32_e32 v32, 15, v50
	v_cmp_eq_u32_e64 s[14:15], 0, v32
	v_cmp_lt_u32_e64 s[12:13], 1, v32
	v_cmp_lt_u32_e64 s[10:11], 3, v32
	;; [unrolled: 1-line block ×3, first 2 shown]
	v_and_b32_e32 v32, 16, v50
	v_cmp_eq_u32_e64 s[6:7], 0, v32
	v_or_b32_e32 v32, 63, v0
	v_cmp_lt_u32_e64 s[18:19], 31, v50
	v_lshrrev_b32_e32 v51, 6, v0
	v_cmp_eq_u32_e64 s[4:5], v32, v0
	s_and_b64 vcc, exec, s[16:17]
	s_barrier
	s_cbranch_vccz .LBB1723_371
; %bb.341:
	v_mov_b32_dpp v32, v52 row_shr:1 row_mask:0xf bank_mask:0xf
	v_cndmask_b32_e64 v32, v32, 0, s[14:15]
	v_add_u32_e32 v32, v32, v52
	s_nop 1
	v_mov_b32_dpp v33, v32 row_shr:2 row_mask:0xf bank_mask:0xf
	v_cndmask_b32_e64 v33, 0, v33, s[12:13]
	v_add_u32_e32 v32, v32, v33
	s_nop 1
	v_mov_b32_dpp v33, v32 row_shr:4 row_mask:0xf bank_mask:0xf
	v_cndmask_b32_e64 v33, 0, v33, s[10:11]
	v_add_u32_e32 v32, v32, v33
	s_nop 1
	v_mov_b32_dpp v33, v32 row_shr:8 row_mask:0xf bank_mask:0xf
	v_cndmask_b32_e64 v33, 0, v33, s[8:9]
	v_add_u32_e32 v32, v32, v33
	s_nop 1
	v_mov_b32_dpp v33, v32 row_bcast:15 row_mask:0xf bank_mask:0xf
	v_cndmask_b32_e64 v33, v33, 0, s[6:7]
	v_add_u32_e32 v32, v32, v33
	s_nop 1
	v_mov_b32_dpp v33, v32 row_bcast:31 row_mask:0xf bank_mask:0xf
	v_cndmask_b32_e64 v33, 0, v33, s[18:19]
	v_add_u32_e32 v32, v32, v33
	s_and_saveexec_b64 s[16:17], s[4:5]
	s_cbranch_execz .LBB1723_343
; %bb.342:
	v_lshlrev_b32_e32 v33, 2, v51
	ds_write_b32 v33, v32
.LBB1723_343:
	s_or_b64 exec, exec, s[16:17]
	v_cmp_gt_u32_e32 vcc, 8, v0
	s_waitcnt lgkmcnt(0)
	s_barrier
	s_and_saveexec_b64 s[16:17], vcc
	s_cbranch_execz .LBB1723_345
; %bb.344:
	v_lshlrev_b32_e32 v33, 2, v0
	ds_read_b32 v34, v33
	v_and_b32_e32 v35, 7, v50
	v_cmp_ne_u32_e32 vcc, 0, v35
	s_waitcnt lgkmcnt(0)
	v_mov_b32_dpp v36, v34 row_shr:1 row_mask:0xf bank_mask:0xf
	v_cndmask_b32_e32 v36, 0, v36, vcc
	v_add_u32_e32 v34, v36, v34
	v_cmp_lt_u32_e32 vcc, 1, v35
	s_nop 0
	v_mov_b32_dpp v36, v34 row_shr:2 row_mask:0xf bank_mask:0xf
	v_cndmask_b32_e32 v36, 0, v36, vcc
	v_add_u32_e32 v34, v34, v36
	v_cmp_lt_u32_e32 vcc, 3, v35
	s_nop 0
	v_mov_b32_dpp v36, v34 row_shr:4 row_mask:0xf bank_mask:0xf
	v_cndmask_b32_e32 v35, 0, v36, vcc
	v_add_u32_e32 v34, v34, v35
	ds_write_b32 v33, v34
.LBB1723_345:
	s_or_b64 exec, exec, s[16:17]
	v_cmp_gt_u32_e32 vcc, 64, v0
	v_cmp_lt_u32_e64 s[16:17], 63, v0
	s_waitcnt lgkmcnt(0)
	s_barrier
	s_waitcnt lgkmcnt(0)
                                        ; implicit-def: $vgpr42
	s_and_saveexec_b64 s[26:27], s[16:17]
	s_cbranch_execz .LBB1723_347
; %bb.346:
	v_lshl_add_u32 v33, v51, 2, -4
	ds_read_b32 v42, v33
	s_waitcnt lgkmcnt(0)
	v_add_u32_e32 v32, v42, v32
.LBB1723_347:
	s_or_b64 exec, exec, s[26:27]
	v_add_u32_e32 v33, -1, v50
	v_and_b32_e32 v34, 64, v50
	v_cmp_lt_i32_e64 s[16:17], v33, v34
	s_nop 1
	v_cndmask_b32_e64 v33, v33, v50, s[16:17]
	v_lshlrev_b32_e32 v33, 2, v33
	ds_bpermute_b32 v44, v33, v32
	v_cmp_eq_u32_e64 s[16:17], 0, v50
	s_and_saveexec_b64 s[26:27], vcc
	s_cbranch_execz .LBB1723_370
; %bb.348:
	v_mov_b32_e32 v41, 0
	ds_read_b32 v32, v41 offset:28
	s_and_saveexec_b64 s[28:29], s[16:17]
	s_cbranch_execz .LBB1723_350
; %bb.349:
	s_add_i32 s36, s2, 64
	s_mov_b32 s37, 0
	s_lshl_b64 s[36:37], s[36:37], 3
	s_add_u32 s36, s30, s36
	v_mov_b32_e32 v33, 1
	s_addc_u32 s37, s31, s37
	s_waitcnt lgkmcnt(0)
	global_store_dwordx2 v41, v[32:33], s[36:37] sc1
.LBB1723_350:
	s_or_b64 exec, exec, s[28:29]
	v_xad_u32 v34, v50, -1, s2
	v_add_u32_e32 v40, 64, v34
	v_lshl_add_u64 v[36:37], v[40:41], 3, s[30:31]
	global_load_dwordx2 v[38:39], v[36:37], off sc1
	s_waitcnt vmcnt(0)
	v_cmp_eq_u16_sdwa s[36:37], v39, v41 src0_sel:BYTE_0 src1_sel:DWORD
	s_and_saveexec_b64 s[28:29], s[36:37]
	s_cbranch_execz .LBB1723_356
; %bb.351:
	s_mov_b32 s3, 1
	s_mov_b64 s[36:37], 0
	v_mov_b32_e32 v33, 0
.LBB1723_352:                           ; =>This Loop Header: Depth=1
                                        ;     Child Loop BB1723_353 Depth 2
	s_max_u32 s33, s3, 1
.LBB1723_353:                           ;   Parent Loop BB1723_352 Depth=1
                                        ; =>  This Inner Loop Header: Depth=2
	s_add_i32 s33, s33, -1
	s_cmp_eq_u32 s33, 0
	s_sleep 1
	s_cbranch_scc0 .LBB1723_353
; %bb.354:                              ;   in Loop: Header=BB1723_352 Depth=1
	global_load_dwordx2 v[38:39], v[36:37], off sc1
	s_cmp_lt_u32 s3, 32
	s_cselect_b64 s[38:39], -1, 0
	s_cmp_lg_u64 s[38:39], 0
	s_addc_u32 s3, s3, 0
	s_waitcnt vmcnt(0)
	v_cmp_ne_u16_sdwa s[38:39], v39, v33 src0_sel:BYTE_0 src1_sel:DWORD
	s_or_b64 s[36:37], s[38:39], s[36:37]
	s_andn2_b64 exec, exec, s[36:37]
	s_cbranch_execnz .LBB1723_352
; %bb.355:
	s_or_b64 exec, exec, s[36:37]
.LBB1723_356:
	s_or_b64 exec, exec, s[28:29]
	v_and_b32_e32 v46, 63, v50
	v_mov_b32_e32 v33, 2
	v_cmp_ne_u32_e32 vcc, 63, v46
	v_cmp_eq_u16_sdwa s[28:29], v39, v33 src0_sel:BYTE_0 src1_sel:DWORD
	v_lshlrev_b64 v[36:37], v50, -1
	v_addc_co_u32_e32 v41, vcc, 0, v50, vcc
	v_and_b32_e32 v35, s29, v37
	v_lshlrev_b32_e32 v53, 2, v41
	v_or_b32_e32 v35, 0x80000000, v35
	ds_bpermute_b32 v41, v53, v38
	v_and_b32_e32 v40, s28, v36
	v_ffbl_b32_e32 v35, v35
	v_add_u32_e32 v35, 32, v35
	v_ffbl_b32_e32 v40, v40
	v_min_u32_e32 v35, v40, v35
	v_cmp_lt_u32_e32 vcc, v46, v35
	v_add_u32_e32 v55, 2, v46
	v_add_u32_e32 v57, 4, v46
	s_waitcnt lgkmcnt(0)
	v_cndmask_b32_e32 v40, 0, v41, vcc
	v_cmp_gt_u32_e32 vcc, 62, v46
	v_add_u32_e32 v38, v40, v38
	v_add_u32_e32 v59, 8, v46
	v_cndmask_b32_e64 v40, 0, 1, vcc
	v_lshlrev_b32_e32 v40, 1, v40
	v_add_lshl_u32 v54, v40, v50, 2
	ds_bpermute_b32 v40, v54, v38
	v_cmp_le_u32_e32 vcc, v55, v35
	v_add_u32_e32 v62, 16, v46
	v_add_u32_e32 v64, 32, v46
	s_waitcnt lgkmcnt(0)
	v_cndmask_b32_e32 v40, 0, v40, vcc
	v_cmp_gt_u32_e32 vcc, 60, v46
	v_add_u32_e32 v38, v38, v40
	s_nop 0
	v_cndmask_b32_e64 v40, 0, 1, vcc
	v_lshlrev_b32_e32 v40, 2, v40
	v_add_lshl_u32 v56, v40, v50, 2
	ds_bpermute_b32 v40, v56, v38
	v_cmp_le_u32_e32 vcc, v57, v35
	s_waitcnt lgkmcnt(0)
	s_nop 0
	v_cndmask_b32_e32 v40, 0, v40, vcc
	v_cmp_gt_u32_e32 vcc, 56, v46
	v_add_u32_e32 v38, v38, v40
	s_nop 0
	v_cndmask_b32_e64 v40, 0, 1, vcc
	v_lshlrev_b32_e32 v40, 3, v40
	v_add_lshl_u32 v58, v40, v50, 2
	ds_bpermute_b32 v40, v58, v38
	v_cmp_le_u32_e32 vcc, v59, v35
	s_waitcnt lgkmcnt(0)
	s_nop 0
	;; [unrolled: 11-line block ×4, first 2 shown]
	v_cndmask_b32_e32 v35, 0, v40, vcc
	v_add_u32_e32 v38, v38, v35
	v_mov_b32_e32 v35, 0
	s_branch .LBB1723_358
.LBB1723_357:                           ;   in Loop: Header=BB1723_358 Depth=1
	s_or_b64 exec, exec, s[28:29]
	v_cmp_eq_u16_sdwa s[28:29], v39, v33 src0_sel:BYTE_0 src1_sel:DWORD
	ds_bpermute_b32 v65, v53, v38
	v_subrev_u32_e32 v34, 64, v34
	v_and_b32_e32 v40, s29, v37
	v_or_b32_e32 v40, 0x80000000, v40
	v_and_b32_e32 v41, s28, v36
	v_ffbl_b32_e32 v40, v40
	v_add_u32_e32 v40, 32, v40
	v_ffbl_b32_e32 v41, v41
	v_min_u32_e32 v40, v41, v40
	v_cmp_lt_u32_e32 vcc, v46, v40
	s_waitcnt lgkmcnt(0)
	s_nop 0
	v_cndmask_b32_e32 v41, 0, v65, vcc
	v_add_u32_e32 v38, v41, v38
	ds_bpermute_b32 v41, v54, v38
	v_cmp_le_u32_e32 vcc, v55, v40
	s_waitcnt lgkmcnt(0)
	s_nop 0
	v_cndmask_b32_e32 v41, 0, v41, vcc
	v_add_u32_e32 v38, v38, v41
	ds_bpermute_b32 v41, v56, v38
	v_cmp_le_u32_e32 vcc, v57, v40
	;; [unrolled: 6-line block ×5, first 2 shown]
	s_waitcnt lgkmcnt(0)
	s_nop 0
	v_cndmask_b32_e32 v40, 0, v41, vcc
	v_add3_u32 v38, v40, v60, v38
.LBB1723_358:                           ; =>This Loop Header: Depth=1
                                        ;     Child Loop BB1723_361 Depth 2
                                        ;       Child Loop BB1723_362 Depth 3
	v_cmp_ne_u16_sdwa s[28:29], v39, v33 src0_sel:BYTE_0 src1_sel:DWORD
	v_mov_b32_e32 v60, v38
	s_nop 0
	v_cndmask_b32_e64 v39, 0, 1, s[28:29]
	;;#ASMSTART
	;;#ASMEND
	s_nop 0
	v_cmp_ne_u32_e32 vcc, 0, v39
	s_cmp_lg_u64 vcc, exec
	s_cbranch_scc1 .LBB1723_365
; %bb.359:                              ;   in Loop: Header=BB1723_358 Depth=1
	v_lshl_add_u64 v[40:41], v[34:35], 3, s[30:31]
	global_load_dwordx2 v[38:39], v[40:41], off sc1
	s_waitcnt vmcnt(0)
	v_cmp_eq_u16_sdwa s[36:37], v39, v35 src0_sel:BYTE_0 src1_sel:DWORD
	s_and_saveexec_b64 s[28:29], s[36:37]
	s_cbranch_execz .LBB1723_357
; %bb.360:                              ;   in Loop: Header=BB1723_358 Depth=1
	s_mov_b32 s3, 1
	s_mov_b64 s[36:37], 0
.LBB1723_361:                           ;   Parent Loop BB1723_358 Depth=1
                                        ; =>  This Loop Header: Depth=2
                                        ;       Child Loop BB1723_362 Depth 3
	s_max_u32 s33, s3, 1
.LBB1723_362:                           ;   Parent Loop BB1723_358 Depth=1
                                        ;     Parent Loop BB1723_361 Depth=2
                                        ; =>    This Inner Loop Header: Depth=3
	s_add_i32 s33, s33, -1
	s_cmp_eq_u32 s33, 0
	s_sleep 1
	s_cbranch_scc0 .LBB1723_362
; %bb.363:                              ;   in Loop: Header=BB1723_361 Depth=2
	global_load_dwordx2 v[38:39], v[40:41], off sc1
	s_cmp_lt_u32 s3, 32
	s_cselect_b64 s[38:39], -1, 0
	s_cmp_lg_u64 s[38:39], 0
	s_addc_u32 s3, s3, 0
	s_waitcnt vmcnt(0)
	v_cmp_ne_u16_sdwa s[38:39], v39, v35 src0_sel:BYTE_0 src1_sel:DWORD
	s_or_b64 s[36:37], s[38:39], s[36:37]
	s_andn2_b64 exec, exec, s[36:37]
	s_cbranch_execnz .LBB1723_361
; %bb.364:                              ;   in Loop: Header=BB1723_358 Depth=1
	s_or_b64 exec, exec, s[36:37]
	s_branch .LBB1723_357
.LBB1723_365:                           ;   in Loop: Header=BB1723_358 Depth=1
                                        ; implicit-def: $vgpr38
                                        ; implicit-def: $vgpr39
	s_cbranch_execz .LBB1723_358
; %bb.366:
	s_and_saveexec_b64 s[28:29], s[16:17]
	s_cbranch_execz .LBB1723_368
; %bb.367:
	s_add_i32 s2, s2, 64
	s_mov_b32 s3, 0
	s_lshl_b64 s[2:3], s[2:3], 3
	s_add_u32 s2, s30, s2
	v_add_u32_e32 v34, v60, v32
	v_mov_b32_e32 v35, 2
	s_addc_u32 s3, s31, s3
	v_mov_b32_e32 v33, 0
	global_store_dwordx2 v33, v[34:35], s[2:3] sc1
	s_movk_i32 s2, 0x7000
	v_add_u32_e64 v33, s2, 0
	ds_write2_b32 v33, v32, v60 offset1:2
.LBB1723_368:
	s_or_b64 exec, exec, s[28:29]
	v_cmp_eq_u32_e32 vcc, 0, v0
	s_and_b64 exec, exec, vcc
	s_cbranch_execz .LBB1723_370
; %bb.369:
	v_mov_b32_e32 v32, 0
	ds_write_b32 v32, v60 offset:28
.LBB1723_370:
	s_or_b64 exec, exec, s[26:27]
	v_mov_b32_e32 v32, 0
	s_waitcnt lgkmcnt(0)
	s_barrier
	ds_read_b32 v32, v32 offset:28
	v_cndmask_b32_e64 v33, v44, v42, s[16:17]
	v_cmp_ne_u32_e32 vcc, 0, v0
	s_movk_i32 s2, 0x7000
	s_waitcnt lgkmcnt(0)
	v_cndmask_b32_e32 v33, 0, v33, vcc
	v_add_u32_e32 v46, v32, v33
	v_add_u32_e64 v32, s2, 0
	v_add_u32_e32 v44, v46, v1
	s_barrier
	ds_read2_b32 v[32:33], v32 offset1:2
	v_add_u32_e32 v42, v44, v43
	v_add_u32_e32 v40, v42, v45
	;; [unrolled: 1-line block ×5, first 2 shown]
	s_waitcnt lgkmcnt(0)
	v_readfirstlane_b32 s26, v32
	v_readfirstlane_b32 s16, v33
	v_lshrrev_b64 v[32:33], 24, v[30:31]
	s_branch .LBB1723_381
.LBB1723_371:
                                        ; implicit-def: $vgpr34
                                        ; implicit-def: $vgpr36
                                        ; implicit-def: $vgpr38
                                        ; implicit-def: $vgpr40
                                        ; implicit-def: $vgpr42
                                        ; implicit-def: $vgpr44
                                        ; implicit-def: $vgpr46
                                        ; implicit-def: $sgpr16
                                        ; implicit-def: $sgpr26
	v_lshrrev_b64 v[32:33], 24, v[30:31]
	s_cbranch_execz .LBB1723_381
; %bb.372:
	s_nop 0
	v_mov_b32_dpp v33, v52 row_shr:1 row_mask:0xf bank_mask:0xf
	v_cndmask_b32_e64 v33, v33, 0, s[14:15]
	v_add_u32_e32 v33, v33, v52
	s_nop 1
	v_mov_b32_dpp v34, v33 row_shr:2 row_mask:0xf bank_mask:0xf
	v_cndmask_b32_e64 v34, 0, v34, s[12:13]
	v_add_u32_e32 v33, v33, v34
	;; [unrolled: 4-line block ×4, first 2 shown]
	s_nop 1
	v_mov_b32_dpp v34, v33 row_bcast:15 row_mask:0xf bank_mask:0xf
	v_cndmask_b32_e64 v34, v34, 0, s[6:7]
	v_add_u32_e32 v33, v33, v34
	s_nop 1
	v_mov_b32_dpp v34, v33 row_bcast:31 row_mask:0xf bank_mask:0xf
	v_cndmask_b32_e64 v34, 0, v34, s[18:19]
	v_add_u32_e32 v33, v33, v34
	s_and_saveexec_b64 s[2:3], s[4:5]
	s_cbranch_execz .LBB1723_374
; %bb.373:
	v_lshlrev_b32_e32 v34, 2, v51
	ds_write_b32 v34, v33
.LBB1723_374:
	s_or_b64 exec, exec, s[2:3]
	v_cmp_gt_u32_e32 vcc, 8, v0
	s_waitcnt lgkmcnt(0)
	s_barrier
	s_and_saveexec_b64 s[2:3], vcc
	s_cbranch_execz .LBB1723_376
; %bb.375:
	v_lshlrev_b32_e32 v34, 2, v0
	ds_read_b32 v35, v34
	v_and_b32_e32 v36, 7, v50
	v_cmp_ne_u32_e32 vcc, 0, v36
	s_waitcnt lgkmcnt(0)
	v_mov_b32_dpp v37, v35 row_shr:1 row_mask:0xf bank_mask:0xf
	v_cndmask_b32_e32 v37, 0, v37, vcc
	v_add_u32_e32 v35, v37, v35
	v_cmp_lt_u32_e32 vcc, 1, v36
	s_nop 0
	v_mov_b32_dpp v37, v35 row_shr:2 row_mask:0xf bank_mask:0xf
	v_cndmask_b32_e32 v37, 0, v37, vcc
	v_add_u32_e32 v35, v35, v37
	v_cmp_lt_u32_e32 vcc, 3, v36
	s_nop 0
	v_mov_b32_dpp v37, v35 row_shr:4 row_mask:0xf bank_mask:0xf
	v_cndmask_b32_e32 v36, 0, v37, vcc
	v_add_u32_e32 v35, v35, v36
	ds_write_b32 v34, v35
.LBB1723_376:
	s_or_b64 exec, exec, s[2:3]
	v_cmp_lt_u32_e32 vcc, 63, v0
	v_mov_b32_e32 v35, 0
	v_mov_b32_e32 v34, 0
	s_waitcnt lgkmcnt(0)
	s_barrier
	s_and_saveexec_b64 s[2:3], vcc
	s_cbranch_execz .LBB1723_378
; %bb.377:
	v_lshl_add_u32 v34, v51, 2, -4
	ds_read_b32 v34, v34
.LBB1723_378:
	s_or_b64 exec, exec, s[2:3]
	v_add_u32_e32 v36, -1, v50
	v_and_b32_e32 v37, 64, v50
	v_cmp_lt_i32_e32 vcc, v36, v37
	s_waitcnt lgkmcnt(0)
	v_add_u32_e32 v33, v34, v33
	ds_read_b32 v35, v35 offset:28
	v_cndmask_b32_e32 v36, v36, v50, vcc
	v_lshlrev_b32_e32 v36, 2, v36
	ds_bpermute_b32 v33, v36, v33
	s_mov_b32 s16, 0
	v_cmp_eq_u32_e32 vcc, 0, v0
	s_waitcnt lgkmcnt(1)
	v_readfirstlane_b32 s26, v35
	s_and_saveexec_b64 s[2:3], vcc
	s_cbranch_execz .LBB1723_380
; %bb.379:
	v_mov_b32_e32 v35, 0
	v_mov_b32_e32 v36, s26
	;; [unrolled: 1-line block ×3, first 2 shown]
	global_store_dwordx2 v35, v[36:37], s[30:31] offset:512 sc1
.LBB1723_380:
	s_or_b64 exec, exec, s[2:3]
	v_cmp_eq_u32_e64 s[2:3], 0, v50
	s_waitcnt lgkmcnt(0)
	s_barrier
	v_cndmask_b32_e64 v33, v33, v34, s[2:3]
	v_cndmask_b32_e64 v46, v33, 0, vcc
	v_add_u32_e32 v44, v46, v1
	v_add_u32_e32 v42, v44, v43
	v_add_u32_e32 v40, v42, v45
	v_add_u32_e32 v38, v40, v47
	v_add_u32_e32 v36, v38, v48
	v_add_u32_e32 v34, v36, v49
.LBB1723_381:
	s_load_dwordx4 s[4:7], s[0:1], 0x28
	s_cmpk_lt_u32 s26, 0x201
	s_cselect_b64 s[2:3], -1, 0
	v_lshrrev_b32_e32 v33, 8, v30
	v_lshrrev_b32_e32 v1, 8, v31
	s_mov_b64 s[0:1], -1
	s_and_b64 vcc, exec, s[2:3]
	s_cbranch_vccz .LBB1723_404
; %bb.382:
	s_add_i32 s8, s16, s26
	v_cmp_gt_u32_e32 vcc, s8, v46
	s_or_b64 s[10:11], s[34:35], vcc
	s_and_saveexec_b64 s[0:1], s[10:11]
	s_cbranch_execz .LBB1723_385
; %bb.383:
	v_and_b32_e32 v35, 1, v30
	v_cmp_eq_u32_e32 vcc, 1, v35
	s_and_b64 exec, exec, vcc
	s_cbranch_execz .LBB1723_385
; %bb.384:
	s_lshl_b64 s[10:11], s[22:23], 3
	s_waitcnt lgkmcnt(0)
	s_add_u32 s10, s4, s10
	s_addc_u32 s11, s5, s11
	v_mov_b32_e32 v47, 0
	v_lshl_add_u64 v[48:49], v[46:47], 3, s[10:11]
	global_store_dwordx2 v[48:49], v[22:23], off
.LBB1723_385:
	s_or_b64 exec, exec, s[0:1]
	v_cmp_gt_u32_e32 vcc, s8, v44
	s_or_b64 s[10:11], s[34:35], vcc
	s_and_saveexec_b64 s[0:1], s[10:11]
	s_cbranch_execz .LBB1723_388
; %bb.386:
	v_and_b32_e32 v35, 1, v33
	v_cmp_eq_u32_e32 vcc, 1, v35
	s_and_b64 exec, exec, vcc
	s_cbranch_execz .LBB1723_388
; %bb.387:
	s_lshl_b64 s[10:11], s[22:23], 3
	s_waitcnt lgkmcnt(0)
	s_add_u32 s10, s4, s10
	s_addc_u32 s11, s5, s11
	v_mov_b32_e32 v45, 0
	v_lshl_add_u64 v[48:49], v[44:45], 3, s[10:11]
	global_store_dwordx2 v[48:49], v[24:25], off
.LBB1723_388:
	s_or_b64 exec, exec, s[0:1]
	v_cmp_gt_u32_e32 vcc, s8, v42
	s_or_b64 s[10:11], s[34:35], vcc
	s_and_saveexec_b64 s[0:1], s[10:11]
	s_cbranch_execz .LBB1723_391
; %bb.389:
	v_mov_b32_e32 v35, 1
	v_and_b32_sdwa v35, v35, v30 dst_sel:DWORD dst_unused:UNUSED_PAD src0_sel:DWORD src1_sel:WORD_1
	v_cmp_eq_u32_e32 vcc, 1, v35
	s_and_b64 exec, exec, vcc
	s_cbranch_execz .LBB1723_391
; %bb.390:
	s_lshl_b64 s[10:11], s[22:23], 3
	s_waitcnt lgkmcnt(0)
	s_add_u32 s10, s4, s10
	s_addc_u32 s11, s5, s11
	v_mov_b32_e32 v43, 0
	v_lshl_add_u64 v[48:49], v[42:43], 3, s[10:11]
	global_store_dwordx2 v[48:49], v[18:19], off
.LBB1723_391:
	s_or_b64 exec, exec, s[0:1]
	v_cmp_gt_u32_e32 vcc, s8, v40
	s_or_b64 s[10:11], s[34:35], vcc
	s_and_saveexec_b64 s[0:1], s[10:11]
	s_cbranch_execz .LBB1723_394
; %bb.392:
	v_and_b32_e32 v35, 1, v32
	v_cmp_eq_u32_e32 vcc, 1, v35
	s_and_b64 exec, exec, vcc
	s_cbranch_execz .LBB1723_394
; %bb.393:
	s_lshl_b64 s[10:11], s[22:23], 3
	s_waitcnt lgkmcnt(0)
	s_add_u32 s10, s4, s10
	s_addc_u32 s11, s5, s11
	v_mov_b32_e32 v41, 0
	v_lshl_add_u64 v[48:49], v[40:41], 3, s[10:11]
	global_store_dwordx2 v[48:49], v[20:21], off
.LBB1723_394:
	s_or_b64 exec, exec, s[0:1]
	v_cmp_gt_u32_e32 vcc, s8, v38
	s_or_b64 s[10:11], s[34:35], vcc
	s_and_saveexec_b64 s[0:1], s[10:11]
	s_cbranch_execz .LBB1723_397
; %bb.395:
	v_and_b32_e32 v35, 1, v31
	v_cmp_eq_u32_e32 vcc, 1, v35
	s_and_b64 exec, exec, vcc
	s_cbranch_execz .LBB1723_397
; %bb.396:
	s_lshl_b64 s[10:11], s[22:23], 3
	s_waitcnt lgkmcnt(0)
	s_add_u32 s10, s4, s10
	s_addc_u32 s11, s5, s11
	v_mov_b32_e32 v39, 0
	v_lshl_add_u64 v[48:49], v[38:39], 3, s[10:11]
	global_store_dwordx2 v[48:49], v[14:15], off
.LBB1723_397:
	;; [unrolled: 19-line block ×3, first 2 shown]
	s_or_b64 exec, exec, s[0:1]
	v_cmp_gt_u32_e32 vcc, s8, v34
	s_or_b64 s[8:9], s[34:35], vcc
	s_and_saveexec_b64 s[0:1], s[8:9]
	s_cbranch_execz .LBB1723_403
; %bb.401:
	v_mov_b32_e32 v35, 1
	v_and_b32_sdwa v35, v35, v31 dst_sel:DWORD dst_unused:UNUSED_PAD src0_sel:DWORD src1_sel:WORD_1
	v_cmp_eq_u32_e32 vcc, 1, v35
	s_and_b64 exec, exec, vcc
	s_cbranch_execz .LBB1723_403
; %bb.402:
	s_lshl_b64 s[8:9], s[22:23], 3
	s_waitcnt lgkmcnt(0)
	s_add_u32 s8, s4, s8
	s_addc_u32 s9, s5, s9
	v_mov_b32_e32 v35, 0
	v_lshl_add_u64 v[48:49], v[34:35], 3, s[8:9]
	global_store_dwordx2 v[48:49], v[28:29], off
.LBB1723_403:
	s_or_b64 exec, exec, s[0:1]
	s_mov_b64 s[0:1], 0
.LBB1723_404:
	v_and_b32_e32 v48, 1, v30
	s_and_b64 vcc, exec, s[0:1]
	v_cmp_eq_u32_e64 s[0:1], 1, v48
	s_cbranch_vccz .LBB1723_423
; %bb.405:
	s_and_saveexec_b64 s[8:9], s[0:1]
	s_cbranch_execz .LBB1723_407
; %bb.406:
	v_subrev_u32_e32 v35, s16, v46
	v_lshlrev_b32_e32 v35, 3, v35
	ds_write_b64 v35, v[22:23]
.LBB1723_407:
	s_or_b64 exec, exec, s[8:9]
	v_and_b32_e32 v22, 1, v33
	v_cmp_eq_u32_e32 vcc, 1, v22
	s_and_saveexec_b64 s[0:1], vcc
	s_cbranch_execz .LBB1723_409
; %bb.408:
	v_subrev_u32_e32 v22, s16, v44
	v_lshlrev_b32_e32 v22, 3, v22
	ds_write_b64 v22, v[24:25]
.LBB1723_409:
	s_or_b64 exec, exec, s[0:1]
	v_mov_b32_e32 v22, 1
	v_and_b32_sdwa v22, v22, v30 dst_sel:DWORD dst_unused:UNUSED_PAD src0_sel:DWORD src1_sel:WORD_1
	v_cmp_eq_u32_e32 vcc, 1, v22
	s_and_saveexec_b64 s[0:1], vcc
	s_cbranch_execz .LBB1723_411
; %bb.410:
	v_subrev_u32_e32 v22, s16, v42
	v_lshlrev_b32_e32 v22, 3, v22
	ds_write_b64 v22, v[18:19]
.LBB1723_411:
	s_or_b64 exec, exec, s[0:1]
	v_and_b32_e32 v18, 1, v32
	v_cmp_eq_u32_e32 vcc, 1, v18
	s_and_saveexec_b64 s[0:1], vcc
	s_cbranch_execz .LBB1723_413
; %bb.412:
	v_subrev_u32_e32 v18, s16, v40
	v_lshlrev_b32_e32 v18, 3, v18
	ds_write_b64 v18, v[20:21]
.LBB1723_413:
	s_or_b64 exec, exec, s[0:1]
	v_and_b32_e32 v18, 1, v31
	v_cmp_eq_u32_e32 vcc, 1, v18
	s_and_saveexec_b64 s[0:1], vcc
	s_cbranch_execz .LBB1723_415
; %bb.414:
	v_subrev_u32_e32 v18, s16, v38
	v_lshlrev_b32_e32 v18, 3, v18
	ds_write_b64 v18, v[14:15]
.LBB1723_415:
	s_or_b64 exec, exec, s[0:1]
	v_and_b32_e32 v14, 1, v1
	v_cmp_eq_u32_e32 vcc, 1, v14
	s_and_saveexec_b64 s[0:1], vcc
	s_cbranch_execz .LBB1723_417
; %bb.416:
	v_subrev_u32_e32 v14, s16, v36
	v_lshlrev_b32_e32 v14, 3, v14
	ds_write_b64 v14, v[16:17]
.LBB1723_417:
	s_or_b64 exec, exec, s[0:1]
	v_mov_b32_e32 v14, 1
	v_and_b32_sdwa v14, v14, v31 dst_sel:DWORD dst_unused:UNUSED_PAD src0_sel:DWORD src1_sel:WORD_1
	v_cmp_eq_u32_e32 vcc, 1, v14
	s_and_saveexec_b64 s[0:1], vcc
	s_cbranch_execz .LBB1723_419
; %bb.418:
	v_subrev_u32_e32 v14, s16, v34
	v_lshlrev_b32_e32 v14, 3, v14
	ds_write_b64 v14, v[28:29]
.LBB1723_419:
	s_or_b64 exec, exec, s[0:1]
	v_cmp_gt_u32_e32 vcc, s26, v0
	s_waitcnt lgkmcnt(0)
	s_barrier
	s_and_saveexec_b64 s[0:1], vcc
	s_cbranch_execz .LBB1723_422
; %bb.420:
	s_mov_b32 s17, 0
	s_lshl_b64 s[8:9], s[22:23], 3
	s_lshl_b64 s[10:11], s[16:17], 3
	s_add_u32 s8, s8, s10
	s_addc_u32 s9, s9, s11
	s_add_u32 s4, s4, s8
	v_lshlrev_b32_e32 v14, 3, v0
	v_mov_b32_e32 v15, 0
	s_addc_u32 s5, s5, s9
	v_lshl_add_u64 v[16:17], s[4:5], 0, v[14:15]
	s_mov_b64 s[4:5], 0
	s_mov_b64 s[8:9], 0x1000
	v_mov_b32_e32 v15, v0
.LBB1723_421:                           ; =>This Inner Loop Header: Depth=1
	ds_read_b64 v[18:19], v14
	v_add_u32_e32 v15, 0x200, v15
	v_cmp_le_u32_e32 vcc, s26, v15
	v_add_u32_e32 v14, 0x1000, v14
	s_or_b64 s[4:5], vcc, s[4:5]
	s_waitcnt lgkmcnt(0)
	global_store_dwordx2 v[16:17], v[18:19], off
	v_lshl_add_u64 v[16:17], v[16:17], 0, s[8:9]
	s_andn2_b64 exec, exec, s[4:5]
	s_cbranch_execnz .LBB1723_421
.LBB1723_422:
	s_or_b64 exec, exec, s[0:1]
.LBB1723_423:
	s_mov_b64 s[0:1], -1
	s_and_b64 vcc, exec, s[2:3]
	s_waitcnt lgkmcnt(0)
	s_barrier
	s_cbranch_vccnz .LBB1723_427
; %bb.424:
	s_and_b64 vcc, exec, s[0:1]
	s_cbranch_vccnz .LBB1723_449
.LBB1723_425:
	v_cmp_eq_u32_e32 vcc, 0, v0
	s_and_b64 s[0:1], vcc, s[24:25]
	s_and_saveexec_b64 s[2:3], s[0:1]
	s_cbranch_execnz .LBB1723_467
.LBB1723_426:
	s_endpgm
.LBB1723_427:
	s_add_i32 s2, s16, s26
	v_cmp_gt_u32_e32 vcc, s2, v46
	s_or_b64 s[4:5], s[34:35], vcc
	s_and_saveexec_b64 s[0:1], s[4:5]
	s_cbranch_execz .LBB1723_430
; %bb.428:
	v_cmp_eq_u32_e32 vcc, 1, v48
	s_and_b64 exec, exec, vcc
	s_cbranch_execz .LBB1723_430
; %bb.429:
	s_lshl_b64 s[4:5], s[22:23], 3
	s_add_u32 s4, s6, s4
	s_addc_u32 s5, s7, s5
	v_mov_b32_e32 v47, 0
	v_lshl_add_u64 v[14:15], v[46:47], 3, s[4:5]
	global_store_dwordx2 v[14:15], v[10:11], off
.LBB1723_430:
	s_or_b64 exec, exec, s[0:1]
	v_cmp_gt_u32_e32 vcc, s2, v44
	s_or_b64 s[4:5], s[34:35], vcc
	s_and_saveexec_b64 s[0:1], s[4:5]
	s_cbranch_execz .LBB1723_433
; %bb.431:
	v_and_b32_e32 v14, 1, v33
	v_cmp_eq_u32_e32 vcc, 1, v14
	s_and_b64 exec, exec, vcc
	s_cbranch_execz .LBB1723_433
; %bb.432:
	s_lshl_b64 s[4:5], s[22:23], 3
	s_add_u32 s4, s6, s4
	s_addc_u32 s5, s7, s5
	v_mov_b32_e32 v45, 0
	v_lshl_add_u64 v[14:15], v[44:45], 3, s[4:5]
	global_store_dwordx2 v[14:15], v[12:13], off
.LBB1723_433:
	s_or_b64 exec, exec, s[0:1]
	v_cmp_gt_u32_e32 vcc, s2, v42
	s_or_b64 s[4:5], s[34:35], vcc
	s_and_saveexec_b64 s[0:1], s[4:5]
	s_cbranch_execz .LBB1723_436
; %bb.434:
	v_mov_b32_e32 v14, 1
	v_and_b32_sdwa v14, v14, v30 dst_sel:DWORD dst_unused:UNUSED_PAD src0_sel:DWORD src1_sel:WORD_1
	v_cmp_eq_u32_e32 vcc, 1, v14
	s_and_b64 exec, exec, vcc
	s_cbranch_execz .LBB1723_436
; %bb.435:
	s_lshl_b64 s[4:5], s[22:23], 3
	s_add_u32 s4, s6, s4
	s_addc_u32 s5, s7, s5
	v_mov_b32_e32 v43, 0
	v_lshl_add_u64 v[14:15], v[42:43], 3, s[4:5]
	global_store_dwordx2 v[14:15], v[6:7], off
.LBB1723_436:
	s_or_b64 exec, exec, s[0:1]
	v_cmp_gt_u32_e32 vcc, s2, v40
	s_or_b64 s[4:5], s[34:35], vcc
	s_and_saveexec_b64 s[0:1], s[4:5]
	s_cbranch_execz .LBB1723_439
; %bb.437:
	v_and_b32_e32 v14, 1, v32
	v_cmp_eq_u32_e32 vcc, 1, v14
	s_and_b64 exec, exec, vcc
	s_cbranch_execz .LBB1723_439
; %bb.438:
	s_lshl_b64 s[4:5], s[22:23], 3
	s_add_u32 s4, s6, s4
	s_addc_u32 s5, s7, s5
	v_mov_b32_e32 v41, 0
	v_lshl_add_u64 v[14:15], v[40:41], 3, s[4:5]
	global_store_dwordx2 v[14:15], v[8:9], off
.LBB1723_439:
	s_or_b64 exec, exec, s[0:1]
	v_cmp_gt_u32_e32 vcc, s2, v38
	s_or_b64 s[4:5], s[34:35], vcc
	s_and_saveexec_b64 s[0:1], s[4:5]
	s_cbranch_execz .LBB1723_442
; %bb.440:
	v_and_b32_e32 v14, 1, v31
	v_cmp_eq_u32_e32 vcc, 1, v14
	s_and_b64 exec, exec, vcc
	s_cbranch_execz .LBB1723_442
; %bb.441:
	s_lshl_b64 s[4:5], s[22:23], 3
	s_add_u32 s4, s6, s4
	s_addc_u32 s5, s7, s5
	v_mov_b32_e32 v39, 0
	v_lshl_add_u64 v[14:15], v[38:39], 3, s[4:5]
	global_store_dwordx2 v[14:15], v[2:3], off
.LBB1723_442:
	;; [unrolled: 18-line block ×3, first 2 shown]
	s_or_b64 exec, exec, s[0:1]
	v_cmp_gt_u32_e32 vcc, s2, v34
	s_or_b64 s[2:3], s[34:35], vcc
	s_and_saveexec_b64 s[0:1], s[2:3]
	s_cbranch_execz .LBB1723_448
; %bb.446:
	v_mov_b32_e32 v14, 1
	v_and_b32_sdwa v14, v14, v31 dst_sel:DWORD dst_unused:UNUSED_PAD src0_sel:DWORD src1_sel:WORD_1
	v_cmp_eq_u32_e32 vcc, 1, v14
	s_and_b64 exec, exec, vcc
	s_cbranch_execz .LBB1723_448
; %bb.447:
	s_lshl_b64 s[2:3], s[22:23], 3
	s_add_u32 s2, s6, s2
	s_addc_u32 s3, s7, s3
	v_mov_b32_e32 v35, 0
	v_lshl_add_u64 v[14:15], v[34:35], 3, s[2:3]
	global_store_dwordx2 v[14:15], v[26:27], off
.LBB1723_448:
	s_or_b64 exec, exec, s[0:1]
	s_branch .LBB1723_425
.LBB1723_449:
	v_cmp_eq_u32_e32 vcc, 1, v48
	s_and_saveexec_b64 s[0:1], vcc
	s_cbranch_execz .LBB1723_451
; %bb.450:
	v_subrev_u32_e32 v14, s16, v46
	v_lshlrev_b32_e32 v14, 3, v14
	ds_write_b64 v14, v[10:11]
.LBB1723_451:
	s_or_b64 exec, exec, s[0:1]
	v_and_b32_e32 v10, 1, v33
	v_cmp_eq_u32_e32 vcc, 1, v10
	s_and_saveexec_b64 s[0:1], vcc
	s_cbranch_execz .LBB1723_453
; %bb.452:
	v_subrev_u32_e32 v10, s16, v44
	v_lshlrev_b32_e32 v10, 3, v10
	ds_write_b64 v10, v[12:13]
.LBB1723_453:
	s_or_b64 exec, exec, s[0:1]
	v_mov_b32_e32 v10, 1
	v_and_b32_sdwa v10, v10, v30 dst_sel:DWORD dst_unused:UNUSED_PAD src0_sel:DWORD src1_sel:WORD_1
	v_cmp_eq_u32_e32 vcc, 1, v10
	s_and_saveexec_b64 s[0:1], vcc
	s_cbranch_execz .LBB1723_455
; %bb.454:
	v_subrev_u32_e32 v10, s16, v42
	v_lshlrev_b32_e32 v10, 3, v10
	ds_write_b64 v10, v[6:7]
.LBB1723_455:
	s_or_b64 exec, exec, s[0:1]
	v_and_b32_e32 v6, 1, v32
	v_cmp_eq_u32_e32 vcc, 1, v6
	s_and_saveexec_b64 s[0:1], vcc
	s_cbranch_execz .LBB1723_457
; %bb.456:
	v_subrev_u32_e32 v6, s16, v40
	v_lshlrev_b32_e32 v6, 3, v6
	ds_write_b64 v6, v[8:9]
.LBB1723_457:
	s_or_b64 exec, exec, s[0:1]
	v_and_b32_e32 v6, 1, v31
	;; [unrolled: 10-line block ×3, first 2 shown]
	v_cmp_eq_u32_e32 vcc, 1, v1
	s_and_saveexec_b64 s[0:1], vcc
	s_cbranch_execz .LBB1723_461
; %bb.460:
	v_subrev_u32_e32 v1, s16, v36
	v_lshlrev_b32_e32 v1, 3, v1
	ds_write_b64 v1, v[4:5]
.LBB1723_461:
	s_or_b64 exec, exec, s[0:1]
	v_mov_b32_e32 v1, 1
	v_and_b32_sdwa v1, v1, v31 dst_sel:DWORD dst_unused:UNUSED_PAD src0_sel:DWORD src1_sel:WORD_1
	v_cmp_eq_u32_e32 vcc, 1, v1
	s_and_saveexec_b64 s[0:1], vcc
	s_cbranch_execz .LBB1723_463
; %bb.462:
	v_subrev_u32_e32 v1, s16, v34
	v_lshlrev_b32_e32 v1, 3, v1
	ds_write_b64 v1, v[26:27]
.LBB1723_463:
	s_or_b64 exec, exec, s[0:1]
	v_cmp_gt_u32_e32 vcc, s26, v0
	s_waitcnt lgkmcnt(0)
	s_barrier
	s_and_saveexec_b64 s[0:1], vcc
	s_cbranch_execz .LBB1723_466
; %bb.464:
	s_mov_b32 s17, 0
	s_lshl_b64 s[2:3], s[22:23], 3
	s_lshl_b64 s[4:5], s[16:17], 3
	s_add_u32 s2, s2, s4
	s_addc_u32 s3, s3, s5
	s_add_u32 s2, s6, s2
	v_lshlrev_b32_e32 v2, 3, v0
	v_mov_b32_e32 v3, 0
	s_addc_u32 s3, s7, s3
	v_lshl_add_u64 v[4:5], s[2:3], 0, v[2:3]
	s_mov_b64 s[2:3], 0
	s_mov_b64 s[4:5], 0x1000
	v_mov_b32_e32 v1, v0
.LBB1723_465:                           ; =>This Inner Loop Header: Depth=1
	ds_read_b64 v[6:7], v2
	v_add_u32_e32 v1, 0x200, v1
	v_cmp_le_u32_e32 vcc, s26, v1
	v_add_u32_e32 v2, 0x1000, v2
	s_or_b64 s[2:3], vcc, s[2:3]
	s_waitcnt lgkmcnt(0)
	global_store_dwordx2 v[4:5], v[6:7], off
	v_lshl_add_u64 v[4:5], v[4:5], 0, s[4:5]
	s_andn2_b64 exec, exec, s[2:3]
	s_cbranch_execnz .LBB1723_465
.LBB1723_466:
	s_or_b64 exec, exec, s[0:1]
	v_cmp_eq_u32_e32 vcc, 0, v0
	s_and_b64 s[0:1], vcc, s[24:25]
	s_and_saveexec_b64 s[2:3], s[0:1]
	s_cbranch_execz .LBB1723_426
.LBB1723_467:
	s_add_u32 s0, s22, s26
	s_addc_u32 s1, s23, 0
	s_add_u32 s0, s0, s16
	s_addc_u32 s1, s1, 0
	v_mov_b32_e32 v2, 0
	v_mov_b64_e32 v[0:1], s[0:1]
	global_store_dwordx2 v2, v[0:1], s[20:21]
	s_endpgm
	.section	.rodata,"a",@progbits
	.p2align	6, 0x0
	.amdhsa_kernel _ZN7rocprim17ROCPRIM_400000_NS6detail17trampoline_kernelINS0_14default_configENS1_25partition_config_selectorILNS1_17partition_subalgoE9EllbEEZZNS1_14partition_implILS5_9ELb0ES3_jPlS8_PNS0_10empty_typeENS0_5tupleIJS8_S9_EEENSB_IJS8_SA_EEENS0_18inequality_wrapperIZN2at6native12_GLOBAL__N_124unique_dim_cuda_templateImEESt5tupleIJNSF_6TensorESK_SK_EERKSK_lbbbEUlllE0_EEPmJS9_EEE10hipError_tPvRmT3_T4_T5_T6_T7_T9_mT8_P12ihipStream_tbDpT10_ENKUlT_T0_E_clISt17integral_constantIbLb1EES19_IbLb0EEEEDaS15_S16_EUlS15_E_NS1_11comp_targetILNS1_3genE5ELNS1_11target_archE942ELNS1_3gpuE9ELNS1_3repE0EEENS1_30default_config_static_selectorELNS0_4arch9wavefront6targetE1EEEvT1_
		.amdhsa_group_segment_fixed_size 28684
		.amdhsa_private_segment_fixed_size 0
		.amdhsa_kernarg_size 120
		.amdhsa_user_sgpr_count 2
		.amdhsa_user_sgpr_dispatch_ptr 0
		.amdhsa_user_sgpr_queue_ptr 0
		.amdhsa_user_sgpr_kernarg_segment_ptr 1
		.amdhsa_user_sgpr_dispatch_id 0
		.amdhsa_user_sgpr_kernarg_preload_length 0
		.amdhsa_user_sgpr_kernarg_preload_offset 0
		.amdhsa_user_sgpr_private_segment_size 0
		.amdhsa_uses_dynamic_stack 0
		.amdhsa_enable_private_segment 0
		.amdhsa_system_sgpr_workgroup_id_x 1
		.amdhsa_system_sgpr_workgroup_id_y 0
		.amdhsa_system_sgpr_workgroup_id_z 0
		.amdhsa_system_sgpr_workgroup_info 0
		.amdhsa_system_vgpr_workitem_id 0
		.amdhsa_next_free_vgpr 66
		.amdhsa_next_free_sgpr 52
		.amdhsa_accum_offset 68
		.amdhsa_reserve_vcc 1
		.amdhsa_float_round_mode_32 0
		.amdhsa_float_round_mode_16_64 0
		.amdhsa_float_denorm_mode_32 3
		.amdhsa_float_denorm_mode_16_64 3
		.amdhsa_dx10_clamp 1
		.amdhsa_ieee_mode 1
		.amdhsa_fp16_overflow 0
		.amdhsa_tg_split 0
		.amdhsa_exception_fp_ieee_invalid_op 0
		.amdhsa_exception_fp_denorm_src 0
		.amdhsa_exception_fp_ieee_div_zero 0
		.amdhsa_exception_fp_ieee_overflow 0
		.amdhsa_exception_fp_ieee_underflow 0
		.amdhsa_exception_fp_ieee_inexact 0
		.amdhsa_exception_int_div_zero 0
	.end_amdhsa_kernel
	.section	.text._ZN7rocprim17ROCPRIM_400000_NS6detail17trampoline_kernelINS0_14default_configENS1_25partition_config_selectorILNS1_17partition_subalgoE9EllbEEZZNS1_14partition_implILS5_9ELb0ES3_jPlS8_PNS0_10empty_typeENS0_5tupleIJS8_S9_EEENSB_IJS8_SA_EEENS0_18inequality_wrapperIZN2at6native12_GLOBAL__N_124unique_dim_cuda_templateImEESt5tupleIJNSF_6TensorESK_SK_EERKSK_lbbbEUlllE0_EEPmJS9_EEE10hipError_tPvRmT3_T4_T5_T6_T7_T9_mT8_P12ihipStream_tbDpT10_ENKUlT_T0_E_clISt17integral_constantIbLb1EES19_IbLb0EEEEDaS15_S16_EUlS15_E_NS1_11comp_targetILNS1_3genE5ELNS1_11target_archE942ELNS1_3gpuE9ELNS1_3repE0EEENS1_30default_config_static_selectorELNS0_4arch9wavefront6targetE1EEEvT1_,"axG",@progbits,_ZN7rocprim17ROCPRIM_400000_NS6detail17trampoline_kernelINS0_14default_configENS1_25partition_config_selectorILNS1_17partition_subalgoE9EllbEEZZNS1_14partition_implILS5_9ELb0ES3_jPlS8_PNS0_10empty_typeENS0_5tupleIJS8_S9_EEENSB_IJS8_SA_EEENS0_18inequality_wrapperIZN2at6native12_GLOBAL__N_124unique_dim_cuda_templateImEESt5tupleIJNSF_6TensorESK_SK_EERKSK_lbbbEUlllE0_EEPmJS9_EEE10hipError_tPvRmT3_T4_T5_T6_T7_T9_mT8_P12ihipStream_tbDpT10_ENKUlT_T0_E_clISt17integral_constantIbLb1EES19_IbLb0EEEEDaS15_S16_EUlS15_E_NS1_11comp_targetILNS1_3genE5ELNS1_11target_archE942ELNS1_3gpuE9ELNS1_3repE0EEENS1_30default_config_static_selectorELNS0_4arch9wavefront6targetE1EEEvT1_,comdat
.Lfunc_end1723:
	.size	_ZN7rocprim17ROCPRIM_400000_NS6detail17trampoline_kernelINS0_14default_configENS1_25partition_config_selectorILNS1_17partition_subalgoE9EllbEEZZNS1_14partition_implILS5_9ELb0ES3_jPlS8_PNS0_10empty_typeENS0_5tupleIJS8_S9_EEENSB_IJS8_SA_EEENS0_18inequality_wrapperIZN2at6native12_GLOBAL__N_124unique_dim_cuda_templateImEESt5tupleIJNSF_6TensorESK_SK_EERKSK_lbbbEUlllE0_EEPmJS9_EEE10hipError_tPvRmT3_T4_T5_T6_T7_T9_mT8_P12ihipStream_tbDpT10_ENKUlT_T0_E_clISt17integral_constantIbLb1EES19_IbLb0EEEEDaS15_S16_EUlS15_E_NS1_11comp_targetILNS1_3genE5ELNS1_11target_archE942ELNS1_3gpuE9ELNS1_3repE0EEENS1_30default_config_static_selectorELNS0_4arch9wavefront6targetE1EEEvT1_, .Lfunc_end1723-_ZN7rocprim17ROCPRIM_400000_NS6detail17trampoline_kernelINS0_14default_configENS1_25partition_config_selectorILNS1_17partition_subalgoE9EllbEEZZNS1_14partition_implILS5_9ELb0ES3_jPlS8_PNS0_10empty_typeENS0_5tupleIJS8_S9_EEENSB_IJS8_SA_EEENS0_18inequality_wrapperIZN2at6native12_GLOBAL__N_124unique_dim_cuda_templateImEESt5tupleIJNSF_6TensorESK_SK_EERKSK_lbbbEUlllE0_EEPmJS9_EEE10hipError_tPvRmT3_T4_T5_T6_T7_T9_mT8_P12ihipStream_tbDpT10_ENKUlT_T0_E_clISt17integral_constantIbLb1EES19_IbLb0EEEEDaS15_S16_EUlS15_E_NS1_11comp_targetILNS1_3genE5ELNS1_11target_archE942ELNS1_3gpuE9ELNS1_3repE0EEENS1_30default_config_static_selectorELNS0_4arch9wavefront6targetE1EEEvT1_
                                        ; -- End function
	.section	.AMDGPU.csdata,"",@progbits
; Kernel info:
; codeLenInByte = 14472
; NumSgprs: 58
; NumVgprs: 66
; NumAgprs: 0
; TotalNumVgprs: 66
; ScratchSize: 0
; MemoryBound: 1
; FloatMode: 240
; IeeeMode: 1
; LDSByteSize: 28684 bytes/workgroup (compile time only)
; SGPRBlocks: 7
; VGPRBlocks: 8
; NumSGPRsForWavesPerEU: 58
; NumVGPRsForWavesPerEU: 66
; AccumOffset: 68
; Occupancy: 4
; WaveLimiterHint : 1
; COMPUTE_PGM_RSRC2:SCRATCH_EN: 0
; COMPUTE_PGM_RSRC2:USER_SGPR: 2
; COMPUTE_PGM_RSRC2:TRAP_HANDLER: 0
; COMPUTE_PGM_RSRC2:TGID_X_EN: 1
; COMPUTE_PGM_RSRC2:TGID_Y_EN: 0
; COMPUTE_PGM_RSRC2:TGID_Z_EN: 0
; COMPUTE_PGM_RSRC2:TIDIG_COMP_CNT: 0
; COMPUTE_PGM_RSRC3_GFX90A:ACCUM_OFFSET: 16
; COMPUTE_PGM_RSRC3_GFX90A:TG_SPLIT: 0
	.section	.text._ZN7rocprim17ROCPRIM_400000_NS6detail17trampoline_kernelINS0_14default_configENS1_25partition_config_selectorILNS1_17partition_subalgoE9EllbEEZZNS1_14partition_implILS5_9ELb0ES3_jPlS8_PNS0_10empty_typeENS0_5tupleIJS8_S9_EEENSB_IJS8_SA_EEENS0_18inequality_wrapperIZN2at6native12_GLOBAL__N_124unique_dim_cuda_templateImEESt5tupleIJNSF_6TensorESK_SK_EERKSK_lbbbEUlllE0_EEPmJS9_EEE10hipError_tPvRmT3_T4_T5_T6_T7_T9_mT8_P12ihipStream_tbDpT10_ENKUlT_T0_E_clISt17integral_constantIbLb1EES19_IbLb0EEEEDaS15_S16_EUlS15_E_NS1_11comp_targetILNS1_3genE4ELNS1_11target_archE910ELNS1_3gpuE8ELNS1_3repE0EEENS1_30default_config_static_selectorELNS0_4arch9wavefront6targetE1EEEvT1_,"axG",@progbits,_ZN7rocprim17ROCPRIM_400000_NS6detail17trampoline_kernelINS0_14default_configENS1_25partition_config_selectorILNS1_17partition_subalgoE9EllbEEZZNS1_14partition_implILS5_9ELb0ES3_jPlS8_PNS0_10empty_typeENS0_5tupleIJS8_S9_EEENSB_IJS8_SA_EEENS0_18inequality_wrapperIZN2at6native12_GLOBAL__N_124unique_dim_cuda_templateImEESt5tupleIJNSF_6TensorESK_SK_EERKSK_lbbbEUlllE0_EEPmJS9_EEE10hipError_tPvRmT3_T4_T5_T6_T7_T9_mT8_P12ihipStream_tbDpT10_ENKUlT_T0_E_clISt17integral_constantIbLb1EES19_IbLb0EEEEDaS15_S16_EUlS15_E_NS1_11comp_targetILNS1_3genE4ELNS1_11target_archE910ELNS1_3gpuE8ELNS1_3repE0EEENS1_30default_config_static_selectorELNS0_4arch9wavefront6targetE1EEEvT1_,comdat
	.globl	_ZN7rocprim17ROCPRIM_400000_NS6detail17trampoline_kernelINS0_14default_configENS1_25partition_config_selectorILNS1_17partition_subalgoE9EllbEEZZNS1_14partition_implILS5_9ELb0ES3_jPlS8_PNS0_10empty_typeENS0_5tupleIJS8_S9_EEENSB_IJS8_SA_EEENS0_18inequality_wrapperIZN2at6native12_GLOBAL__N_124unique_dim_cuda_templateImEESt5tupleIJNSF_6TensorESK_SK_EERKSK_lbbbEUlllE0_EEPmJS9_EEE10hipError_tPvRmT3_T4_T5_T6_T7_T9_mT8_P12ihipStream_tbDpT10_ENKUlT_T0_E_clISt17integral_constantIbLb1EES19_IbLb0EEEEDaS15_S16_EUlS15_E_NS1_11comp_targetILNS1_3genE4ELNS1_11target_archE910ELNS1_3gpuE8ELNS1_3repE0EEENS1_30default_config_static_selectorELNS0_4arch9wavefront6targetE1EEEvT1_ ; -- Begin function _ZN7rocprim17ROCPRIM_400000_NS6detail17trampoline_kernelINS0_14default_configENS1_25partition_config_selectorILNS1_17partition_subalgoE9EllbEEZZNS1_14partition_implILS5_9ELb0ES3_jPlS8_PNS0_10empty_typeENS0_5tupleIJS8_S9_EEENSB_IJS8_SA_EEENS0_18inequality_wrapperIZN2at6native12_GLOBAL__N_124unique_dim_cuda_templateImEESt5tupleIJNSF_6TensorESK_SK_EERKSK_lbbbEUlllE0_EEPmJS9_EEE10hipError_tPvRmT3_T4_T5_T6_T7_T9_mT8_P12ihipStream_tbDpT10_ENKUlT_T0_E_clISt17integral_constantIbLb1EES19_IbLb0EEEEDaS15_S16_EUlS15_E_NS1_11comp_targetILNS1_3genE4ELNS1_11target_archE910ELNS1_3gpuE8ELNS1_3repE0EEENS1_30default_config_static_selectorELNS0_4arch9wavefront6targetE1EEEvT1_
	.p2align	8
	.type	_ZN7rocprim17ROCPRIM_400000_NS6detail17trampoline_kernelINS0_14default_configENS1_25partition_config_selectorILNS1_17partition_subalgoE9EllbEEZZNS1_14partition_implILS5_9ELb0ES3_jPlS8_PNS0_10empty_typeENS0_5tupleIJS8_S9_EEENSB_IJS8_SA_EEENS0_18inequality_wrapperIZN2at6native12_GLOBAL__N_124unique_dim_cuda_templateImEESt5tupleIJNSF_6TensorESK_SK_EERKSK_lbbbEUlllE0_EEPmJS9_EEE10hipError_tPvRmT3_T4_T5_T6_T7_T9_mT8_P12ihipStream_tbDpT10_ENKUlT_T0_E_clISt17integral_constantIbLb1EES19_IbLb0EEEEDaS15_S16_EUlS15_E_NS1_11comp_targetILNS1_3genE4ELNS1_11target_archE910ELNS1_3gpuE8ELNS1_3repE0EEENS1_30default_config_static_selectorELNS0_4arch9wavefront6targetE1EEEvT1_,@function
_ZN7rocprim17ROCPRIM_400000_NS6detail17trampoline_kernelINS0_14default_configENS1_25partition_config_selectorILNS1_17partition_subalgoE9EllbEEZZNS1_14partition_implILS5_9ELb0ES3_jPlS8_PNS0_10empty_typeENS0_5tupleIJS8_S9_EEENSB_IJS8_SA_EEENS0_18inequality_wrapperIZN2at6native12_GLOBAL__N_124unique_dim_cuda_templateImEESt5tupleIJNSF_6TensorESK_SK_EERKSK_lbbbEUlllE0_EEPmJS9_EEE10hipError_tPvRmT3_T4_T5_T6_T7_T9_mT8_P12ihipStream_tbDpT10_ENKUlT_T0_E_clISt17integral_constantIbLb1EES19_IbLb0EEEEDaS15_S16_EUlS15_E_NS1_11comp_targetILNS1_3genE4ELNS1_11target_archE910ELNS1_3gpuE8ELNS1_3repE0EEENS1_30default_config_static_selectorELNS0_4arch9wavefront6targetE1EEEvT1_: ; @_ZN7rocprim17ROCPRIM_400000_NS6detail17trampoline_kernelINS0_14default_configENS1_25partition_config_selectorILNS1_17partition_subalgoE9EllbEEZZNS1_14partition_implILS5_9ELb0ES3_jPlS8_PNS0_10empty_typeENS0_5tupleIJS8_S9_EEENSB_IJS8_SA_EEENS0_18inequality_wrapperIZN2at6native12_GLOBAL__N_124unique_dim_cuda_templateImEESt5tupleIJNSF_6TensorESK_SK_EERKSK_lbbbEUlllE0_EEPmJS9_EEE10hipError_tPvRmT3_T4_T5_T6_T7_T9_mT8_P12ihipStream_tbDpT10_ENKUlT_T0_E_clISt17integral_constantIbLb1EES19_IbLb0EEEEDaS15_S16_EUlS15_E_NS1_11comp_targetILNS1_3genE4ELNS1_11target_archE910ELNS1_3gpuE8ELNS1_3repE0EEENS1_30default_config_static_selectorELNS0_4arch9wavefront6targetE1EEEvT1_
; %bb.0:
	.section	.rodata,"a",@progbits
	.p2align	6, 0x0
	.amdhsa_kernel _ZN7rocprim17ROCPRIM_400000_NS6detail17trampoline_kernelINS0_14default_configENS1_25partition_config_selectorILNS1_17partition_subalgoE9EllbEEZZNS1_14partition_implILS5_9ELb0ES3_jPlS8_PNS0_10empty_typeENS0_5tupleIJS8_S9_EEENSB_IJS8_SA_EEENS0_18inequality_wrapperIZN2at6native12_GLOBAL__N_124unique_dim_cuda_templateImEESt5tupleIJNSF_6TensorESK_SK_EERKSK_lbbbEUlllE0_EEPmJS9_EEE10hipError_tPvRmT3_T4_T5_T6_T7_T9_mT8_P12ihipStream_tbDpT10_ENKUlT_T0_E_clISt17integral_constantIbLb1EES19_IbLb0EEEEDaS15_S16_EUlS15_E_NS1_11comp_targetILNS1_3genE4ELNS1_11target_archE910ELNS1_3gpuE8ELNS1_3repE0EEENS1_30default_config_static_selectorELNS0_4arch9wavefront6targetE1EEEvT1_
		.amdhsa_group_segment_fixed_size 0
		.amdhsa_private_segment_fixed_size 0
		.amdhsa_kernarg_size 120
		.amdhsa_user_sgpr_count 2
		.amdhsa_user_sgpr_dispatch_ptr 0
		.amdhsa_user_sgpr_queue_ptr 0
		.amdhsa_user_sgpr_kernarg_segment_ptr 1
		.amdhsa_user_sgpr_dispatch_id 0
		.amdhsa_user_sgpr_kernarg_preload_length 0
		.amdhsa_user_sgpr_kernarg_preload_offset 0
		.amdhsa_user_sgpr_private_segment_size 0
		.amdhsa_uses_dynamic_stack 0
		.amdhsa_enable_private_segment 0
		.amdhsa_system_sgpr_workgroup_id_x 1
		.amdhsa_system_sgpr_workgroup_id_y 0
		.amdhsa_system_sgpr_workgroup_id_z 0
		.amdhsa_system_sgpr_workgroup_info 0
		.amdhsa_system_vgpr_workitem_id 0
		.amdhsa_next_free_vgpr 1
		.amdhsa_next_free_sgpr 0
		.amdhsa_accum_offset 4
		.amdhsa_reserve_vcc 0
		.amdhsa_float_round_mode_32 0
		.amdhsa_float_round_mode_16_64 0
		.amdhsa_float_denorm_mode_32 3
		.amdhsa_float_denorm_mode_16_64 3
		.amdhsa_dx10_clamp 1
		.amdhsa_ieee_mode 1
		.amdhsa_fp16_overflow 0
		.amdhsa_tg_split 0
		.amdhsa_exception_fp_ieee_invalid_op 0
		.amdhsa_exception_fp_denorm_src 0
		.amdhsa_exception_fp_ieee_div_zero 0
		.amdhsa_exception_fp_ieee_overflow 0
		.amdhsa_exception_fp_ieee_underflow 0
		.amdhsa_exception_fp_ieee_inexact 0
		.amdhsa_exception_int_div_zero 0
	.end_amdhsa_kernel
	.section	.text._ZN7rocprim17ROCPRIM_400000_NS6detail17trampoline_kernelINS0_14default_configENS1_25partition_config_selectorILNS1_17partition_subalgoE9EllbEEZZNS1_14partition_implILS5_9ELb0ES3_jPlS8_PNS0_10empty_typeENS0_5tupleIJS8_S9_EEENSB_IJS8_SA_EEENS0_18inequality_wrapperIZN2at6native12_GLOBAL__N_124unique_dim_cuda_templateImEESt5tupleIJNSF_6TensorESK_SK_EERKSK_lbbbEUlllE0_EEPmJS9_EEE10hipError_tPvRmT3_T4_T5_T6_T7_T9_mT8_P12ihipStream_tbDpT10_ENKUlT_T0_E_clISt17integral_constantIbLb1EES19_IbLb0EEEEDaS15_S16_EUlS15_E_NS1_11comp_targetILNS1_3genE4ELNS1_11target_archE910ELNS1_3gpuE8ELNS1_3repE0EEENS1_30default_config_static_selectorELNS0_4arch9wavefront6targetE1EEEvT1_,"axG",@progbits,_ZN7rocprim17ROCPRIM_400000_NS6detail17trampoline_kernelINS0_14default_configENS1_25partition_config_selectorILNS1_17partition_subalgoE9EllbEEZZNS1_14partition_implILS5_9ELb0ES3_jPlS8_PNS0_10empty_typeENS0_5tupleIJS8_S9_EEENSB_IJS8_SA_EEENS0_18inequality_wrapperIZN2at6native12_GLOBAL__N_124unique_dim_cuda_templateImEESt5tupleIJNSF_6TensorESK_SK_EERKSK_lbbbEUlllE0_EEPmJS9_EEE10hipError_tPvRmT3_T4_T5_T6_T7_T9_mT8_P12ihipStream_tbDpT10_ENKUlT_T0_E_clISt17integral_constantIbLb1EES19_IbLb0EEEEDaS15_S16_EUlS15_E_NS1_11comp_targetILNS1_3genE4ELNS1_11target_archE910ELNS1_3gpuE8ELNS1_3repE0EEENS1_30default_config_static_selectorELNS0_4arch9wavefront6targetE1EEEvT1_,comdat
.Lfunc_end1724:
	.size	_ZN7rocprim17ROCPRIM_400000_NS6detail17trampoline_kernelINS0_14default_configENS1_25partition_config_selectorILNS1_17partition_subalgoE9EllbEEZZNS1_14partition_implILS5_9ELb0ES3_jPlS8_PNS0_10empty_typeENS0_5tupleIJS8_S9_EEENSB_IJS8_SA_EEENS0_18inequality_wrapperIZN2at6native12_GLOBAL__N_124unique_dim_cuda_templateImEESt5tupleIJNSF_6TensorESK_SK_EERKSK_lbbbEUlllE0_EEPmJS9_EEE10hipError_tPvRmT3_T4_T5_T6_T7_T9_mT8_P12ihipStream_tbDpT10_ENKUlT_T0_E_clISt17integral_constantIbLb1EES19_IbLb0EEEEDaS15_S16_EUlS15_E_NS1_11comp_targetILNS1_3genE4ELNS1_11target_archE910ELNS1_3gpuE8ELNS1_3repE0EEENS1_30default_config_static_selectorELNS0_4arch9wavefront6targetE1EEEvT1_, .Lfunc_end1724-_ZN7rocprim17ROCPRIM_400000_NS6detail17trampoline_kernelINS0_14default_configENS1_25partition_config_selectorILNS1_17partition_subalgoE9EllbEEZZNS1_14partition_implILS5_9ELb0ES3_jPlS8_PNS0_10empty_typeENS0_5tupleIJS8_S9_EEENSB_IJS8_SA_EEENS0_18inequality_wrapperIZN2at6native12_GLOBAL__N_124unique_dim_cuda_templateImEESt5tupleIJNSF_6TensorESK_SK_EERKSK_lbbbEUlllE0_EEPmJS9_EEE10hipError_tPvRmT3_T4_T5_T6_T7_T9_mT8_P12ihipStream_tbDpT10_ENKUlT_T0_E_clISt17integral_constantIbLb1EES19_IbLb0EEEEDaS15_S16_EUlS15_E_NS1_11comp_targetILNS1_3genE4ELNS1_11target_archE910ELNS1_3gpuE8ELNS1_3repE0EEENS1_30default_config_static_selectorELNS0_4arch9wavefront6targetE1EEEvT1_
                                        ; -- End function
	.section	.AMDGPU.csdata,"",@progbits
; Kernel info:
; codeLenInByte = 0
; NumSgprs: 6
; NumVgprs: 0
; NumAgprs: 0
; TotalNumVgprs: 0
; ScratchSize: 0
; MemoryBound: 0
; FloatMode: 240
; IeeeMode: 1
; LDSByteSize: 0 bytes/workgroup (compile time only)
; SGPRBlocks: 0
; VGPRBlocks: 0
; NumSGPRsForWavesPerEU: 6
; NumVGPRsForWavesPerEU: 1
; AccumOffset: 4
; Occupancy: 8
; WaveLimiterHint : 0
; COMPUTE_PGM_RSRC2:SCRATCH_EN: 0
; COMPUTE_PGM_RSRC2:USER_SGPR: 2
; COMPUTE_PGM_RSRC2:TRAP_HANDLER: 0
; COMPUTE_PGM_RSRC2:TGID_X_EN: 1
; COMPUTE_PGM_RSRC2:TGID_Y_EN: 0
; COMPUTE_PGM_RSRC2:TGID_Z_EN: 0
; COMPUTE_PGM_RSRC2:TIDIG_COMP_CNT: 0
; COMPUTE_PGM_RSRC3_GFX90A:ACCUM_OFFSET: 0
; COMPUTE_PGM_RSRC3_GFX90A:TG_SPLIT: 0
	.section	.text._ZN7rocprim17ROCPRIM_400000_NS6detail17trampoline_kernelINS0_14default_configENS1_25partition_config_selectorILNS1_17partition_subalgoE9EllbEEZZNS1_14partition_implILS5_9ELb0ES3_jPlS8_PNS0_10empty_typeENS0_5tupleIJS8_S9_EEENSB_IJS8_SA_EEENS0_18inequality_wrapperIZN2at6native12_GLOBAL__N_124unique_dim_cuda_templateImEESt5tupleIJNSF_6TensorESK_SK_EERKSK_lbbbEUlllE0_EEPmJS9_EEE10hipError_tPvRmT3_T4_T5_T6_T7_T9_mT8_P12ihipStream_tbDpT10_ENKUlT_T0_E_clISt17integral_constantIbLb1EES19_IbLb0EEEEDaS15_S16_EUlS15_E_NS1_11comp_targetILNS1_3genE3ELNS1_11target_archE908ELNS1_3gpuE7ELNS1_3repE0EEENS1_30default_config_static_selectorELNS0_4arch9wavefront6targetE1EEEvT1_,"axG",@progbits,_ZN7rocprim17ROCPRIM_400000_NS6detail17trampoline_kernelINS0_14default_configENS1_25partition_config_selectorILNS1_17partition_subalgoE9EllbEEZZNS1_14partition_implILS5_9ELb0ES3_jPlS8_PNS0_10empty_typeENS0_5tupleIJS8_S9_EEENSB_IJS8_SA_EEENS0_18inequality_wrapperIZN2at6native12_GLOBAL__N_124unique_dim_cuda_templateImEESt5tupleIJNSF_6TensorESK_SK_EERKSK_lbbbEUlllE0_EEPmJS9_EEE10hipError_tPvRmT3_T4_T5_T6_T7_T9_mT8_P12ihipStream_tbDpT10_ENKUlT_T0_E_clISt17integral_constantIbLb1EES19_IbLb0EEEEDaS15_S16_EUlS15_E_NS1_11comp_targetILNS1_3genE3ELNS1_11target_archE908ELNS1_3gpuE7ELNS1_3repE0EEENS1_30default_config_static_selectorELNS0_4arch9wavefront6targetE1EEEvT1_,comdat
	.globl	_ZN7rocprim17ROCPRIM_400000_NS6detail17trampoline_kernelINS0_14default_configENS1_25partition_config_selectorILNS1_17partition_subalgoE9EllbEEZZNS1_14partition_implILS5_9ELb0ES3_jPlS8_PNS0_10empty_typeENS0_5tupleIJS8_S9_EEENSB_IJS8_SA_EEENS0_18inequality_wrapperIZN2at6native12_GLOBAL__N_124unique_dim_cuda_templateImEESt5tupleIJNSF_6TensorESK_SK_EERKSK_lbbbEUlllE0_EEPmJS9_EEE10hipError_tPvRmT3_T4_T5_T6_T7_T9_mT8_P12ihipStream_tbDpT10_ENKUlT_T0_E_clISt17integral_constantIbLb1EES19_IbLb0EEEEDaS15_S16_EUlS15_E_NS1_11comp_targetILNS1_3genE3ELNS1_11target_archE908ELNS1_3gpuE7ELNS1_3repE0EEENS1_30default_config_static_selectorELNS0_4arch9wavefront6targetE1EEEvT1_ ; -- Begin function _ZN7rocprim17ROCPRIM_400000_NS6detail17trampoline_kernelINS0_14default_configENS1_25partition_config_selectorILNS1_17partition_subalgoE9EllbEEZZNS1_14partition_implILS5_9ELb0ES3_jPlS8_PNS0_10empty_typeENS0_5tupleIJS8_S9_EEENSB_IJS8_SA_EEENS0_18inequality_wrapperIZN2at6native12_GLOBAL__N_124unique_dim_cuda_templateImEESt5tupleIJNSF_6TensorESK_SK_EERKSK_lbbbEUlllE0_EEPmJS9_EEE10hipError_tPvRmT3_T4_T5_T6_T7_T9_mT8_P12ihipStream_tbDpT10_ENKUlT_T0_E_clISt17integral_constantIbLb1EES19_IbLb0EEEEDaS15_S16_EUlS15_E_NS1_11comp_targetILNS1_3genE3ELNS1_11target_archE908ELNS1_3gpuE7ELNS1_3repE0EEENS1_30default_config_static_selectorELNS0_4arch9wavefront6targetE1EEEvT1_
	.p2align	8
	.type	_ZN7rocprim17ROCPRIM_400000_NS6detail17trampoline_kernelINS0_14default_configENS1_25partition_config_selectorILNS1_17partition_subalgoE9EllbEEZZNS1_14partition_implILS5_9ELb0ES3_jPlS8_PNS0_10empty_typeENS0_5tupleIJS8_S9_EEENSB_IJS8_SA_EEENS0_18inequality_wrapperIZN2at6native12_GLOBAL__N_124unique_dim_cuda_templateImEESt5tupleIJNSF_6TensorESK_SK_EERKSK_lbbbEUlllE0_EEPmJS9_EEE10hipError_tPvRmT3_T4_T5_T6_T7_T9_mT8_P12ihipStream_tbDpT10_ENKUlT_T0_E_clISt17integral_constantIbLb1EES19_IbLb0EEEEDaS15_S16_EUlS15_E_NS1_11comp_targetILNS1_3genE3ELNS1_11target_archE908ELNS1_3gpuE7ELNS1_3repE0EEENS1_30default_config_static_selectorELNS0_4arch9wavefront6targetE1EEEvT1_,@function
_ZN7rocprim17ROCPRIM_400000_NS6detail17trampoline_kernelINS0_14default_configENS1_25partition_config_selectorILNS1_17partition_subalgoE9EllbEEZZNS1_14partition_implILS5_9ELb0ES3_jPlS8_PNS0_10empty_typeENS0_5tupleIJS8_S9_EEENSB_IJS8_SA_EEENS0_18inequality_wrapperIZN2at6native12_GLOBAL__N_124unique_dim_cuda_templateImEESt5tupleIJNSF_6TensorESK_SK_EERKSK_lbbbEUlllE0_EEPmJS9_EEE10hipError_tPvRmT3_T4_T5_T6_T7_T9_mT8_P12ihipStream_tbDpT10_ENKUlT_T0_E_clISt17integral_constantIbLb1EES19_IbLb0EEEEDaS15_S16_EUlS15_E_NS1_11comp_targetILNS1_3genE3ELNS1_11target_archE908ELNS1_3gpuE7ELNS1_3repE0EEENS1_30default_config_static_selectorELNS0_4arch9wavefront6targetE1EEEvT1_: ; @_ZN7rocprim17ROCPRIM_400000_NS6detail17trampoline_kernelINS0_14default_configENS1_25partition_config_selectorILNS1_17partition_subalgoE9EllbEEZZNS1_14partition_implILS5_9ELb0ES3_jPlS8_PNS0_10empty_typeENS0_5tupleIJS8_S9_EEENSB_IJS8_SA_EEENS0_18inequality_wrapperIZN2at6native12_GLOBAL__N_124unique_dim_cuda_templateImEESt5tupleIJNSF_6TensorESK_SK_EERKSK_lbbbEUlllE0_EEPmJS9_EEE10hipError_tPvRmT3_T4_T5_T6_T7_T9_mT8_P12ihipStream_tbDpT10_ENKUlT_T0_E_clISt17integral_constantIbLb1EES19_IbLb0EEEEDaS15_S16_EUlS15_E_NS1_11comp_targetILNS1_3genE3ELNS1_11target_archE908ELNS1_3gpuE7ELNS1_3repE0EEENS1_30default_config_static_selectorELNS0_4arch9wavefront6targetE1EEEvT1_
; %bb.0:
	.section	.rodata,"a",@progbits
	.p2align	6, 0x0
	.amdhsa_kernel _ZN7rocprim17ROCPRIM_400000_NS6detail17trampoline_kernelINS0_14default_configENS1_25partition_config_selectorILNS1_17partition_subalgoE9EllbEEZZNS1_14partition_implILS5_9ELb0ES3_jPlS8_PNS0_10empty_typeENS0_5tupleIJS8_S9_EEENSB_IJS8_SA_EEENS0_18inequality_wrapperIZN2at6native12_GLOBAL__N_124unique_dim_cuda_templateImEESt5tupleIJNSF_6TensorESK_SK_EERKSK_lbbbEUlllE0_EEPmJS9_EEE10hipError_tPvRmT3_T4_T5_T6_T7_T9_mT8_P12ihipStream_tbDpT10_ENKUlT_T0_E_clISt17integral_constantIbLb1EES19_IbLb0EEEEDaS15_S16_EUlS15_E_NS1_11comp_targetILNS1_3genE3ELNS1_11target_archE908ELNS1_3gpuE7ELNS1_3repE0EEENS1_30default_config_static_selectorELNS0_4arch9wavefront6targetE1EEEvT1_
		.amdhsa_group_segment_fixed_size 0
		.amdhsa_private_segment_fixed_size 0
		.amdhsa_kernarg_size 120
		.amdhsa_user_sgpr_count 2
		.amdhsa_user_sgpr_dispatch_ptr 0
		.amdhsa_user_sgpr_queue_ptr 0
		.amdhsa_user_sgpr_kernarg_segment_ptr 1
		.amdhsa_user_sgpr_dispatch_id 0
		.amdhsa_user_sgpr_kernarg_preload_length 0
		.amdhsa_user_sgpr_kernarg_preload_offset 0
		.amdhsa_user_sgpr_private_segment_size 0
		.amdhsa_uses_dynamic_stack 0
		.amdhsa_enable_private_segment 0
		.amdhsa_system_sgpr_workgroup_id_x 1
		.amdhsa_system_sgpr_workgroup_id_y 0
		.amdhsa_system_sgpr_workgroup_id_z 0
		.amdhsa_system_sgpr_workgroup_info 0
		.amdhsa_system_vgpr_workitem_id 0
		.amdhsa_next_free_vgpr 1
		.amdhsa_next_free_sgpr 0
		.amdhsa_accum_offset 4
		.amdhsa_reserve_vcc 0
		.amdhsa_float_round_mode_32 0
		.amdhsa_float_round_mode_16_64 0
		.amdhsa_float_denorm_mode_32 3
		.amdhsa_float_denorm_mode_16_64 3
		.amdhsa_dx10_clamp 1
		.amdhsa_ieee_mode 1
		.amdhsa_fp16_overflow 0
		.amdhsa_tg_split 0
		.amdhsa_exception_fp_ieee_invalid_op 0
		.amdhsa_exception_fp_denorm_src 0
		.amdhsa_exception_fp_ieee_div_zero 0
		.amdhsa_exception_fp_ieee_overflow 0
		.amdhsa_exception_fp_ieee_underflow 0
		.amdhsa_exception_fp_ieee_inexact 0
		.amdhsa_exception_int_div_zero 0
	.end_amdhsa_kernel
	.section	.text._ZN7rocprim17ROCPRIM_400000_NS6detail17trampoline_kernelINS0_14default_configENS1_25partition_config_selectorILNS1_17partition_subalgoE9EllbEEZZNS1_14partition_implILS5_9ELb0ES3_jPlS8_PNS0_10empty_typeENS0_5tupleIJS8_S9_EEENSB_IJS8_SA_EEENS0_18inequality_wrapperIZN2at6native12_GLOBAL__N_124unique_dim_cuda_templateImEESt5tupleIJNSF_6TensorESK_SK_EERKSK_lbbbEUlllE0_EEPmJS9_EEE10hipError_tPvRmT3_T4_T5_T6_T7_T9_mT8_P12ihipStream_tbDpT10_ENKUlT_T0_E_clISt17integral_constantIbLb1EES19_IbLb0EEEEDaS15_S16_EUlS15_E_NS1_11comp_targetILNS1_3genE3ELNS1_11target_archE908ELNS1_3gpuE7ELNS1_3repE0EEENS1_30default_config_static_selectorELNS0_4arch9wavefront6targetE1EEEvT1_,"axG",@progbits,_ZN7rocprim17ROCPRIM_400000_NS6detail17trampoline_kernelINS0_14default_configENS1_25partition_config_selectorILNS1_17partition_subalgoE9EllbEEZZNS1_14partition_implILS5_9ELb0ES3_jPlS8_PNS0_10empty_typeENS0_5tupleIJS8_S9_EEENSB_IJS8_SA_EEENS0_18inequality_wrapperIZN2at6native12_GLOBAL__N_124unique_dim_cuda_templateImEESt5tupleIJNSF_6TensorESK_SK_EERKSK_lbbbEUlllE0_EEPmJS9_EEE10hipError_tPvRmT3_T4_T5_T6_T7_T9_mT8_P12ihipStream_tbDpT10_ENKUlT_T0_E_clISt17integral_constantIbLb1EES19_IbLb0EEEEDaS15_S16_EUlS15_E_NS1_11comp_targetILNS1_3genE3ELNS1_11target_archE908ELNS1_3gpuE7ELNS1_3repE0EEENS1_30default_config_static_selectorELNS0_4arch9wavefront6targetE1EEEvT1_,comdat
.Lfunc_end1725:
	.size	_ZN7rocprim17ROCPRIM_400000_NS6detail17trampoline_kernelINS0_14default_configENS1_25partition_config_selectorILNS1_17partition_subalgoE9EllbEEZZNS1_14partition_implILS5_9ELb0ES3_jPlS8_PNS0_10empty_typeENS0_5tupleIJS8_S9_EEENSB_IJS8_SA_EEENS0_18inequality_wrapperIZN2at6native12_GLOBAL__N_124unique_dim_cuda_templateImEESt5tupleIJNSF_6TensorESK_SK_EERKSK_lbbbEUlllE0_EEPmJS9_EEE10hipError_tPvRmT3_T4_T5_T6_T7_T9_mT8_P12ihipStream_tbDpT10_ENKUlT_T0_E_clISt17integral_constantIbLb1EES19_IbLb0EEEEDaS15_S16_EUlS15_E_NS1_11comp_targetILNS1_3genE3ELNS1_11target_archE908ELNS1_3gpuE7ELNS1_3repE0EEENS1_30default_config_static_selectorELNS0_4arch9wavefront6targetE1EEEvT1_, .Lfunc_end1725-_ZN7rocprim17ROCPRIM_400000_NS6detail17trampoline_kernelINS0_14default_configENS1_25partition_config_selectorILNS1_17partition_subalgoE9EllbEEZZNS1_14partition_implILS5_9ELb0ES3_jPlS8_PNS0_10empty_typeENS0_5tupleIJS8_S9_EEENSB_IJS8_SA_EEENS0_18inequality_wrapperIZN2at6native12_GLOBAL__N_124unique_dim_cuda_templateImEESt5tupleIJNSF_6TensorESK_SK_EERKSK_lbbbEUlllE0_EEPmJS9_EEE10hipError_tPvRmT3_T4_T5_T6_T7_T9_mT8_P12ihipStream_tbDpT10_ENKUlT_T0_E_clISt17integral_constantIbLb1EES19_IbLb0EEEEDaS15_S16_EUlS15_E_NS1_11comp_targetILNS1_3genE3ELNS1_11target_archE908ELNS1_3gpuE7ELNS1_3repE0EEENS1_30default_config_static_selectorELNS0_4arch9wavefront6targetE1EEEvT1_
                                        ; -- End function
	.section	.AMDGPU.csdata,"",@progbits
; Kernel info:
; codeLenInByte = 0
; NumSgprs: 6
; NumVgprs: 0
; NumAgprs: 0
; TotalNumVgprs: 0
; ScratchSize: 0
; MemoryBound: 0
; FloatMode: 240
; IeeeMode: 1
; LDSByteSize: 0 bytes/workgroup (compile time only)
; SGPRBlocks: 0
; VGPRBlocks: 0
; NumSGPRsForWavesPerEU: 6
; NumVGPRsForWavesPerEU: 1
; AccumOffset: 4
; Occupancy: 8
; WaveLimiterHint : 0
; COMPUTE_PGM_RSRC2:SCRATCH_EN: 0
; COMPUTE_PGM_RSRC2:USER_SGPR: 2
; COMPUTE_PGM_RSRC2:TRAP_HANDLER: 0
; COMPUTE_PGM_RSRC2:TGID_X_EN: 1
; COMPUTE_PGM_RSRC2:TGID_Y_EN: 0
; COMPUTE_PGM_RSRC2:TGID_Z_EN: 0
; COMPUTE_PGM_RSRC2:TIDIG_COMP_CNT: 0
; COMPUTE_PGM_RSRC3_GFX90A:ACCUM_OFFSET: 0
; COMPUTE_PGM_RSRC3_GFX90A:TG_SPLIT: 0
	.section	.text._ZN7rocprim17ROCPRIM_400000_NS6detail17trampoline_kernelINS0_14default_configENS1_25partition_config_selectorILNS1_17partition_subalgoE9EllbEEZZNS1_14partition_implILS5_9ELb0ES3_jPlS8_PNS0_10empty_typeENS0_5tupleIJS8_S9_EEENSB_IJS8_SA_EEENS0_18inequality_wrapperIZN2at6native12_GLOBAL__N_124unique_dim_cuda_templateImEESt5tupleIJNSF_6TensorESK_SK_EERKSK_lbbbEUlllE0_EEPmJS9_EEE10hipError_tPvRmT3_T4_T5_T6_T7_T9_mT8_P12ihipStream_tbDpT10_ENKUlT_T0_E_clISt17integral_constantIbLb1EES19_IbLb0EEEEDaS15_S16_EUlS15_E_NS1_11comp_targetILNS1_3genE2ELNS1_11target_archE906ELNS1_3gpuE6ELNS1_3repE0EEENS1_30default_config_static_selectorELNS0_4arch9wavefront6targetE1EEEvT1_,"axG",@progbits,_ZN7rocprim17ROCPRIM_400000_NS6detail17trampoline_kernelINS0_14default_configENS1_25partition_config_selectorILNS1_17partition_subalgoE9EllbEEZZNS1_14partition_implILS5_9ELb0ES3_jPlS8_PNS0_10empty_typeENS0_5tupleIJS8_S9_EEENSB_IJS8_SA_EEENS0_18inequality_wrapperIZN2at6native12_GLOBAL__N_124unique_dim_cuda_templateImEESt5tupleIJNSF_6TensorESK_SK_EERKSK_lbbbEUlllE0_EEPmJS9_EEE10hipError_tPvRmT3_T4_T5_T6_T7_T9_mT8_P12ihipStream_tbDpT10_ENKUlT_T0_E_clISt17integral_constantIbLb1EES19_IbLb0EEEEDaS15_S16_EUlS15_E_NS1_11comp_targetILNS1_3genE2ELNS1_11target_archE906ELNS1_3gpuE6ELNS1_3repE0EEENS1_30default_config_static_selectorELNS0_4arch9wavefront6targetE1EEEvT1_,comdat
	.globl	_ZN7rocprim17ROCPRIM_400000_NS6detail17trampoline_kernelINS0_14default_configENS1_25partition_config_selectorILNS1_17partition_subalgoE9EllbEEZZNS1_14partition_implILS5_9ELb0ES3_jPlS8_PNS0_10empty_typeENS0_5tupleIJS8_S9_EEENSB_IJS8_SA_EEENS0_18inequality_wrapperIZN2at6native12_GLOBAL__N_124unique_dim_cuda_templateImEESt5tupleIJNSF_6TensorESK_SK_EERKSK_lbbbEUlllE0_EEPmJS9_EEE10hipError_tPvRmT3_T4_T5_T6_T7_T9_mT8_P12ihipStream_tbDpT10_ENKUlT_T0_E_clISt17integral_constantIbLb1EES19_IbLb0EEEEDaS15_S16_EUlS15_E_NS1_11comp_targetILNS1_3genE2ELNS1_11target_archE906ELNS1_3gpuE6ELNS1_3repE0EEENS1_30default_config_static_selectorELNS0_4arch9wavefront6targetE1EEEvT1_ ; -- Begin function _ZN7rocprim17ROCPRIM_400000_NS6detail17trampoline_kernelINS0_14default_configENS1_25partition_config_selectorILNS1_17partition_subalgoE9EllbEEZZNS1_14partition_implILS5_9ELb0ES3_jPlS8_PNS0_10empty_typeENS0_5tupleIJS8_S9_EEENSB_IJS8_SA_EEENS0_18inequality_wrapperIZN2at6native12_GLOBAL__N_124unique_dim_cuda_templateImEESt5tupleIJNSF_6TensorESK_SK_EERKSK_lbbbEUlllE0_EEPmJS9_EEE10hipError_tPvRmT3_T4_T5_T6_T7_T9_mT8_P12ihipStream_tbDpT10_ENKUlT_T0_E_clISt17integral_constantIbLb1EES19_IbLb0EEEEDaS15_S16_EUlS15_E_NS1_11comp_targetILNS1_3genE2ELNS1_11target_archE906ELNS1_3gpuE6ELNS1_3repE0EEENS1_30default_config_static_selectorELNS0_4arch9wavefront6targetE1EEEvT1_
	.p2align	8
	.type	_ZN7rocprim17ROCPRIM_400000_NS6detail17trampoline_kernelINS0_14default_configENS1_25partition_config_selectorILNS1_17partition_subalgoE9EllbEEZZNS1_14partition_implILS5_9ELb0ES3_jPlS8_PNS0_10empty_typeENS0_5tupleIJS8_S9_EEENSB_IJS8_SA_EEENS0_18inequality_wrapperIZN2at6native12_GLOBAL__N_124unique_dim_cuda_templateImEESt5tupleIJNSF_6TensorESK_SK_EERKSK_lbbbEUlllE0_EEPmJS9_EEE10hipError_tPvRmT3_T4_T5_T6_T7_T9_mT8_P12ihipStream_tbDpT10_ENKUlT_T0_E_clISt17integral_constantIbLb1EES19_IbLb0EEEEDaS15_S16_EUlS15_E_NS1_11comp_targetILNS1_3genE2ELNS1_11target_archE906ELNS1_3gpuE6ELNS1_3repE0EEENS1_30default_config_static_selectorELNS0_4arch9wavefront6targetE1EEEvT1_,@function
_ZN7rocprim17ROCPRIM_400000_NS6detail17trampoline_kernelINS0_14default_configENS1_25partition_config_selectorILNS1_17partition_subalgoE9EllbEEZZNS1_14partition_implILS5_9ELb0ES3_jPlS8_PNS0_10empty_typeENS0_5tupleIJS8_S9_EEENSB_IJS8_SA_EEENS0_18inequality_wrapperIZN2at6native12_GLOBAL__N_124unique_dim_cuda_templateImEESt5tupleIJNSF_6TensorESK_SK_EERKSK_lbbbEUlllE0_EEPmJS9_EEE10hipError_tPvRmT3_T4_T5_T6_T7_T9_mT8_P12ihipStream_tbDpT10_ENKUlT_T0_E_clISt17integral_constantIbLb1EES19_IbLb0EEEEDaS15_S16_EUlS15_E_NS1_11comp_targetILNS1_3genE2ELNS1_11target_archE906ELNS1_3gpuE6ELNS1_3repE0EEENS1_30default_config_static_selectorELNS0_4arch9wavefront6targetE1EEEvT1_: ; @_ZN7rocprim17ROCPRIM_400000_NS6detail17trampoline_kernelINS0_14default_configENS1_25partition_config_selectorILNS1_17partition_subalgoE9EllbEEZZNS1_14partition_implILS5_9ELb0ES3_jPlS8_PNS0_10empty_typeENS0_5tupleIJS8_S9_EEENSB_IJS8_SA_EEENS0_18inequality_wrapperIZN2at6native12_GLOBAL__N_124unique_dim_cuda_templateImEESt5tupleIJNSF_6TensorESK_SK_EERKSK_lbbbEUlllE0_EEPmJS9_EEE10hipError_tPvRmT3_T4_T5_T6_T7_T9_mT8_P12ihipStream_tbDpT10_ENKUlT_T0_E_clISt17integral_constantIbLb1EES19_IbLb0EEEEDaS15_S16_EUlS15_E_NS1_11comp_targetILNS1_3genE2ELNS1_11target_archE906ELNS1_3gpuE6ELNS1_3repE0EEENS1_30default_config_static_selectorELNS0_4arch9wavefront6targetE1EEEvT1_
; %bb.0:
	.section	.rodata,"a",@progbits
	.p2align	6, 0x0
	.amdhsa_kernel _ZN7rocprim17ROCPRIM_400000_NS6detail17trampoline_kernelINS0_14default_configENS1_25partition_config_selectorILNS1_17partition_subalgoE9EllbEEZZNS1_14partition_implILS5_9ELb0ES3_jPlS8_PNS0_10empty_typeENS0_5tupleIJS8_S9_EEENSB_IJS8_SA_EEENS0_18inequality_wrapperIZN2at6native12_GLOBAL__N_124unique_dim_cuda_templateImEESt5tupleIJNSF_6TensorESK_SK_EERKSK_lbbbEUlllE0_EEPmJS9_EEE10hipError_tPvRmT3_T4_T5_T6_T7_T9_mT8_P12ihipStream_tbDpT10_ENKUlT_T0_E_clISt17integral_constantIbLb1EES19_IbLb0EEEEDaS15_S16_EUlS15_E_NS1_11comp_targetILNS1_3genE2ELNS1_11target_archE906ELNS1_3gpuE6ELNS1_3repE0EEENS1_30default_config_static_selectorELNS0_4arch9wavefront6targetE1EEEvT1_
		.amdhsa_group_segment_fixed_size 0
		.amdhsa_private_segment_fixed_size 0
		.amdhsa_kernarg_size 120
		.amdhsa_user_sgpr_count 2
		.amdhsa_user_sgpr_dispatch_ptr 0
		.amdhsa_user_sgpr_queue_ptr 0
		.amdhsa_user_sgpr_kernarg_segment_ptr 1
		.amdhsa_user_sgpr_dispatch_id 0
		.amdhsa_user_sgpr_kernarg_preload_length 0
		.amdhsa_user_sgpr_kernarg_preload_offset 0
		.amdhsa_user_sgpr_private_segment_size 0
		.amdhsa_uses_dynamic_stack 0
		.amdhsa_enable_private_segment 0
		.amdhsa_system_sgpr_workgroup_id_x 1
		.amdhsa_system_sgpr_workgroup_id_y 0
		.amdhsa_system_sgpr_workgroup_id_z 0
		.amdhsa_system_sgpr_workgroup_info 0
		.amdhsa_system_vgpr_workitem_id 0
		.amdhsa_next_free_vgpr 1
		.amdhsa_next_free_sgpr 0
		.amdhsa_accum_offset 4
		.amdhsa_reserve_vcc 0
		.amdhsa_float_round_mode_32 0
		.amdhsa_float_round_mode_16_64 0
		.amdhsa_float_denorm_mode_32 3
		.amdhsa_float_denorm_mode_16_64 3
		.amdhsa_dx10_clamp 1
		.amdhsa_ieee_mode 1
		.amdhsa_fp16_overflow 0
		.amdhsa_tg_split 0
		.amdhsa_exception_fp_ieee_invalid_op 0
		.amdhsa_exception_fp_denorm_src 0
		.amdhsa_exception_fp_ieee_div_zero 0
		.amdhsa_exception_fp_ieee_overflow 0
		.amdhsa_exception_fp_ieee_underflow 0
		.amdhsa_exception_fp_ieee_inexact 0
		.amdhsa_exception_int_div_zero 0
	.end_amdhsa_kernel
	.section	.text._ZN7rocprim17ROCPRIM_400000_NS6detail17trampoline_kernelINS0_14default_configENS1_25partition_config_selectorILNS1_17partition_subalgoE9EllbEEZZNS1_14partition_implILS5_9ELb0ES3_jPlS8_PNS0_10empty_typeENS0_5tupleIJS8_S9_EEENSB_IJS8_SA_EEENS0_18inequality_wrapperIZN2at6native12_GLOBAL__N_124unique_dim_cuda_templateImEESt5tupleIJNSF_6TensorESK_SK_EERKSK_lbbbEUlllE0_EEPmJS9_EEE10hipError_tPvRmT3_T4_T5_T6_T7_T9_mT8_P12ihipStream_tbDpT10_ENKUlT_T0_E_clISt17integral_constantIbLb1EES19_IbLb0EEEEDaS15_S16_EUlS15_E_NS1_11comp_targetILNS1_3genE2ELNS1_11target_archE906ELNS1_3gpuE6ELNS1_3repE0EEENS1_30default_config_static_selectorELNS0_4arch9wavefront6targetE1EEEvT1_,"axG",@progbits,_ZN7rocprim17ROCPRIM_400000_NS6detail17trampoline_kernelINS0_14default_configENS1_25partition_config_selectorILNS1_17partition_subalgoE9EllbEEZZNS1_14partition_implILS5_9ELb0ES3_jPlS8_PNS0_10empty_typeENS0_5tupleIJS8_S9_EEENSB_IJS8_SA_EEENS0_18inequality_wrapperIZN2at6native12_GLOBAL__N_124unique_dim_cuda_templateImEESt5tupleIJNSF_6TensorESK_SK_EERKSK_lbbbEUlllE0_EEPmJS9_EEE10hipError_tPvRmT3_T4_T5_T6_T7_T9_mT8_P12ihipStream_tbDpT10_ENKUlT_T0_E_clISt17integral_constantIbLb1EES19_IbLb0EEEEDaS15_S16_EUlS15_E_NS1_11comp_targetILNS1_3genE2ELNS1_11target_archE906ELNS1_3gpuE6ELNS1_3repE0EEENS1_30default_config_static_selectorELNS0_4arch9wavefront6targetE1EEEvT1_,comdat
.Lfunc_end1726:
	.size	_ZN7rocprim17ROCPRIM_400000_NS6detail17trampoline_kernelINS0_14default_configENS1_25partition_config_selectorILNS1_17partition_subalgoE9EllbEEZZNS1_14partition_implILS5_9ELb0ES3_jPlS8_PNS0_10empty_typeENS0_5tupleIJS8_S9_EEENSB_IJS8_SA_EEENS0_18inequality_wrapperIZN2at6native12_GLOBAL__N_124unique_dim_cuda_templateImEESt5tupleIJNSF_6TensorESK_SK_EERKSK_lbbbEUlllE0_EEPmJS9_EEE10hipError_tPvRmT3_T4_T5_T6_T7_T9_mT8_P12ihipStream_tbDpT10_ENKUlT_T0_E_clISt17integral_constantIbLb1EES19_IbLb0EEEEDaS15_S16_EUlS15_E_NS1_11comp_targetILNS1_3genE2ELNS1_11target_archE906ELNS1_3gpuE6ELNS1_3repE0EEENS1_30default_config_static_selectorELNS0_4arch9wavefront6targetE1EEEvT1_, .Lfunc_end1726-_ZN7rocprim17ROCPRIM_400000_NS6detail17trampoline_kernelINS0_14default_configENS1_25partition_config_selectorILNS1_17partition_subalgoE9EllbEEZZNS1_14partition_implILS5_9ELb0ES3_jPlS8_PNS0_10empty_typeENS0_5tupleIJS8_S9_EEENSB_IJS8_SA_EEENS0_18inequality_wrapperIZN2at6native12_GLOBAL__N_124unique_dim_cuda_templateImEESt5tupleIJNSF_6TensorESK_SK_EERKSK_lbbbEUlllE0_EEPmJS9_EEE10hipError_tPvRmT3_T4_T5_T6_T7_T9_mT8_P12ihipStream_tbDpT10_ENKUlT_T0_E_clISt17integral_constantIbLb1EES19_IbLb0EEEEDaS15_S16_EUlS15_E_NS1_11comp_targetILNS1_3genE2ELNS1_11target_archE906ELNS1_3gpuE6ELNS1_3repE0EEENS1_30default_config_static_selectorELNS0_4arch9wavefront6targetE1EEEvT1_
                                        ; -- End function
	.section	.AMDGPU.csdata,"",@progbits
; Kernel info:
; codeLenInByte = 0
; NumSgprs: 6
; NumVgprs: 0
; NumAgprs: 0
; TotalNumVgprs: 0
; ScratchSize: 0
; MemoryBound: 0
; FloatMode: 240
; IeeeMode: 1
; LDSByteSize: 0 bytes/workgroup (compile time only)
; SGPRBlocks: 0
; VGPRBlocks: 0
; NumSGPRsForWavesPerEU: 6
; NumVGPRsForWavesPerEU: 1
; AccumOffset: 4
; Occupancy: 8
; WaveLimiterHint : 0
; COMPUTE_PGM_RSRC2:SCRATCH_EN: 0
; COMPUTE_PGM_RSRC2:USER_SGPR: 2
; COMPUTE_PGM_RSRC2:TRAP_HANDLER: 0
; COMPUTE_PGM_RSRC2:TGID_X_EN: 1
; COMPUTE_PGM_RSRC2:TGID_Y_EN: 0
; COMPUTE_PGM_RSRC2:TGID_Z_EN: 0
; COMPUTE_PGM_RSRC2:TIDIG_COMP_CNT: 0
; COMPUTE_PGM_RSRC3_GFX90A:ACCUM_OFFSET: 0
; COMPUTE_PGM_RSRC3_GFX90A:TG_SPLIT: 0
	.section	.text._ZN7rocprim17ROCPRIM_400000_NS6detail17trampoline_kernelINS0_14default_configENS1_25partition_config_selectorILNS1_17partition_subalgoE9EllbEEZZNS1_14partition_implILS5_9ELb0ES3_jPlS8_PNS0_10empty_typeENS0_5tupleIJS8_S9_EEENSB_IJS8_SA_EEENS0_18inequality_wrapperIZN2at6native12_GLOBAL__N_124unique_dim_cuda_templateImEESt5tupleIJNSF_6TensorESK_SK_EERKSK_lbbbEUlllE0_EEPmJS9_EEE10hipError_tPvRmT3_T4_T5_T6_T7_T9_mT8_P12ihipStream_tbDpT10_ENKUlT_T0_E_clISt17integral_constantIbLb1EES19_IbLb0EEEEDaS15_S16_EUlS15_E_NS1_11comp_targetILNS1_3genE10ELNS1_11target_archE1200ELNS1_3gpuE4ELNS1_3repE0EEENS1_30default_config_static_selectorELNS0_4arch9wavefront6targetE1EEEvT1_,"axG",@progbits,_ZN7rocprim17ROCPRIM_400000_NS6detail17trampoline_kernelINS0_14default_configENS1_25partition_config_selectorILNS1_17partition_subalgoE9EllbEEZZNS1_14partition_implILS5_9ELb0ES3_jPlS8_PNS0_10empty_typeENS0_5tupleIJS8_S9_EEENSB_IJS8_SA_EEENS0_18inequality_wrapperIZN2at6native12_GLOBAL__N_124unique_dim_cuda_templateImEESt5tupleIJNSF_6TensorESK_SK_EERKSK_lbbbEUlllE0_EEPmJS9_EEE10hipError_tPvRmT3_T4_T5_T6_T7_T9_mT8_P12ihipStream_tbDpT10_ENKUlT_T0_E_clISt17integral_constantIbLb1EES19_IbLb0EEEEDaS15_S16_EUlS15_E_NS1_11comp_targetILNS1_3genE10ELNS1_11target_archE1200ELNS1_3gpuE4ELNS1_3repE0EEENS1_30default_config_static_selectorELNS0_4arch9wavefront6targetE1EEEvT1_,comdat
	.globl	_ZN7rocprim17ROCPRIM_400000_NS6detail17trampoline_kernelINS0_14default_configENS1_25partition_config_selectorILNS1_17partition_subalgoE9EllbEEZZNS1_14partition_implILS5_9ELb0ES3_jPlS8_PNS0_10empty_typeENS0_5tupleIJS8_S9_EEENSB_IJS8_SA_EEENS0_18inequality_wrapperIZN2at6native12_GLOBAL__N_124unique_dim_cuda_templateImEESt5tupleIJNSF_6TensorESK_SK_EERKSK_lbbbEUlllE0_EEPmJS9_EEE10hipError_tPvRmT3_T4_T5_T6_T7_T9_mT8_P12ihipStream_tbDpT10_ENKUlT_T0_E_clISt17integral_constantIbLb1EES19_IbLb0EEEEDaS15_S16_EUlS15_E_NS1_11comp_targetILNS1_3genE10ELNS1_11target_archE1200ELNS1_3gpuE4ELNS1_3repE0EEENS1_30default_config_static_selectorELNS0_4arch9wavefront6targetE1EEEvT1_ ; -- Begin function _ZN7rocprim17ROCPRIM_400000_NS6detail17trampoline_kernelINS0_14default_configENS1_25partition_config_selectorILNS1_17partition_subalgoE9EllbEEZZNS1_14partition_implILS5_9ELb0ES3_jPlS8_PNS0_10empty_typeENS0_5tupleIJS8_S9_EEENSB_IJS8_SA_EEENS0_18inequality_wrapperIZN2at6native12_GLOBAL__N_124unique_dim_cuda_templateImEESt5tupleIJNSF_6TensorESK_SK_EERKSK_lbbbEUlllE0_EEPmJS9_EEE10hipError_tPvRmT3_T4_T5_T6_T7_T9_mT8_P12ihipStream_tbDpT10_ENKUlT_T0_E_clISt17integral_constantIbLb1EES19_IbLb0EEEEDaS15_S16_EUlS15_E_NS1_11comp_targetILNS1_3genE10ELNS1_11target_archE1200ELNS1_3gpuE4ELNS1_3repE0EEENS1_30default_config_static_selectorELNS0_4arch9wavefront6targetE1EEEvT1_
	.p2align	8
	.type	_ZN7rocprim17ROCPRIM_400000_NS6detail17trampoline_kernelINS0_14default_configENS1_25partition_config_selectorILNS1_17partition_subalgoE9EllbEEZZNS1_14partition_implILS5_9ELb0ES3_jPlS8_PNS0_10empty_typeENS0_5tupleIJS8_S9_EEENSB_IJS8_SA_EEENS0_18inequality_wrapperIZN2at6native12_GLOBAL__N_124unique_dim_cuda_templateImEESt5tupleIJNSF_6TensorESK_SK_EERKSK_lbbbEUlllE0_EEPmJS9_EEE10hipError_tPvRmT3_T4_T5_T6_T7_T9_mT8_P12ihipStream_tbDpT10_ENKUlT_T0_E_clISt17integral_constantIbLb1EES19_IbLb0EEEEDaS15_S16_EUlS15_E_NS1_11comp_targetILNS1_3genE10ELNS1_11target_archE1200ELNS1_3gpuE4ELNS1_3repE0EEENS1_30default_config_static_selectorELNS0_4arch9wavefront6targetE1EEEvT1_,@function
_ZN7rocprim17ROCPRIM_400000_NS6detail17trampoline_kernelINS0_14default_configENS1_25partition_config_selectorILNS1_17partition_subalgoE9EllbEEZZNS1_14partition_implILS5_9ELb0ES3_jPlS8_PNS0_10empty_typeENS0_5tupleIJS8_S9_EEENSB_IJS8_SA_EEENS0_18inequality_wrapperIZN2at6native12_GLOBAL__N_124unique_dim_cuda_templateImEESt5tupleIJNSF_6TensorESK_SK_EERKSK_lbbbEUlllE0_EEPmJS9_EEE10hipError_tPvRmT3_T4_T5_T6_T7_T9_mT8_P12ihipStream_tbDpT10_ENKUlT_T0_E_clISt17integral_constantIbLb1EES19_IbLb0EEEEDaS15_S16_EUlS15_E_NS1_11comp_targetILNS1_3genE10ELNS1_11target_archE1200ELNS1_3gpuE4ELNS1_3repE0EEENS1_30default_config_static_selectorELNS0_4arch9wavefront6targetE1EEEvT1_: ; @_ZN7rocprim17ROCPRIM_400000_NS6detail17trampoline_kernelINS0_14default_configENS1_25partition_config_selectorILNS1_17partition_subalgoE9EllbEEZZNS1_14partition_implILS5_9ELb0ES3_jPlS8_PNS0_10empty_typeENS0_5tupleIJS8_S9_EEENSB_IJS8_SA_EEENS0_18inequality_wrapperIZN2at6native12_GLOBAL__N_124unique_dim_cuda_templateImEESt5tupleIJNSF_6TensorESK_SK_EERKSK_lbbbEUlllE0_EEPmJS9_EEE10hipError_tPvRmT3_T4_T5_T6_T7_T9_mT8_P12ihipStream_tbDpT10_ENKUlT_T0_E_clISt17integral_constantIbLb1EES19_IbLb0EEEEDaS15_S16_EUlS15_E_NS1_11comp_targetILNS1_3genE10ELNS1_11target_archE1200ELNS1_3gpuE4ELNS1_3repE0EEENS1_30default_config_static_selectorELNS0_4arch9wavefront6targetE1EEEvT1_
; %bb.0:
	.section	.rodata,"a",@progbits
	.p2align	6, 0x0
	.amdhsa_kernel _ZN7rocprim17ROCPRIM_400000_NS6detail17trampoline_kernelINS0_14default_configENS1_25partition_config_selectorILNS1_17partition_subalgoE9EllbEEZZNS1_14partition_implILS5_9ELb0ES3_jPlS8_PNS0_10empty_typeENS0_5tupleIJS8_S9_EEENSB_IJS8_SA_EEENS0_18inequality_wrapperIZN2at6native12_GLOBAL__N_124unique_dim_cuda_templateImEESt5tupleIJNSF_6TensorESK_SK_EERKSK_lbbbEUlllE0_EEPmJS9_EEE10hipError_tPvRmT3_T4_T5_T6_T7_T9_mT8_P12ihipStream_tbDpT10_ENKUlT_T0_E_clISt17integral_constantIbLb1EES19_IbLb0EEEEDaS15_S16_EUlS15_E_NS1_11comp_targetILNS1_3genE10ELNS1_11target_archE1200ELNS1_3gpuE4ELNS1_3repE0EEENS1_30default_config_static_selectorELNS0_4arch9wavefront6targetE1EEEvT1_
		.amdhsa_group_segment_fixed_size 0
		.amdhsa_private_segment_fixed_size 0
		.amdhsa_kernarg_size 120
		.amdhsa_user_sgpr_count 2
		.amdhsa_user_sgpr_dispatch_ptr 0
		.amdhsa_user_sgpr_queue_ptr 0
		.amdhsa_user_sgpr_kernarg_segment_ptr 1
		.amdhsa_user_sgpr_dispatch_id 0
		.amdhsa_user_sgpr_kernarg_preload_length 0
		.amdhsa_user_sgpr_kernarg_preload_offset 0
		.amdhsa_user_sgpr_private_segment_size 0
		.amdhsa_uses_dynamic_stack 0
		.amdhsa_enable_private_segment 0
		.amdhsa_system_sgpr_workgroup_id_x 1
		.amdhsa_system_sgpr_workgroup_id_y 0
		.amdhsa_system_sgpr_workgroup_id_z 0
		.amdhsa_system_sgpr_workgroup_info 0
		.amdhsa_system_vgpr_workitem_id 0
		.amdhsa_next_free_vgpr 1
		.amdhsa_next_free_sgpr 0
		.amdhsa_accum_offset 4
		.amdhsa_reserve_vcc 0
		.amdhsa_float_round_mode_32 0
		.amdhsa_float_round_mode_16_64 0
		.amdhsa_float_denorm_mode_32 3
		.amdhsa_float_denorm_mode_16_64 3
		.amdhsa_dx10_clamp 1
		.amdhsa_ieee_mode 1
		.amdhsa_fp16_overflow 0
		.amdhsa_tg_split 0
		.amdhsa_exception_fp_ieee_invalid_op 0
		.amdhsa_exception_fp_denorm_src 0
		.amdhsa_exception_fp_ieee_div_zero 0
		.amdhsa_exception_fp_ieee_overflow 0
		.amdhsa_exception_fp_ieee_underflow 0
		.amdhsa_exception_fp_ieee_inexact 0
		.amdhsa_exception_int_div_zero 0
	.end_amdhsa_kernel
	.section	.text._ZN7rocprim17ROCPRIM_400000_NS6detail17trampoline_kernelINS0_14default_configENS1_25partition_config_selectorILNS1_17partition_subalgoE9EllbEEZZNS1_14partition_implILS5_9ELb0ES3_jPlS8_PNS0_10empty_typeENS0_5tupleIJS8_S9_EEENSB_IJS8_SA_EEENS0_18inequality_wrapperIZN2at6native12_GLOBAL__N_124unique_dim_cuda_templateImEESt5tupleIJNSF_6TensorESK_SK_EERKSK_lbbbEUlllE0_EEPmJS9_EEE10hipError_tPvRmT3_T4_T5_T6_T7_T9_mT8_P12ihipStream_tbDpT10_ENKUlT_T0_E_clISt17integral_constantIbLb1EES19_IbLb0EEEEDaS15_S16_EUlS15_E_NS1_11comp_targetILNS1_3genE10ELNS1_11target_archE1200ELNS1_3gpuE4ELNS1_3repE0EEENS1_30default_config_static_selectorELNS0_4arch9wavefront6targetE1EEEvT1_,"axG",@progbits,_ZN7rocprim17ROCPRIM_400000_NS6detail17trampoline_kernelINS0_14default_configENS1_25partition_config_selectorILNS1_17partition_subalgoE9EllbEEZZNS1_14partition_implILS5_9ELb0ES3_jPlS8_PNS0_10empty_typeENS0_5tupleIJS8_S9_EEENSB_IJS8_SA_EEENS0_18inequality_wrapperIZN2at6native12_GLOBAL__N_124unique_dim_cuda_templateImEESt5tupleIJNSF_6TensorESK_SK_EERKSK_lbbbEUlllE0_EEPmJS9_EEE10hipError_tPvRmT3_T4_T5_T6_T7_T9_mT8_P12ihipStream_tbDpT10_ENKUlT_T0_E_clISt17integral_constantIbLb1EES19_IbLb0EEEEDaS15_S16_EUlS15_E_NS1_11comp_targetILNS1_3genE10ELNS1_11target_archE1200ELNS1_3gpuE4ELNS1_3repE0EEENS1_30default_config_static_selectorELNS0_4arch9wavefront6targetE1EEEvT1_,comdat
.Lfunc_end1727:
	.size	_ZN7rocprim17ROCPRIM_400000_NS6detail17trampoline_kernelINS0_14default_configENS1_25partition_config_selectorILNS1_17partition_subalgoE9EllbEEZZNS1_14partition_implILS5_9ELb0ES3_jPlS8_PNS0_10empty_typeENS0_5tupleIJS8_S9_EEENSB_IJS8_SA_EEENS0_18inequality_wrapperIZN2at6native12_GLOBAL__N_124unique_dim_cuda_templateImEESt5tupleIJNSF_6TensorESK_SK_EERKSK_lbbbEUlllE0_EEPmJS9_EEE10hipError_tPvRmT3_T4_T5_T6_T7_T9_mT8_P12ihipStream_tbDpT10_ENKUlT_T0_E_clISt17integral_constantIbLb1EES19_IbLb0EEEEDaS15_S16_EUlS15_E_NS1_11comp_targetILNS1_3genE10ELNS1_11target_archE1200ELNS1_3gpuE4ELNS1_3repE0EEENS1_30default_config_static_selectorELNS0_4arch9wavefront6targetE1EEEvT1_, .Lfunc_end1727-_ZN7rocprim17ROCPRIM_400000_NS6detail17trampoline_kernelINS0_14default_configENS1_25partition_config_selectorILNS1_17partition_subalgoE9EllbEEZZNS1_14partition_implILS5_9ELb0ES3_jPlS8_PNS0_10empty_typeENS0_5tupleIJS8_S9_EEENSB_IJS8_SA_EEENS0_18inequality_wrapperIZN2at6native12_GLOBAL__N_124unique_dim_cuda_templateImEESt5tupleIJNSF_6TensorESK_SK_EERKSK_lbbbEUlllE0_EEPmJS9_EEE10hipError_tPvRmT3_T4_T5_T6_T7_T9_mT8_P12ihipStream_tbDpT10_ENKUlT_T0_E_clISt17integral_constantIbLb1EES19_IbLb0EEEEDaS15_S16_EUlS15_E_NS1_11comp_targetILNS1_3genE10ELNS1_11target_archE1200ELNS1_3gpuE4ELNS1_3repE0EEENS1_30default_config_static_selectorELNS0_4arch9wavefront6targetE1EEEvT1_
                                        ; -- End function
	.section	.AMDGPU.csdata,"",@progbits
; Kernel info:
; codeLenInByte = 0
; NumSgprs: 6
; NumVgprs: 0
; NumAgprs: 0
; TotalNumVgprs: 0
; ScratchSize: 0
; MemoryBound: 0
; FloatMode: 240
; IeeeMode: 1
; LDSByteSize: 0 bytes/workgroup (compile time only)
; SGPRBlocks: 0
; VGPRBlocks: 0
; NumSGPRsForWavesPerEU: 6
; NumVGPRsForWavesPerEU: 1
; AccumOffset: 4
; Occupancy: 8
; WaveLimiterHint : 0
; COMPUTE_PGM_RSRC2:SCRATCH_EN: 0
; COMPUTE_PGM_RSRC2:USER_SGPR: 2
; COMPUTE_PGM_RSRC2:TRAP_HANDLER: 0
; COMPUTE_PGM_RSRC2:TGID_X_EN: 1
; COMPUTE_PGM_RSRC2:TGID_Y_EN: 0
; COMPUTE_PGM_RSRC2:TGID_Z_EN: 0
; COMPUTE_PGM_RSRC2:TIDIG_COMP_CNT: 0
; COMPUTE_PGM_RSRC3_GFX90A:ACCUM_OFFSET: 0
; COMPUTE_PGM_RSRC3_GFX90A:TG_SPLIT: 0
	.section	.text._ZN7rocprim17ROCPRIM_400000_NS6detail17trampoline_kernelINS0_14default_configENS1_25partition_config_selectorILNS1_17partition_subalgoE9EllbEEZZNS1_14partition_implILS5_9ELb0ES3_jPlS8_PNS0_10empty_typeENS0_5tupleIJS8_S9_EEENSB_IJS8_SA_EEENS0_18inequality_wrapperIZN2at6native12_GLOBAL__N_124unique_dim_cuda_templateImEESt5tupleIJNSF_6TensorESK_SK_EERKSK_lbbbEUlllE0_EEPmJS9_EEE10hipError_tPvRmT3_T4_T5_T6_T7_T9_mT8_P12ihipStream_tbDpT10_ENKUlT_T0_E_clISt17integral_constantIbLb1EES19_IbLb0EEEEDaS15_S16_EUlS15_E_NS1_11comp_targetILNS1_3genE9ELNS1_11target_archE1100ELNS1_3gpuE3ELNS1_3repE0EEENS1_30default_config_static_selectorELNS0_4arch9wavefront6targetE1EEEvT1_,"axG",@progbits,_ZN7rocprim17ROCPRIM_400000_NS6detail17trampoline_kernelINS0_14default_configENS1_25partition_config_selectorILNS1_17partition_subalgoE9EllbEEZZNS1_14partition_implILS5_9ELb0ES3_jPlS8_PNS0_10empty_typeENS0_5tupleIJS8_S9_EEENSB_IJS8_SA_EEENS0_18inequality_wrapperIZN2at6native12_GLOBAL__N_124unique_dim_cuda_templateImEESt5tupleIJNSF_6TensorESK_SK_EERKSK_lbbbEUlllE0_EEPmJS9_EEE10hipError_tPvRmT3_T4_T5_T6_T7_T9_mT8_P12ihipStream_tbDpT10_ENKUlT_T0_E_clISt17integral_constantIbLb1EES19_IbLb0EEEEDaS15_S16_EUlS15_E_NS1_11comp_targetILNS1_3genE9ELNS1_11target_archE1100ELNS1_3gpuE3ELNS1_3repE0EEENS1_30default_config_static_selectorELNS0_4arch9wavefront6targetE1EEEvT1_,comdat
	.globl	_ZN7rocprim17ROCPRIM_400000_NS6detail17trampoline_kernelINS0_14default_configENS1_25partition_config_selectorILNS1_17partition_subalgoE9EllbEEZZNS1_14partition_implILS5_9ELb0ES3_jPlS8_PNS0_10empty_typeENS0_5tupleIJS8_S9_EEENSB_IJS8_SA_EEENS0_18inequality_wrapperIZN2at6native12_GLOBAL__N_124unique_dim_cuda_templateImEESt5tupleIJNSF_6TensorESK_SK_EERKSK_lbbbEUlllE0_EEPmJS9_EEE10hipError_tPvRmT3_T4_T5_T6_T7_T9_mT8_P12ihipStream_tbDpT10_ENKUlT_T0_E_clISt17integral_constantIbLb1EES19_IbLb0EEEEDaS15_S16_EUlS15_E_NS1_11comp_targetILNS1_3genE9ELNS1_11target_archE1100ELNS1_3gpuE3ELNS1_3repE0EEENS1_30default_config_static_selectorELNS0_4arch9wavefront6targetE1EEEvT1_ ; -- Begin function _ZN7rocprim17ROCPRIM_400000_NS6detail17trampoline_kernelINS0_14default_configENS1_25partition_config_selectorILNS1_17partition_subalgoE9EllbEEZZNS1_14partition_implILS5_9ELb0ES3_jPlS8_PNS0_10empty_typeENS0_5tupleIJS8_S9_EEENSB_IJS8_SA_EEENS0_18inequality_wrapperIZN2at6native12_GLOBAL__N_124unique_dim_cuda_templateImEESt5tupleIJNSF_6TensorESK_SK_EERKSK_lbbbEUlllE0_EEPmJS9_EEE10hipError_tPvRmT3_T4_T5_T6_T7_T9_mT8_P12ihipStream_tbDpT10_ENKUlT_T0_E_clISt17integral_constantIbLb1EES19_IbLb0EEEEDaS15_S16_EUlS15_E_NS1_11comp_targetILNS1_3genE9ELNS1_11target_archE1100ELNS1_3gpuE3ELNS1_3repE0EEENS1_30default_config_static_selectorELNS0_4arch9wavefront6targetE1EEEvT1_
	.p2align	8
	.type	_ZN7rocprim17ROCPRIM_400000_NS6detail17trampoline_kernelINS0_14default_configENS1_25partition_config_selectorILNS1_17partition_subalgoE9EllbEEZZNS1_14partition_implILS5_9ELb0ES3_jPlS8_PNS0_10empty_typeENS0_5tupleIJS8_S9_EEENSB_IJS8_SA_EEENS0_18inequality_wrapperIZN2at6native12_GLOBAL__N_124unique_dim_cuda_templateImEESt5tupleIJNSF_6TensorESK_SK_EERKSK_lbbbEUlllE0_EEPmJS9_EEE10hipError_tPvRmT3_T4_T5_T6_T7_T9_mT8_P12ihipStream_tbDpT10_ENKUlT_T0_E_clISt17integral_constantIbLb1EES19_IbLb0EEEEDaS15_S16_EUlS15_E_NS1_11comp_targetILNS1_3genE9ELNS1_11target_archE1100ELNS1_3gpuE3ELNS1_3repE0EEENS1_30default_config_static_selectorELNS0_4arch9wavefront6targetE1EEEvT1_,@function
_ZN7rocprim17ROCPRIM_400000_NS6detail17trampoline_kernelINS0_14default_configENS1_25partition_config_selectorILNS1_17partition_subalgoE9EllbEEZZNS1_14partition_implILS5_9ELb0ES3_jPlS8_PNS0_10empty_typeENS0_5tupleIJS8_S9_EEENSB_IJS8_SA_EEENS0_18inequality_wrapperIZN2at6native12_GLOBAL__N_124unique_dim_cuda_templateImEESt5tupleIJNSF_6TensorESK_SK_EERKSK_lbbbEUlllE0_EEPmJS9_EEE10hipError_tPvRmT3_T4_T5_T6_T7_T9_mT8_P12ihipStream_tbDpT10_ENKUlT_T0_E_clISt17integral_constantIbLb1EES19_IbLb0EEEEDaS15_S16_EUlS15_E_NS1_11comp_targetILNS1_3genE9ELNS1_11target_archE1100ELNS1_3gpuE3ELNS1_3repE0EEENS1_30default_config_static_selectorELNS0_4arch9wavefront6targetE1EEEvT1_: ; @_ZN7rocprim17ROCPRIM_400000_NS6detail17trampoline_kernelINS0_14default_configENS1_25partition_config_selectorILNS1_17partition_subalgoE9EllbEEZZNS1_14partition_implILS5_9ELb0ES3_jPlS8_PNS0_10empty_typeENS0_5tupleIJS8_S9_EEENSB_IJS8_SA_EEENS0_18inequality_wrapperIZN2at6native12_GLOBAL__N_124unique_dim_cuda_templateImEESt5tupleIJNSF_6TensorESK_SK_EERKSK_lbbbEUlllE0_EEPmJS9_EEE10hipError_tPvRmT3_T4_T5_T6_T7_T9_mT8_P12ihipStream_tbDpT10_ENKUlT_T0_E_clISt17integral_constantIbLb1EES19_IbLb0EEEEDaS15_S16_EUlS15_E_NS1_11comp_targetILNS1_3genE9ELNS1_11target_archE1100ELNS1_3gpuE3ELNS1_3repE0EEENS1_30default_config_static_selectorELNS0_4arch9wavefront6targetE1EEEvT1_
; %bb.0:
	.section	.rodata,"a",@progbits
	.p2align	6, 0x0
	.amdhsa_kernel _ZN7rocprim17ROCPRIM_400000_NS6detail17trampoline_kernelINS0_14default_configENS1_25partition_config_selectorILNS1_17partition_subalgoE9EllbEEZZNS1_14partition_implILS5_9ELb0ES3_jPlS8_PNS0_10empty_typeENS0_5tupleIJS8_S9_EEENSB_IJS8_SA_EEENS0_18inequality_wrapperIZN2at6native12_GLOBAL__N_124unique_dim_cuda_templateImEESt5tupleIJNSF_6TensorESK_SK_EERKSK_lbbbEUlllE0_EEPmJS9_EEE10hipError_tPvRmT3_T4_T5_T6_T7_T9_mT8_P12ihipStream_tbDpT10_ENKUlT_T0_E_clISt17integral_constantIbLb1EES19_IbLb0EEEEDaS15_S16_EUlS15_E_NS1_11comp_targetILNS1_3genE9ELNS1_11target_archE1100ELNS1_3gpuE3ELNS1_3repE0EEENS1_30default_config_static_selectorELNS0_4arch9wavefront6targetE1EEEvT1_
		.amdhsa_group_segment_fixed_size 0
		.amdhsa_private_segment_fixed_size 0
		.amdhsa_kernarg_size 120
		.amdhsa_user_sgpr_count 2
		.amdhsa_user_sgpr_dispatch_ptr 0
		.amdhsa_user_sgpr_queue_ptr 0
		.amdhsa_user_sgpr_kernarg_segment_ptr 1
		.amdhsa_user_sgpr_dispatch_id 0
		.amdhsa_user_sgpr_kernarg_preload_length 0
		.amdhsa_user_sgpr_kernarg_preload_offset 0
		.amdhsa_user_sgpr_private_segment_size 0
		.amdhsa_uses_dynamic_stack 0
		.amdhsa_enable_private_segment 0
		.amdhsa_system_sgpr_workgroup_id_x 1
		.amdhsa_system_sgpr_workgroup_id_y 0
		.amdhsa_system_sgpr_workgroup_id_z 0
		.amdhsa_system_sgpr_workgroup_info 0
		.amdhsa_system_vgpr_workitem_id 0
		.amdhsa_next_free_vgpr 1
		.amdhsa_next_free_sgpr 0
		.amdhsa_accum_offset 4
		.amdhsa_reserve_vcc 0
		.amdhsa_float_round_mode_32 0
		.amdhsa_float_round_mode_16_64 0
		.amdhsa_float_denorm_mode_32 3
		.amdhsa_float_denorm_mode_16_64 3
		.amdhsa_dx10_clamp 1
		.amdhsa_ieee_mode 1
		.amdhsa_fp16_overflow 0
		.amdhsa_tg_split 0
		.amdhsa_exception_fp_ieee_invalid_op 0
		.amdhsa_exception_fp_denorm_src 0
		.amdhsa_exception_fp_ieee_div_zero 0
		.amdhsa_exception_fp_ieee_overflow 0
		.amdhsa_exception_fp_ieee_underflow 0
		.amdhsa_exception_fp_ieee_inexact 0
		.amdhsa_exception_int_div_zero 0
	.end_amdhsa_kernel
	.section	.text._ZN7rocprim17ROCPRIM_400000_NS6detail17trampoline_kernelINS0_14default_configENS1_25partition_config_selectorILNS1_17partition_subalgoE9EllbEEZZNS1_14partition_implILS5_9ELb0ES3_jPlS8_PNS0_10empty_typeENS0_5tupleIJS8_S9_EEENSB_IJS8_SA_EEENS0_18inequality_wrapperIZN2at6native12_GLOBAL__N_124unique_dim_cuda_templateImEESt5tupleIJNSF_6TensorESK_SK_EERKSK_lbbbEUlllE0_EEPmJS9_EEE10hipError_tPvRmT3_T4_T5_T6_T7_T9_mT8_P12ihipStream_tbDpT10_ENKUlT_T0_E_clISt17integral_constantIbLb1EES19_IbLb0EEEEDaS15_S16_EUlS15_E_NS1_11comp_targetILNS1_3genE9ELNS1_11target_archE1100ELNS1_3gpuE3ELNS1_3repE0EEENS1_30default_config_static_selectorELNS0_4arch9wavefront6targetE1EEEvT1_,"axG",@progbits,_ZN7rocprim17ROCPRIM_400000_NS6detail17trampoline_kernelINS0_14default_configENS1_25partition_config_selectorILNS1_17partition_subalgoE9EllbEEZZNS1_14partition_implILS5_9ELb0ES3_jPlS8_PNS0_10empty_typeENS0_5tupleIJS8_S9_EEENSB_IJS8_SA_EEENS0_18inequality_wrapperIZN2at6native12_GLOBAL__N_124unique_dim_cuda_templateImEESt5tupleIJNSF_6TensorESK_SK_EERKSK_lbbbEUlllE0_EEPmJS9_EEE10hipError_tPvRmT3_T4_T5_T6_T7_T9_mT8_P12ihipStream_tbDpT10_ENKUlT_T0_E_clISt17integral_constantIbLb1EES19_IbLb0EEEEDaS15_S16_EUlS15_E_NS1_11comp_targetILNS1_3genE9ELNS1_11target_archE1100ELNS1_3gpuE3ELNS1_3repE0EEENS1_30default_config_static_selectorELNS0_4arch9wavefront6targetE1EEEvT1_,comdat
.Lfunc_end1728:
	.size	_ZN7rocprim17ROCPRIM_400000_NS6detail17trampoline_kernelINS0_14default_configENS1_25partition_config_selectorILNS1_17partition_subalgoE9EllbEEZZNS1_14partition_implILS5_9ELb0ES3_jPlS8_PNS0_10empty_typeENS0_5tupleIJS8_S9_EEENSB_IJS8_SA_EEENS0_18inequality_wrapperIZN2at6native12_GLOBAL__N_124unique_dim_cuda_templateImEESt5tupleIJNSF_6TensorESK_SK_EERKSK_lbbbEUlllE0_EEPmJS9_EEE10hipError_tPvRmT3_T4_T5_T6_T7_T9_mT8_P12ihipStream_tbDpT10_ENKUlT_T0_E_clISt17integral_constantIbLb1EES19_IbLb0EEEEDaS15_S16_EUlS15_E_NS1_11comp_targetILNS1_3genE9ELNS1_11target_archE1100ELNS1_3gpuE3ELNS1_3repE0EEENS1_30default_config_static_selectorELNS0_4arch9wavefront6targetE1EEEvT1_, .Lfunc_end1728-_ZN7rocprim17ROCPRIM_400000_NS6detail17trampoline_kernelINS0_14default_configENS1_25partition_config_selectorILNS1_17partition_subalgoE9EllbEEZZNS1_14partition_implILS5_9ELb0ES3_jPlS8_PNS0_10empty_typeENS0_5tupleIJS8_S9_EEENSB_IJS8_SA_EEENS0_18inequality_wrapperIZN2at6native12_GLOBAL__N_124unique_dim_cuda_templateImEESt5tupleIJNSF_6TensorESK_SK_EERKSK_lbbbEUlllE0_EEPmJS9_EEE10hipError_tPvRmT3_T4_T5_T6_T7_T9_mT8_P12ihipStream_tbDpT10_ENKUlT_T0_E_clISt17integral_constantIbLb1EES19_IbLb0EEEEDaS15_S16_EUlS15_E_NS1_11comp_targetILNS1_3genE9ELNS1_11target_archE1100ELNS1_3gpuE3ELNS1_3repE0EEENS1_30default_config_static_selectorELNS0_4arch9wavefront6targetE1EEEvT1_
                                        ; -- End function
	.section	.AMDGPU.csdata,"",@progbits
; Kernel info:
; codeLenInByte = 0
; NumSgprs: 6
; NumVgprs: 0
; NumAgprs: 0
; TotalNumVgprs: 0
; ScratchSize: 0
; MemoryBound: 0
; FloatMode: 240
; IeeeMode: 1
; LDSByteSize: 0 bytes/workgroup (compile time only)
; SGPRBlocks: 0
; VGPRBlocks: 0
; NumSGPRsForWavesPerEU: 6
; NumVGPRsForWavesPerEU: 1
; AccumOffset: 4
; Occupancy: 8
; WaveLimiterHint : 0
; COMPUTE_PGM_RSRC2:SCRATCH_EN: 0
; COMPUTE_PGM_RSRC2:USER_SGPR: 2
; COMPUTE_PGM_RSRC2:TRAP_HANDLER: 0
; COMPUTE_PGM_RSRC2:TGID_X_EN: 1
; COMPUTE_PGM_RSRC2:TGID_Y_EN: 0
; COMPUTE_PGM_RSRC2:TGID_Z_EN: 0
; COMPUTE_PGM_RSRC2:TIDIG_COMP_CNT: 0
; COMPUTE_PGM_RSRC3_GFX90A:ACCUM_OFFSET: 0
; COMPUTE_PGM_RSRC3_GFX90A:TG_SPLIT: 0
	.section	.text._ZN7rocprim17ROCPRIM_400000_NS6detail17trampoline_kernelINS0_14default_configENS1_25partition_config_selectorILNS1_17partition_subalgoE9EllbEEZZNS1_14partition_implILS5_9ELb0ES3_jPlS8_PNS0_10empty_typeENS0_5tupleIJS8_S9_EEENSB_IJS8_SA_EEENS0_18inequality_wrapperIZN2at6native12_GLOBAL__N_124unique_dim_cuda_templateImEESt5tupleIJNSF_6TensorESK_SK_EERKSK_lbbbEUlllE0_EEPmJS9_EEE10hipError_tPvRmT3_T4_T5_T6_T7_T9_mT8_P12ihipStream_tbDpT10_ENKUlT_T0_E_clISt17integral_constantIbLb1EES19_IbLb0EEEEDaS15_S16_EUlS15_E_NS1_11comp_targetILNS1_3genE8ELNS1_11target_archE1030ELNS1_3gpuE2ELNS1_3repE0EEENS1_30default_config_static_selectorELNS0_4arch9wavefront6targetE1EEEvT1_,"axG",@progbits,_ZN7rocprim17ROCPRIM_400000_NS6detail17trampoline_kernelINS0_14default_configENS1_25partition_config_selectorILNS1_17partition_subalgoE9EllbEEZZNS1_14partition_implILS5_9ELb0ES3_jPlS8_PNS0_10empty_typeENS0_5tupleIJS8_S9_EEENSB_IJS8_SA_EEENS0_18inequality_wrapperIZN2at6native12_GLOBAL__N_124unique_dim_cuda_templateImEESt5tupleIJNSF_6TensorESK_SK_EERKSK_lbbbEUlllE0_EEPmJS9_EEE10hipError_tPvRmT3_T4_T5_T6_T7_T9_mT8_P12ihipStream_tbDpT10_ENKUlT_T0_E_clISt17integral_constantIbLb1EES19_IbLb0EEEEDaS15_S16_EUlS15_E_NS1_11comp_targetILNS1_3genE8ELNS1_11target_archE1030ELNS1_3gpuE2ELNS1_3repE0EEENS1_30default_config_static_selectorELNS0_4arch9wavefront6targetE1EEEvT1_,comdat
	.globl	_ZN7rocprim17ROCPRIM_400000_NS6detail17trampoline_kernelINS0_14default_configENS1_25partition_config_selectorILNS1_17partition_subalgoE9EllbEEZZNS1_14partition_implILS5_9ELb0ES3_jPlS8_PNS0_10empty_typeENS0_5tupleIJS8_S9_EEENSB_IJS8_SA_EEENS0_18inequality_wrapperIZN2at6native12_GLOBAL__N_124unique_dim_cuda_templateImEESt5tupleIJNSF_6TensorESK_SK_EERKSK_lbbbEUlllE0_EEPmJS9_EEE10hipError_tPvRmT3_T4_T5_T6_T7_T9_mT8_P12ihipStream_tbDpT10_ENKUlT_T0_E_clISt17integral_constantIbLb1EES19_IbLb0EEEEDaS15_S16_EUlS15_E_NS1_11comp_targetILNS1_3genE8ELNS1_11target_archE1030ELNS1_3gpuE2ELNS1_3repE0EEENS1_30default_config_static_selectorELNS0_4arch9wavefront6targetE1EEEvT1_ ; -- Begin function _ZN7rocprim17ROCPRIM_400000_NS6detail17trampoline_kernelINS0_14default_configENS1_25partition_config_selectorILNS1_17partition_subalgoE9EllbEEZZNS1_14partition_implILS5_9ELb0ES3_jPlS8_PNS0_10empty_typeENS0_5tupleIJS8_S9_EEENSB_IJS8_SA_EEENS0_18inequality_wrapperIZN2at6native12_GLOBAL__N_124unique_dim_cuda_templateImEESt5tupleIJNSF_6TensorESK_SK_EERKSK_lbbbEUlllE0_EEPmJS9_EEE10hipError_tPvRmT3_T4_T5_T6_T7_T9_mT8_P12ihipStream_tbDpT10_ENKUlT_T0_E_clISt17integral_constantIbLb1EES19_IbLb0EEEEDaS15_S16_EUlS15_E_NS1_11comp_targetILNS1_3genE8ELNS1_11target_archE1030ELNS1_3gpuE2ELNS1_3repE0EEENS1_30default_config_static_selectorELNS0_4arch9wavefront6targetE1EEEvT1_
	.p2align	8
	.type	_ZN7rocprim17ROCPRIM_400000_NS6detail17trampoline_kernelINS0_14default_configENS1_25partition_config_selectorILNS1_17partition_subalgoE9EllbEEZZNS1_14partition_implILS5_9ELb0ES3_jPlS8_PNS0_10empty_typeENS0_5tupleIJS8_S9_EEENSB_IJS8_SA_EEENS0_18inequality_wrapperIZN2at6native12_GLOBAL__N_124unique_dim_cuda_templateImEESt5tupleIJNSF_6TensorESK_SK_EERKSK_lbbbEUlllE0_EEPmJS9_EEE10hipError_tPvRmT3_T4_T5_T6_T7_T9_mT8_P12ihipStream_tbDpT10_ENKUlT_T0_E_clISt17integral_constantIbLb1EES19_IbLb0EEEEDaS15_S16_EUlS15_E_NS1_11comp_targetILNS1_3genE8ELNS1_11target_archE1030ELNS1_3gpuE2ELNS1_3repE0EEENS1_30default_config_static_selectorELNS0_4arch9wavefront6targetE1EEEvT1_,@function
_ZN7rocprim17ROCPRIM_400000_NS6detail17trampoline_kernelINS0_14default_configENS1_25partition_config_selectorILNS1_17partition_subalgoE9EllbEEZZNS1_14partition_implILS5_9ELb0ES3_jPlS8_PNS0_10empty_typeENS0_5tupleIJS8_S9_EEENSB_IJS8_SA_EEENS0_18inequality_wrapperIZN2at6native12_GLOBAL__N_124unique_dim_cuda_templateImEESt5tupleIJNSF_6TensorESK_SK_EERKSK_lbbbEUlllE0_EEPmJS9_EEE10hipError_tPvRmT3_T4_T5_T6_T7_T9_mT8_P12ihipStream_tbDpT10_ENKUlT_T0_E_clISt17integral_constantIbLb1EES19_IbLb0EEEEDaS15_S16_EUlS15_E_NS1_11comp_targetILNS1_3genE8ELNS1_11target_archE1030ELNS1_3gpuE2ELNS1_3repE0EEENS1_30default_config_static_selectorELNS0_4arch9wavefront6targetE1EEEvT1_: ; @_ZN7rocprim17ROCPRIM_400000_NS6detail17trampoline_kernelINS0_14default_configENS1_25partition_config_selectorILNS1_17partition_subalgoE9EllbEEZZNS1_14partition_implILS5_9ELb0ES3_jPlS8_PNS0_10empty_typeENS0_5tupleIJS8_S9_EEENSB_IJS8_SA_EEENS0_18inequality_wrapperIZN2at6native12_GLOBAL__N_124unique_dim_cuda_templateImEESt5tupleIJNSF_6TensorESK_SK_EERKSK_lbbbEUlllE0_EEPmJS9_EEE10hipError_tPvRmT3_T4_T5_T6_T7_T9_mT8_P12ihipStream_tbDpT10_ENKUlT_T0_E_clISt17integral_constantIbLb1EES19_IbLb0EEEEDaS15_S16_EUlS15_E_NS1_11comp_targetILNS1_3genE8ELNS1_11target_archE1030ELNS1_3gpuE2ELNS1_3repE0EEENS1_30default_config_static_selectorELNS0_4arch9wavefront6targetE1EEEvT1_
; %bb.0:
	.section	.rodata,"a",@progbits
	.p2align	6, 0x0
	.amdhsa_kernel _ZN7rocprim17ROCPRIM_400000_NS6detail17trampoline_kernelINS0_14default_configENS1_25partition_config_selectorILNS1_17partition_subalgoE9EllbEEZZNS1_14partition_implILS5_9ELb0ES3_jPlS8_PNS0_10empty_typeENS0_5tupleIJS8_S9_EEENSB_IJS8_SA_EEENS0_18inequality_wrapperIZN2at6native12_GLOBAL__N_124unique_dim_cuda_templateImEESt5tupleIJNSF_6TensorESK_SK_EERKSK_lbbbEUlllE0_EEPmJS9_EEE10hipError_tPvRmT3_T4_T5_T6_T7_T9_mT8_P12ihipStream_tbDpT10_ENKUlT_T0_E_clISt17integral_constantIbLb1EES19_IbLb0EEEEDaS15_S16_EUlS15_E_NS1_11comp_targetILNS1_3genE8ELNS1_11target_archE1030ELNS1_3gpuE2ELNS1_3repE0EEENS1_30default_config_static_selectorELNS0_4arch9wavefront6targetE1EEEvT1_
		.amdhsa_group_segment_fixed_size 0
		.amdhsa_private_segment_fixed_size 0
		.amdhsa_kernarg_size 120
		.amdhsa_user_sgpr_count 2
		.amdhsa_user_sgpr_dispatch_ptr 0
		.amdhsa_user_sgpr_queue_ptr 0
		.amdhsa_user_sgpr_kernarg_segment_ptr 1
		.amdhsa_user_sgpr_dispatch_id 0
		.amdhsa_user_sgpr_kernarg_preload_length 0
		.amdhsa_user_sgpr_kernarg_preload_offset 0
		.amdhsa_user_sgpr_private_segment_size 0
		.amdhsa_uses_dynamic_stack 0
		.amdhsa_enable_private_segment 0
		.amdhsa_system_sgpr_workgroup_id_x 1
		.amdhsa_system_sgpr_workgroup_id_y 0
		.amdhsa_system_sgpr_workgroup_id_z 0
		.amdhsa_system_sgpr_workgroup_info 0
		.amdhsa_system_vgpr_workitem_id 0
		.amdhsa_next_free_vgpr 1
		.amdhsa_next_free_sgpr 0
		.amdhsa_accum_offset 4
		.amdhsa_reserve_vcc 0
		.amdhsa_float_round_mode_32 0
		.amdhsa_float_round_mode_16_64 0
		.amdhsa_float_denorm_mode_32 3
		.amdhsa_float_denorm_mode_16_64 3
		.amdhsa_dx10_clamp 1
		.amdhsa_ieee_mode 1
		.amdhsa_fp16_overflow 0
		.amdhsa_tg_split 0
		.amdhsa_exception_fp_ieee_invalid_op 0
		.amdhsa_exception_fp_denorm_src 0
		.amdhsa_exception_fp_ieee_div_zero 0
		.amdhsa_exception_fp_ieee_overflow 0
		.amdhsa_exception_fp_ieee_underflow 0
		.amdhsa_exception_fp_ieee_inexact 0
		.amdhsa_exception_int_div_zero 0
	.end_amdhsa_kernel
	.section	.text._ZN7rocprim17ROCPRIM_400000_NS6detail17trampoline_kernelINS0_14default_configENS1_25partition_config_selectorILNS1_17partition_subalgoE9EllbEEZZNS1_14partition_implILS5_9ELb0ES3_jPlS8_PNS0_10empty_typeENS0_5tupleIJS8_S9_EEENSB_IJS8_SA_EEENS0_18inequality_wrapperIZN2at6native12_GLOBAL__N_124unique_dim_cuda_templateImEESt5tupleIJNSF_6TensorESK_SK_EERKSK_lbbbEUlllE0_EEPmJS9_EEE10hipError_tPvRmT3_T4_T5_T6_T7_T9_mT8_P12ihipStream_tbDpT10_ENKUlT_T0_E_clISt17integral_constantIbLb1EES19_IbLb0EEEEDaS15_S16_EUlS15_E_NS1_11comp_targetILNS1_3genE8ELNS1_11target_archE1030ELNS1_3gpuE2ELNS1_3repE0EEENS1_30default_config_static_selectorELNS0_4arch9wavefront6targetE1EEEvT1_,"axG",@progbits,_ZN7rocprim17ROCPRIM_400000_NS6detail17trampoline_kernelINS0_14default_configENS1_25partition_config_selectorILNS1_17partition_subalgoE9EllbEEZZNS1_14partition_implILS5_9ELb0ES3_jPlS8_PNS0_10empty_typeENS0_5tupleIJS8_S9_EEENSB_IJS8_SA_EEENS0_18inequality_wrapperIZN2at6native12_GLOBAL__N_124unique_dim_cuda_templateImEESt5tupleIJNSF_6TensorESK_SK_EERKSK_lbbbEUlllE0_EEPmJS9_EEE10hipError_tPvRmT3_T4_T5_T6_T7_T9_mT8_P12ihipStream_tbDpT10_ENKUlT_T0_E_clISt17integral_constantIbLb1EES19_IbLb0EEEEDaS15_S16_EUlS15_E_NS1_11comp_targetILNS1_3genE8ELNS1_11target_archE1030ELNS1_3gpuE2ELNS1_3repE0EEENS1_30default_config_static_selectorELNS0_4arch9wavefront6targetE1EEEvT1_,comdat
.Lfunc_end1729:
	.size	_ZN7rocprim17ROCPRIM_400000_NS6detail17trampoline_kernelINS0_14default_configENS1_25partition_config_selectorILNS1_17partition_subalgoE9EllbEEZZNS1_14partition_implILS5_9ELb0ES3_jPlS8_PNS0_10empty_typeENS0_5tupleIJS8_S9_EEENSB_IJS8_SA_EEENS0_18inequality_wrapperIZN2at6native12_GLOBAL__N_124unique_dim_cuda_templateImEESt5tupleIJNSF_6TensorESK_SK_EERKSK_lbbbEUlllE0_EEPmJS9_EEE10hipError_tPvRmT3_T4_T5_T6_T7_T9_mT8_P12ihipStream_tbDpT10_ENKUlT_T0_E_clISt17integral_constantIbLb1EES19_IbLb0EEEEDaS15_S16_EUlS15_E_NS1_11comp_targetILNS1_3genE8ELNS1_11target_archE1030ELNS1_3gpuE2ELNS1_3repE0EEENS1_30default_config_static_selectorELNS0_4arch9wavefront6targetE1EEEvT1_, .Lfunc_end1729-_ZN7rocprim17ROCPRIM_400000_NS6detail17trampoline_kernelINS0_14default_configENS1_25partition_config_selectorILNS1_17partition_subalgoE9EllbEEZZNS1_14partition_implILS5_9ELb0ES3_jPlS8_PNS0_10empty_typeENS0_5tupleIJS8_S9_EEENSB_IJS8_SA_EEENS0_18inequality_wrapperIZN2at6native12_GLOBAL__N_124unique_dim_cuda_templateImEESt5tupleIJNSF_6TensorESK_SK_EERKSK_lbbbEUlllE0_EEPmJS9_EEE10hipError_tPvRmT3_T4_T5_T6_T7_T9_mT8_P12ihipStream_tbDpT10_ENKUlT_T0_E_clISt17integral_constantIbLb1EES19_IbLb0EEEEDaS15_S16_EUlS15_E_NS1_11comp_targetILNS1_3genE8ELNS1_11target_archE1030ELNS1_3gpuE2ELNS1_3repE0EEENS1_30default_config_static_selectorELNS0_4arch9wavefront6targetE1EEEvT1_
                                        ; -- End function
	.section	.AMDGPU.csdata,"",@progbits
; Kernel info:
; codeLenInByte = 0
; NumSgprs: 6
; NumVgprs: 0
; NumAgprs: 0
; TotalNumVgprs: 0
; ScratchSize: 0
; MemoryBound: 0
; FloatMode: 240
; IeeeMode: 1
; LDSByteSize: 0 bytes/workgroup (compile time only)
; SGPRBlocks: 0
; VGPRBlocks: 0
; NumSGPRsForWavesPerEU: 6
; NumVGPRsForWavesPerEU: 1
; AccumOffset: 4
; Occupancy: 8
; WaveLimiterHint : 0
; COMPUTE_PGM_RSRC2:SCRATCH_EN: 0
; COMPUTE_PGM_RSRC2:USER_SGPR: 2
; COMPUTE_PGM_RSRC2:TRAP_HANDLER: 0
; COMPUTE_PGM_RSRC2:TGID_X_EN: 1
; COMPUTE_PGM_RSRC2:TGID_Y_EN: 0
; COMPUTE_PGM_RSRC2:TGID_Z_EN: 0
; COMPUTE_PGM_RSRC2:TIDIG_COMP_CNT: 0
; COMPUTE_PGM_RSRC3_GFX90A:ACCUM_OFFSET: 0
; COMPUTE_PGM_RSRC3_GFX90A:TG_SPLIT: 0
	.section	.text._ZN7rocprim17ROCPRIM_400000_NS6detail17trampoline_kernelINS0_14default_configENS1_25partition_config_selectorILNS1_17partition_subalgoE9EllbEEZZNS1_14partition_implILS5_9ELb0ES3_jPlS8_PNS0_10empty_typeENS0_5tupleIJS8_S9_EEENSB_IJS8_SA_EEENS0_18inequality_wrapperIZN2at6native12_GLOBAL__N_124unique_dim_cuda_templateImEESt5tupleIJNSF_6TensorESK_SK_EERKSK_lbbbEUlllE0_EEPmJS9_EEE10hipError_tPvRmT3_T4_T5_T6_T7_T9_mT8_P12ihipStream_tbDpT10_ENKUlT_T0_E_clISt17integral_constantIbLb0EES19_IbLb1EEEEDaS15_S16_EUlS15_E_NS1_11comp_targetILNS1_3genE0ELNS1_11target_archE4294967295ELNS1_3gpuE0ELNS1_3repE0EEENS1_30default_config_static_selectorELNS0_4arch9wavefront6targetE1EEEvT1_,"axG",@progbits,_ZN7rocprim17ROCPRIM_400000_NS6detail17trampoline_kernelINS0_14default_configENS1_25partition_config_selectorILNS1_17partition_subalgoE9EllbEEZZNS1_14partition_implILS5_9ELb0ES3_jPlS8_PNS0_10empty_typeENS0_5tupleIJS8_S9_EEENSB_IJS8_SA_EEENS0_18inequality_wrapperIZN2at6native12_GLOBAL__N_124unique_dim_cuda_templateImEESt5tupleIJNSF_6TensorESK_SK_EERKSK_lbbbEUlllE0_EEPmJS9_EEE10hipError_tPvRmT3_T4_T5_T6_T7_T9_mT8_P12ihipStream_tbDpT10_ENKUlT_T0_E_clISt17integral_constantIbLb0EES19_IbLb1EEEEDaS15_S16_EUlS15_E_NS1_11comp_targetILNS1_3genE0ELNS1_11target_archE4294967295ELNS1_3gpuE0ELNS1_3repE0EEENS1_30default_config_static_selectorELNS0_4arch9wavefront6targetE1EEEvT1_,comdat
	.globl	_ZN7rocprim17ROCPRIM_400000_NS6detail17trampoline_kernelINS0_14default_configENS1_25partition_config_selectorILNS1_17partition_subalgoE9EllbEEZZNS1_14partition_implILS5_9ELb0ES3_jPlS8_PNS0_10empty_typeENS0_5tupleIJS8_S9_EEENSB_IJS8_SA_EEENS0_18inequality_wrapperIZN2at6native12_GLOBAL__N_124unique_dim_cuda_templateImEESt5tupleIJNSF_6TensorESK_SK_EERKSK_lbbbEUlllE0_EEPmJS9_EEE10hipError_tPvRmT3_T4_T5_T6_T7_T9_mT8_P12ihipStream_tbDpT10_ENKUlT_T0_E_clISt17integral_constantIbLb0EES19_IbLb1EEEEDaS15_S16_EUlS15_E_NS1_11comp_targetILNS1_3genE0ELNS1_11target_archE4294967295ELNS1_3gpuE0ELNS1_3repE0EEENS1_30default_config_static_selectorELNS0_4arch9wavefront6targetE1EEEvT1_ ; -- Begin function _ZN7rocprim17ROCPRIM_400000_NS6detail17trampoline_kernelINS0_14default_configENS1_25partition_config_selectorILNS1_17partition_subalgoE9EllbEEZZNS1_14partition_implILS5_9ELb0ES3_jPlS8_PNS0_10empty_typeENS0_5tupleIJS8_S9_EEENSB_IJS8_SA_EEENS0_18inequality_wrapperIZN2at6native12_GLOBAL__N_124unique_dim_cuda_templateImEESt5tupleIJNSF_6TensorESK_SK_EERKSK_lbbbEUlllE0_EEPmJS9_EEE10hipError_tPvRmT3_T4_T5_T6_T7_T9_mT8_P12ihipStream_tbDpT10_ENKUlT_T0_E_clISt17integral_constantIbLb0EES19_IbLb1EEEEDaS15_S16_EUlS15_E_NS1_11comp_targetILNS1_3genE0ELNS1_11target_archE4294967295ELNS1_3gpuE0ELNS1_3repE0EEENS1_30default_config_static_selectorELNS0_4arch9wavefront6targetE1EEEvT1_
	.p2align	8
	.type	_ZN7rocprim17ROCPRIM_400000_NS6detail17trampoline_kernelINS0_14default_configENS1_25partition_config_selectorILNS1_17partition_subalgoE9EllbEEZZNS1_14partition_implILS5_9ELb0ES3_jPlS8_PNS0_10empty_typeENS0_5tupleIJS8_S9_EEENSB_IJS8_SA_EEENS0_18inequality_wrapperIZN2at6native12_GLOBAL__N_124unique_dim_cuda_templateImEESt5tupleIJNSF_6TensorESK_SK_EERKSK_lbbbEUlllE0_EEPmJS9_EEE10hipError_tPvRmT3_T4_T5_T6_T7_T9_mT8_P12ihipStream_tbDpT10_ENKUlT_T0_E_clISt17integral_constantIbLb0EES19_IbLb1EEEEDaS15_S16_EUlS15_E_NS1_11comp_targetILNS1_3genE0ELNS1_11target_archE4294967295ELNS1_3gpuE0ELNS1_3repE0EEENS1_30default_config_static_selectorELNS0_4arch9wavefront6targetE1EEEvT1_,@function
_ZN7rocprim17ROCPRIM_400000_NS6detail17trampoline_kernelINS0_14default_configENS1_25partition_config_selectorILNS1_17partition_subalgoE9EllbEEZZNS1_14partition_implILS5_9ELb0ES3_jPlS8_PNS0_10empty_typeENS0_5tupleIJS8_S9_EEENSB_IJS8_SA_EEENS0_18inequality_wrapperIZN2at6native12_GLOBAL__N_124unique_dim_cuda_templateImEESt5tupleIJNSF_6TensorESK_SK_EERKSK_lbbbEUlllE0_EEPmJS9_EEE10hipError_tPvRmT3_T4_T5_T6_T7_T9_mT8_P12ihipStream_tbDpT10_ENKUlT_T0_E_clISt17integral_constantIbLb0EES19_IbLb1EEEEDaS15_S16_EUlS15_E_NS1_11comp_targetILNS1_3genE0ELNS1_11target_archE4294967295ELNS1_3gpuE0ELNS1_3repE0EEENS1_30default_config_static_selectorELNS0_4arch9wavefront6targetE1EEEvT1_: ; @_ZN7rocprim17ROCPRIM_400000_NS6detail17trampoline_kernelINS0_14default_configENS1_25partition_config_selectorILNS1_17partition_subalgoE9EllbEEZZNS1_14partition_implILS5_9ELb0ES3_jPlS8_PNS0_10empty_typeENS0_5tupleIJS8_S9_EEENSB_IJS8_SA_EEENS0_18inequality_wrapperIZN2at6native12_GLOBAL__N_124unique_dim_cuda_templateImEESt5tupleIJNSF_6TensorESK_SK_EERKSK_lbbbEUlllE0_EEPmJS9_EEE10hipError_tPvRmT3_T4_T5_T6_T7_T9_mT8_P12ihipStream_tbDpT10_ENKUlT_T0_E_clISt17integral_constantIbLb0EES19_IbLb1EEEEDaS15_S16_EUlS15_E_NS1_11comp_targetILNS1_3genE0ELNS1_11target_archE4294967295ELNS1_3gpuE0ELNS1_3repE0EEENS1_30default_config_static_selectorELNS0_4arch9wavefront6targetE1EEEvT1_
; %bb.0:
	.section	.rodata,"a",@progbits
	.p2align	6, 0x0
	.amdhsa_kernel _ZN7rocprim17ROCPRIM_400000_NS6detail17trampoline_kernelINS0_14default_configENS1_25partition_config_selectorILNS1_17partition_subalgoE9EllbEEZZNS1_14partition_implILS5_9ELb0ES3_jPlS8_PNS0_10empty_typeENS0_5tupleIJS8_S9_EEENSB_IJS8_SA_EEENS0_18inequality_wrapperIZN2at6native12_GLOBAL__N_124unique_dim_cuda_templateImEESt5tupleIJNSF_6TensorESK_SK_EERKSK_lbbbEUlllE0_EEPmJS9_EEE10hipError_tPvRmT3_T4_T5_T6_T7_T9_mT8_P12ihipStream_tbDpT10_ENKUlT_T0_E_clISt17integral_constantIbLb0EES19_IbLb1EEEEDaS15_S16_EUlS15_E_NS1_11comp_targetILNS1_3genE0ELNS1_11target_archE4294967295ELNS1_3gpuE0ELNS1_3repE0EEENS1_30default_config_static_selectorELNS0_4arch9wavefront6targetE1EEEvT1_
		.amdhsa_group_segment_fixed_size 0
		.amdhsa_private_segment_fixed_size 0
		.amdhsa_kernarg_size 136
		.amdhsa_user_sgpr_count 2
		.amdhsa_user_sgpr_dispatch_ptr 0
		.amdhsa_user_sgpr_queue_ptr 0
		.amdhsa_user_sgpr_kernarg_segment_ptr 1
		.amdhsa_user_sgpr_dispatch_id 0
		.amdhsa_user_sgpr_kernarg_preload_length 0
		.amdhsa_user_sgpr_kernarg_preload_offset 0
		.amdhsa_user_sgpr_private_segment_size 0
		.amdhsa_uses_dynamic_stack 0
		.amdhsa_enable_private_segment 0
		.amdhsa_system_sgpr_workgroup_id_x 1
		.amdhsa_system_sgpr_workgroup_id_y 0
		.amdhsa_system_sgpr_workgroup_id_z 0
		.amdhsa_system_sgpr_workgroup_info 0
		.amdhsa_system_vgpr_workitem_id 0
		.amdhsa_next_free_vgpr 1
		.amdhsa_next_free_sgpr 0
		.amdhsa_accum_offset 4
		.amdhsa_reserve_vcc 0
		.amdhsa_float_round_mode_32 0
		.amdhsa_float_round_mode_16_64 0
		.amdhsa_float_denorm_mode_32 3
		.amdhsa_float_denorm_mode_16_64 3
		.amdhsa_dx10_clamp 1
		.amdhsa_ieee_mode 1
		.amdhsa_fp16_overflow 0
		.amdhsa_tg_split 0
		.amdhsa_exception_fp_ieee_invalid_op 0
		.amdhsa_exception_fp_denorm_src 0
		.amdhsa_exception_fp_ieee_div_zero 0
		.amdhsa_exception_fp_ieee_overflow 0
		.amdhsa_exception_fp_ieee_underflow 0
		.amdhsa_exception_fp_ieee_inexact 0
		.amdhsa_exception_int_div_zero 0
	.end_amdhsa_kernel
	.section	.text._ZN7rocprim17ROCPRIM_400000_NS6detail17trampoline_kernelINS0_14default_configENS1_25partition_config_selectorILNS1_17partition_subalgoE9EllbEEZZNS1_14partition_implILS5_9ELb0ES3_jPlS8_PNS0_10empty_typeENS0_5tupleIJS8_S9_EEENSB_IJS8_SA_EEENS0_18inequality_wrapperIZN2at6native12_GLOBAL__N_124unique_dim_cuda_templateImEESt5tupleIJNSF_6TensorESK_SK_EERKSK_lbbbEUlllE0_EEPmJS9_EEE10hipError_tPvRmT3_T4_T5_T6_T7_T9_mT8_P12ihipStream_tbDpT10_ENKUlT_T0_E_clISt17integral_constantIbLb0EES19_IbLb1EEEEDaS15_S16_EUlS15_E_NS1_11comp_targetILNS1_3genE0ELNS1_11target_archE4294967295ELNS1_3gpuE0ELNS1_3repE0EEENS1_30default_config_static_selectorELNS0_4arch9wavefront6targetE1EEEvT1_,"axG",@progbits,_ZN7rocprim17ROCPRIM_400000_NS6detail17trampoline_kernelINS0_14default_configENS1_25partition_config_selectorILNS1_17partition_subalgoE9EllbEEZZNS1_14partition_implILS5_9ELb0ES3_jPlS8_PNS0_10empty_typeENS0_5tupleIJS8_S9_EEENSB_IJS8_SA_EEENS0_18inequality_wrapperIZN2at6native12_GLOBAL__N_124unique_dim_cuda_templateImEESt5tupleIJNSF_6TensorESK_SK_EERKSK_lbbbEUlllE0_EEPmJS9_EEE10hipError_tPvRmT3_T4_T5_T6_T7_T9_mT8_P12ihipStream_tbDpT10_ENKUlT_T0_E_clISt17integral_constantIbLb0EES19_IbLb1EEEEDaS15_S16_EUlS15_E_NS1_11comp_targetILNS1_3genE0ELNS1_11target_archE4294967295ELNS1_3gpuE0ELNS1_3repE0EEENS1_30default_config_static_selectorELNS0_4arch9wavefront6targetE1EEEvT1_,comdat
.Lfunc_end1730:
	.size	_ZN7rocprim17ROCPRIM_400000_NS6detail17trampoline_kernelINS0_14default_configENS1_25partition_config_selectorILNS1_17partition_subalgoE9EllbEEZZNS1_14partition_implILS5_9ELb0ES3_jPlS8_PNS0_10empty_typeENS0_5tupleIJS8_S9_EEENSB_IJS8_SA_EEENS0_18inequality_wrapperIZN2at6native12_GLOBAL__N_124unique_dim_cuda_templateImEESt5tupleIJNSF_6TensorESK_SK_EERKSK_lbbbEUlllE0_EEPmJS9_EEE10hipError_tPvRmT3_T4_T5_T6_T7_T9_mT8_P12ihipStream_tbDpT10_ENKUlT_T0_E_clISt17integral_constantIbLb0EES19_IbLb1EEEEDaS15_S16_EUlS15_E_NS1_11comp_targetILNS1_3genE0ELNS1_11target_archE4294967295ELNS1_3gpuE0ELNS1_3repE0EEENS1_30default_config_static_selectorELNS0_4arch9wavefront6targetE1EEEvT1_, .Lfunc_end1730-_ZN7rocprim17ROCPRIM_400000_NS6detail17trampoline_kernelINS0_14default_configENS1_25partition_config_selectorILNS1_17partition_subalgoE9EllbEEZZNS1_14partition_implILS5_9ELb0ES3_jPlS8_PNS0_10empty_typeENS0_5tupleIJS8_S9_EEENSB_IJS8_SA_EEENS0_18inequality_wrapperIZN2at6native12_GLOBAL__N_124unique_dim_cuda_templateImEESt5tupleIJNSF_6TensorESK_SK_EERKSK_lbbbEUlllE0_EEPmJS9_EEE10hipError_tPvRmT3_T4_T5_T6_T7_T9_mT8_P12ihipStream_tbDpT10_ENKUlT_T0_E_clISt17integral_constantIbLb0EES19_IbLb1EEEEDaS15_S16_EUlS15_E_NS1_11comp_targetILNS1_3genE0ELNS1_11target_archE4294967295ELNS1_3gpuE0ELNS1_3repE0EEENS1_30default_config_static_selectorELNS0_4arch9wavefront6targetE1EEEvT1_
                                        ; -- End function
	.section	.AMDGPU.csdata,"",@progbits
; Kernel info:
; codeLenInByte = 0
; NumSgprs: 6
; NumVgprs: 0
; NumAgprs: 0
; TotalNumVgprs: 0
; ScratchSize: 0
; MemoryBound: 0
; FloatMode: 240
; IeeeMode: 1
; LDSByteSize: 0 bytes/workgroup (compile time only)
; SGPRBlocks: 0
; VGPRBlocks: 0
; NumSGPRsForWavesPerEU: 6
; NumVGPRsForWavesPerEU: 1
; AccumOffset: 4
; Occupancy: 8
; WaveLimiterHint : 0
; COMPUTE_PGM_RSRC2:SCRATCH_EN: 0
; COMPUTE_PGM_RSRC2:USER_SGPR: 2
; COMPUTE_PGM_RSRC2:TRAP_HANDLER: 0
; COMPUTE_PGM_RSRC2:TGID_X_EN: 1
; COMPUTE_PGM_RSRC2:TGID_Y_EN: 0
; COMPUTE_PGM_RSRC2:TGID_Z_EN: 0
; COMPUTE_PGM_RSRC2:TIDIG_COMP_CNT: 0
; COMPUTE_PGM_RSRC3_GFX90A:ACCUM_OFFSET: 0
; COMPUTE_PGM_RSRC3_GFX90A:TG_SPLIT: 0
	.section	.text._ZN7rocprim17ROCPRIM_400000_NS6detail17trampoline_kernelINS0_14default_configENS1_25partition_config_selectorILNS1_17partition_subalgoE9EllbEEZZNS1_14partition_implILS5_9ELb0ES3_jPlS8_PNS0_10empty_typeENS0_5tupleIJS8_S9_EEENSB_IJS8_SA_EEENS0_18inequality_wrapperIZN2at6native12_GLOBAL__N_124unique_dim_cuda_templateImEESt5tupleIJNSF_6TensorESK_SK_EERKSK_lbbbEUlllE0_EEPmJS9_EEE10hipError_tPvRmT3_T4_T5_T6_T7_T9_mT8_P12ihipStream_tbDpT10_ENKUlT_T0_E_clISt17integral_constantIbLb0EES19_IbLb1EEEEDaS15_S16_EUlS15_E_NS1_11comp_targetILNS1_3genE5ELNS1_11target_archE942ELNS1_3gpuE9ELNS1_3repE0EEENS1_30default_config_static_selectorELNS0_4arch9wavefront6targetE1EEEvT1_,"axG",@progbits,_ZN7rocprim17ROCPRIM_400000_NS6detail17trampoline_kernelINS0_14default_configENS1_25partition_config_selectorILNS1_17partition_subalgoE9EllbEEZZNS1_14partition_implILS5_9ELb0ES3_jPlS8_PNS0_10empty_typeENS0_5tupleIJS8_S9_EEENSB_IJS8_SA_EEENS0_18inequality_wrapperIZN2at6native12_GLOBAL__N_124unique_dim_cuda_templateImEESt5tupleIJNSF_6TensorESK_SK_EERKSK_lbbbEUlllE0_EEPmJS9_EEE10hipError_tPvRmT3_T4_T5_T6_T7_T9_mT8_P12ihipStream_tbDpT10_ENKUlT_T0_E_clISt17integral_constantIbLb0EES19_IbLb1EEEEDaS15_S16_EUlS15_E_NS1_11comp_targetILNS1_3genE5ELNS1_11target_archE942ELNS1_3gpuE9ELNS1_3repE0EEENS1_30default_config_static_selectorELNS0_4arch9wavefront6targetE1EEEvT1_,comdat
	.globl	_ZN7rocprim17ROCPRIM_400000_NS6detail17trampoline_kernelINS0_14default_configENS1_25partition_config_selectorILNS1_17partition_subalgoE9EllbEEZZNS1_14partition_implILS5_9ELb0ES3_jPlS8_PNS0_10empty_typeENS0_5tupleIJS8_S9_EEENSB_IJS8_SA_EEENS0_18inequality_wrapperIZN2at6native12_GLOBAL__N_124unique_dim_cuda_templateImEESt5tupleIJNSF_6TensorESK_SK_EERKSK_lbbbEUlllE0_EEPmJS9_EEE10hipError_tPvRmT3_T4_T5_T6_T7_T9_mT8_P12ihipStream_tbDpT10_ENKUlT_T0_E_clISt17integral_constantIbLb0EES19_IbLb1EEEEDaS15_S16_EUlS15_E_NS1_11comp_targetILNS1_3genE5ELNS1_11target_archE942ELNS1_3gpuE9ELNS1_3repE0EEENS1_30default_config_static_selectorELNS0_4arch9wavefront6targetE1EEEvT1_ ; -- Begin function _ZN7rocprim17ROCPRIM_400000_NS6detail17trampoline_kernelINS0_14default_configENS1_25partition_config_selectorILNS1_17partition_subalgoE9EllbEEZZNS1_14partition_implILS5_9ELb0ES3_jPlS8_PNS0_10empty_typeENS0_5tupleIJS8_S9_EEENSB_IJS8_SA_EEENS0_18inequality_wrapperIZN2at6native12_GLOBAL__N_124unique_dim_cuda_templateImEESt5tupleIJNSF_6TensorESK_SK_EERKSK_lbbbEUlllE0_EEPmJS9_EEE10hipError_tPvRmT3_T4_T5_T6_T7_T9_mT8_P12ihipStream_tbDpT10_ENKUlT_T0_E_clISt17integral_constantIbLb0EES19_IbLb1EEEEDaS15_S16_EUlS15_E_NS1_11comp_targetILNS1_3genE5ELNS1_11target_archE942ELNS1_3gpuE9ELNS1_3repE0EEENS1_30default_config_static_selectorELNS0_4arch9wavefront6targetE1EEEvT1_
	.p2align	8
	.type	_ZN7rocprim17ROCPRIM_400000_NS6detail17trampoline_kernelINS0_14default_configENS1_25partition_config_selectorILNS1_17partition_subalgoE9EllbEEZZNS1_14partition_implILS5_9ELb0ES3_jPlS8_PNS0_10empty_typeENS0_5tupleIJS8_S9_EEENSB_IJS8_SA_EEENS0_18inequality_wrapperIZN2at6native12_GLOBAL__N_124unique_dim_cuda_templateImEESt5tupleIJNSF_6TensorESK_SK_EERKSK_lbbbEUlllE0_EEPmJS9_EEE10hipError_tPvRmT3_T4_T5_T6_T7_T9_mT8_P12ihipStream_tbDpT10_ENKUlT_T0_E_clISt17integral_constantIbLb0EES19_IbLb1EEEEDaS15_S16_EUlS15_E_NS1_11comp_targetILNS1_3genE5ELNS1_11target_archE942ELNS1_3gpuE9ELNS1_3repE0EEENS1_30default_config_static_selectorELNS0_4arch9wavefront6targetE1EEEvT1_,@function
_ZN7rocprim17ROCPRIM_400000_NS6detail17trampoline_kernelINS0_14default_configENS1_25partition_config_selectorILNS1_17partition_subalgoE9EllbEEZZNS1_14partition_implILS5_9ELb0ES3_jPlS8_PNS0_10empty_typeENS0_5tupleIJS8_S9_EEENSB_IJS8_SA_EEENS0_18inequality_wrapperIZN2at6native12_GLOBAL__N_124unique_dim_cuda_templateImEESt5tupleIJNSF_6TensorESK_SK_EERKSK_lbbbEUlllE0_EEPmJS9_EEE10hipError_tPvRmT3_T4_T5_T6_T7_T9_mT8_P12ihipStream_tbDpT10_ENKUlT_T0_E_clISt17integral_constantIbLb0EES19_IbLb1EEEEDaS15_S16_EUlS15_E_NS1_11comp_targetILNS1_3genE5ELNS1_11target_archE942ELNS1_3gpuE9ELNS1_3repE0EEENS1_30default_config_static_selectorELNS0_4arch9wavefront6targetE1EEEvT1_: ; @_ZN7rocprim17ROCPRIM_400000_NS6detail17trampoline_kernelINS0_14default_configENS1_25partition_config_selectorILNS1_17partition_subalgoE9EllbEEZZNS1_14partition_implILS5_9ELb0ES3_jPlS8_PNS0_10empty_typeENS0_5tupleIJS8_S9_EEENSB_IJS8_SA_EEENS0_18inequality_wrapperIZN2at6native12_GLOBAL__N_124unique_dim_cuda_templateImEESt5tupleIJNSF_6TensorESK_SK_EERKSK_lbbbEUlllE0_EEPmJS9_EEE10hipError_tPvRmT3_T4_T5_T6_T7_T9_mT8_P12ihipStream_tbDpT10_ENKUlT_T0_E_clISt17integral_constantIbLb0EES19_IbLb1EEEEDaS15_S16_EUlS15_E_NS1_11comp_targetILNS1_3genE5ELNS1_11target_archE942ELNS1_3gpuE9ELNS1_3repE0EEENS1_30default_config_static_selectorELNS0_4arch9wavefront6targetE1EEEvT1_
; %bb.0:
	s_load_dwordx4 s[4:7], s[0:1], 0x8
	s_load_dwordx2 s[10:11], s[0:1], 0x18
	s_load_dwordx8 s[20:27], s[0:1], 0x40
	s_load_dwordx4 s[36:39], s[0:1], 0x60
	v_cmp_ne_u32_e64 s[2:3], 0, v0
	v_cmp_eq_u32_e64 s[18:19], 0, v0
	s_and_saveexec_b64 s[8:9], s[18:19]
	s_cbranch_execz .LBB1731_4
; %bb.1:
	s_mov_b64 s[14:15], exec
	v_mbcnt_lo_u32_b32 v1, s14, 0
	v_mbcnt_hi_u32_b32 v1, s15, v1
	v_cmp_eq_u32_e32 vcc, 0, v1
                                        ; implicit-def: $vgpr2
	s_and_saveexec_b64 s[12:13], vcc
	s_cbranch_execz .LBB1731_3
; %bb.2:
	s_load_dwordx2 s[16:17], s[0:1], 0x78
	s_bcnt1_i32_b64 s14, s[14:15]
	v_mov_b32_e32 v2, 0
	v_mov_b32_e32 v3, s14
	s_waitcnt lgkmcnt(0)
	global_atomic_add v2, v2, v3, s[16:17] sc0
.LBB1731_3:
	s_or_b64 exec, exec, s[12:13]
	s_waitcnt vmcnt(0)
	v_readfirstlane_b32 s12, v2
	v_mov_b32_e32 v2, 0
	s_nop 0
	v_add_u32_e32 v1, s12, v1
	ds_write_b32 v2, v1
.LBB1731_4:
	s_or_b64 exec, exec, s[8:9]
	v_mov_b32_e32 v3, 0
	s_load_dwordx4 s[28:31], s[0:1], 0x28
	s_load_dword s8, s[0:1], 0x70
	s_waitcnt lgkmcnt(0)
	s_barrier
	ds_read_b32 v1, v3
	s_waitcnt lgkmcnt(0)
	s_barrier
	global_load_dwordx2 v[4:5], v3, s[22:23]
	s_lshl_b64 s[12:13], s[6:7], 3
	s_mul_i32 s14, s8, 0xe00
	s_add_u32 s16, s4, s12
	s_addc_u32 s17, s5, s13
	s_add_i32 s4, s14, s6
	s_sub_i32 s54, s24, s4
	s_add_i32 s15, s8, -1
	s_addk_i32 s54, 0xe00
	s_add_u32 s4, s6, s14
	v_readfirstlane_b32 s33, v1
	s_addc_u32 s5, s7, 0
	v_mov_b32_e32 v6, s24
	v_mov_b32_e32 v7, s25
	s_cmp_eq_u32 s33, s15
	s_mov_b32 s9, 0
	s_mul_i32 s8, s33, 0xe00
	v_cmp_ge_u64_e32 vcc, s[4:5], v[6:7]
	s_cselect_b64 s[24:25], -1, 0
	s_lshl_b64 s[14:15], s[8:9], 3
	s_and_b64 s[8:9], vcc, s[24:25]
	s_xor_b64 s[34:35], s[8:9], -1
	s_add_u32 s4, s16, s14
	s_mov_b64 s[0:1], -1
	s_addc_u32 s5, s17, s15
	s_and_b64 vcc, exec, s[34:35]
	s_waitcnt vmcnt(0)
	v_readfirstlane_b32 s22, v4
	v_readfirstlane_b32 s23, v5
	s_cbranch_vccz .LBB1731_6
; %bb.5:
	v_lshlrev_b32_e32 v2, 3, v0
	v_lshl_add_u64 v[4:5], s[4:5], 0, v[2:3]
	v_add_co_u32_e32 v8, vcc, 0x1000, v4
	global_load_dwordx2 v[6:7], v2, s[4:5]
	s_nop 0
	v_addc_co_u32_e32 v9, vcc, 0, v5, vcc
	v_add_co_u32_e32 v10, vcc, 0x2000, v4
	s_mov_b64 s[0:1], 0
	s_nop 0
	v_addc_co_u32_e32 v11, vcc, 0, v5, vcc
	v_add_co_u32_e32 v12, vcc, 0x3000, v4
	s_nop 1
	v_addc_co_u32_e32 v13, vcc, 0, v5, vcc
	v_add_co_u32_e32 v14, vcc, 0x4000, v4
	s_nop 1
	v_addc_co_u32_e32 v15, vcc, 0, v5, vcc
	global_load_dwordx2 v[16:17], v[8:9], off
	global_load_dwordx2 v[18:19], v[10:11], off
	;; [unrolled: 1-line block ×4, first 2 shown]
	v_add_co_u32_e32 v8, vcc, 0x5000, v4
	s_nop 1
	v_addc_co_u32_e32 v9, vcc, 0, v5, vcc
	v_add_co_u32_e32 v4, vcc, 0x6000, v4
	global_load_dwordx2 v[8:9], v[8:9], off
	s_nop 0
	v_addc_co_u32_e32 v5, vcc, 0, v5, vcc
	global_load_dwordx2 v[4:5], v[4:5], off
	s_waitcnt vmcnt(5)
	ds_write2st64_b64 v2, v[6:7], v[16:17] offset1:8
	s_waitcnt vmcnt(3)
	ds_write2st64_b64 v2, v[18:19], v[20:21] offset0:16 offset1:24
	s_waitcnt vmcnt(1)
	ds_write2st64_b64 v2, v[22:23], v[8:9] offset0:32 offset1:40
	s_waitcnt vmcnt(0)
	ds_write_b64 v2, v[4:5] offset:24576
	s_waitcnt lgkmcnt(0)
	s_barrier
.LBB1731_6:
	s_andn2_b64 vcc, exec, s[0:1]
	v_cmp_gt_u32_e64 s[0:1], s54, v0
	s_cbranch_vccnz .LBB1731_22
; %bb.7:
                                        ; implicit-def: $vgpr2_vgpr3_vgpr4_vgpr5_vgpr6_vgpr7_vgpr8_vgpr9_vgpr10_vgpr11_vgpr12_vgpr13_vgpr14_vgpr15_vgpr16_vgpr17
	s_and_saveexec_b64 s[16:17], s[0:1]
	s_cbranch_execz .LBB1731_9
; %bb.8:
	v_lshlrev_b32_e32 v1, 3, v0
	global_load_dwordx2 v[2:3], v1, s[4:5]
.LBB1731_9:
	s_or_b64 exec, exec, s[16:17]
	v_or_b32_e32 v1, 0x200, v0
	v_cmp_gt_u32_e32 vcc, s54, v1
	s_and_saveexec_b64 s[0:1], vcc
	s_cbranch_execz .LBB1731_11
; %bb.10:
	v_lshlrev_b32_e32 v1, 3, v1
	global_load_dwordx2 v[4:5], v1, s[4:5]
.LBB1731_11:
	s_or_b64 exec, exec, s[0:1]
	v_or_b32_e32 v1, 0x400, v0
	v_cmp_gt_u32_e32 vcc, s54, v1
	s_and_saveexec_b64 s[0:1], vcc
	;; [unrolled: 9-line block ×6, first 2 shown]
	s_cbranch_execz .LBB1731_21
; %bb.20:
	v_lshlrev_b32_e32 v1, 3, v1
	global_load_dwordx2 v[14:15], v1, s[4:5]
.LBB1731_21:
	s_or_b64 exec, exec, s[0:1]
	v_lshlrev_b32_e32 v1, 3, v0
	s_waitcnt vmcnt(0)
	ds_write2st64_b64 v1, v[2:3], v[4:5] offset1:8
	ds_write2st64_b64 v1, v[6:7], v[8:9] offset0:16 offset1:24
	ds_write2st64_b64 v1, v[10:11], v[12:13] offset0:32 offset1:40
	ds_write_b64 v1, v[14:15] offset:24576
	s_waitcnt lgkmcnt(0)
	s_barrier
.LBB1731_22:
	v_mul_u32_u24_e32 v1, 7, v0
	v_lshlrev_b32_e32 v46, 3, v1
	ds_read2_b64 v[22:25], v46 offset1:1
	ds_read2_b64 v[18:21], v46 offset0:2 offset1:3
	ds_read2_b64 v[14:17], v46 offset0:4 offset1:5
	ds_read_b64 v[28:29], v46 offset:48
	s_add_u32 s0, s10, s12
	s_addc_u32 s1, s11, s13
	s_add_u32 s0, s0, s14
	s_addc_u32 s1, s1, s15
	s_mov_b64 s[10:11], -1
	s_and_b64 vcc, exec, s[34:35]
	s_waitcnt lgkmcnt(0)
	s_barrier
	s_cbranch_vccz .LBB1731_24
; %bb.23:
	v_lshlrev_b32_e32 v2, 3, v0
	v_mov_b32_e32 v3, 0
	v_lshl_add_u64 v[4:5], s[0:1], 0, v[2:3]
	v_add_co_u32_e32 v8, vcc, 0x1000, v4
	global_load_dwordx2 v[6:7], v2, s[0:1]
	s_nop 0
	v_addc_co_u32_e32 v9, vcc, 0, v5, vcc
	v_add_co_u32_e32 v10, vcc, 0x2000, v4
	s_mov_b64 s[10:11], 0
	s_nop 0
	v_addc_co_u32_e32 v11, vcc, 0, v5, vcc
	v_add_co_u32_e32 v12, vcc, 0x3000, v4
	s_nop 1
	v_addc_co_u32_e32 v13, vcc, 0, v5, vcc
	v_add_co_u32_e32 v26, vcc, 0x4000, v4
	s_nop 1
	v_addc_co_u32_e32 v27, vcc, 0, v5, vcc
	global_load_dwordx2 v[30:31], v[8:9], off
	global_load_dwordx2 v[32:33], v[10:11], off
	;; [unrolled: 1-line block ×4, first 2 shown]
	v_add_co_u32_e32 v8, vcc, 0x5000, v4
	s_nop 1
	v_addc_co_u32_e32 v9, vcc, 0, v5, vcc
	v_add_co_u32_e32 v4, vcc, 0x6000, v4
	global_load_dwordx2 v[8:9], v[8:9], off
	s_nop 0
	v_addc_co_u32_e32 v5, vcc, 0, v5, vcc
	global_load_dwordx2 v[4:5], v[4:5], off
	s_waitcnt vmcnt(5)
	ds_write2st64_b64 v2, v[6:7], v[30:31] offset1:8
	s_waitcnt vmcnt(3)
	ds_write2st64_b64 v2, v[32:33], v[34:35] offset0:16 offset1:24
	s_waitcnt vmcnt(1)
	ds_write2st64_b64 v2, v[36:37], v[8:9] offset0:32 offset1:40
	s_waitcnt vmcnt(0)
	ds_write_b64 v2, v[4:5] offset:24576
	s_waitcnt lgkmcnt(0)
	s_barrier
.LBB1731_24:
	s_andn2_b64 vcc, exec, s[10:11]
	s_cbranch_vccnz .LBB1731_40
; %bb.25:
	v_cmp_gt_u32_e32 vcc, s54, v0
                                        ; implicit-def: $vgpr2_vgpr3
	s_and_saveexec_b64 s[10:11], vcc
	s_cbranch_execz .LBB1731_27
; %bb.26:
	v_lshlrev_b32_e32 v2, 3, v0
	global_load_dwordx2 v[2:3], v2, s[0:1]
.LBB1731_27:
	s_or_b64 exec, exec, s[10:11]
	v_or_b32_e32 v6, 0x200, v0
	v_cmp_gt_u32_e32 vcc, s54, v6
                                        ; implicit-def: $vgpr4_vgpr5
	s_and_saveexec_b64 s[10:11], vcc
	s_cbranch_execz .LBB1731_29
; %bb.28:
	v_lshlrev_b32_e32 v4, 3, v6
	global_load_dwordx2 v[4:5], v4, s[0:1]
.LBB1731_29:
	s_or_b64 exec, exec, s[10:11]
	v_or_b32_e32 v8, 0x400, v0
	v_cmp_gt_u32_e32 vcc, s54, v8
                                        ; implicit-def: $vgpr6_vgpr7
	s_and_saveexec_b64 s[10:11], vcc
	s_cbranch_execz .LBB1731_31
; %bb.30:
	v_lshlrev_b32_e32 v6, 3, v8
	global_load_dwordx2 v[6:7], v6, s[0:1]
.LBB1731_31:
	s_or_b64 exec, exec, s[10:11]
	v_or_b32_e32 v10, 0x600, v0
	v_cmp_gt_u32_e32 vcc, s54, v10
                                        ; implicit-def: $vgpr8_vgpr9
	s_and_saveexec_b64 s[10:11], vcc
	s_cbranch_execz .LBB1731_33
; %bb.32:
	v_lshlrev_b32_e32 v8, 3, v10
	global_load_dwordx2 v[8:9], v8, s[0:1]
.LBB1731_33:
	s_or_b64 exec, exec, s[10:11]
	v_or_b32_e32 v12, 0x800, v0
	v_cmp_gt_u32_e32 vcc, s54, v12
                                        ; implicit-def: $vgpr10_vgpr11
	s_and_saveexec_b64 s[10:11], vcc
	s_cbranch_execz .LBB1731_35
; %bb.34:
	v_lshlrev_b32_e32 v10, 3, v12
	global_load_dwordx2 v[10:11], v10, s[0:1]
.LBB1731_35:
	s_or_b64 exec, exec, s[10:11]
	v_or_b32_e32 v26, 0xa00, v0
	v_cmp_gt_u32_e32 vcc, s54, v26
                                        ; implicit-def: $vgpr12_vgpr13
	s_and_saveexec_b64 s[10:11], vcc
	s_cbranch_execz .LBB1731_37
; %bb.36:
	v_lshlrev_b32_e32 v12, 3, v26
	global_load_dwordx2 v[12:13], v12, s[0:1]
.LBB1731_37:
	s_or_b64 exec, exec, s[10:11]
	v_or_b32_e32 v30, 0xc00, v0
	v_cmp_gt_u32_e32 vcc, s54, v30
                                        ; implicit-def: $vgpr26_vgpr27
	s_and_saveexec_b64 s[10:11], vcc
	s_cbranch_execz .LBB1731_39
; %bb.38:
	v_lshlrev_b32_e32 v26, 3, v30
	global_load_dwordx2 v[26:27], v26, s[0:1]
.LBB1731_39:
	s_or_b64 exec, exec, s[10:11]
	s_movk_i32 s0, 0xffd0
	v_mad_i32_i24 v30, v0, s0, v46
	s_waitcnt vmcnt(0)
	ds_write2st64_b64 v30, v[2:3], v[4:5] offset1:8
	ds_write2st64_b64 v30, v[6:7], v[8:9] offset0:16 offset1:24
	ds_write2st64_b64 v30, v[10:11], v[12:13] offset0:32 offset1:40
	ds_write_b64 v30, v[26:27] offset:24576
	s_waitcnt lgkmcnt(0)
	s_barrier
.LBB1731_40:
	ds_read2_b64 v[10:13], v46 offset1:1
	ds_read2_b64 v[6:9], v46 offset0:2 offset1:3
	ds_read2_b64 v[2:5], v46 offset0:4 offset1:5
	ds_read_b64 v[26:27], v46 offset:48
	s_cmp_lg_u32 s33, 0
	s_cselect_b64 s[0:1], -1, 0
	s_cmp_lg_u64 s[6:7], 0
	s_cselect_b64 s[6:7], -1, 0
	s_or_b64 s[6:7], s[6:7], s[0:1]
	v_add_u32_e32 v43, 1, v1
	v_add_u32_e32 v40, 2, v1
	;; [unrolled: 1-line block ×6, first 2 shown]
	s_mov_b64 s[10:11], 0
	s_and_b64 vcc, exec, s[6:7]
	v_cmp_gt_i64_e64 s[12:13], s[26:27], 0
	s_waitcnt lgkmcnt(0)
	s_barrier
	s_cbranch_vccz .LBB1731_49
; %bb.41:
	v_mov_b32_e32 v30, 0
	global_load_dwordx2 v[30:31], v30, s[4:5] offset:-8
	v_cndmask_b32_e64 v32, 0, 1, s[12:13]
	v_lshlrev_b32_e32 v47, 3, v0
	s_mov_b64 s[6:7], 0
	s_and_b64 vcc, exec, s[34:35]
	v_cmp_ne_u32_e64 s[4:5], 1, v32
	ds_write_b64 v47, v[28:29]
	s_cbranch_vccz .LBB1731_51
; %bb.42:
	v_mul_lo_u32 v34, v17, s26
	v_mul_lo_u32 v35, v16, s27
	v_mad_u64_u32 v[32:33], s[10:11], v16, s26, 0
	v_add3_u32 v33, v33, v35, v34
	s_and_b64 vcc, exec, s[4:5]
	v_lshl_add_u64 v[32:33], v[32:33], 3, s[36:37]
	s_cbranch_vccnz .LBB1731_54
; %bb.43:
	v_mul_lo_u32 v36, v29, s26
	v_mul_lo_u32 v37, v28, s27
	v_mad_u64_u32 v[34:35], s[6:7], v28, s26, 0
	v_add3_u32 v35, v35, v37, v36
	v_lshl_add_u64 v[34:35], v[34:35], 3, s[36:37]
	global_load_dwordx2 v[36:37], v[32:33], off
	global_load_dwordx2 v[38:39], v[34:35], off
	s_mov_b64 s[6:7], -1
	s_waitcnt vmcnt(0)
	v_cmp_eq_u64_e32 vcc, v[36:37], v[38:39]
	s_and_saveexec_b64 s[10:11], vcc
	s_cbranch_execz .LBB1731_53
; %bb.44:
	s_add_u32 s6, s26, -1
	v_lshl_add_u64 v[34:35], v[34:35], 0, 8
	v_lshl_add_u64 v[36:37], v[32:33], 0, 8
	s_addc_u32 s7, s27, -1
	s_mov_b64 s[12:13], 0
	s_mov_b64 s[16:17], 0
                                        ; implicit-def: $sgpr14_sgpr15
	s_branch .LBB1731_47
.LBB1731_45:                            ;   in Loop: Header=BB1731_47 Depth=1
	global_load_dwordx2 v[38:39], v[36:37], off
	global_load_dwordx2 v[48:49], v[34:35], off
	s_add_u32 s16, s16, 1
	s_addc_u32 s17, s17, 0
	s_andn2_b64 s[14:15], s[14:15], exec
	v_lshl_add_u64 v[34:35], v[34:35], 0, 8
	v_lshl_add_u64 v[36:37], v[36:37], 0, 8
	s_waitcnt vmcnt(0)
	v_cmp_ne_u64_e32 vcc, v[38:39], v[48:49]
	s_and_b64 s[40:41], vcc, exec
	s_or_b64 s[14:15], s[14:15], s[40:41]
.LBB1731_46:                            ;   in Loop: Header=BB1731_47 Depth=1
	s_and_b64 s[40:41], exec, s[14:15]
	s_or_b64 s[12:13], s[40:41], s[12:13]
	v_mov_b64_e32 v[38:39], s[16:17]
	s_andn2_b64 exec, exec, s[12:13]
	s_cbranch_execz .LBB1731_52
.LBB1731_47:                            ; =>This Inner Loop Header: Depth=1
	s_or_b64 s[14:15], s[14:15], exec
	s_cmp_eq_u64 s[6:7], s[16:17]
	s_cbranch_scc0 .LBB1731_45
; %bb.48:                               ;   in Loop: Header=BB1731_47 Depth=1
                                        ; implicit-def: $vgpr34_vgpr35
                                        ; implicit-def: $vgpr36_vgpr37
	s_mov_b64 s[16:17], s[26:27]
	s_branch .LBB1731_46
.LBB1731_49:
                                        ; implicit-def: $sgpr14_sgpr15
                                        ; implicit-def: $vgpr49
                                        ; implicit-def: $vgpr48
                                        ; implicit-def: $vgpr39
                                        ; implicit-def: $vgpr34
	s_branch .LBB1731_192
.LBB1731_50:
                                        ; implicit-def: $vgpr30_vgpr31
	s_branch .LBB1731_340
.LBB1731_51:
                                        ; implicit-def: $sgpr14_sgpr15
                                        ; implicit-def: $vgpr49
                                        ; implicit-def: $vgpr48
                                        ; implicit-def: $vgpr39
                                        ; implicit-def: $vgpr34
	s_cbranch_execnz .LBB1731_111
	s_branch .LBB1731_191
.LBB1731_52:
	s_or_b64 exec, exec, s[12:13]
	v_cmp_gt_i64_e32 vcc, s[26:27], v[38:39]
	s_orn2_b64 s[6:7], vcc, exec
.LBB1731_53:
	s_or_b64 exec, exec, s[10:11]
.LBB1731_54:
	v_mul_lo_u32 v36, v15, s26
	v_mul_lo_u32 v37, v14, s27
	v_mad_u64_u32 v[34:35], s[10:11], v14, s26, 0
	v_add3_u32 v35, v35, v37, v36
	s_mov_b64 s[10:11], 0
	s_and_b64 vcc, exec, s[4:5]
	v_lshl_add_u64 v[34:35], v[34:35], 3, s[36:37]
	s_mov_b64 s[12:13], 0
	s_cbranch_vccnz .LBB1731_63
; %bb.55:
	global_load_dwordx2 v[36:37], v[34:35], off
	global_load_dwordx2 v[38:39], v[32:33], off
	s_mov_b64 s[12:13], -1
	s_waitcnt vmcnt(0)
	v_cmp_eq_u64_e32 vcc, v[36:37], v[38:39]
	s_and_saveexec_b64 s[14:15], vcc
	s_cbranch_execz .LBB1731_62
; %bb.56:
	s_add_u32 s12, s26, -1
	v_lshl_add_u64 v[32:33], v[32:33], 0, 8
	v_lshl_add_u64 v[36:37], v[34:35], 0, 8
	s_addc_u32 s13, s27, -1
	s_mov_b64 s[16:17], 0
	s_mov_b64 s[42:43], 0
                                        ; implicit-def: $sgpr40_sgpr41
	s_branch .LBB1731_59
.LBB1731_57:                            ;   in Loop: Header=BB1731_59 Depth=1
	global_load_dwordx2 v[38:39], v[36:37], off
	global_load_dwordx2 v[48:49], v[32:33], off
	s_add_u32 s42, s42, 1
	s_addc_u32 s43, s43, 0
	s_andn2_b64 s[40:41], s[40:41], exec
	v_lshl_add_u64 v[32:33], v[32:33], 0, 8
	v_lshl_add_u64 v[36:37], v[36:37], 0, 8
	s_waitcnt vmcnt(0)
	v_cmp_ne_u64_e32 vcc, v[38:39], v[48:49]
	s_and_b64 s[44:45], vcc, exec
	s_or_b64 s[40:41], s[40:41], s[44:45]
.LBB1731_58:                            ;   in Loop: Header=BB1731_59 Depth=1
	s_and_b64 s[44:45], exec, s[40:41]
	s_or_b64 s[16:17], s[44:45], s[16:17]
	v_mov_b64_e32 v[38:39], s[42:43]
	s_andn2_b64 exec, exec, s[16:17]
	s_cbranch_execz .LBB1731_61
.LBB1731_59:                            ; =>This Inner Loop Header: Depth=1
	s_or_b64 s[40:41], s[40:41], exec
	s_cmp_eq_u64 s[12:13], s[42:43]
	s_cbranch_scc0 .LBB1731_57
; %bb.60:                               ;   in Loop: Header=BB1731_59 Depth=1
                                        ; implicit-def: $vgpr32_vgpr33
                                        ; implicit-def: $vgpr36_vgpr37
	s_mov_b64 s[42:43], s[26:27]
	s_branch .LBB1731_58
.LBB1731_61:
	s_or_b64 exec, exec, s[16:17]
	v_cmp_gt_i64_e32 vcc, s[26:27], v[38:39]
	s_orn2_b64 s[12:13], vcc, exec
.LBB1731_62:
	s_or_b64 exec, exec, s[14:15]
.LBB1731_63:
	v_mul_lo_u32 v36, v21, s26
	v_mul_lo_u32 v37, v20, s27
	v_mad_u64_u32 v[32:33], s[14:15], v20, s26, 0
	v_add3_u32 v33, v33, v37, v36
	s_and_b64 vcc, exec, s[4:5]
	v_lshl_add_u64 v[32:33], v[32:33], 3, s[36:37]
	s_cbranch_vccnz .LBB1731_72
; %bb.64:
	global_load_dwordx2 v[36:37], v[32:33], off
	global_load_dwordx2 v[38:39], v[34:35], off
	s_mov_b64 s[10:11], -1
	s_waitcnt vmcnt(0)
	v_cmp_eq_u64_e32 vcc, v[36:37], v[38:39]
	s_and_saveexec_b64 s[14:15], vcc
	s_cbranch_execz .LBB1731_71
; %bb.65:
	s_add_u32 s10, s26, -1
	v_lshl_add_u64 v[34:35], v[34:35], 0, 8
	v_lshl_add_u64 v[36:37], v[32:33], 0, 8
	s_addc_u32 s11, s27, -1
	s_mov_b64 s[16:17], 0
	s_mov_b64 s[42:43], 0
                                        ; implicit-def: $sgpr40_sgpr41
	s_branch .LBB1731_68
.LBB1731_66:                            ;   in Loop: Header=BB1731_68 Depth=1
	global_load_dwordx2 v[38:39], v[36:37], off
	global_load_dwordx2 v[48:49], v[34:35], off
	s_add_u32 s42, s42, 1
	s_addc_u32 s43, s43, 0
	s_andn2_b64 s[40:41], s[40:41], exec
	v_lshl_add_u64 v[34:35], v[34:35], 0, 8
	v_lshl_add_u64 v[36:37], v[36:37], 0, 8
	s_waitcnt vmcnt(0)
	v_cmp_ne_u64_e32 vcc, v[38:39], v[48:49]
	s_and_b64 s[44:45], vcc, exec
	s_or_b64 s[40:41], s[40:41], s[44:45]
.LBB1731_67:                            ;   in Loop: Header=BB1731_68 Depth=1
	s_and_b64 s[44:45], exec, s[40:41]
	s_or_b64 s[16:17], s[44:45], s[16:17]
	v_mov_b64_e32 v[38:39], s[42:43]
	s_andn2_b64 exec, exec, s[16:17]
	s_cbranch_execz .LBB1731_70
.LBB1731_68:                            ; =>This Inner Loop Header: Depth=1
	s_or_b64 s[40:41], s[40:41], exec
	s_cmp_eq_u64 s[10:11], s[42:43]
	s_cbranch_scc0 .LBB1731_66
; %bb.69:                               ;   in Loop: Header=BB1731_68 Depth=1
                                        ; implicit-def: $vgpr34_vgpr35
                                        ; implicit-def: $vgpr36_vgpr37
	s_mov_b64 s[42:43], s[26:27]
	s_branch .LBB1731_67
.LBB1731_70:
	s_or_b64 exec, exec, s[16:17]
	v_cmp_gt_i64_e32 vcc, s[26:27], v[38:39]
	s_orn2_b64 s[10:11], vcc, exec
.LBB1731_71:
	s_or_b64 exec, exec, s[14:15]
.LBB1731_72:
	v_mul_lo_u32 v36, v19, s26
	v_mul_lo_u32 v37, v18, s27
	v_mad_u64_u32 v[34:35], s[14:15], v18, s26, 0
	v_add3_u32 v35, v35, v37, v36
	s_mov_b64 s[14:15], 0
	s_and_b64 vcc, exec, s[4:5]
	v_lshl_add_u64 v[36:37], v[34:35], 3, s[36:37]
	s_mov_b64 s[16:17], 0
	s_cbranch_vccnz .LBB1731_81
; %bb.73:
	global_load_dwordx2 v[34:35], v[36:37], off
	global_load_dwordx2 v[38:39], v[32:33], off
	s_mov_b64 s[16:17], -1
	s_waitcnt vmcnt(0)
	v_cmp_eq_u64_e32 vcc, v[34:35], v[38:39]
	s_and_saveexec_b64 s[40:41], vcc
	s_cbranch_execz .LBB1731_80
; %bb.74:
	s_add_u32 s16, s26, -1
	v_lshl_add_u64 v[32:33], v[32:33], 0, 8
	v_lshl_add_u64 v[34:35], v[36:37], 0, 8
	s_addc_u32 s17, s27, -1
	s_mov_b64 s[42:43], 0
	s_mov_b64 s[46:47], 0
                                        ; implicit-def: $sgpr44_sgpr45
	s_branch .LBB1731_77
.LBB1731_75:                            ;   in Loop: Header=BB1731_77 Depth=1
	global_load_dwordx2 v[38:39], v[34:35], off
	global_load_dwordx2 v[48:49], v[32:33], off
	s_add_u32 s46, s46, 1
	s_addc_u32 s47, s47, 0
	s_andn2_b64 s[44:45], s[44:45], exec
	v_lshl_add_u64 v[32:33], v[32:33], 0, 8
	v_lshl_add_u64 v[34:35], v[34:35], 0, 8
	s_waitcnt vmcnt(0)
	v_cmp_ne_u64_e32 vcc, v[38:39], v[48:49]
	s_and_b64 s[48:49], vcc, exec
	s_or_b64 s[44:45], s[44:45], s[48:49]
.LBB1731_76:                            ;   in Loop: Header=BB1731_77 Depth=1
	s_and_b64 s[48:49], exec, s[44:45]
	s_or_b64 s[42:43], s[48:49], s[42:43]
	v_mov_b64_e32 v[38:39], s[46:47]
	s_andn2_b64 exec, exec, s[42:43]
	s_cbranch_execz .LBB1731_79
.LBB1731_77:                            ; =>This Inner Loop Header: Depth=1
	s_or_b64 s[44:45], s[44:45], exec
	s_cmp_eq_u64 s[16:17], s[46:47]
	s_cbranch_scc0 .LBB1731_75
; %bb.78:                               ;   in Loop: Header=BB1731_77 Depth=1
                                        ; implicit-def: $vgpr32_vgpr33
                                        ; implicit-def: $vgpr34_vgpr35
	s_mov_b64 s[46:47], s[26:27]
	s_branch .LBB1731_76
.LBB1731_79:
	s_or_b64 exec, exec, s[42:43]
	v_cmp_gt_i64_e32 vcc, s[26:27], v[38:39]
	s_orn2_b64 s[16:17], vcc, exec
.LBB1731_80:
	s_or_b64 exec, exec, s[40:41]
.LBB1731_81:
	v_mul_lo_u32 v34, v25, s26
	v_mul_lo_u32 v35, v24, s27
	v_mad_u64_u32 v[32:33], s[40:41], v24, s26, 0
	v_add3_u32 v33, v33, v35, v34
	s_and_b64 vcc, exec, s[4:5]
	v_lshl_add_u64 v[34:35], v[32:33], 3, s[36:37]
	s_cbranch_vccnz .LBB1731_90
; %bb.82:
	global_load_dwordx2 v[32:33], v[34:35], off
	global_load_dwordx2 v[38:39], v[36:37], off
	s_mov_b64 s[14:15], -1
	s_waitcnt vmcnt(0)
	v_cmp_eq_u64_e32 vcc, v[32:33], v[38:39]
	s_and_saveexec_b64 s[40:41], vcc
	s_cbranch_execz .LBB1731_89
; %bb.83:
	s_add_u32 s14, s26, -1
	v_lshl_add_u64 v[32:33], v[36:37], 0, 8
	v_lshl_add_u64 v[36:37], v[34:35], 0, 8
	s_addc_u32 s15, s27, -1
	s_mov_b64 s[42:43], 0
	s_mov_b64 s[46:47], 0
                                        ; implicit-def: $sgpr44_sgpr45
	s_branch .LBB1731_86
.LBB1731_84:                            ;   in Loop: Header=BB1731_86 Depth=1
	global_load_dwordx2 v[38:39], v[36:37], off
	global_load_dwordx2 v[48:49], v[32:33], off
	s_add_u32 s46, s46, 1
	s_addc_u32 s47, s47, 0
	s_andn2_b64 s[44:45], s[44:45], exec
	v_lshl_add_u64 v[32:33], v[32:33], 0, 8
	v_lshl_add_u64 v[36:37], v[36:37], 0, 8
	s_waitcnt vmcnt(0)
	v_cmp_ne_u64_e32 vcc, v[38:39], v[48:49]
	s_and_b64 s[48:49], vcc, exec
	s_or_b64 s[44:45], s[44:45], s[48:49]
.LBB1731_85:                            ;   in Loop: Header=BB1731_86 Depth=1
	s_and_b64 s[48:49], exec, s[44:45]
	s_or_b64 s[42:43], s[48:49], s[42:43]
	v_mov_b64_e32 v[38:39], s[46:47]
	s_andn2_b64 exec, exec, s[42:43]
	s_cbranch_execz .LBB1731_88
.LBB1731_86:                            ; =>This Inner Loop Header: Depth=1
	s_or_b64 s[44:45], s[44:45], exec
	s_cmp_eq_u64 s[14:15], s[46:47]
	s_cbranch_scc0 .LBB1731_84
; %bb.87:                               ;   in Loop: Header=BB1731_86 Depth=1
                                        ; implicit-def: $vgpr32_vgpr33
                                        ; implicit-def: $vgpr36_vgpr37
	s_mov_b64 s[46:47], s[26:27]
	s_branch .LBB1731_85
.LBB1731_88:
	s_or_b64 exec, exec, s[42:43]
	v_cmp_gt_i64_e32 vcc, s[26:27], v[38:39]
	s_orn2_b64 s[14:15], vcc, exec
.LBB1731_89:
	s_or_b64 exec, exec, s[40:41]
.LBB1731_90:
	v_mul_lo_u32 v36, v23, s26
	v_mul_lo_u32 v37, v22, s27
	v_mad_u64_u32 v[32:33], s[40:41], v22, s26, 0
	v_add3_u32 v33, v33, v37, v36
	s_mov_b64 s[42:43], 0
	s_and_b64 vcc, exec, s[4:5]
	v_lshl_add_u64 v[32:33], v[32:33], 3, s[36:37]
	s_cbranch_vccnz .LBB1731_99
; %bb.91:
	global_load_dwordx2 v[36:37], v[32:33], off
	global_load_dwordx2 v[38:39], v[34:35], off
	s_mov_b64 s[42:43], -1
	s_waitcnt vmcnt(0)
	v_cmp_eq_u64_e32 vcc, v[36:37], v[38:39]
	s_and_saveexec_b64 s[40:41], vcc
	s_cbranch_execz .LBB1731_98
; %bb.92:
	s_add_u32 s42, s26, -1
	v_lshl_add_u64 v[34:35], v[34:35], 0, 8
	v_lshl_add_u64 v[36:37], v[32:33], 0, 8
	s_addc_u32 s43, s27, -1
	s_mov_b64 s[44:45], 0
	s_mov_b64 s[48:49], 0
                                        ; implicit-def: $sgpr46_sgpr47
	s_branch .LBB1731_95
.LBB1731_93:                            ;   in Loop: Header=BB1731_95 Depth=1
	global_load_dwordx2 v[38:39], v[36:37], off
	global_load_dwordx2 v[48:49], v[34:35], off
	s_add_u32 s48, s48, 1
	s_addc_u32 s49, s49, 0
	s_andn2_b64 s[46:47], s[46:47], exec
	v_lshl_add_u64 v[34:35], v[34:35], 0, 8
	v_lshl_add_u64 v[36:37], v[36:37], 0, 8
	s_waitcnt vmcnt(0)
	v_cmp_ne_u64_e32 vcc, v[38:39], v[48:49]
	s_and_b64 s[50:51], vcc, exec
	s_or_b64 s[46:47], s[46:47], s[50:51]
.LBB1731_94:                            ;   in Loop: Header=BB1731_95 Depth=1
	s_and_b64 s[50:51], exec, s[46:47]
	s_or_b64 s[44:45], s[50:51], s[44:45]
	v_mov_b64_e32 v[38:39], s[48:49]
	s_andn2_b64 exec, exec, s[44:45]
	s_cbranch_execz .LBB1731_97
.LBB1731_95:                            ; =>This Inner Loop Header: Depth=1
	s_or_b64 s[46:47], s[46:47], exec
	s_cmp_eq_u64 s[42:43], s[48:49]
	s_cbranch_scc0 .LBB1731_93
; %bb.96:                               ;   in Loop: Header=BB1731_95 Depth=1
                                        ; implicit-def: $vgpr34_vgpr35
                                        ; implicit-def: $vgpr36_vgpr37
	s_mov_b64 s[48:49], s[26:27]
	s_branch .LBB1731_94
.LBB1731_97:
	s_or_b64 exec, exec, s[44:45]
	v_cmp_gt_i64_e32 vcc, s[26:27], v[38:39]
	s_orn2_b64 s[42:43], vcc, exec
.LBB1731_98:
	s_or_b64 exec, exec, s[40:41]
.LBB1731_99:
	s_waitcnt vmcnt(0)
	v_mov_b64_e32 v[34:35], v[30:31]
	s_waitcnt lgkmcnt(0)
	s_barrier
	s_and_saveexec_b64 s[40:41], s[2:3]
	s_cbranch_execz .LBB1731_101
; %bb.100:
	v_add_u32_e32 v34, -8, v47
	ds_read_b64 v[34:35], v34
.LBB1731_101:
	s_or_b64 exec, exec, s[40:41]
	v_cndmask_b32_e64 v37, 0, 1, s[16:17]
	v_cndmask_b32_e64 v36, 0, 1, s[14:15]
	;; [unrolled: 1-line block ×3, first 2 shown]
	v_lshlrev_b16_e32 v37, 8, v37
	v_lshlrev_b16_e32 v38, 8, v38
	v_or_b32_sdwa v50, v36, v37 dst_sel:WORD_1 dst_unused:UNUSED_PAD src0_sel:DWORD src1_sel:DWORD
	s_mov_b64 s[16:17], 0
	s_and_b64 vcc, exec, s[4:5]
	s_mov_b64 s[14:15], 0
	s_cbranch_vccnz .LBB1731_110
; %bb.102:
	s_waitcnt lgkmcnt(0)
	v_mul_lo_u32 v36, v35, s26
	v_mul_lo_u32 v37, v34, s27
	v_mad_u64_u32 v[34:35], s[14:15], v34, s26, 0
	v_add3_u32 v35, v35, v37, v36
	v_lshl_add_u64 v[34:35], v[34:35], 3, s[36:37]
	global_load_dwordx2 v[36:37], v[34:35], off
	global_load_dwordx2 v[48:49], v[32:33], off
	s_mov_b64 s[14:15], -1
	s_waitcnt vmcnt(0)
	v_cmp_eq_u64_e32 vcc, v[36:37], v[48:49]
	s_and_saveexec_b64 s[40:41], vcc
	s_cbranch_execz .LBB1731_109
; %bb.103:
	s_add_u32 s14, s26, -1
	v_lshl_add_u64 v[32:33], v[32:33], 0, 8
	v_lshl_add_u64 v[34:35], v[34:35], 0, 8
	s_addc_u32 s15, s27, -1
	s_mov_b64 s[42:43], 0
	s_mov_b64 s[46:47], 0
                                        ; implicit-def: $sgpr44_sgpr45
	s_branch .LBB1731_106
.LBB1731_104:                           ;   in Loop: Header=BB1731_106 Depth=1
	global_load_dwordx2 v[36:37], v[34:35], off
	global_load_dwordx2 v[48:49], v[32:33], off
	s_add_u32 s46, s46, 1
	s_addc_u32 s47, s47, 0
	s_andn2_b64 s[44:45], s[44:45], exec
	v_lshl_add_u64 v[32:33], v[32:33], 0, 8
	v_lshl_add_u64 v[34:35], v[34:35], 0, 8
	s_waitcnt vmcnt(0)
	v_cmp_ne_u64_e32 vcc, v[36:37], v[48:49]
	s_and_b64 s[48:49], vcc, exec
	s_or_b64 s[44:45], s[44:45], s[48:49]
.LBB1731_105:                           ;   in Loop: Header=BB1731_106 Depth=1
	s_and_b64 s[48:49], exec, s[44:45]
	s_or_b64 s[42:43], s[48:49], s[42:43]
	v_mov_b64_e32 v[36:37], s[46:47]
	s_andn2_b64 exec, exec, s[42:43]
	s_cbranch_execz .LBB1731_108
.LBB1731_106:                           ; =>This Inner Loop Header: Depth=1
	s_or_b64 s[44:45], s[44:45], exec
	s_cmp_eq_u64 s[14:15], s[46:47]
	s_cbranch_scc0 .LBB1731_104
; %bb.107:                              ;   in Loop: Header=BB1731_106 Depth=1
                                        ; implicit-def: $vgpr32_vgpr33
                                        ; implicit-def: $vgpr34_vgpr35
	s_mov_b64 s[46:47], s[26:27]
	s_branch .LBB1731_105
.LBB1731_108:
	s_or_b64 exec, exec, s[42:43]
	v_cmp_gt_i64_e32 vcc, s[26:27], v[36:37]
	s_orn2_b64 s[14:15], vcc, exec
.LBB1731_109:
	s_or_b64 exec, exec, s[40:41]
.LBB1731_110:
	v_cndmask_b32_e64 v39, 0, 1, s[10:11]
	v_cndmask_b32_e64 v48, 0, 1, s[12:13]
	;; [unrolled: 1-line block ×3, first 2 shown]
	s_waitcnt lgkmcnt(0)
	v_or_b32_e32 v34, v38, v50
	s_and_b64 vcc, exec, s[16:17]
	s_cbranch_vccz .LBB1731_191
.LBB1731_111:
	v_cmp_gt_u32_e32 vcc, s54, v42
	s_mov_b64 s[10:11], 0
	s_mov_b64 s[6:7], 0
	s_and_saveexec_b64 s[12:13], vcc
	s_cbranch_execz .LBB1731_122
; %bb.112:
	s_and_b64 vcc, exec, s[4:5]
	s_mov_b64 s[14:15], 0
	s_cbranch_vccnz .LBB1731_121
; %bb.113:
	v_mul_lo_u32 v34, v17, s26
	v_mul_lo_u32 v35, v16, s27
	v_mad_u64_u32 v[32:33], s[6:7], v16, s26, 0
	v_add3_u32 v33, v33, v35, v34
	v_mul_lo_u32 v34, v29, s26
	v_mul_lo_u32 v35, v28, s27
	v_mad_u64_u32 v[36:37], s[6:7], v28, s26, 0
	v_add3_u32 v37, v37, v35, v34
	v_lshl_add_u64 v[34:35], v[32:33], 3, s[36:37]
	v_lshl_add_u64 v[32:33], v[36:37], 3, s[36:37]
	global_load_dwordx2 v[36:37], v[34:35], off
	global_load_dwordx2 v[38:39], v[32:33], off
	s_mov_b64 s[14:15], -1
	s_waitcnt vmcnt(0)
	v_cmp_eq_u64_e32 vcc, v[36:37], v[38:39]
	s_and_saveexec_b64 s[6:7], vcc
	s_cbranch_execz .LBB1731_120
; %bb.114:
	s_add_u32 s14, s26, -1
	v_lshl_add_u64 v[32:33], v[32:33], 0, 8
	v_lshl_add_u64 v[34:35], v[34:35], 0, 8
	s_addc_u32 s15, s27, -1
	s_mov_b64 s[16:17], 0
	s_mov_b64 s[42:43], 0
                                        ; implicit-def: $sgpr40_sgpr41
	s_branch .LBB1731_117
.LBB1731_115:                           ;   in Loop: Header=BB1731_117 Depth=1
	global_load_dwordx2 v[36:37], v[34:35], off
	global_load_dwordx2 v[38:39], v[32:33], off
	s_add_u32 s42, s42, 1
	s_addc_u32 s43, s43, 0
	s_andn2_b64 s[40:41], s[40:41], exec
	v_lshl_add_u64 v[32:33], v[32:33], 0, 8
	v_lshl_add_u64 v[34:35], v[34:35], 0, 8
	s_waitcnt vmcnt(0)
	v_cmp_ne_u64_e32 vcc, v[36:37], v[38:39]
	s_and_b64 s[44:45], vcc, exec
	s_or_b64 s[40:41], s[40:41], s[44:45]
.LBB1731_116:                           ;   in Loop: Header=BB1731_117 Depth=1
	s_and_b64 s[44:45], exec, s[40:41]
	s_or_b64 s[16:17], s[44:45], s[16:17]
	v_mov_b64_e32 v[36:37], s[42:43]
	s_andn2_b64 exec, exec, s[16:17]
	s_cbranch_execz .LBB1731_119
.LBB1731_117:                           ; =>This Inner Loop Header: Depth=1
	s_or_b64 s[40:41], s[40:41], exec
	s_cmp_eq_u64 s[14:15], s[42:43]
	s_cbranch_scc0 .LBB1731_115
; %bb.118:                              ;   in Loop: Header=BB1731_117 Depth=1
                                        ; implicit-def: $vgpr32_vgpr33
                                        ; implicit-def: $vgpr34_vgpr35
	s_mov_b64 s[42:43], s[26:27]
	s_branch .LBB1731_116
.LBB1731_119:
	s_or_b64 exec, exec, s[16:17]
	v_cmp_gt_i64_e32 vcc, s[26:27], v[36:37]
	s_orn2_b64 s[14:15], vcc, exec
.LBB1731_120:
	s_or_b64 exec, exec, s[6:7]
.LBB1731_121:
	s_and_b64 s[6:7], s[14:15], exec
.LBB1731_122:
	s_or_b64 exec, exec, s[12:13]
	v_cmp_gt_u32_e32 vcc, s54, v45
	s_and_saveexec_b64 s[12:13], vcc
	s_cbranch_execz .LBB1731_133
; %bb.123:
	s_and_b64 vcc, exec, s[4:5]
	s_mov_b64 s[14:15], 0
	s_cbranch_vccnz .LBB1731_132
; %bb.124:
	v_mul_lo_u32 v34, v15, s26
	v_mul_lo_u32 v35, v14, s27
	v_mad_u64_u32 v[32:33], s[10:11], v14, s26, 0
	v_add3_u32 v33, v33, v35, v34
	v_mul_lo_u32 v34, v17, s26
	v_mul_lo_u32 v35, v16, s27
	v_mad_u64_u32 v[36:37], s[10:11], v16, s26, 0
	v_add3_u32 v37, v37, v35, v34
	v_lshl_add_u64 v[34:35], v[32:33], 3, s[36:37]
	v_lshl_add_u64 v[32:33], v[36:37], 3, s[36:37]
	global_load_dwordx2 v[36:37], v[34:35], off
	global_load_dwordx2 v[38:39], v[32:33], off
	s_mov_b64 s[14:15], -1
	s_waitcnt vmcnt(0)
	v_cmp_eq_u64_e32 vcc, v[36:37], v[38:39]
	s_and_saveexec_b64 s[10:11], vcc
	s_cbranch_execz .LBB1731_131
; %bb.125:
	s_add_u32 s14, s26, -1
	v_lshl_add_u64 v[32:33], v[32:33], 0, 8
	v_lshl_add_u64 v[34:35], v[34:35], 0, 8
	s_addc_u32 s15, s27, -1
	s_mov_b64 s[16:17], 0
	s_mov_b64 s[42:43], 0
                                        ; implicit-def: $sgpr40_sgpr41
	s_branch .LBB1731_128
.LBB1731_126:                           ;   in Loop: Header=BB1731_128 Depth=1
	global_load_dwordx2 v[36:37], v[34:35], off
	global_load_dwordx2 v[38:39], v[32:33], off
	s_add_u32 s42, s42, 1
	s_addc_u32 s43, s43, 0
	s_andn2_b64 s[40:41], s[40:41], exec
	v_lshl_add_u64 v[32:33], v[32:33], 0, 8
	v_lshl_add_u64 v[34:35], v[34:35], 0, 8
	s_waitcnt vmcnt(0)
	v_cmp_ne_u64_e32 vcc, v[36:37], v[38:39]
	s_and_b64 s[44:45], vcc, exec
	s_or_b64 s[40:41], s[40:41], s[44:45]
.LBB1731_127:                           ;   in Loop: Header=BB1731_128 Depth=1
	s_and_b64 s[44:45], exec, s[40:41]
	s_or_b64 s[16:17], s[44:45], s[16:17]
	v_mov_b64_e32 v[36:37], s[42:43]
	s_andn2_b64 exec, exec, s[16:17]
	s_cbranch_execz .LBB1731_130
.LBB1731_128:                           ; =>This Inner Loop Header: Depth=1
	s_or_b64 s[40:41], s[40:41], exec
	s_cmp_eq_u64 s[14:15], s[42:43]
	s_cbranch_scc0 .LBB1731_126
; %bb.129:                              ;   in Loop: Header=BB1731_128 Depth=1
                                        ; implicit-def: $vgpr32_vgpr33
                                        ; implicit-def: $vgpr34_vgpr35
	s_mov_b64 s[42:43], s[26:27]
	s_branch .LBB1731_127
.LBB1731_130:
	s_or_b64 exec, exec, s[16:17]
	v_cmp_gt_i64_e32 vcc, s[26:27], v[36:37]
	s_orn2_b64 s[14:15], vcc, exec
.LBB1731_131:
	s_or_b64 exec, exec, s[10:11]
.LBB1731_132:
	s_and_b64 s[10:11], s[14:15], exec
.LBB1731_133:
	s_or_b64 exec, exec, s[12:13]
	v_cmp_gt_u32_e32 vcc, s54, v41
	s_mov_b64 s[14:15], 0
	s_mov_b64 s[12:13], 0
	s_and_saveexec_b64 s[16:17], vcc
	s_cbranch_execz .LBB1731_144
; %bb.134:
	s_and_b64 vcc, exec, s[4:5]
	s_mov_b64 s[40:41], 0
	s_cbranch_vccnz .LBB1731_143
; %bb.135:
	v_mul_lo_u32 v34, v21, s26
	v_mul_lo_u32 v35, v20, s27
	v_mad_u64_u32 v[32:33], s[12:13], v20, s26, 0
	v_add3_u32 v33, v33, v35, v34
	v_mul_lo_u32 v34, v15, s26
	v_mul_lo_u32 v35, v14, s27
	v_mad_u64_u32 v[36:37], s[12:13], v14, s26, 0
	v_add3_u32 v37, v37, v35, v34
	v_lshl_add_u64 v[34:35], v[32:33], 3, s[36:37]
	v_lshl_add_u64 v[32:33], v[36:37], 3, s[36:37]
	global_load_dwordx2 v[36:37], v[34:35], off
	global_load_dwordx2 v[38:39], v[32:33], off
	s_mov_b64 s[40:41], -1
	s_waitcnt vmcnt(0)
	v_cmp_eq_u64_e32 vcc, v[36:37], v[38:39]
	s_and_saveexec_b64 s[12:13], vcc
	s_cbranch_execz .LBB1731_142
; %bb.136:
	s_add_u32 s40, s26, -1
	v_lshl_add_u64 v[32:33], v[32:33], 0, 8
	v_lshl_add_u64 v[34:35], v[34:35], 0, 8
	s_addc_u32 s41, s27, -1
	s_mov_b64 s[42:43], 0
	s_mov_b64 s[46:47], 0
                                        ; implicit-def: $sgpr44_sgpr45
	s_branch .LBB1731_139
.LBB1731_137:                           ;   in Loop: Header=BB1731_139 Depth=1
	global_load_dwordx2 v[36:37], v[34:35], off
	global_load_dwordx2 v[38:39], v[32:33], off
	s_add_u32 s46, s46, 1
	s_addc_u32 s47, s47, 0
	s_andn2_b64 s[44:45], s[44:45], exec
	v_lshl_add_u64 v[32:33], v[32:33], 0, 8
	v_lshl_add_u64 v[34:35], v[34:35], 0, 8
	s_waitcnt vmcnt(0)
	v_cmp_ne_u64_e32 vcc, v[36:37], v[38:39]
	s_and_b64 s[48:49], vcc, exec
	s_or_b64 s[44:45], s[44:45], s[48:49]
.LBB1731_138:                           ;   in Loop: Header=BB1731_139 Depth=1
	s_and_b64 s[48:49], exec, s[44:45]
	s_or_b64 s[42:43], s[48:49], s[42:43]
	v_mov_b64_e32 v[36:37], s[46:47]
	s_andn2_b64 exec, exec, s[42:43]
	s_cbranch_execz .LBB1731_141
.LBB1731_139:                           ; =>This Inner Loop Header: Depth=1
	s_or_b64 s[44:45], s[44:45], exec
	s_cmp_eq_u64 s[40:41], s[46:47]
	s_cbranch_scc0 .LBB1731_137
; %bb.140:                              ;   in Loop: Header=BB1731_139 Depth=1
                                        ; implicit-def: $vgpr32_vgpr33
                                        ; implicit-def: $vgpr34_vgpr35
	s_mov_b64 s[46:47], s[26:27]
	s_branch .LBB1731_138
.LBB1731_141:
	s_or_b64 exec, exec, s[42:43]
	v_cmp_gt_i64_e32 vcc, s[26:27], v[36:37]
	s_orn2_b64 s[40:41], vcc, exec
.LBB1731_142:
	s_or_b64 exec, exec, s[12:13]
.LBB1731_143:
	s_and_b64 s[12:13], s[40:41], exec
.LBB1731_144:
	s_or_b64 exec, exec, s[16:17]
	v_cmp_gt_u32_e32 vcc, s54, v44
	s_and_saveexec_b64 s[16:17], vcc
	s_cbranch_execz .LBB1731_155
; %bb.145:
	s_and_b64 vcc, exec, s[4:5]
	s_mov_b64 s[40:41], 0
	s_cbranch_vccnz .LBB1731_154
; %bb.146:
	v_mul_lo_u32 v34, v19, s26
	v_mul_lo_u32 v35, v18, s27
	v_mad_u64_u32 v[32:33], s[14:15], v18, s26, 0
	v_add3_u32 v33, v33, v35, v34
	v_mul_lo_u32 v34, v21, s26
	v_mul_lo_u32 v35, v20, s27
	v_mad_u64_u32 v[36:37], s[14:15], v20, s26, 0
	v_add3_u32 v37, v37, v35, v34
	v_lshl_add_u64 v[34:35], v[32:33], 3, s[36:37]
	v_lshl_add_u64 v[32:33], v[36:37], 3, s[36:37]
	global_load_dwordx2 v[36:37], v[34:35], off
	global_load_dwordx2 v[38:39], v[32:33], off
	s_mov_b64 s[40:41], -1
	s_waitcnt vmcnt(0)
	v_cmp_eq_u64_e32 vcc, v[36:37], v[38:39]
	s_and_saveexec_b64 s[14:15], vcc
	s_cbranch_execz .LBB1731_153
; %bb.147:
	s_add_u32 s40, s26, -1
	v_lshl_add_u64 v[32:33], v[32:33], 0, 8
	v_lshl_add_u64 v[34:35], v[34:35], 0, 8
	s_addc_u32 s41, s27, -1
	s_mov_b64 s[42:43], 0
	s_mov_b64 s[46:47], 0
                                        ; implicit-def: $sgpr44_sgpr45
	s_branch .LBB1731_150
.LBB1731_148:                           ;   in Loop: Header=BB1731_150 Depth=1
	global_load_dwordx2 v[36:37], v[34:35], off
	global_load_dwordx2 v[38:39], v[32:33], off
	s_add_u32 s46, s46, 1
	s_addc_u32 s47, s47, 0
	s_andn2_b64 s[44:45], s[44:45], exec
	v_lshl_add_u64 v[32:33], v[32:33], 0, 8
	v_lshl_add_u64 v[34:35], v[34:35], 0, 8
	s_waitcnt vmcnt(0)
	v_cmp_ne_u64_e32 vcc, v[36:37], v[38:39]
	s_and_b64 s[48:49], vcc, exec
	s_or_b64 s[44:45], s[44:45], s[48:49]
.LBB1731_149:                           ;   in Loop: Header=BB1731_150 Depth=1
	s_and_b64 s[48:49], exec, s[44:45]
	s_or_b64 s[42:43], s[48:49], s[42:43]
	v_mov_b64_e32 v[36:37], s[46:47]
	s_andn2_b64 exec, exec, s[42:43]
	s_cbranch_execz .LBB1731_152
.LBB1731_150:                           ; =>This Inner Loop Header: Depth=1
	s_or_b64 s[44:45], s[44:45], exec
	s_cmp_eq_u64 s[40:41], s[46:47]
	s_cbranch_scc0 .LBB1731_148
; %bb.151:                              ;   in Loop: Header=BB1731_150 Depth=1
                                        ; implicit-def: $vgpr32_vgpr33
                                        ; implicit-def: $vgpr34_vgpr35
	s_mov_b64 s[46:47], s[26:27]
	s_branch .LBB1731_149
.LBB1731_152:
	s_or_b64 exec, exec, s[42:43]
	v_cmp_gt_i64_e32 vcc, s[26:27], v[36:37]
	s_orn2_b64 s[40:41], vcc, exec
.LBB1731_153:
	s_or_b64 exec, exec, s[14:15]
.LBB1731_154:
	s_and_b64 s[14:15], s[40:41], exec
.LBB1731_155:
	s_or_b64 exec, exec, s[16:17]
	v_cmp_gt_u32_e32 vcc, s54, v40
	s_mov_b64 s[16:17], 0
	s_mov_b64 s[40:41], 0
	s_and_saveexec_b64 s[42:43], vcc
	s_cbranch_execz .LBB1731_166
; %bb.156:
	s_and_b64 vcc, exec, s[4:5]
	s_mov_b64 s[44:45], 0
	s_cbranch_vccnz .LBB1731_165
; %bb.157:
	v_mul_lo_u32 v34, v25, s26
	v_mul_lo_u32 v35, v24, s27
	v_mad_u64_u32 v[32:33], s[40:41], v24, s26, 0
	v_add3_u32 v33, v33, v35, v34
	v_mul_lo_u32 v34, v19, s26
	v_mul_lo_u32 v35, v18, s27
	v_mad_u64_u32 v[36:37], s[40:41], v18, s26, 0
	v_add3_u32 v37, v37, v35, v34
	v_lshl_add_u64 v[34:35], v[32:33], 3, s[36:37]
	v_lshl_add_u64 v[32:33], v[36:37], 3, s[36:37]
	global_load_dwordx2 v[36:37], v[34:35], off
	global_load_dwordx2 v[38:39], v[32:33], off
	s_mov_b64 s[44:45], -1
	s_waitcnt vmcnt(0)
	v_cmp_eq_u64_e32 vcc, v[36:37], v[38:39]
	s_and_saveexec_b64 s[40:41], vcc
	s_cbranch_execz .LBB1731_164
; %bb.158:
	s_add_u32 s44, s26, -1
	v_lshl_add_u64 v[32:33], v[32:33], 0, 8
	v_lshl_add_u64 v[34:35], v[34:35], 0, 8
	s_addc_u32 s45, s27, -1
	s_mov_b64 s[46:47], 0
	s_mov_b64 s[50:51], 0
                                        ; implicit-def: $sgpr48_sgpr49
	s_branch .LBB1731_161
.LBB1731_159:                           ;   in Loop: Header=BB1731_161 Depth=1
	global_load_dwordx2 v[36:37], v[34:35], off
	global_load_dwordx2 v[38:39], v[32:33], off
	s_add_u32 s50, s50, 1
	s_addc_u32 s51, s51, 0
	s_andn2_b64 s[48:49], s[48:49], exec
	v_lshl_add_u64 v[32:33], v[32:33], 0, 8
	v_lshl_add_u64 v[34:35], v[34:35], 0, 8
	s_waitcnt vmcnt(0)
	v_cmp_ne_u64_e32 vcc, v[36:37], v[38:39]
	s_and_b64 s[52:53], vcc, exec
	s_or_b64 s[48:49], s[48:49], s[52:53]
.LBB1731_160:                           ;   in Loop: Header=BB1731_161 Depth=1
	s_and_b64 s[52:53], exec, s[48:49]
	s_or_b64 s[46:47], s[52:53], s[46:47]
	v_mov_b64_e32 v[36:37], s[50:51]
	s_andn2_b64 exec, exec, s[46:47]
	s_cbranch_execz .LBB1731_163
.LBB1731_161:                           ; =>This Inner Loop Header: Depth=1
	s_or_b64 s[48:49], s[48:49], exec
	s_cmp_eq_u64 s[44:45], s[50:51]
	s_cbranch_scc0 .LBB1731_159
; %bb.162:                              ;   in Loop: Header=BB1731_161 Depth=1
                                        ; implicit-def: $vgpr32_vgpr33
                                        ; implicit-def: $vgpr34_vgpr35
	s_mov_b64 s[50:51], s[26:27]
	s_branch .LBB1731_160
.LBB1731_163:
	s_or_b64 exec, exec, s[46:47]
	v_cmp_gt_i64_e32 vcc, s[26:27], v[36:37]
	s_orn2_b64 s[44:45], vcc, exec
.LBB1731_164:
	s_or_b64 exec, exec, s[40:41]
.LBB1731_165:
	s_and_b64 s[40:41], s[44:45], exec
.LBB1731_166:
	s_or_b64 exec, exec, s[42:43]
	v_cmp_gt_u32_e32 vcc, s54, v43
	s_and_saveexec_b64 s[42:43], vcc
	s_cbranch_execz .LBB1731_177
; %bb.167:
	s_and_b64 vcc, exec, s[4:5]
	s_mov_b64 s[44:45], 0
	s_cbranch_vccnz .LBB1731_176
; %bb.168:
	v_mul_lo_u32 v34, v23, s26
	v_mul_lo_u32 v35, v22, s27
	v_mad_u64_u32 v[32:33], s[16:17], v22, s26, 0
	v_add3_u32 v33, v33, v35, v34
	v_mul_lo_u32 v34, v25, s26
	v_mul_lo_u32 v35, v24, s27
	v_mad_u64_u32 v[36:37], s[16:17], v24, s26, 0
	v_add3_u32 v37, v37, v35, v34
	v_lshl_add_u64 v[34:35], v[32:33], 3, s[36:37]
	v_lshl_add_u64 v[32:33], v[36:37], 3, s[36:37]
	global_load_dwordx2 v[36:37], v[34:35], off
	global_load_dwordx2 v[38:39], v[32:33], off
	s_mov_b64 s[44:45], -1
	s_waitcnt vmcnt(0)
	v_cmp_eq_u64_e32 vcc, v[36:37], v[38:39]
	s_and_saveexec_b64 s[16:17], vcc
	s_cbranch_execz .LBB1731_175
; %bb.169:
	s_add_u32 s44, s26, -1
	v_lshl_add_u64 v[32:33], v[32:33], 0, 8
	v_lshl_add_u64 v[34:35], v[34:35], 0, 8
	s_addc_u32 s45, s27, -1
	s_mov_b64 s[46:47], 0
	s_mov_b64 s[50:51], 0
                                        ; implicit-def: $sgpr48_sgpr49
	s_branch .LBB1731_172
.LBB1731_170:                           ;   in Loop: Header=BB1731_172 Depth=1
	global_load_dwordx2 v[36:37], v[34:35], off
	global_load_dwordx2 v[38:39], v[32:33], off
	s_add_u32 s50, s50, 1
	s_addc_u32 s51, s51, 0
	s_andn2_b64 s[48:49], s[48:49], exec
	v_lshl_add_u64 v[32:33], v[32:33], 0, 8
	v_lshl_add_u64 v[34:35], v[34:35], 0, 8
	s_waitcnt vmcnt(0)
	v_cmp_ne_u64_e32 vcc, v[36:37], v[38:39]
	s_and_b64 s[52:53], vcc, exec
	s_or_b64 s[48:49], s[48:49], s[52:53]
.LBB1731_171:                           ;   in Loop: Header=BB1731_172 Depth=1
	s_and_b64 s[52:53], exec, s[48:49]
	s_or_b64 s[46:47], s[52:53], s[46:47]
	v_mov_b64_e32 v[36:37], s[50:51]
	s_andn2_b64 exec, exec, s[46:47]
	s_cbranch_execz .LBB1731_174
.LBB1731_172:                           ; =>This Inner Loop Header: Depth=1
	s_or_b64 s[48:49], s[48:49], exec
	s_cmp_eq_u64 s[44:45], s[50:51]
	s_cbranch_scc0 .LBB1731_170
; %bb.173:                              ;   in Loop: Header=BB1731_172 Depth=1
                                        ; implicit-def: $vgpr32_vgpr33
                                        ; implicit-def: $vgpr34_vgpr35
	s_mov_b64 s[50:51], s[26:27]
	s_branch .LBB1731_171
.LBB1731_174:
	s_or_b64 exec, exec, s[46:47]
	v_cmp_gt_i64_e32 vcc, s[26:27], v[36:37]
	s_orn2_b64 s[44:45], vcc, exec
.LBB1731_175:
	s_or_b64 exec, exec, s[16:17]
.LBB1731_176:
	s_and_b64 s[16:17], s[44:45], exec
.LBB1731_177:
	s_or_b64 exec, exec, s[42:43]
	s_waitcnt lgkmcnt(0)
	s_barrier
	s_and_saveexec_b64 s[42:43], s[2:3]
	s_cbranch_execz .LBB1731_179
; %bb.178:
	s_waitcnt vmcnt(0)
	v_add_u32_e32 v30, -8, v47
	ds_read_b64 v[30:31], v30
.LBB1731_179:
	s_or_b64 exec, exec, s[42:43]
	v_cndmask_b32_e64 v33, 0, 1, s[14:15]
	v_cndmask_b32_e64 v32, 0, 1, s[40:41]
	v_cndmask_b32_e64 v34, 0, 1, s[16:17]
	v_lshlrev_b16_e32 v33, 8, v33
	v_cmp_gt_u32_e32 vcc, s54, v1
	v_lshlrev_b16_e32 v36, 8, v34
	v_or_b32_sdwa v37, v32, v33 dst_sel:WORD_1 dst_unused:UNUSED_PAD src0_sel:DWORD src1_sel:DWORD
	s_mov_b64 s[14:15], 0
	s_and_saveexec_b64 s[16:17], vcc
	s_cbranch_execz .LBB1731_190
; %bb.180:
	s_and_b64 vcc, exec, s[4:5]
	s_cbranch_vccnz .LBB1731_189
; %bb.181:
	s_waitcnt vmcnt(0) lgkmcnt(0)
	v_mul_lo_u32 v32, v31, s26
	v_mul_lo_u32 v33, v30, s27
	v_mad_u64_u32 v[30:31], s[4:5], v30, s26, 0
	v_add3_u32 v31, v31, v33, v32
	v_mul_lo_u32 v32, v23, s26
	v_mul_lo_u32 v33, v22, s27
	v_mad_u64_u32 v[34:35], s[4:5], v22, s26, 0
	v_add3_u32 v35, v35, v33, v32
	v_lshl_add_u64 v[32:33], v[30:31], 3, s[36:37]
	v_lshl_add_u64 v[30:31], v[34:35], 3, s[36:37]
	global_load_dwordx2 v[34:35], v[32:33], off
	global_load_dwordx2 v[38:39], v[30:31], off
	s_mov_b64 s[14:15], -1
	s_waitcnt vmcnt(0)
	v_cmp_eq_u64_e32 vcc, v[34:35], v[38:39]
	s_and_saveexec_b64 s[4:5], vcc
	s_cbranch_execz .LBB1731_188
; %bb.182:
	s_add_u32 s14, s26, -1
	v_lshl_add_u64 v[30:31], v[30:31], 0, 8
	v_lshl_add_u64 v[32:33], v[32:33], 0, 8
	s_addc_u32 s15, s27, -1
	s_mov_b64 s[40:41], 0
	s_mov_b64 s[44:45], 0
                                        ; implicit-def: $sgpr42_sgpr43
	s_branch .LBB1731_185
.LBB1731_183:                           ;   in Loop: Header=BB1731_185 Depth=1
	global_load_dwordx2 v[34:35], v[32:33], off
	global_load_dwordx2 v[38:39], v[30:31], off
	s_add_u32 s44, s44, 1
	s_addc_u32 s45, s45, 0
	s_andn2_b64 s[42:43], s[42:43], exec
	v_lshl_add_u64 v[30:31], v[30:31], 0, 8
	v_lshl_add_u64 v[32:33], v[32:33], 0, 8
	s_waitcnt vmcnt(0)
	v_cmp_ne_u64_e32 vcc, v[34:35], v[38:39]
	s_and_b64 s[46:47], vcc, exec
	s_or_b64 s[42:43], s[42:43], s[46:47]
.LBB1731_184:                           ;   in Loop: Header=BB1731_185 Depth=1
	s_and_b64 s[46:47], exec, s[42:43]
	s_or_b64 s[40:41], s[46:47], s[40:41]
	v_mov_b64_e32 v[34:35], s[44:45]
	s_andn2_b64 exec, exec, s[40:41]
	s_cbranch_execz .LBB1731_187
.LBB1731_185:                           ; =>This Inner Loop Header: Depth=1
	s_or_b64 s[42:43], s[42:43], exec
	s_cmp_eq_u64 s[14:15], s[44:45]
	s_cbranch_scc0 .LBB1731_183
; %bb.186:                              ;   in Loop: Header=BB1731_185 Depth=1
                                        ; implicit-def: $vgpr30_vgpr31
                                        ; implicit-def: $vgpr32_vgpr33
	s_mov_b64 s[44:45], s[26:27]
	s_branch .LBB1731_184
.LBB1731_187:
	s_or_b64 exec, exec, s[40:41]
	v_cmp_gt_i64_e32 vcc, s[26:27], v[34:35]
	s_orn2_b64 s[14:15], vcc, exec
.LBB1731_188:
	s_or_b64 exec, exec, s[4:5]
.LBB1731_189:
	s_and_b64 s[14:15], s[14:15], exec
.LBB1731_190:
	s_or_b64 exec, exec, s[16:17]
	v_cndmask_b32_e64 v39, 0, 1, s[12:13]
	v_cndmask_b32_e64 v48, 0, 1, s[10:11]
	;; [unrolled: 1-line block ×3, first 2 shown]
	v_or_b32_e32 v34, v36, v37
.LBB1731_191:
	s_mov_b64 s[10:11], -1
	s_cbranch_execnz .LBB1731_50
.LBB1731_192:
	s_movk_i32 s4, 0xffd0
	v_mad_i32_i24 v38, v0, s4, v46
	s_mov_b64 s[12:13], 0
	v_cmp_gt_i64_e64 s[6:7], s[26:27], 0
	s_and_b64 vcc, exec, s[34:35]
	ds_write_b64 v38, v[28:29]
	s_cbranch_vccz .LBB1731_200
; %bb.193:
	v_mul_lo_u32 v32, v17, s26
	v_mul_lo_u32 v33, v16, s27
	s_waitcnt vmcnt(0) lgkmcnt(1)
	v_mad_u64_u32 v[30:31], s[4:5], v16, s26, 0
	v_add3_u32 v31, v31, v33, v32
	v_cndmask_b32_e64 v32, 0, 1, s[6:7]
	v_cmp_ne_u32_e64 s[4:5], 1, v32
	s_andn2_b64 vcc, exec, s[6:7]
	v_lshl_add_u64 v[30:31], v[30:31], 3, s[36:37]
	s_cbranch_vccnz .LBB1731_203
; %bb.194:
	v_mul_lo_u32 v34, v29, s26
	v_mul_lo_u32 v35, v28, s27
	v_mad_u64_u32 v[32:33], s[12:13], v28, s26, 0
	v_add3_u32 v33, v33, v35, v34
	v_lshl_add_u64 v[32:33], v[32:33], 3, s[36:37]
	global_load_dwordx2 v[34:35], v[30:31], off
	global_load_dwordx2 v[36:37], v[32:33], off
	s_mov_b64 s[12:13], -1
	s_waitcnt vmcnt(0)
	v_cmp_eq_u64_e32 vcc, v[34:35], v[36:37]
	s_and_saveexec_b64 s[14:15], vcc
	s_cbranch_execz .LBB1731_202
; %bb.195:
	s_add_u32 s12, s26, -1
	v_lshl_add_u64 v[32:33], v[32:33], 0, 8
	v_lshl_add_u64 v[34:35], v[30:31], 0, 8
	s_addc_u32 s13, s27, -1
	s_mov_b64 s[16:17], 0
	s_mov_b64 s[42:43], 0
                                        ; implicit-def: $sgpr40_sgpr41
	s_branch .LBB1731_198
.LBB1731_196:                           ;   in Loop: Header=BB1731_198 Depth=1
	global_load_dwordx2 v[36:37], v[34:35], off
	global_load_dwordx2 v[46:47], v[32:33], off
	s_add_u32 s42, s42, 1
	s_addc_u32 s43, s43, 0
	s_andn2_b64 s[40:41], s[40:41], exec
	v_lshl_add_u64 v[32:33], v[32:33], 0, 8
	v_lshl_add_u64 v[34:35], v[34:35], 0, 8
	s_waitcnt vmcnt(0)
	v_cmp_ne_u64_e32 vcc, v[36:37], v[46:47]
	s_and_b64 s[44:45], vcc, exec
	s_or_b64 s[40:41], s[40:41], s[44:45]
.LBB1731_197:                           ;   in Loop: Header=BB1731_198 Depth=1
	s_and_b64 s[44:45], exec, s[40:41]
	s_or_b64 s[16:17], s[44:45], s[16:17]
	v_mov_b64_e32 v[36:37], s[42:43]
	s_andn2_b64 exec, exec, s[16:17]
	s_cbranch_execz .LBB1731_201
.LBB1731_198:                           ; =>This Inner Loop Header: Depth=1
	s_or_b64 s[40:41], s[40:41], exec
	s_cmp_eq_u64 s[12:13], s[42:43]
	s_cbranch_scc0 .LBB1731_196
; %bb.199:                              ;   in Loop: Header=BB1731_198 Depth=1
                                        ; implicit-def: $vgpr32_vgpr33
                                        ; implicit-def: $vgpr34_vgpr35
	s_mov_b64 s[42:43], s[26:27]
	s_branch .LBB1731_197
.LBB1731_200:
                                        ; implicit-def: $sgpr14_sgpr15
                                        ; implicit-def: $vgpr49
                                        ; implicit-def: $vgpr48
                                        ; implicit-def: $vgpr39
                                        ; implicit-def: $vgpr34
                                        ; implicit-def: $vgpr30_vgpr31
	s_cbranch_execnz .LBB1731_260
	s_branch .LBB1731_340
.LBB1731_201:
	s_or_b64 exec, exec, s[16:17]
	v_cmp_gt_i64_e32 vcc, s[26:27], v[36:37]
	s_orn2_b64 s[12:13], vcc, exec
.LBB1731_202:
	s_or_b64 exec, exec, s[14:15]
.LBB1731_203:
	v_mul_lo_u32 v34, v15, s26
	v_mul_lo_u32 v35, v14, s27
	v_mad_u64_u32 v[32:33], s[14:15], v14, s26, 0
	v_add3_u32 v33, v33, v35, v34
	s_mov_b64 s[14:15], 0
	s_and_b64 vcc, exec, s[4:5]
	v_lshl_add_u64 v[32:33], v[32:33], 3, s[36:37]
	s_mov_b64 s[16:17], 0
	s_cbranch_vccnz .LBB1731_212
; %bb.204:
	global_load_dwordx2 v[34:35], v[32:33], off
	global_load_dwordx2 v[36:37], v[30:31], off
	s_mov_b64 s[16:17], -1
	s_waitcnt vmcnt(0)
	v_cmp_eq_u64_e32 vcc, v[34:35], v[36:37]
	s_and_saveexec_b64 s[40:41], vcc
	s_cbranch_execz .LBB1731_211
; %bb.205:
	s_add_u32 s16, s26, -1
	v_lshl_add_u64 v[30:31], v[30:31], 0, 8
	v_lshl_add_u64 v[34:35], v[32:33], 0, 8
	s_addc_u32 s17, s27, -1
	s_mov_b64 s[42:43], 0
	s_mov_b64 s[46:47], 0
                                        ; implicit-def: $sgpr44_sgpr45
	s_branch .LBB1731_208
.LBB1731_206:                           ;   in Loop: Header=BB1731_208 Depth=1
	global_load_dwordx2 v[36:37], v[34:35], off
	global_load_dwordx2 v[46:47], v[30:31], off
	s_add_u32 s46, s46, 1
	s_addc_u32 s47, s47, 0
	s_andn2_b64 s[44:45], s[44:45], exec
	v_lshl_add_u64 v[30:31], v[30:31], 0, 8
	v_lshl_add_u64 v[34:35], v[34:35], 0, 8
	s_waitcnt vmcnt(0)
	v_cmp_ne_u64_e32 vcc, v[36:37], v[46:47]
	s_and_b64 s[48:49], vcc, exec
	s_or_b64 s[44:45], s[44:45], s[48:49]
.LBB1731_207:                           ;   in Loop: Header=BB1731_208 Depth=1
	s_and_b64 s[48:49], exec, s[44:45]
	s_or_b64 s[42:43], s[48:49], s[42:43]
	v_mov_b64_e32 v[36:37], s[46:47]
	s_andn2_b64 exec, exec, s[42:43]
	s_cbranch_execz .LBB1731_210
.LBB1731_208:                           ; =>This Inner Loop Header: Depth=1
	s_or_b64 s[44:45], s[44:45], exec
	s_cmp_eq_u64 s[16:17], s[46:47]
	s_cbranch_scc0 .LBB1731_206
; %bb.209:                              ;   in Loop: Header=BB1731_208 Depth=1
                                        ; implicit-def: $vgpr30_vgpr31
                                        ; implicit-def: $vgpr34_vgpr35
	s_mov_b64 s[46:47], s[26:27]
	s_branch .LBB1731_207
.LBB1731_210:
	s_or_b64 exec, exec, s[42:43]
	v_cmp_gt_i64_e32 vcc, s[26:27], v[36:37]
	s_orn2_b64 s[16:17], vcc, exec
.LBB1731_211:
	s_or_b64 exec, exec, s[40:41]
.LBB1731_212:
	v_mul_lo_u32 v34, v21, s26
	v_mul_lo_u32 v35, v20, s27
	v_mad_u64_u32 v[30:31], s[40:41], v20, s26, 0
	v_add3_u32 v31, v31, v35, v34
	s_and_b64 vcc, exec, s[4:5]
	v_lshl_add_u64 v[30:31], v[30:31], 3, s[36:37]
	s_cbranch_vccnz .LBB1731_221
; %bb.213:
	global_load_dwordx2 v[34:35], v[30:31], off
	global_load_dwordx2 v[36:37], v[32:33], off
	s_mov_b64 s[14:15], -1
	s_waitcnt vmcnt(0)
	v_cmp_eq_u64_e32 vcc, v[34:35], v[36:37]
	s_and_saveexec_b64 s[40:41], vcc
	s_cbranch_execz .LBB1731_220
; %bb.214:
	s_add_u32 s14, s26, -1
	v_lshl_add_u64 v[32:33], v[32:33], 0, 8
	v_lshl_add_u64 v[34:35], v[30:31], 0, 8
	s_addc_u32 s15, s27, -1
	s_mov_b64 s[42:43], 0
	s_mov_b64 s[46:47], 0
                                        ; implicit-def: $sgpr44_sgpr45
	s_branch .LBB1731_217
.LBB1731_215:                           ;   in Loop: Header=BB1731_217 Depth=1
	global_load_dwordx2 v[36:37], v[34:35], off
	global_load_dwordx2 v[46:47], v[32:33], off
	s_add_u32 s46, s46, 1
	s_addc_u32 s47, s47, 0
	s_andn2_b64 s[44:45], s[44:45], exec
	v_lshl_add_u64 v[32:33], v[32:33], 0, 8
	v_lshl_add_u64 v[34:35], v[34:35], 0, 8
	s_waitcnt vmcnt(0)
	v_cmp_ne_u64_e32 vcc, v[36:37], v[46:47]
	s_and_b64 s[48:49], vcc, exec
	s_or_b64 s[44:45], s[44:45], s[48:49]
.LBB1731_216:                           ;   in Loop: Header=BB1731_217 Depth=1
	s_and_b64 s[48:49], exec, s[44:45]
	s_or_b64 s[42:43], s[48:49], s[42:43]
	v_mov_b64_e32 v[36:37], s[46:47]
	s_andn2_b64 exec, exec, s[42:43]
	s_cbranch_execz .LBB1731_219
.LBB1731_217:                           ; =>This Inner Loop Header: Depth=1
	s_or_b64 s[44:45], s[44:45], exec
	s_cmp_eq_u64 s[14:15], s[46:47]
	s_cbranch_scc0 .LBB1731_215
; %bb.218:                              ;   in Loop: Header=BB1731_217 Depth=1
                                        ; implicit-def: $vgpr32_vgpr33
                                        ; implicit-def: $vgpr34_vgpr35
	s_mov_b64 s[46:47], s[26:27]
	s_branch .LBB1731_216
.LBB1731_219:
	s_or_b64 exec, exec, s[42:43]
	v_cmp_gt_i64_e32 vcc, s[26:27], v[36:37]
	s_orn2_b64 s[14:15], vcc, exec
.LBB1731_220:
	s_or_b64 exec, exec, s[40:41]
.LBB1731_221:
	v_mul_lo_u32 v34, v19, s26
	v_mul_lo_u32 v35, v18, s27
	v_mad_u64_u32 v[32:33], s[40:41], v18, s26, 0
	v_add3_u32 v33, v33, v35, v34
	s_mov_b64 s[40:41], 0
	s_and_b64 vcc, exec, s[4:5]
	v_lshl_add_u64 v[32:33], v[32:33], 3, s[36:37]
	s_mov_b64 s[42:43], 0
	s_cbranch_vccnz .LBB1731_230
; %bb.222:
	global_load_dwordx2 v[34:35], v[32:33], off
	global_load_dwordx2 v[36:37], v[30:31], off
	s_mov_b64 s[42:43], -1
	s_waitcnt vmcnt(0)
	v_cmp_eq_u64_e32 vcc, v[34:35], v[36:37]
	s_and_saveexec_b64 s[44:45], vcc
	s_cbranch_execz .LBB1731_229
; %bb.223:
	s_add_u32 s42, s26, -1
	v_lshl_add_u64 v[30:31], v[30:31], 0, 8
	v_lshl_add_u64 v[34:35], v[32:33], 0, 8
	s_addc_u32 s43, s27, -1
	s_mov_b64 s[46:47], 0
	s_mov_b64 s[50:51], 0
                                        ; implicit-def: $sgpr48_sgpr49
	s_branch .LBB1731_226
.LBB1731_224:                           ;   in Loop: Header=BB1731_226 Depth=1
	global_load_dwordx2 v[36:37], v[34:35], off
	global_load_dwordx2 v[46:47], v[30:31], off
	s_add_u32 s50, s50, 1
	s_addc_u32 s51, s51, 0
	s_andn2_b64 s[48:49], s[48:49], exec
	v_lshl_add_u64 v[30:31], v[30:31], 0, 8
	v_lshl_add_u64 v[34:35], v[34:35], 0, 8
	s_waitcnt vmcnt(0)
	v_cmp_ne_u64_e32 vcc, v[36:37], v[46:47]
	s_and_b64 s[52:53], vcc, exec
	s_or_b64 s[48:49], s[48:49], s[52:53]
.LBB1731_225:                           ;   in Loop: Header=BB1731_226 Depth=1
	s_and_b64 s[52:53], exec, s[48:49]
	s_or_b64 s[46:47], s[52:53], s[46:47]
	v_mov_b64_e32 v[36:37], s[50:51]
	s_andn2_b64 exec, exec, s[46:47]
	s_cbranch_execz .LBB1731_228
.LBB1731_226:                           ; =>This Inner Loop Header: Depth=1
	s_or_b64 s[48:49], s[48:49], exec
	s_cmp_eq_u64 s[42:43], s[50:51]
	s_cbranch_scc0 .LBB1731_224
; %bb.227:                              ;   in Loop: Header=BB1731_226 Depth=1
                                        ; implicit-def: $vgpr30_vgpr31
                                        ; implicit-def: $vgpr34_vgpr35
	s_mov_b64 s[50:51], s[26:27]
	s_branch .LBB1731_225
.LBB1731_228:
	s_or_b64 exec, exec, s[46:47]
	v_cmp_gt_i64_e32 vcc, s[26:27], v[36:37]
	s_orn2_b64 s[42:43], vcc, exec
.LBB1731_229:
	s_or_b64 exec, exec, s[44:45]
.LBB1731_230:
	v_mul_lo_u32 v34, v25, s26
	v_mul_lo_u32 v35, v24, s27
	v_mad_u64_u32 v[30:31], s[44:45], v24, s26, 0
	v_add3_u32 v31, v31, v35, v34
	s_and_b64 vcc, exec, s[4:5]
	v_lshl_add_u64 v[30:31], v[30:31], 3, s[36:37]
	s_cbranch_vccnz .LBB1731_239
; %bb.231:
	global_load_dwordx2 v[34:35], v[30:31], off
	global_load_dwordx2 v[36:37], v[32:33], off
	s_mov_b64 s[40:41], -1
	s_waitcnt vmcnt(0)
	v_cmp_eq_u64_e32 vcc, v[34:35], v[36:37]
	s_and_saveexec_b64 s[44:45], vcc
	s_cbranch_execz .LBB1731_238
; %bb.232:
	s_add_u32 s40, s26, -1
	v_lshl_add_u64 v[32:33], v[32:33], 0, 8
	v_lshl_add_u64 v[34:35], v[30:31], 0, 8
	s_addc_u32 s41, s27, -1
	s_mov_b64 s[46:47], 0
	s_mov_b64 s[50:51], 0
                                        ; implicit-def: $sgpr48_sgpr49
	s_branch .LBB1731_235
.LBB1731_233:                           ;   in Loop: Header=BB1731_235 Depth=1
	global_load_dwordx2 v[36:37], v[34:35], off
	global_load_dwordx2 v[46:47], v[32:33], off
	s_add_u32 s50, s50, 1
	s_addc_u32 s51, s51, 0
	s_andn2_b64 s[48:49], s[48:49], exec
	v_lshl_add_u64 v[32:33], v[32:33], 0, 8
	v_lshl_add_u64 v[34:35], v[34:35], 0, 8
	s_waitcnt vmcnt(0)
	v_cmp_ne_u64_e32 vcc, v[36:37], v[46:47]
	s_and_b64 s[52:53], vcc, exec
	s_or_b64 s[48:49], s[48:49], s[52:53]
.LBB1731_234:                           ;   in Loop: Header=BB1731_235 Depth=1
	s_and_b64 s[52:53], exec, s[48:49]
	s_or_b64 s[46:47], s[52:53], s[46:47]
	v_mov_b64_e32 v[36:37], s[50:51]
	s_andn2_b64 exec, exec, s[46:47]
	s_cbranch_execz .LBB1731_237
.LBB1731_235:                           ; =>This Inner Loop Header: Depth=1
	s_or_b64 s[48:49], s[48:49], exec
	s_cmp_eq_u64 s[40:41], s[50:51]
	s_cbranch_scc0 .LBB1731_233
; %bb.236:                              ;   in Loop: Header=BB1731_235 Depth=1
                                        ; implicit-def: $vgpr32_vgpr33
                                        ; implicit-def: $vgpr34_vgpr35
	s_mov_b64 s[50:51], s[26:27]
	s_branch .LBB1731_234
.LBB1731_237:
	s_or_b64 exec, exec, s[46:47]
	v_cmp_gt_i64_e32 vcc, s[26:27], v[36:37]
	s_orn2_b64 s[40:41], vcc, exec
.LBB1731_238:
	s_or_b64 exec, exec, s[44:45]
.LBB1731_239:
	v_mul_lo_u32 v34, v23, s26
	v_mul_lo_u32 v35, v22, s27
	v_mad_u64_u32 v[32:33], s[44:45], v22, s26, 0
	v_add3_u32 v33, v33, v35, v34
	s_and_b64 vcc, exec, s[4:5]
	s_mov_b64 s[46:47], 0
	s_cbranch_vccnz .LBB1731_248
; %bb.240:
	v_lshl_add_u64 v[34:35], v[32:33], 3, s[36:37]
	global_load_dwordx2 v[36:37], v[34:35], off
	global_load_dwordx2 v[46:47], v[30:31], off
	s_mov_b64 s[46:47], -1
	s_waitcnt vmcnt(0)
	v_cmp_eq_u64_e32 vcc, v[36:37], v[46:47]
	s_and_saveexec_b64 s[44:45], vcc
	s_cbranch_execz .LBB1731_247
; %bb.241:
	s_add_u32 s46, s26, -1
	v_lshl_add_u64 v[30:31], v[30:31], 0, 8
	v_lshl_add_u64 v[34:35], v[34:35], 0, 8
	s_addc_u32 s47, s27, -1
	s_mov_b64 s[48:49], 0
	s_mov_b64 s[52:53], 0
                                        ; implicit-def: $sgpr50_sgpr51
	s_branch .LBB1731_244
.LBB1731_242:                           ;   in Loop: Header=BB1731_244 Depth=1
	global_load_dwordx2 v[36:37], v[34:35], off
	global_load_dwordx2 v[46:47], v[30:31], off
	s_add_u32 s52, s52, 1
	s_addc_u32 s53, s53, 0
	s_andn2_b64 s[50:51], s[50:51], exec
	v_lshl_add_u64 v[30:31], v[30:31], 0, 8
	v_lshl_add_u64 v[34:35], v[34:35], 0, 8
	s_waitcnt vmcnt(0)
	v_cmp_ne_u64_e32 vcc, v[36:37], v[46:47]
	s_and_b64 s[56:57], vcc, exec
	s_or_b64 s[50:51], s[50:51], s[56:57]
.LBB1731_243:                           ;   in Loop: Header=BB1731_244 Depth=1
	s_and_b64 s[56:57], exec, s[50:51]
	s_or_b64 s[48:49], s[56:57], s[48:49]
	v_mov_b64_e32 v[36:37], s[52:53]
	s_andn2_b64 exec, exec, s[48:49]
	s_cbranch_execz .LBB1731_246
.LBB1731_244:                           ; =>This Inner Loop Header: Depth=1
	s_or_b64 s[50:51], s[50:51], exec
	s_cmp_eq_u64 s[46:47], s[52:53]
	s_cbranch_scc0 .LBB1731_242
; %bb.245:                              ;   in Loop: Header=BB1731_244 Depth=1
                                        ; implicit-def: $vgpr30_vgpr31
                                        ; implicit-def: $vgpr34_vgpr35
	s_mov_b64 s[52:53], s[26:27]
	s_branch .LBB1731_243
.LBB1731_246:
	s_or_b64 exec, exec, s[48:49]
	v_cmp_gt_i64_e32 vcc, s[26:27], v[36:37]
	s_orn2_b64 s[46:47], vcc, exec
.LBB1731_247:
	s_or_b64 exec, exec, s[44:45]
.LBB1731_248:
	v_cndmask_b32_e64 v31, 0, 1, s[42:43]
	v_cndmask_b32_e64 v30, 0, 1, s[40:41]
	;; [unrolled: 1-line block ×3, first 2 shown]
	v_lshlrev_b16_e32 v31, 8, v31
	v_cndmask_b32_e64 v39, 0, 1, s[14:15]
	v_cndmask_b32_e64 v34, 0, 1, s[46:47]
	v_or_b32_sdwa v30, v30, v31 dst_sel:WORD_1 dst_unused:UNUSED_PAD src0_sel:DWORD src1_sel:DWORD
	v_lshlrev_b16_e32 v31, 8, v48
	v_lshlrev_b16_e32 v34, 8, v34
	v_or_b32_e32 v31, v39, v31
	v_or_b32_e32 v34, 1, v34
	v_and_b32_e32 v31, 0xffff, v31
	v_cndmask_b32_e64 v49, 0, 1, s[12:13]
	v_or_b32_sdwa v30, v34, v30 dst_sel:DWORD dst_unused:UNUSED_PAD src0_sel:WORD_0 src1_sel:DWORD
	v_lshl_or_b32 v31, v49, 16, v31
	s_waitcnt lgkmcnt(0)
	s_barrier
	s_waitcnt lgkmcnt(0)
                                        ; implicit-def: $sgpr14_sgpr15
                                        ; implicit-def: $vgpr34
	s_and_saveexec_b64 s[12:13], s[2:3]
	s_xor_b64 s[12:13], exec, s[12:13]
	s_cbranch_execz .LBB1731_259
; %bb.249:
	s_mov_b32 s44, 0x3020104
	s_and_b64 vcc, exec, s[4:5]
	s_mov_b64 s[14:15], 0
	s_cbranch_vccnz .LBB1731_258
; %bb.250:
	v_add_u32_e32 v31, -8, v38
	ds_read_b64 v[34:35], v31
	v_lshl_add_u64 v[32:33], v[32:33], 3, s[36:37]
	s_mov_b64 s[14:15], -1
	s_waitcnt lgkmcnt(0)
	v_mul_lo_u32 v31, v35, s26
	v_mul_lo_u32 v36, v34, s27
	v_mad_u64_u32 v[34:35], s[4:5], v34, s26, 0
	v_add3_u32 v35, v35, v36, v31
	v_lshl_add_u64 v[34:35], v[34:35], 3, s[36:37]
	global_load_dwordx2 v[36:37], v[34:35], off
	global_load_dwordx2 v[46:47], v[32:33], off
	s_waitcnt vmcnt(0)
	v_cmp_eq_u64_e32 vcc, v[36:37], v[46:47]
	s_and_saveexec_b64 s[4:5], vcc
	s_cbranch_execz .LBB1731_257
; %bb.251:
	s_add_u32 s14, s26, -1
	v_lshl_add_u64 v[32:33], v[32:33], 0, 8
	v_lshl_add_u64 v[34:35], v[34:35], 0, 8
	s_addc_u32 s15, s27, -1
	s_mov_b64 s[16:17], 0
	s_mov_b64 s[42:43], 0
                                        ; implicit-def: $sgpr40_sgpr41
	s_branch .LBB1731_254
.LBB1731_252:                           ;   in Loop: Header=BB1731_254 Depth=1
	global_load_dwordx2 v[36:37], v[34:35], off
	global_load_dwordx2 v[46:47], v[32:33], off
	s_add_u32 s42, s42, 1
	s_addc_u32 s43, s43, 0
	s_andn2_b64 s[40:41], s[40:41], exec
	v_lshl_add_u64 v[32:33], v[32:33], 0, 8
	v_lshl_add_u64 v[34:35], v[34:35], 0, 8
	s_waitcnt vmcnt(0)
	v_cmp_ne_u64_e32 vcc, v[36:37], v[46:47]
	s_and_b64 s[46:47], vcc, exec
	s_or_b64 s[40:41], s[40:41], s[46:47]
.LBB1731_253:                           ;   in Loop: Header=BB1731_254 Depth=1
	s_and_b64 s[46:47], exec, s[40:41]
	s_or_b64 s[16:17], s[46:47], s[16:17]
	v_mov_b64_e32 v[36:37], s[42:43]
	s_andn2_b64 exec, exec, s[16:17]
	s_cbranch_execz .LBB1731_256
.LBB1731_254:                           ; =>This Inner Loop Header: Depth=1
	s_or_b64 s[40:41], s[40:41], exec
	s_cmp_eq_u64 s[14:15], s[42:43]
	s_cbranch_scc0 .LBB1731_252
; %bb.255:                              ;   in Loop: Header=BB1731_254 Depth=1
                                        ; implicit-def: $vgpr32_vgpr33
                                        ; implicit-def: $vgpr34_vgpr35
	s_mov_b64 s[42:43], s[26:27]
	s_branch .LBB1731_253
.LBB1731_256:
	s_or_b64 exec, exec, s[16:17]
	v_cmp_gt_i64_e32 vcc, s[26:27], v[36:37]
	s_orn2_b64 s[14:15], vcc, exec
.LBB1731_257:
	s_or_b64 exec, exec, s[4:5]
.LBB1731_258:
	v_perm_b32 v34, v30, v30, s44
	s_and_b64 s[14:15], s[14:15], exec
	s_or_b64 s[10:11], s[10:11], exec
                                        ; implicit-def: $vgpr30_vgpr31
.LBB1731_259:
	s_or_b64 exec, exec, s[12:13]
	s_branch .LBB1731_340
.LBB1731_260:
	v_cmp_gt_u32_e32 vcc, s54, v42
	s_mov_b64 s[12:13], 0
	s_mov_b64 s[4:5], 0
	s_and_saveexec_b64 s[14:15], vcc
	s_cbranch_execz .LBB1731_271
; %bb.261:
	s_andn2_b64 vcc, exec, s[6:7]
	s_mov_b64 s[16:17], 0
	s_cbranch_vccnz .LBB1731_270
; %bb.262:
	v_mul_lo_u32 v32, v17, s26
	v_mul_lo_u32 v33, v16, s27
	s_waitcnt vmcnt(0) lgkmcnt(1)
	v_mad_u64_u32 v[30:31], s[4:5], v16, s26, 0
	v_add3_u32 v31, v31, v33, v32
	v_mul_lo_u32 v32, v29, s26
	v_mul_lo_u32 v33, v28, s27
	v_mad_u64_u32 v[34:35], s[4:5], v28, s26, 0
	v_add3_u32 v35, v35, v33, v32
	v_lshl_add_u64 v[32:33], v[30:31], 3, s[36:37]
	v_lshl_add_u64 v[30:31], v[34:35], 3, s[36:37]
	global_load_dwordx2 v[34:35], v[32:33], off
	global_load_dwordx2 v[36:37], v[30:31], off
	s_mov_b64 s[16:17], -1
	s_waitcnt vmcnt(0)
	v_cmp_eq_u64_e32 vcc, v[34:35], v[36:37]
	s_and_saveexec_b64 s[4:5], vcc
	s_cbranch_execz .LBB1731_269
; %bb.263:
	s_add_u32 s16, s26, -1
	v_lshl_add_u64 v[30:31], v[30:31], 0, 8
	v_lshl_add_u64 v[32:33], v[32:33], 0, 8
	s_addc_u32 s17, s27, -1
	s_mov_b64 s[40:41], 0
	s_mov_b64 s[44:45], 0
                                        ; implicit-def: $sgpr42_sgpr43
	s_branch .LBB1731_266
.LBB1731_264:                           ;   in Loop: Header=BB1731_266 Depth=1
	global_load_dwordx2 v[34:35], v[32:33], off
	global_load_dwordx2 v[36:37], v[30:31], off
	s_add_u32 s44, s44, 1
	s_addc_u32 s45, s45, 0
	s_andn2_b64 s[42:43], s[42:43], exec
	v_lshl_add_u64 v[30:31], v[30:31], 0, 8
	v_lshl_add_u64 v[32:33], v[32:33], 0, 8
	s_waitcnt vmcnt(0)
	v_cmp_ne_u64_e32 vcc, v[34:35], v[36:37]
	s_and_b64 s[46:47], vcc, exec
	s_or_b64 s[42:43], s[42:43], s[46:47]
.LBB1731_265:                           ;   in Loop: Header=BB1731_266 Depth=1
	s_and_b64 s[46:47], exec, s[42:43]
	s_or_b64 s[40:41], s[46:47], s[40:41]
	v_mov_b64_e32 v[34:35], s[44:45]
	s_andn2_b64 exec, exec, s[40:41]
	s_cbranch_execz .LBB1731_268
.LBB1731_266:                           ; =>This Inner Loop Header: Depth=1
	s_or_b64 s[42:43], s[42:43], exec
	s_cmp_eq_u64 s[16:17], s[44:45]
	s_cbranch_scc0 .LBB1731_264
; %bb.267:                              ;   in Loop: Header=BB1731_266 Depth=1
                                        ; implicit-def: $vgpr30_vgpr31
                                        ; implicit-def: $vgpr32_vgpr33
	s_mov_b64 s[44:45], s[26:27]
	s_branch .LBB1731_265
.LBB1731_268:
	s_or_b64 exec, exec, s[40:41]
	v_cmp_gt_i64_e32 vcc, s[26:27], v[34:35]
	s_orn2_b64 s[16:17], vcc, exec
.LBB1731_269:
	s_or_b64 exec, exec, s[4:5]
.LBB1731_270:
	s_and_b64 s[4:5], s[16:17], exec
.LBB1731_271:
	s_or_b64 exec, exec, s[14:15]
	v_cmp_gt_u32_e32 vcc, s54, v45
	s_and_saveexec_b64 s[14:15], vcc
	s_cbranch_execz .LBB1731_282
; %bb.272:
	s_andn2_b64 vcc, exec, s[6:7]
	s_mov_b64 s[16:17], 0
	s_cbranch_vccnz .LBB1731_281
; %bb.273:
	v_mul_lo_u32 v32, v15, s26
	v_mul_lo_u32 v33, v14, s27
	s_waitcnt vmcnt(0) lgkmcnt(1)
	v_mad_u64_u32 v[30:31], s[12:13], v14, s26, 0
	v_add3_u32 v31, v31, v33, v32
	v_mul_lo_u32 v32, v17, s26
	v_mul_lo_u32 v33, v16, s27
	v_mad_u64_u32 v[34:35], s[12:13], v16, s26, 0
	v_add3_u32 v35, v35, v33, v32
	v_lshl_add_u64 v[32:33], v[30:31], 3, s[36:37]
	v_lshl_add_u64 v[30:31], v[34:35], 3, s[36:37]
	global_load_dwordx2 v[34:35], v[32:33], off
	global_load_dwordx2 v[36:37], v[30:31], off
	s_mov_b64 s[16:17], -1
	s_waitcnt vmcnt(0)
	v_cmp_eq_u64_e32 vcc, v[34:35], v[36:37]
	s_and_saveexec_b64 s[12:13], vcc
	s_cbranch_execz .LBB1731_280
; %bb.274:
	s_add_u32 s16, s26, -1
	v_lshl_add_u64 v[30:31], v[30:31], 0, 8
	v_lshl_add_u64 v[32:33], v[32:33], 0, 8
	s_addc_u32 s17, s27, -1
	s_mov_b64 s[40:41], 0
	s_mov_b64 s[44:45], 0
                                        ; implicit-def: $sgpr42_sgpr43
	s_branch .LBB1731_277
.LBB1731_275:                           ;   in Loop: Header=BB1731_277 Depth=1
	global_load_dwordx2 v[34:35], v[32:33], off
	global_load_dwordx2 v[36:37], v[30:31], off
	s_add_u32 s44, s44, 1
	s_addc_u32 s45, s45, 0
	s_andn2_b64 s[42:43], s[42:43], exec
	v_lshl_add_u64 v[30:31], v[30:31], 0, 8
	v_lshl_add_u64 v[32:33], v[32:33], 0, 8
	s_waitcnt vmcnt(0)
	v_cmp_ne_u64_e32 vcc, v[34:35], v[36:37]
	s_and_b64 s[46:47], vcc, exec
	s_or_b64 s[42:43], s[42:43], s[46:47]
.LBB1731_276:                           ;   in Loop: Header=BB1731_277 Depth=1
	s_and_b64 s[46:47], exec, s[42:43]
	s_or_b64 s[40:41], s[46:47], s[40:41]
	v_mov_b64_e32 v[34:35], s[44:45]
	s_andn2_b64 exec, exec, s[40:41]
	s_cbranch_execz .LBB1731_279
.LBB1731_277:                           ; =>This Inner Loop Header: Depth=1
	s_or_b64 s[42:43], s[42:43], exec
	s_cmp_eq_u64 s[16:17], s[44:45]
	s_cbranch_scc0 .LBB1731_275
; %bb.278:                              ;   in Loop: Header=BB1731_277 Depth=1
                                        ; implicit-def: $vgpr30_vgpr31
                                        ; implicit-def: $vgpr32_vgpr33
	s_mov_b64 s[44:45], s[26:27]
	s_branch .LBB1731_276
.LBB1731_279:
	s_or_b64 exec, exec, s[40:41]
	v_cmp_gt_i64_e32 vcc, s[26:27], v[34:35]
	s_orn2_b64 s[16:17], vcc, exec
.LBB1731_280:
	s_or_b64 exec, exec, s[12:13]
.LBB1731_281:
	s_and_b64 s[12:13], s[16:17], exec
.LBB1731_282:
	s_or_b64 exec, exec, s[14:15]
	v_cmp_gt_u32_e32 vcc, s54, v41
	s_mov_b64 s[16:17], 0
	s_mov_b64 s[14:15], 0
	s_and_saveexec_b64 s[40:41], vcc
	s_cbranch_execz .LBB1731_293
; %bb.283:
	s_andn2_b64 vcc, exec, s[6:7]
	s_mov_b64 s[42:43], 0
	s_cbranch_vccnz .LBB1731_292
; %bb.284:
	v_mul_lo_u32 v32, v21, s26
	v_mul_lo_u32 v33, v20, s27
	s_waitcnt vmcnt(0) lgkmcnt(1)
	v_mad_u64_u32 v[30:31], s[14:15], v20, s26, 0
	v_add3_u32 v31, v31, v33, v32
	v_mul_lo_u32 v32, v15, s26
	v_mul_lo_u32 v33, v14, s27
	v_mad_u64_u32 v[34:35], s[14:15], v14, s26, 0
	v_add3_u32 v35, v35, v33, v32
	v_lshl_add_u64 v[32:33], v[30:31], 3, s[36:37]
	v_lshl_add_u64 v[30:31], v[34:35], 3, s[36:37]
	global_load_dwordx2 v[34:35], v[32:33], off
	global_load_dwordx2 v[36:37], v[30:31], off
	s_mov_b64 s[42:43], -1
	s_waitcnt vmcnt(0)
	v_cmp_eq_u64_e32 vcc, v[34:35], v[36:37]
	s_and_saveexec_b64 s[14:15], vcc
	s_cbranch_execz .LBB1731_291
; %bb.285:
	s_add_u32 s42, s26, -1
	v_lshl_add_u64 v[30:31], v[30:31], 0, 8
	v_lshl_add_u64 v[32:33], v[32:33], 0, 8
	s_addc_u32 s43, s27, -1
	s_mov_b64 s[44:45], 0
	s_mov_b64 s[48:49], 0
                                        ; implicit-def: $sgpr46_sgpr47
	s_branch .LBB1731_288
.LBB1731_286:                           ;   in Loop: Header=BB1731_288 Depth=1
	global_load_dwordx2 v[34:35], v[32:33], off
	global_load_dwordx2 v[36:37], v[30:31], off
	s_add_u32 s48, s48, 1
	s_addc_u32 s49, s49, 0
	s_andn2_b64 s[46:47], s[46:47], exec
	v_lshl_add_u64 v[30:31], v[30:31], 0, 8
	v_lshl_add_u64 v[32:33], v[32:33], 0, 8
	s_waitcnt vmcnt(0)
	v_cmp_ne_u64_e32 vcc, v[34:35], v[36:37]
	s_and_b64 s[50:51], vcc, exec
	s_or_b64 s[46:47], s[46:47], s[50:51]
.LBB1731_287:                           ;   in Loop: Header=BB1731_288 Depth=1
	s_and_b64 s[50:51], exec, s[46:47]
	s_or_b64 s[44:45], s[50:51], s[44:45]
	v_mov_b64_e32 v[34:35], s[48:49]
	s_andn2_b64 exec, exec, s[44:45]
	s_cbranch_execz .LBB1731_290
.LBB1731_288:                           ; =>This Inner Loop Header: Depth=1
	s_or_b64 s[46:47], s[46:47], exec
	s_cmp_eq_u64 s[42:43], s[48:49]
	s_cbranch_scc0 .LBB1731_286
; %bb.289:                              ;   in Loop: Header=BB1731_288 Depth=1
                                        ; implicit-def: $vgpr30_vgpr31
                                        ; implicit-def: $vgpr32_vgpr33
	s_mov_b64 s[48:49], s[26:27]
	s_branch .LBB1731_287
.LBB1731_290:
	s_or_b64 exec, exec, s[44:45]
	v_cmp_gt_i64_e32 vcc, s[26:27], v[34:35]
	s_orn2_b64 s[42:43], vcc, exec
.LBB1731_291:
	s_or_b64 exec, exec, s[14:15]
.LBB1731_292:
	s_and_b64 s[14:15], s[42:43], exec
.LBB1731_293:
	s_or_b64 exec, exec, s[40:41]
	v_cmp_gt_u32_e32 vcc, s54, v44
	s_and_saveexec_b64 s[40:41], vcc
	s_cbranch_execz .LBB1731_304
; %bb.294:
	s_andn2_b64 vcc, exec, s[6:7]
	s_mov_b64 s[42:43], 0
	s_cbranch_vccnz .LBB1731_303
; %bb.295:
	v_mul_lo_u32 v32, v19, s26
	v_mul_lo_u32 v33, v18, s27
	s_waitcnt vmcnt(0) lgkmcnt(1)
	v_mad_u64_u32 v[30:31], s[16:17], v18, s26, 0
	v_add3_u32 v31, v31, v33, v32
	v_mul_lo_u32 v32, v21, s26
	v_mul_lo_u32 v33, v20, s27
	v_mad_u64_u32 v[34:35], s[16:17], v20, s26, 0
	v_add3_u32 v35, v35, v33, v32
	v_lshl_add_u64 v[32:33], v[30:31], 3, s[36:37]
	v_lshl_add_u64 v[30:31], v[34:35], 3, s[36:37]
	global_load_dwordx2 v[34:35], v[32:33], off
	global_load_dwordx2 v[36:37], v[30:31], off
	s_mov_b64 s[42:43], -1
	s_waitcnt vmcnt(0)
	v_cmp_eq_u64_e32 vcc, v[34:35], v[36:37]
	s_and_saveexec_b64 s[16:17], vcc
	s_cbranch_execz .LBB1731_302
; %bb.296:
	s_add_u32 s42, s26, -1
	v_lshl_add_u64 v[30:31], v[30:31], 0, 8
	v_lshl_add_u64 v[32:33], v[32:33], 0, 8
	s_addc_u32 s43, s27, -1
	s_mov_b64 s[44:45], 0
	s_mov_b64 s[48:49], 0
                                        ; implicit-def: $sgpr46_sgpr47
	s_branch .LBB1731_299
.LBB1731_297:                           ;   in Loop: Header=BB1731_299 Depth=1
	global_load_dwordx2 v[34:35], v[32:33], off
	global_load_dwordx2 v[36:37], v[30:31], off
	s_add_u32 s48, s48, 1
	s_addc_u32 s49, s49, 0
	s_andn2_b64 s[46:47], s[46:47], exec
	v_lshl_add_u64 v[30:31], v[30:31], 0, 8
	v_lshl_add_u64 v[32:33], v[32:33], 0, 8
	s_waitcnt vmcnt(0)
	v_cmp_ne_u64_e32 vcc, v[34:35], v[36:37]
	s_and_b64 s[50:51], vcc, exec
	s_or_b64 s[46:47], s[46:47], s[50:51]
.LBB1731_298:                           ;   in Loop: Header=BB1731_299 Depth=1
	s_and_b64 s[50:51], exec, s[46:47]
	s_or_b64 s[44:45], s[50:51], s[44:45]
	v_mov_b64_e32 v[34:35], s[48:49]
	s_andn2_b64 exec, exec, s[44:45]
	s_cbranch_execz .LBB1731_301
.LBB1731_299:                           ; =>This Inner Loop Header: Depth=1
	s_or_b64 s[46:47], s[46:47], exec
	s_cmp_eq_u64 s[42:43], s[48:49]
	s_cbranch_scc0 .LBB1731_297
; %bb.300:                              ;   in Loop: Header=BB1731_299 Depth=1
                                        ; implicit-def: $vgpr30_vgpr31
                                        ; implicit-def: $vgpr32_vgpr33
	s_mov_b64 s[48:49], s[26:27]
	s_branch .LBB1731_298
.LBB1731_301:
	s_or_b64 exec, exec, s[44:45]
	v_cmp_gt_i64_e32 vcc, s[26:27], v[34:35]
	s_orn2_b64 s[42:43], vcc, exec
.LBB1731_302:
	s_or_b64 exec, exec, s[16:17]
.LBB1731_303:
	s_and_b64 s[16:17], s[42:43], exec
.LBB1731_304:
	s_or_b64 exec, exec, s[40:41]
	v_cmp_gt_u32_e32 vcc, s54, v40
	s_mov_b64 s[40:41], 0
	s_mov_b64 s[42:43], 0
	s_and_saveexec_b64 s[44:45], vcc
	s_cbranch_execz .LBB1731_315
; %bb.305:
	s_andn2_b64 vcc, exec, s[6:7]
	s_mov_b64 s[46:47], 0
	s_cbranch_vccnz .LBB1731_314
; %bb.306:
	v_mul_lo_u32 v32, v25, s26
	v_mul_lo_u32 v33, v24, s27
	s_waitcnt vmcnt(0) lgkmcnt(1)
	v_mad_u64_u32 v[30:31], s[42:43], v24, s26, 0
	v_add3_u32 v31, v31, v33, v32
	v_mul_lo_u32 v32, v19, s26
	v_mul_lo_u32 v33, v18, s27
	v_mad_u64_u32 v[34:35], s[42:43], v18, s26, 0
	v_add3_u32 v35, v35, v33, v32
	v_lshl_add_u64 v[32:33], v[30:31], 3, s[36:37]
	v_lshl_add_u64 v[30:31], v[34:35], 3, s[36:37]
	global_load_dwordx2 v[34:35], v[32:33], off
	global_load_dwordx2 v[36:37], v[30:31], off
	s_mov_b64 s[46:47], -1
	s_waitcnt vmcnt(0)
	v_cmp_eq_u64_e32 vcc, v[34:35], v[36:37]
	s_and_saveexec_b64 s[42:43], vcc
	s_cbranch_execz .LBB1731_313
; %bb.307:
	s_add_u32 s46, s26, -1
	v_lshl_add_u64 v[30:31], v[30:31], 0, 8
	v_lshl_add_u64 v[32:33], v[32:33], 0, 8
	s_addc_u32 s47, s27, -1
	s_mov_b64 s[48:49], 0
	s_mov_b64 s[52:53], 0
                                        ; implicit-def: $sgpr50_sgpr51
	s_branch .LBB1731_310
.LBB1731_308:                           ;   in Loop: Header=BB1731_310 Depth=1
	global_load_dwordx2 v[34:35], v[32:33], off
	global_load_dwordx2 v[36:37], v[30:31], off
	s_add_u32 s52, s52, 1
	s_addc_u32 s53, s53, 0
	s_andn2_b64 s[50:51], s[50:51], exec
	v_lshl_add_u64 v[30:31], v[30:31], 0, 8
	v_lshl_add_u64 v[32:33], v[32:33], 0, 8
	s_waitcnt vmcnt(0)
	v_cmp_ne_u64_e32 vcc, v[34:35], v[36:37]
	s_and_b64 s[56:57], vcc, exec
	s_or_b64 s[50:51], s[50:51], s[56:57]
.LBB1731_309:                           ;   in Loop: Header=BB1731_310 Depth=1
	s_and_b64 s[56:57], exec, s[50:51]
	s_or_b64 s[48:49], s[56:57], s[48:49]
	v_mov_b64_e32 v[34:35], s[52:53]
	s_andn2_b64 exec, exec, s[48:49]
	s_cbranch_execz .LBB1731_312
.LBB1731_310:                           ; =>This Inner Loop Header: Depth=1
	s_or_b64 s[50:51], s[50:51], exec
	s_cmp_eq_u64 s[46:47], s[52:53]
	s_cbranch_scc0 .LBB1731_308
; %bb.311:                              ;   in Loop: Header=BB1731_310 Depth=1
                                        ; implicit-def: $vgpr30_vgpr31
                                        ; implicit-def: $vgpr32_vgpr33
	s_mov_b64 s[52:53], s[26:27]
	s_branch .LBB1731_309
.LBB1731_312:
	s_or_b64 exec, exec, s[48:49]
	v_cmp_gt_i64_e32 vcc, s[26:27], v[34:35]
	s_orn2_b64 s[46:47], vcc, exec
.LBB1731_313:
	s_or_b64 exec, exec, s[42:43]
.LBB1731_314:
	s_and_b64 s[42:43], s[46:47], exec
.LBB1731_315:
	s_or_b64 exec, exec, s[44:45]
	v_cmp_gt_u32_e32 vcc, s54, v43
	s_and_saveexec_b64 s[44:45], vcc
	s_cbranch_execz .LBB1731_326
; %bb.316:
	s_andn2_b64 vcc, exec, s[6:7]
	s_mov_b64 s[46:47], 0
	s_cbranch_vccnz .LBB1731_325
; %bb.317:
	v_mul_lo_u32 v32, v23, s26
	v_mul_lo_u32 v33, v22, s27
	s_waitcnt vmcnt(0) lgkmcnt(1)
	v_mad_u64_u32 v[30:31], s[40:41], v22, s26, 0
	v_add3_u32 v31, v31, v33, v32
	v_mul_lo_u32 v32, v25, s26
	v_mul_lo_u32 v33, v24, s27
	v_mad_u64_u32 v[34:35], s[40:41], v24, s26, 0
	v_add3_u32 v35, v35, v33, v32
	v_lshl_add_u64 v[32:33], v[30:31], 3, s[36:37]
	v_lshl_add_u64 v[30:31], v[34:35], 3, s[36:37]
	global_load_dwordx2 v[34:35], v[32:33], off
	global_load_dwordx2 v[36:37], v[30:31], off
	s_mov_b64 s[46:47], -1
	s_waitcnt vmcnt(0)
	v_cmp_eq_u64_e32 vcc, v[34:35], v[36:37]
	s_and_saveexec_b64 s[40:41], vcc
	s_cbranch_execz .LBB1731_324
; %bb.318:
	s_add_u32 s46, s26, -1
	v_lshl_add_u64 v[30:31], v[30:31], 0, 8
	v_lshl_add_u64 v[32:33], v[32:33], 0, 8
	s_addc_u32 s47, s27, -1
	s_mov_b64 s[48:49], 0
	s_mov_b64 s[52:53], 0
                                        ; implicit-def: $sgpr50_sgpr51
	s_branch .LBB1731_321
.LBB1731_319:                           ;   in Loop: Header=BB1731_321 Depth=1
	global_load_dwordx2 v[34:35], v[32:33], off
	global_load_dwordx2 v[36:37], v[30:31], off
	s_add_u32 s52, s52, 1
	s_addc_u32 s53, s53, 0
	s_andn2_b64 s[50:51], s[50:51], exec
	v_lshl_add_u64 v[30:31], v[30:31], 0, 8
	v_lshl_add_u64 v[32:33], v[32:33], 0, 8
	s_waitcnt vmcnt(0)
	v_cmp_ne_u64_e32 vcc, v[34:35], v[36:37]
	s_and_b64 s[56:57], vcc, exec
	s_or_b64 s[50:51], s[50:51], s[56:57]
.LBB1731_320:                           ;   in Loop: Header=BB1731_321 Depth=1
	s_and_b64 s[56:57], exec, s[50:51]
	s_or_b64 s[48:49], s[56:57], s[48:49]
	v_mov_b64_e32 v[34:35], s[52:53]
	s_andn2_b64 exec, exec, s[48:49]
	s_cbranch_execz .LBB1731_323
.LBB1731_321:                           ; =>This Inner Loop Header: Depth=1
	s_or_b64 s[50:51], s[50:51], exec
	s_cmp_eq_u64 s[46:47], s[52:53]
	s_cbranch_scc0 .LBB1731_319
; %bb.322:                              ;   in Loop: Header=BB1731_321 Depth=1
                                        ; implicit-def: $vgpr30_vgpr31
                                        ; implicit-def: $vgpr32_vgpr33
	s_mov_b64 s[52:53], s[26:27]
	s_branch .LBB1731_320
.LBB1731_323:
	s_or_b64 exec, exec, s[48:49]
	v_cmp_gt_i64_e32 vcc, s[26:27], v[34:35]
	s_orn2_b64 s[46:47], vcc, exec
.LBB1731_324:
	s_or_b64 exec, exec, s[40:41]
.LBB1731_325:
	s_and_b64 s[40:41], s[46:47], exec
.LBB1731_326:
	s_or_b64 exec, exec, s[44:45]
	s_waitcnt vmcnt(0) lgkmcnt(1)
	v_cndmask_b32_e64 v31, 0, 1, s[16:17]
	v_cndmask_b32_e64 v30, 0, 1, s[42:43]
	;; [unrolled: 1-line block ×3, first 2 shown]
	v_lshlrev_b16_e32 v31, 8, v31
	v_cndmask_b32_e64 v39, 0, 1, s[14:15]
	v_cndmask_b32_e64 v32, 0, 1, s[40:41]
	v_or_b32_sdwa v30, v30, v31 dst_sel:WORD_1 dst_unused:UNUSED_PAD src0_sel:DWORD src1_sel:DWORD
	v_lshlrev_b16_e32 v31, 8, v48
	v_lshlrev_b16_e32 v32, 8, v32
	v_or_b32_e32 v31, v39, v31
	v_or_b32_e32 v32, 1, v32
	v_and_b32_e32 v31, 0xffff, v31
	v_cndmask_b32_e64 v49, 0, 1, s[4:5]
	v_or_b32_sdwa v30, v32, v30 dst_sel:DWORD dst_unused:UNUSED_PAD src0_sel:WORD_0 src1_sel:DWORD
	v_lshl_or_b32 v31, v49, 16, v31
	s_waitcnt lgkmcnt(0)
	s_barrier
	s_waitcnt lgkmcnt(0)
                                        ; implicit-def: $sgpr14_sgpr15
                                        ; implicit-def: $vgpr34
	s_and_saveexec_b64 s[4:5], s[2:3]
	s_cbranch_execz .LBB1731_339
; %bb.327:
	v_cmp_gt_u32_e32 vcc, s54, v1
	s_mov_b32 s40, 0x3020104
	s_mov_b64 s[12:13], 0
	s_and_saveexec_b64 s[2:3], vcc
	s_cbranch_execz .LBB1731_338
; %bb.328:
	s_andn2_b64 vcc, exec, s[6:7]
	s_cbranch_vccnz .LBB1731_337
; %bb.329:
	v_add_u32_e32 v31, -8, v38
	ds_read_b64 v[32:33], v31
	v_mul_lo_u32 v31, v23, s26
	v_mad_u64_u32 v[36:37], s[6:7], v22, s26, 0
	s_mov_b64 s[12:13], -1
	s_waitcnt lgkmcnt(0)
	v_mul_lo_u32 v34, v33, s26
	v_mul_lo_u32 v35, v32, s27
	v_mad_u64_u32 v[32:33], s[6:7], v32, s26, 0
	v_add3_u32 v33, v33, v35, v34
	v_mul_lo_u32 v34, v22, s27
	v_add3_u32 v37, v37, v34, v31
	v_lshl_add_u64 v[34:35], v[32:33], 3, s[36:37]
	v_lshl_add_u64 v[32:33], v[36:37], 3, s[36:37]
	global_load_dwordx2 v[36:37], v[34:35], off
	global_load_dwordx2 v[46:47], v[32:33], off
	s_waitcnt vmcnt(0)
	v_cmp_eq_u64_e32 vcc, v[36:37], v[46:47]
	s_and_saveexec_b64 s[6:7], vcc
	s_cbranch_execz .LBB1731_336
; %bb.330:
	s_add_u32 s12, s26, -1
	v_lshl_add_u64 v[32:33], v[32:33], 0, 8
	v_lshl_add_u64 v[34:35], v[34:35], 0, 8
	s_addc_u32 s13, s27, -1
	s_mov_b64 s[14:15], 0
	s_mov_b64 s[36:37], 0
                                        ; implicit-def: $sgpr16_sgpr17
	s_branch .LBB1731_333
.LBB1731_331:                           ;   in Loop: Header=BB1731_333 Depth=1
	global_load_dwordx2 v[36:37], v[34:35], off
	global_load_dwordx2 v[46:47], v[32:33], off
	s_add_u32 s36, s36, 1
	s_addc_u32 s37, s37, 0
	s_andn2_b64 s[16:17], s[16:17], exec
	v_lshl_add_u64 v[32:33], v[32:33], 0, 8
	v_lshl_add_u64 v[34:35], v[34:35], 0, 8
	s_waitcnt vmcnt(0)
	v_cmp_ne_u64_e32 vcc, v[36:37], v[46:47]
	s_and_b64 s[42:43], vcc, exec
	s_or_b64 s[16:17], s[16:17], s[42:43]
.LBB1731_332:                           ;   in Loop: Header=BB1731_333 Depth=1
	s_and_b64 s[42:43], exec, s[16:17]
	s_or_b64 s[14:15], s[42:43], s[14:15]
	v_mov_b64_e32 v[36:37], s[36:37]
	s_andn2_b64 exec, exec, s[14:15]
	s_cbranch_execz .LBB1731_335
.LBB1731_333:                           ; =>This Inner Loop Header: Depth=1
	s_or_b64 s[16:17], s[16:17], exec
	s_cmp_eq_u64 s[12:13], s[36:37]
	s_cbranch_scc0 .LBB1731_331
; %bb.334:                              ;   in Loop: Header=BB1731_333 Depth=1
                                        ; implicit-def: $vgpr32_vgpr33
                                        ; implicit-def: $vgpr34_vgpr35
	s_mov_b64 s[36:37], s[26:27]
	s_branch .LBB1731_332
.LBB1731_335:
	s_or_b64 exec, exec, s[14:15]
	v_cmp_gt_i64_e32 vcc, s[26:27], v[36:37]
	s_orn2_b64 s[12:13], vcc, exec
.LBB1731_336:
	s_or_b64 exec, exec, s[6:7]
.LBB1731_337:
	s_and_b64 s[12:13], s[12:13], exec
.LBB1731_338:
	s_or_b64 exec, exec, s[2:3]
	v_perm_b32 v34, v30, v30, s40
	s_and_b64 s[14:15], s[12:13], exec
	s_or_b64 s[10:11], s[10:11], exec
                                        ; implicit-def: $vgpr30_vgpr31
.LBB1731_339:
	s_or_b64 exec, exec, s[4:5]
.LBB1731_340:
	s_and_saveexec_b64 s[2:3], s[10:11]
	s_cbranch_execz .LBB1731_342
; %bb.341:
	s_waitcnt vmcnt(0) lgkmcnt(0)
	v_lshlrev_b16_e32 v31, 8, v48
	v_and_b32_e32 v32, 0xff, v49
	v_or_b32_sdwa v31, v39, v31 dst_sel:DWORD dst_unused:UNUSED_PAD src0_sel:BYTE_0 src1_sel:DWORD
	v_lshlrev_b32_e32 v32, 16, v32
	s_movk_i32 s4, 0xff
	v_or_b32_sdwa v31, v31, v32 dst_sel:DWORD dst_unused:UNUSED_PAD src0_sel:WORD_0 src1_sel:DWORD
	v_lshrrev_b32_e32 v32, 24, v34
	v_lshlrev_b16_e32 v32, 8, v32
	v_and_b32_sdwa v33, v34, s4 dst_sel:DWORD dst_unused:UNUSED_PAD src0_sel:WORD_1 src1_sel:DWORD
	v_or_b32_sdwa v32, v33, v32 dst_sel:WORD_1 dst_unused:UNUSED_PAD src0_sel:DWORD src1_sel:DWORD
	v_mov_b32_e32 v33, 8
	v_cndmask_b32_e64 v30, 0, 1, s[14:15]
	v_lshrrev_b32_sdwa v33, v33, v34 dst_sel:BYTE_1 dst_unused:UNUSED_PAD src0_sel:DWORD src1_sel:DWORD
	s_nop 0
	v_or_b32_e32 v30, v30, v33
	v_or_b32_sdwa v30, v30, v32 dst_sel:DWORD dst_unused:UNUSED_PAD src0_sel:WORD_0 src1_sel:DWORD
.LBB1731_342:
	s_or_b64 exec, exec, s[2:3]
	s_andn2_b64 vcc, exec, s[8:9]
	s_cbranch_vccnz .LBB1731_344
; %bb.343:
	s_waitcnt vmcnt(0) lgkmcnt(0)
	v_and_b32_e32 v32, 0xffff0000, v30
	v_cmp_gt_u32_e32 vcc, s54, v1
	s_mov_b32 s2, 0x40c0100
	s_nop 0
	v_cndmask_b32_e32 v1, v32, v30, vcc
	v_and_b32_e32 v1, 0xffff00ff, v1
	v_cmp_gt_u32_e32 vcc, s54, v43
	s_nop 1
	v_cndmask_b32_e32 v1, v1, v30, vcc
	v_lshrrev_b32_e32 v32, 24, v1
	v_perm_b32 v1, v32, v1, s2
	v_cmp_gt_u32_e32 vcc, s54, v40
	v_and_b32_e32 v32, 0xffffff00, v31
	s_nop 0
	v_cndmask_b32_e32 v1, v1, v30, vcc
	v_and_b32_e32 v1, 0xffffff, v1
	v_cmp_gt_u32_e32 vcc, s54, v44
	s_nop 1
	v_cndmask_b32_e32 v1, v1, v30, vcc
	v_cmp_gt_u32_e32 vcc, s54, v41
	s_nop 1
	v_cndmask_b32_e32 v32, v32, v31, vcc
	v_and_b32_e32 v32, 0xffff00ff, v32
	v_cndmask_b32_e32 v1, v1, v30, vcc
	v_cmp_gt_u32_e32 vcc, s54, v45
	s_nop 1
	v_cndmask_b32_e32 v32, v32, v31, vcc
	v_lshrrev_b32_e32 v33, 24, v32
	v_cndmask_b32_e32 v1, v1, v30, vcc
	v_perm_b32 v32, v33, v32, s2
	v_cmp_gt_u32_e32 vcc, s54, v42
	s_mov_b32 s2, 0x3020104
	s_nop 0
	v_cndmask_b32_e32 v1, v1, v30, vcc
	v_cndmask_b32_e32 v30, v32, v31, vcc
	v_mov_b32_e32 v31, 8
	v_lshrrev_b32_sdwa v31, v31, v30 dst_sel:BYTE_1 dst_unused:UNUSED_PAD src0_sel:DWORD src1_sel:DWORD
	s_nop 0
	v_or_b32_sdwa v31, v30, v31 dst_sel:DWORD dst_unused:UNUSED_PAD src0_sel:BYTE_0 src1_sel:DWORD
	v_and_b32_e32 v31, 0xffff, v31
	v_bfe_u32 v30, v30, 16, 8
	v_lshl_or_b32 v31, v30, 16, v31
	v_perm_b32 v30, v1, v1, s2
.LBB1731_344:
	s_waitcnt vmcnt(0) lgkmcnt(0)
	v_and_b32_e32 v1, 0xff, v30
	v_bfe_u32 v43, v30, 8, 8
	v_bfe_u32 v45, v30, 16, 8
	v_alignbit_b32 v32, v31, v30, 24
	v_and_b32_e32 v47, 0xff, v32
	v_and_b32_e32 v48, 0xff, v31
	v_add3_u32 v33, v43, v1, v45
	v_bfe_u32 v49, v31, 8, 8
	v_bfe_u32 v32, v31, 16, 8
	v_add3_u32 v33, v33, v47, v48
	v_add3_u32 v52, v33, v49, v32
	v_mbcnt_lo_u32_b32 v32, -1, 0
	v_mbcnt_hi_u32_b32 v50, -1, v32
	v_and_b32_e32 v32, 15, v50
	v_cmp_eq_u32_e64 s[14:15], 0, v32
	v_cmp_lt_u32_e64 s[12:13], 1, v32
	v_cmp_lt_u32_e64 s[10:11], 3, v32
	v_cmp_lt_u32_e64 s[8:9], 7, v32
	v_and_b32_e32 v32, 16, v50
	v_cmp_eq_u32_e64 s[6:7], 0, v32
	v_or_b32_e32 v32, 63, v0
	v_cmp_lt_u32_e64 s[2:3], 31, v50
	v_lshrrev_b32_e32 v51, 6, v0
	v_cmp_eq_u32_e64 s[4:5], v32, v0
	s_and_b64 vcc, exec, s[0:1]
	s_barrier
	s_cbranch_vccz .LBB1731_371
; %bb.345:
	v_mov_b32_dpp v32, v52 row_shr:1 row_mask:0xf bank_mask:0xf
	v_cndmask_b32_e64 v32, v32, 0, s[14:15]
	v_add_u32_e32 v32, v32, v52
	s_nop 1
	v_mov_b32_dpp v33, v32 row_shr:2 row_mask:0xf bank_mask:0xf
	v_cndmask_b32_e64 v33, 0, v33, s[12:13]
	v_add_u32_e32 v32, v32, v33
	s_nop 1
	;; [unrolled: 4-line block ×4, first 2 shown]
	v_mov_b32_dpp v33, v32 row_bcast:15 row_mask:0xf bank_mask:0xf
	v_cndmask_b32_e64 v33, v33, 0, s[6:7]
	v_add_u32_e32 v32, v32, v33
	s_nop 1
	v_mov_b32_dpp v33, v32 row_bcast:31 row_mask:0xf bank_mask:0xf
	v_cndmask_b32_e64 v33, 0, v33, s[2:3]
	v_add_u32_e32 v32, v32, v33
	s_and_saveexec_b64 s[0:1], s[4:5]
	s_cbranch_execz .LBB1731_347
; %bb.346:
	v_lshlrev_b32_e32 v33, 2, v51
	ds_write_b32 v33, v32
.LBB1731_347:
	s_or_b64 exec, exec, s[0:1]
	v_cmp_gt_u32_e32 vcc, 8, v0
	s_waitcnt lgkmcnt(0)
	s_barrier
	s_and_saveexec_b64 s[0:1], vcc
	s_cbranch_execz .LBB1731_349
; %bb.348:
	v_lshlrev_b32_e32 v33, 2, v0
	ds_read_b32 v34, v33
	v_and_b32_e32 v35, 7, v50
	v_cmp_ne_u32_e32 vcc, 0, v35
	s_waitcnt lgkmcnt(0)
	v_mov_b32_dpp v36, v34 row_shr:1 row_mask:0xf bank_mask:0xf
	v_cndmask_b32_e32 v36, 0, v36, vcc
	v_add_u32_e32 v34, v36, v34
	v_cmp_lt_u32_e32 vcc, 1, v35
	s_nop 0
	v_mov_b32_dpp v36, v34 row_shr:2 row_mask:0xf bank_mask:0xf
	v_cndmask_b32_e32 v36, 0, v36, vcc
	v_add_u32_e32 v34, v34, v36
	v_cmp_lt_u32_e32 vcc, 3, v35
	s_nop 0
	v_mov_b32_dpp v36, v34 row_shr:4 row_mask:0xf bank_mask:0xf
	v_cndmask_b32_e32 v35, 0, v36, vcc
	v_add_u32_e32 v34, v34, v35
	ds_write_b32 v33, v34
.LBB1731_349:
	s_or_b64 exec, exec, s[0:1]
	v_cmp_gt_u32_e32 vcc, 64, v0
	v_cmp_lt_u32_e64 s[0:1], 63, v0
	s_waitcnt lgkmcnt(0)
	s_barrier
	s_waitcnt lgkmcnt(0)
                                        ; implicit-def: $vgpr42
	s_and_saveexec_b64 s[16:17], s[0:1]
	s_cbranch_execz .LBB1731_351
; %bb.350:
	v_lshl_add_u32 v33, v51, 2, -4
	ds_read_b32 v42, v33
	s_waitcnt lgkmcnt(0)
	v_add_u32_e32 v32, v42, v32
.LBB1731_351:
	s_or_b64 exec, exec, s[16:17]
	v_add_u32_e32 v33, -1, v50
	v_and_b32_e32 v34, 64, v50
	v_cmp_lt_i32_e64 s[0:1], v33, v34
	v_cmp_eq_u32_e64 s[16:17], 0, v50
	s_nop 0
	v_cndmask_b32_e64 v33, v33, v50, s[0:1]
	v_lshlrev_b32_e32 v33, 2, v33
	ds_bpermute_b32 v44, v33, v32
	s_and_saveexec_b64 s[0:1], vcc
	s_cbranch_execz .LBB1731_370
; %bb.352:
	v_mov_b32_e32 v39, 0
	ds_read_b32 v32, v39 offset:28
	s_and_saveexec_b64 s[26:27], s[16:17]
	s_cbranch_execz .LBB1731_354
; %bb.353:
	s_add_i32 s36, s33, 64
	s_mov_b32 s37, 0
	s_lshl_b64 s[36:37], s[36:37], 3
	s_add_u32 s36, s38, s36
	v_mov_b32_e32 v33, 1
	s_addc_u32 s37, s39, s37
	s_waitcnt lgkmcnt(0)
	global_store_dwordx2 v39, v[32:33], s[36:37] sc1
.LBB1731_354:
	s_or_b64 exec, exec, s[26:27]
	v_xad_u32 v34, v50, -1, s33
	v_add_u32_e32 v38, 64, v34
	v_lshl_add_u64 v[40:41], v[38:39], 3, s[38:39]
	global_load_dwordx2 v[36:37], v[40:41], off sc1
	s_waitcnt vmcnt(0)
	v_cmp_eq_u16_sdwa s[36:37], v37, v39 src0_sel:BYTE_0 src1_sel:DWORD
	s_and_saveexec_b64 s[26:27], s[36:37]
	s_cbranch_execz .LBB1731_358
; %bb.355:
	s_mov_b64 s[36:37], 0
	v_mov_b32_e32 v33, 0
.LBB1731_356:                           ; =>This Inner Loop Header: Depth=1
	global_load_dwordx2 v[36:37], v[40:41], off sc1
	s_waitcnt vmcnt(0)
	v_cmp_ne_u16_sdwa s[40:41], v37, v33 src0_sel:BYTE_0 src1_sel:DWORD
	s_or_b64 s[36:37], s[40:41], s[36:37]
	s_andn2_b64 exec, exec, s[36:37]
	s_cbranch_execnz .LBB1731_356
; %bb.357:
	s_or_b64 exec, exec, s[36:37]
.LBB1731_358:
	s_or_b64 exec, exec, s[26:27]
	v_and_b32_e32 v46, 63, v50
	v_mov_b32_e32 v33, 2
	v_cmp_ne_u32_e32 vcc, 63, v46
	v_cmp_eq_u16_sdwa s[26:27], v37, v33 src0_sel:BYTE_0 src1_sel:DWORD
	v_lshlrev_b64 v[38:39], v50, -1
	v_addc_co_u32_e32 v41, vcc, 0, v50, vcc
	v_and_b32_e32 v35, s27, v39
	v_lshlrev_b32_e32 v53, 2, v41
	v_or_b32_e32 v35, 0x80000000, v35
	ds_bpermute_b32 v41, v53, v36
	v_and_b32_e32 v40, s26, v38
	v_ffbl_b32_e32 v35, v35
	v_add_u32_e32 v35, 32, v35
	v_ffbl_b32_e32 v40, v40
	v_min_u32_e32 v35, v40, v35
	v_cmp_lt_u32_e32 vcc, v46, v35
	v_add_u32_e32 v55, 2, v46
	v_add_u32_e32 v57, 4, v46
	s_waitcnt lgkmcnt(0)
	v_cndmask_b32_e32 v40, 0, v41, vcc
	v_cmp_gt_u32_e32 vcc, 62, v46
	v_add_u32_e32 v36, v40, v36
	v_add_u32_e32 v59, 8, v46
	v_cndmask_b32_e64 v40, 0, 1, vcc
	v_lshlrev_b32_e32 v40, 1, v40
	v_add_lshl_u32 v54, v40, v50, 2
	ds_bpermute_b32 v40, v54, v36
	v_cmp_le_u32_e32 vcc, v55, v35
	v_add_u32_e32 v62, 16, v46
	v_add_u32_e32 v64, 32, v46
	s_waitcnt lgkmcnt(0)
	v_cndmask_b32_e32 v40, 0, v40, vcc
	v_cmp_gt_u32_e32 vcc, 60, v46
	v_add_u32_e32 v36, v36, v40
	s_nop 0
	v_cndmask_b32_e64 v40, 0, 1, vcc
	v_lshlrev_b32_e32 v40, 2, v40
	v_add_lshl_u32 v56, v40, v50, 2
	ds_bpermute_b32 v40, v56, v36
	v_cmp_le_u32_e32 vcc, v57, v35
	s_waitcnt lgkmcnt(0)
	s_nop 0
	v_cndmask_b32_e32 v40, 0, v40, vcc
	v_cmp_gt_u32_e32 vcc, 56, v46
	v_add_u32_e32 v36, v36, v40
	s_nop 0
	v_cndmask_b32_e64 v40, 0, 1, vcc
	v_lshlrev_b32_e32 v40, 3, v40
	v_add_lshl_u32 v58, v40, v50, 2
	ds_bpermute_b32 v40, v58, v36
	v_cmp_le_u32_e32 vcc, v59, v35
	s_waitcnt lgkmcnt(0)
	s_nop 0
	v_cndmask_b32_e32 v40, 0, v40, vcc
	v_cmp_gt_u32_e32 vcc, 48, v46
	v_add_u32_e32 v36, v36, v40
	s_nop 0
	v_cndmask_b32_e64 v40, 0, 1, vcc
	v_lshlrev_b32_e32 v40, 4, v40
	v_add_lshl_u32 v61, v40, v50, 2
	ds_bpermute_b32 v40, v61, v36
	v_cmp_le_u32_e32 vcc, v62, v35
	s_waitcnt lgkmcnt(0)
	s_nop 0
	v_cndmask_b32_e32 v40, 0, v40, vcc
	v_cmp_gt_u32_e32 vcc, 32, v46
	v_add_u32_e32 v36, v36, v40
	s_nop 0
	v_cndmask_b32_e64 v40, 0, 1, vcc
	v_lshlrev_b32_e32 v40, 5, v40
	v_add_lshl_u32 v63, v40, v50, 2
	ds_bpermute_b32 v40, v63, v36
	v_cmp_le_u32_e32 vcc, v64, v35
	s_waitcnt lgkmcnt(0)
	s_nop 0
	v_cndmask_b32_e32 v35, 0, v40, vcc
	v_add_u32_e32 v36, v36, v35
	v_mov_b32_e32 v35, 0
	s_branch .LBB1731_360
.LBB1731_359:                           ;   in Loop: Header=BB1731_360 Depth=1
	s_or_b64 exec, exec, s[26:27]
	v_cmp_eq_u16_sdwa s[26:27], v37, v33 src0_sel:BYTE_0 src1_sel:DWORD
	ds_bpermute_b32 v65, v53, v36
	v_subrev_u32_e32 v34, 64, v34
	v_and_b32_e32 v40, s27, v39
	v_or_b32_e32 v40, 0x80000000, v40
	v_and_b32_e32 v41, s26, v38
	v_ffbl_b32_e32 v40, v40
	v_add_u32_e32 v40, 32, v40
	v_ffbl_b32_e32 v41, v41
	v_min_u32_e32 v40, v41, v40
	v_cmp_lt_u32_e32 vcc, v46, v40
	s_waitcnt lgkmcnt(0)
	s_nop 0
	v_cndmask_b32_e32 v41, 0, v65, vcc
	v_add_u32_e32 v36, v41, v36
	ds_bpermute_b32 v41, v54, v36
	v_cmp_le_u32_e32 vcc, v55, v40
	s_waitcnt lgkmcnt(0)
	s_nop 0
	v_cndmask_b32_e32 v41, 0, v41, vcc
	v_add_u32_e32 v36, v36, v41
	ds_bpermute_b32 v41, v56, v36
	v_cmp_le_u32_e32 vcc, v57, v40
	s_waitcnt lgkmcnt(0)
	s_nop 0
	v_cndmask_b32_e32 v41, 0, v41, vcc
	v_add_u32_e32 v36, v36, v41
	ds_bpermute_b32 v41, v58, v36
	v_cmp_le_u32_e32 vcc, v59, v40
	s_waitcnt lgkmcnt(0)
	s_nop 0
	v_cndmask_b32_e32 v41, 0, v41, vcc
	v_add_u32_e32 v36, v36, v41
	ds_bpermute_b32 v41, v61, v36
	v_cmp_le_u32_e32 vcc, v62, v40
	s_waitcnt lgkmcnt(0)
	s_nop 0
	v_cndmask_b32_e32 v41, 0, v41, vcc
	v_add_u32_e32 v36, v36, v41
	ds_bpermute_b32 v41, v63, v36
	v_cmp_le_u32_e32 vcc, v64, v40
	s_waitcnt lgkmcnt(0)
	s_nop 0
	v_cndmask_b32_e32 v40, 0, v41, vcc
	v_add3_u32 v36, v40, v60, v36
.LBB1731_360:                           ; =>This Loop Header: Depth=1
                                        ;     Child Loop BB1731_363 Depth 2
	v_cmp_ne_u16_sdwa s[26:27], v37, v33 src0_sel:BYTE_0 src1_sel:DWORD
	v_mov_b32_e32 v60, v36
	s_nop 0
	v_cndmask_b32_e64 v37, 0, 1, s[26:27]
	;;#ASMSTART
	;;#ASMEND
	s_nop 0
	v_cmp_ne_u32_e32 vcc, 0, v37
	s_cmp_lg_u64 vcc, exec
	s_cbranch_scc1 .LBB1731_365
; %bb.361:                              ;   in Loop: Header=BB1731_360 Depth=1
	v_lshl_add_u64 v[40:41], v[34:35], 3, s[38:39]
	global_load_dwordx2 v[36:37], v[40:41], off sc1
	s_waitcnt vmcnt(0)
	v_cmp_eq_u16_sdwa s[36:37], v37, v35 src0_sel:BYTE_0 src1_sel:DWORD
	s_and_saveexec_b64 s[26:27], s[36:37]
	s_cbranch_execz .LBB1731_359
; %bb.362:                              ;   in Loop: Header=BB1731_360 Depth=1
	s_mov_b64 s[36:37], 0
.LBB1731_363:                           ;   Parent Loop BB1731_360 Depth=1
                                        ; =>  This Inner Loop Header: Depth=2
	global_load_dwordx2 v[36:37], v[40:41], off sc1
	s_waitcnt vmcnt(0)
	v_cmp_ne_u16_sdwa s[40:41], v37, v35 src0_sel:BYTE_0 src1_sel:DWORD
	s_or_b64 s[36:37], s[40:41], s[36:37]
	s_andn2_b64 exec, exec, s[36:37]
	s_cbranch_execnz .LBB1731_363
; %bb.364:                              ;   in Loop: Header=BB1731_360 Depth=1
	s_or_b64 exec, exec, s[36:37]
	s_branch .LBB1731_359
.LBB1731_365:                           ;   in Loop: Header=BB1731_360 Depth=1
                                        ; implicit-def: $vgpr36
                                        ; implicit-def: $vgpr37
	s_cbranch_execz .LBB1731_360
; %bb.366:
	s_and_saveexec_b64 s[26:27], s[16:17]
	s_cbranch_execz .LBB1731_368
; %bb.367:
	s_add_i32 s36, s33, 64
	s_mov_b32 s37, 0
	s_lshl_b64 s[36:37], s[36:37], 3
	s_add_u32 s36, s38, s36
	v_add_u32_e32 v34, v60, v32
	v_mov_b32_e32 v35, 2
	s_addc_u32 s37, s39, s37
	v_mov_b32_e32 v33, 0
	s_movk_i32 s33, 0x7000
	global_store_dwordx2 v33, v[34:35], s[36:37] sc1
	v_add_u32_e64 v33, s33, 0
	ds_write2_b32 v33, v32, v60 offset1:2
.LBB1731_368:
	s_or_b64 exec, exec, s[26:27]
	s_and_b64 exec, exec, s[18:19]
	s_cbranch_execz .LBB1731_370
; %bb.369:
	v_mov_b32_e32 v32, 0
	ds_write_b32 v32, v60 offset:28
.LBB1731_370:
	s_or_b64 exec, exec, s[0:1]
	v_mov_b32_e32 v32, 0
	s_waitcnt lgkmcnt(0)
	s_barrier
	ds_read_b32 v32, v32 offset:28
	v_cndmask_b32_e64 v33, v44, v42, s[16:17]
	v_cndmask_b32_e64 v33, v33, 0, s[18:19]
	s_movk_i32 s0, 0x7000
	s_waitcnt lgkmcnt(0)
	v_add_u32_e32 v46, v32, v33
	v_add_u32_e64 v32, s0, 0
	v_add_u32_e32 v44, v46, v1
	s_barrier
	ds_read2_b32 v[32:33], v32 offset1:2
	v_add_u32_e32 v42, v44, v43
	v_add_u32_e32 v40, v42, v45
	;; [unrolled: 1-line block ×5, first 2 shown]
	s_waitcnt lgkmcnt(0)
	v_readfirstlane_b32 s26, v32
	v_readfirstlane_b32 s16, v33
	v_lshrrev_b64 v[32:33], 24, v[30:31]
	s_branch .LBB1731_381
.LBB1731_371:
                                        ; implicit-def: $vgpr34
                                        ; implicit-def: $vgpr36
                                        ; implicit-def: $vgpr38
                                        ; implicit-def: $vgpr40
                                        ; implicit-def: $vgpr42
                                        ; implicit-def: $vgpr44
                                        ; implicit-def: $vgpr46
                                        ; implicit-def: $sgpr16
                                        ; implicit-def: $sgpr26
	v_lshrrev_b64 v[32:33], 24, v[30:31]
	s_cbranch_execz .LBB1731_381
; %bb.372:
	s_nop 0
	v_mov_b32_dpp v33, v52 row_shr:1 row_mask:0xf bank_mask:0xf
	v_cndmask_b32_e64 v33, v33, 0, s[14:15]
	v_add_u32_e32 v33, v33, v52
	s_nop 1
	v_mov_b32_dpp v34, v33 row_shr:2 row_mask:0xf bank_mask:0xf
	v_cndmask_b32_e64 v34, 0, v34, s[12:13]
	v_add_u32_e32 v33, v33, v34
	;; [unrolled: 4-line block ×4, first 2 shown]
	s_nop 1
	v_mov_b32_dpp v34, v33 row_bcast:15 row_mask:0xf bank_mask:0xf
	v_cndmask_b32_e64 v34, v34, 0, s[6:7]
	v_add_u32_e32 v33, v33, v34
	s_nop 1
	v_mov_b32_dpp v34, v33 row_bcast:31 row_mask:0xf bank_mask:0xf
	v_cndmask_b32_e64 v34, 0, v34, s[2:3]
	v_add_u32_e32 v33, v33, v34
	s_and_saveexec_b64 s[0:1], s[4:5]
	s_cbranch_execz .LBB1731_374
; %bb.373:
	v_lshlrev_b32_e32 v34, 2, v51
	ds_write_b32 v34, v33
.LBB1731_374:
	s_or_b64 exec, exec, s[0:1]
	v_cmp_gt_u32_e32 vcc, 8, v0
	s_waitcnt lgkmcnt(0)
	s_barrier
	s_and_saveexec_b64 s[0:1], vcc
	s_cbranch_execz .LBB1731_376
; %bb.375:
	v_lshlrev_b32_e32 v34, 2, v0
	ds_read_b32 v35, v34
	v_and_b32_e32 v36, 7, v50
	v_cmp_ne_u32_e32 vcc, 0, v36
	s_waitcnt lgkmcnt(0)
	v_mov_b32_dpp v37, v35 row_shr:1 row_mask:0xf bank_mask:0xf
	v_cndmask_b32_e32 v37, 0, v37, vcc
	v_add_u32_e32 v35, v37, v35
	v_cmp_lt_u32_e32 vcc, 1, v36
	s_nop 0
	v_mov_b32_dpp v37, v35 row_shr:2 row_mask:0xf bank_mask:0xf
	v_cndmask_b32_e32 v37, 0, v37, vcc
	v_add_u32_e32 v35, v35, v37
	v_cmp_lt_u32_e32 vcc, 3, v36
	s_nop 0
	v_mov_b32_dpp v37, v35 row_shr:4 row_mask:0xf bank_mask:0xf
	v_cndmask_b32_e32 v36, 0, v37, vcc
	v_add_u32_e32 v35, v35, v36
	ds_write_b32 v34, v35
.LBB1731_376:
	s_or_b64 exec, exec, s[0:1]
	v_cmp_lt_u32_e32 vcc, 63, v0
	v_mov_b32_e32 v35, 0
	v_mov_b32_e32 v34, 0
	s_waitcnt lgkmcnt(0)
	s_barrier
	s_and_saveexec_b64 s[0:1], vcc
	s_cbranch_execz .LBB1731_378
; %bb.377:
	v_lshl_add_u32 v34, v51, 2, -4
	ds_read_b32 v34, v34
.LBB1731_378:
	s_or_b64 exec, exec, s[0:1]
	v_add_u32_e32 v36, -1, v50
	v_and_b32_e32 v37, 64, v50
	v_cmp_lt_i32_e32 vcc, v36, v37
	s_waitcnt lgkmcnt(0)
	v_add_u32_e32 v33, v34, v33
	ds_read_b32 v35, v35 offset:28
	v_cndmask_b32_e32 v36, v36, v50, vcc
	v_lshlrev_b32_e32 v36, 2, v36
	ds_bpermute_b32 v33, v36, v33
	s_waitcnt lgkmcnt(1)
	v_readfirstlane_b32 s26, v35
	s_and_saveexec_b64 s[0:1], s[18:19]
	s_cbranch_execz .LBB1731_380
; %bb.379:
	v_mov_b32_e32 v35, 0
	v_mov_b32_e32 v36, s26
	;; [unrolled: 1-line block ×3, first 2 shown]
	global_store_dwordx2 v35, v[36:37], s[38:39] offset:512 sc1
.LBB1731_380:
	s_or_b64 exec, exec, s[0:1]
	v_cmp_eq_u32_e32 vcc, 0, v50
	s_mov_b32 s16, 0
	s_waitcnt lgkmcnt(0)
	v_cndmask_b32_e32 v33, v33, v34, vcc
	v_cndmask_b32_e64 v46, v33, 0, s[18:19]
	v_add_u32_e32 v44, v46, v1
	v_add_u32_e32 v42, v44, v43
	;; [unrolled: 1-line block ×6, first 2 shown]
	s_barrier
.LBB1731_381:
	s_cmpk_lt_u32 s26, 0x201
	s_cselect_b64 s[2:3], -1, 0
	v_lshrrev_b32_e32 v33, 8, v30
	v_lshrrev_b32_e32 v1, 8, v31
	s_mov_b64 s[0:1], -1
	s_and_b64 vcc, exec, s[2:3]
	s_cbranch_vccz .LBB1731_404
; %bb.382:
	s_add_i32 s4, s16, s26
	v_cmp_gt_u32_e32 vcc, s4, v46
	s_or_b64 s[6:7], s[34:35], vcc
	s_and_saveexec_b64 s[0:1], s[6:7]
	s_cbranch_execz .LBB1731_385
; %bb.383:
	v_and_b32_e32 v35, 1, v30
	v_cmp_eq_u32_e32 vcc, 1, v35
	s_and_b64 exec, exec, vcc
	s_cbranch_execz .LBB1731_385
; %bb.384:
	s_lshl_b64 s[6:7], s[22:23], 3
	s_add_u32 s6, s28, s6
	s_addc_u32 s7, s29, s7
	v_mov_b32_e32 v47, 0
	v_lshl_add_u64 v[48:49], v[46:47], 3, s[6:7]
	global_store_dwordx2 v[48:49], v[22:23], off
.LBB1731_385:
	s_or_b64 exec, exec, s[0:1]
	v_cmp_gt_u32_e32 vcc, s4, v44
	s_or_b64 s[6:7], s[34:35], vcc
	s_and_saveexec_b64 s[0:1], s[6:7]
	s_cbranch_execz .LBB1731_388
; %bb.386:
	v_and_b32_e32 v35, 1, v33
	v_cmp_eq_u32_e32 vcc, 1, v35
	s_and_b64 exec, exec, vcc
	s_cbranch_execz .LBB1731_388
; %bb.387:
	s_lshl_b64 s[6:7], s[22:23], 3
	s_add_u32 s6, s28, s6
	s_addc_u32 s7, s29, s7
	v_mov_b32_e32 v45, 0
	v_lshl_add_u64 v[48:49], v[44:45], 3, s[6:7]
	global_store_dwordx2 v[48:49], v[24:25], off
.LBB1731_388:
	s_or_b64 exec, exec, s[0:1]
	v_cmp_gt_u32_e32 vcc, s4, v42
	s_or_b64 s[6:7], s[34:35], vcc
	s_and_saveexec_b64 s[0:1], s[6:7]
	s_cbranch_execz .LBB1731_391
; %bb.389:
	v_mov_b32_e32 v35, 1
	v_and_b32_sdwa v35, v35, v30 dst_sel:DWORD dst_unused:UNUSED_PAD src0_sel:DWORD src1_sel:WORD_1
	v_cmp_eq_u32_e32 vcc, 1, v35
	s_and_b64 exec, exec, vcc
	s_cbranch_execz .LBB1731_391
; %bb.390:
	s_lshl_b64 s[6:7], s[22:23], 3
	s_add_u32 s6, s28, s6
	s_addc_u32 s7, s29, s7
	v_mov_b32_e32 v43, 0
	v_lshl_add_u64 v[48:49], v[42:43], 3, s[6:7]
	global_store_dwordx2 v[48:49], v[18:19], off
.LBB1731_391:
	s_or_b64 exec, exec, s[0:1]
	v_cmp_gt_u32_e32 vcc, s4, v40
	s_or_b64 s[6:7], s[34:35], vcc
	s_and_saveexec_b64 s[0:1], s[6:7]
	s_cbranch_execz .LBB1731_394
; %bb.392:
	v_and_b32_e32 v35, 1, v32
	v_cmp_eq_u32_e32 vcc, 1, v35
	s_and_b64 exec, exec, vcc
	s_cbranch_execz .LBB1731_394
; %bb.393:
	s_lshl_b64 s[6:7], s[22:23], 3
	s_add_u32 s6, s28, s6
	s_addc_u32 s7, s29, s7
	v_mov_b32_e32 v41, 0
	v_lshl_add_u64 v[48:49], v[40:41], 3, s[6:7]
	global_store_dwordx2 v[48:49], v[20:21], off
.LBB1731_394:
	s_or_b64 exec, exec, s[0:1]
	v_cmp_gt_u32_e32 vcc, s4, v38
	s_or_b64 s[6:7], s[34:35], vcc
	s_and_saveexec_b64 s[0:1], s[6:7]
	s_cbranch_execz .LBB1731_397
; %bb.395:
	v_and_b32_e32 v35, 1, v31
	v_cmp_eq_u32_e32 vcc, 1, v35
	s_and_b64 exec, exec, vcc
	s_cbranch_execz .LBB1731_397
; %bb.396:
	s_lshl_b64 s[6:7], s[22:23], 3
	s_add_u32 s6, s28, s6
	s_addc_u32 s7, s29, s7
	v_mov_b32_e32 v39, 0
	v_lshl_add_u64 v[48:49], v[38:39], 3, s[6:7]
	global_store_dwordx2 v[48:49], v[14:15], off
.LBB1731_397:
	;; [unrolled: 18-line block ×3, first 2 shown]
	s_or_b64 exec, exec, s[0:1]
	v_cmp_gt_u32_e32 vcc, s4, v34
	s_or_b64 s[4:5], s[34:35], vcc
	s_and_saveexec_b64 s[0:1], s[4:5]
	s_cbranch_execz .LBB1731_403
; %bb.401:
	v_mov_b32_e32 v35, 1
	v_and_b32_sdwa v35, v35, v31 dst_sel:DWORD dst_unused:UNUSED_PAD src0_sel:DWORD src1_sel:WORD_1
	v_cmp_eq_u32_e32 vcc, 1, v35
	s_and_b64 exec, exec, vcc
	s_cbranch_execz .LBB1731_403
; %bb.402:
	s_lshl_b64 s[4:5], s[22:23], 3
	s_add_u32 s4, s28, s4
	s_addc_u32 s5, s29, s5
	v_mov_b32_e32 v35, 0
	v_lshl_add_u64 v[48:49], v[34:35], 3, s[4:5]
	global_store_dwordx2 v[48:49], v[28:29], off
.LBB1731_403:
	s_or_b64 exec, exec, s[0:1]
	s_mov_b64 s[0:1], 0
.LBB1731_404:
	v_and_b32_e32 v48, 1, v30
	s_and_b64 vcc, exec, s[0:1]
	v_cmp_eq_u32_e64 s[0:1], 1, v48
	s_cbranch_vccz .LBB1731_423
; %bb.405:
	s_and_saveexec_b64 s[4:5], s[0:1]
	s_cbranch_execz .LBB1731_407
; %bb.406:
	v_subrev_u32_e32 v35, s16, v46
	v_lshlrev_b32_e32 v35, 3, v35
	ds_write_b64 v35, v[22:23]
.LBB1731_407:
	s_or_b64 exec, exec, s[4:5]
	v_and_b32_e32 v22, 1, v33
	v_cmp_eq_u32_e32 vcc, 1, v22
	s_and_saveexec_b64 s[0:1], vcc
	s_cbranch_execz .LBB1731_409
; %bb.408:
	v_subrev_u32_e32 v22, s16, v44
	v_lshlrev_b32_e32 v22, 3, v22
	ds_write_b64 v22, v[24:25]
.LBB1731_409:
	s_or_b64 exec, exec, s[0:1]
	v_mov_b32_e32 v22, 1
	v_and_b32_sdwa v22, v22, v30 dst_sel:DWORD dst_unused:UNUSED_PAD src0_sel:DWORD src1_sel:WORD_1
	v_cmp_eq_u32_e32 vcc, 1, v22
	s_and_saveexec_b64 s[0:1], vcc
	s_cbranch_execz .LBB1731_411
; %bb.410:
	v_subrev_u32_e32 v22, s16, v42
	v_lshlrev_b32_e32 v22, 3, v22
	ds_write_b64 v22, v[18:19]
.LBB1731_411:
	s_or_b64 exec, exec, s[0:1]
	v_and_b32_e32 v18, 1, v32
	v_cmp_eq_u32_e32 vcc, 1, v18
	s_and_saveexec_b64 s[0:1], vcc
	s_cbranch_execz .LBB1731_413
; %bb.412:
	v_subrev_u32_e32 v18, s16, v40
	v_lshlrev_b32_e32 v18, 3, v18
	ds_write_b64 v18, v[20:21]
.LBB1731_413:
	s_or_b64 exec, exec, s[0:1]
	v_and_b32_e32 v18, 1, v31
	;; [unrolled: 10-line block ×3, first 2 shown]
	v_cmp_eq_u32_e32 vcc, 1, v14
	s_and_saveexec_b64 s[0:1], vcc
	s_cbranch_execz .LBB1731_417
; %bb.416:
	v_subrev_u32_e32 v14, s16, v36
	v_lshlrev_b32_e32 v14, 3, v14
	ds_write_b64 v14, v[16:17]
.LBB1731_417:
	s_or_b64 exec, exec, s[0:1]
	v_mov_b32_e32 v14, 1
	v_and_b32_sdwa v14, v14, v31 dst_sel:DWORD dst_unused:UNUSED_PAD src0_sel:DWORD src1_sel:WORD_1
	v_cmp_eq_u32_e32 vcc, 1, v14
	s_and_saveexec_b64 s[0:1], vcc
	s_cbranch_execz .LBB1731_419
; %bb.418:
	v_subrev_u32_e32 v14, s16, v34
	v_lshlrev_b32_e32 v14, 3, v14
	ds_write_b64 v14, v[28:29]
.LBB1731_419:
	s_or_b64 exec, exec, s[0:1]
	v_cmp_gt_u32_e32 vcc, s26, v0
	s_waitcnt lgkmcnt(0)
	s_barrier
	s_and_saveexec_b64 s[0:1], vcc
	s_cbranch_execz .LBB1731_422
; %bb.420:
	s_mov_b32 s17, 0
	s_lshl_b64 s[4:5], s[22:23], 3
	s_lshl_b64 s[6:7], s[16:17], 3
	s_add_u32 s4, s4, s6
	s_addc_u32 s5, s5, s7
	s_add_u32 s4, s28, s4
	v_lshlrev_b32_e32 v14, 3, v0
	v_mov_b32_e32 v15, 0
	s_addc_u32 s5, s29, s5
	v_lshl_add_u64 v[16:17], s[4:5], 0, v[14:15]
	s_mov_b64 s[4:5], 0
	s_mov_b64 s[6:7], 0x1000
	v_mov_b32_e32 v15, v0
.LBB1731_421:                           ; =>This Inner Loop Header: Depth=1
	ds_read_b64 v[18:19], v14
	v_add_u32_e32 v15, 0x200, v15
	v_cmp_le_u32_e32 vcc, s26, v15
	v_add_u32_e32 v14, 0x1000, v14
	s_or_b64 s[4:5], vcc, s[4:5]
	s_waitcnt lgkmcnt(0)
	global_store_dwordx2 v[16:17], v[18:19], off
	v_lshl_add_u64 v[16:17], v[16:17], 0, s[6:7]
	s_andn2_b64 exec, exec, s[4:5]
	s_cbranch_execnz .LBB1731_421
.LBB1731_422:
	s_or_b64 exec, exec, s[0:1]
.LBB1731_423:
	s_mov_b64 s[0:1], -1
	s_and_b64 vcc, exec, s[2:3]
	s_barrier
	s_cbranch_vccnz .LBB1731_427
; %bb.424:
	s_and_b64 vcc, exec, s[0:1]
	s_cbranch_vccnz .LBB1731_449
.LBB1731_425:
	s_and_b64 s[0:1], s[18:19], s[24:25]
	s_and_saveexec_b64 s[2:3], s[0:1]
	s_cbranch_execnz .LBB1731_467
.LBB1731_426:
	s_endpgm
.LBB1731_427:
	s_add_i32 s2, s16, s26
	v_cmp_gt_u32_e32 vcc, s2, v46
	s_or_b64 s[4:5], s[34:35], vcc
	s_and_saveexec_b64 s[0:1], s[4:5]
	s_cbranch_execz .LBB1731_430
; %bb.428:
	v_cmp_eq_u32_e32 vcc, 1, v48
	s_and_b64 exec, exec, vcc
	s_cbranch_execz .LBB1731_430
; %bb.429:
	s_lshl_b64 s[4:5], s[22:23], 3
	s_add_u32 s4, s30, s4
	s_addc_u32 s5, s31, s5
	v_mov_b32_e32 v47, 0
	v_lshl_add_u64 v[14:15], v[46:47], 3, s[4:5]
	global_store_dwordx2 v[14:15], v[10:11], off
.LBB1731_430:
	s_or_b64 exec, exec, s[0:1]
	v_cmp_gt_u32_e32 vcc, s2, v44
	s_or_b64 s[4:5], s[34:35], vcc
	s_and_saveexec_b64 s[0:1], s[4:5]
	s_cbranch_execz .LBB1731_433
; %bb.431:
	v_and_b32_e32 v14, 1, v33
	v_cmp_eq_u32_e32 vcc, 1, v14
	s_and_b64 exec, exec, vcc
	s_cbranch_execz .LBB1731_433
; %bb.432:
	s_lshl_b64 s[4:5], s[22:23], 3
	s_add_u32 s4, s30, s4
	s_addc_u32 s5, s31, s5
	v_mov_b32_e32 v45, 0
	v_lshl_add_u64 v[14:15], v[44:45], 3, s[4:5]
	global_store_dwordx2 v[14:15], v[12:13], off
.LBB1731_433:
	s_or_b64 exec, exec, s[0:1]
	v_cmp_gt_u32_e32 vcc, s2, v42
	s_or_b64 s[4:5], s[34:35], vcc
	s_and_saveexec_b64 s[0:1], s[4:5]
	s_cbranch_execz .LBB1731_436
; %bb.434:
	v_mov_b32_e32 v14, 1
	v_and_b32_sdwa v14, v14, v30 dst_sel:DWORD dst_unused:UNUSED_PAD src0_sel:DWORD src1_sel:WORD_1
	v_cmp_eq_u32_e32 vcc, 1, v14
	s_and_b64 exec, exec, vcc
	s_cbranch_execz .LBB1731_436
; %bb.435:
	s_lshl_b64 s[4:5], s[22:23], 3
	s_add_u32 s4, s30, s4
	s_addc_u32 s5, s31, s5
	v_mov_b32_e32 v43, 0
	v_lshl_add_u64 v[14:15], v[42:43], 3, s[4:5]
	global_store_dwordx2 v[14:15], v[6:7], off
.LBB1731_436:
	s_or_b64 exec, exec, s[0:1]
	v_cmp_gt_u32_e32 vcc, s2, v40
	s_or_b64 s[4:5], s[34:35], vcc
	s_and_saveexec_b64 s[0:1], s[4:5]
	s_cbranch_execz .LBB1731_439
; %bb.437:
	v_and_b32_e32 v14, 1, v32
	v_cmp_eq_u32_e32 vcc, 1, v14
	s_and_b64 exec, exec, vcc
	s_cbranch_execz .LBB1731_439
; %bb.438:
	s_lshl_b64 s[4:5], s[22:23], 3
	s_add_u32 s4, s30, s4
	s_addc_u32 s5, s31, s5
	v_mov_b32_e32 v41, 0
	v_lshl_add_u64 v[14:15], v[40:41], 3, s[4:5]
	global_store_dwordx2 v[14:15], v[8:9], off
.LBB1731_439:
	s_or_b64 exec, exec, s[0:1]
	v_cmp_gt_u32_e32 vcc, s2, v38
	s_or_b64 s[4:5], s[34:35], vcc
	s_and_saveexec_b64 s[0:1], s[4:5]
	s_cbranch_execz .LBB1731_442
; %bb.440:
	v_and_b32_e32 v14, 1, v31
	v_cmp_eq_u32_e32 vcc, 1, v14
	s_and_b64 exec, exec, vcc
	s_cbranch_execz .LBB1731_442
; %bb.441:
	s_lshl_b64 s[4:5], s[22:23], 3
	s_add_u32 s4, s30, s4
	s_addc_u32 s5, s31, s5
	v_mov_b32_e32 v39, 0
	v_lshl_add_u64 v[14:15], v[38:39], 3, s[4:5]
	global_store_dwordx2 v[14:15], v[2:3], off
.LBB1731_442:
	;; [unrolled: 18-line block ×3, first 2 shown]
	s_or_b64 exec, exec, s[0:1]
	v_cmp_gt_u32_e32 vcc, s2, v34
	s_or_b64 s[2:3], s[34:35], vcc
	s_and_saveexec_b64 s[0:1], s[2:3]
	s_cbranch_execz .LBB1731_448
; %bb.446:
	v_mov_b32_e32 v14, 1
	v_and_b32_sdwa v14, v14, v31 dst_sel:DWORD dst_unused:UNUSED_PAD src0_sel:DWORD src1_sel:WORD_1
	v_cmp_eq_u32_e32 vcc, 1, v14
	s_and_b64 exec, exec, vcc
	s_cbranch_execz .LBB1731_448
; %bb.447:
	s_lshl_b64 s[2:3], s[22:23], 3
	s_add_u32 s2, s30, s2
	s_addc_u32 s3, s31, s3
	v_mov_b32_e32 v35, 0
	v_lshl_add_u64 v[14:15], v[34:35], 3, s[2:3]
	global_store_dwordx2 v[14:15], v[26:27], off
.LBB1731_448:
	s_or_b64 exec, exec, s[0:1]
	s_branch .LBB1731_425
.LBB1731_449:
	v_cmp_eq_u32_e32 vcc, 1, v48
	s_and_saveexec_b64 s[0:1], vcc
	s_cbranch_execz .LBB1731_451
; %bb.450:
	v_subrev_u32_e32 v14, s16, v46
	v_lshlrev_b32_e32 v14, 3, v14
	ds_write_b64 v14, v[10:11]
.LBB1731_451:
	s_or_b64 exec, exec, s[0:1]
	v_and_b32_e32 v10, 1, v33
	v_cmp_eq_u32_e32 vcc, 1, v10
	s_and_saveexec_b64 s[0:1], vcc
	s_cbranch_execz .LBB1731_453
; %bb.452:
	v_subrev_u32_e32 v10, s16, v44
	v_lshlrev_b32_e32 v10, 3, v10
	ds_write_b64 v10, v[12:13]
.LBB1731_453:
	s_or_b64 exec, exec, s[0:1]
	v_mov_b32_e32 v10, 1
	v_and_b32_sdwa v10, v10, v30 dst_sel:DWORD dst_unused:UNUSED_PAD src0_sel:DWORD src1_sel:WORD_1
	v_cmp_eq_u32_e32 vcc, 1, v10
	s_and_saveexec_b64 s[0:1], vcc
	s_cbranch_execz .LBB1731_455
; %bb.454:
	v_subrev_u32_e32 v10, s16, v42
	v_lshlrev_b32_e32 v10, 3, v10
	ds_write_b64 v10, v[6:7]
.LBB1731_455:
	s_or_b64 exec, exec, s[0:1]
	v_and_b32_e32 v6, 1, v32
	v_cmp_eq_u32_e32 vcc, 1, v6
	s_and_saveexec_b64 s[0:1], vcc
	s_cbranch_execz .LBB1731_457
; %bb.456:
	v_subrev_u32_e32 v6, s16, v40
	v_lshlrev_b32_e32 v6, 3, v6
	ds_write_b64 v6, v[8:9]
.LBB1731_457:
	s_or_b64 exec, exec, s[0:1]
	v_and_b32_e32 v6, 1, v31
	;; [unrolled: 10-line block ×3, first 2 shown]
	v_cmp_eq_u32_e32 vcc, 1, v1
	s_and_saveexec_b64 s[0:1], vcc
	s_cbranch_execz .LBB1731_461
; %bb.460:
	v_subrev_u32_e32 v1, s16, v36
	v_lshlrev_b32_e32 v1, 3, v1
	ds_write_b64 v1, v[4:5]
.LBB1731_461:
	s_or_b64 exec, exec, s[0:1]
	v_mov_b32_e32 v1, 1
	v_and_b32_sdwa v1, v1, v31 dst_sel:DWORD dst_unused:UNUSED_PAD src0_sel:DWORD src1_sel:WORD_1
	v_cmp_eq_u32_e32 vcc, 1, v1
	s_and_saveexec_b64 s[0:1], vcc
	s_cbranch_execz .LBB1731_463
; %bb.462:
	v_subrev_u32_e32 v1, s16, v34
	v_lshlrev_b32_e32 v1, 3, v1
	ds_write_b64 v1, v[26:27]
.LBB1731_463:
	s_or_b64 exec, exec, s[0:1]
	v_cmp_gt_u32_e32 vcc, s26, v0
	s_waitcnt lgkmcnt(0)
	s_barrier
	s_and_saveexec_b64 s[0:1], vcc
	s_cbranch_execz .LBB1731_466
; %bb.464:
	s_mov_b32 s17, 0
	s_lshl_b64 s[2:3], s[22:23], 3
	s_lshl_b64 s[4:5], s[16:17], 3
	s_add_u32 s2, s2, s4
	s_addc_u32 s3, s3, s5
	s_add_u32 s2, s30, s2
	v_lshlrev_b32_e32 v2, 3, v0
	v_mov_b32_e32 v3, 0
	s_addc_u32 s3, s31, s3
	v_lshl_add_u64 v[4:5], s[2:3], 0, v[2:3]
	s_mov_b64 s[2:3], 0
	s_mov_b64 s[4:5], 0x1000
.LBB1731_465:                           ; =>This Inner Loop Header: Depth=1
	ds_read_b64 v[6:7], v2
	v_add_u32_e32 v0, 0x200, v0
	v_cmp_le_u32_e32 vcc, s26, v0
	v_add_u32_e32 v2, 0x1000, v2
	s_or_b64 s[2:3], vcc, s[2:3]
	s_waitcnt lgkmcnt(0)
	global_store_dwordx2 v[4:5], v[6:7], off
	v_lshl_add_u64 v[4:5], v[4:5], 0, s[4:5]
	s_andn2_b64 exec, exec, s[2:3]
	s_cbranch_execnz .LBB1731_465
.LBB1731_466:
	s_or_b64 exec, exec, s[0:1]
	s_and_b64 s[0:1], s[18:19], s[24:25]
	s_and_saveexec_b64 s[2:3], s[0:1]
	s_cbranch_execz .LBB1731_426
.LBB1731_467:
	s_add_u32 s0, s22, s26
	s_addc_u32 s1, s23, 0
	s_add_u32 s0, s0, s16
	s_addc_u32 s1, s1, 0
	v_mov_b32_e32 v2, 0
	v_mov_b64_e32 v[0:1], s[0:1]
	global_store_dwordx2 v2, v[0:1], s[20:21]
	s_endpgm
	.section	.rodata,"a",@progbits
	.p2align	6, 0x0
	.amdhsa_kernel _ZN7rocprim17ROCPRIM_400000_NS6detail17trampoline_kernelINS0_14default_configENS1_25partition_config_selectorILNS1_17partition_subalgoE9EllbEEZZNS1_14partition_implILS5_9ELb0ES3_jPlS8_PNS0_10empty_typeENS0_5tupleIJS8_S9_EEENSB_IJS8_SA_EEENS0_18inequality_wrapperIZN2at6native12_GLOBAL__N_124unique_dim_cuda_templateImEESt5tupleIJNSF_6TensorESK_SK_EERKSK_lbbbEUlllE0_EEPmJS9_EEE10hipError_tPvRmT3_T4_T5_T6_T7_T9_mT8_P12ihipStream_tbDpT10_ENKUlT_T0_E_clISt17integral_constantIbLb0EES19_IbLb1EEEEDaS15_S16_EUlS15_E_NS1_11comp_targetILNS1_3genE5ELNS1_11target_archE942ELNS1_3gpuE9ELNS1_3repE0EEENS1_30default_config_static_selectorELNS0_4arch9wavefront6targetE1EEEvT1_
		.amdhsa_group_segment_fixed_size 28684
		.amdhsa_private_segment_fixed_size 0
		.amdhsa_kernarg_size 136
		.amdhsa_user_sgpr_count 2
		.amdhsa_user_sgpr_dispatch_ptr 0
		.amdhsa_user_sgpr_queue_ptr 0
		.amdhsa_user_sgpr_kernarg_segment_ptr 1
		.amdhsa_user_sgpr_dispatch_id 0
		.amdhsa_user_sgpr_kernarg_preload_length 0
		.amdhsa_user_sgpr_kernarg_preload_offset 0
		.amdhsa_user_sgpr_private_segment_size 0
		.amdhsa_uses_dynamic_stack 0
		.amdhsa_enable_private_segment 0
		.amdhsa_system_sgpr_workgroup_id_x 1
		.amdhsa_system_sgpr_workgroup_id_y 0
		.amdhsa_system_sgpr_workgroup_id_z 0
		.amdhsa_system_sgpr_workgroup_info 0
		.amdhsa_system_vgpr_workitem_id 0
		.amdhsa_next_free_vgpr 66
		.amdhsa_next_free_sgpr 58
		.amdhsa_accum_offset 68
		.amdhsa_reserve_vcc 1
		.amdhsa_float_round_mode_32 0
		.amdhsa_float_round_mode_16_64 0
		.amdhsa_float_denorm_mode_32 3
		.amdhsa_float_denorm_mode_16_64 3
		.amdhsa_dx10_clamp 1
		.amdhsa_ieee_mode 1
		.amdhsa_fp16_overflow 0
		.amdhsa_tg_split 0
		.amdhsa_exception_fp_ieee_invalid_op 0
		.amdhsa_exception_fp_denorm_src 0
		.amdhsa_exception_fp_ieee_div_zero 0
		.amdhsa_exception_fp_ieee_overflow 0
		.amdhsa_exception_fp_ieee_underflow 0
		.amdhsa_exception_fp_ieee_inexact 0
		.amdhsa_exception_int_div_zero 0
	.end_amdhsa_kernel
	.section	.text._ZN7rocprim17ROCPRIM_400000_NS6detail17trampoline_kernelINS0_14default_configENS1_25partition_config_selectorILNS1_17partition_subalgoE9EllbEEZZNS1_14partition_implILS5_9ELb0ES3_jPlS8_PNS0_10empty_typeENS0_5tupleIJS8_S9_EEENSB_IJS8_SA_EEENS0_18inequality_wrapperIZN2at6native12_GLOBAL__N_124unique_dim_cuda_templateImEESt5tupleIJNSF_6TensorESK_SK_EERKSK_lbbbEUlllE0_EEPmJS9_EEE10hipError_tPvRmT3_T4_T5_T6_T7_T9_mT8_P12ihipStream_tbDpT10_ENKUlT_T0_E_clISt17integral_constantIbLb0EES19_IbLb1EEEEDaS15_S16_EUlS15_E_NS1_11comp_targetILNS1_3genE5ELNS1_11target_archE942ELNS1_3gpuE9ELNS1_3repE0EEENS1_30default_config_static_selectorELNS0_4arch9wavefront6targetE1EEEvT1_,"axG",@progbits,_ZN7rocprim17ROCPRIM_400000_NS6detail17trampoline_kernelINS0_14default_configENS1_25partition_config_selectorILNS1_17partition_subalgoE9EllbEEZZNS1_14partition_implILS5_9ELb0ES3_jPlS8_PNS0_10empty_typeENS0_5tupleIJS8_S9_EEENSB_IJS8_SA_EEENS0_18inequality_wrapperIZN2at6native12_GLOBAL__N_124unique_dim_cuda_templateImEESt5tupleIJNSF_6TensorESK_SK_EERKSK_lbbbEUlllE0_EEPmJS9_EEE10hipError_tPvRmT3_T4_T5_T6_T7_T9_mT8_P12ihipStream_tbDpT10_ENKUlT_T0_E_clISt17integral_constantIbLb0EES19_IbLb1EEEEDaS15_S16_EUlS15_E_NS1_11comp_targetILNS1_3genE5ELNS1_11target_archE942ELNS1_3gpuE9ELNS1_3repE0EEENS1_30default_config_static_selectorELNS0_4arch9wavefront6targetE1EEEvT1_,comdat
.Lfunc_end1731:
	.size	_ZN7rocprim17ROCPRIM_400000_NS6detail17trampoline_kernelINS0_14default_configENS1_25partition_config_selectorILNS1_17partition_subalgoE9EllbEEZZNS1_14partition_implILS5_9ELb0ES3_jPlS8_PNS0_10empty_typeENS0_5tupleIJS8_S9_EEENSB_IJS8_SA_EEENS0_18inequality_wrapperIZN2at6native12_GLOBAL__N_124unique_dim_cuda_templateImEESt5tupleIJNSF_6TensorESK_SK_EERKSK_lbbbEUlllE0_EEPmJS9_EEE10hipError_tPvRmT3_T4_T5_T6_T7_T9_mT8_P12ihipStream_tbDpT10_ENKUlT_T0_E_clISt17integral_constantIbLb0EES19_IbLb1EEEEDaS15_S16_EUlS15_E_NS1_11comp_targetILNS1_3genE5ELNS1_11target_archE942ELNS1_3gpuE9ELNS1_3repE0EEENS1_30default_config_static_selectorELNS0_4arch9wavefront6targetE1EEEvT1_, .Lfunc_end1731-_ZN7rocprim17ROCPRIM_400000_NS6detail17trampoline_kernelINS0_14default_configENS1_25partition_config_selectorILNS1_17partition_subalgoE9EllbEEZZNS1_14partition_implILS5_9ELb0ES3_jPlS8_PNS0_10empty_typeENS0_5tupleIJS8_S9_EEENSB_IJS8_SA_EEENS0_18inequality_wrapperIZN2at6native12_GLOBAL__N_124unique_dim_cuda_templateImEESt5tupleIJNSF_6TensorESK_SK_EERKSK_lbbbEUlllE0_EEPmJS9_EEE10hipError_tPvRmT3_T4_T5_T6_T7_T9_mT8_P12ihipStream_tbDpT10_ENKUlT_T0_E_clISt17integral_constantIbLb0EES19_IbLb1EEEEDaS15_S16_EUlS15_E_NS1_11comp_targetILNS1_3genE5ELNS1_11target_archE942ELNS1_3gpuE9ELNS1_3repE0EEENS1_30default_config_static_selectorELNS0_4arch9wavefront6targetE1EEEvT1_
                                        ; -- End function
	.section	.AMDGPU.csdata,"",@progbits
; Kernel info:
; codeLenInByte = 14484
; NumSgprs: 64
; NumVgprs: 66
; NumAgprs: 0
; TotalNumVgprs: 66
; ScratchSize: 0
; MemoryBound: 1
; FloatMode: 240
; IeeeMode: 1
; LDSByteSize: 28684 bytes/workgroup (compile time only)
; SGPRBlocks: 7
; VGPRBlocks: 8
; NumSGPRsForWavesPerEU: 64
; NumVGPRsForWavesPerEU: 66
; AccumOffset: 68
; Occupancy: 4
; WaveLimiterHint : 1
; COMPUTE_PGM_RSRC2:SCRATCH_EN: 0
; COMPUTE_PGM_RSRC2:USER_SGPR: 2
; COMPUTE_PGM_RSRC2:TRAP_HANDLER: 0
; COMPUTE_PGM_RSRC2:TGID_X_EN: 1
; COMPUTE_PGM_RSRC2:TGID_Y_EN: 0
; COMPUTE_PGM_RSRC2:TGID_Z_EN: 0
; COMPUTE_PGM_RSRC2:TIDIG_COMP_CNT: 0
; COMPUTE_PGM_RSRC3_GFX90A:ACCUM_OFFSET: 16
; COMPUTE_PGM_RSRC3_GFX90A:TG_SPLIT: 0
	.section	.text._ZN7rocprim17ROCPRIM_400000_NS6detail17trampoline_kernelINS0_14default_configENS1_25partition_config_selectorILNS1_17partition_subalgoE9EllbEEZZNS1_14partition_implILS5_9ELb0ES3_jPlS8_PNS0_10empty_typeENS0_5tupleIJS8_S9_EEENSB_IJS8_SA_EEENS0_18inequality_wrapperIZN2at6native12_GLOBAL__N_124unique_dim_cuda_templateImEESt5tupleIJNSF_6TensorESK_SK_EERKSK_lbbbEUlllE0_EEPmJS9_EEE10hipError_tPvRmT3_T4_T5_T6_T7_T9_mT8_P12ihipStream_tbDpT10_ENKUlT_T0_E_clISt17integral_constantIbLb0EES19_IbLb1EEEEDaS15_S16_EUlS15_E_NS1_11comp_targetILNS1_3genE4ELNS1_11target_archE910ELNS1_3gpuE8ELNS1_3repE0EEENS1_30default_config_static_selectorELNS0_4arch9wavefront6targetE1EEEvT1_,"axG",@progbits,_ZN7rocprim17ROCPRIM_400000_NS6detail17trampoline_kernelINS0_14default_configENS1_25partition_config_selectorILNS1_17partition_subalgoE9EllbEEZZNS1_14partition_implILS5_9ELb0ES3_jPlS8_PNS0_10empty_typeENS0_5tupleIJS8_S9_EEENSB_IJS8_SA_EEENS0_18inequality_wrapperIZN2at6native12_GLOBAL__N_124unique_dim_cuda_templateImEESt5tupleIJNSF_6TensorESK_SK_EERKSK_lbbbEUlllE0_EEPmJS9_EEE10hipError_tPvRmT3_T4_T5_T6_T7_T9_mT8_P12ihipStream_tbDpT10_ENKUlT_T0_E_clISt17integral_constantIbLb0EES19_IbLb1EEEEDaS15_S16_EUlS15_E_NS1_11comp_targetILNS1_3genE4ELNS1_11target_archE910ELNS1_3gpuE8ELNS1_3repE0EEENS1_30default_config_static_selectorELNS0_4arch9wavefront6targetE1EEEvT1_,comdat
	.globl	_ZN7rocprim17ROCPRIM_400000_NS6detail17trampoline_kernelINS0_14default_configENS1_25partition_config_selectorILNS1_17partition_subalgoE9EllbEEZZNS1_14partition_implILS5_9ELb0ES3_jPlS8_PNS0_10empty_typeENS0_5tupleIJS8_S9_EEENSB_IJS8_SA_EEENS0_18inequality_wrapperIZN2at6native12_GLOBAL__N_124unique_dim_cuda_templateImEESt5tupleIJNSF_6TensorESK_SK_EERKSK_lbbbEUlllE0_EEPmJS9_EEE10hipError_tPvRmT3_T4_T5_T6_T7_T9_mT8_P12ihipStream_tbDpT10_ENKUlT_T0_E_clISt17integral_constantIbLb0EES19_IbLb1EEEEDaS15_S16_EUlS15_E_NS1_11comp_targetILNS1_3genE4ELNS1_11target_archE910ELNS1_3gpuE8ELNS1_3repE0EEENS1_30default_config_static_selectorELNS0_4arch9wavefront6targetE1EEEvT1_ ; -- Begin function _ZN7rocprim17ROCPRIM_400000_NS6detail17trampoline_kernelINS0_14default_configENS1_25partition_config_selectorILNS1_17partition_subalgoE9EllbEEZZNS1_14partition_implILS5_9ELb0ES3_jPlS8_PNS0_10empty_typeENS0_5tupleIJS8_S9_EEENSB_IJS8_SA_EEENS0_18inequality_wrapperIZN2at6native12_GLOBAL__N_124unique_dim_cuda_templateImEESt5tupleIJNSF_6TensorESK_SK_EERKSK_lbbbEUlllE0_EEPmJS9_EEE10hipError_tPvRmT3_T4_T5_T6_T7_T9_mT8_P12ihipStream_tbDpT10_ENKUlT_T0_E_clISt17integral_constantIbLb0EES19_IbLb1EEEEDaS15_S16_EUlS15_E_NS1_11comp_targetILNS1_3genE4ELNS1_11target_archE910ELNS1_3gpuE8ELNS1_3repE0EEENS1_30default_config_static_selectorELNS0_4arch9wavefront6targetE1EEEvT1_
	.p2align	8
	.type	_ZN7rocprim17ROCPRIM_400000_NS6detail17trampoline_kernelINS0_14default_configENS1_25partition_config_selectorILNS1_17partition_subalgoE9EllbEEZZNS1_14partition_implILS5_9ELb0ES3_jPlS8_PNS0_10empty_typeENS0_5tupleIJS8_S9_EEENSB_IJS8_SA_EEENS0_18inequality_wrapperIZN2at6native12_GLOBAL__N_124unique_dim_cuda_templateImEESt5tupleIJNSF_6TensorESK_SK_EERKSK_lbbbEUlllE0_EEPmJS9_EEE10hipError_tPvRmT3_T4_T5_T6_T7_T9_mT8_P12ihipStream_tbDpT10_ENKUlT_T0_E_clISt17integral_constantIbLb0EES19_IbLb1EEEEDaS15_S16_EUlS15_E_NS1_11comp_targetILNS1_3genE4ELNS1_11target_archE910ELNS1_3gpuE8ELNS1_3repE0EEENS1_30default_config_static_selectorELNS0_4arch9wavefront6targetE1EEEvT1_,@function
_ZN7rocprim17ROCPRIM_400000_NS6detail17trampoline_kernelINS0_14default_configENS1_25partition_config_selectorILNS1_17partition_subalgoE9EllbEEZZNS1_14partition_implILS5_9ELb0ES3_jPlS8_PNS0_10empty_typeENS0_5tupleIJS8_S9_EEENSB_IJS8_SA_EEENS0_18inequality_wrapperIZN2at6native12_GLOBAL__N_124unique_dim_cuda_templateImEESt5tupleIJNSF_6TensorESK_SK_EERKSK_lbbbEUlllE0_EEPmJS9_EEE10hipError_tPvRmT3_T4_T5_T6_T7_T9_mT8_P12ihipStream_tbDpT10_ENKUlT_T0_E_clISt17integral_constantIbLb0EES19_IbLb1EEEEDaS15_S16_EUlS15_E_NS1_11comp_targetILNS1_3genE4ELNS1_11target_archE910ELNS1_3gpuE8ELNS1_3repE0EEENS1_30default_config_static_selectorELNS0_4arch9wavefront6targetE1EEEvT1_: ; @_ZN7rocprim17ROCPRIM_400000_NS6detail17trampoline_kernelINS0_14default_configENS1_25partition_config_selectorILNS1_17partition_subalgoE9EllbEEZZNS1_14partition_implILS5_9ELb0ES3_jPlS8_PNS0_10empty_typeENS0_5tupleIJS8_S9_EEENSB_IJS8_SA_EEENS0_18inequality_wrapperIZN2at6native12_GLOBAL__N_124unique_dim_cuda_templateImEESt5tupleIJNSF_6TensorESK_SK_EERKSK_lbbbEUlllE0_EEPmJS9_EEE10hipError_tPvRmT3_T4_T5_T6_T7_T9_mT8_P12ihipStream_tbDpT10_ENKUlT_T0_E_clISt17integral_constantIbLb0EES19_IbLb1EEEEDaS15_S16_EUlS15_E_NS1_11comp_targetILNS1_3genE4ELNS1_11target_archE910ELNS1_3gpuE8ELNS1_3repE0EEENS1_30default_config_static_selectorELNS0_4arch9wavefront6targetE1EEEvT1_
; %bb.0:
	.section	.rodata,"a",@progbits
	.p2align	6, 0x0
	.amdhsa_kernel _ZN7rocprim17ROCPRIM_400000_NS6detail17trampoline_kernelINS0_14default_configENS1_25partition_config_selectorILNS1_17partition_subalgoE9EllbEEZZNS1_14partition_implILS5_9ELb0ES3_jPlS8_PNS0_10empty_typeENS0_5tupleIJS8_S9_EEENSB_IJS8_SA_EEENS0_18inequality_wrapperIZN2at6native12_GLOBAL__N_124unique_dim_cuda_templateImEESt5tupleIJNSF_6TensorESK_SK_EERKSK_lbbbEUlllE0_EEPmJS9_EEE10hipError_tPvRmT3_T4_T5_T6_T7_T9_mT8_P12ihipStream_tbDpT10_ENKUlT_T0_E_clISt17integral_constantIbLb0EES19_IbLb1EEEEDaS15_S16_EUlS15_E_NS1_11comp_targetILNS1_3genE4ELNS1_11target_archE910ELNS1_3gpuE8ELNS1_3repE0EEENS1_30default_config_static_selectorELNS0_4arch9wavefront6targetE1EEEvT1_
		.amdhsa_group_segment_fixed_size 0
		.amdhsa_private_segment_fixed_size 0
		.amdhsa_kernarg_size 136
		.amdhsa_user_sgpr_count 2
		.amdhsa_user_sgpr_dispatch_ptr 0
		.amdhsa_user_sgpr_queue_ptr 0
		.amdhsa_user_sgpr_kernarg_segment_ptr 1
		.amdhsa_user_sgpr_dispatch_id 0
		.amdhsa_user_sgpr_kernarg_preload_length 0
		.amdhsa_user_sgpr_kernarg_preload_offset 0
		.amdhsa_user_sgpr_private_segment_size 0
		.amdhsa_uses_dynamic_stack 0
		.amdhsa_enable_private_segment 0
		.amdhsa_system_sgpr_workgroup_id_x 1
		.amdhsa_system_sgpr_workgroup_id_y 0
		.amdhsa_system_sgpr_workgroup_id_z 0
		.amdhsa_system_sgpr_workgroup_info 0
		.amdhsa_system_vgpr_workitem_id 0
		.amdhsa_next_free_vgpr 1
		.amdhsa_next_free_sgpr 0
		.amdhsa_accum_offset 4
		.amdhsa_reserve_vcc 0
		.amdhsa_float_round_mode_32 0
		.amdhsa_float_round_mode_16_64 0
		.amdhsa_float_denorm_mode_32 3
		.amdhsa_float_denorm_mode_16_64 3
		.amdhsa_dx10_clamp 1
		.amdhsa_ieee_mode 1
		.amdhsa_fp16_overflow 0
		.amdhsa_tg_split 0
		.amdhsa_exception_fp_ieee_invalid_op 0
		.amdhsa_exception_fp_denorm_src 0
		.amdhsa_exception_fp_ieee_div_zero 0
		.amdhsa_exception_fp_ieee_overflow 0
		.amdhsa_exception_fp_ieee_underflow 0
		.amdhsa_exception_fp_ieee_inexact 0
		.amdhsa_exception_int_div_zero 0
	.end_amdhsa_kernel
	.section	.text._ZN7rocprim17ROCPRIM_400000_NS6detail17trampoline_kernelINS0_14default_configENS1_25partition_config_selectorILNS1_17partition_subalgoE9EllbEEZZNS1_14partition_implILS5_9ELb0ES3_jPlS8_PNS0_10empty_typeENS0_5tupleIJS8_S9_EEENSB_IJS8_SA_EEENS0_18inequality_wrapperIZN2at6native12_GLOBAL__N_124unique_dim_cuda_templateImEESt5tupleIJNSF_6TensorESK_SK_EERKSK_lbbbEUlllE0_EEPmJS9_EEE10hipError_tPvRmT3_T4_T5_T6_T7_T9_mT8_P12ihipStream_tbDpT10_ENKUlT_T0_E_clISt17integral_constantIbLb0EES19_IbLb1EEEEDaS15_S16_EUlS15_E_NS1_11comp_targetILNS1_3genE4ELNS1_11target_archE910ELNS1_3gpuE8ELNS1_3repE0EEENS1_30default_config_static_selectorELNS0_4arch9wavefront6targetE1EEEvT1_,"axG",@progbits,_ZN7rocprim17ROCPRIM_400000_NS6detail17trampoline_kernelINS0_14default_configENS1_25partition_config_selectorILNS1_17partition_subalgoE9EllbEEZZNS1_14partition_implILS5_9ELb0ES3_jPlS8_PNS0_10empty_typeENS0_5tupleIJS8_S9_EEENSB_IJS8_SA_EEENS0_18inequality_wrapperIZN2at6native12_GLOBAL__N_124unique_dim_cuda_templateImEESt5tupleIJNSF_6TensorESK_SK_EERKSK_lbbbEUlllE0_EEPmJS9_EEE10hipError_tPvRmT3_T4_T5_T6_T7_T9_mT8_P12ihipStream_tbDpT10_ENKUlT_T0_E_clISt17integral_constantIbLb0EES19_IbLb1EEEEDaS15_S16_EUlS15_E_NS1_11comp_targetILNS1_3genE4ELNS1_11target_archE910ELNS1_3gpuE8ELNS1_3repE0EEENS1_30default_config_static_selectorELNS0_4arch9wavefront6targetE1EEEvT1_,comdat
.Lfunc_end1732:
	.size	_ZN7rocprim17ROCPRIM_400000_NS6detail17trampoline_kernelINS0_14default_configENS1_25partition_config_selectorILNS1_17partition_subalgoE9EllbEEZZNS1_14partition_implILS5_9ELb0ES3_jPlS8_PNS0_10empty_typeENS0_5tupleIJS8_S9_EEENSB_IJS8_SA_EEENS0_18inequality_wrapperIZN2at6native12_GLOBAL__N_124unique_dim_cuda_templateImEESt5tupleIJNSF_6TensorESK_SK_EERKSK_lbbbEUlllE0_EEPmJS9_EEE10hipError_tPvRmT3_T4_T5_T6_T7_T9_mT8_P12ihipStream_tbDpT10_ENKUlT_T0_E_clISt17integral_constantIbLb0EES19_IbLb1EEEEDaS15_S16_EUlS15_E_NS1_11comp_targetILNS1_3genE4ELNS1_11target_archE910ELNS1_3gpuE8ELNS1_3repE0EEENS1_30default_config_static_selectorELNS0_4arch9wavefront6targetE1EEEvT1_, .Lfunc_end1732-_ZN7rocprim17ROCPRIM_400000_NS6detail17trampoline_kernelINS0_14default_configENS1_25partition_config_selectorILNS1_17partition_subalgoE9EllbEEZZNS1_14partition_implILS5_9ELb0ES3_jPlS8_PNS0_10empty_typeENS0_5tupleIJS8_S9_EEENSB_IJS8_SA_EEENS0_18inequality_wrapperIZN2at6native12_GLOBAL__N_124unique_dim_cuda_templateImEESt5tupleIJNSF_6TensorESK_SK_EERKSK_lbbbEUlllE0_EEPmJS9_EEE10hipError_tPvRmT3_T4_T5_T6_T7_T9_mT8_P12ihipStream_tbDpT10_ENKUlT_T0_E_clISt17integral_constantIbLb0EES19_IbLb1EEEEDaS15_S16_EUlS15_E_NS1_11comp_targetILNS1_3genE4ELNS1_11target_archE910ELNS1_3gpuE8ELNS1_3repE0EEENS1_30default_config_static_selectorELNS0_4arch9wavefront6targetE1EEEvT1_
                                        ; -- End function
	.section	.AMDGPU.csdata,"",@progbits
; Kernel info:
; codeLenInByte = 0
; NumSgprs: 6
; NumVgprs: 0
; NumAgprs: 0
; TotalNumVgprs: 0
; ScratchSize: 0
; MemoryBound: 0
; FloatMode: 240
; IeeeMode: 1
; LDSByteSize: 0 bytes/workgroup (compile time only)
; SGPRBlocks: 0
; VGPRBlocks: 0
; NumSGPRsForWavesPerEU: 6
; NumVGPRsForWavesPerEU: 1
; AccumOffset: 4
; Occupancy: 8
; WaveLimiterHint : 0
; COMPUTE_PGM_RSRC2:SCRATCH_EN: 0
; COMPUTE_PGM_RSRC2:USER_SGPR: 2
; COMPUTE_PGM_RSRC2:TRAP_HANDLER: 0
; COMPUTE_PGM_RSRC2:TGID_X_EN: 1
; COMPUTE_PGM_RSRC2:TGID_Y_EN: 0
; COMPUTE_PGM_RSRC2:TGID_Z_EN: 0
; COMPUTE_PGM_RSRC2:TIDIG_COMP_CNT: 0
; COMPUTE_PGM_RSRC3_GFX90A:ACCUM_OFFSET: 0
; COMPUTE_PGM_RSRC3_GFX90A:TG_SPLIT: 0
	.section	.text._ZN7rocprim17ROCPRIM_400000_NS6detail17trampoline_kernelINS0_14default_configENS1_25partition_config_selectorILNS1_17partition_subalgoE9EllbEEZZNS1_14partition_implILS5_9ELb0ES3_jPlS8_PNS0_10empty_typeENS0_5tupleIJS8_S9_EEENSB_IJS8_SA_EEENS0_18inequality_wrapperIZN2at6native12_GLOBAL__N_124unique_dim_cuda_templateImEESt5tupleIJNSF_6TensorESK_SK_EERKSK_lbbbEUlllE0_EEPmJS9_EEE10hipError_tPvRmT3_T4_T5_T6_T7_T9_mT8_P12ihipStream_tbDpT10_ENKUlT_T0_E_clISt17integral_constantIbLb0EES19_IbLb1EEEEDaS15_S16_EUlS15_E_NS1_11comp_targetILNS1_3genE3ELNS1_11target_archE908ELNS1_3gpuE7ELNS1_3repE0EEENS1_30default_config_static_selectorELNS0_4arch9wavefront6targetE1EEEvT1_,"axG",@progbits,_ZN7rocprim17ROCPRIM_400000_NS6detail17trampoline_kernelINS0_14default_configENS1_25partition_config_selectorILNS1_17partition_subalgoE9EllbEEZZNS1_14partition_implILS5_9ELb0ES3_jPlS8_PNS0_10empty_typeENS0_5tupleIJS8_S9_EEENSB_IJS8_SA_EEENS0_18inequality_wrapperIZN2at6native12_GLOBAL__N_124unique_dim_cuda_templateImEESt5tupleIJNSF_6TensorESK_SK_EERKSK_lbbbEUlllE0_EEPmJS9_EEE10hipError_tPvRmT3_T4_T5_T6_T7_T9_mT8_P12ihipStream_tbDpT10_ENKUlT_T0_E_clISt17integral_constantIbLb0EES19_IbLb1EEEEDaS15_S16_EUlS15_E_NS1_11comp_targetILNS1_3genE3ELNS1_11target_archE908ELNS1_3gpuE7ELNS1_3repE0EEENS1_30default_config_static_selectorELNS0_4arch9wavefront6targetE1EEEvT1_,comdat
	.globl	_ZN7rocprim17ROCPRIM_400000_NS6detail17trampoline_kernelINS0_14default_configENS1_25partition_config_selectorILNS1_17partition_subalgoE9EllbEEZZNS1_14partition_implILS5_9ELb0ES3_jPlS8_PNS0_10empty_typeENS0_5tupleIJS8_S9_EEENSB_IJS8_SA_EEENS0_18inequality_wrapperIZN2at6native12_GLOBAL__N_124unique_dim_cuda_templateImEESt5tupleIJNSF_6TensorESK_SK_EERKSK_lbbbEUlllE0_EEPmJS9_EEE10hipError_tPvRmT3_T4_T5_T6_T7_T9_mT8_P12ihipStream_tbDpT10_ENKUlT_T0_E_clISt17integral_constantIbLb0EES19_IbLb1EEEEDaS15_S16_EUlS15_E_NS1_11comp_targetILNS1_3genE3ELNS1_11target_archE908ELNS1_3gpuE7ELNS1_3repE0EEENS1_30default_config_static_selectorELNS0_4arch9wavefront6targetE1EEEvT1_ ; -- Begin function _ZN7rocprim17ROCPRIM_400000_NS6detail17trampoline_kernelINS0_14default_configENS1_25partition_config_selectorILNS1_17partition_subalgoE9EllbEEZZNS1_14partition_implILS5_9ELb0ES3_jPlS8_PNS0_10empty_typeENS0_5tupleIJS8_S9_EEENSB_IJS8_SA_EEENS0_18inequality_wrapperIZN2at6native12_GLOBAL__N_124unique_dim_cuda_templateImEESt5tupleIJNSF_6TensorESK_SK_EERKSK_lbbbEUlllE0_EEPmJS9_EEE10hipError_tPvRmT3_T4_T5_T6_T7_T9_mT8_P12ihipStream_tbDpT10_ENKUlT_T0_E_clISt17integral_constantIbLb0EES19_IbLb1EEEEDaS15_S16_EUlS15_E_NS1_11comp_targetILNS1_3genE3ELNS1_11target_archE908ELNS1_3gpuE7ELNS1_3repE0EEENS1_30default_config_static_selectorELNS0_4arch9wavefront6targetE1EEEvT1_
	.p2align	8
	.type	_ZN7rocprim17ROCPRIM_400000_NS6detail17trampoline_kernelINS0_14default_configENS1_25partition_config_selectorILNS1_17partition_subalgoE9EllbEEZZNS1_14partition_implILS5_9ELb0ES3_jPlS8_PNS0_10empty_typeENS0_5tupleIJS8_S9_EEENSB_IJS8_SA_EEENS0_18inequality_wrapperIZN2at6native12_GLOBAL__N_124unique_dim_cuda_templateImEESt5tupleIJNSF_6TensorESK_SK_EERKSK_lbbbEUlllE0_EEPmJS9_EEE10hipError_tPvRmT3_T4_T5_T6_T7_T9_mT8_P12ihipStream_tbDpT10_ENKUlT_T0_E_clISt17integral_constantIbLb0EES19_IbLb1EEEEDaS15_S16_EUlS15_E_NS1_11comp_targetILNS1_3genE3ELNS1_11target_archE908ELNS1_3gpuE7ELNS1_3repE0EEENS1_30default_config_static_selectorELNS0_4arch9wavefront6targetE1EEEvT1_,@function
_ZN7rocprim17ROCPRIM_400000_NS6detail17trampoline_kernelINS0_14default_configENS1_25partition_config_selectorILNS1_17partition_subalgoE9EllbEEZZNS1_14partition_implILS5_9ELb0ES3_jPlS8_PNS0_10empty_typeENS0_5tupleIJS8_S9_EEENSB_IJS8_SA_EEENS0_18inequality_wrapperIZN2at6native12_GLOBAL__N_124unique_dim_cuda_templateImEESt5tupleIJNSF_6TensorESK_SK_EERKSK_lbbbEUlllE0_EEPmJS9_EEE10hipError_tPvRmT3_T4_T5_T6_T7_T9_mT8_P12ihipStream_tbDpT10_ENKUlT_T0_E_clISt17integral_constantIbLb0EES19_IbLb1EEEEDaS15_S16_EUlS15_E_NS1_11comp_targetILNS1_3genE3ELNS1_11target_archE908ELNS1_3gpuE7ELNS1_3repE0EEENS1_30default_config_static_selectorELNS0_4arch9wavefront6targetE1EEEvT1_: ; @_ZN7rocprim17ROCPRIM_400000_NS6detail17trampoline_kernelINS0_14default_configENS1_25partition_config_selectorILNS1_17partition_subalgoE9EllbEEZZNS1_14partition_implILS5_9ELb0ES3_jPlS8_PNS0_10empty_typeENS0_5tupleIJS8_S9_EEENSB_IJS8_SA_EEENS0_18inequality_wrapperIZN2at6native12_GLOBAL__N_124unique_dim_cuda_templateImEESt5tupleIJNSF_6TensorESK_SK_EERKSK_lbbbEUlllE0_EEPmJS9_EEE10hipError_tPvRmT3_T4_T5_T6_T7_T9_mT8_P12ihipStream_tbDpT10_ENKUlT_T0_E_clISt17integral_constantIbLb0EES19_IbLb1EEEEDaS15_S16_EUlS15_E_NS1_11comp_targetILNS1_3genE3ELNS1_11target_archE908ELNS1_3gpuE7ELNS1_3repE0EEENS1_30default_config_static_selectorELNS0_4arch9wavefront6targetE1EEEvT1_
; %bb.0:
	.section	.rodata,"a",@progbits
	.p2align	6, 0x0
	.amdhsa_kernel _ZN7rocprim17ROCPRIM_400000_NS6detail17trampoline_kernelINS0_14default_configENS1_25partition_config_selectorILNS1_17partition_subalgoE9EllbEEZZNS1_14partition_implILS5_9ELb0ES3_jPlS8_PNS0_10empty_typeENS0_5tupleIJS8_S9_EEENSB_IJS8_SA_EEENS0_18inequality_wrapperIZN2at6native12_GLOBAL__N_124unique_dim_cuda_templateImEESt5tupleIJNSF_6TensorESK_SK_EERKSK_lbbbEUlllE0_EEPmJS9_EEE10hipError_tPvRmT3_T4_T5_T6_T7_T9_mT8_P12ihipStream_tbDpT10_ENKUlT_T0_E_clISt17integral_constantIbLb0EES19_IbLb1EEEEDaS15_S16_EUlS15_E_NS1_11comp_targetILNS1_3genE3ELNS1_11target_archE908ELNS1_3gpuE7ELNS1_3repE0EEENS1_30default_config_static_selectorELNS0_4arch9wavefront6targetE1EEEvT1_
		.amdhsa_group_segment_fixed_size 0
		.amdhsa_private_segment_fixed_size 0
		.amdhsa_kernarg_size 136
		.amdhsa_user_sgpr_count 2
		.amdhsa_user_sgpr_dispatch_ptr 0
		.amdhsa_user_sgpr_queue_ptr 0
		.amdhsa_user_sgpr_kernarg_segment_ptr 1
		.amdhsa_user_sgpr_dispatch_id 0
		.amdhsa_user_sgpr_kernarg_preload_length 0
		.amdhsa_user_sgpr_kernarg_preload_offset 0
		.amdhsa_user_sgpr_private_segment_size 0
		.amdhsa_uses_dynamic_stack 0
		.amdhsa_enable_private_segment 0
		.amdhsa_system_sgpr_workgroup_id_x 1
		.amdhsa_system_sgpr_workgroup_id_y 0
		.amdhsa_system_sgpr_workgroup_id_z 0
		.amdhsa_system_sgpr_workgroup_info 0
		.amdhsa_system_vgpr_workitem_id 0
		.amdhsa_next_free_vgpr 1
		.amdhsa_next_free_sgpr 0
		.amdhsa_accum_offset 4
		.amdhsa_reserve_vcc 0
		.amdhsa_float_round_mode_32 0
		.amdhsa_float_round_mode_16_64 0
		.amdhsa_float_denorm_mode_32 3
		.amdhsa_float_denorm_mode_16_64 3
		.amdhsa_dx10_clamp 1
		.amdhsa_ieee_mode 1
		.amdhsa_fp16_overflow 0
		.amdhsa_tg_split 0
		.amdhsa_exception_fp_ieee_invalid_op 0
		.amdhsa_exception_fp_denorm_src 0
		.amdhsa_exception_fp_ieee_div_zero 0
		.amdhsa_exception_fp_ieee_overflow 0
		.amdhsa_exception_fp_ieee_underflow 0
		.amdhsa_exception_fp_ieee_inexact 0
		.amdhsa_exception_int_div_zero 0
	.end_amdhsa_kernel
	.section	.text._ZN7rocprim17ROCPRIM_400000_NS6detail17trampoline_kernelINS0_14default_configENS1_25partition_config_selectorILNS1_17partition_subalgoE9EllbEEZZNS1_14partition_implILS5_9ELb0ES3_jPlS8_PNS0_10empty_typeENS0_5tupleIJS8_S9_EEENSB_IJS8_SA_EEENS0_18inequality_wrapperIZN2at6native12_GLOBAL__N_124unique_dim_cuda_templateImEESt5tupleIJNSF_6TensorESK_SK_EERKSK_lbbbEUlllE0_EEPmJS9_EEE10hipError_tPvRmT3_T4_T5_T6_T7_T9_mT8_P12ihipStream_tbDpT10_ENKUlT_T0_E_clISt17integral_constantIbLb0EES19_IbLb1EEEEDaS15_S16_EUlS15_E_NS1_11comp_targetILNS1_3genE3ELNS1_11target_archE908ELNS1_3gpuE7ELNS1_3repE0EEENS1_30default_config_static_selectorELNS0_4arch9wavefront6targetE1EEEvT1_,"axG",@progbits,_ZN7rocprim17ROCPRIM_400000_NS6detail17trampoline_kernelINS0_14default_configENS1_25partition_config_selectorILNS1_17partition_subalgoE9EllbEEZZNS1_14partition_implILS5_9ELb0ES3_jPlS8_PNS0_10empty_typeENS0_5tupleIJS8_S9_EEENSB_IJS8_SA_EEENS0_18inequality_wrapperIZN2at6native12_GLOBAL__N_124unique_dim_cuda_templateImEESt5tupleIJNSF_6TensorESK_SK_EERKSK_lbbbEUlllE0_EEPmJS9_EEE10hipError_tPvRmT3_T4_T5_T6_T7_T9_mT8_P12ihipStream_tbDpT10_ENKUlT_T0_E_clISt17integral_constantIbLb0EES19_IbLb1EEEEDaS15_S16_EUlS15_E_NS1_11comp_targetILNS1_3genE3ELNS1_11target_archE908ELNS1_3gpuE7ELNS1_3repE0EEENS1_30default_config_static_selectorELNS0_4arch9wavefront6targetE1EEEvT1_,comdat
.Lfunc_end1733:
	.size	_ZN7rocprim17ROCPRIM_400000_NS6detail17trampoline_kernelINS0_14default_configENS1_25partition_config_selectorILNS1_17partition_subalgoE9EllbEEZZNS1_14partition_implILS5_9ELb0ES3_jPlS8_PNS0_10empty_typeENS0_5tupleIJS8_S9_EEENSB_IJS8_SA_EEENS0_18inequality_wrapperIZN2at6native12_GLOBAL__N_124unique_dim_cuda_templateImEESt5tupleIJNSF_6TensorESK_SK_EERKSK_lbbbEUlllE0_EEPmJS9_EEE10hipError_tPvRmT3_T4_T5_T6_T7_T9_mT8_P12ihipStream_tbDpT10_ENKUlT_T0_E_clISt17integral_constantIbLb0EES19_IbLb1EEEEDaS15_S16_EUlS15_E_NS1_11comp_targetILNS1_3genE3ELNS1_11target_archE908ELNS1_3gpuE7ELNS1_3repE0EEENS1_30default_config_static_selectorELNS0_4arch9wavefront6targetE1EEEvT1_, .Lfunc_end1733-_ZN7rocprim17ROCPRIM_400000_NS6detail17trampoline_kernelINS0_14default_configENS1_25partition_config_selectorILNS1_17partition_subalgoE9EllbEEZZNS1_14partition_implILS5_9ELb0ES3_jPlS8_PNS0_10empty_typeENS0_5tupleIJS8_S9_EEENSB_IJS8_SA_EEENS0_18inequality_wrapperIZN2at6native12_GLOBAL__N_124unique_dim_cuda_templateImEESt5tupleIJNSF_6TensorESK_SK_EERKSK_lbbbEUlllE0_EEPmJS9_EEE10hipError_tPvRmT3_T4_T5_T6_T7_T9_mT8_P12ihipStream_tbDpT10_ENKUlT_T0_E_clISt17integral_constantIbLb0EES19_IbLb1EEEEDaS15_S16_EUlS15_E_NS1_11comp_targetILNS1_3genE3ELNS1_11target_archE908ELNS1_3gpuE7ELNS1_3repE0EEENS1_30default_config_static_selectorELNS0_4arch9wavefront6targetE1EEEvT1_
                                        ; -- End function
	.section	.AMDGPU.csdata,"",@progbits
; Kernel info:
; codeLenInByte = 0
; NumSgprs: 6
; NumVgprs: 0
; NumAgprs: 0
; TotalNumVgprs: 0
; ScratchSize: 0
; MemoryBound: 0
; FloatMode: 240
; IeeeMode: 1
; LDSByteSize: 0 bytes/workgroup (compile time only)
; SGPRBlocks: 0
; VGPRBlocks: 0
; NumSGPRsForWavesPerEU: 6
; NumVGPRsForWavesPerEU: 1
; AccumOffset: 4
; Occupancy: 8
; WaveLimiterHint : 0
; COMPUTE_PGM_RSRC2:SCRATCH_EN: 0
; COMPUTE_PGM_RSRC2:USER_SGPR: 2
; COMPUTE_PGM_RSRC2:TRAP_HANDLER: 0
; COMPUTE_PGM_RSRC2:TGID_X_EN: 1
; COMPUTE_PGM_RSRC2:TGID_Y_EN: 0
; COMPUTE_PGM_RSRC2:TGID_Z_EN: 0
; COMPUTE_PGM_RSRC2:TIDIG_COMP_CNT: 0
; COMPUTE_PGM_RSRC3_GFX90A:ACCUM_OFFSET: 0
; COMPUTE_PGM_RSRC3_GFX90A:TG_SPLIT: 0
	.section	.text._ZN7rocprim17ROCPRIM_400000_NS6detail17trampoline_kernelINS0_14default_configENS1_25partition_config_selectorILNS1_17partition_subalgoE9EllbEEZZNS1_14partition_implILS5_9ELb0ES3_jPlS8_PNS0_10empty_typeENS0_5tupleIJS8_S9_EEENSB_IJS8_SA_EEENS0_18inequality_wrapperIZN2at6native12_GLOBAL__N_124unique_dim_cuda_templateImEESt5tupleIJNSF_6TensorESK_SK_EERKSK_lbbbEUlllE0_EEPmJS9_EEE10hipError_tPvRmT3_T4_T5_T6_T7_T9_mT8_P12ihipStream_tbDpT10_ENKUlT_T0_E_clISt17integral_constantIbLb0EES19_IbLb1EEEEDaS15_S16_EUlS15_E_NS1_11comp_targetILNS1_3genE2ELNS1_11target_archE906ELNS1_3gpuE6ELNS1_3repE0EEENS1_30default_config_static_selectorELNS0_4arch9wavefront6targetE1EEEvT1_,"axG",@progbits,_ZN7rocprim17ROCPRIM_400000_NS6detail17trampoline_kernelINS0_14default_configENS1_25partition_config_selectorILNS1_17partition_subalgoE9EllbEEZZNS1_14partition_implILS5_9ELb0ES3_jPlS8_PNS0_10empty_typeENS0_5tupleIJS8_S9_EEENSB_IJS8_SA_EEENS0_18inequality_wrapperIZN2at6native12_GLOBAL__N_124unique_dim_cuda_templateImEESt5tupleIJNSF_6TensorESK_SK_EERKSK_lbbbEUlllE0_EEPmJS9_EEE10hipError_tPvRmT3_T4_T5_T6_T7_T9_mT8_P12ihipStream_tbDpT10_ENKUlT_T0_E_clISt17integral_constantIbLb0EES19_IbLb1EEEEDaS15_S16_EUlS15_E_NS1_11comp_targetILNS1_3genE2ELNS1_11target_archE906ELNS1_3gpuE6ELNS1_3repE0EEENS1_30default_config_static_selectorELNS0_4arch9wavefront6targetE1EEEvT1_,comdat
	.globl	_ZN7rocprim17ROCPRIM_400000_NS6detail17trampoline_kernelINS0_14default_configENS1_25partition_config_selectorILNS1_17partition_subalgoE9EllbEEZZNS1_14partition_implILS5_9ELb0ES3_jPlS8_PNS0_10empty_typeENS0_5tupleIJS8_S9_EEENSB_IJS8_SA_EEENS0_18inequality_wrapperIZN2at6native12_GLOBAL__N_124unique_dim_cuda_templateImEESt5tupleIJNSF_6TensorESK_SK_EERKSK_lbbbEUlllE0_EEPmJS9_EEE10hipError_tPvRmT3_T4_T5_T6_T7_T9_mT8_P12ihipStream_tbDpT10_ENKUlT_T0_E_clISt17integral_constantIbLb0EES19_IbLb1EEEEDaS15_S16_EUlS15_E_NS1_11comp_targetILNS1_3genE2ELNS1_11target_archE906ELNS1_3gpuE6ELNS1_3repE0EEENS1_30default_config_static_selectorELNS0_4arch9wavefront6targetE1EEEvT1_ ; -- Begin function _ZN7rocprim17ROCPRIM_400000_NS6detail17trampoline_kernelINS0_14default_configENS1_25partition_config_selectorILNS1_17partition_subalgoE9EllbEEZZNS1_14partition_implILS5_9ELb0ES3_jPlS8_PNS0_10empty_typeENS0_5tupleIJS8_S9_EEENSB_IJS8_SA_EEENS0_18inequality_wrapperIZN2at6native12_GLOBAL__N_124unique_dim_cuda_templateImEESt5tupleIJNSF_6TensorESK_SK_EERKSK_lbbbEUlllE0_EEPmJS9_EEE10hipError_tPvRmT3_T4_T5_T6_T7_T9_mT8_P12ihipStream_tbDpT10_ENKUlT_T0_E_clISt17integral_constantIbLb0EES19_IbLb1EEEEDaS15_S16_EUlS15_E_NS1_11comp_targetILNS1_3genE2ELNS1_11target_archE906ELNS1_3gpuE6ELNS1_3repE0EEENS1_30default_config_static_selectorELNS0_4arch9wavefront6targetE1EEEvT1_
	.p2align	8
	.type	_ZN7rocprim17ROCPRIM_400000_NS6detail17trampoline_kernelINS0_14default_configENS1_25partition_config_selectorILNS1_17partition_subalgoE9EllbEEZZNS1_14partition_implILS5_9ELb0ES3_jPlS8_PNS0_10empty_typeENS0_5tupleIJS8_S9_EEENSB_IJS8_SA_EEENS0_18inequality_wrapperIZN2at6native12_GLOBAL__N_124unique_dim_cuda_templateImEESt5tupleIJNSF_6TensorESK_SK_EERKSK_lbbbEUlllE0_EEPmJS9_EEE10hipError_tPvRmT3_T4_T5_T6_T7_T9_mT8_P12ihipStream_tbDpT10_ENKUlT_T0_E_clISt17integral_constantIbLb0EES19_IbLb1EEEEDaS15_S16_EUlS15_E_NS1_11comp_targetILNS1_3genE2ELNS1_11target_archE906ELNS1_3gpuE6ELNS1_3repE0EEENS1_30default_config_static_selectorELNS0_4arch9wavefront6targetE1EEEvT1_,@function
_ZN7rocprim17ROCPRIM_400000_NS6detail17trampoline_kernelINS0_14default_configENS1_25partition_config_selectorILNS1_17partition_subalgoE9EllbEEZZNS1_14partition_implILS5_9ELb0ES3_jPlS8_PNS0_10empty_typeENS0_5tupleIJS8_S9_EEENSB_IJS8_SA_EEENS0_18inequality_wrapperIZN2at6native12_GLOBAL__N_124unique_dim_cuda_templateImEESt5tupleIJNSF_6TensorESK_SK_EERKSK_lbbbEUlllE0_EEPmJS9_EEE10hipError_tPvRmT3_T4_T5_T6_T7_T9_mT8_P12ihipStream_tbDpT10_ENKUlT_T0_E_clISt17integral_constantIbLb0EES19_IbLb1EEEEDaS15_S16_EUlS15_E_NS1_11comp_targetILNS1_3genE2ELNS1_11target_archE906ELNS1_3gpuE6ELNS1_3repE0EEENS1_30default_config_static_selectorELNS0_4arch9wavefront6targetE1EEEvT1_: ; @_ZN7rocprim17ROCPRIM_400000_NS6detail17trampoline_kernelINS0_14default_configENS1_25partition_config_selectorILNS1_17partition_subalgoE9EllbEEZZNS1_14partition_implILS5_9ELb0ES3_jPlS8_PNS0_10empty_typeENS0_5tupleIJS8_S9_EEENSB_IJS8_SA_EEENS0_18inequality_wrapperIZN2at6native12_GLOBAL__N_124unique_dim_cuda_templateImEESt5tupleIJNSF_6TensorESK_SK_EERKSK_lbbbEUlllE0_EEPmJS9_EEE10hipError_tPvRmT3_T4_T5_T6_T7_T9_mT8_P12ihipStream_tbDpT10_ENKUlT_T0_E_clISt17integral_constantIbLb0EES19_IbLb1EEEEDaS15_S16_EUlS15_E_NS1_11comp_targetILNS1_3genE2ELNS1_11target_archE906ELNS1_3gpuE6ELNS1_3repE0EEENS1_30default_config_static_selectorELNS0_4arch9wavefront6targetE1EEEvT1_
; %bb.0:
	.section	.rodata,"a",@progbits
	.p2align	6, 0x0
	.amdhsa_kernel _ZN7rocprim17ROCPRIM_400000_NS6detail17trampoline_kernelINS0_14default_configENS1_25partition_config_selectorILNS1_17partition_subalgoE9EllbEEZZNS1_14partition_implILS5_9ELb0ES3_jPlS8_PNS0_10empty_typeENS0_5tupleIJS8_S9_EEENSB_IJS8_SA_EEENS0_18inequality_wrapperIZN2at6native12_GLOBAL__N_124unique_dim_cuda_templateImEESt5tupleIJNSF_6TensorESK_SK_EERKSK_lbbbEUlllE0_EEPmJS9_EEE10hipError_tPvRmT3_T4_T5_T6_T7_T9_mT8_P12ihipStream_tbDpT10_ENKUlT_T0_E_clISt17integral_constantIbLb0EES19_IbLb1EEEEDaS15_S16_EUlS15_E_NS1_11comp_targetILNS1_3genE2ELNS1_11target_archE906ELNS1_3gpuE6ELNS1_3repE0EEENS1_30default_config_static_selectorELNS0_4arch9wavefront6targetE1EEEvT1_
		.amdhsa_group_segment_fixed_size 0
		.amdhsa_private_segment_fixed_size 0
		.amdhsa_kernarg_size 136
		.amdhsa_user_sgpr_count 2
		.amdhsa_user_sgpr_dispatch_ptr 0
		.amdhsa_user_sgpr_queue_ptr 0
		.amdhsa_user_sgpr_kernarg_segment_ptr 1
		.amdhsa_user_sgpr_dispatch_id 0
		.amdhsa_user_sgpr_kernarg_preload_length 0
		.amdhsa_user_sgpr_kernarg_preload_offset 0
		.amdhsa_user_sgpr_private_segment_size 0
		.amdhsa_uses_dynamic_stack 0
		.amdhsa_enable_private_segment 0
		.amdhsa_system_sgpr_workgroup_id_x 1
		.amdhsa_system_sgpr_workgroup_id_y 0
		.amdhsa_system_sgpr_workgroup_id_z 0
		.amdhsa_system_sgpr_workgroup_info 0
		.amdhsa_system_vgpr_workitem_id 0
		.amdhsa_next_free_vgpr 1
		.amdhsa_next_free_sgpr 0
		.amdhsa_accum_offset 4
		.amdhsa_reserve_vcc 0
		.amdhsa_float_round_mode_32 0
		.amdhsa_float_round_mode_16_64 0
		.amdhsa_float_denorm_mode_32 3
		.amdhsa_float_denorm_mode_16_64 3
		.amdhsa_dx10_clamp 1
		.amdhsa_ieee_mode 1
		.amdhsa_fp16_overflow 0
		.amdhsa_tg_split 0
		.amdhsa_exception_fp_ieee_invalid_op 0
		.amdhsa_exception_fp_denorm_src 0
		.amdhsa_exception_fp_ieee_div_zero 0
		.amdhsa_exception_fp_ieee_overflow 0
		.amdhsa_exception_fp_ieee_underflow 0
		.amdhsa_exception_fp_ieee_inexact 0
		.amdhsa_exception_int_div_zero 0
	.end_amdhsa_kernel
	.section	.text._ZN7rocprim17ROCPRIM_400000_NS6detail17trampoline_kernelINS0_14default_configENS1_25partition_config_selectorILNS1_17partition_subalgoE9EllbEEZZNS1_14partition_implILS5_9ELb0ES3_jPlS8_PNS0_10empty_typeENS0_5tupleIJS8_S9_EEENSB_IJS8_SA_EEENS0_18inequality_wrapperIZN2at6native12_GLOBAL__N_124unique_dim_cuda_templateImEESt5tupleIJNSF_6TensorESK_SK_EERKSK_lbbbEUlllE0_EEPmJS9_EEE10hipError_tPvRmT3_T4_T5_T6_T7_T9_mT8_P12ihipStream_tbDpT10_ENKUlT_T0_E_clISt17integral_constantIbLb0EES19_IbLb1EEEEDaS15_S16_EUlS15_E_NS1_11comp_targetILNS1_3genE2ELNS1_11target_archE906ELNS1_3gpuE6ELNS1_3repE0EEENS1_30default_config_static_selectorELNS0_4arch9wavefront6targetE1EEEvT1_,"axG",@progbits,_ZN7rocprim17ROCPRIM_400000_NS6detail17trampoline_kernelINS0_14default_configENS1_25partition_config_selectorILNS1_17partition_subalgoE9EllbEEZZNS1_14partition_implILS5_9ELb0ES3_jPlS8_PNS0_10empty_typeENS0_5tupleIJS8_S9_EEENSB_IJS8_SA_EEENS0_18inequality_wrapperIZN2at6native12_GLOBAL__N_124unique_dim_cuda_templateImEESt5tupleIJNSF_6TensorESK_SK_EERKSK_lbbbEUlllE0_EEPmJS9_EEE10hipError_tPvRmT3_T4_T5_T6_T7_T9_mT8_P12ihipStream_tbDpT10_ENKUlT_T0_E_clISt17integral_constantIbLb0EES19_IbLb1EEEEDaS15_S16_EUlS15_E_NS1_11comp_targetILNS1_3genE2ELNS1_11target_archE906ELNS1_3gpuE6ELNS1_3repE0EEENS1_30default_config_static_selectorELNS0_4arch9wavefront6targetE1EEEvT1_,comdat
.Lfunc_end1734:
	.size	_ZN7rocprim17ROCPRIM_400000_NS6detail17trampoline_kernelINS0_14default_configENS1_25partition_config_selectorILNS1_17partition_subalgoE9EllbEEZZNS1_14partition_implILS5_9ELb0ES3_jPlS8_PNS0_10empty_typeENS0_5tupleIJS8_S9_EEENSB_IJS8_SA_EEENS0_18inequality_wrapperIZN2at6native12_GLOBAL__N_124unique_dim_cuda_templateImEESt5tupleIJNSF_6TensorESK_SK_EERKSK_lbbbEUlllE0_EEPmJS9_EEE10hipError_tPvRmT3_T4_T5_T6_T7_T9_mT8_P12ihipStream_tbDpT10_ENKUlT_T0_E_clISt17integral_constantIbLb0EES19_IbLb1EEEEDaS15_S16_EUlS15_E_NS1_11comp_targetILNS1_3genE2ELNS1_11target_archE906ELNS1_3gpuE6ELNS1_3repE0EEENS1_30default_config_static_selectorELNS0_4arch9wavefront6targetE1EEEvT1_, .Lfunc_end1734-_ZN7rocprim17ROCPRIM_400000_NS6detail17trampoline_kernelINS0_14default_configENS1_25partition_config_selectorILNS1_17partition_subalgoE9EllbEEZZNS1_14partition_implILS5_9ELb0ES3_jPlS8_PNS0_10empty_typeENS0_5tupleIJS8_S9_EEENSB_IJS8_SA_EEENS0_18inequality_wrapperIZN2at6native12_GLOBAL__N_124unique_dim_cuda_templateImEESt5tupleIJNSF_6TensorESK_SK_EERKSK_lbbbEUlllE0_EEPmJS9_EEE10hipError_tPvRmT3_T4_T5_T6_T7_T9_mT8_P12ihipStream_tbDpT10_ENKUlT_T0_E_clISt17integral_constantIbLb0EES19_IbLb1EEEEDaS15_S16_EUlS15_E_NS1_11comp_targetILNS1_3genE2ELNS1_11target_archE906ELNS1_3gpuE6ELNS1_3repE0EEENS1_30default_config_static_selectorELNS0_4arch9wavefront6targetE1EEEvT1_
                                        ; -- End function
	.section	.AMDGPU.csdata,"",@progbits
; Kernel info:
; codeLenInByte = 0
; NumSgprs: 6
; NumVgprs: 0
; NumAgprs: 0
; TotalNumVgprs: 0
; ScratchSize: 0
; MemoryBound: 0
; FloatMode: 240
; IeeeMode: 1
; LDSByteSize: 0 bytes/workgroup (compile time only)
; SGPRBlocks: 0
; VGPRBlocks: 0
; NumSGPRsForWavesPerEU: 6
; NumVGPRsForWavesPerEU: 1
; AccumOffset: 4
; Occupancy: 8
; WaveLimiterHint : 0
; COMPUTE_PGM_RSRC2:SCRATCH_EN: 0
; COMPUTE_PGM_RSRC2:USER_SGPR: 2
; COMPUTE_PGM_RSRC2:TRAP_HANDLER: 0
; COMPUTE_PGM_RSRC2:TGID_X_EN: 1
; COMPUTE_PGM_RSRC2:TGID_Y_EN: 0
; COMPUTE_PGM_RSRC2:TGID_Z_EN: 0
; COMPUTE_PGM_RSRC2:TIDIG_COMP_CNT: 0
; COMPUTE_PGM_RSRC3_GFX90A:ACCUM_OFFSET: 0
; COMPUTE_PGM_RSRC3_GFX90A:TG_SPLIT: 0
	.section	.text._ZN7rocprim17ROCPRIM_400000_NS6detail17trampoline_kernelINS0_14default_configENS1_25partition_config_selectorILNS1_17partition_subalgoE9EllbEEZZNS1_14partition_implILS5_9ELb0ES3_jPlS8_PNS0_10empty_typeENS0_5tupleIJS8_S9_EEENSB_IJS8_SA_EEENS0_18inequality_wrapperIZN2at6native12_GLOBAL__N_124unique_dim_cuda_templateImEESt5tupleIJNSF_6TensorESK_SK_EERKSK_lbbbEUlllE0_EEPmJS9_EEE10hipError_tPvRmT3_T4_T5_T6_T7_T9_mT8_P12ihipStream_tbDpT10_ENKUlT_T0_E_clISt17integral_constantIbLb0EES19_IbLb1EEEEDaS15_S16_EUlS15_E_NS1_11comp_targetILNS1_3genE10ELNS1_11target_archE1200ELNS1_3gpuE4ELNS1_3repE0EEENS1_30default_config_static_selectorELNS0_4arch9wavefront6targetE1EEEvT1_,"axG",@progbits,_ZN7rocprim17ROCPRIM_400000_NS6detail17trampoline_kernelINS0_14default_configENS1_25partition_config_selectorILNS1_17partition_subalgoE9EllbEEZZNS1_14partition_implILS5_9ELb0ES3_jPlS8_PNS0_10empty_typeENS0_5tupleIJS8_S9_EEENSB_IJS8_SA_EEENS0_18inequality_wrapperIZN2at6native12_GLOBAL__N_124unique_dim_cuda_templateImEESt5tupleIJNSF_6TensorESK_SK_EERKSK_lbbbEUlllE0_EEPmJS9_EEE10hipError_tPvRmT3_T4_T5_T6_T7_T9_mT8_P12ihipStream_tbDpT10_ENKUlT_T0_E_clISt17integral_constantIbLb0EES19_IbLb1EEEEDaS15_S16_EUlS15_E_NS1_11comp_targetILNS1_3genE10ELNS1_11target_archE1200ELNS1_3gpuE4ELNS1_3repE0EEENS1_30default_config_static_selectorELNS0_4arch9wavefront6targetE1EEEvT1_,comdat
	.globl	_ZN7rocprim17ROCPRIM_400000_NS6detail17trampoline_kernelINS0_14default_configENS1_25partition_config_selectorILNS1_17partition_subalgoE9EllbEEZZNS1_14partition_implILS5_9ELb0ES3_jPlS8_PNS0_10empty_typeENS0_5tupleIJS8_S9_EEENSB_IJS8_SA_EEENS0_18inequality_wrapperIZN2at6native12_GLOBAL__N_124unique_dim_cuda_templateImEESt5tupleIJNSF_6TensorESK_SK_EERKSK_lbbbEUlllE0_EEPmJS9_EEE10hipError_tPvRmT3_T4_T5_T6_T7_T9_mT8_P12ihipStream_tbDpT10_ENKUlT_T0_E_clISt17integral_constantIbLb0EES19_IbLb1EEEEDaS15_S16_EUlS15_E_NS1_11comp_targetILNS1_3genE10ELNS1_11target_archE1200ELNS1_3gpuE4ELNS1_3repE0EEENS1_30default_config_static_selectorELNS0_4arch9wavefront6targetE1EEEvT1_ ; -- Begin function _ZN7rocprim17ROCPRIM_400000_NS6detail17trampoline_kernelINS0_14default_configENS1_25partition_config_selectorILNS1_17partition_subalgoE9EllbEEZZNS1_14partition_implILS5_9ELb0ES3_jPlS8_PNS0_10empty_typeENS0_5tupleIJS8_S9_EEENSB_IJS8_SA_EEENS0_18inequality_wrapperIZN2at6native12_GLOBAL__N_124unique_dim_cuda_templateImEESt5tupleIJNSF_6TensorESK_SK_EERKSK_lbbbEUlllE0_EEPmJS9_EEE10hipError_tPvRmT3_T4_T5_T6_T7_T9_mT8_P12ihipStream_tbDpT10_ENKUlT_T0_E_clISt17integral_constantIbLb0EES19_IbLb1EEEEDaS15_S16_EUlS15_E_NS1_11comp_targetILNS1_3genE10ELNS1_11target_archE1200ELNS1_3gpuE4ELNS1_3repE0EEENS1_30default_config_static_selectorELNS0_4arch9wavefront6targetE1EEEvT1_
	.p2align	8
	.type	_ZN7rocprim17ROCPRIM_400000_NS6detail17trampoline_kernelINS0_14default_configENS1_25partition_config_selectorILNS1_17partition_subalgoE9EllbEEZZNS1_14partition_implILS5_9ELb0ES3_jPlS8_PNS0_10empty_typeENS0_5tupleIJS8_S9_EEENSB_IJS8_SA_EEENS0_18inequality_wrapperIZN2at6native12_GLOBAL__N_124unique_dim_cuda_templateImEESt5tupleIJNSF_6TensorESK_SK_EERKSK_lbbbEUlllE0_EEPmJS9_EEE10hipError_tPvRmT3_T4_T5_T6_T7_T9_mT8_P12ihipStream_tbDpT10_ENKUlT_T0_E_clISt17integral_constantIbLb0EES19_IbLb1EEEEDaS15_S16_EUlS15_E_NS1_11comp_targetILNS1_3genE10ELNS1_11target_archE1200ELNS1_3gpuE4ELNS1_3repE0EEENS1_30default_config_static_selectorELNS0_4arch9wavefront6targetE1EEEvT1_,@function
_ZN7rocprim17ROCPRIM_400000_NS6detail17trampoline_kernelINS0_14default_configENS1_25partition_config_selectorILNS1_17partition_subalgoE9EllbEEZZNS1_14partition_implILS5_9ELb0ES3_jPlS8_PNS0_10empty_typeENS0_5tupleIJS8_S9_EEENSB_IJS8_SA_EEENS0_18inequality_wrapperIZN2at6native12_GLOBAL__N_124unique_dim_cuda_templateImEESt5tupleIJNSF_6TensorESK_SK_EERKSK_lbbbEUlllE0_EEPmJS9_EEE10hipError_tPvRmT3_T4_T5_T6_T7_T9_mT8_P12ihipStream_tbDpT10_ENKUlT_T0_E_clISt17integral_constantIbLb0EES19_IbLb1EEEEDaS15_S16_EUlS15_E_NS1_11comp_targetILNS1_3genE10ELNS1_11target_archE1200ELNS1_3gpuE4ELNS1_3repE0EEENS1_30default_config_static_selectorELNS0_4arch9wavefront6targetE1EEEvT1_: ; @_ZN7rocprim17ROCPRIM_400000_NS6detail17trampoline_kernelINS0_14default_configENS1_25partition_config_selectorILNS1_17partition_subalgoE9EllbEEZZNS1_14partition_implILS5_9ELb0ES3_jPlS8_PNS0_10empty_typeENS0_5tupleIJS8_S9_EEENSB_IJS8_SA_EEENS0_18inequality_wrapperIZN2at6native12_GLOBAL__N_124unique_dim_cuda_templateImEESt5tupleIJNSF_6TensorESK_SK_EERKSK_lbbbEUlllE0_EEPmJS9_EEE10hipError_tPvRmT3_T4_T5_T6_T7_T9_mT8_P12ihipStream_tbDpT10_ENKUlT_T0_E_clISt17integral_constantIbLb0EES19_IbLb1EEEEDaS15_S16_EUlS15_E_NS1_11comp_targetILNS1_3genE10ELNS1_11target_archE1200ELNS1_3gpuE4ELNS1_3repE0EEENS1_30default_config_static_selectorELNS0_4arch9wavefront6targetE1EEEvT1_
; %bb.0:
	.section	.rodata,"a",@progbits
	.p2align	6, 0x0
	.amdhsa_kernel _ZN7rocprim17ROCPRIM_400000_NS6detail17trampoline_kernelINS0_14default_configENS1_25partition_config_selectorILNS1_17partition_subalgoE9EllbEEZZNS1_14partition_implILS5_9ELb0ES3_jPlS8_PNS0_10empty_typeENS0_5tupleIJS8_S9_EEENSB_IJS8_SA_EEENS0_18inequality_wrapperIZN2at6native12_GLOBAL__N_124unique_dim_cuda_templateImEESt5tupleIJNSF_6TensorESK_SK_EERKSK_lbbbEUlllE0_EEPmJS9_EEE10hipError_tPvRmT3_T4_T5_T6_T7_T9_mT8_P12ihipStream_tbDpT10_ENKUlT_T0_E_clISt17integral_constantIbLb0EES19_IbLb1EEEEDaS15_S16_EUlS15_E_NS1_11comp_targetILNS1_3genE10ELNS1_11target_archE1200ELNS1_3gpuE4ELNS1_3repE0EEENS1_30default_config_static_selectorELNS0_4arch9wavefront6targetE1EEEvT1_
		.amdhsa_group_segment_fixed_size 0
		.amdhsa_private_segment_fixed_size 0
		.amdhsa_kernarg_size 136
		.amdhsa_user_sgpr_count 2
		.amdhsa_user_sgpr_dispatch_ptr 0
		.amdhsa_user_sgpr_queue_ptr 0
		.amdhsa_user_sgpr_kernarg_segment_ptr 1
		.amdhsa_user_sgpr_dispatch_id 0
		.amdhsa_user_sgpr_kernarg_preload_length 0
		.amdhsa_user_sgpr_kernarg_preload_offset 0
		.amdhsa_user_sgpr_private_segment_size 0
		.amdhsa_uses_dynamic_stack 0
		.amdhsa_enable_private_segment 0
		.amdhsa_system_sgpr_workgroup_id_x 1
		.amdhsa_system_sgpr_workgroup_id_y 0
		.amdhsa_system_sgpr_workgroup_id_z 0
		.amdhsa_system_sgpr_workgroup_info 0
		.amdhsa_system_vgpr_workitem_id 0
		.amdhsa_next_free_vgpr 1
		.amdhsa_next_free_sgpr 0
		.amdhsa_accum_offset 4
		.amdhsa_reserve_vcc 0
		.amdhsa_float_round_mode_32 0
		.amdhsa_float_round_mode_16_64 0
		.amdhsa_float_denorm_mode_32 3
		.amdhsa_float_denorm_mode_16_64 3
		.amdhsa_dx10_clamp 1
		.amdhsa_ieee_mode 1
		.amdhsa_fp16_overflow 0
		.amdhsa_tg_split 0
		.amdhsa_exception_fp_ieee_invalid_op 0
		.amdhsa_exception_fp_denorm_src 0
		.amdhsa_exception_fp_ieee_div_zero 0
		.amdhsa_exception_fp_ieee_overflow 0
		.amdhsa_exception_fp_ieee_underflow 0
		.amdhsa_exception_fp_ieee_inexact 0
		.amdhsa_exception_int_div_zero 0
	.end_amdhsa_kernel
	.section	.text._ZN7rocprim17ROCPRIM_400000_NS6detail17trampoline_kernelINS0_14default_configENS1_25partition_config_selectorILNS1_17partition_subalgoE9EllbEEZZNS1_14partition_implILS5_9ELb0ES3_jPlS8_PNS0_10empty_typeENS0_5tupleIJS8_S9_EEENSB_IJS8_SA_EEENS0_18inequality_wrapperIZN2at6native12_GLOBAL__N_124unique_dim_cuda_templateImEESt5tupleIJNSF_6TensorESK_SK_EERKSK_lbbbEUlllE0_EEPmJS9_EEE10hipError_tPvRmT3_T4_T5_T6_T7_T9_mT8_P12ihipStream_tbDpT10_ENKUlT_T0_E_clISt17integral_constantIbLb0EES19_IbLb1EEEEDaS15_S16_EUlS15_E_NS1_11comp_targetILNS1_3genE10ELNS1_11target_archE1200ELNS1_3gpuE4ELNS1_3repE0EEENS1_30default_config_static_selectorELNS0_4arch9wavefront6targetE1EEEvT1_,"axG",@progbits,_ZN7rocprim17ROCPRIM_400000_NS6detail17trampoline_kernelINS0_14default_configENS1_25partition_config_selectorILNS1_17partition_subalgoE9EllbEEZZNS1_14partition_implILS5_9ELb0ES3_jPlS8_PNS0_10empty_typeENS0_5tupleIJS8_S9_EEENSB_IJS8_SA_EEENS0_18inequality_wrapperIZN2at6native12_GLOBAL__N_124unique_dim_cuda_templateImEESt5tupleIJNSF_6TensorESK_SK_EERKSK_lbbbEUlllE0_EEPmJS9_EEE10hipError_tPvRmT3_T4_T5_T6_T7_T9_mT8_P12ihipStream_tbDpT10_ENKUlT_T0_E_clISt17integral_constantIbLb0EES19_IbLb1EEEEDaS15_S16_EUlS15_E_NS1_11comp_targetILNS1_3genE10ELNS1_11target_archE1200ELNS1_3gpuE4ELNS1_3repE0EEENS1_30default_config_static_selectorELNS0_4arch9wavefront6targetE1EEEvT1_,comdat
.Lfunc_end1735:
	.size	_ZN7rocprim17ROCPRIM_400000_NS6detail17trampoline_kernelINS0_14default_configENS1_25partition_config_selectorILNS1_17partition_subalgoE9EllbEEZZNS1_14partition_implILS5_9ELb0ES3_jPlS8_PNS0_10empty_typeENS0_5tupleIJS8_S9_EEENSB_IJS8_SA_EEENS0_18inequality_wrapperIZN2at6native12_GLOBAL__N_124unique_dim_cuda_templateImEESt5tupleIJNSF_6TensorESK_SK_EERKSK_lbbbEUlllE0_EEPmJS9_EEE10hipError_tPvRmT3_T4_T5_T6_T7_T9_mT8_P12ihipStream_tbDpT10_ENKUlT_T0_E_clISt17integral_constantIbLb0EES19_IbLb1EEEEDaS15_S16_EUlS15_E_NS1_11comp_targetILNS1_3genE10ELNS1_11target_archE1200ELNS1_3gpuE4ELNS1_3repE0EEENS1_30default_config_static_selectorELNS0_4arch9wavefront6targetE1EEEvT1_, .Lfunc_end1735-_ZN7rocprim17ROCPRIM_400000_NS6detail17trampoline_kernelINS0_14default_configENS1_25partition_config_selectorILNS1_17partition_subalgoE9EllbEEZZNS1_14partition_implILS5_9ELb0ES3_jPlS8_PNS0_10empty_typeENS0_5tupleIJS8_S9_EEENSB_IJS8_SA_EEENS0_18inequality_wrapperIZN2at6native12_GLOBAL__N_124unique_dim_cuda_templateImEESt5tupleIJNSF_6TensorESK_SK_EERKSK_lbbbEUlllE0_EEPmJS9_EEE10hipError_tPvRmT3_T4_T5_T6_T7_T9_mT8_P12ihipStream_tbDpT10_ENKUlT_T0_E_clISt17integral_constantIbLb0EES19_IbLb1EEEEDaS15_S16_EUlS15_E_NS1_11comp_targetILNS1_3genE10ELNS1_11target_archE1200ELNS1_3gpuE4ELNS1_3repE0EEENS1_30default_config_static_selectorELNS0_4arch9wavefront6targetE1EEEvT1_
                                        ; -- End function
	.section	.AMDGPU.csdata,"",@progbits
; Kernel info:
; codeLenInByte = 0
; NumSgprs: 6
; NumVgprs: 0
; NumAgprs: 0
; TotalNumVgprs: 0
; ScratchSize: 0
; MemoryBound: 0
; FloatMode: 240
; IeeeMode: 1
; LDSByteSize: 0 bytes/workgroup (compile time only)
; SGPRBlocks: 0
; VGPRBlocks: 0
; NumSGPRsForWavesPerEU: 6
; NumVGPRsForWavesPerEU: 1
; AccumOffset: 4
; Occupancy: 8
; WaveLimiterHint : 0
; COMPUTE_PGM_RSRC2:SCRATCH_EN: 0
; COMPUTE_PGM_RSRC2:USER_SGPR: 2
; COMPUTE_PGM_RSRC2:TRAP_HANDLER: 0
; COMPUTE_PGM_RSRC2:TGID_X_EN: 1
; COMPUTE_PGM_RSRC2:TGID_Y_EN: 0
; COMPUTE_PGM_RSRC2:TGID_Z_EN: 0
; COMPUTE_PGM_RSRC2:TIDIG_COMP_CNT: 0
; COMPUTE_PGM_RSRC3_GFX90A:ACCUM_OFFSET: 0
; COMPUTE_PGM_RSRC3_GFX90A:TG_SPLIT: 0
	.section	.text._ZN7rocprim17ROCPRIM_400000_NS6detail17trampoline_kernelINS0_14default_configENS1_25partition_config_selectorILNS1_17partition_subalgoE9EllbEEZZNS1_14partition_implILS5_9ELb0ES3_jPlS8_PNS0_10empty_typeENS0_5tupleIJS8_S9_EEENSB_IJS8_SA_EEENS0_18inequality_wrapperIZN2at6native12_GLOBAL__N_124unique_dim_cuda_templateImEESt5tupleIJNSF_6TensorESK_SK_EERKSK_lbbbEUlllE0_EEPmJS9_EEE10hipError_tPvRmT3_T4_T5_T6_T7_T9_mT8_P12ihipStream_tbDpT10_ENKUlT_T0_E_clISt17integral_constantIbLb0EES19_IbLb1EEEEDaS15_S16_EUlS15_E_NS1_11comp_targetILNS1_3genE9ELNS1_11target_archE1100ELNS1_3gpuE3ELNS1_3repE0EEENS1_30default_config_static_selectorELNS0_4arch9wavefront6targetE1EEEvT1_,"axG",@progbits,_ZN7rocprim17ROCPRIM_400000_NS6detail17trampoline_kernelINS0_14default_configENS1_25partition_config_selectorILNS1_17partition_subalgoE9EllbEEZZNS1_14partition_implILS5_9ELb0ES3_jPlS8_PNS0_10empty_typeENS0_5tupleIJS8_S9_EEENSB_IJS8_SA_EEENS0_18inequality_wrapperIZN2at6native12_GLOBAL__N_124unique_dim_cuda_templateImEESt5tupleIJNSF_6TensorESK_SK_EERKSK_lbbbEUlllE0_EEPmJS9_EEE10hipError_tPvRmT3_T4_T5_T6_T7_T9_mT8_P12ihipStream_tbDpT10_ENKUlT_T0_E_clISt17integral_constantIbLb0EES19_IbLb1EEEEDaS15_S16_EUlS15_E_NS1_11comp_targetILNS1_3genE9ELNS1_11target_archE1100ELNS1_3gpuE3ELNS1_3repE0EEENS1_30default_config_static_selectorELNS0_4arch9wavefront6targetE1EEEvT1_,comdat
	.globl	_ZN7rocprim17ROCPRIM_400000_NS6detail17trampoline_kernelINS0_14default_configENS1_25partition_config_selectorILNS1_17partition_subalgoE9EllbEEZZNS1_14partition_implILS5_9ELb0ES3_jPlS8_PNS0_10empty_typeENS0_5tupleIJS8_S9_EEENSB_IJS8_SA_EEENS0_18inequality_wrapperIZN2at6native12_GLOBAL__N_124unique_dim_cuda_templateImEESt5tupleIJNSF_6TensorESK_SK_EERKSK_lbbbEUlllE0_EEPmJS9_EEE10hipError_tPvRmT3_T4_T5_T6_T7_T9_mT8_P12ihipStream_tbDpT10_ENKUlT_T0_E_clISt17integral_constantIbLb0EES19_IbLb1EEEEDaS15_S16_EUlS15_E_NS1_11comp_targetILNS1_3genE9ELNS1_11target_archE1100ELNS1_3gpuE3ELNS1_3repE0EEENS1_30default_config_static_selectorELNS0_4arch9wavefront6targetE1EEEvT1_ ; -- Begin function _ZN7rocprim17ROCPRIM_400000_NS6detail17trampoline_kernelINS0_14default_configENS1_25partition_config_selectorILNS1_17partition_subalgoE9EllbEEZZNS1_14partition_implILS5_9ELb0ES3_jPlS8_PNS0_10empty_typeENS0_5tupleIJS8_S9_EEENSB_IJS8_SA_EEENS0_18inequality_wrapperIZN2at6native12_GLOBAL__N_124unique_dim_cuda_templateImEESt5tupleIJNSF_6TensorESK_SK_EERKSK_lbbbEUlllE0_EEPmJS9_EEE10hipError_tPvRmT3_T4_T5_T6_T7_T9_mT8_P12ihipStream_tbDpT10_ENKUlT_T0_E_clISt17integral_constantIbLb0EES19_IbLb1EEEEDaS15_S16_EUlS15_E_NS1_11comp_targetILNS1_3genE9ELNS1_11target_archE1100ELNS1_3gpuE3ELNS1_3repE0EEENS1_30default_config_static_selectorELNS0_4arch9wavefront6targetE1EEEvT1_
	.p2align	8
	.type	_ZN7rocprim17ROCPRIM_400000_NS6detail17trampoline_kernelINS0_14default_configENS1_25partition_config_selectorILNS1_17partition_subalgoE9EllbEEZZNS1_14partition_implILS5_9ELb0ES3_jPlS8_PNS0_10empty_typeENS0_5tupleIJS8_S9_EEENSB_IJS8_SA_EEENS0_18inequality_wrapperIZN2at6native12_GLOBAL__N_124unique_dim_cuda_templateImEESt5tupleIJNSF_6TensorESK_SK_EERKSK_lbbbEUlllE0_EEPmJS9_EEE10hipError_tPvRmT3_T4_T5_T6_T7_T9_mT8_P12ihipStream_tbDpT10_ENKUlT_T0_E_clISt17integral_constantIbLb0EES19_IbLb1EEEEDaS15_S16_EUlS15_E_NS1_11comp_targetILNS1_3genE9ELNS1_11target_archE1100ELNS1_3gpuE3ELNS1_3repE0EEENS1_30default_config_static_selectorELNS0_4arch9wavefront6targetE1EEEvT1_,@function
_ZN7rocprim17ROCPRIM_400000_NS6detail17trampoline_kernelINS0_14default_configENS1_25partition_config_selectorILNS1_17partition_subalgoE9EllbEEZZNS1_14partition_implILS5_9ELb0ES3_jPlS8_PNS0_10empty_typeENS0_5tupleIJS8_S9_EEENSB_IJS8_SA_EEENS0_18inequality_wrapperIZN2at6native12_GLOBAL__N_124unique_dim_cuda_templateImEESt5tupleIJNSF_6TensorESK_SK_EERKSK_lbbbEUlllE0_EEPmJS9_EEE10hipError_tPvRmT3_T4_T5_T6_T7_T9_mT8_P12ihipStream_tbDpT10_ENKUlT_T0_E_clISt17integral_constantIbLb0EES19_IbLb1EEEEDaS15_S16_EUlS15_E_NS1_11comp_targetILNS1_3genE9ELNS1_11target_archE1100ELNS1_3gpuE3ELNS1_3repE0EEENS1_30default_config_static_selectorELNS0_4arch9wavefront6targetE1EEEvT1_: ; @_ZN7rocprim17ROCPRIM_400000_NS6detail17trampoline_kernelINS0_14default_configENS1_25partition_config_selectorILNS1_17partition_subalgoE9EllbEEZZNS1_14partition_implILS5_9ELb0ES3_jPlS8_PNS0_10empty_typeENS0_5tupleIJS8_S9_EEENSB_IJS8_SA_EEENS0_18inequality_wrapperIZN2at6native12_GLOBAL__N_124unique_dim_cuda_templateImEESt5tupleIJNSF_6TensorESK_SK_EERKSK_lbbbEUlllE0_EEPmJS9_EEE10hipError_tPvRmT3_T4_T5_T6_T7_T9_mT8_P12ihipStream_tbDpT10_ENKUlT_T0_E_clISt17integral_constantIbLb0EES19_IbLb1EEEEDaS15_S16_EUlS15_E_NS1_11comp_targetILNS1_3genE9ELNS1_11target_archE1100ELNS1_3gpuE3ELNS1_3repE0EEENS1_30default_config_static_selectorELNS0_4arch9wavefront6targetE1EEEvT1_
; %bb.0:
	.section	.rodata,"a",@progbits
	.p2align	6, 0x0
	.amdhsa_kernel _ZN7rocprim17ROCPRIM_400000_NS6detail17trampoline_kernelINS0_14default_configENS1_25partition_config_selectorILNS1_17partition_subalgoE9EllbEEZZNS1_14partition_implILS5_9ELb0ES3_jPlS8_PNS0_10empty_typeENS0_5tupleIJS8_S9_EEENSB_IJS8_SA_EEENS0_18inequality_wrapperIZN2at6native12_GLOBAL__N_124unique_dim_cuda_templateImEESt5tupleIJNSF_6TensorESK_SK_EERKSK_lbbbEUlllE0_EEPmJS9_EEE10hipError_tPvRmT3_T4_T5_T6_T7_T9_mT8_P12ihipStream_tbDpT10_ENKUlT_T0_E_clISt17integral_constantIbLb0EES19_IbLb1EEEEDaS15_S16_EUlS15_E_NS1_11comp_targetILNS1_3genE9ELNS1_11target_archE1100ELNS1_3gpuE3ELNS1_3repE0EEENS1_30default_config_static_selectorELNS0_4arch9wavefront6targetE1EEEvT1_
		.amdhsa_group_segment_fixed_size 0
		.amdhsa_private_segment_fixed_size 0
		.amdhsa_kernarg_size 136
		.amdhsa_user_sgpr_count 2
		.amdhsa_user_sgpr_dispatch_ptr 0
		.amdhsa_user_sgpr_queue_ptr 0
		.amdhsa_user_sgpr_kernarg_segment_ptr 1
		.amdhsa_user_sgpr_dispatch_id 0
		.amdhsa_user_sgpr_kernarg_preload_length 0
		.amdhsa_user_sgpr_kernarg_preload_offset 0
		.amdhsa_user_sgpr_private_segment_size 0
		.amdhsa_uses_dynamic_stack 0
		.amdhsa_enable_private_segment 0
		.amdhsa_system_sgpr_workgroup_id_x 1
		.amdhsa_system_sgpr_workgroup_id_y 0
		.amdhsa_system_sgpr_workgroup_id_z 0
		.amdhsa_system_sgpr_workgroup_info 0
		.amdhsa_system_vgpr_workitem_id 0
		.amdhsa_next_free_vgpr 1
		.amdhsa_next_free_sgpr 0
		.amdhsa_accum_offset 4
		.amdhsa_reserve_vcc 0
		.amdhsa_float_round_mode_32 0
		.amdhsa_float_round_mode_16_64 0
		.amdhsa_float_denorm_mode_32 3
		.amdhsa_float_denorm_mode_16_64 3
		.amdhsa_dx10_clamp 1
		.amdhsa_ieee_mode 1
		.amdhsa_fp16_overflow 0
		.amdhsa_tg_split 0
		.amdhsa_exception_fp_ieee_invalid_op 0
		.amdhsa_exception_fp_denorm_src 0
		.amdhsa_exception_fp_ieee_div_zero 0
		.amdhsa_exception_fp_ieee_overflow 0
		.amdhsa_exception_fp_ieee_underflow 0
		.amdhsa_exception_fp_ieee_inexact 0
		.amdhsa_exception_int_div_zero 0
	.end_amdhsa_kernel
	.section	.text._ZN7rocprim17ROCPRIM_400000_NS6detail17trampoline_kernelINS0_14default_configENS1_25partition_config_selectorILNS1_17partition_subalgoE9EllbEEZZNS1_14partition_implILS5_9ELb0ES3_jPlS8_PNS0_10empty_typeENS0_5tupleIJS8_S9_EEENSB_IJS8_SA_EEENS0_18inequality_wrapperIZN2at6native12_GLOBAL__N_124unique_dim_cuda_templateImEESt5tupleIJNSF_6TensorESK_SK_EERKSK_lbbbEUlllE0_EEPmJS9_EEE10hipError_tPvRmT3_T4_T5_T6_T7_T9_mT8_P12ihipStream_tbDpT10_ENKUlT_T0_E_clISt17integral_constantIbLb0EES19_IbLb1EEEEDaS15_S16_EUlS15_E_NS1_11comp_targetILNS1_3genE9ELNS1_11target_archE1100ELNS1_3gpuE3ELNS1_3repE0EEENS1_30default_config_static_selectorELNS0_4arch9wavefront6targetE1EEEvT1_,"axG",@progbits,_ZN7rocprim17ROCPRIM_400000_NS6detail17trampoline_kernelINS0_14default_configENS1_25partition_config_selectorILNS1_17partition_subalgoE9EllbEEZZNS1_14partition_implILS5_9ELb0ES3_jPlS8_PNS0_10empty_typeENS0_5tupleIJS8_S9_EEENSB_IJS8_SA_EEENS0_18inequality_wrapperIZN2at6native12_GLOBAL__N_124unique_dim_cuda_templateImEESt5tupleIJNSF_6TensorESK_SK_EERKSK_lbbbEUlllE0_EEPmJS9_EEE10hipError_tPvRmT3_T4_T5_T6_T7_T9_mT8_P12ihipStream_tbDpT10_ENKUlT_T0_E_clISt17integral_constantIbLb0EES19_IbLb1EEEEDaS15_S16_EUlS15_E_NS1_11comp_targetILNS1_3genE9ELNS1_11target_archE1100ELNS1_3gpuE3ELNS1_3repE0EEENS1_30default_config_static_selectorELNS0_4arch9wavefront6targetE1EEEvT1_,comdat
.Lfunc_end1736:
	.size	_ZN7rocprim17ROCPRIM_400000_NS6detail17trampoline_kernelINS0_14default_configENS1_25partition_config_selectorILNS1_17partition_subalgoE9EllbEEZZNS1_14partition_implILS5_9ELb0ES3_jPlS8_PNS0_10empty_typeENS0_5tupleIJS8_S9_EEENSB_IJS8_SA_EEENS0_18inequality_wrapperIZN2at6native12_GLOBAL__N_124unique_dim_cuda_templateImEESt5tupleIJNSF_6TensorESK_SK_EERKSK_lbbbEUlllE0_EEPmJS9_EEE10hipError_tPvRmT3_T4_T5_T6_T7_T9_mT8_P12ihipStream_tbDpT10_ENKUlT_T0_E_clISt17integral_constantIbLb0EES19_IbLb1EEEEDaS15_S16_EUlS15_E_NS1_11comp_targetILNS1_3genE9ELNS1_11target_archE1100ELNS1_3gpuE3ELNS1_3repE0EEENS1_30default_config_static_selectorELNS0_4arch9wavefront6targetE1EEEvT1_, .Lfunc_end1736-_ZN7rocprim17ROCPRIM_400000_NS6detail17trampoline_kernelINS0_14default_configENS1_25partition_config_selectorILNS1_17partition_subalgoE9EllbEEZZNS1_14partition_implILS5_9ELb0ES3_jPlS8_PNS0_10empty_typeENS0_5tupleIJS8_S9_EEENSB_IJS8_SA_EEENS0_18inequality_wrapperIZN2at6native12_GLOBAL__N_124unique_dim_cuda_templateImEESt5tupleIJNSF_6TensorESK_SK_EERKSK_lbbbEUlllE0_EEPmJS9_EEE10hipError_tPvRmT3_T4_T5_T6_T7_T9_mT8_P12ihipStream_tbDpT10_ENKUlT_T0_E_clISt17integral_constantIbLb0EES19_IbLb1EEEEDaS15_S16_EUlS15_E_NS1_11comp_targetILNS1_3genE9ELNS1_11target_archE1100ELNS1_3gpuE3ELNS1_3repE0EEENS1_30default_config_static_selectorELNS0_4arch9wavefront6targetE1EEEvT1_
                                        ; -- End function
	.section	.AMDGPU.csdata,"",@progbits
; Kernel info:
; codeLenInByte = 0
; NumSgprs: 6
; NumVgprs: 0
; NumAgprs: 0
; TotalNumVgprs: 0
; ScratchSize: 0
; MemoryBound: 0
; FloatMode: 240
; IeeeMode: 1
; LDSByteSize: 0 bytes/workgroup (compile time only)
; SGPRBlocks: 0
; VGPRBlocks: 0
; NumSGPRsForWavesPerEU: 6
; NumVGPRsForWavesPerEU: 1
; AccumOffset: 4
; Occupancy: 8
; WaveLimiterHint : 0
; COMPUTE_PGM_RSRC2:SCRATCH_EN: 0
; COMPUTE_PGM_RSRC2:USER_SGPR: 2
; COMPUTE_PGM_RSRC2:TRAP_HANDLER: 0
; COMPUTE_PGM_RSRC2:TGID_X_EN: 1
; COMPUTE_PGM_RSRC2:TGID_Y_EN: 0
; COMPUTE_PGM_RSRC2:TGID_Z_EN: 0
; COMPUTE_PGM_RSRC2:TIDIG_COMP_CNT: 0
; COMPUTE_PGM_RSRC3_GFX90A:ACCUM_OFFSET: 0
; COMPUTE_PGM_RSRC3_GFX90A:TG_SPLIT: 0
	.section	.text._ZN7rocprim17ROCPRIM_400000_NS6detail17trampoline_kernelINS0_14default_configENS1_25partition_config_selectorILNS1_17partition_subalgoE9EllbEEZZNS1_14partition_implILS5_9ELb0ES3_jPlS8_PNS0_10empty_typeENS0_5tupleIJS8_S9_EEENSB_IJS8_SA_EEENS0_18inequality_wrapperIZN2at6native12_GLOBAL__N_124unique_dim_cuda_templateImEESt5tupleIJNSF_6TensorESK_SK_EERKSK_lbbbEUlllE0_EEPmJS9_EEE10hipError_tPvRmT3_T4_T5_T6_T7_T9_mT8_P12ihipStream_tbDpT10_ENKUlT_T0_E_clISt17integral_constantIbLb0EES19_IbLb1EEEEDaS15_S16_EUlS15_E_NS1_11comp_targetILNS1_3genE8ELNS1_11target_archE1030ELNS1_3gpuE2ELNS1_3repE0EEENS1_30default_config_static_selectorELNS0_4arch9wavefront6targetE1EEEvT1_,"axG",@progbits,_ZN7rocprim17ROCPRIM_400000_NS6detail17trampoline_kernelINS0_14default_configENS1_25partition_config_selectorILNS1_17partition_subalgoE9EllbEEZZNS1_14partition_implILS5_9ELb0ES3_jPlS8_PNS0_10empty_typeENS0_5tupleIJS8_S9_EEENSB_IJS8_SA_EEENS0_18inequality_wrapperIZN2at6native12_GLOBAL__N_124unique_dim_cuda_templateImEESt5tupleIJNSF_6TensorESK_SK_EERKSK_lbbbEUlllE0_EEPmJS9_EEE10hipError_tPvRmT3_T4_T5_T6_T7_T9_mT8_P12ihipStream_tbDpT10_ENKUlT_T0_E_clISt17integral_constantIbLb0EES19_IbLb1EEEEDaS15_S16_EUlS15_E_NS1_11comp_targetILNS1_3genE8ELNS1_11target_archE1030ELNS1_3gpuE2ELNS1_3repE0EEENS1_30default_config_static_selectorELNS0_4arch9wavefront6targetE1EEEvT1_,comdat
	.globl	_ZN7rocprim17ROCPRIM_400000_NS6detail17trampoline_kernelINS0_14default_configENS1_25partition_config_selectorILNS1_17partition_subalgoE9EllbEEZZNS1_14partition_implILS5_9ELb0ES3_jPlS8_PNS0_10empty_typeENS0_5tupleIJS8_S9_EEENSB_IJS8_SA_EEENS0_18inequality_wrapperIZN2at6native12_GLOBAL__N_124unique_dim_cuda_templateImEESt5tupleIJNSF_6TensorESK_SK_EERKSK_lbbbEUlllE0_EEPmJS9_EEE10hipError_tPvRmT3_T4_T5_T6_T7_T9_mT8_P12ihipStream_tbDpT10_ENKUlT_T0_E_clISt17integral_constantIbLb0EES19_IbLb1EEEEDaS15_S16_EUlS15_E_NS1_11comp_targetILNS1_3genE8ELNS1_11target_archE1030ELNS1_3gpuE2ELNS1_3repE0EEENS1_30default_config_static_selectorELNS0_4arch9wavefront6targetE1EEEvT1_ ; -- Begin function _ZN7rocprim17ROCPRIM_400000_NS6detail17trampoline_kernelINS0_14default_configENS1_25partition_config_selectorILNS1_17partition_subalgoE9EllbEEZZNS1_14partition_implILS5_9ELb0ES3_jPlS8_PNS0_10empty_typeENS0_5tupleIJS8_S9_EEENSB_IJS8_SA_EEENS0_18inequality_wrapperIZN2at6native12_GLOBAL__N_124unique_dim_cuda_templateImEESt5tupleIJNSF_6TensorESK_SK_EERKSK_lbbbEUlllE0_EEPmJS9_EEE10hipError_tPvRmT3_T4_T5_T6_T7_T9_mT8_P12ihipStream_tbDpT10_ENKUlT_T0_E_clISt17integral_constantIbLb0EES19_IbLb1EEEEDaS15_S16_EUlS15_E_NS1_11comp_targetILNS1_3genE8ELNS1_11target_archE1030ELNS1_3gpuE2ELNS1_3repE0EEENS1_30default_config_static_selectorELNS0_4arch9wavefront6targetE1EEEvT1_
	.p2align	8
	.type	_ZN7rocprim17ROCPRIM_400000_NS6detail17trampoline_kernelINS0_14default_configENS1_25partition_config_selectorILNS1_17partition_subalgoE9EllbEEZZNS1_14partition_implILS5_9ELb0ES3_jPlS8_PNS0_10empty_typeENS0_5tupleIJS8_S9_EEENSB_IJS8_SA_EEENS0_18inequality_wrapperIZN2at6native12_GLOBAL__N_124unique_dim_cuda_templateImEESt5tupleIJNSF_6TensorESK_SK_EERKSK_lbbbEUlllE0_EEPmJS9_EEE10hipError_tPvRmT3_T4_T5_T6_T7_T9_mT8_P12ihipStream_tbDpT10_ENKUlT_T0_E_clISt17integral_constantIbLb0EES19_IbLb1EEEEDaS15_S16_EUlS15_E_NS1_11comp_targetILNS1_3genE8ELNS1_11target_archE1030ELNS1_3gpuE2ELNS1_3repE0EEENS1_30default_config_static_selectorELNS0_4arch9wavefront6targetE1EEEvT1_,@function
_ZN7rocprim17ROCPRIM_400000_NS6detail17trampoline_kernelINS0_14default_configENS1_25partition_config_selectorILNS1_17partition_subalgoE9EllbEEZZNS1_14partition_implILS5_9ELb0ES3_jPlS8_PNS0_10empty_typeENS0_5tupleIJS8_S9_EEENSB_IJS8_SA_EEENS0_18inequality_wrapperIZN2at6native12_GLOBAL__N_124unique_dim_cuda_templateImEESt5tupleIJNSF_6TensorESK_SK_EERKSK_lbbbEUlllE0_EEPmJS9_EEE10hipError_tPvRmT3_T4_T5_T6_T7_T9_mT8_P12ihipStream_tbDpT10_ENKUlT_T0_E_clISt17integral_constantIbLb0EES19_IbLb1EEEEDaS15_S16_EUlS15_E_NS1_11comp_targetILNS1_3genE8ELNS1_11target_archE1030ELNS1_3gpuE2ELNS1_3repE0EEENS1_30default_config_static_selectorELNS0_4arch9wavefront6targetE1EEEvT1_: ; @_ZN7rocprim17ROCPRIM_400000_NS6detail17trampoline_kernelINS0_14default_configENS1_25partition_config_selectorILNS1_17partition_subalgoE9EllbEEZZNS1_14partition_implILS5_9ELb0ES3_jPlS8_PNS0_10empty_typeENS0_5tupleIJS8_S9_EEENSB_IJS8_SA_EEENS0_18inequality_wrapperIZN2at6native12_GLOBAL__N_124unique_dim_cuda_templateImEESt5tupleIJNSF_6TensorESK_SK_EERKSK_lbbbEUlllE0_EEPmJS9_EEE10hipError_tPvRmT3_T4_T5_T6_T7_T9_mT8_P12ihipStream_tbDpT10_ENKUlT_T0_E_clISt17integral_constantIbLb0EES19_IbLb1EEEEDaS15_S16_EUlS15_E_NS1_11comp_targetILNS1_3genE8ELNS1_11target_archE1030ELNS1_3gpuE2ELNS1_3repE0EEENS1_30default_config_static_selectorELNS0_4arch9wavefront6targetE1EEEvT1_
; %bb.0:
	.section	.rodata,"a",@progbits
	.p2align	6, 0x0
	.amdhsa_kernel _ZN7rocprim17ROCPRIM_400000_NS6detail17trampoline_kernelINS0_14default_configENS1_25partition_config_selectorILNS1_17partition_subalgoE9EllbEEZZNS1_14partition_implILS5_9ELb0ES3_jPlS8_PNS0_10empty_typeENS0_5tupleIJS8_S9_EEENSB_IJS8_SA_EEENS0_18inequality_wrapperIZN2at6native12_GLOBAL__N_124unique_dim_cuda_templateImEESt5tupleIJNSF_6TensorESK_SK_EERKSK_lbbbEUlllE0_EEPmJS9_EEE10hipError_tPvRmT3_T4_T5_T6_T7_T9_mT8_P12ihipStream_tbDpT10_ENKUlT_T0_E_clISt17integral_constantIbLb0EES19_IbLb1EEEEDaS15_S16_EUlS15_E_NS1_11comp_targetILNS1_3genE8ELNS1_11target_archE1030ELNS1_3gpuE2ELNS1_3repE0EEENS1_30default_config_static_selectorELNS0_4arch9wavefront6targetE1EEEvT1_
		.amdhsa_group_segment_fixed_size 0
		.amdhsa_private_segment_fixed_size 0
		.amdhsa_kernarg_size 136
		.amdhsa_user_sgpr_count 2
		.amdhsa_user_sgpr_dispatch_ptr 0
		.amdhsa_user_sgpr_queue_ptr 0
		.amdhsa_user_sgpr_kernarg_segment_ptr 1
		.amdhsa_user_sgpr_dispatch_id 0
		.amdhsa_user_sgpr_kernarg_preload_length 0
		.amdhsa_user_sgpr_kernarg_preload_offset 0
		.amdhsa_user_sgpr_private_segment_size 0
		.amdhsa_uses_dynamic_stack 0
		.amdhsa_enable_private_segment 0
		.amdhsa_system_sgpr_workgroup_id_x 1
		.amdhsa_system_sgpr_workgroup_id_y 0
		.amdhsa_system_sgpr_workgroup_id_z 0
		.amdhsa_system_sgpr_workgroup_info 0
		.amdhsa_system_vgpr_workitem_id 0
		.amdhsa_next_free_vgpr 1
		.amdhsa_next_free_sgpr 0
		.amdhsa_accum_offset 4
		.amdhsa_reserve_vcc 0
		.amdhsa_float_round_mode_32 0
		.amdhsa_float_round_mode_16_64 0
		.amdhsa_float_denorm_mode_32 3
		.amdhsa_float_denorm_mode_16_64 3
		.amdhsa_dx10_clamp 1
		.amdhsa_ieee_mode 1
		.amdhsa_fp16_overflow 0
		.amdhsa_tg_split 0
		.amdhsa_exception_fp_ieee_invalid_op 0
		.amdhsa_exception_fp_denorm_src 0
		.amdhsa_exception_fp_ieee_div_zero 0
		.amdhsa_exception_fp_ieee_overflow 0
		.amdhsa_exception_fp_ieee_underflow 0
		.amdhsa_exception_fp_ieee_inexact 0
		.amdhsa_exception_int_div_zero 0
	.end_amdhsa_kernel
	.section	.text._ZN7rocprim17ROCPRIM_400000_NS6detail17trampoline_kernelINS0_14default_configENS1_25partition_config_selectorILNS1_17partition_subalgoE9EllbEEZZNS1_14partition_implILS5_9ELb0ES3_jPlS8_PNS0_10empty_typeENS0_5tupleIJS8_S9_EEENSB_IJS8_SA_EEENS0_18inequality_wrapperIZN2at6native12_GLOBAL__N_124unique_dim_cuda_templateImEESt5tupleIJNSF_6TensorESK_SK_EERKSK_lbbbEUlllE0_EEPmJS9_EEE10hipError_tPvRmT3_T4_T5_T6_T7_T9_mT8_P12ihipStream_tbDpT10_ENKUlT_T0_E_clISt17integral_constantIbLb0EES19_IbLb1EEEEDaS15_S16_EUlS15_E_NS1_11comp_targetILNS1_3genE8ELNS1_11target_archE1030ELNS1_3gpuE2ELNS1_3repE0EEENS1_30default_config_static_selectorELNS0_4arch9wavefront6targetE1EEEvT1_,"axG",@progbits,_ZN7rocprim17ROCPRIM_400000_NS6detail17trampoline_kernelINS0_14default_configENS1_25partition_config_selectorILNS1_17partition_subalgoE9EllbEEZZNS1_14partition_implILS5_9ELb0ES3_jPlS8_PNS0_10empty_typeENS0_5tupleIJS8_S9_EEENSB_IJS8_SA_EEENS0_18inequality_wrapperIZN2at6native12_GLOBAL__N_124unique_dim_cuda_templateImEESt5tupleIJNSF_6TensorESK_SK_EERKSK_lbbbEUlllE0_EEPmJS9_EEE10hipError_tPvRmT3_T4_T5_T6_T7_T9_mT8_P12ihipStream_tbDpT10_ENKUlT_T0_E_clISt17integral_constantIbLb0EES19_IbLb1EEEEDaS15_S16_EUlS15_E_NS1_11comp_targetILNS1_3genE8ELNS1_11target_archE1030ELNS1_3gpuE2ELNS1_3repE0EEENS1_30default_config_static_selectorELNS0_4arch9wavefront6targetE1EEEvT1_,comdat
.Lfunc_end1737:
	.size	_ZN7rocprim17ROCPRIM_400000_NS6detail17trampoline_kernelINS0_14default_configENS1_25partition_config_selectorILNS1_17partition_subalgoE9EllbEEZZNS1_14partition_implILS5_9ELb0ES3_jPlS8_PNS0_10empty_typeENS0_5tupleIJS8_S9_EEENSB_IJS8_SA_EEENS0_18inequality_wrapperIZN2at6native12_GLOBAL__N_124unique_dim_cuda_templateImEESt5tupleIJNSF_6TensorESK_SK_EERKSK_lbbbEUlllE0_EEPmJS9_EEE10hipError_tPvRmT3_T4_T5_T6_T7_T9_mT8_P12ihipStream_tbDpT10_ENKUlT_T0_E_clISt17integral_constantIbLb0EES19_IbLb1EEEEDaS15_S16_EUlS15_E_NS1_11comp_targetILNS1_3genE8ELNS1_11target_archE1030ELNS1_3gpuE2ELNS1_3repE0EEENS1_30default_config_static_selectorELNS0_4arch9wavefront6targetE1EEEvT1_, .Lfunc_end1737-_ZN7rocprim17ROCPRIM_400000_NS6detail17trampoline_kernelINS0_14default_configENS1_25partition_config_selectorILNS1_17partition_subalgoE9EllbEEZZNS1_14partition_implILS5_9ELb0ES3_jPlS8_PNS0_10empty_typeENS0_5tupleIJS8_S9_EEENSB_IJS8_SA_EEENS0_18inequality_wrapperIZN2at6native12_GLOBAL__N_124unique_dim_cuda_templateImEESt5tupleIJNSF_6TensorESK_SK_EERKSK_lbbbEUlllE0_EEPmJS9_EEE10hipError_tPvRmT3_T4_T5_T6_T7_T9_mT8_P12ihipStream_tbDpT10_ENKUlT_T0_E_clISt17integral_constantIbLb0EES19_IbLb1EEEEDaS15_S16_EUlS15_E_NS1_11comp_targetILNS1_3genE8ELNS1_11target_archE1030ELNS1_3gpuE2ELNS1_3repE0EEENS1_30default_config_static_selectorELNS0_4arch9wavefront6targetE1EEEvT1_
                                        ; -- End function
	.section	.AMDGPU.csdata,"",@progbits
; Kernel info:
; codeLenInByte = 0
; NumSgprs: 6
; NumVgprs: 0
; NumAgprs: 0
; TotalNumVgprs: 0
; ScratchSize: 0
; MemoryBound: 0
; FloatMode: 240
; IeeeMode: 1
; LDSByteSize: 0 bytes/workgroup (compile time only)
; SGPRBlocks: 0
; VGPRBlocks: 0
; NumSGPRsForWavesPerEU: 6
; NumVGPRsForWavesPerEU: 1
; AccumOffset: 4
; Occupancy: 8
; WaveLimiterHint : 0
; COMPUTE_PGM_RSRC2:SCRATCH_EN: 0
; COMPUTE_PGM_RSRC2:USER_SGPR: 2
; COMPUTE_PGM_RSRC2:TRAP_HANDLER: 0
; COMPUTE_PGM_RSRC2:TGID_X_EN: 1
; COMPUTE_PGM_RSRC2:TGID_Y_EN: 0
; COMPUTE_PGM_RSRC2:TGID_Z_EN: 0
; COMPUTE_PGM_RSRC2:TIDIG_COMP_CNT: 0
; COMPUTE_PGM_RSRC3_GFX90A:ACCUM_OFFSET: 0
; COMPUTE_PGM_RSRC3_GFX90A:TG_SPLIT: 0
	.text
	.p2alignl 6, 3212836864
	.fill 256, 4, 3212836864
	.type	__hip_cuid_546f87579f125813,@object ; @__hip_cuid_546f87579f125813
	.section	.bss,"aw",@nobits
	.globl	__hip_cuid_546f87579f125813
__hip_cuid_546f87579f125813:
	.byte	0                               ; 0x0
	.size	__hip_cuid_546f87579f125813, 1

	.ident	"AMD clang version 19.0.0git (https://github.com/RadeonOpenCompute/llvm-project roc-6.4.0 25133 c7fe45cf4b819c5991fe208aaa96edf142730f1d)"
	.section	".note.GNU-stack","",@progbits
	.addrsig
	.addrsig_sym __hip_cuid_546f87579f125813
	.amdgpu_metadata
---
amdhsa.kernels:
  - .agpr_count:     0
    .args:           []
    .group_segment_fixed_size: 0
    .kernarg_segment_align: 4
    .kernarg_segment_size: 0
    .language:       OpenCL C
    .language_version:
      - 2
      - 0
    .max_flat_workgroup_size: 1024
    .name:           _ZN7rocprim17ROCPRIM_400000_NS6detail44device_merge_sort_compile_time_verifier_archINS1_11comp_targetILNS1_3genE0ELNS1_11target_archE4294967295ELNS1_3gpuE0ELNS1_3repE0EEES8_NS0_14default_configES9_NS1_37merge_sort_block_sort_config_selectorIlNS0_10empty_typeEEENS1_38merge_sort_block_merge_config_selectorIlSB_EEEEvv
    .private_segment_fixed_size: 0
    .sgpr_count:     6
    .sgpr_spill_count: 0
    .symbol:         _ZN7rocprim17ROCPRIM_400000_NS6detail44device_merge_sort_compile_time_verifier_archINS1_11comp_targetILNS1_3genE0ELNS1_11target_archE4294967295ELNS1_3gpuE0ELNS1_3repE0EEES8_NS0_14default_configES9_NS1_37merge_sort_block_sort_config_selectorIlNS0_10empty_typeEEENS1_38merge_sort_block_merge_config_selectorIlSB_EEEEvv.kd
    .uniform_work_group_size: 1
    .uses_dynamic_stack: false
    .vgpr_count:     0
    .vgpr_spill_count: 0
    .wavefront_size: 64
  - .agpr_count:     0
    .args:           []
    .group_segment_fixed_size: 0
    .kernarg_segment_align: 4
    .kernarg_segment_size: 0
    .language:       OpenCL C
    .language_version:
      - 2
      - 0
    .max_flat_workgroup_size: 1024
    .name:           _ZN7rocprim17ROCPRIM_400000_NS6detail44device_merge_sort_compile_time_verifier_archINS1_11comp_targetILNS1_3genE5ELNS1_11target_archE942ELNS1_3gpuE9ELNS1_3repE0EEES8_NS0_14default_configES9_NS1_37merge_sort_block_sort_config_selectorIlNS0_10empty_typeEEENS1_38merge_sort_block_merge_config_selectorIlSB_EEEEvv
    .private_segment_fixed_size: 0
    .sgpr_count:     6
    .sgpr_spill_count: 0
    .symbol:         _ZN7rocprim17ROCPRIM_400000_NS6detail44device_merge_sort_compile_time_verifier_archINS1_11comp_targetILNS1_3genE5ELNS1_11target_archE942ELNS1_3gpuE9ELNS1_3repE0EEES8_NS0_14default_configES9_NS1_37merge_sort_block_sort_config_selectorIlNS0_10empty_typeEEENS1_38merge_sort_block_merge_config_selectorIlSB_EEEEvv.kd
    .uniform_work_group_size: 1
    .uses_dynamic_stack: false
    .vgpr_count:     0
    .vgpr_spill_count: 0
    .wavefront_size: 64
  - .agpr_count:     0
    .args:           []
    .group_segment_fixed_size: 0
    .kernarg_segment_align: 4
    .kernarg_segment_size: 0
    .language:       OpenCL C
    .language_version:
      - 2
      - 0
    .max_flat_workgroup_size: 1024
    .name:           _ZN7rocprim17ROCPRIM_400000_NS6detail44device_merge_sort_compile_time_verifier_archINS1_11comp_targetILNS1_3genE4ELNS1_11target_archE910ELNS1_3gpuE8ELNS1_3repE0EEES8_NS0_14default_configES9_NS1_37merge_sort_block_sort_config_selectorIlNS0_10empty_typeEEENS1_38merge_sort_block_merge_config_selectorIlSB_EEEEvv
    .private_segment_fixed_size: 0
    .sgpr_count:     6
    .sgpr_spill_count: 0
    .symbol:         _ZN7rocprim17ROCPRIM_400000_NS6detail44device_merge_sort_compile_time_verifier_archINS1_11comp_targetILNS1_3genE4ELNS1_11target_archE910ELNS1_3gpuE8ELNS1_3repE0EEES8_NS0_14default_configES9_NS1_37merge_sort_block_sort_config_selectorIlNS0_10empty_typeEEENS1_38merge_sort_block_merge_config_selectorIlSB_EEEEvv.kd
    .uniform_work_group_size: 1
    .uses_dynamic_stack: false
    .vgpr_count:     0
    .vgpr_spill_count: 0
    .wavefront_size: 64
  - .agpr_count:     0
    .args:           []
    .group_segment_fixed_size: 0
    .kernarg_segment_align: 4
    .kernarg_segment_size: 0
    .language:       OpenCL C
    .language_version:
      - 2
      - 0
    .max_flat_workgroup_size: 1024
    .name:           _ZN7rocprim17ROCPRIM_400000_NS6detail44device_merge_sort_compile_time_verifier_archINS1_11comp_targetILNS1_3genE3ELNS1_11target_archE908ELNS1_3gpuE7ELNS1_3repE0EEES8_NS0_14default_configES9_NS1_37merge_sort_block_sort_config_selectorIlNS0_10empty_typeEEENS1_38merge_sort_block_merge_config_selectorIlSB_EEEEvv
    .private_segment_fixed_size: 0
    .sgpr_count:     6
    .sgpr_spill_count: 0
    .symbol:         _ZN7rocprim17ROCPRIM_400000_NS6detail44device_merge_sort_compile_time_verifier_archINS1_11comp_targetILNS1_3genE3ELNS1_11target_archE908ELNS1_3gpuE7ELNS1_3repE0EEES8_NS0_14default_configES9_NS1_37merge_sort_block_sort_config_selectorIlNS0_10empty_typeEEENS1_38merge_sort_block_merge_config_selectorIlSB_EEEEvv.kd
    .uniform_work_group_size: 1
    .uses_dynamic_stack: false
    .vgpr_count:     0
    .vgpr_spill_count: 0
    .wavefront_size: 64
  - .agpr_count:     0
    .args:           []
    .group_segment_fixed_size: 0
    .kernarg_segment_align: 4
    .kernarg_segment_size: 0
    .language:       OpenCL C
    .language_version:
      - 2
      - 0
    .max_flat_workgroup_size: 1024
    .name:           _ZN7rocprim17ROCPRIM_400000_NS6detail44device_merge_sort_compile_time_verifier_archINS1_11comp_targetILNS1_3genE2ELNS1_11target_archE906ELNS1_3gpuE6ELNS1_3repE0EEES8_NS0_14default_configES9_NS1_37merge_sort_block_sort_config_selectorIlNS0_10empty_typeEEENS1_38merge_sort_block_merge_config_selectorIlSB_EEEEvv
    .private_segment_fixed_size: 0
    .sgpr_count:     6
    .sgpr_spill_count: 0
    .symbol:         _ZN7rocprim17ROCPRIM_400000_NS6detail44device_merge_sort_compile_time_verifier_archINS1_11comp_targetILNS1_3genE2ELNS1_11target_archE906ELNS1_3gpuE6ELNS1_3repE0EEES8_NS0_14default_configES9_NS1_37merge_sort_block_sort_config_selectorIlNS0_10empty_typeEEENS1_38merge_sort_block_merge_config_selectorIlSB_EEEEvv.kd
    .uniform_work_group_size: 1
    .uses_dynamic_stack: false
    .vgpr_count:     0
    .vgpr_spill_count: 0
    .wavefront_size: 64
  - .agpr_count:     0
    .args:           []
    .group_segment_fixed_size: 0
    .kernarg_segment_align: 4
    .kernarg_segment_size: 0
    .language:       OpenCL C
    .language_version:
      - 2
      - 0
    .max_flat_workgroup_size: 1024
    .name:           _ZN7rocprim17ROCPRIM_400000_NS6detail44device_merge_sort_compile_time_verifier_archINS1_11comp_targetILNS1_3genE10ELNS1_11target_archE1201ELNS1_3gpuE5ELNS1_3repE0EEES8_NS0_14default_configES9_NS1_37merge_sort_block_sort_config_selectorIlNS0_10empty_typeEEENS1_38merge_sort_block_merge_config_selectorIlSB_EEEEvv
    .private_segment_fixed_size: 0
    .sgpr_count:     6
    .sgpr_spill_count: 0
    .symbol:         _ZN7rocprim17ROCPRIM_400000_NS6detail44device_merge_sort_compile_time_verifier_archINS1_11comp_targetILNS1_3genE10ELNS1_11target_archE1201ELNS1_3gpuE5ELNS1_3repE0EEES8_NS0_14default_configES9_NS1_37merge_sort_block_sort_config_selectorIlNS0_10empty_typeEEENS1_38merge_sort_block_merge_config_selectorIlSB_EEEEvv.kd
    .uniform_work_group_size: 1
    .uses_dynamic_stack: false
    .vgpr_count:     0
    .vgpr_spill_count: 0
    .wavefront_size: 64
  - .agpr_count:     0
    .args:           []
    .group_segment_fixed_size: 0
    .kernarg_segment_align: 4
    .kernarg_segment_size: 0
    .language:       OpenCL C
    .language_version:
      - 2
      - 0
    .max_flat_workgroup_size: 1024
    .name:           _ZN7rocprim17ROCPRIM_400000_NS6detail44device_merge_sort_compile_time_verifier_archINS1_11comp_targetILNS1_3genE10ELNS1_11target_archE1200ELNS1_3gpuE4ELNS1_3repE0EEENS3_ILS4_10ELS5_1201ELS6_5ELS7_0EEENS0_14default_configESA_NS1_37merge_sort_block_sort_config_selectorIlNS0_10empty_typeEEENS1_38merge_sort_block_merge_config_selectorIlSC_EEEEvv
    .private_segment_fixed_size: 0
    .sgpr_count:     6
    .sgpr_spill_count: 0
    .symbol:         _ZN7rocprim17ROCPRIM_400000_NS6detail44device_merge_sort_compile_time_verifier_archINS1_11comp_targetILNS1_3genE10ELNS1_11target_archE1200ELNS1_3gpuE4ELNS1_3repE0EEENS3_ILS4_10ELS5_1201ELS6_5ELS7_0EEENS0_14default_configESA_NS1_37merge_sort_block_sort_config_selectorIlNS0_10empty_typeEEENS1_38merge_sort_block_merge_config_selectorIlSC_EEEEvv.kd
    .uniform_work_group_size: 1
    .uses_dynamic_stack: false
    .vgpr_count:     0
    .vgpr_spill_count: 0
    .wavefront_size: 64
  - .agpr_count:     0
    .args:           []
    .group_segment_fixed_size: 0
    .kernarg_segment_align: 4
    .kernarg_segment_size: 0
    .language:       OpenCL C
    .language_version:
      - 2
      - 0
    .max_flat_workgroup_size: 1024
    .name:           _ZN7rocprim17ROCPRIM_400000_NS6detail44device_merge_sort_compile_time_verifier_archINS1_11comp_targetILNS1_3genE9ELNS1_11target_archE1100ELNS1_3gpuE3ELNS1_3repE0EEES8_NS0_14default_configES9_NS1_37merge_sort_block_sort_config_selectorIlNS0_10empty_typeEEENS1_38merge_sort_block_merge_config_selectorIlSB_EEEEvv
    .private_segment_fixed_size: 0
    .sgpr_count:     6
    .sgpr_spill_count: 0
    .symbol:         _ZN7rocprim17ROCPRIM_400000_NS6detail44device_merge_sort_compile_time_verifier_archINS1_11comp_targetILNS1_3genE9ELNS1_11target_archE1100ELNS1_3gpuE3ELNS1_3repE0EEES8_NS0_14default_configES9_NS1_37merge_sort_block_sort_config_selectorIlNS0_10empty_typeEEENS1_38merge_sort_block_merge_config_selectorIlSB_EEEEvv.kd
    .uniform_work_group_size: 1
    .uses_dynamic_stack: false
    .vgpr_count:     0
    .vgpr_spill_count: 0
    .wavefront_size: 64
  - .agpr_count:     0
    .args:           []
    .group_segment_fixed_size: 0
    .kernarg_segment_align: 4
    .kernarg_segment_size: 0
    .language:       OpenCL C
    .language_version:
      - 2
      - 0
    .max_flat_workgroup_size: 1024
    .name:           _ZN7rocprim17ROCPRIM_400000_NS6detail44device_merge_sort_compile_time_verifier_archINS1_11comp_targetILNS1_3genE8ELNS1_11target_archE1030ELNS1_3gpuE2ELNS1_3repE0EEES8_NS0_14default_configES9_NS1_37merge_sort_block_sort_config_selectorIlNS0_10empty_typeEEENS1_38merge_sort_block_merge_config_selectorIlSB_EEEEvv
    .private_segment_fixed_size: 0
    .sgpr_count:     6
    .sgpr_spill_count: 0
    .symbol:         _ZN7rocprim17ROCPRIM_400000_NS6detail44device_merge_sort_compile_time_verifier_archINS1_11comp_targetILNS1_3genE8ELNS1_11target_archE1030ELNS1_3gpuE2ELNS1_3repE0EEES8_NS0_14default_configES9_NS1_37merge_sort_block_sort_config_selectorIlNS0_10empty_typeEEENS1_38merge_sort_block_merge_config_selectorIlSB_EEEEvv.kd
    .uniform_work_group_size: 1
    .uses_dynamic_stack: false
    .vgpr_count:     0
    .vgpr_spill_count: 0
    .wavefront_size: 64
  - .agpr_count:     0
    .args:
      - .offset:         0
        .size:           72
        .value_kind:     by_value
    .group_segment_fixed_size: 0
    .kernarg_segment_align: 8
    .kernarg_segment_size: 72
    .language:       OpenCL C
    .language_version:
      - 2
      - 0
    .max_flat_workgroup_size: 256
    .name:           _ZN7rocprim17ROCPRIM_400000_NS6detail17trampoline_kernelINS0_14default_configENS1_37merge_sort_block_sort_config_selectorIlNS0_10empty_typeEEEZNS1_21merge_sort_block_sortIS3_PlS8_PS5_S9_ZN2at6native12_GLOBAL__N_124unique_dim_cuda_templateIhEESt5tupleIJNSA_6TensorESF_SF_EERKSF_lbbbEUlllE_EE10hipError_tT0_T1_T2_T3_mRjT4_P12ihipStream_tbNS1_7vsmem_tEEUlT_E_NS1_11comp_targetILNS1_3genE0ELNS1_11target_archE4294967295ELNS1_3gpuE0ELNS1_3repE0EEENS1_30default_config_static_selectorELNS0_4arch9wavefront6targetE1EEEvSM_
    .private_segment_fixed_size: 0
    .sgpr_count:     6
    .sgpr_spill_count: 0
    .symbol:         _ZN7rocprim17ROCPRIM_400000_NS6detail17trampoline_kernelINS0_14default_configENS1_37merge_sort_block_sort_config_selectorIlNS0_10empty_typeEEEZNS1_21merge_sort_block_sortIS3_PlS8_PS5_S9_ZN2at6native12_GLOBAL__N_124unique_dim_cuda_templateIhEESt5tupleIJNSA_6TensorESF_SF_EERKSF_lbbbEUlllE_EE10hipError_tT0_T1_T2_T3_mRjT4_P12ihipStream_tbNS1_7vsmem_tEEUlT_E_NS1_11comp_targetILNS1_3genE0ELNS1_11target_archE4294967295ELNS1_3gpuE0ELNS1_3repE0EEENS1_30default_config_static_selectorELNS0_4arch9wavefront6targetE1EEEvSM_.kd
    .uniform_work_group_size: 1
    .uses_dynamic_stack: false
    .vgpr_count:     0
    .vgpr_spill_count: 0
    .wavefront_size: 64
  - .agpr_count:     0
    .args:
      - .offset:         0
        .size:           72
        .value_kind:     by_value
      - .offset:         72
        .size:           4
        .value_kind:     hidden_block_count_x
      - .offset:         76
        .size:           4
        .value_kind:     hidden_block_count_y
      - .offset:         80
        .size:           4
        .value_kind:     hidden_block_count_z
      - .offset:         84
        .size:           2
        .value_kind:     hidden_group_size_x
      - .offset:         86
        .size:           2
        .value_kind:     hidden_group_size_y
      - .offset:         88
        .size:           2
        .value_kind:     hidden_group_size_z
      - .offset:         90
        .size:           2
        .value_kind:     hidden_remainder_x
      - .offset:         92
        .size:           2
        .value_kind:     hidden_remainder_y
      - .offset:         94
        .size:           2
        .value_kind:     hidden_remainder_z
      - .offset:         112
        .size:           8
        .value_kind:     hidden_global_offset_x
      - .offset:         120
        .size:           8
        .value_kind:     hidden_global_offset_y
      - .offset:         128
        .size:           8
        .value_kind:     hidden_global_offset_z
      - .offset:         136
        .size:           2
        .value_kind:     hidden_grid_dims
      - .offset:         152
        .size:           8
        .value_kind:     hidden_hostcall_buffer
      - .offset:         160
        .size:           8
        .value_kind:     hidden_multigrid_sync_arg
      - .offset:         168
        .size:           8
        .value_kind:     hidden_heap_v1
      - .offset:         176
        .size:           8
        .value_kind:     hidden_default_queue
      - .offset:         184
        .size:           8
        .value_kind:     hidden_completion_action
      - .offset:         272
        .size:           8
        .value_kind:     hidden_queue_ptr
    .group_segment_fixed_size: 16896
    .kernarg_segment_align: 8
    .kernarg_segment_size: 328
    .language:       OpenCL C
    .language_version:
      - 2
      - 0
    .max_flat_workgroup_size: 256
    .name:           _ZN7rocprim17ROCPRIM_400000_NS6detail17trampoline_kernelINS0_14default_configENS1_37merge_sort_block_sort_config_selectorIlNS0_10empty_typeEEEZNS1_21merge_sort_block_sortIS3_PlS8_PS5_S9_ZN2at6native12_GLOBAL__N_124unique_dim_cuda_templateIhEESt5tupleIJNSA_6TensorESF_SF_EERKSF_lbbbEUlllE_EE10hipError_tT0_T1_T2_T3_mRjT4_P12ihipStream_tbNS1_7vsmem_tEEUlT_E_NS1_11comp_targetILNS1_3genE5ELNS1_11target_archE942ELNS1_3gpuE9ELNS1_3repE0EEENS1_30default_config_static_selectorELNS0_4arch9wavefront6targetE1EEEvSM_
    .private_segment_fixed_size: 8
    .sgpr_count:     74
    .sgpr_spill_count: 0
    .symbol:         _ZN7rocprim17ROCPRIM_400000_NS6detail17trampoline_kernelINS0_14default_configENS1_37merge_sort_block_sort_config_selectorIlNS0_10empty_typeEEEZNS1_21merge_sort_block_sortIS3_PlS8_PS5_S9_ZN2at6native12_GLOBAL__N_124unique_dim_cuda_templateIhEESt5tupleIJNSA_6TensorESF_SF_EERKSF_lbbbEUlllE_EE10hipError_tT0_T1_T2_T3_mRjT4_P12ihipStream_tbNS1_7vsmem_tEEUlT_E_NS1_11comp_targetILNS1_3genE5ELNS1_11target_archE942ELNS1_3gpuE9ELNS1_3repE0EEENS1_30default_config_static_selectorELNS0_4arch9wavefront6targetE1EEEvSM_.kd
    .uniform_work_group_size: 1
    .uses_dynamic_stack: false
    .vgpr_count:     119
    .vgpr_spill_count: 0
    .wavefront_size: 64
  - .agpr_count:     0
    .args:
      - .offset:         0
        .size:           72
        .value_kind:     by_value
    .group_segment_fixed_size: 0
    .kernarg_segment_align: 8
    .kernarg_segment_size: 72
    .language:       OpenCL C
    .language_version:
      - 2
      - 0
    .max_flat_workgroup_size: 256
    .name:           _ZN7rocprim17ROCPRIM_400000_NS6detail17trampoline_kernelINS0_14default_configENS1_37merge_sort_block_sort_config_selectorIlNS0_10empty_typeEEEZNS1_21merge_sort_block_sortIS3_PlS8_PS5_S9_ZN2at6native12_GLOBAL__N_124unique_dim_cuda_templateIhEESt5tupleIJNSA_6TensorESF_SF_EERKSF_lbbbEUlllE_EE10hipError_tT0_T1_T2_T3_mRjT4_P12ihipStream_tbNS1_7vsmem_tEEUlT_E_NS1_11comp_targetILNS1_3genE4ELNS1_11target_archE910ELNS1_3gpuE8ELNS1_3repE0EEENS1_30default_config_static_selectorELNS0_4arch9wavefront6targetE1EEEvSM_
    .private_segment_fixed_size: 0
    .sgpr_count:     6
    .sgpr_spill_count: 0
    .symbol:         _ZN7rocprim17ROCPRIM_400000_NS6detail17trampoline_kernelINS0_14default_configENS1_37merge_sort_block_sort_config_selectorIlNS0_10empty_typeEEEZNS1_21merge_sort_block_sortIS3_PlS8_PS5_S9_ZN2at6native12_GLOBAL__N_124unique_dim_cuda_templateIhEESt5tupleIJNSA_6TensorESF_SF_EERKSF_lbbbEUlllE_EE10hipError_tT0_T1_T2_T3_mRjT4_P12ihipStream_tbNS1_7vsmem_tEEUlT_E_NS1_11comp_targetILNS1_3genE4ELNS1_11target_archE910ELNS1_3gpuE8ELNS1_3repE0EEENS1_30default_config_static_selectorELNS0_4arch9wavefront6targetE1EEEvSM_.kd
    .uniform_work_group_size: 1
    .uses_dynamic_stack: false
    .vgpr_count:     0
    .vgpr_spill_count: 0
    .wavefront_size: 64
  - .agpr_count:     0
    .args:
      - .offset:         0
        .size:           72
        .value_kind:     by_value
    .group_segment_fixed_size: 0
    .kernarg_segment_align: 8
    .kernarg_segment_size: 72
    .language:       OpenCL C
    .language_version:
      - 2
      - 0
    .max_flat_workgroup_size: 256
    .name:           _ZN7rocprim17ROCPRIM_400000_NS6detail17trampoline_kernelINS0_14default_configENS1_37merge_sort_block_sort_config_selectorIlNS0_10empty_typeEEEZNS1_21merge_sort_block_sortIS3_PlS8_PS5_S9_ZN2at6native12_GLOBAL__N_124unique_dim_cuda_templateIhEESt5tupleIJNSA_6TensorESF_SF_EERKSF_lbbbEUlllE_EE10hipError_tT0_T1_T2_T3_mRjT4_P12ihipStream_tbNS1_7vsmem_tEEUlT_E_NS1_11comp_targetILNS1_3genE3ELNS1_11target_archE908ELNS1_3gpuE7ELNS1_3repE0EEENS1_30default_config_static_selectorELNS0_4arch9wavefront6targetE1EEEvSM_
    .private_segment_fixed_size: 0
    .sgpr_count:     6
    .sgpr_spill_count: 0
    .symbol:         _ZN7rocprim17ROCPRIM_400000_NS6detail17trampoline_kernelINS0_14default_configENS1_37merge_sort_block_sort_config_selectorIlNS0_10empty_typeEEEZNS1_21merge_sort_block_sortIS3_PlS8_PS5_S9_ZN2at6native12_GLOBAL__N_124unique_dim_cuda_templateIhEESt5tupleIJNSA_6TensorESF_SF_EERKSF_lbbbEUlllE_EE10hipError_tT0_T1_T2_T3_mRjT4_P12ihipStream_tbNS1_7vsmem_tEEUlT_E_NS1_11comp_targetILNS1_3genE3ELNS1_11target_archE908ELNS1_3gpuE7ELNS1_3repE0EEENS1_30default_config_static_selectorELNS0_4arch9wavefront6targetE1EEEvSM_.kd
    .uniform_work_group_size: 1
    .uses_dynamic_stack: false
    .vgpr_count:     0
    .vgpr_spill_count: 0
    .wavefront_size: 64
  - .agpr_count:     0
    .args:
      - .offset:         0
        .size:           72
        .value_kind:     by_value
    .group_segment_fixed_size: 0
    .kernarg_segment_align: 8
    .kernarg_segment_size: 72
    .language:       OpenCL C
    .language_version:
      - 2
      - 0
    .max_flat_workgroup_size: 256
    .name:           _ZN7rocprim17ROCPRIM_400000_NS6detail17trampoline_kernelINS0_14default_configENS1_37merge_sort_block_sort_config_selectorIlNS0_10empty_typeEEEZNS1_21merge_sort_block_sortIS3_PlS8_PS5_S9_ZN2at6native12_GLOBAL__N_124unique_dim_cuda_templateIhEESt5tupleIJNSA_6TensorESF_SF_EERKSF_lbbbEUlllE_EE10hipError_tT0_T1_T2_T3_mRjT4_P12ihipStream_tbNS1_7vsmem_tEEUlT_E_NS1_11comp_targetILNS1_3genE2ELNS1_11target_archE906ELNS1_3gpuE6ELNS1_3repE0EEENS1_30default_config_static_selectorELNS0_4arch9wavefront6targetE1EEEvSM_
    .private_segment_fixed_size: 0
    .sgpr_count:     6
    .sgpr_spill_count: 0
    .symbol:         _ZN7rocprim17ROCPRIM_400000_NS6detail17trampoline_kernelINS0_14default_configENS1_37merge_sort_block_sort_config_selectorIlNS0_10empty_typeEEEZNS1_21merge_sort_block_sortIS3_PlS8_PS5_S9_ZN2at6native12_GLOBAL__N_124unique_dim_cuda_templateIhEESt5tupleIJNSA_6TensorESF_SF_EERKSF_lbbbEUlllE_EE10hipError_tT0_T1_T2_T3_mRjT4_P12ihipStream_tbNS1_7vsmem_tEEUlT_E_NS1_11comp_targetILNS1_3genE2ELNS1_11target_archE906ELNS1_3gpuE6ELNS1_3repE0EEENS1_30default_config_static_selectorELNS0_4arch9wavefront6targetE1EEEvSM_.kd
    .uniform_work_group_size: 1
    .uses_dynamic_stack: false
    .vgpr_count:     0
    .vgpr_spill_count: 0
    .wavefront_size: 64
  - .agpr_count:     0
    .args:
      - .offset:         0
        .size:           72
        .value_kind:     by_value
    .group_segment_fixed_size: 0
    .kernarg_segment_align: 8
    .kernarg_segment_size: 72
    .language:       OpenCL C
    .language_version:
      - 2
      - 0
    .max_flat_workgroup_size: 256
    .name:           _ZN7rocprim17ROCPRIM_400000_NS6detail17trampoline_kernelINS0_14default_configENS1_37merge_sort_block_sort_config_selectorIlNS0_10empty_typeEEEZNS1_21merge_sort_block_sortIS3_PlS8_PS5_S9_ZN2at6native12_GLOBAL__N_124unique_dim_cuda_templateIhEESt5tupleIJNSA_6TensorESF_SF_EERKSF_lbbbEUlllE_EE10hipError_tT0_T1_T2_T3_mRjT4_P12ihipStream_tbNS1_7vsmem_tEEUlT_E_NS1_11comp_targetILNS1_3genE10ELNS1_11target_archE1201ELNS1_3gpuE5ELNS1_3repE0EEENS1_30default_config_static_selectorELNS0_4arch9wavefront6targetE1EEEvSM_
    .private_segment_fixed_size: 0
    .sgpr_count:     6
    .sgpr_spill_count: 0
    .symbol:         _ZN7rocprim17ROCPRIM_400000_NS6detail17trampoline_kernelINS0_14default_configENS1_37merge_sort_block_sort_config_selectorIlNS0_10empty_typeEEEZNS1_21merge_sort_block_sortIS3_PlS8_PS5_S9_ZN2at6native12_GLOBAL__N_124unique_dim_cuda_templateIhEESt5tupleIJNSA_6TensorESF_SF_EERKSF_lbbbEUlllE_EE10hipError_tT0_T1_T2_T3_mRjT4_P12ihipStream_tbNS1_7vsmem_tEEUlT_E_NS1_11comp_targetILNS1_3genE10ELNS1_11target_archE1201ELNS1_3gpuE5ELNS1_3repE0EEENS1_30default_config_static_selectorELNS0_4arch9wavefront6targetE1EEEvSM_.kd
    .uniform_work_group_size: 1
    .uses_dynamic_stack: false
    .vgpr_count:     0
    .vgpr_spill_count: 0
    .wavefront_size: 64
  - .agpr_count:     0
    .args:
      - .offset:         0
        .size:           72
        .value_kind:     by_value
    .group_segment_fixed_size: 0
    .kernarg_segment_align: 8
    .kernarg_segment_size: 72
    .language:       OpenCL C
    .language_version:
      - 2
      - 0
    .max_flat_workgroup_size: 512
    .name:           _ZN7rocprim17ROCPRIM_400000_NS6detail17trampoline_kernelINS0_14default_configENS1_37merge_sort_block_sort_config_selectorIlNS0_10empty_typeEEEZNS1_21merge_sort_block_sortIS3_PlS8_PS5_S9_ZN2at6native12_GLOBAL__N_124unique_dim_cuda_templateIhEESt5tupleIJNSA_6TensorESF_SF_EERKSF_lbbbEUlllE_EE10hipError_tT0_T1_T2_T3_mRjT4_P12ihipStream_tbNS1_7vsmem_tEEUlT_E_NS1_11comp_targetILNS1_3genE10ELNS1_11target_archE1200ELNS1_3gpuE4ELNS1_3repE0EEENS1_30default_config_static_selectorELNS0_4arch9wavefront6targetE1EEEvSM_
    .private_segment_fixed_size: 0
    .sgpr_count:     6
    .sgpr_spill_count: 0
    .symbol:         _ZN7rocprim17ROCPRIM_400000_NS6detail17trampoline_kernelINS0_14default_configENS1_37merge_sort_block_sort_config_selectorIlNS0_10empty_typeEEEZNS1_21merge_sort_block_sortIS3_PlS8_PS5_S9_ZN2at6native12_GLOBAL__N_124unique_dim_cuda_templateIhEESt5tupleIJNSA_6TensorESF_SF_EERKSF_lbbbEUlllE_EE10hipError_tT0_T1_T2_T3_mRjT4_P12ihipStream_tbNS1_7vsmem_tEEUlT_E_NS1_11comp_targetILNS1_3genE10ELNS1_11target_archE1200ELNS1_3gpuE4ELNS1_3repE0EEENS1_30default_config_static_selectorELNS0_4arch9wavefront6targetE1EEEvSM_.kd
    .uniform_work_group_size: 1
    .uses_dynamic_stack: false
    .vgpr_count:     0
    .vgpr_spill_count: 0
    .wavefront_size: 64
  - .agpr_count:     0
    .args:
      - .offset:         0
        .size:           72
        .value_kind:     by_value
    .group_segment_fixed_size: 0
    .kernarg_segment_align: 8
    .kernarg_segment_size: 72
    .language:       OpenCL C
    .language_version:
      - 2
      - 0
    .max_flat_workgroup_size: 256
    .name:           _ZN7rocprim17ROCPRIM_400000_NS6detail17trampoline_kernelINS0_14default_configENS1_37merge_sort_block_sort_config_selectorIlNS0_10empty_typeEEEZNS1_21merge_sort_block_sortIS3_PlS8_PS5_S9_ZN2at6native12_GLOBAL__N_124unique_dim_cuda_templateIhEESt5tupleIJNSA_6TensorESF_SF_EERKSF_lbbbEUlllE_EE10hipError_tT0_T1_T2_T3_mRjT4_P12ihipStream_tbNS1_7vsmem_tEEUlT_E_NS1_11comp_targetILNS1_3genE9ELNS1_11target_archE1100ELNS1_3gpuE3ELNS1_3repE0EEENS1_30default_config_static_selectorELNS0_4arch9wavefront6targetE1EEEvSM_
    .private_segment_fixed_size: 0
    .sgpr_count:     6
    .sgpr_spill_count: 0
    .symbol:         _ZN7rocprim17ROCPRIM_400000_NS6detail17trampoline_kernelINS0_14default_configENS1_37merge_sort_block_sort_config_selectorIlNS0_10empty_typeEEEZNS1_21merge_sort_block_sortIS3_PlS8_PS5_S9_ZN2at6native12_GLOBAL__N_124unique_dim_cuda_templateIhEESt5tupleIJNSA_6TensorESF_SF_EERKSF_lbbbEUlllE_EE10hipError_tT0_T1_T2_T3_mRjT4_P12ihipStream_tbNS1_7vsmem_tEEUlT_E_NS1_11comp_targetILNS1_3genE9ELNS1_11target_archE1100ELNS1_3gpuE3ELNS1_3repE0EEENS1_30default_config_static_selectorELNS0_4arch9wavefront6targetE1EEEvSM_.kd
    .uniform_work_group_size: 1
    .uses_dynamic_stack: false
    .vgpr_count:     0
    .vgpr_spill_count: 0
    .wavefront_size: 64
  - .agpr_count:     0
    .args:
      - .offset:         0
        .size:           72
        .value_kind:     by_value
    .group_segment_fixed_size: 0
    .kernarg_segment_align: 8
    .kernarg_segment_size: 72
    .language:       OpenCL C
    .language_version:
      - 2
      - 0
    .max_flat_workgroup_size: 256
    .name:           _ZN7rocprim17ROCPRIM_400000_NS6detail17trampoline_kernelINS0_14default_configENS1_37merge_sort_block_sort_config_selectorIlNS0_10empty_typeEEEZNS1_21merge_sort_block_sortIS3_PlS8_PS5_S9_ZN2at6native12_GLOBAL__N_124unique_dim_cuda_templateIhEESt5tupleIJNSA_6TensorESF_SF_EERKSF_lbbbEUlllE_EE10hipError_tT0_T1_T2_T3_mRjT4_P12ihipStream_tbNS1_7vsmem_tEEUlT_E_NS1_11comp_targetILNS1_3genE8ELNS1_11target_archE1030ELNS1_3gpuE2ELNS1_3repE0EEENS1_30default_config_static_selectorELNS0_4arch9wavefront6targetE1EEEvSM_
    .private_segment_fixed_size: 0
    .sgpr_count:     6
    .sgpr_spill_count: 0
    .symbol:         _ZN7rocprim17ROCPRIM_400000_NS6detail17trampoline_kernelINS0_14default_configENS1_37merge_sort_block_sort_config_selectorIlNS0_10empty_typeEEEZNS1_21merge_sort_block_sortIS3_PlS8_PS5_S9_ZN2at6native12_GLOBAL__N_124unique_dim_cuda_templateIhEESt5tupleIJNSA_6TensorESF_SF_EERKSF_lbbbEUlllE_EE10hipError_tT0_T1_T2_T3_mRjT4_P12ihipStream_tbNS1_7vsmem_tEEUlT_E_NS1_11comp_targetILNS1_3genE8ELNS1_11target_archE1030ELNS1_3gpuE2ELNS1_3repE0EEENS1_30default_config_static_selectorELNS0_4arch9wavefront6targetE1EEEvSM_.kd
    .uniform_work_group_size: 1
    .uses_dynamic_stack: false
    .vgpr_count:     0
    .vgpr_spill_count: 0
    .wavefront_size: 64
  - .agpr_count:     0
    .args:
      - .offset:         0
        .size:           56
        .value_kind:     by_value
    .group_segment_fixed_size: 0
    .kernarg_segment_align: 8
    .kernarg_segment_size: 56
    .language:       OpenCL C
    .language_version:
      - 2
      - 0
    .max_flat_workgroup_size: 128
    .name:           _ZN7rocprim17ROCPRIM_400000_NS6detail17trampoline_kernelINS0_14default_configENS1_38merge_sort_block_merge_config_selectorIlNS0_10empty_typeEEEZZNS1_27merge_sort_block_merge_implIS3_PlPS5_mZN2at6native12_GLOBAL__N_124unique_dim_cuda_templateIhEESt5tupleIJNSA_6TensorESF_SF_EERKSF_lbbbEUlllE_EE10hipError_tT0_T1_T2_jT3_P12ihipStream_tbPNSt15iterator_traitsISL_E10value_typeEPNSR_ISM_E10value_typeEPSN_NS1_7vsmem_tEENKUlT_SL_SM_SN_E_clIS8_S8_S9_S9_EESK_S10_SL_SM_SN_EUlS10_E_NS1_11comp_targetILNS1_3genE0ELNS1_11target_archE4294967295ELNS1_3gpuE0ELNS1_3repE0EEENS1_48merge_mergepath_partition_config_static_selectorELNS0_4arch9wavefront6targetE1EEEvSM_
    .private_segment_fixed_size: 0
    .sgpr_count:     6
    .sgpr_spill_count: 0
    .symbol:         _ZN7rocprim17ROCPRIM_400000_NS6detail17trampoline_kernelINS0_14default_configENS1_38merge_sort_block_merge_config_selectorIlNS0_10empty_typeEEEZZNS1_27merge_sort_block_merge_implIS3_PlPS5_mZN2at6native12_GLOBAL__N_124unique_dim_cuda_templateIhEESt5tupleIJNSA_6TensorESF_SF_EERKSF_lbbbEUlllE_EE10hipError_tT0_T1_T2_jT3_P12ihipStream_tbPNSt15iterator_traitsISL_E10value_typeEPNSR_ISM_E10value_typeEPSN_NS1_7vsmem_tEENKUlT_SL_SM_SN_E_clIS8_S8_S9_S9_EESK_S10_SL_SM_SN_EUlS10_E_NS1_11comp_targetILNS1_3genE0ELNS1_11target_archE4294967295ELNS1_3gpuE0ELNS1_3repE0EEENS1_48merge_mergepath_partition_config_static_selectorELNS0_4arch9wavefront6targetE1EEEvSM_.kd
    .uniform_work_group_size: 1
    .uses_dynamic_stack: false
    .vgpr_count:     0
    .vgpr_spill_count: 0
    .wavefront_size: 64
  - .agpr_count:     0
    .args:
      - .offset:         0
        .size:           56
        .value_kind:     by_value
    .group_segment_fixed_size: 0
    .kernarg_segment_align: 8
    .kernarg_segment_size: 56
    .language:       OpenCL C
    .language_version:
      - 2
      - 0
    .max_flat_workgroup_size: 128
    .name:           _ZN7rocprim17ROCPRIM_400000_NS6detail17trampoline_kernelINS0_14default_configENS1_38merge_sort_block_merge_config_selectorIlNS0_10empty_typeEEEZZNS1_27merge_sort_block_merge_implIS3_PlPS5_mZN2at6native12_GLOBAL__N_124unique_dim_cuda_templateIhEESt5tupleIJNSA_6TensorESF_SF_EERKSF_lbbbEUlllE_EE10hipError_tT0_T1_T2_jT3_P12ihipStream_tbPNSt15iterator_traitsISL_E10value_typeEPNSR_ISM_E10value_typeEPSN_NS1_7vsmem_tEENKUlT_SL_SM_SN_E_clIS8_S8_S9_S9_EESK_S10_SL_SM_SN_EUlS10_E_NS1_11comp_targetILNS1_3genE10ELNS1_11target_archE1201ELNS1_3gpuE5ELNS1_3repE0EEENS1_48merge_mergepath_partition_config_static_selectorELNS0_4arch9wavefront6targetE1EEEvSM_
    .private_segment_fixed_size: 0
    .sgpr_count:     6
    .sgpr_spill_count: 0
    .symbol:         _ZN7rocprim17ROCPRIM_400000_NS6detail17trampoline_kernelINS0_14default_configENS1_38merge_sort_block_merge_config_selectorIlNS0_10empty_typeEEEZZNS1_27merge_sort_block_merge_implIS3_PlPS5_mZN2at6native12_GLOBAL__N_124unique_dim_cuda_templateIhEESt5tupleIJNSA_6TensorESF_SF_EERKSF_lbbbEUlllE_EE10hipError_tT0_T1_T2_jT3_P12ihipStream_tbPNSt15iterator_traitsISL_E10value_typeEPNSR_ISM_E10value_typeEPSN_NS1_7vsmem_tEENKUlT_SL_SM_SN_E_clIS8_S8_S9_S9_EESK_S10_SL_SM_SN_EUlS10_E_NS1_11comp_targetILNS1_3genE10ELNS1_11target_archE1201ELNS1_3gpuE5ELNS1_3repE0EEENS1_48merge_mergepath_partition_config_static_selectorELNS0_4arch9wavefront6targetE1EEEvSM_.kd
    .uniform_work_group_size: 1
    .uses_dynamic_stack: false
    .vgpr_count:     0
    .vgpr_spill_count: 0
    .wavefront_size: 64
  - .agpr_count:     0
    .args:
      - .offset:         0
        .size:           56
        .value_kind:     by_value
    .group_segment_fixed_size: 0
    .kernarg_segment_align: 8
    .kernarg_segment_size: 56
    .language:       OpenCL C
    .language_version:
      - 2
      - 0
    .max_flat_workgroup_size: 128
    .name:           _ZN7rocprim17ROCPRIM_400000_NS6detail17trampoline_kernelINS0_14default_configENS1_38merge_sort_block_merge_config_selectorIlNS0_10empty_typeEEEZZNS1_27merge_sort_block_merge_implIS3_PlPS5_mZN2at6native12_GLOBAL__N_124unique_dim_cuda_templateIhEESt5tupleIJNSA_6TensorESF_SF_EERKSF_lbbbEUlllE_EE10hipError_tT0_T1_T2_jT3_P12ihipStream_tbPNSt15iterator_traitsISL_E10value_typeEPNSR_ISM_E10value_typeEPSN_NS1_7vsmem_tEENKUlT_SL_SM_SN_E_clIS8_S8_S9_S9_EESK_S10_SL_SM_SN_EUlS10_E_NS1_11comp_targetILNS1_3genE5ELNS1_11target_archE942ELNS1_3gpuE9ELNS1_3repE0EEENS1_48merge_mergepath_partition_config_static_selectorELNS0_4arch9wavefront6targetE1EEEvSM_
    .private_segment_fixed_size: 0
    .sgpr_count:     38
    .sgpr_spill_count: 0
    .symbol:         _ZN7rocprim17ROCPRIM_400000_NS6detail17trampoline_kernelINS0_14default_configENS1_38merge_sort_block_merge_config_selectorIlNS0_10empty_typeEEEZZNS1_27merge_sort_block_merge_implIS3_PlPS5_mZN2at6native12_GLOBAL__N_124unique_dim_cuda_templateIhEESt5tupleIJNSA_6TensorESF_SF_EERKSF_lbbbEUlllE_EE10hipError_tT0_T1_T2_jT3_P12ihipStream_tbPNSt15iterator_traitsISL_E10value_typeEPNSR_ISM_E10value_typeEPSN_NS1_7vsmem_tEENKUlT_SL_SM_SN_E_clIS8_S8_S9_S9_EESK_S10_SL_SM_SN_EUlS10_E_NS1_11comp_targetILNS1_3genE5ELNS1_11target_archE942ELNS1_3gpuE9ELNS1_3repE0EEENS1_48merge_mergepath_partition_config_static_selectorELNS0_4arch9wavefront6targetE1EEEvSM_.kd
    .uniform_work_group_size: 1
    .uses_dynamic_stack: false
    .vgpr_count:     23
    .vgpr_spill_count: 0
    .wavefront_size: 64
  - .agpr_count:     0
    .args:
      - .offset:         0
        .size:           56
        .value_kind:     by_value
    .group_segment_fixed_size: 0
    .kernarg_segment_align: 8
    .kernarg_segment_size: 56
    .language:       OpenCL C
    .language_version:
      - 2
      - 0
    .max_flat_workgroup_size: 128
    .name:           _ZN7rocprim17ROCPRIM_400000_NS6detail17trampoline_kernelINS0_14default_configENS1_38merge_sort_block_merge_config_selectorIlNS0_10empty_typeEEEZZNS1_27merge_sort_block_merge_implIS3_PlPS5_mZN2at6native12_GLOBAL__N_124unique_dim_cuda_templateIhEESt5tupleIJNSA_6TensorESF_SF_EERKSF_lbbbEUlllE_EE10hipError_tT0_T1_T2_jT3_P12ihipStream_tbPNSt15iterator_traitsISL_E10value_typeEPNSR_ISM_E10value_typeEPSN_NS1_7vsmem_tEENKUlT_SL_SM_SN_E_clIS8_S8_S9_S9_EESK_S10_SL_SM_SN_EUlS10_E_NS1_11comp_targetILNS1_3genE4ELNS1_11target_archE910ELNS1_3gpuE8ELNS1_3repE0EEENS1_48merge_mergepath_partition_config_static_selectorELNS0_4arch9wavefront6targetE1EEEvSM_
    .private_segment_fixed_size: 0
    .sgpr_count:     6
    .sgpr_spill_count: 0
    .symbol:         _ZN7rocprim17ROCPRIM_400000_NS6detail17trampoline_kernelINS0_14default_configENS1_38merge_sort_block_merge_config_selectorIlNS0_10empty_typeEEEZZNS1_27merge_sort_block_merge_implIS3_PlPS5_mZN2at6native12_GLOBAL__N_124unique_dim_cuda_templateIhEESt5tupleIJNSA_6TensorESF_SF_EERKSF_lbbbEUlllE_EE10hipError_tT0_T1_T2_jT3_P12ihipStream_tbPNSt15iterator_traitsISL_E10value_typeEPNSR_ISM_E10value_typeEPSN_NS1_7vsmem_tEENKUlT_SL_SM_SN_E_clIS8_S8_S9_S9_EESK_S10_SL_SM_SN_EUlS10_E_NS1_11comp_targetILNS1_3genE4ELNS1_11target_archE910ELNS1_3gpuE8ELNS1_3repE0EEENS1_48merge_mergepath_partition_config_static_selectorELNS0_4arch9wavefront6targetE1EEEvSM_.kd
    .uniform_work_group_size: 1
    .uses_dynamic_stack: false
    .vgpr_count:     0
    .vgpr_spill_count: 0
    .wavefront_size: 64
  - .agpr_count:     0
    .args:
      - .offset:         0
        .size:           56
        .value_kind:     by_value
    .group_segment_fixed_size: 0
    .kernarg_segment_align: 8
    .kernarg_segment_size: 56
    .language:       OpenCL C
    .language_version:
      - 2
      - 0
    .max_flat_workgroup_size: 128
    .name:           _ZN7rocprim17ROCPRIM_400000_NS6detail17trampoline_kernelINS0_14default_configENS1_38merge_sort_block_merge_config_selectorIlNS0_10empty_typeEEEZZNS1_27merge_sort_block_merge_implIS3_PlPS5_mZN2at6native12_GLOBAL__N_124unique_dim_cuda_templateIhEESt5tupleIJNSA_6TensorESF_SF_EERKSF_lbbbEUlllE_EE10hipError_tT0_T1_T2_jT3_P12ihipStream_tbPNSt15iterator_traitsISL_E10value_typeEPNSR_ISM_E10value_typeEPSN_NS1_7vsmem_tEENKUlT_SL_SM_SN_E_clIS8_S8_S9_S9_EESK_S10_SL_SM_SN_EUlS10_E_NS1_11comp_targetILNS1_3genE3ELNS1_11target_archE908ELNS1_3gpuE7ELNS1_3repE0EEENS1_48merge_mergepath_partition_config_static_selectorELNS0_4arch9wavefront6targetE1EEEvSM_
    .private_segment_fixed_size: 0
    .sgpr_count:     6
    .sgpr_spill_count: 0
    .symbol:         _ZN7rocprim17ROCPRIM_400000_NS6detail17trampoline_kernelINS0_14default_configENS1_38merge_sort_block_merge_config_selectorIlNS0_10empty_typeEEEZZNS1_27merge_sort_block_merge_implIS3_PlPS5_mZN2at6native12_GLOBAL__N_124unique_dim_cuda_templateIhEESt5tupleIJNSA_6TensorESF_SF_EERKSF_lbbbEUlllE_EE10hipError_tT0_T1_T2_jT3_P12ihipStream_tbPNSt15iterator_traitsISL_E10value_typeEPNSR_ISM_E10value_typeEPSN_NS1_7vsmem_tEENKUlT_SL_SM_SN_E_clIS8_S8_S9_S9_EESK_S10_SL_SM_SN_EUlS10_E_NS1_11comp_targetILNS1_3genE3ELNS1_11target_archE908ELNS1_3gpuE7ELNS1_3repE0EEENS1_48merge_mergepath_partition_config_static_selectorELNS0_4arch9wavefront6targetE1EEEvSM_.kd
    .uniform_work_group_size: 1
    .uses_dynamic_stack: false
    .vgpr_count:     0
    .vgpr_spill_count: 0
    .wavefront_size: 64
  - .agpr_count:     0
    .args:
      - .offset:         0
        .size:           56
        .value_kind:     by_value
    .group_segment_fixed_size: 0
    .kernarg_segment_align: 8
    .kernarg_segment_size: 56
    .language:       OpenCL C
    .language_version:
      - 2
      - 0
    .max_flat_workgroup_size: 128
    .name:           _ZN7rocprim17ROCPRIM_400000_NS6detail17trampoline_kernelINS0_14default_configENS1_38merge_sort_block_merge_config_selectorIlNS0_10empty_typeEEEZZNS1_27merge_sort_block_merge_implIS3_PlPS5_mZN2at6native12_GLOBAL__N_124unique_dim_cuda_templateIhEESt5tupleIJNSA_6TensorESF_SF_EERKSF_lbbbEUlllE_EE10hipError_tT0_T1_T2_jT3_P12ihipStream_tbPNSt15iterator_traitsISL_E10value_typeEPNSR_ISM_E10value_typeEPSN_NS1_7vsmem_tEENKUlT_SL_SM_SN_E_clIS8_S8_S9_S9_EESK_S10_SL_SM_SN_EUlS10_E_NS1_11comp_targetILNS1_3genE2ELNS1_11target_archE906ELNS1_3gpuE6ELNS1_3repE0EEENS1_48merge_mergepath_partition_config_static_selectorELNS0_4arch9wavefront6targetE1EEEvSM_
    .private_segment_fixed_size: 0
    .sgpr_count:     6
    .sgpr_spill_count: 0
    .symbol:         _ZN7rocprim17ROCPRIM_400000_NS6detail17trampoline_kernelINS0_14default_configENS1_38merge_sort_block_merge_config_selectorIlNS0_10empty_typeEEEZZNS1_27merge_sort_block_merge_implIS3_PlPS5_mZN2at6native12_GLOBAL__N_124unique_dim_cuda_templateIhEESt5tupleIJNSA_6TensorESF_SF_EERKSF_lbbbEUlllE_EE10hipError_tT0_T1_T2_jT3_P12ihipStream_tbPNSt15iterator_traitsISL_E10value_typeEPNSR_ISM_E10value_typeEPSN_NS1_7vsmem_tEENKUlT_SL_SM_SN_E_clIS8_S8_S9_S9_EESK_S10_SL_SM_SN_EUlS10_E_NS1_11comp_targetILNS1_3genE2ELNS1_11target_archE906ELNS1_3gpuE6ELNS1_3repE0EEENS1_48merge_mergepath_partition_config_static_selectorELNS0_4arch9wavefront6targetE1EEEvSM_.kd
    .uniform_work_group_size: 1
    .uses_dynamic_stack: false
    .vgpr_count:     0
    .vgpr_spill_count: 0
    .wavefront_size: 64
  - .agpr_count:     0
    .args:
      - .offset:         0
        .size:           56
        .value_kind:     by_value
    .group_segment_fixed_size: 0
    .kernarg_segment_align: 8
    .kernarg_segment_size: 56
    .language:       OpenCL C
    .language_version:
      - 2
      - 0
    .max_flat_workgroup_size: 128
    .name:           _ZN7rocprim17ROCPRIM_400000_NS6detail17trampoline_kernelINS0_14default_configENS1_38merge_sort_block_merge_config_selectorIlNS0_10empty_typeEEEZZNS1_27merge_sort_block_merge_implIS3_PlPS5_mZN2at6native12_GLOBAL__N_124unique_dim_cuda_templateIhEESt5tupleIJNSA_6TensorESF_SF_EERKSF_lbbbEUlllE_EE10hipError_tT0_T1_T2_jT3_P12ihipStream_tbPNSt15iterator_traitsISL_E10value_typeEPNSR_ISM_E10value_typeEPSN_NS1_7vsmem_tEENKUlT_SL_SM_SN_E_clIS8_S8_S9_S9_EESK_S10_SL_SM_SN_EUlS10_E_NS1_11comp_targetILNS1_3genE9ELNS1_11target_archE1100ELNS1_3gpuE3ELNS1_3repE0EEENS1_48merge_mergepath_partition_config_static_selectorELNS0_4arch9wavefront6targetE1EEEvSM_
    .private_segment_fixed_size: 0
    .sgpr_count:     6
    .sgpr_spill_count: 0
    .symbol:         _ZN7rocprim17ROCPRIM_400000_NS6detail17trampoline_kernelINS0_14default_configENS1_38merge_sort_block_merge_config_selectorIlNS0_10empty_typeEEEZZNS1_27merge_sort_block_merge_implIS3_PlPS5_mZN2at6native12_GLOBAL__N_124unique_dim_cuda_templateIhEESt5tupleIJNSA_6TensorESF_SF_EERKSF_lbbbEUlllE_EE10hipError_tT0_T1_T2_jT3_P12ihipStream_tbPNSt15iterator_traitsISL_E10value_typeEPNSR_ISM_E10value_typeEPSN_NS1_7vsmem_tEENKUlT_SL_SM_SN_E_clIS8_S8_S9_S9_EESK_S10_SL_SM_SN_EUlS10_E_NS1_11comp_targetILNS1_3genE9ELNS1_11target_archE1100ELNS1_3gpuE3ELNS1_3repE0EEENS1_48merge_mergepath_partition_config_static_selectorELNS0_4arch9wavefront6targetE1EEEvSM_.kd
    .uniform_work_group_size: 1
    .uses_dynamic_stack: false
    .vgpr_count:     0
    .vgpr_spill_count: 0
    .wavefront_size: 64
  - .agpr_count:     0
    .args:
      - .offset:         0
        .size:           56
        .value_kind:     by_value
    .group_segment_fixed_size: 0
    .kernarg_segment_align: 8
    .kernarg_segment_size: 56
    .language:       OpenCL C
    .language_version:
      - 2
      - 0
    .max_flat_workgroup_size: 128
    .name:           _ZN7rocprim17ROCPRIM_400000_NS6detail17trampoline_kernelINS0_14default_configENS1_38merge_sort_block_merge_config_selectorIlNS0_10empty_typeEEEZZNS1_27merge_sort_block_merge_implIS3_PlPS5_mZN2at6native12_GLOBAL__N_124unique_dim_cuda_templateIhEESt5tupleIJNSA_6TensorESF_SF_EERKSF_lbbbEUlllE_EE10hipError_tT0_T1_T2_jT3_P12ihipStream_tbPNSt15iterator_traitsISL_E10value_typeEPNSR_ISM_E10value_typeEPSN_NS1_7vsmem_tEENKUlT_SL_SM_SN_E_clIS8_S8_S9_S9_EESK_S10_SL_SM_SN_EUlS10_E_NS1_11comp_targetILNS1_3genE8ELNS1_11target_archE1030ELNS1_3gpuE2ELNS1_3repE0EEENS1_48merge_mergepath_partition_config_static_selectorELNS0_4arch9wavefront6targetE1EEEvSM_
    .private_segment_fixed_size: 0
    .sgpr_count:     6
    .sgpr_spill_count: 0
    .symbol:         _ZN7rocprim17ROCPRIM_400000_NS6detail17trampoline_kernelINS0_14default_configENS1_38merge_sort_block_merge_config_selectorIlNS0_10empty_typeEEEZZNS1_27merge_sort_block_merge_implIS3_PlPS5_mZN2at6native12_GLOBAL__N_124unique_dim_cuda_templateIhEESt5tupleIJNSA_6TensorESF_SF_EERKSF_lbbbEUlllE_EE10hipError_tT0_T1_T2_jT3_P12ihipStream_tbPNSt15iterator_traitsISL_E10value_typeEPNSR_ISM_E10value_typeEPSN_NS1_7vsmem_tEENKUlT_SL_SM_SN_E_clIS8_S8_S9_S9_EESK_S10_SL_SM_SN_EUlS10_E_NS1_11comp_targetILNS1_3genE8ELNS1_11target_archE1030ELNS1_3gpuE2ELNS1_3repE0EEENS1_48merge_mergepath_partition_config_static_selectorELNS0_4arch9wavefront6targetE1EEEvSM_.kd
    .uniform_work_group_size: 1
    .uses_dynamic_stack: false
    .vgpr_count:     0
    .vgpr_spill_count: 0
    .wavefront_size: 64
  - .agpr_count:     0
    .args:
      - .offset:         0
        .size:           88
        .value_kind:     by_value
    .group_segment_fixed_size: 0
    .kernarg_segment_align: 8
    .kernarg_segment_size: 88
    .language:       OpenCL C
    .language_version:
      - 2
      - 0
    .max_flat_workgroup_size: 128
    .name:           _ZN7rocprim17ROCPRIM_400000_NS6detail17trampoline_kernelINS0_14default_configENS1_38merge_sort_block_merge_config_selectorIlNS0_10empty_typeEEEZZNS1_27merge_sort_block_merge_implIS3_PlPS5_mZN2at6native12_GLOBAL__N_124unique_dim_cuda_templateIhEESt5tupleIJNSA_6TensorESF_SF_EERKSF_lbbbEUlllE_EE10hipError_tT0_T1_T2_jT3_P12ihipStream_tbPNSt15iterator_traitsISL_E10value_typeEPNSR_ISM_E10value_typeEPSN_NS1_7vsmem_tEENKUlT_SL_SM_SN_E_clIS8_S8_S9_S9_EESK_S10_SL_SM_SN_EUlS10_E0_NS1_11comp_targetILNS1_3genE0ELNS1_11target_archE4294967295ELNS1_3gpuE0ELNS1_3repE0EEENS1_38merge_mergepath_config_static_selectorELNS0_4arch9wavefront6targetE1EEEvSM_
    .private_segment_fixed_size: 0
    .sgpr_count:     6
    .sgpr_spill_count: 0
    .symbol:         _ZN7rocprim17ROCPRIM_400000_NS6detail17trampoline_kernelINS0_14default_configENS1_38merge_sort_block_merge_config_selectorIlNS0_10empty_typeEEEZZNS1_27merge_sort_block_merge_implIS3_PlPS5_mZN2at6native12_GLOBAL__N_124unique_dim_cuda_templateIhEESt5tupleIJNSA_6TensorESF_SF_EERKSF_lbbbEUlllE_EE10hipError_tT0_T1_T2_jT3_P12ihipStream_tbPNSt15iterator_traitsISL_E10value_typeEPNSR_ISM_E10value_typeEPSN_NS1_7vsmem_tEENKUlT_SL_SM_SN_E_clIS8_S8_S9_S9_EESK_S10_SL_SM_SN_EUlS10_E0_NS1_11comp_targetILNS1_3genE0ELNS1_11target_archE4294967295ELNS1_3gpuE0ELNS1_3repE0EEENS1_38merge_mergepath_config_static_selectorELNS0_4arch9wavefront6targetE1EEEvSM_.kd
    .uniform_work_group_size: 1
    .uses_dynamic_stack: false
    .vgpr_count:     0
    .vgpr_spill_count: 0
    .wavefront_size: 64
  - .agpr_count:     0
    .args:
      - .offset:         0
        .size:           88
        .value_kind:     by_value
    .group_segment_fixed_size: 0
    .kernarg_segment_align: 8
    .kernarg_segment_size: 88
    .language:       OpenCL C
    .language_version:
      - 2
      - 0
    .max_flat_workgroup_size: 512
    .name:           _ZN7rocprim17ROCPRIM_400000_NS6detail17trampoline_kernelINS0_14default_configENS1_38merge_sort_block_merge_config_selectorIlNS0_10empty_typeEEEZZNS1_27merge_sort_block_merge_implIS3_PlPS5_mZN2at6native12_GLOBAL__N_124unique_dim_cuda_templateIhEESt5tupleIJNSA_6TensorESF_SF_EERKSF_lbbbEUlllE_EE10hipError_tT0_T1_T2_jT3_P12ihipStream_tbPNSt15iterator_traitsISL_E10value_typeEPNSR_ISM_E10value_typeEPSN_NS1_7vsmem_tEENKUlT_SL_SM_SN_E_clIS8_S8_S9_S9_EESK_S10_SL_SM_SN_EUlS10_E0_NS1_11comp_targetILNS1_3genE10ELNS1_11target_archE1201ELNS1_3gpuE5ELNS1_3repE0EEENS1_38merge_mergepath_config_static_selectorELNS0_4arch9wavefront6targetE1EEEvSM_
    .private_segment_fixed_size: 0
    .sgpr_count:     6
    .sgpr_spill_count: 0
    .symbol:         _ZN7rocprim17ROCPRIM_400000_NS6detail17trampoline_kernelINS0_14default_configENS1_38merge_sort_block_merge_config_selectorIlNS0_10empty_typeEEEZZNS1_27merge_sort_block_merge_implIS3_PlPS5_mZN2at6native12_GLOBAL__N_124unique_dim_cuda_templateIhEESt5tupleIJNSA_6TensorESF_SF_EERKSF_lbbbEUlllE_EE10hipError_tT0_T1_T2_jT3_P12ihipStream_tbPNSt15iterator_traitsISL_E10value_typeEPNSR_ISM_E10value_typeEPSN_NS1_7vsmem_tEENKUlT_SL_SM_SN_E_clIS8_S8_S9_S9_EESK_S10_SL_SM_SN_EUlS10_E0_NS1_11comp_targetILNS1_3genE10ELNS1_11target_archE1201ELNS1_3gpuE5ELNS1_3repE0EEENS1_38merge_mergepath_config_static_selectorELNS0_4arch9wavefront6targetE1EEEvSM_.kd
    .uniform_work_group_size: 1
    .uses_dynamic_stack: false
    .vgpr_count:     0
    .vgpr_spill_count: 0
    .wavefront_size: 64
  - .agpr_count:     0
    .args:
      - .offset:         0
        .size:           88
        .value_kind:     by_value
      - .offset:         88
        .size:           4
        .value_kind:     hidden_block_count_x
      - .offset:         92
        .size:           4
        .value_kind:     hidden_block_count_y
      - .offset:         96
        .size:           4
        .value_kind:     hidden_block_count_z
      - .offset:         100
        .size:           2
        .value_kind:     hidden_group_size_x
      - .offset:         102
        .size:           2
        .value_kind:     hidden_group_size_y
      - .offset:         104
        .size:           2
        .value_kind:     hidden_group_size_z
      - .offset:         106
        .size:           2
        .value_kind:     hidden_remainder_x
      - .offset:         108
        .size:           2
        .value_kind:     hidden_remainder_y
      - .offset:         110
        .size:           2
        .value_kind:     hidden_remainder_z
      - .offset:         128
        .size:           8
        .value_kind:     hidden_global_offset_x
      - .offset:         136
        .size:           8
        .value_kind:     hidden_global_offset_y
      - .offset:         144
        .size:           8
        .value_kind:     hidden_global_offset_z
      - .offset:         152
        .size:           2
        .value_kind:     hidden_grid_dims
    .group_segment_fixed_size: 8448
    .kernarg_segment_align: 8
    .kernarg_segment_size: 344
    .language:       OpenCL C
    .language_version:
      - 2
      - 0
    .max_flat_workgroup_size: 128
    .name:           _ZN7rocprim17ROCPRIM_400000_NS6detail17trampoline_kernelINS0_14default_configENS1_38merge_sort_block_merge_config_selectorIlNS0_10empty_typeEEEZZNS1_27merge_sort_block_merge_implIS3_PlPS5_mZN2at6native12_GLOBAL__N_124unique_dim_cuda_templateIhEESt5tupleIJNSA_6TensorESF_SF_EERKSF_lbbbEUlllE_EE10hipError_tT0_T1_T2_jT3_P12ihipStream_tbPNSt15iterator_traitsISL_E10value_typeEPNSR_ISM_E10value_typeEPSN_NS1_7vsmem_tEENKUlT_SL_SM_SN_E_clIS8_S8_S9_S9_EESK_S10_SL_SM_SN_EUlS10_E0_NS1_11comp_targetILNS1_3genE5ELNS1_11target_archE942ELNS1_3gpuE9ELNS1_3repE0EEENS1_38merge_mergepath_config_static_selectorELNS0_4arch9wavefront6targetE1EEEvSM_
    .private_segment_fixed_size: 0
    .sgpr_count:     60
    .sgpr_spill_count: 0
    .symbol:         _ZN7rocprim17ROCPRIM_400000_NS6detail17trampoline_kernelINS0_14default_configENS1_38merge_sort_block_merge_config_selectorIlNS0_10empty_typeEEEZZNS1_27merge_sort_block_merge_implIS3_PlPS5_mZN2at6native12_GLOBAL__N_124unique_dim_cuda_templateIhEESt5tupleIJNSA_6TensorESF_SF_EERKSF_lbbbEUlllE_EE10hipError_tT0_T1_T2_jT3_P12ihipStream_tbPNSt15iterator_traitsISL_E10value_typeEPNSR_ISM_E10value_typeEPSN_NS1_7vsmem_tEENKUlT_SL_SM_SN_E_clIS8_S8_S9_S9_EESK_S10_SL_SM_SN_EUlS10_E0_NS1_11comp_targetILNS1_3genE5ELNS1_11target_archE942ELNS1_3gpuE9ELNS1_3repE0EEENS1_38merge_mergepath_config_static_selectorELNS0_4arch9wavefront6targetE1EEEvSM_.kd
    .uniform_work_group_size: 1
    .uses_dynamic_stack: false
    .vgpr_count:     40
    .vgpr_spill_count: 0
    .wavefront_size: 64
  - .agpr_count:     0
    .args:
      - .offset:         0
        .size:           88
        .value_kind:     by_value
    .group_segment_fixed_size: 0
    .kernarg_segment_align: 8
    .kernarg_segment_size: 88
    .language:       OpenCL C
    .language_version:
      - 2
      - 0
    .max_flat_workgroup_size: 256
    .name:           _ZN7rocprim17ROCPRIM_400000_NS6detail17trampoline_kernelINS0_14default_configENS1_38merge_sort_block_merge_config_selectorIlNS0_10empty_typeEEEZZNS1_27merge_sort_block_merge_implIS3_PlPS5_mZN2at6native12_GLOBAL__N_124unique_dim_cuda_templateIhEESt5tupleIJNSA_6TensorESF_SF_EERKSF_lbbbEUlllE_EE10hipError_tT0_T1_T2_jT3_P12ihipStream_tbPNSt15iterator_traitsISL_E10value_typeEPNSR_ISM_E10value_typeEPSN_NS1_7vsmem_tEENKUlT_SL_SM_SN_E_clIS8_S8_S9_S9_EESK_S10_SL_SM_SN_EUlS10_E0_NS1_11comp_targetILNS1_3genE4ELNS1_11target_archE910ELNS1_3gpuE8ELNS1_3repE0EEENS1_38merge_mergepath_config_static_selectorELNS0_4arch9wavefront6targetE1EEEvSM_
    .private_segment_fixed_size: 0
    .sgpr_count:     6
    .sgpr_spill_count: 0
    .symbol:         _ZN7rocprim17ROCPRIM_400000_NS6detail17trampoline_kernelINS0_14default_configENS1_38merge_sort_block_merge_config_selectorIlNS0_10empty_typeEEEZZNS1_27merge_sort_block_merge_implIS3_PlPS5_mZN2at6native12_GLOBAL__N_124unique_dim_cuda_templateIhEESt5tupleIJNSA_6TensorESF_SF_EERKSF_lbbbEUlllE_EE10hipError_tT0_T1_T2_jT3_P12ihipStream_tbPNSt15iterator_traitsISL_E10value_typeEPNSR_ISM_E10value_typeEPSN_NS1_7vsmem_tEENKUlT_SL_SM_SN_E_clIS8_S8_S9_S9_EESK_S10_SL_SM_SN_EUlS10_E0_NS1_11comp_targetILNS1_3genE4ELNS1_11target_archE910ELNS1_3gpuE8ELNS1_3repE0EEENS1_38merge_mergepath_config_static_selectorELNS0_4arch9wavefront6targetE1EEEvSM_.kd
    .uniform_work_group_size: 1
    .uses_dynamic_stack: false
    .vgpr_count:     0
    .vgpr_spill_count: 0
    .wavefront_size: 64
  - .agpr_count:     0
    .args:
      - .offset:         0
        .size:           88
        .value_kind:     by_value
    .group_segment_fixed_size: 0
    .kernarg_segment_align: 8
    .kernarg_segment_size: 88
    .language:       OpenCL C
    .language_version:
      - 2
      - 0
    .max_flat_workgroup_size: 128
    .name:           _ZN7rocprim17ROCPRIM_400000_NS6detail17trampoline_kernelINS0_14default_configENS1_38merge_sort_block_merge_config_selectorIlNS0_10empty_typeEEEZZNS1_27merge_sort_block_merge_implIS3_PlPS5_mZN2at6native12_GLOBAL__N_124unique_dim_cuda_templateIhEESt5tupleIJNSA_6TensorESF_SF_EERKSF_lbbbEUlllE_EE10hipError_tT0_T1_T2_jT3_P12ihipStream_tbPNSt15iterator_traitsISL_E10value_typeEPNSR_ISM_E10value_typeEPSN_NS1_7vsmem_tEENKUlT_SL_SM_SN_E_clIS8_S8_S9_S9_EESK_S10_SL_SM_SN_EUlS10_E0_NS1_11comp_targetILNS1_3genE3ELNS1_11target_archE908ELNS1_3gpuE7ELNS1_3repE0EEENS1_38merge_mergepath_config_static_selectorELNS0_4arch9wavefront6targetE1EEEvSM_
    .private_segment_fixed_size: 0
    .sgpr_count:     6
    .sgpr_spill_count: 0
    .symbol:         _ZN7rocprim17ROCPRIM_400000_NS6detail17trampoline_kernelINS0_14default_configENS1_38merge_sort_block_merge_config_selectorIlNS0_10empty_typeEEEZZNS1_27merge_sort_block_merge_implIS3_PlPS5_mZN2at6native12_GLOBAL__N_124unique_dim_cuda_templateIhEESt5tupleIJNSA_6TensorESF_SF_EERKSF_lbbbEUlllE_EE10hipError_tT0_T1_T2_jT3_P12ihipStream_tbPNSt15iterator_traitsISL_E10value_typeEPNSR_ISM_E10value_typeEPSN_NS1_7vsmem_tEENKUlT_SL_SM_SN_E_clIS8_S8_S9_S9_EESK_S10_SL_SM_SN_EUlS10_E0_NS1_11comp_targetILNS1_3genE3ELNS1_11target_archE908ELNS1_3gpuE7ELNS1_3repE0EEENS1_38merge_mergepath_config_static_selectorELNS0_4arch9wavefront6targetE1EEEvSM_.kd
    .uniform_work_group_size: 1
    .uses_dynamic_stack: false
    .vgpr_count:     0
    .vgpr_spill_count: 0
    .wavefront_size: 64
  - .agpr_count:     0
    .args:
      - .offset:         0
        .size:           88
        .value_kind:     by_value
    .group_segment_fixed_size: 0
    .kernarg_segment_align: 8
    .kernarg_segment_size: 88
    .language:       OpenCL C
    .language_version:
      - 2
      - 0
    .max_flat_workgroup_size: 256
    .name:           _ZN7rocprim17ROCPRIM_400000_NS6detail17trampoline_kernelINS0_14default_configENS1_38merge_sort_block_merge_config_selectorIlNS0_10empty_typeEEEZZNS1_27merge_sort_block_merge_implIS3_PlPS5_mZN2at6native12_GLOBAL__N_124unique_dim_cuda_templateIhEESt5tupleIJNSA_6TensorESF_SF_EERKSF_lbbbEUlllE_EE10hipError_tT0_T1_T2_jT3_P12ihipStream_tbPNSt15iterator_traitsISL_E10value_typeEPNSR_ISM_E10value_typeEPSN_NS1_7vsmem_tEENKUlT_SL_SM_SN_E_clIS8_S8_S9_S9_EESK_S10_SL_SM_SN_EUlS10_E0_NS1_11comp_targetILNS1_3genE2ELNS1_11target_archE906ELNS1_3gpuE6ELNS1_3repE0EEENS1_38merge_mergepath_config_static_selectorELNS0_4arch9wavefront6targetE1EEEvSM_
    .private_segment_fixed_size: 0
    .sgpr_count:     6
    .sgpr_spill_count: 0
    .symbol:         _ZN7rocprim17ROCPRIM_400000_NS6detail17trampoline_kernelINS0_14default_configENS1_38merge_sort_block_merge_config_selectorIlNS0_10empty_typeEEEZZNS1_27merge_sort_block_merge_implIS3_PlPS5_mZN2at6native12_GLOBAL__N_124unique_dim_cuda_templateIhEESt5tupleIJNSA_6TensorESF_SF_EERKSF_lbbbEUlllE_EE10hipError_tT0_T1_T2_jT3_P12ihipStream_tbPNSt15iterator_traitsISL_E10value_typeEPNSR_ISM_E10value_typeEPSN_NS1_7vsmem_tEENKUlT_SL_SM_SN_E_clIS8_S8_S9_S9_EESK_S10_SL_SM_SN_EUlS10_E0_NS1_11comp_targetILNS1_3genE2ELNS1_11target_archE906ELNS1_3gpuE6ELNS1_3repE0EEENS1_38merge_mergepath_config_static_selectorELNS0_4arch9wavefront6targetE1EEEvSM_.kd
    .uniform_work_group_size: 1
    .uses_dynamic_stack: false
    .vgpr_count:     0
    .vgpr_spill_count: 0
    .wavefront_size: 64
  - .agpr_count:     0
    .args:
      - .offset:         0
        .size:           88
        .value_kind:     by_value
    .group_segment_fixed_size: 0
    .kernarg_segment_align: 8
    .kernarg_segment_size: 88
    .language:       OpenCL C
    .language_version:
      - 2
      - 0
    .max_flat_workgroup_size: 512
    .name:           _ZN7rocprim17ROCPRIM_400000_NS6detail17trampoline_kernelINS0_14default_configENS1_38merge_sort_block_merge_config_selectorIlNS0_10empty_typeEEEZZNS1_27merge_sort_block_merge_implIS3_PlPS5_mZN2at6native12_GLOBAL__N_124unique_dim_cuda_templateIhEESt5tupleIJNSA_6TensorESF_SF_EERKSF_lbbbEUlllE_EE10hipError_tT0_T1_T2_jT3_P12ihipStream_tbPNSt15iterator_traitsISL_E10value_typeEPNSR_ISM_E10value_typeEPSN_NS1_7vsmem_tEENKUlT_SL_SM_SN_E_clIS8_S8_S9_S9_EESK_S10_SL_SM_SN_EUlS10_E0_NS1_11comp_targetILNS1_3genE9ELNS1_11target_archE1100ELNS1_3gpuE3ELNS1_3repE0EEENS1_38merge_mergepath_config_static_selectorELNS0_4arch9wavefront6targetE1EEEvSM_
    .private_segment_fixed_size: 0
    .sgpr_count:     6
    .sgpr_spill_count: 0
    .symbol:         _ZN7rocprim17ROCPRIM_400000_NS6detail17trampoline_kernelINS0_14default_configENS1_38merge_sort_block_merge_config_selectorIlNS0_10empty_typeEEEZZNS1_27merge_sort_block_merge_implIS3_PlPS5_mZN2at6native12_GLOBAL__N_124unique_dim_cuda_templateIhEESt5tupleIJNSA_6TensorESF_SF_EERKSF_lbbbEUlllE_EE10hipError_tT0_T1_T2_jT3_P12ihipStream_tbPNSt15iterator_traitsISL_E10value_typeEPNSR_ISM_E10value_typeEPSN_NS1_7vsmem_tEENKUlT_SL_SM_SN_E_clIS8_S8_S9_S9_EESK_S10_SL_SM_SN_EUlS10_E0_NS1_11comp_targetILNS1_3genE9ELNS1_11target_archE1100ELNS1_3gpuE3ELNS1_3repE0EEENS1_38merge_mergepath_config_static_selectorELNS0_4arch9wavefront6targetE1EEEvSM_.kd
    .uniform_work_group_size: 1
    .uses_dynamic_stack: false
    .vgpr_count:     0
    .vgpr_spill_count: 0
    .wavefront_size: 64
  - .agpr_count:     0
    .args:
      - .offset:         0
        .size:           88
        .value_kind:     by_value
    .group_segment_fixed_size: 0
    .kernarg_segment_align: 8
    .kernarg_segment_size: 88
    .language:       OpenCL C
    .language_version:
      - 2
      - 0
    .max_flat_workgroup_size: 1024
    .name:           _ZN7rocprim17ROCPRIM_400000_NS6detail17trampoline_kernelINS0_14default_configENS1_38merge_sort_block_merge_config_selectorIlNS0_10empty_typeEEEZZNS1_27merge_sort_block_merge_implIS3_PlPS5_mZN2at6native12_GLOBAL__N_124unique_dim_cuda_templateIhEESt5tupleIJNSA_6TensorESF_SF_EERKSF_lbbbEUlllE_EE10hipError_tT0_T1_T2_jT3_P12ihipStream_tbPNSt15iterator_traitsISL_E10value_typeEPNSR_ISM_E10value_typeEPSN_NS1_7vsmem_tEENKUlT_SL_SM_SN_E_clIS8_S8_S9_S9_EESK_S10_SL_SM_SN_EUlS10_E0_NS1_11comp_targetILNS1_3genE8ELNS1_11target_archE1030ELNS1_3gpuE2ELNS1_3repE0EEENS1_38merge_mergepath_config_static_selectorELNS0_4arch9wavefront6targetE1EEEvSM_
    .private_segment_fixed_size: 0
    .sgpr_count:     6
    .sgpr_spill_count: 0
    .symbol:         _ZN7rocprim17ROCPRIM_400000_NS6detail17trampoline_kernelINS0_14default_configENS1_38merge_sort_block_merge_config_selectorIlNS0_10empty_typeEEEZZNS1_27merge_sort_block_merge_implIS3_PlPS5_mZN2at6native12_GLOBAL__N_124unique_dim_cuda_templateIhEESt5tupleIJNSA_6TensorESF_SF_EERKSF_lbbbEUlllE_EE10hipError_tT0_T1_T2_jT3_P12ihipStream_tbPNSt15iterator_traitsISL_E10value_typeEPNSR_ISM_E10value_typeEPSN_NS1_7vsmem_tEENKUlT_SL_SM_SN_E_clIS8_S8_S9_S9_EESK_S10_SL_SM_SN_EUlS10_E0_NS1_11comp_targetILNS1_3genE8ELNS1_11target_archE1030ELNS1_3gpuE2ELNS1_3repE0EEENS1_38merge_mergepath_config_static_selectorELNS0_4arch9wavefront6targetE1EEEvSM_.kd
    .uniform_work_group_size: 1
    .uses_dynamic_stack: false
    .vgpr_count:     0
    .vgpr_spill_count: 0
    .wavefront_size: 64
  - .agpr_count:     0
    .args:
      - .offset:         0
        .size:           64
        .value_kind:     by_value
    .group_segment_fixed_size: 0
    .kernarg_segment_align: 8
    .kernarg_segment_size: 64
    .language:       OpenCL C
    .language_version:
      - 2
      - 0
    .max_flat_workgroup_size: 256
    .name:           _ZN7rocprim17ROCPRIM_400000_NS6detail17trampoline_kernelINS0_14default_configENS1_38merge_sort_block_merge_config_selectorIlNS0_10empty_typeEEEZZNS1_27merge_sort_block_merge_implIS3_PlPS5_mZN2at6native12_GLOBAL__N_124unique_dim_cuda_templateIhEESt5tupleIJNSA_6TensorESF_SF_EERKSF_lbbbEUlllE_EE10hipError_tT0_T1_T2_jT3_P12ihipStream_tbPNSt15iterator_traitsISL_E10value_typeEPNSR_ISM_E10value_typeEPSN_NS1_7vsmem_tEENKUlT_SL_SM_SN_E_clIS8_S8_S9_S9_EESK_S10_SL_SM_SN_EUlS10_E1_NS1_11comp_targetILNS1_3genE0ELNS1_11target_archE4294967295ELNS1_3gpuE0ELNS1_3repE0EEENS1_36merge_oddeven_config_static_selectorELNS0_4arch9wavefront6targetE1EEEvSM_
    .private_segment_fixed_size: 0
    .sgpr_count:     6
    .sgpr_spill_count: 0
    .symbol:         _ZN7rocprim17ROCPRIM_400000_NS6detail17trampoline_kernelINS0_14default_configENS1_38merge_sort_block_merge_config_selectorIlNS0_10empty_typeEEEZZNS1_27merge_sort_block_merge_implIS3_PlPS5_mZN2at6native12_GLOBAL__N_124unique_dim_cuda_templateIhEESt5tupleIJNSA_6TensorESF_SF_EERKSF_lbbbEUlllE_EE10hipError_tT0_T1_T2_jT3_P12ihipStream_tbPNSt15iterator_traitsISL_E10value_typeEPNSR_ISM_E10value_typeEPSN_NS1_7vsmem_tEENKUlT_SL_SM_SN_E_clIS8_S8_S9_S9_EESK_S10_SL_SM_SN_EUlS10_E1_NS1_11comp_targetILNS1_3genE0ELNS1_11target_archE4294967295ELNS1_3gpuE0ELNS1_3repE0EEENS1_36merge_oddeven_config_static_selectorELNS0_4arch9wavefront6targetE1EEEvSM_.kd
    .uniform_work_group_size: 1
    .uses_dynamic_stack: false
    .vgpr_count:     0
    .vgpr_spill_count: 0
    .wavefront_size: 64
  - .agpr_count:     0
    .args:
      - .offset:         0
        .size:           64
        .value_kind:     by_value
    .group_segment_fixed_size: 0
    .kernarg_segment_align: 8
    .kernarg_segment_size: 64
    .language:       OpenCL C
    .language_version:
      - 2
      - 0
    .max_flat_workgroup_size: 256
    .name:           _ZN7rocprim17ROCPRIM_400000_NS6detail17trampoline_kernelINS0_14default_configENS1_38merge_sort_block_merge_config_selectorIlNS0_10empty_typeEEEZZNS1_27merge_sort_block_merge_implIS3_PlPS5_mZN2at6native12_GLOBAL__N_124unique_dim_cuda_templateIhEESt5tupleIJNSA_6TensorESF_SF_EERKSF_lbbbEUlllE_EE10hipError_tT0_T1_T2_jT3_P12ihipStream_tbPNSt15iterator_traitsISL_E10value_typeEPNSR_ISM_E10value_typeEPSN_NS1_7vsmem_tEENKUlT_SL_SM_SN_E_clIS8_S8_S9_S9_EESK_S10_SL_SM_SN_EUlS10_E1_NS1_11comp_targetILNS1_3genE10ELNS1_11target_archE1201ELNS1_3gpuE5ELNS1_3repE0EEENS1_36merge_oddeven_config_static_selectorELNS0_4arch9wavefront6targetE1EEEvSM_
    .private_segment_fixed_size: 0
    .sgpr_count:     6
    .sgpr_spill_count: 0
    .symbol:         _ZN7rocprim17ROCPRIM_400000_NS6detail17trampoline_kernelINS0_14default_configENS1_38merge_sort_block_merge_config_selectorIlNS0_10empty_typeEEEZZNS1_27merge_sort_block_merge_implIS3_PlPS5_mZN2at6native12_GLOBAL__N_124unique_dim_cuda_templateIhEESt5tupleIJNSA_6TensorESF_SF_EERKSF_lbbbEUlllE_EE10hipError_tT0_T1_T2_jT3_P12ihipStream_tbPNSt15iterator_traitsISL_E10value_typeEPNSR_ISM_E10value_typeEPSN_NS1_7vsmem_tEENKUlT_SL_SM_SN_E_clIS8_S8_S9_S9_EESK_S10_SL_SM_SN_EUlS10_E1_NS1_11comp_targetILNS1_3genE10ELNS1_11target_archE1201ELNS1_3gpuE5ELNS1_3repE0EEENS1_36merge_oddeven_config_static_selectorELNS0_4arch9wavefront6targetE1EEEvSM_.kd
    .uniform_work_group_size: 1
    .uses_dynamic_stack: false
    .vgpr_count:     0
    .vgpr_spill_count: 0
    .wavefront_size: 64
  - .agpr_count:     0
    .args:
      - .offset:         0
        .size:           64
        .value_kind:     by_value
    .group_segment_fixed_size: 0
    .kernarg_segment_align: 8
    .kernarg_segment_size: 64
    .language:       OpenCL C
    .language_version:
      - 2
      - 0
    .max_flat_workgroup_size: 256
    .name:           _ZN7rocprim17ROCPRIM_400000_NS6detail17trampoline_kernelINS0_14default_configENS1_38merge_sort_block_merge_config_selectorIlNS0_10empty_typeEEEZZNS1_27merge_sort_block_merge_implIS3_PlPS5_mZN2at6native12_GLOBAL__N_124unique_dim_cuda_templateIhEESt5tupleIJNSA_6TensorESF_SF_EERKSF_lbbbEUlllE_EE10hipError_tT0_T1_T2_jT3_P12ihipStream_tbPNSt15iterator_traitsISL_E10value_typeEPNSR_ISM_E10value_typeEPSN_NS1_7vsmem_tEENKUlT_SL_SM_SN_E_clIS8_S8_S9_S9_EESK_S10_SL_SM_SN_EUlS10_E1_NS1_11comp_targetILNS1_3genE5ELNS1_11target_archE942ELNS1_3gpuE9ELNS1_3repE0EEENS1_36merge_oddeven_config_static_selectorELNS0_4arch9wavefront6targetE1EEEvSM_
    .private_segment_fixed_size: 0
    .sgpr_count:     50
    .sgpr_spill_count: 0
    .symbol:         _ZN7rocprim17ROCPRIM_400000_NS6detail17trampoline_kernelINS0_14default_configENS1_38merge_sort_block_merge_config_selectorIlNS0_10empty_typeEEEZZNS1_27merge_sort_block_merge_implIS3_PlPS5_mZN2at6native12_GLOBAL__N_124unique_dim_cuda_templateIhEESt5tupleIJNSA_6TensorESF_SF_EERKSF_lbbbEUlllE_EE10hipError_tT0_T1_T2_jT3_P12ihipStream_tbPNSt15iterator_traitsISL_E10value_typeEPNSR_ISM_E10value_typeEPSN_NS1_7vsmem_tEENKUlT_SL_SM_SN_E_clIS8_S8_S9_S9_EESK_S10_SL_SM_SN_EUlS10_E1_NS1_11comp_targetILNS1_3genE5ELNS1_11target_archE942ELNS1_3gpuE9ELNS1_3repE0EEENS1_36merge_oddeven_config_static_selectorELNS0_4arch9wavefront6targetE1EEEvSM_.kd
    .uniform_work_group_size: 1
    .uses_dynamic_stack: false
    .vgpr_count:     19
    .vgpr_spill_count: 0
    .wavefront_size: 64
  - .agpr_count:     0
    .args:
      - .offset:         0
        .size:           64
        .value_kind:     by_value
    .group_segment_fixed_size: 0
    .kernarg_segment_align: 8
    .kernarg_segment_size: 64
    .language:       OpenCL C
    .language_version:
      - 2
      - 0
    .max_flat_workgroup_size: 256
    .name:           _ZN7rocprim17ROCPRIM_400000_NS6detail17trampoline_kernelINS0_14default_configENS1_38merge_sort_block_merge_config_selectorIlNS0_10empty_typeEEEZZNS1_27merge_sort_block_merge_implIS3_PlPS5_mZN2at6native12_GLOBAL__N_124unique_dim_cuda_templateIhEESt5tupleIJNSA_6TensorESF_SF_EERKSF_lbbbEUlllE_EE10hipError_tT0_T1_T2_jT3_P12ihipStream_tbPNSt15iterator_traitsISL_E10value_typeEPNSR_ISM_E10value_typeEPSN_NS1_7vsmem_tEENKUlT_SL_SM_SN_E_clIS8_S8_S9_S9_EESK_S10_SL_SM_SN_EUlS10_E1_NS1_11comp_targetILNS1_3genE4ELNS1_11target_archE910ELNS1_3gpuE8ELNS1_3repE0EEENS1_36merge_oddeven_config_static_selectorELNS0_4arch9wavefront6targetE1EEEvSM_
    .private_segment_fixed_size: 0
    .sgpr_count:     6
    .sgpr_spill_count: 0
    .symbol:         _ZN7rocprim17ROCPRIM_400000_NS6detail17trampoline_kernelINS0_14default_configENS1_38merge_sort_block_merge_config_selectorIlNS0_10empty_typeEEEZZNS1_27merge_sort_block_merge_implIS3_PlPS5_mZN2at6native12_GLOBAL__N_124unique_dim_cuda_templateIhEESt5tupleIJNSA_6TensorESF_SF_EERKSF_lbbbEUlllE_EE10hipError_tT0_T1_T2_jT3_P12ihipStream_tbPNSt15iterator_traitsISL_E10value_typeEPNSR_ISM_E10value_typeEPSN_NS1_7vsmem_tEENKUlT_SL_SM_SN_E_clIS8_S8_S9_S9_EESK_S10_SL_SM_SN_EUlS10_E1_NS1_11comp_targetILNS1_3genE4ELNS1_11target_archE910ELNS1_3gpuE8ELNS1_3repE0EEENS1_36merge_oddeven_config_static_selectorELNS0_4arch9wavefront6targetE1EEEvSM_.kd
    .uniform_work_group_size: 1
    .uses_dynamic_stack: false
    .vgpr_count:     0
    .vgpr_spill_count: 0
    .wavefront_size: 64
  - .agpr_count:     0
    .args:
      - .offset:         0
        .size:           64
        .value_kind:     by_value
    .group_segment_fixed_size: 0
    .kernarg_segment_align: 8
    .kernarg_segment_size: 64
    .language:       OpenCL C
    .language_version:
      - 2
      - 0
    .max_flat_workgroup_size: 256
    .name:           _ZN7rocprim17ROCPRIM_400000_NS6detail17trampoline_kernelINS0_14default_configENS1_38merge_sort_block_merge_config_selectorIlNS0_10empty_typeEEEZZNS1_27merge_sort_block_merge_implIS3_PlPS5_mZN2at6native12_GLOBAL__N_124unique_dim_cuda_templateIhEESt5tupleIJNSA_6TensorESF_SF_EERKSF_lbbbEUlllE_EE10hipError_tT0_T1_T2_jT3_P12ihipStream_tbPNSt15iterator_traitsISL_E10value_typeEPNSR_ISM_E10value_typeEPSN_NS1_7vsmem_tEENKUlT_SL_SM_SN_E_clIS8_S8_S9_S9_EESK_S10_SL_SM_SN_EUlS10_E1_NS1_11comp_targetILNS1_3genE3ELNS1_11target_archE908ELNS1_3gpuE7ELNS1_3repE0EEENS1_36merge_oddeven_config_static_selectorELNS0_4arch9wavefront6targetE1EEEvSM_
    .private_segment_fixed_size: 0
    .sgpr_count:     6
    .sgpr_spill_count: 0
    .symbol:         _ZN7rocprim17ROCPRIM_400000_NS6detail17trampoline_kernelINS0_14default_configENS1_38merge_sort_block_merge_config_selectorIlNS0_10empty_typeEEEZZNS1_27merge_sort_block_merge_implIS3_PlPS5_mZN2at6native12_GLOBAL__N_124unique_dim_cuda_templateIhEESt5tupleIJNSA_6TensorESF_SF_EERKSF_lbbbEUlllE_EE10hipError_tT0_T1_T2_jT3_P12ihipStream_tbPNSt15iterator_traitsISL_E10value_typeEPNSR_ISM_E10value_typeEPSN_NS1_7vsmem_tEENKUlT_SL_SM_SN_E_clIS8_S8_S9_S9_EESK_S10_SL_SM_SN_EUlS10_E1_NS1_11comp_targetILNS1_3genE3ELNS1_11target_archE908ELNS1_3gpuE7ELNS1_3repE0EEENS1_36merge_oddeven_config_static_selectorELNS0_4arch9wavefront6targetE1EEEvSM_.kd
    .uniform_work_group_size: 1
    .uses_dynamic_stack: false
    .vgpr_count:     0
    .vgpr_spill_count: 0
    .wavefront_size: 64
  - .agpr_count:     0
    .args:
      - .offset:         0
        .size:           64
        .value_kind:     by_value
    .group_segment_fixed_size: 0
    .kernarg_segment_align: 8
    .kernarg_segment_size: 64
    .language:       OpenCL C
    .language_version:
      - 2
      - 0
    .max_flat_workgroup_size: 256
    .name:           _ZN7rocprim17ROCPRIM_400000_NS6detail17trampoline_kernelINS0_14default_configENS1_38merge_sort_block_merge_config_selectorIlNS0_10empty_typeEEEZZNS1_27merge_sort_block_merge_implIS3_PlPS5_mZN2at6native12_GLOBAL__N_124unique_dim_cuda_templateIhEESt5tupleIJNSA_6TensorESF_SF_EERKSF_lbbbEUlllE_EE10hipError_tT0_T1_T2_jT3_P12ihipStream_tbPNSt15iterator_traitsISL_E10value_typeEPNSR_ISM_E10value_typeEPSN_NS1_7vsmem_tEENKUlT_SL_SM_SN_E_clIS8_S8_S9_S9_EESK_S10_SL_SM_SN_EUlS10_E1_NS1_11comp_targetILNS1_3genE2ELNS1_11target_archE906ELNS1_3gpuE6ELNS1_3repE0EEENS1_36merge_oddeven_config_static_selectorELNS0_4arch9wavefront6targetE1EEEvSM_
    .private_segment_fixed_size: 0
    .sgpr_count:     6
    .sgpr_spill_count: 0
    .symbol:         _ZN7rocprim17ROCPRIM_400000_NS6detail17trampoline_kernelINS0_14default_configENS1_38merge_sort_block_merge_config_selectorIlNS0_10empty_typeEEEZZNS1_27merge_sort_block_merge_implIS3_PlPS5_mZN2at6native12_GLOBAL__N_124unique_dim_cuda_templateIhEESt5tupleIJNSA_6TensorESF_SF_EERKSF_lbbbEUlllE_EE10hipError_tT0_T1_T2_jT3_P12ihipStream_tbPNSt15iterator_traitsISL_E10value_typeEPNSR_ISM_E10value_typeEPSN_NS1_7vsmem_tEENKUlT_SL_SM_SN_E_clIS8_S8_S9_S9_EESK_S10_SL_SM_SN_EUlS10_E1_NS1_11comp_targetILNS1_3genE2ELNS1_11target_archE906ELNS1_3gpuE6ELNS1_3repE0EEENS1_36merge_oddeven_config_static_selectorELNS0_4arch9wavefront6targetE1EEEvSM_.kd
    .uniform_work_group_size: 1
    .uses_dynamic_stack: false
    .vgpr_count:     0
    .vgpr_spill_count: 0
    .wavefront_size: 64
  - .agpr_count:     0
    .args:
      - .offset:         0
        .size:           64
        .value_kind:     by_value
    .group_segment_fixed_size: 0
    .kernarg_segment_align: 8
    .kernarg_segment_size: 64
    .language:       OpenCL C
    .language_version:
      - 2
      - 0
    .max_flat_workgroup_size: 256
    .name:           _ZN7rocprim17ROCPRIM_400000_NS6detail17trampoline_kernelINS0_14default_configENS1_38merge_sort_block_merge_config_selectorIlNS0_10empty_typeEEEZZNS1_27merge_sort_block_merge_implIS3_PlPS5_mZN2at6native12_GLOBAL__N_124unique_dim_cuda_templateIhEESt5tupleIJNSA_6TensorESF_SF_EERKSF_lbbbEUlllE_EE10hipError_tT0_T1_T2_jT3_P12ihipStream_tbPNSt15iterator_traitsISL_E10value_typeEPNSR_ISM_E10value_typeEPSN_NS1_7vsmem_tEENKUlT_SL_SM_SN_E_clIS8_S8_S9_S9_EESK_S10_SL_SM_SN_EUlS10_E1_NS1_11comp_targetILNS1_3genE9ELNS1_11target_archE1100ELNS1_3gpuE3ELNS1_3repE0EEENS1_36merge_oddeven_config_static_selectorELNS0_4arch9wavefront6targetE1EEEvSM_
    .private_segment_fixed_size: 0
    .sgpr_count:     6
    .sgpr_spill_count: 0
    .symbol:         _ZN7rocprim17ROCPRIM_400000_NS6detail17trampoline_kernelINS0_14default_configENS1_38merge_sort_block_merge_config_selectorIlNS0_10empty_typeEEEZZNS1_27merge_sort_block_merge_implIS3_PlPS5_mZN2at6native12_GLOBAL__N_124unique_dim_cuda_templateIhEESt5tupleIJNSA_6TensorESF_SF_EERKSF_lbbbEUlllE_EE10hipError_tT0_T1_T2_jT3_P12ihipStream_tbPNSt15iterator_traitsISL_E10value_typeEPNSR_ISM_E10value_typeEPSN_NS1_7vsmem_tEENKUlT_SL_SM_SN_E_clIS8_S8_S9_S9_EESK_S10_SL_SM_SN_EUlS10_E1_NS1_11comp_targetILNS1_3genE9ELNS1_11target_archE1100ELNS1_3gpuE3ELNS1_3repE0EEENS1_36merge_oddeven_config_static_selectorELNS0_4arch9wavefront6targetE1EEEvSM_.kd
    .uniform_work_group_size: 1
    .uses_dynamic_stack: false
    .vgpr_count:     0
    .vgpr_spill_count: 0
    .wavefront_size: 64
  - .agpr_count:     0
    .args:
      - .offset:         0
        .size:           64
        .value_kind:     by_value
    .group_segment_fixed_size: 0
    .kernarg_segment_align: 8
    .kernarg_segment_size: 64
    .language:       OpenCL C
    .language_version:
      - 2
      - 0
    .max_flat_workgroup_size: 256
    .name:           _ZN7rocprim17ROCPRIM_400000_NS6detail17trampoline_kernelINS0_14default_configENS1_38merge_sort_block_merge_config_selectorIlNS0_10empty_typeEEEZZNS1_27merge_sort_block_merge_implIS3_PlPS5_mZN2at6native12_GLOBAL__N_124unique_dim_cuda_templateIhEESt5tupleIJNSA_6TensorESF_SF_EERKSF_lbbbEUlllE_EE10hipError_tT0_T1_T2_jT3_P12ihipStream_tbPNSt15iterator_traitsISL_E10value_typeEPNSR_ISM_E10value_typeEPSN_NS1_7vsmem_tEENKUlT_SL_SM_SN_E_clIS8_S8_S9_S9_EESK_S10_SL_SM_SN_EUlS10_E1_NS1_11comp_targetILNS1_3genE8ELNS1_11target_archE1030ELNS1_3gpuE2ELNS1_3repE0EEENS1_36merge_oddeven_config_static_selectorELNS0_4arch9wavefront6targetE1EEEvSM_
    .private_segment_fixed_size: 0
    .sgpr_count:     6
    .sgpr_spill_count: 0
    .symbol:         _ZN7rocprim17ROCPRIM_400000_NS6detail17trampoline_kernelINS0_14default_configENS1_38merge_sort_block_merge_config_selectorIlNS0_10empty_typeEEEZZNS1_27merge_sort_block_merge_implIS3_PlPS5_mZN2at6native12_GLOBAL__N_124unique_dim_cuda_templateIhEESt5tupleIJNSA_6TensorESF_SF_EERKSF_lbbbEUlllE_EE10hipError_tT0_T1_T2_jT3_P12ihipStream_tbPNSt15iterator_traitsISL_E10value_typeEPNSR_ISM_E10value_typeEPSN_NS1_7vsmem_tEENKUlT_SL_SM_SN_E_clIS8_S8_S9_S9_EESK_S10_SL_SM_SN_EUlS10_E1_NS1_11comp_targetILNS1_3genE8ELNS1_11target_archE1030ELNS1_3gpuE2ELNS1_3repE0EEENS1_36merge_oddeven_config_static_selectorELNS0_4arch9wavefront6targetE1EEEvSM_.kd
    .uniform_work_group_size: 1
    .uses_dynamic_stack: false
    .vgpr_count:     0
    .vgpr_spill_count: 0
    .wavefront_size: 64
  - .agpr_count:     0
    .args:
      - .offset:         0
        .size:           40
        .value_kind:     by_value
    .group_segment_fixed_size: 0
    .kernarg_segment_align: 8
    .kernarg_segment_size: 40
    .language:       OpenCL C
    .language_version:
      - 2
      - 0
    .max_flat_workgroup_size: 128
    .name:           _ZN7rocprim17ROCPRIM_400000_NS6detail17trampoline_kernelINS0_14default_configENS1_25transform_config_selectorIlLb1EEEZNS1_14transform_implILb1ES3_S5_PlS7_NS0_8identityIlEEEE10hipError_tT2_T3_mT4_P12ihipStream_tbEUlT_E_NS1_11comp_targetILNS1_3genE0ELNS1_11target_archE4294967295ELNS1_3gpuE0ELNS1_3repE0EEENS1_30default_config_static_selectorELNS0_4arch9wavefront6targetE1EEEvT1_
    .private_segment_fixed_size: 0
    .sgpr_count:     6
    .sgpr_spill_count: 0
    .symbol:         _ZN7rocprim17ROCPRIM_400000_NS6detail17trampoline_kernelINS0_14default_configENS1_25transform_config_selectorIlLb1EEEZNS1_14transform_implILb1ES3_S5_PlS7_NS0_8identityIlEEEE10hipError_tT2_T3_mT4_P12ihipStream_tbEUlT_E_NS1_11comp_targetILNS1_3genE0ELNS1_11target_archE4294967295ELNS1_3gpuE0ELNS1_3repE0EEENS1_30default_config_static_selectorELNS0_4arch9wavefront6targetE1EEEvT1_.kd
    .uniform_work_group_size: 1
    .uses_dynamic_stack: false
    .vgpr_count:     0
    .vgpr_spill_count: 0
    .wavefront_size: 64
  - .agpr_count:     0
    .args:
      - .offset:         0
        .size:           40
        .value_kind:     by_value
    .group_segment_fixed_size: 0
    .kernarg_segment_align: 8
    .kernarg_segment_size: 40
    .language:       OpenCL C
    .language_version:
      - 2
      - 0
    .max_flat_workgroup_size: 1024
    .name:           _ZN7rocprim17ROCPRIM_400000_NS6detail17trampoline_kernelINS0_14default_configENS1_25transform_config_selectorIlLb1EEEZNS1_14transform_implILb1ES3_S5_PlS7_NS0_8identityIlEEEE10hipError_tT2_T3_mT4_P12ihipStream_tbEUlT_E_NS1_11comp_targetILNS1_3genE10ELNS1_11target_archE1201ELNS1_3gpuE5ELNS1_3repE0EEENS1_30default_config_static_selectorELNS0_4arch9wavefront6targetE1EEEvT1_
    .private_segment_fixed_size: 0
    .sgpr_count:     6
    .sgpr_spill_count: 0
    .symbol:         _ZN7rocprim17ROCPRIM_400000_NS6detail17trampoline_kernelINS0_14default_configENS1_25transform_config_selectorIlLb1EEEZNS1_14transform_implILb1ES3_S5_PlS7_NS0_8identityIlEEEE10hipError_tT2_T3_mT4_P12ihipStream_tbEUlT_E_NS1_11comp_targetILNS1_3genE10ELNS1_11target_archE1201ELNS1_3gpuE5ELNS1_3repE0EEENS1_30default_config_static_selectorELNS0_4arch9wavefront6targetE1EEEvT1_.kd
    .uniform_work_group_size: 1
    .uses_dynamic_stack: false
    .vgpr_count:     0
    .vgpr_spill_count: 0
    .wavefront_size: 64
  - .agpr_count:     0
    .args:
      - .offset:         0
        .size:           40
        .value_kind:     by_value
      - .offset:         40
        .size:           4
        .value_kind:     hidden_block_count_x
      - .offset:         44
        .size:           4
        .value_kind:     hidden_block_count_y
      - .offset:         48
        .size:           4
        .value_kind:     hidden_block_count_z
      - .offset:         52
        .size:           2
        .value_kind:     hidden_group_size_x
      - .offset:         54
        .size:           2
        .value_kind:     hidden_group_size_y
      - .offset:         56
        .size:           2
        .value_kind:     hidden_group_size_z
      - .offset:         58
        .size:           2
        .value_kind:     hidden_remainder_x
      - .offset:         60
        .size:           2
        .value_kind:     hidden_remainder_y
      - .offset:         62
        .size:           2
        .value_kind:     hidden_remainder_z
      - .offset:         80
        .size:           8
        .value_kind:     hidden_global_offset_x
      - .offset:         88
        .size:           8
        .value_kind:     hidden_global_offset_y
      - .offset:         96
        .size:           8
        .value_kind:     hidden_global_offset_z
      - .offset:         104
        .size:           2
        .value_kind:     hidden_grid_dims
    .group_segment_fixed_size: 0
    .kernarg_segment_align: 8
    .kernarg_segment_size: 296
    .language:       OpenCL C
    .language_version:
      - 2
      - 0
    .max_flat_workgroup_size: 512
    .name:           _ZN7rocprim17ROCPRIM_400000_NS6detail17trampoline_kernelINS0_14default_configENS1_25transform_config_selectorIlLb1EEEZNS1_14transform_implILb1ES3_S5_PlS7_NS0_8identityIlEEEE10hipError_tT2_T3_mT4_P12ihipStream_tbEUlT_E_NS1_11comp_targetILNS1_3genE5ELNS1_11target_archE942ELNS1_3gpuE9ELNS1_3repE0EEENS1_30default_config_static_selectorELNS0_4arch9wavefront6targetE1EEEvT1_
    .private_segment_fixed_size: 0
    .sgpr_count:     18
    .sgpr_spill_count: 0
    .symbol:         _ZN7rocprim17ROCPRIM_400000_NS6detail17trampoline_kernelINS0_14default_configENS1_25transform_config_selectorIlLb1EEEZNS1_14transform_implILb1ES3_S5_PlS7_NS0_8identityIlEEEE10hipError_tT2_T3_mT4_P12ihipStream_tbEUlT_E_NS1_11comp_targetILNS1_3genE5ELNS1_11target_archE942ELNS1_3gpuE9ELNS1_3repE0EEENS1_30default_config_static_selectorELNS0_4arch9wavefront6targetE1EEEvT1_.kd
    .uniform_work_group_size: 1
    .uses_dynamic_stack: false
    .vgpr_count:     8
    .vgpr_spill_count: 0
    .wavefront_size: 64
  - .agpr_count:     0
    .args:
      - .offset:         0
        .size:           40
        .value_kind:     by_value
    .group_segment_fixed_size: 0
    .kernarg_segment_align: 8
    .kernarg_segment_size: 40
    .language:       OpenCL C
    .language_version:
      - 2
      - 0
    .max_flat_workgroup_size: 1024
    .name:           _ZN7rocprim17ROCPRIM_400000_NS6detail17trampoline_kernelINS0_14default_configENS1_25transform_config_selectorIlLb1EEEZNS1_14transform_implILb1ES3_S5_PlS7_NS0_8identityIlEEEE10hipError_tT2_T3_mT4_P12ihipStream_tbEUlT_E_NS1_11comp_targetILNS1_3genE4ELNS1_11target_archE910ELNS1_3gpuE8ELNS1_3repE0EEENS1_30default_config_static_selectorELNS0_4arch9wavefront6targetE1EEEvT1_
    .private_segment_fixed_size: 0
    .sgpr_count:     6
    .sgpr_spill_count: 0
    .symbol:         _ZN7rocprim17ROCPRIM_400000_NS6detail17trampoline_kernelINS0_14default_configENS1_25transform_config_selectorIlLb1EEEZNS1_14transform_implILb1ES3_S5_PlS7_NS0_8identityIlEEEE10hipError_tT2_T3_mT4_P12ihipStream_tbEUlT_E_NS1_11comp_targetILNS1_3genE4ELNS1_11target_archE910ELNS1_3gpuE8ELNS1_3repE0EEENS1_30default_config_static_selectorELNS0_4arch9wavefront6targetE1EEEvT1_.kd
    .uniform_work_group_size: 1
    .uses_dynamic_stack: false
    .vgpr_count:     0
    .vgpr_spill_count: 0
    .wavefront_size: 64
  - .agpr_count:     0
    .args:
      - .offset:         0
        .size:           40
        .value_kind:     by_value
    .group_segment_fixed_size: 0
    .kernarg_segment_align: 8
    .kernarg_segment_size: 40
    .language:       OpenCL C
    .language_version:
      - 2
      - 0
    .max_flat_workgroup_size: 128
    .name:           _ZN7rocprim17ROCPRIM_400000_NS6detail17trampoline_kernelINS0_14default_configENS1_25transform_config_selectorIlLb1EEEZNS1_14transform_implILb1ES3_S5_PlS7_NS0_8identityIlEEEE10hipError_tT2_T3_mT4_P12ihipStream_tbEUlT_E_NS1_11comp_targetILNS1_3genE3ELNS1_11target_archE908ELNS1_3gpuE7ELNS1_3repE0EEENS1_30default_config_static_selectorELNS0_4arch9wavefront6targetE1EEEvT1_
    .private_segment_fixed_size: 0
    .sgpr_count:     6
    .sgpr_spill_count: 0
    .symbol:         _ZN7rocprim17ROCPRIM_400000_NS6detail17trampoline_kernelINS0_14default_configENS1_25transform_config_selectorIlLb1EEEZNS1_14transform_implILb1ES3_S5_PlS7_NS0_8identityIlEEEE10hipError_tT2_T3_mT4_P12ihipStream_tbEUlT_E_NS1_11comp_targetILNS1_3genE3ELNS1_11target_archE908ELNS1_3gpuE7ELNS1_3repE0EEENS1_30default_config_static_selectorELNS0_4arch9wavefront6targetE1EEEvT1_.kd
    .uniform_work_group_size: 1
    .uses_dynamic_stack: false
    .vgpr_count:     0
    .vgpr_spill_count: 0
    .wavefront_size: 64
  - .agpr_count:     0
    .args:
      - .offset:         0
        .size:           40
        .value_kind:     by_value
    .group_segment_fixed_size: 0
    .kernarg_segment_align: 8
    .kernarg_segment_size: 40
    .language:       OpenCL C
    .language_version:
      - 2
      - 0
    .max_flat_workgroup_size: 512
    .name:           _ZN7rocprim17ROCPRIM_400000_NS6detail17trampoline_kernelINS0_14default_configENS1_25transform_config_selectorIlLb1EEEZNS1_14transform_implILb1ES3_S5_PlS7_NS0_8identityIlEEEE10hipError_tT2_T3_mT4_P12ihipStream_tbEUlT_E_NS1_11comp_targetILNS1_3genE2ELNS1_11target_archE906ELNS1_3gpuE6ELNS1_3repE0EEENS1_30default_config_static_selectorELNS0_4arch9wavefront6targetE1EEEvT1_
    .private_segment_fixed_size: 0
    .sgpr_count:     6
    .sgpr_spill_count: 0
    .symbol:         _ZN7rocprim17ROCPRIM_400000_NS6detail17trampoline_kernelINS0_14default_configENS1_25transform_config_selectorIlLb1EEEZNS1_14transform_implILb1ES3_S5_PlS7_NS0_8identityIlEEEE10hipError_tT2_T3_mT4_P12ihipStream_tbEUlT_E_NS1_11comp_targetILNS1_3genE2ELNS1_11target_archE906ELNS1_3gpuE6ELNS1_3repE0EEENS1_30default_config_static_selectorELNS0_4arch9wavefront6targetE1EEEvT1_.kd
    .uniform_work_group_size: 1
    .uses_dynamic_stack: false
    .vgpr_count:     0
    .vgpr_spill_count: 0
    .wavefront_size: 64
  - .agpr_count:     0
    .args:
      - .offset:         0
        .size:           40
        .value_kind:     by_value
    .group_segment_fixed_size: 0
    .kernarg_segment_align: 8
    .kernarg_segment_size: 40
    .language:       OpenCL C
    .language_version:
      - 2
      - 0
    .max_flat_workgroup_size: 1024
    .name:           _ZN7rocprim17ROCPRIM_400000_NS6detail17trampoline_kernelINS0_14default_configENS1_25transform_config_selectorIlLb1EEEZNS1_14transform_implILb1ES3_S5_PlS7_NS0_8identityIlEEEE10hipError_tT2_T3_mT4_P12ihipStream_tbEUlT_E_NS1_11comp_targetILNS1_3genE9ELNS1_11target_archE1100ELNS1_3gpuE3ELNS1_3repE0EEENS1_30default_config_static_selectorELNS0_4arch9wavefront6targetE1EEEvT1_
    .private_segment_fixed_size: 0
    .sgpr_count:     6
    .sgpr_spill_count: 0
    .symbol:         _ZN7rocprim17ROCPRIM_400000_NS6detail17trampoline_kernelINS0_14default_configENS1_25transform_config_selectorIlLb1EEEZNS1_14transform_implILb1ES3_S5_PlS7_NS0_8identityIlEEEE10hipError_tT2_T3_mT4_P12ihipStream_tbEUlT_E_NS1_11comp_targetILNS1_3genE9ELNS1_11target_archE1100ELNS1_3gpuE3ELNS1_3repE0EEENS1_30default_config_static_selectorELNS0_4arch9wavefront6targetE1EEEvT1_.kd
    .uniform_work_group_size: 1
    .uses_dynamic_stack: false
    .vgpr_count:     0
    .vgpr_spill_count: 0
    .wavefront_size: 64
  - .agpr_count:     0
    .args:
      - .offset:         0
        .size:           40
        .value_kind:     by_value
    .group_segment_fixed_size: 0
    .kernarg_segment_align: 8
    .kernarg_segment_size: 40
    .language:       OpenCL C
    .language_version:
      - 2
      - 0
    .max_flat_workgroup_size: 1024
    .name:           _ZN7rocprim17ROCPRIM_400000_NS6detail17trampoline_kernelINS0_14default_configENS1_25transform_config_selectorIlLb1EEEZNS1_14transform_implILb1ES3_S5_PlS7_NS0_8identityIlEEEE10hipError_tT2_T3_mT4_P12ihipStream_tbEUlT_E_NS1_11comp_targetILNS1_3genE8ELNS1_11target_archE1030ELNS1_3gpuE2ELNS1_3repE0EEENS1_30default_config_static_selectorELNS0_4arch9wavefront6targetE1EEEvT1_
    .private_segment_fixed_size: 0
    .sgpr_count:     6
    .sgpr_spill_count: 0
    .symbol:         _ZN7rocprim17ROCPRIM_400000_NS6detail17trampoline_kernelINS0_14default_configENS1_25transform_config_selectorIlLb1EEEZNS1_14transform_implILb1ES3_S5_PlS7_NS0_8identityIlEEEE10hipError_tT2_T3_mT4_P12ihipStream_tbEUlT_E_NS1_11comp_targetILNS1_3genE8ELNS1_11target_archE1030ELNS1_3gpuE2ELNS1_3repE0EEENS1_30default_config_static_selectorELNS0_4arch9wavefront6targetE1EEEvT1_.kd
    .uniform_work_group_size: 1
    .uses_dynamic_stack: false
    .vgpr_count:     0
    .vgpr_spill_count: 0
    .wavefront_size: 64
  - .agpr_count:     0
    .args:
      - .offset:         0
        .size:           40
        .value_kind:     by_value
    .group_segment_fixed_size: 0
    .kernarg_segment_align: 8
    .kernarg_segment_size: 40
    .language:       OpenCL C
    .language_version:
      - 2
      - 0
    .max_flat_workgroup_size: 128
    .name:           _ZN7rocprim17ROCPRIM_400000_NS6detail17trampoline_kernelINS0_14default_configENS1_25transform_config_selectorINS0_10empty_typeELb1EEEZNS1_14transform_implILb1ES3_S6_PS5_S8_NS0_8identityIS5_EEEE10hipError_tT2_T3_mT4_P12ihipStream_tbEUlT_E_NS1_11comp_targetILNS1_3genE0ELNS1_11target_archE4294967295ELNS1_3gpuE0ELNS1_3repE0EEENS1_30default_config_static_selectorELNS0_4arch9wavefront6targetE1EEEvT1_
    .private_segment_fixed_size: 0
    .sgpr_count:     6
    .sgpr_spill_count: 0
    .symbol:         _ZN7rocprim17ROCPRIM_400000_NS6detail17trampoline_kernelINS0_14default_configENS1_25transform_config_selectorINS0_10empty_typeELb1EEEZNS1_14transform_implILb1ES3_S6_PS5_S8_NS0_8identityIS5_EEEE10hipError_tT2_T3_mT4_P12ihipStream_tbEUlT_E_NS1_11comp_targetILNS1_3genE0ELNS1_11target_archE4294967295ELNS1_3gpuE0ELNS1_3repE0EEENS1_30default_config_static_selectorELNS0_4arch9wavefront6targetE1EEEvT1_.kd
    .uniform_work_group_size: 1
    .uses_dynamic_stack: false
    .vgpr_count:     0
    .vgpr_spill_count: 0
    .wavefront_size: 64
  - .agpr_count:     0
    .args:
      - .offset:         0
        .size:           40
        .value_kind:     by_value
    .group_segment_fixed_size: 0
    .kernarg_segment_align: 8
    .kernarg_segment_size: 40
    .language:       OpenCL C
    .language_version:
      - 2
      - 0
    .max_flat_workgroup_size: 1024
    .name:           _ZN7rocprim17ROCPRIM_400000_NS6detail17trampoline_kernelINS0_14default_configENS1_25transform_config_selectorINS0_10empty_typeELb1EEEZNS1_14transform_implILb1ES3_S6_PS5_S8_NS0_8identityIS5_EEEE10hipError_tT2_T3_mT4_P12ihipStream_tbEUlT_E_NS1_11comp_targetILNS1_3genE10ELNS1_11target_archE1201ELNS1_3gpuE5ELNS1_3repE0EEENS1_30default_config_static_selectorELNS0_4arch9wavefront6targetE1EEEvT1_
    .private_segment_fixed_size: 0
    .sgpr_count:     6
    .sgpr_spill_count: 0
    .symbol:         _ZN7rocprim17ROCPRIM_400000_NS6detail17trampoline_kernelINS0_14default_configENS1_25transform_config_selectorINS0_10empty_typeELb1EEEZNS1_14transform_implILb1ES3_S6_PS5_S8_NS0_8identityIS5_EEEE10hipError_tT2_T3_mT4_P12ihipStream_tbEUlT_E_NS1_11comp_targetILNS1_3genE10ELNS1_11target_archE1201ELNS1_3gpuE5ELNS1_3repE0EEENS1_30default_config_static_selectorELNS0_4arch9wavefront6targetE1EEEvT1_.kd
    .uniform_work_group_size: 1
    .uses_dynamic_stack: false
    .vgpr_count:     0
    .vgpr_spill_count: 0
    .wavefront_size: 64
  - .agpr_count:     0
    .args:
      - .offset:         0
        .size:           40
        .value_kind:     by_value
    .group_segment_fixed_size: 0
    .kernarg_segment_align: 8
    .kernarg_segment_size: 40
    .language:       OpenCL C
    .language_version:
      - 2
      - 0
    .max_flat_workgroup_size: 256
    .name:           _ZN7rocprim17ROCPRIM_400000_NS6detail17trampoline_kernelINS0_14default_configENS1_25transform_config_selectorINS0_10empty_typeELb1EEEZNS1_14transform_implILb1ES3_S6_PS5_S8_NS0_8identityIS5_EEEE10hipError_tT2_T3_mT4_P12ihipStream_tbEUlT_E_NS1_11comp_targetILNS1_3genE5ELNS1_11target_archE942ELNS1_3gpuE9ELNS1_3repE0EEENS1_30default_config_static_selectorELNS0_4arch9wavefront6targetE1EEEvT1_
    .private_segment_fixed_size: 0
    .sgpr_count:     6
    .sgpr_spill_count: 0
    .symbol:         _ZN7rocprim17ROCPRIM_400000_NS6detail17trampoline_kernelINS0_14default_configENS1_25transform_config_selectorINS0_10empty_typeELb1EEEZNS1_14transform_implILb1ES3_S6_PS5_S8_NS0_8identityIS5_EEEE10hipError_tT2_T3_mT4_P12ihipStream_tbEUlT_E_NS1_11comp_targetILNS1_3genE5ELNS1_11target_archE942ELNS1_3gpuE9ELNS1_3repE0EEENS1_30default_config_static_selectorELNS0_4arch9wavefront6targetE1EEEvT1_.kd
    .uniform_work_group_size: 1
    .uses_dynamic_stack: false
    .vgpr_count:     0
    .vgpr_spill_count: 0
    .wavefront_size: 64
  - .agpr_count:     0
    .args:
      - .offset:         0
        .size:           40
        .value_kind:     by_value
    .group_segment_fixed_size: 0
    .kernarg_segment_align: 8
    .kernarg_segment_size: 40
    .language:       OpenCL C
    .language_version:
      - 2
      - 0
    .max_flat_workgroup_size: 1024
    .name:           _ZN7rocprim17ROCPRIM_400000_NS6detail17trampoline_kernelINS0_14default_configENS1_25transform_config_selectorINS0_10empty_typeELb1EEEZNS1_14transform_implILb1ES3_S6_PS5_S8_NS0_8identityIS5_EEEE10hipError_tT2_T3_mT4_P12ihipStream_tbEUlT_E_NS1_11comp_targetILNS1_3genE4ELNS1_11target_archE910ELNS1_3gpuE8ELNS1_3repE0EEENS1_30default_config_static_selectorELNS0_4arch9wavefront6targetE1EEEvT1_
    .private_segment_fixed_size: 0
    .sgpr_count:     6
    .sgpr_spill_count: 0
    .symbol:         _ZN7rocprim17ROCPRIM_400000_NS6detail17trampoline_kernelINS0_14default_configENS1_25transform_config_selectorINS0_10empty_typeELb1EEEZNS1_14transform_implILb1ES3_S6_PS5_S8_NS0_8identityIS5_EEEE10hipError_tT2_T3_mT4_P12ihipStream_tbEUlT_E_NS1_11comp_targetILNS1_3genE4ELNS1_11target_archE910ELNS1_3gpuE8ELNS1_3repE0EEENS1_30default_config_static_selectorELNS0_4arch9wavefront6targetE1EEEvT1_.kd
    .uniform_work_group_size: 1
    .uses_dynamic_stack: false
    .vgpr_count:     0
    .vgpr_spill_count: 0
    .wavefront_size: 64
  - .agpr_count:     0
    .args:
      - .offset:         0
        .size:           40
        .value_kind:     by_value
    .group_segment_fixed_size: 0
    .kernarg_segment_align: 8
    .kernarg_segment_size: 40
    .language:       OpenCL C
    .language_version:
      - 2
      - 0
    .max_flat_workgroup_size: 128
    .name:           _ZN7rocprim17ROCPRIM_400000_NS6detail17trampoline_kernelINS0_14default_configENS1_25transform_config_selectorINS0_10empty_typeELb1EEEZNS1_14transform_implILb1ES3_S6_PS5_S8_NS0_8identityIS5_EEEE10hipError_tT2_T3_mT4_P12ihipStream_tbEUlT_E_NS1_11comp_targetILNS1_3genE3ELNS1_11target_archE908ELNS1_3gpuE7ELNS1_3repE0EEENS1_30default_config_static_selectorELNS0_4arch9wavefront6targetE1EEEvT1_
    .private_segment_fixed_size: 0
    .sgpr_count:     6
    .sgpr_spill_count: 0
    .symbol:         _ZN7rocprim17ROCPRIM_400000_NS6detail17trampoline_kernelINS0_14default_configENS1_25transform_config_selectorINS0_10empty_typeELb1EEEZNS1_14transform_implILb1ES3_S6_PS5_S8_NS0_8identityIS5_EEEE10hipError_tT2_T3_mT4_P12ihipStream_tbEUlT_E_NS1_11comp_targetILNS1_3genE3ELNS1_11target_archE908ELNS1_3gpuE7ELNS1_3repE0EEENS1_30default_config_static_selectorELNS0_4arch9wavefront6targetE1EEEvT1_.kd
    .uniform_work_group_size: 1
    .uses_dynamic_stack: false
    .vgpr_count:     0
    .vgpr_spill_count: 0
    .wavefront_size: 64
  - .agpr_count:     0
    .args:
      - .offset:         0
        .size:           40
        .value_kind:     by_value
    .group_segment_fixed_size: 0
    .kernarg_segment_align: 8
    .kernarg_segment_size: 40
    .language:       OpenCL C
    .language_version:
      - 2
      - 0
    .max_flat_workgroup_size: 512
    .name:           _ZN7rocprim17ROCPRIM_400000_NS6detail17trampoline_kernelINS0_14default_configENS1_25transform_config_selectorINS0_10empty_typeELb1EEEZNS1_14transform_implILb1ES3_S6_PS5_S8_NS0_8identityIS5_EEEE10hipError_tT2_T3_mT4_P12ihipStream_tbEUlT_E_NS1_11comp_targetILNS1_3genE2ELNS1_11target_archE906ELNS1_3gpuE6ELNS1_3repE0EEENS1_30default_config_static_selectorELNS0_4arch9wavefront6targetE1EEEvT1_
    .private_segment_fixed_size: 0
    .sgpr_count:     6
    .sgpr_spill_count: 0
    .symbol:         _ZN7rocprim17ROCPRIM_400000_NS6detail17trampoline_kernelINS0_14default_configENS1_25transform_config_selectorINS0_10empty_typeELb1EEEZNS1_14transform_implILb1ES3_S6_PS5_S8_NS0_8identityIS5_EEEE10hipError_tT2_T3_mT4_P12ihipStream_tbEUlT_E_NS1_11comp_targetILNS1_3genE2ELNS1_11target_archE906ELNS1_3gpuE6ELNS1_3repE0EEENS1_30default_config_static_selectorELNS0_4arch9wavefront6targetE1EEEvT1_.kd
    .uniform_work_group_size: 1
    .uses_dynamic_stack: false
    .vgpr_count:     0
    .vgpr_spill_count: 0
    .wavefront_size: 64
  - .agpr_count:     0
    .args:
      - .offset:         0
        .size:           40
        .value_kind:     by_value
    .group_segment_fixed_size: 0
    .kernarg_segment_align: 8
    .kernarg_segment_size: 40
    .language:       OpenCL C
    .language_version:
      - 2
      - 0
    .max_flat_workgroup_size: 1024
    .name:           _ZN7rocprim17ROCPRIM_400000_NS6detail17trampoline_kernelINS0_14default_configENS1_25transform_config_selectorINS0_10empty_typeELb1EEEZNS1_14transform_implILb1ES3_S6_PS5_S8_NS0_8identityIS5_EEEE10hipError_tT2_T3_mT4_P12ihipStream_tbEUlT_E_NS1_11comp_targetILNS1_3genE9ELNS1_11target_archE1100ELNS1_3gpuE3ELNS1_3repE0EEENS1_30default_config_static_selectorELNS0_4arch9wavefront6targetE1EEEvT1_
    .private_segment_fixed_size: 0
    .sgpr_count:     6
    .sgpr_spill_count: 0
    .symbol:         _ZN7rocprim17ROCPRIM_400000_NS6detail17trampoline_kernelINS0_14default_configENS1_25transform_config_selectorINS0_10empty_typeELb1EEEZNS1_14transform_implILb1ES3_S6_PS5_S8_NS0_8identityIS5_EEEE10hipError_tT2_T3_mT4_P12ihipStream_tbEUlT_E_NS1_11comp_targetILNS1_3genE9ELNS1_11target_archE1100ELNS1_3gpuE3ELNS1_3repE0EEENS1_30default_config_static_selectorELNS0_4arch9wavefront6targetE1EEEvT1_.kd
    .uniform_work_group_size: 1
    .uses_dynamic_stack: false
    .vgpr_count:     0
    .vgpr_spill_count: 0
    .wavefront_size: 64
  - .agpr_count:     0
    .args:
      - .offset:         0
        .size:           40
        .value_kind:     by_value
    .group_segment_fixed_size: 0
    .kernarg_segment_align: 8
    .kernarg_segment_size: 40
    .language:       OpenCL C
    .language_version:
      - 2
      - 0
    .max_flat_workgroup_size: 1024
    .name:           _ZN7rocprim17ROCPRIM_400000_NS6detail17trampoline_kernelINS0_14default_configENS1_25transform_config_selectorINS0_10empty_typeELb1EEEZNS1_14transform_implILb1ES3_S6_PS5_S8_NS0_8identityIS5_EEEE10hipError_tT2_T3_mT4_P12ihipStream_tbEUlT_E_NS1_11comp_targetILNS1_3genE8ELNS1_11target_archE1030ELNS1_3gpuE2ELNS1_3repE0EEENS1_30default_config_static_selectorELNS0_4arch9wavefront6targetE1EEEvT1_
    .private_segment_fixed_size: 0
    .sgpr_count:     6
    .sgpr_spill_count: 0
    .symbol:         _ZN7rocprim17ROCPRIM_400000_NS6detail17trampoline_kernelINS0_14default_configENS1_25transform_config_selectorINS0_10empty_typeELb1EEEZNS1_14transform_implILb1ES3_S6_PS5_S8_NS0_8identityIS5_EEEE10hipError_tT2_T3_mT4_P12ihipStream_tbEUlT_E_NS1_11comp_targetILNS1_3genE8ELNS1_11target_archE1030ELNS1_3gpuE2ELNS1_3repE0EEENS1_30default_config_static_selectorELNS0_4arch9wavefront6targetE1EEEvT1_.kd
    .uniform_work_group_size: 1
    .uses_dynamic_stack: false
    .vgpr_count:     0
    .vgpr_spill_count: 0
    .wavefront_size: 64
  - .agpr_count:     0
    .args:
      - .offset:         0
        .size:           64
        .value_kind:     by_value
    .group_segment_fixed_size: 0
    .kernarg_segment_align: 8
    .kernarg_segment_size: 64
    .language:       OpenCL C
    .language_version:
      - 2
      - 0
    .max_flat_workgroup_size: 128
    .name:           _ZN7rocprim17ROCPRIM_400000_NS6detail17trampoline_kernelINS0_14default_configENS1_35adjacent_difference_config_selectorILb0ElEEZNS1_24adjacent_difference_implIS3_Lb0ELb0EPlS7_ZN2at6native12_GLOBAL__N_124unique_dim_cuda_templateIhEESt5tupleIJNS8_6TensorESD_SD_EERKSD_lbbbEUlllE1_EE10hipError_tPvRmT2_T3_mT4_P12ihipStream_tbEUlT_E_NS1_11comp_targetILNS1_3genE0ELNS1_11target_archE4294967295ELNS1_3gpuE0ELNS1_3repE0EEENS1_30default_config_static_selectorELNS0_4arch9wavefront6targetE1EEEvT1_
    .private_segment_fixed_size: 0
    .sgpr_count:     6
    .sgpr_spill_count: 0
    .symbol:         _ZN7rocprim17ROCPRIM_400000_NS6detail17trampoline_kernelINS0_14default_configENS1_35adjacent_difference_config_selectorILb0ElEEZNS1_24adjacent_difference_implIS3_Lb0ELb0EPlS7_ZN2at6native12_GLOBAL__N_124unique_dim_cuda_templateIhEESt5tupleIJNS8_6TensorESD_SD_EERKSD_lbbbEUlllE1_EE10hipError_tPvRmT2_T3_mT4_P12ihipStream_tbEUlT_E_NS1_11comp_targetILNS1_3genE0ELNS1_11target_archE4294967295ELNS1_3gpuE0ELNS1_3repE0EEENS1_30default_config_static_selectorELNS0_4arch9wavefront6targetE1EEEvT1_.kd
    .uniform_work_group_size: 1
    .uses_dynamic_stack: false
    .vgpr_count:     0
    .vgpr_spill_count: 0
    .wavefront_size: 64
  - .agpr_count:     0
    .args:
      - .offset:         0
        .size:           64
        .value_kind:     by_value
    .group_segment_fixed_size: 0
    .kernarg_segment_align: 8
    .kernarg_segment_size: 64
    .language:       OpenCL C
    .language_version:
      - 2
      - 0
    .max_flat_workgroup_size: 128
    .name:           _ZN7rocprim17ROCPRIM_400000_NS6detail17trampoline_kernelINS0_14default_configENS1_35adjacent_difference_config_selectorILb0ElEEZNS1_24adjacent_difference_implIS3_Lb0ELb0EPlS7_ZN2at6native12_GLOBAL__N_124unique_dim_cuda_templateIhEESt5tupleIJNS8_6TensorESD_SD_EERKSD_lbbbEUlllE1_EE10hipError_tPvRmT2_T3_mT4_P12ihipStream_tbEUlT_E_NS1_11comp_targetILNS1_3genE10ELNS1_11target_archE1201ELNS1_3gpuE5ELNS1_3repE0EEENS1_30default_config_static_selectorELNS0_4arch9wavefront6targetE1EEEvT1_
    .private_segment_fixed_size: 0
    .sgpr_count:     6
    .sgpr_spill_count: 0
    .symbol:         _ZN7rocprim17ROCPRIM_400000_NS6detail17trampoline_kernelINS0_14default_configENS1_35adjacent_difference_config_selectorILb0ElEEZNS1_24adjacent_difference_implIS3_Lb0ELb0EPlS7_ZN2at6native12_GLOBAL__N_124unique_dim_cuda_templateIhEESt5tupleIJNS8_6TensorESD_SD_EERKSD_lbbbEUlllE1_EE10hipError_tPvRmT2_T3_mT4_P12ihipStream_tbEUlT_E_NS1_11comp_targetILNS1_3genE10ELNS1_11target_archE1201ELNS1_3gpuE5ELNS1_3repE0EEENS1_30default_config_static_selectorELNS0_4arch9wavefront6targetE1EEEvT1_.kd
    .uniform_work_group_size: 1
    .uses_dynamic_stack: false
    .vgpr_count:     0
    .vgpr_spill_count: 0
    .wavefront_size: 64
  - .agpr_count:     0
    .args:
      - .offset:         0
        .size:           64
        .value_kind:     by_value
    .group_segment_fixed_size: 6656
    .kernarg_segment_align: 8
    .kernarg_segment_size: 64
    .language:       OpenCL C
    .language_version:
      - 2
      - 0
    .max_flat_workgroup_size: 64
    .name:           _ZN7rocprim17ROCPRIM_400000_NS6detail17trampoline_kernelINS0_14default_configENS1_35adjacent_difference_config_selectorILb0ElEEZNS1_24adjacent_difference_implIS3_Lb0ELb0EPlS7_ZN2at6native12_GLOBAL__N_124unique_dim_cuda_templateIhEESt5tupleIJNS8_6TensorESD_SD_EERKSD_lbbbEUlllE1_EE10hipError_tPvRmT2_T3_mT4_P12ihipStream_tbEUlT_E_NS1_11comp_targetILNS1_3genE5ELNS1_11target_archE942ELNS1_3gpuE9ELNS1_3repE0EEENS1_30default_config_static_selectorELNS0_4arch9wavefront6targetE1EEEvT1_
    .private_segment_fixed_size: 0
    .sgpr_count:     44
    .sgpr_spill_count: 0
    .symbol:         _ZN7rocprim17ROCPRIM_400000_NS6detail17trampoline_kernelINS0_14default_configENS1_35adjacent_difference_config_selectorILb0ElEEZNS1_24adjacent_difference_implIS3_Lb0ELb0EPlS7_ZN2at6native12_GLOBAL__N_124unique_dim_cuda_templateIhEESt5tupleIJNS8_6TensorESD_SD_EERKSD_lbbbEUlllE1_EE10hipError_tPvRmT2_T3_mT4_P12ihipStream_tbEUlT_E_NS1_11comp_targetILNS1_3genE5ELNS1_11target_archE942ELNS1_3gpuE9ELNS1_3repE0EEENS1_30default_config_static_selectorELNS0_4arch9wavefront6targetE1EEEvT1_.kd
    .uniform_work_group_size: 1
    .uses_dynamic_stack: false
    .vgpr_count:     84
    .vgpr_spill_count: 0
    .wavefront_size: 64
  - .agpr_count:     0
    .args:
      - .offset:         0
        .size:           64
        .value_kind:     by_value
    .group_segment_fixed_size: 0
    .kernarg_segment_align: 8
    .kernarg_segment_size: 64
    .language:       OpenCL C
    .language_version:
      - 2
      - 0
    .max_flat_workgroup_size: 256
    .name:           _ZN7rocprim17ROCPRIM_400000_NS6detail17trampoline_kernelINS0_14default_configENS1_35adjacent_difference_config_selectorILb0ElEEZNS1_24adjacent_difference_implIS3_Lb0ELb0EPlS7_ZN2at6native12_GLOBAL__N_124unique_dim_cuda_templateIhEESt5tupleIJNS8_6TensorESD_SD_EERKSD_lbbbEUlllE1_EE10hipError_tPvRmT2_T3_mT4_P12ihipStream_tbEUlT_E_NS1_11comp_targetILNS1_3genE4ELNS1_11target_archE910ELNS1_3gpuE8ELNS1_3repE0EEENS1_30default_config_static_selectorELNS0_4arch9wavefront6targetE1EEEvT1_
    .private_segment_fixed_size: 0
    .sgpr_count:     6
    .sgpr_spill_count: 0
    .symbol:         _ZN7rocprim17ROCPRIM_400000_NS6detail17trampoline_kernelINS0_14default_configENS1_35adjacent_difference_config_selectorILb0ElEEZNS1_24adjacent_difference_implIS3_Lb0ELb0EPlS7_ZN2at6native12_GLOBAL__N_124unique_dim_cuda_templateIhEESt5tupleIJNS8_6TensorESD_SD_EERKSD_lbbbEUlllE1_EE10hipError_tPvRmT2_T3_mT4_P12ihipStream_tbEUlT_E_NS1_11comp_targetILNS1_3genE4ELNS1_11target_archE910ELNS1_3gpuE8ELNS1_3repE0EEENS1_30default_config_static_selectorELNS0_4arch9wavefront6targetE1EEEvT1_.kd
    .uniform_work_group_size: 1
    .uses_dynamic_stack: false
    .vgpr_count:     0
    .vgpr_spill_count: 0
    .wavefront_size: 64
  - .agpr_count:     0
    .args:
      - .offset:         0
        .size:           64
        .value_kind:     by_value
    .group_segment_fixed_size: 0
    .kernarg_segment_align: 8
    .kernarg_segment_size: 64
    .language:       OpenCL C
    .language_version:
      - 2
      - 0
    .max_flat_workgroup_size: 128
    .name:           _ZN7rocprim17ROCPRIM_400000_NS6detail17trampoline_kernelINS0_14default_configENS1_35adjacent_difference_config_selectorILb0ElEEZNS1_24adjacent_difference_implIS3_Lb0ELb0EPlS7_ZN2at6native12_GLOBAL__N_124unique_dim_cuda_templateIhEESt5tupleIJNS8_6TensorESD_SD_EERKSD_lbbbEUlllE1_EE10hipError_tPvRmT2_T3_mT4_P12ihipStream_tbEUlT_E_NS1_11comp_targetILNS1_3genE3ELNS1_11target_archE908ELNS1_3gpuE7ELNS1_3repE0EEENS1_30default_config_static_selectorELNS0_4arch9wavefront6targetE1EEEvT1_
    .private_segment_fixed_size: 0
    .sgpr_count:     6
    .sgpr_spill_count: 0
    .symbol:         _ZN7rocprim17ROCPRIM_400000_NS6detail17trampoline_kernelINS0_14default_configENS1_35adjacent_difference_config_selectorILb0ElEEZNS1_24adjacent_difference_implIS3_Lb0ELb0EPlS7_ZN2at6native12_GLOBAL__N_124unique_dim_cuda_templateIhEESt5tupleIJNS8_6TensorESD_SD_EERKSD_lbbbEUlllE1_EE10hipError_tPvRmT2_T3_mT4_P12ihipStream_tbEUlT_E_NS1_11comp_targetILNS1_3genE3ELNS1_11target_archE908ELNS1_3gpuE7ELNS1_3repE0EEENS1_30default_config_static_selectorELNS0_4arch9wavefront6targetE1EEEvT1_.kd
    .uniform_work_group_size: 1
    .uses_dynamic_stack: false
    .vgpr_count:     0
    .vgpr_spill_count: 0
    .wavefront_size: 64
  - .agpr_count:     0
    .args:
      - .offset:         0
        .size:           64
        .value_kind:     by_value
    .group_segment_fixed_size: 0
    .kernarg_segment_align: 8
    .kernarg_segment_size: 64
    .language:       OpenCL C
    .language_version:
      - 2
      - 0
    .max_flat_workgroup_size: 128
    .name:           _ZN7rocprim17ROCPRIM_400000_NS6detail17trampoline_kernelINS0_14default_configENS1_35adjacent_difference_config_selectorILb0ElEEZNS1_24adjacent_difference_implIS3_Lb0ELb0EPlS7_ZN2at6native12_GLOBAL__N_124unique_dim_cuda_templateIhEESt5tupleIJNS8_6TensorESD_SD_EERKSD_lbbbEUlllE1_EE10hipError_tPvRmT2_T3_mT4_P12ihipStream_tbEUlT_E_NS1_11comp_targetILNS1_3genE2ELNS1_11target_archE906ELNS1_3gpuE6ELNS1_3repE0EEENS1_30default_config_static_selectorELNS0_4arch9wavefront6targetE1EEEvT1_
    .private_segment_fixed_size: 0
    .sgpr_count:     6
    .sgpr_spill_count: 0
    .symbol:         _ZN7rocprim17ROCPRIM_400000_NS6detail17trampoline_kernelINS0_14default_configENS1_35adjacent_difference_config_selectorILb0ElEEZNS1_24adjacent_difference_implIS3_Lb0ELb0EPlS7_ZN2at6native12_GLOBAL__N_124unique_dim_cuda_templateIhEESt5tupleIJNS8_6TensorESD_SD_EERKSD_lbbbEUlllE1_EE10hipError_tPvRmT2_T3_mT4_P12ihipStream_tbEUlT_E_NS1_11comp_targetILNS1_3genE2ELNS1_11target_archE906ELNS1_3gpuE6ELNS1_3repE0EEENS1_30default_config_static_selectorELNS0_4arch9wavefront6targetE1EEEvT1_.kd
    .uniform_work_group_size: 1
    .uses_dynamic_stack: false
    .vgpr_count:     0
    .vgpr_spill_count: 0
    .wavefront_size: 64
  - .agpr_count:     0
    .args:
      - .offset:         0
        .size:           64
        .value_kind:     by_value
    .group_segment_fixed_size: 0
    .kernarg_segment_align: 8
    .kernarg_segment_size: 64
    .language:       OpenCL C
    .language_version:
      - 2
      - 0
    .max_flat_workgroup_size: 512
    .name:           _ZN7rocprim17ROCPRIM_400000_NS6detail17trampoline_kernelINS0_14default_configENS1_35adjacent_difference_config_selectorILb0ElEEZNS1_24adjacent_difference_implIS3_Lb0ELb0EPlS7_ZN2at6native12_GLOBAL__N_124unique_dim_cuda_templateIhEESt5tupleIJNS8_6TensorESD_SD_EERKSD_lbbbEUlllE1_EE10hipError_tPvRmT2_T3_mT4_P12ihipStream_tbEUlT_E_NS1_11comp_targetILNS1_3genE9ELNS1_11target_archE1100ELNS1_3gpuE3ELNS1_3repE0EEENS1_30default_config_static_selectorELNS0_4arch9wavefront6targetE1EEEvT1_
    .private_segment_fixed_size: 0
    .sgpr_count:     6
    .sgpr_spill_count: 0
    .symbol:         _ZN7rocprim17ROCPRIM_400000_NS6detail17trampoline_kernelINS0_14default_configENS1_35adjacent_difference_config_selectorILb0ElEEZNS1_24adjacent_difference_implIS3_Lb0ELb0EPlS7_ZN2at6native12_GLOBAL__N_124unique_dim_cuda_templateIhEESt5tupleIJNS8_6TensorESD_SD_EERKSD_lbbbEUlllE1_EE10hipError_tPvRmT2_T3_mT4_P12ihipStream_tbEUlT_E_NS1_11comp_targetILNS1_3genE9ELNS1_11target_archE1100ELNS1_3gpuE3ELNS1_3repE0EEENS1_30default_config_static_selectorELNS0_4arch9wavefront6targetE1EEEvT1_.kd
    .uniform_work_group_size: 1
    .uses_dynamic_stack: false
    .vgpr_count:     0
    .vgpr_spill_count: 0
    .wavefront_size: 64
  - .agpr_count:     0
    .args:
      - .offset:         0
        .size:           64
        .value_kind:     by_value
    .group_segment_fixed_size: 0
    .kernarg_segment_align: 8
    .kernarg_segment_size: 64
    .language:       OpenCL C
    .language_version:
      - 2
      - 0
    .max_flat_workgroup_size: 1024
    .name:           _ZN7rocprim17ROCPRIM_400000_NS6detail17trampoline_kernelINS0_14default_configENS1_35adjacent_difference_config_selectorILb0ElEEZNS1_24adjacent_difference_implIS3_Lb0ELb0EPlS7_ZN2at6native12_GLOBAL__N_124unique_dim_cuda_templateIhEESt5tupleIJNS8_6TensorESD_SD_EERKSD_lbbbEUlllE1_EE10hipError_tPvRmT2_T3_mT4_P12ihipStream_tbEUlT_E_NS1_11comp_targetILNS1_3genE8ELNS1_11target_archE1030ELNS1_3gpuE2ELNS1_3repE0EEENS1_30default_config_static_selectorELNS0_4arch9wavefront6targetE1EEEvT1_
    .private_segment_fixed_size: 0
    .sgpr_count:     6
    .sgpr_spill_count: 0
    .symbol:         _ZN7rocprim17ROCPRIM_400000_NS6detail17trampoline_kernelINS0_14default_configENS1_35adjacent_difference_config_selectorILb0ElEEZNS1_24adjacent_difference_implIS3_Lb0ELb0EPlS7_ZN2at6native12_GLOBAL__N_124unique_dim_cuda_templateIhEESt5tupleIJNS8_6TensorESD_SD_EERKSD_lbbbEUlllE1_EE10hipError_tPvRmT2_T3_mT4_P12ihipStream_tbEUlT_E_NS1_11comp_targetILNS1_3genE8ELNS1_11target_archE1030ELNS1_3gpuE2ELNS1_3repE0EEENS1_30default_config_static_selectorELNS0_4arch9wavefront6targetE1EEEvT1_.kd
    .uniform_work_group_size: 1
    .uses_dynamic_stack: false
    .vgpr_count:     0
    .vgpr_spill_count: 0
    .wavefront_size: 64
  - .agpr_count:     0
    .args:
      - .offset:         0
        .size:           56
        .value_kind:     by_value
    .group_segment_fixed_size: 0
    .kernarg_segment_align: 8
    .kernarg_segment_size: 56
    .language:       OpenCL C
    .language_version:
      - 2
      - 0
    .max_flat_workgroup_size: 128
    .name:           _ZN7rocprim17ROCPRIM_400000_NS6detail17trampoline_kernelINS0_14default_configENS1_25transform_config_selectorIlLb0EEEZNS1_14transform_implILb0ES3_S5_NS0_18transform_iteratorINS0_17counting_iteratorImlEEZNS1_24adjacent_difference_implIS3_Lb1ELb0EPlSB_ZN2at6native12_GLOBAL__N_124unique_dim_cuda_templateIhEESt5tupleIJNSC_6TensorESH_SH_EERKSH_lbbbEUlllE1_EE10hipError_tPvRmT2_T3_mT4_P12ihipStream_tbEUlmE_lEESB_NS0_8identityIvEEEESM_SP_SQ_mSR_ST_bEUlT_E_NS1_11comp_targetILNS1_3genE0ELNS1_11target_archE4294967295ELNS1_3gpuE0ELNS1_3repE0EEENS1_30default_config_static_selectorELNS0_4arch9wavefront6targetE1EEEvT1_
    .private_segment_fixed_size: 0
    .sgpr_count:     6
    .sgpr_spill_count: 0
    .symbol:         _ZN7rocprim17ROCPRIM_400000_NS6detail17trampoline_kernelINS0_14default_configENS1_25transform_config_selectorIlLb0EEEZNS1_14transform_implILb0ES3_S5_NS0_18transform_iteratorINS0_17counting_iteratorImlEEZNS1_24adjacent_difference_implIS3_Lb1ELb0EPlSB_ZN2at6native12_GLOBAL__N_124unique_dim_cuda_templateIhEESt5tupleIJNSC_6TensorESH_SH_EERKSH_lbbbEUlllE1_EE10hipError_tPvRmT2_T3_mT4_P12ihipStream_tbEUlmE_lEESB_NS0_8identityIvEEEESM_SP_SQ_mSR_ST_bEUlT_E_NS1_11comp_targetILNS1_3genE0ELNS1_11target_archE4294967295ELNS1_3gpuE0ELNS1_3repE0EEENS1_30default_config_static_selectorELNS0_4arch9wavefront6targetE1EEEvT1_.kd
    .uniform_work_group_size: 1
    .uses_dynamic_stack: false
    .vgpr_count:     0
    .vgpr_spill_count: 0
    .wavefront_size: 64
  - .agpr_count:     0
    .args:
      - .offset:         0
        .size:           56
        .value_kind:     by_value
      - .offset:         56
        .size:           4
        .value_kind:     hidden_block_count_x
      - .offset:         60
        .size:           4
        .value_kind:     hidden_block_count_y
      - .offset:         64
        .size:           4
        .value_kind:     hidden_block_count_z
      - .offset:         68
        .size:           2
        .value_kind:     hidden_group_size_x
      - .offset:         70
        .size:           2
        .value_kind:     hidden_group_size_y
      - .offset:         72
        .size:           2
        .value_kind:     hidden_group_size_z
      - .offset:         74
        .size:           2
        .value_kind:     hidden_remainder_x
      - .offset:         76
        .size:           2
        .value_kind:     hidden_remainder_y
      - .offset:         78
        .size:           2
        .value_kind:     hidden_remainder_z
      - .offset:         96
        .size:           8
        .value_kind:     hidden_global_offset_x
      - .offset:         104
        .size:           8
        .value_kind:     hidden_global_offset_y
      - .offset:         112
        .size:           8
        .value_kind:     hidden_global_offset_z
      - .offset:         120
        .size:           2
        .value_kind:     hidden_grid_dims
    .group_segment_fixed_size: 0
    .kernarg_segment_align: 8
    .kernarg_segment_size: 312
    .language:       OpenCL C
    .language_version:
      - 2
      - 0
    .max_flat_workgroup_size: 512
    .name:           _ZN7rocprim17ROCPRIM_400000_NS6detail17trampoline_kernelINS0_14default_configENS1_25transform_config_selectorIlLb0EEEZNS1_14transform_implILb0ES3_S5_NS0_18transform_iteratorINS0_17counting_iteratorImlEEZNS1_24adjacent_difference_implIS3_Lb1ELb0EPlSB_ZN2at6native12_GLOBAL__N_124unique_dim_cuda_templateIhEESt5tupleIJNSC_6TensorESH_SH_EERKSH_lbbbEUlllE1_EE10hipError_tPvRmT2_T3_mT4_P12ihipStream_tbEUlmE_lEESB_NS0_8identityIvEEEESM_SP_SQ_mSR_ST_bEUlT_E_NS1_11comp_targetILNS1_3genE5ELNS1_11target_archE942ELNS1_3gpuE9ELNS1_3repE0EEENS1_30default_config_static_selectorELNS0_4arch9wavefront6targetE1EEEvT1_
    .private_segment_fixed_size: 0
    .sgpr_count:     26
    .sgpr_spill_count: 0
    .symbol:         _ZN7rocprim17ROCPRIM_400000_NS6detail17trampoline_kernelINS0_14default_configENS1_25transform_config_selectorIlLb0EEEZNS1_14transform_implILb0ES3_S5_NS0_18transform_iteratorINS0_17counting_iteratorImlEEZNS1_24adjacent_difference_implIS3_Lb1ELb0EPlSB_ZN2at6native12_GLOBAL__N_124unique_dim_cuda_templateIhEESt5tupleIJNSC_6TensorESH_SH_EERKSH_lbbbEUlllE1_EE10hipError_tPvRmT2_T3_mT4_P12ihipStream_tbEUlmE_lEESB_NS0_8identityIvEEEESM_SP_SQ_mSR_ST_bEUlT_E_NS1_11comp_targetILNS1_3genE5ELNS1_11target_archE942ELNS1_3gpuE9ELNS1_3repE0EEENS1_30default_config_static_selectorELNS0_4arch9wavefront6targetE1EEEvT1_.kd
    .uniform_work_group_size: 1
    .uses_dynamic_stack: false
    .vgpr_count:     12
    .vgpr_spill_count: 0
    .wavefront_size: 64
  - .agpr_count:     0
    .args:
      - .offset:         0
        .size:           56
        .value_kind:     by_value
    .group_segment_fixed_size: 0
    .kernarg_segment_align: 8
    .kernarg_segment_size: 56
    .language:       OpenCL C
    .language_version:
      - 2
      - 0
    .max_flat_workgroup_size: 256
    .name:           _ZN7rocprim17ROCPRIM_400000_NS6detail17trampoline_kernelINS0_14default_configENS1_25transform_config_selectorIlLb0EEEZNS1_14transform_implILb0ES3_S5_NS0_18transform_iteratorINS0_17counting_iteratorImlEEZNS1_24adjacent_difference_implIS3_Lb1ELb0EPlSB_ZN2at6native12_GLOBAL__N_124unique_dim_cuda_templateIhEESt5tupleIJNSC_6TensorESH_SH_EERKSH_lbbbEUlllE1_EE10hipError_tPvRmT2_T3_mT4_P12ihipStream_tbEUlmE_lEESB_NS0_8identityIvEEEESM_SP_SQ_mSR_ST_bEUlT_E_NS1_11comp_targetILNS1_3genE4ELNS1_11target_archE910ELNS1_3gpuE8ELNS1_3repE0EEENS1_30default_config_static_selectorELNS0_4arch9wavefront6targetE1EEEvT1_
    .private_segment_fixed_size: 0
    .sgpr_count:     6
    .sgpr_spill_count: 0
    .symbol:         _ZN7rocprim17ROCPRIM_400000_NS6detail17trampoline_kernelINS0_14default_configENS1_25transform_config_selectorIlLb0EEEZNS1_14transform_implILb0ES3_S5_NS0_18transform_iteratorINS0_17counting_iteratorImlEEZNS1_24adjacent_difference_implIS3_Lb1ELb0EPlSB_ZN2at6native12_GLOBAL__N_124unique_dim_cuda_templateIhEESt5tupleIJNSC_6TensorESH_SH_EERKSH_lbbbEUlllE1_EE10hipError_tPvRmT2_T3_mT4_P12ihipStream_tbEUlmE_lEESB_NS0_8identityIvEEEESM_SP_SQ_mSR_ST_bEUlT_E_NS1_11comp_targetILNS1_3genE4ELNS1_11target_archE910ELNS1_3gpuE8ELNS1_3repE0EEENS1_30default_config_static_selectorELNS0_4arch9wavefront6targetE1EEEvT1_.kd
    .uniform_work_group_size: 1
    .uses_dynamic_stack: false
    .vgpr_count:     0
    .vgpr_spill_count: 0
    .wavefront_size: 64
  - .agpr_count:     0
    .args:
      - .offset:         0
        .size:           56
        .value_kind:     by_value
    .group_segment_fixed_size: 0
    .kernarg_segment_align: 8
    .kernarg_segment_size: 56
    .language:       OpenCL C
    .language_version:
      - 2
      - 0
    .max_flat_workgroup_size: 128
    .name:           _ZN7rocprim17ROCPRIM_400000_NS6detail17trampoline_kernelINS0_14default_configENS1_25transform_config_selectorIlLb0EEEZNS1_14transform_implILb0ES3_S5_NS0_18transform_iteratorINS0_17counting_iteratorImlEEZNS1_24adjacent_difference_implIS3_Lb1ELb0EPlSB_ZN2at6native12_GLOBAL__N_124unique_dim_cuda_templateIhEESt5tupleIJNSC_6TensorESH_SH_EERKSH_lbbbEUlllE1_EE10hipError_tPvRmT2_T3_mT4_P12ihipStream_tbEUlmE_lEESB_NS0_8identityIvEEEESM_SP_SQ_mSR_ST_bEUlT_E_NS1_11comp_targetILNS1_3genE3ELNS1_11target_archE908ELNS1_3gpuE7ELNS1_3repE0EEENS1_30default_config_static_selectorELNS0_4arch9wavefront6targetE1EEEvT1_
    .private_segment_fixed_size: 0
    .sgpr_count:     6
    .sgpr_spill_count: 0
    .symbol:         _ZN7rocprim17ROCPRIM_400000_NS6detail17trampoline_kernelINS0_14default_configENS1_25transform_config_selectorIlLb0EEEZNS1_14transform_implILb0ES3_S5_NS0_18transform_iteratorINS0_17counting_iteratorImlEEZNS1_24adjacent_difference_implIS3_Lb1ELb0EPlSB_ZN2at6native12_GLOBAL__N_124unique_dim_cuda_templateIhEESt5tupleIJNSC_6TensorESH_SH_EERKSH_lbbbEUlllE1_EE10hipError_tPvRmT2_T3_mT4_P12ihipStream_tbEUlmE_lEESB_NS0_8identityIvEEEESM_SP_SQ_mSR_ST_bEUlT_E_NS1_11comp_targetILNS1_3genE3ELNS1_11target_archE908ELNS1_3gpuE7ELNS1_3repE0EEENS1_30default_config_static_selectorELNS0_4arch9wavefront6targetE1EEEvT1_.kd
    .uniform_work_group_size: 1
    .uses_dynamic_stack: false
    .vgpr_count:     0
    .vgpr_spill_count: 0
    .wavefront_size: 64
  - .agpr_count:     0
    .args:
      - .offset:         0
        .size:           56
        .value_kind:     by_value
    .group_segment_fixed_size: 0
    .kernarg_segment_align: 8
    .kernarg_segment_size: 56
    .language:       OpenCL C
    .language_version:
      - 2
      - 0
    .max_flat_workgroup_size: 512
    .name:           _ZN7rocprim17ROCPRIM_400000_NS6detail17trampoline_kernelINS0_14default_configENS1_25transform_config_selectorIlLb0EEEZNS1_14transform_implILb0ES3_S5_NS0_18transform_iteratorINS0_17counting_iteratorImlEEZNS1_24adjacent_difference_implIS3_Lb1ELb0EPlSB_ZN2at6native12_GLOBAL__N_124unique_dim_cuda_templateIhEESt5tupleIJNSC_6TensorESH_SH_EERKSH_lbbbEUlllE1_EE10hipError_tPvRmT2_T3_mT4_P12ihipStream_tbEUlmE_lEESB_NS0_8identityIvEEEESM_SP_SQ_mSR_ST_bEUlT_E_NS1_11comp_targetILNS1_3genE2ELNS1_11target_archE906ELNS1_3gpuE6ELNS1_3repE0EEENS1_30default_config_static_selectorELNS0_4arch9wavefront6targetE1EEEvT1_
    .private_segment_fixed_size: 0
    .sgpr_count:     6
    .sgpr_spill_count: 0
    .symbol:         _ZN7rocprim17ROCPRIM_400000_NS6detail17trampoline_kernelINS0_14default_configENS1_25transform_config_selectorIlLb0EEEZNS1_14transform_implILb0ES3_S5_NS0_18transform_iteratorINS0_17counting_iteratorImlEEZNS1_24adjacent_difference_implIS3_Lb1ELb0EPlSB_ZN2at6native12_GLOBAL__N_124unique_dim_cuda_templateIhEESt5tupleIJNSC_6TensorESH_SH_EERKSH_lbbbEUlllE1_EE10hipError_tPvRmT2_T3_mT4_P12ihipStream_tbEUlmE_lEESB_NS0_8identityIvEEEESM_SP_SQ_mSR_ST_bEUlT_E_NS1_11comp_targetILNS1_3genE2ELNS1_11target_archE906ELNS1_3gpuE6ELNS1_3repE0EEENS1_30default_config_static_selectorELNS0_4arch9wavefront6targetE1EEEvT1_.kd
    .uniform_work_group_size: 1
    .uses_dynamic_stack: false
    .vgpr_count:     0
    .vgpr_spill_count: 0
    .wavefront_size: 64
  - .agpr_count:     0
    .args:
      - .offset:         0
        .size:           56
        .value_kind:     by_value
    .group_segment_fixed_size: 0
    .kernarg_segment_align: 8
    .kernarg_segment_size: 56
    .language:       OpenCL C
    .language_version:
      - 2
      - 0
    .max_flat_workgroup_size: 1024
    .name:           _ZN7rocprim17ROCPRIM_400000_NS6detail17trampoline_kernelINS0_14default_configENS1_25transform_config_selectorIlLb0EEEZNS1_14transform_implILb0ES3_S5_NS0_18transform_iteratorINS0_17counting_iteratorImlEEZNS1_24adjacent_difference_implIS3_Lb1ELb0EPlSB_ZN2at6native12_GLOBAL__N_124unique_dim_cuda_templateIhEESt5tupleIJNSC_6TensorESH_SH_EERKSH_lbbbEUlllE1_EE10hipError_tPvRmT2_T3_mT4_P12ihipStream_tbEUlmE_lEESB_NS0_8identityIvEEEESM_SP_SQ_mSR_ST_bEUlT_E_NS1_11comp_targetILNS1_3genE10ELNS1_11target_archE1201ELNS1_3gpuE5ELNS1_3repE0EEENS1_30default_config_static_selectorELNS0_4arch9wavefront6targetE1EEEvT1_
    .private_segment_fixed_size: 0
    .sgpr_count:     6
    .sgpr_spill_count: 0
    .symbol:         _ZN7rocprim17ROCPRIM_400000_NS6detail17trampoline_kernelINS0_14default_configENS1_25transform_config_selectorIlLb0EEEZNS1_14transform_implILb0ES3_S5_NS0_18transform_iteratorINS0_17counting_iteratorImlEEZNS1_24adjacent_difference_implIS3_Lb1ELb0EPlSB_ZN2at6native12_GLOBAL__N_124unique_dim_cuda_templateIhEESt5tupleIJNSC_6TensorESH_SH_EERKSH_lbbbEUlllE1_EE10hipError_tPvRmT2_T3_mT4_P12ihipStream_tbEUlmE_lEESB_NS0_8identityIvEEEESM_SP_SQ_mSR_ST_bEUlT_E_NS1_11comp_targetILNS1_3genE10ELNS1_11target_archE1201ELNS1_3gpuE5ELNS1_3repE0EEENS1_30default_config_static_selectorELNS0_4arch9wavefront6targetE1EEEvT1_.kd
    .uniform_work_group_size: 1
    .uses_dynamic_stack: false
    .vgpr_count:     0
    .vgpr_spill_count: 0
    .wavefront_size: 64
  - .agpr_count:     0
    .args:
      - .offset:         0
        .size:           56
        .value_kind:     by_value
    .group_segment_fixed_size: 0
    .kernarg_segment_align: 8
    .kernarg_segment_size: 56
    .language:       OpenCL C
    .language_version:
      - 2
      - 0
    .max_flat_workgroup_size: 512
    .name:           _ZN7rocprim17ROCPRIM_400000_NS6detail17trampoline_kernelINS0_14default_configENS1_25transform_config_selectorIlLb0EEEZNS1_14transform_implILb0ES3_S5_NS0_18transform_iteratorINS0_17counting_iteratorImlEEZNS1_24adjacent_difference_implIS3_Lb1ELb0EPlSB_ZN2at6native12_GLOBAL__N_124unique_dim_cuda_templateIhEESt5tupleIJNSC_6TensorESH_SH_EERKSH_lbbbEUlllE1_EE10hipError_tPvRmT2_T3_mT4_P12ihipStream_tbEUlmE_lEESB_NS0_8identityIvEEEESM_SP_SQ_mSR_ST_bEUlT_E_NS1_11comp_targetILNS1_3genE10ELNS1_11target_archE1200ELNS1_3gpuE4ELNS1_3repE0EEENS1_30default_config_static_selectorELNS0_4arch9wavefront6targetE1EEEvT1_
    .private_segment_fixed_size: 0
    .sgpr_count:     6
    .sgpr_spill_count: 0
    .symbol:         _ZN7rocprim17ROCPRIM_400000_NS6detail17trampoline_kernelINS0_14default_configENS1_25transform_config_selectorIlLb0EEEZNS1_14transform_implILb0ES3_S5_NS0_18transform_iteratorINS0_17counting_iteratorImlEEZNS1_24adjacent_difference_implIS3_Lb1ELb0EPlSB_ZN2at6native12_GLOBAL__N_124unique_dim_cuda_templateIhEESt5tupleIJNSC_6TensorESH_SH_EERKSH_lbbbEUlllE1_EE10hipError_tPvRmT2_T3_mT4_P12ihipStream_tbEUlmE_lEESB_NS0_8identityIvEEEESM_SP_SQ_mSR_ST_bEUlT_E_NS1_11comp_targetILNS1_3genE10ELNS1_11target_archE1200ELNS1_3gpuE4ELNS1_3repE0EEENS1_30default_config_static_selectorELNS0_4arch9wavefront6targetE1EEEvT1_.kd
    .uniform_work_group_size: 1
    .uses_dynamic_stack: false
    .vgpr_count:     0
    .vgpr_spill_count: 0
    .wavefront_size: 64
  - .agpr_count:     0
    .args:
      - .offset:         0
        .size:           56
        .value_kind:     by_value
    .group_segment_fixed_size: 0
    .kernarg_segment_align: 8
    .kernarg_segment_size: 56
    .language:       OpenCL C
    .language_version:
      - 2
      - 0
    .max_flat_workgroup_size: 512
    .name:           _ZN7rocprim17ROCPRIM_400000_NS6detail17trampoline_kernelINS0_14default_configENS1_25transform_config_selectorIlLb0EEEZNS1_14transform_implILb0ES3_S5_NS0_18transform_iteratorINS0_17counting_iteratorImlEEZNS1_24adjacent_difference_implIS3_Lb1ELb0EPlSB_ZN2at6native12_GLOBAL__N_124unique_dim_cuda_templateIhEESt5tupleIJNSC_6TensorESH_SH_EERKSH_lbbbEUlllE1_EE10hipError_tPvRmT2_T3_mT4_P12ihipStream_tbEUlmE_lEESB_NS0_8identityIvEEEESM_SP_SQ_mSR_ST_bEUlT_E_NS1_11comp_targetILNS1_3genE9ELNS1_11target_archE1100ELNS1_3gpuE3ELNS1_3repE0EEENS1_30default_config_static_selectorELNS0_4arch9wavefront6targetE1EEEvT1_
    .private_segment_fixed_size: 0
    .sgpr_count:     6
    .sgpr_spill_count: 0
    .symbol:         _ZN7rocprim17ROCPRIM_400000_NS6detail17trampoline_kernelINS0_14default_configENS1_25transform_config_selectorIlLb0EEEZNS1_14transform_implILb0ES3_S5_NS0_18transform_iteratorINS0_17counting_iteratorImlEEZNS1_24adjacent_difference_implIS3_Lb1ELb0EPlSB_ZN2at6native12_GLOBAL__N_124unique_dim_cuda_templateIhEESt5tupleIJNSC_6TensorESH_SH_EERKSH_lbbbEUlllE1_EE10hipError_tPvRmT2_T3_mT4_P12ihipStream_tbEUlmE_lEESB_NS0_8identityIvEEEESM_SP_SQ_mSR_ST_bEUlT_E_NS1_11comp_targetILNS1_3genE9ELNS1_11target_archE1100ELNS1_3gpuE3ELNS1_3repE0EEENS1_30default_config_static_selectorELNS0_4arch9wavefront6targetE1EEEvT1_.kd
    .uniform_work_group_size: 1
    .uses_dynamic_stack: false
    .vgpr_count:     0
    .vgpr_spill_count: 0
    .wavefront_size: 64
  - .agpr_count:     0
    .args:
      - .offset:         0
        .size:           56
        .value_kind:     by_value
    .group_segment_fixed_size: 0
    .kernarg_segment_align: 8
    .kernarg_segment_size: 56
    .language:       OpenCL C
    .language_version:
      - 2
      - 0
    .max_flat_workgroup_size: 512
    .name:           _ZN7rocprim17ROCPRIM_400000_NS6detail17trampoline_kernelINS0_14default_configENS1_25transform_config_selectorIlLb0EEEZNS1_14transform_implILb0ES3_S5_NS0_18transform_iteratorINS0_17counting_iteratorImlEEZNS1_24adjacent_difference_implIS3_Lb1ELb0EPlSB_ZN2at6native12_GLOBAL__N_124unique_dim_cuda_templateIhEESt5tupleIJNSC_6TensorESH_SH_EERKSH_lbbbEUlllE1_EE10hipError_tPvRmT2_T3_mT4_P12ihipStream_tbEUlmE_lEESB_NS0_8identityIvEEEESM_SP_SQ_mSR_ST_bEUlT_E_NS1_11comp_targetILNS1_3genE8ELNS1_11target_archE1030ELNS1_3gpuE2ELNS1_3repE0EEENS1_30default_config_static_selectorELNS0_4arch9wavefront6targetE1EEEvT1_
    .private_segment_fixed_size: 0
    .sgpr_count:     6
    .sgpr_spill_count: 0
    .symbol:         _ZN7rocprim17ROCPRIM_400000_NS6detail17trampoline_kernelINS0_14default_configENS1_25transform_config_selectorIlLb0EEEZNS1_14transform_implILb0ES3_S5_NS0_18transform_iteratorINS0_17counting_iteratorImlEEZNS1_24adjacent_difference_implIS3_Lb1ELb0EPlSB_ZN2at6native12_GLOBAL__N_124unique_dim_cuda_templateIhEESt5tupleIJNSC_6TensorESH_SH_EERKSH_lbbbEUlllE1_EE10hipError_tPvRmT2_T3_mT4_P12ihipStream_tbEUlmE_lEESB_NS0_8identityIvEEEESM_SP_SQ_mSR_ST_bEUlT_E_NS1_11comp_targetILNS1_3genE8ELNS1_11target_archE1030ELNS1_3gpuE2ELNS1_3repE0EEENS1_30default_config_static_selectorELNS0_4arch9wavefront6targetE1EEEvT1_.kd
    .uniform_work_group_size: 1
    .uses_dynamic_stack: false
    .vgpr_count:     0
    .vgpr_spill_count: 0
    .wavefront_size: 64
  - .agpr_count:     0
    .args:
      - .offset:         0
        .size:           64
        .value_kind:     by_value
    .group_segment_fixed_size: 0
    .kernarg_segment_align: 8
    .kernarg_segment_size: 64
    .language:       OpenCL C
    .language_version:
      - 2
      - 0
    .max_flat_workgroup_size: 512
    .name:           _ZN7rocprim17ROCPRIM_400000_NS6detail17trampoline_kernelINS0_14default_configENS1_35adjacent_difference_config_selectorILb1ElEEZNS1_24adjacent_difference_implIS3_Lb1ELb0EPlS7_ZN2at6native12_GLOBAL__N_124unique_dim_cuda_templateIhEESt5tupleIJNS8_6TensorESD_SD_EERKSD_lbbbEUlllE1_EE10hipError_tPvRmT2_T3_mT4_P12ihipStream_tbEUlT_E_NS1_11comp_targetILNS1_3genE0ELNS1_11target_archE4294967295ELNS1_3gpuE0ELNS1_3repE0EEENS1_30default_config_static_selectorELNS0_4arch9wavefront6targetE1EEEvT1_
    .private_segment_fixed_size: 0
    .sgpr_count:     6
    .sgpr_spill_count: 0
    .symbol:         _ZN7rocprim17ROCPRIM_400000_NS6detail17trampoline_kernelINS0_14default_configENS1_35adjacent_difference_config_selectorILb1ElEEZNS1_24adjacent_difference_implIS3_Lb1ELb0EPlS7_ZN2at6native12_GLOBAL__N_124unique_dim_cuda_templateIhEESt5tupleIJNS8_6TensorESD_SD_EERKSD_lbbbEUlllE1_EE10hipError_tPvRmT2_T3_mT4_P12ihipStream_tbEUlT_E_NS1_11comp_targetILNS1_3genE0ELNS1_11target_archE4294967295ELNS1_3gpuE0ELNS1_3repE0EEENS1_30default_config_static_selectorELNS0_4arch9wavefront6targetE1EEEvT1_.kd
    .uniform_work_group_size: 1
    .uses_dynamic_stack: false
    .vgpr_count:     0
    .vgpr_spill_count: 0
    .wavefront_size: 64
  - .agpr_count:     0
    .args:
      - .offset:         0
        .size:           64
        .value_kind:     by_value
    .group_segment_fixed_size: 0
    .kernarg_segment_align: 8
    .kernarg_segment_size: 64
    .language:       OpenCL C
    .language_version:
      - 2
      - 0
    .max_flat_workgroup_size: 32
    .name:           _ZN7rocprim17ROCPRIM_400000_NS6detail17trampoline_kernelINS0_14default_configENS1_35adjacent_difference_config_selectorILb1ElEEZNS1_24adjacent_difference_implIS3_Lb1ELb0EPlS7_ZN2at6native12_GLOBAL__N_124unique_dim_cuda_templateIhEESt5tupleIJNS8_6TensorESD_SD_EERKSD_lbbbEUlllE1_EE10hipError_tPvRmT2_T3_mT4_P12ihipStream_tbEUlT_E_NS1_11comp_targetILNS1_3genE10ELNS1_11target_archE1201ELNS1_3gpuE5ELNS1_3repE0EEENS1_30default_config_static_selectorELNS0_4arch9wavefront6targetE1EEEvT1_
    .private_segment_fixed_size: 0
    .sgpr_count:     6
    .sgpr_spill_count: 0
    .symbol:         _ZN7rocprim17ROCPRIM_400000_NS6detail17trampoline_kernelINS0_14default_configENS1_35adjacent_difference_config_selectorILb1ElEEZNS1_24adjacent_difference_implIS3_Lb1ELb0EPlS7_ZN2at6native12_GLOBAL__N_124unique_dim_cuda_templateIhEESt5tupleIJNS8_6TensorESD_SD_EERKSD_lbbbEUlllE1_EE10hipError_tPvRmT2_T3_mT4_P12ihipStream_tbEUlT_E_NS1_11comp_targetILNS1_3genE10ELNS1_11target_archE1201ELNS1_3gpuE5ELNS1_3repE0EEENS1_30default_config_static_selectorELNS0_4arch9wavefront6targetE1EEEvT1_.kd
    .uniform_work_group_size: 1
    .uses_dynamic_stack: false
    .vgpr_count:     0
    .vgpr_spill_count: 0
    .wavefront_size: 64
  - .agpr_count:     0
    .args:
      - .offset:         0
        .size:           64
        .value_kind:     by_value
    .group_segment_fixed_size: 22528
    .kernarg_segment_align: 8
    .kernarg_segment_size: 64
    .language:       OpenCL C
    .language_version:
      - 2
      - 0
    .max_flat_workgroup_size: 256
    .name:           _ZN7rocprim17ROCPRIM_400000_NS6detail17trampoline_kernelINS0_14default_configENS1_35adjacent_difference_config_selectorILb1ElEEZNS1_24adjacent_difference_implIS3_Lb1ELb0EPlS7_ZN2at6native12_GLOBAL__N_124unique_dim_cuda_templateIhEESt5tupleIJNS8_6TensorESD_SD_EERKSD_lbbbEUlllE1_EE10hipError_tPvRmT2_T3_mT4_P12ihipStream_tbEUlT_E_NS1_11comp_targetILNS1_3genE5ELNS1_11target_archE942ELNS1_3gpuE9ELNS1_3repE0EEENS1_30default_config_static_selectorELNS0_4arch9wavefront6targetE1EEEvT1_
    .private_segment_fixed_size: 0
    .sgpr_count:     44
    .sgpr_spill_count: 0
    .symbol:         _ZN7rocprim17ROCPRIM_400000_NS6detail17trampoline_kernelINS0_14default_configENS1_35adjacent_difference_config_selectorILb1ElEEZNS1_24adjacent_difference_implIS3_Lb1ELb0EPlS7_ZN2at6native12_GLOBAL__N_124unique_dim_cuda_templateIhEESt5tupleIJNS8_6TensorESD_SD_EERKSD_lbbbEUlllE1_EE10hipError_tPvRmT2_T3_mT4_P12ihipStream_tbEUlT_E_NS1_11comp_targetILNS1_3genE5ELNS1_11target_archE942ELNS1_3gpuE9ELNS1_3repE0EEENS1_30default_config_static_selectorELNS0_4arch9wavefront6targetE1EEEvT1_.kd
    .uniform_work_group_size: 1
    .uses_dynamic_stack: false
    .vgpr_count:     70
    .vgpr_spill_count: 0
    .wavefront_size: 64
  - .agpr_count:     0
    .args:
      - .offset:         0
        .size:           64
        .value_kind:     by_value
    .group_segment_fixed_size: 0
    .kernarg_segment_align: 8
    .kernarg_segment_size: 64
    .language:       OpenCL C
    .language_version:
      - 2
      - 0
    .max_flat_workgroup_size: 512
    .name:           _ZN7rocprim17ROCPRIM_400000_NS6detail17trampoline_kernelINS0_14default_configENS1_35adjacent_difference_config_selectorILb1ElEEZNS1_24adjacent_difference_implIS3_Lb1ELb0EPlS7_ZN2at6native12_GLOBAL__N_124unique_dim_cuda_templateIhEESt5tupleIJNS8_6TensorESD_SD_EERKSD_lbbbEUlllE1_EE10hipError_tPvRmT2_T3_mT4_P12ihipStream_tbEUlT_E_NS1_11comp_targetILNS1_3genE4ELNS1_11target_archE910ELNS1_3gpuE8ELNS1_3repE0EEENS1_30default_config_static_selectorELNS0_4arch9wavefront6targetE1EEEvT1_
    .private_segment_fixed_size: 0
    .sgpr_count:     6
    .sgpr_spill_count: 0
    .symbol:         _ZN7rocprim17ROCPRIM_400000_NS6detail17trampoline_kernelINS0_14default_configENS1_35adjacent_difference_config_selectorILb1ElEEZNS1_24adjacent_difference_implIS3_Lb1ELb0EPlS7_ZN2at6native12_GLOBAL__N_124unique_dim_cuda_templateIhEESt5tupleIJNS8_6TensorESD_SD_EERKSD_lbbbEUlllE1_EE10hipError_tPvRmT2_T3_mT4_P12ihipStream_tbEUlT_E_NS1_11comp_targetILNS1_3genE4ELNS1_11target_archE910ELNS1_3gpuE8ELNS1_3repE0EEENS1_30default_config_static_selectorELNS0_4arch9wavefront6targetE1EEEvT1_.kd
    .uniform_work_group_size: 1
    .uses_dynamic_stack: false
    .vgpr_count:     0
    .vgpr_spill_count: 0
    .wavefront_size: 64
  - .agpr_count:     0
    .args:
      - .offset:         0
        .size:           64
        .value_kind:     by_value
    .group_segment_fixed_size: 0
    .kernarg_segment_align: 8
    .kernarg_segment_size: 64
    .language:       OpenCL C
    .language_version:
      - 2
      - 0
    .max_flat_workgroup_size: 512
    .name:           _ZN7rocprim17ROCPRIM_400000_NS6detail17trampoline_kernelINS0_14default_configENS1_35adjacent_difference_config_selectorILb1ElEEZNS1_24adjacent_difference_implIS3_Lb1ELb0EPlS7_ZN2at6native12_GLOBAL__N_124unique_dim_cuda_templateIhEESt5tupleIJNS8_6TensorESD_SD_EERKSD_lbbbEUlllE1_EE10hipError_tPvRmT2_T3_mT4_P12ihipStream_tbEUlT_E_NS1_11comp_targetILNS1_3genE3ELNS1_11target_archE908ELNS1_3gpuE7ELNS1_3repE0EEENS1_30default_config_static_selectorELNS0_4arch9wavefront6targetE1EEEvT1_
    .private_segment_fixed_size: 0
    .sgpr_count:     6
    .sgpr_spill_count: 0
    .symbol:         _ZN7rocprim17ROCPRIM_400000_NS6detail17trampoline_kernelINS0_14default_configENS1_35adjacent_difference_config_selectorILb1ElEEZNS1_24adjacent_difference_implIS3_Lb1ELb0EPlS7_ZN2at6native12_GLOBAL__N_124unique_dim_cuda_templateIhEESt5tupleIJNS8_6TensorESD_SD_EERKSD_lbbbEUlllE1_EE10hipError_tPvRmT2_T3_mT4_P12ihipStream_tbEUlT_E_NS1_11comp_targetILNS1_3genE3ELNS1_11target_archE908ELNS1_3gpuE7ELNS1_3repE0EEENS1_30default_config_static_selectorELNS0_4arch9wavefront6targetE1EEEvT1_.kd
    .uniform_work_group_size: 1
    .uses_dynamic_stack: false
    .vgpr_count:     0
    .vgpr_spill_count: 0
    .wavefront_size: 64
  - .agpr_count:     0
    .args:
      - .offset:         0
        .size:           64
        .value_kind:     by_value
    .group_segment_fixed_size: 0
    .kernarg_segment_align: 8
    .kernarg_segment_size: 64
    .language:       OpenCL C
    .language_version:
      - 2
      - 0
    .max_flat_workgroup_size: 128
    .name:           _ZN7rocprim17ROCPRIM_400000_NS6detail17trampoline_kernelINS0_14default_configENS1_35adjacent_difference_config_selectorILb1ElEEZNS1_24adjacent_difference_implIS3_Lb1ELb0EPlS7_ZN2at6native12_GLOBAL__N_124unique_dim_cuda_templateIhEESt5tupleIJNS8_6TensorESD_SD_EERKSD_lbbbEUlllE1_EE10hipError_tPvRmT2_T3_mT4_P12ihipStream_tbEUlT_E_NS1_11comp_targetILNS1_3genE2ELNS1_11target_archE906ELNS1_3gpuE6ELNS1_3repE0EEENS1_30default_config_static_selectorELNS0_4arch9wavefront6targetE1EEEvT1_
    .private_segment_fixed_size: 0
    .sgpr_count:     6
    .sgpr_spill_count: 0
    .symbol:         _ZN7rocprim17ROCPRIM_400000_NS6detail17trampoline_kernelINS0_14default_configENS1_35adjacent_difference_config_selectorILb1ElEEZNS1_24adjacent_difference_implIS3_Lb1ELb0EPlS7_ZN2at6native12_GLOBAL__N_124unique_dim_cuda_templateIhEESt5tupleIJNS8_6TensorESD_SD_EERKSD_lbbbEUlllE1_EE10hipError_tPvRmT2_T3_mT4_P12ihipStream_tbEUlT_E_NS1_11comp_targetILNS1_3genE2ELNS1_11target_archE906ELNS1_3gpuE6ELNS1_3repE0EEENS1_30default_config_static_selectorELNS0_4arch9wavefront6targetE1EEEvT1_.kd
    .uniform_work_group_size: 1
    .uses_dynamic_stack: false
    .vgpr_count:     0
    .vgpr_spill_count: 0
    .wavefront_size: 64
  - .agpr_count:     0
    .args:
      - .offset:         0
        .size:           64
        .value_kind:     by_value
    .group_segment_fixed_size: 0
    .kernarg_segment_align: 8
    .kernarg_segment_size: 64
    .language:       OpenCL C
    .language_version:
      - 2
      - 0
    .max_flat_workgroup_size: 128
    .name:           _ZN7rocprim17ROCPRIM_400000_NS6detail17trampoline_kernelINS0_14default_configENS1_35adjacent_difference_config_selectorILb1ElEEZNS1_24adjacent_difference_implIS3_Lb1ELb0EPlS7_ZN2at6native12_GLOBAL__N_124unique_dim_cuda_templateIhEESt5tupleIJNS8_6TensorESD_SD_EERKSD_lbbbEUlllE1_EE10hipError_tPvRmT2_T3_mT4_P12ihipStream_tbEUlT_E_NS1_11comp_targetILNS1_3genE9ELNS1_11target_archE1100ELNS1_3gpuE3ELNS1_3repE0EEENS1_30default_config_static_selectorELNS0_4arch9wavefront6targetE1EEEvT1_
    .private_segment_fixed_size: 0
    .sgpr_count:     6
    .sgpr_spill_count: 0
    .symbol:         _ZN7rocprim17ROCPRIM_400000_NS6detail17trampoline_kernelINS0_14default_configENS1_35adjacent_difference_config_selectorILb1ElEEZNS1_24adjacent_difference_implIS3_Lb1ELb0EPlS7_ZN2at6native12_GLOBAL__N_124unique_dim_cuda_templateIhEESt5tupleIJNS8_6TensorESD_SD_EERKSD_lbbbEUlllE1_EE10hipError_tPvRmT2_T3_mT4_P12ihipStream_tbEUlT_E_NS1_11comp_targetILNS1_3genE9ELNS1_11target_archE1100ELNS1_3gpuE3ELNS1_3repE0EEENS1_30default_config_static_selectorELNS0_4arch9wavefront6targetE1EEEvT1_.kd
    .uniform_work_group_size: 1
    .uses_dynamic_stack: false
    .vgpr_count:     0
    .vgpr_spill_count: 0
    .wavefront_size: 64
  - .agpr_count:     0
    .args:
      - .offset:         0
        .size:           64
        .value_kind:     by_value
    .group_segment_fixed_size: 0
    .kernarg_segment_align: 8
    .kernarg_segment_size: 64
    .language:       OpenCL C
    .language_version:
      - 2
      - 0
    .max_flat_workgroup_size: 32
    .name:           _ZN7rocprim17ROCPRIM_400000_NS6detail17trampoline_kernelINS0_14default_configENS1_35adjacent_difference_config_selectorILb1ElEEZNS1_24adjacent_difference_implIS3_Lb1ELb0EPlS7_ZN2at6native12_GLOBAL__N_124unique_dim_cuda_templateIhEESt5tupleIJNS8_6TensorESD_SD_EERKSD_lbbbEUlllE1_EE10hipError_tPvRmT2_T3_mT4_P12ihipStream_tbEUlT_E_NS1_11comp_targetILNS1_3genE8ELNS1_11target_archE1030ELNS1_3gpuE2ELNS1_3repE0EEENS1_30default_config_static_selectorELNS0_4arch9wavefront6targetE1EEEvT1_
    .private_segment_fixed_size: 0
    .sgpr_count:     6
    .sgpr_spill_count: 0
    .symbol:         _ZN7rocprim17ROCPRIM_400000_NS6detail17trampoline_kernelINS0_14default_configENS1_35adjacent_difference_config_selectorILb1ElEEZNS1_24adjacent_difference_implIS3_Lb1ELb0EPlS7_ZN2at6native12_GLOBAL__N_124unique_dim_cuda_templateIhEESt5tupleIJNS8_6TensorESD_SD_EERKSD_lbbbEUlllE1_EE10hipError_tPvRmT2_T3_mT4_P12ihipStream_tbEUlT_E_NS1_11comp_targetILNS1_3genE8ELNS1_11target_archE1030ELNS1_3gpuE2ELNS1_3repE0EEENS1_30default_config_static_selectorELNS0_4arch9wavefront6targetE1EEEvT1_.kd
    .uniform_work_group_size: 1
    .uses_dynamic_stack: false
    .vgpr_count:     0
    .vgpr_spill_count: 0
    .wavefront_size: 64
  - .agpr_count:     0
    .args:
      - .address_space:  global
        .offset:         0
        .size:           8
        .value_kind:     global_buffer
      - .offset:         8
        .size:           4
        .value_kind:     by_value
      - .offset:         12
        .size:           1
        .value_kind:     by_value
      - .offset:         16
        .size:           4
        .value_kind:     by_value
      - .address_space:  global
        .offset:         24
        .size:           8
        .value_kind:     global_buffer
      - .offset:         32
        .size:           4
        .value_kind:     hidden_block_count_x
      - .offset:         36
        .size:           4
        .value_kind:     hidden_block_count_y
      - .offset:         40
        .size:           4
        .value_kind:     hidden_block_count_z
      - .offset:         44
        .size:           2
        .value_kind:     hidden_group_size_x
      - .offset:         46
        .size:           2
        .value_kind:     hidden_group_size_y
      - .offset:         48
        .size:           2
        .value_kind:     hidden_group_size_z
      - .offset:         50
        .size:           2
        .value_kind:     hidden_remainder_x
      - .offset:         52
        .size:           2
        .value_kind:     hidden_remainder_y
      - .offset:         54
        .size:           2
        .value_kind:     hidden_remainder_z
      - .offset:         72
        .size:           8
        .value_kind:     hidden_global_offset_x
      - .offset:         80
        .size:           8
        .value_kind:     hidden_global_offset_y
      - .offset:         88
        .size:           8
        .value_kind:     hidden_global_offset_z
      - .offset:         96
        .size:           2
        .value_kind:     hidden_grid_dims
    .group_segment_fixed_size: 0
    .kernarg_segment_align: 8
    .kernarg_segment_size: 288
    .language:       OpenCL C
    .language_version:
      - 2
      - 0
    .max_flat_workgroup_size: 256
    .name:           _ZN7rocprim17ROCPRIM_400000_NS6detail31init_lookback_scan_state_kernelINS1_19lookback_scan_stateIlLb0ELb1EEENS1_16block_id_wrapperIjLb0EEEEEvT_jT0_jPNS7_10value_typeE
    .private_segment_fixed_size: 0
    .sgpr_count:     19
    .sgpr_spill_count: 0
    .symbol:         _ZN7rocprim17ROCPRIM_400000_NS6detail31init_lookback_scan_state_kernelINS1_19lookback_scan_stateIlLb0ELb1EEENS1_16block_id_wrapperIjLb0EEEEEvT_jT0_jPNS7_10value_typeE.kd
    .uniform_work_group_size: 1
    .uses_dynamic_stack: false
    .vgpr_count:     10
    .vgpr_spill_count: 0
    .wavefront_size: 64
  - .agpr_count:     0
    .args:
      - .offset:         0
        .size:           104
        .value_kind:     by_value
    .group_segment_fixed_size: 0
    .kernarg_segment_align: 8
    .kernarg_segment_size: 104
    .language:       OpenCL C
    .language_version:
      - 2
      - 0
    .max_flat_workgroup_size: 256
    .name:           _ZN7rocprim17ROCPRIM_400000_NS6detail17trampoline_kernelINS0_14default_configENS1_20scan_config_selectorIlEEZZNS1_9scan_implILNS1_25lookback_scan_determinismE0ELb0ELb0ES3_PlS8_lN6thrust23THRUST_200600_302600_NS4plusIvEElEEDaPvRmT3_T4_T5_mT6_P12ihipStream_tbENKUlT_T0_E_clISt17integral_constantIbLb0EESQ_EEDaSL_SM_EUlSL_E_NS1_11comp_targetILNS1_3genE0ELNS1_11target_archE4294967295ELNS1_3gpuE0ELNS1_3repE0EEENS1_30default_config_static_selectorELNS0_4arch9wavefront6targetE1EEEvT1_
    .private_segment_fixed_size: 0
    .sgpr_count:     6
    .sgpr_spill_count: 0
    .symbol:         _ZN7rocprim17ROCPRIM_400000_NS6detail17trampoline_kernelINS0_14default_configENS1_20scan_config_selectorIlEEZZNS1_9scan_implILNS1_25lookback_scan_determinismE0ELb0ELb0ES3_PlS8_lN6thrust23THRUST_200600_302600_NS4plusIvEElEEDaPvRmT3_T4_T5_mT6_P12ihipStream_tbENKUlT_T0_E_clISt17integral_constantIbLb0EESQ_EEDaSL_SM_EUlSL_E_NS1_11comp_targetILNS1_3genE0ELNS1_11target_archE4294967295ELNS1_3gpuE0ELNS1_3repE0EEENS1_30default_config_static_selectorELNS0_4arch9wavefront6targetE1EEEvT1_.kd
    .uniform_work_group_size: 1
    .uses_dynamic_stack: false
    .vgpr_count:     0
    .vgpr_spill_count: 0
    .wavefront_size: 64
  - .agpr_count:     0
    .args:
      - .offset:         0
        .size:           104
        .value_kind:     by_value
    .group_segment_fixed_size: 30720
    .kernarg_segment_align: 8
    .kernarg_segment_size: 104
    .language:       OpenCL C
    .language_version:
      - 2
      - 0
    .max_flat_workgroup_size: 256
    .name:           _ZN7rocprim17ROCPRIM_400000_NS6detail17trampoline_kernelINS0_14default_configENS1_20scan_config_selectorIlEEZZNS1_9scan_implILNS1_25lookback_scan_determinismE0ELb0ELb0ES3_PlS8_lN6thrust23THRUST_200600_302600_NS4plusIvEElEEDaPvRmT3_T4_T5_mT6_P12ihipStream_tbENKUlT_T0_E_clISt17integral_constantIbLb0EESQ_EEDaSL_SM_EUlSL_E_NS1_11comp_targetILNS1_3genE5ELNS1_11target_archE942ELNS1_3gpuE9ELNS1_3repE0EEENS1_30default_config_static_selectorELNS0_4arch9wavefront6targetE1EEEvT1_
    .private_segment_fixed_size: 0
    .sgpr_count:     74
    .sgpr_spill_count: 0
    .symbol:         _ZN7rocprim17ROCPRIM_400000_NS6detail17trampoline_kernelINS0_14default_configENS1_20scan_config_selectorIlEEZZNS1_9scan_implILNS1_25lookback_scan_determinismE0ELb0ELb0ES3_PlS8_lN6thrust23THRUST_200600_302600_NS4plusIvEElEEDaPvRmT3_T4_T5_mT6_P12ihipStream_tbENKUlT_T0_E_clISt17integral_constantIbLb0EESQ_EEDaSL_SM_EUlSL_E_NS1_11comp_targetILNS1_3genE5ELNS1_11target_archE942ELNS1_3gpuE9ELNS1_3repE0EEENS1_30default_config_static_selectorELNS0_4arch9wavefront6targetE1EEEvT1_.kd
    .uniform_work_group_size: 1
    .uses_dynamic_stack: false
    .vgpr_count:     78
    .vgpr_spill_count: 0
    .wavefront_size: 64
  - .agpr_count:     0
    .args:
      - .offset:         0
        .size:           104
        .value_kind:     by_value
    .group_segment_fixed_size: 0
    .kernarg_segment_align: 8
    .kernarg_segment_size: 104
    .language:       OpenCL C
    .language_version:
      - 2
      - 0
    .max_flat_workgroup_size: 128
    .name:           _ZN7rocprim17ROCPRIM_400000_NS6detail17trampoline_kernelINS0_14default_configENS1_20scan_config_selectorIlEEZZNS1_9scan_implILNS1_25lookback_scan_determinismE0ELb0ELb0ES3_PlS8_lN6thrust23THRUST_200600_302600_NS4plusIvEElEEDaPvRmT3_T4_T5_mT6_P12ihipStream_tbENKUlT_T0_E_clISt17integral_constantIbLb0EESQ_EEDaSL_SM_EUlSL_E_NS1_11comp_targetILNS1_3genE4ELNS1_11target_archE910ELNS1_3gpuE8ELNS1_3repE0EEENS1_30default_config_static_selectorELNS0_4arch9wavefront6targetE1EEEvT1_
    .private_segment_fixed_size: 0
    .sgpr_count:     6
    .sgpr_spill_count: 0
    .symbol:         _ZN7rocprim17ROCPRIM_400000_NS6detail17trampoline_kernelINS0_14default_configENS1_20scan_config_selectorIlEEZZNS1_9scan_implILNS1_25lookback_scan_determinismE0ELb0ELb0ES3_PlS8_lN6thrust23THRUST_200600_302600_NS4plusIvEElEEDaPvRmT3_T4_T5_mT6_P12ihipStream_tbENKUlT_T0_E_clISt17integral_constantIbLb0EESQ_EEDaSL_SM_EUlSL_E_NS1_11comp_targetILNS1_3genE4ELNS1_11target_archE910ELNS1_3gpuE8ELNS1_3repE0EEENS1_30default_config_static_selectorELNS0_4arch9wavefront6targetE1EEEvT1_.kd
    .uniform_work_group_size: 1
    .uses_dynamic_stack: false
    .vgpr_count:     0
    .vgpr_spill_count: 0
    .wavefront_size: 64
  - .agpr_count:     0
    .args:
      - .offset:         0
        .size:           104
        .value_kind:     by_value
    .group_segment_fixed_size: 0
    .kernarg_segment_align: 8
    .kernarg_segment_size: 104
    .language:       OpenCL C
    .language_version:
      - 2
      - 0
    .max_flat_workgroup_size: 256
    .name:           _ZN7rocprim17ROCPRIM_400000_NS6detail17trampoline_kernelINS0_14default_configENS1_20scan_config_selectorIlEEZZNS1_9scan_implILNS1_25lookback_scan_determinismE0ELb0ELb0ES3_PlS8_lN6thrust23THRUST_200600_302600_NS4plusIvEElEEDaPvRmT3_T4_T5_mT6_P12ihipStream_tbENKUlT_T0_E_clISt17integral_constantIbLb0EESQ_EEDaSL_SM_EUlSL_E_NS1_11comp_targetILNS1_3genE3ELNS1_11target_archE908ELNS1_3gpuE7ELNS1_3repE0EEENS1_30default_config_static_selectorELNS0_4arch9wavefront6targetE1EEEvT1_
    .private_segment_fixed_size: 0
    .sgpr_count:     6
    .sgpr_spill_count: 0
    .symbol:         _ZN7rocprim17ROCPRIM_400000_NS6detail17trampoline_kernelINS0_14default_configENS1_20scan_config_selectorIlEEZZNS1_9scan_implILNS1_25lookback_scan_determinismE0ELb0ELb0ES3_PlS8_lN6thrust23THRUST_200600_302600_NS4plusIvEElEEDaPvRmT3_T4_T5_mT6_P12ihipStream_tbENKUlT_T0_E_clISt17integral_constantIbLb0EESQ_EEDaSL_SM_EUlSL_E_NS1_11comp_targetILNS1_3genE3ELNS1_11target_archE908ELNS1_3gpuE7ELNS1_3repE0EEENS1_30default_config_static_selectorELNS0_4arch9wavefront6targetE1EEEvT1_.kd
    .uniform_work_group_size: 1
    .uses_dynamic_stack: false
    .vgpr_count:     0
    .vgpr_spill_count: 0
    .wavefront_size: 64
  - .agpr_count:     0
    .args:
      - .offset:         0
        .size:           104
        .value_kind:     by_value
    .group_segment_fixed_size: 0
    .kernarg_segment_align: 8
    .kernarg_segment_size: 104
    .language:       OpenCL C
    .language_version:
      - 2
      - 0
    .max_flat_workgroup_size: 64
    .name:           _ZN7rocprim17ROCPRIM_400000_NS6detail17trampoline_kernelINS0_14default_configENS1_20scan_config_selectorIlEEZZNS1_9scan_implILNS1_25lookback_scan_determinismE0ELb0ELb0ES3_PlS8_lN6thrust23THRUST_200600_302600_NS4plusIvEElEEDaPvRmT3_T4_T5_mT6_P12ihipStream_tbENKUlT_T0_E_clISt17integral_constantIbLb0EESQ_EEDaSL_SM_EUlSL_E_NS1_11comp_targetILNS1_3genE2ELNS1_11target_archE906ELNS1_3gpuE6ELNS1_3repE0EEENS1_30default_config_static_selectorELNS0_4arch9wavefront6targetE1EEEvT1_
    .private_segment_fixed_size: 0
    .sgpr_count:     6
    .sgpr_spill_count: 0
    .symbol:         _ZN7rocprim17ROCPRIM_400000_NS6detail17trampoline_kernelINS0_14default_configENS1_20scan_config_selectorIlEEZZNS1_9scan_implILNS1_25lookback_scan_determinismE0ELb0ELb0ES3_PlS8_lN6thrust23THRUST_200600_302600_NS4plusIvEElEEDaPvRmT3_T4_T5_mT6_P12ihipStream_tbENKUlT_T0_E_clISt17integral_constantIbLb0EESQ_EEDaSL_SM_EUlSL_E_NS1_11comp_targetILNS1_3genE2ELNS1_11target_archE906ELNS1_3gpuE6ELNS1_3repE0EEENS1_30default_config_static_selectorELNS0_4arch9wavefront6targetE1EEEvT1_.kd
    .uniform_work_group_size: 1
    .uses_dynamic_stack: false
    .vgpr_count:     0
    .vgpr_spill_count: 0
    .wavefront_size: 64
  - .agpr_count:     0
    .args:
      - .offset:         0
        .size:           104
        .value_kind:     by_value
    .group_segment_fixed_size: 0
    .kernarg_segment_align: 8
    .kernarg_segment_size: 104
    .language:       OpenCL C
    .language_version:
      - 2
      - 0
    .max_flat_workgroup_size: 256
    .name:           _ZN7rocprim17ROCPRIM_400000_NS6detail17trampoline_kernelINS0_14default_configENS1_20scan_config_selectorIlEEZZNS1_9scan_implILNS1_25lookback_scan_determinismE0ELb0ELb0ES3_PlS8_lN6thrust23THRUST_200600_302600_NS4plusIvEElEEDaPvRmT3_T4_T5_mT6_P12ihipStream_tbENKUlT_T0_E_clISt17integral_constantIbLb0EESQ_EEDaSL_SM_EUlSL_E_NS1_11comp_targetILNS1_3genE10ELNS1_11target_archE1201ELNS1_3gpuE5ELNS1_3repE0EEENS1_30default_config_static_selectorELNS0_4arch9wavefront6targetE1EEEvT1_
    .private_segment_fixed_size: 0
    .sgpr_count:     6
    .sgpr_spill_count: 0
    .symbol:         _ZN7rocprim17ROCPRIM_400000_NS6detail17trampoline_kernelINS0_14default_configENS1_20scan_config_selectorIlEEZZNS1_9scan_implILNS1_25lookback_scan_determinismE0ELb0ELb0ES3_PlS8_lN6thrust23THRUST_200600_302600_NS4plusIvEElEEDaPvRmT3_T4_T5_mT6_P12ihipStream_tbENKUlT_T0_E_clISt17integral_constantIbLb0EESQ_EEDaSL_SM_EUlSL_E_NS1_11comp_targetILNS1_3genE10ELNS1_11target_archE1201ELNS1_3gpuE5ELNS1_3repE0EEENS1_30default_config_static_selectorELNS0_4arch9wavefront6targetE1EEEvT1_.kd
    .uniform_work_group_size: 1
    .uses_dynamic_stack: false
    .vgpr_count:     0
    .vgpr_spill_count: 0
    .wavefront_size: 64
  - .agpr_count:     0
    .args:
      - .offset:         0
        .size:           104
        .value_kind:     by_value
    .group_segment_fixed_size: 0
    .kernarg_segment_align: 8
    .kernarg_segment_size: 104
    .language:       OpenCL C
    .language_version:
      - 2
      - 0
    .max_flat_workgroup_size: 256
    .name:           _ZN7rocprim17ROCPRIM_400000_NS6detail17trampoline_kernelINS0_14default_configENS1_20scan_config_selectorIlEEZZNS1_9scan_implILNS1_25lookback_scan_determinismE0ELb0ELb0ES3_PlS8_lN6thrust23THRUST_200600_302600_NS4plusIvEElEEDaPvRmT3_T4_T5_mT6_P12ihipStream_tbENKUlT_T0_E_clISt17integral_constantIbLb0EESQ_EEDaSL_SM_EUlSL_E_NS1_11comp_targetILNS1_3genE10ELNS1_11target_archE1200ELNS1_3gpuE4ELNS1_3repE0EEENS1_30default_config_static_selectorELNS0_4arch9wavefront6targetE1EEEvT1_
    .private_segment_fixed_size: 0
    .sgpr_count:     6
    .sgpr_spill_count: 0
    .symbol:         _ZN7rocprim17ROCPRIM_400000_NS6detail17trampoline_kernelINS0_14default_configENS1_20scan_config_selectorIlEEZZNS1_9scan_implILNS1_25lookback_scan_determinismE0ELb0ELb0ES3_PlS8_lN6thrust23THRUST_200600_302600_NS4plusIvEElEEDaPvRmT3_T4_T5_mT6_P12ihipStream_tbENKUlT_T0_E_clISt17integral_constantIbLb0EESQ_EEDaSL_SM_EUlSL_E_NS1_11comp_targetILNS1_3genE10ELNS1_11target_archE1200ELNS1_3gpuE4ELNS1_3repE0EEENS1_30default_config_static_selectorELNS0_4arch9wavefront6targetE1EEEvT1_.kd
    .uniform_work_group_size: 1
    .uses_dynamic_stack: false
    .vgpr_count:     0
    .vgpr_spill_count: 0
    .wavefront_size: 64
  - .agpr_count:     0
    .args:
      - .offset:         0
        .size:           104
        .value_kind:     by_value
    .group_segment_fixed_size: 0
    .kernarg_segment_align: 8
    .kernarg_segment_size: 104
    .language:       OpenCL C
    .language_version:
      - 2
      - 0
    .max_flat_workgroup_size: 256
    .name:           _ZN7rocprim17ROCPRIM_400000_NS6detail17trampoline_kernelINS0_14default_configENS1_20scan_config_selectorIlEEZZNS1_9scan_implILNS1_25lookback_scan_determinismE0ELb0ELb0ES3_PlS8_lN6thrust23THRUST_200600_302600_NS4plusIvEElEEDaPvRmT3_T4_T5_mT6_P12ihipStream_tbENKUlT_T0_E_clISt17integral_constantIbLb0EESQ_EEDaSL_SM_EUlSL_E_NS1_11comp_targetILNS1_3genE9ELNS1_11target_archE1100ELNS1_3gpuE3ELNS1_3repE0EEENS1_30default_config_static_selectorELNS0_4arch9wavefront6targetE1EEEvT1_
    .private_segment_fixed_size: 0
    .sgpr_count:     6
    .sgpr_spill_count: 0
    .symbol:         _ZN7rocprim17ROCPRIM_400000_NS6detail17trampoline_kernelINS0_14default_configENS1_20scan_config_selectorIlEEZZNS1_9scan_implILNS1_25lookback_scan_determinismE0ELb0ELb0ES3_PlS8_lN6thrust23THRUST_200600_302600_NS4plusIvEElEEDaPvRmT3_T4_T5_mT6_P12ihipStream_tbENKUlT_T0_E_clISt17integral_constantIbLb0EESQ_EEDaSL_SM_EUlSL_E_NS1_11comp_targetILNS1_3genE9ELNS1_11target_archE1100ELNS1_3gpuE3ELNS1_3repE0EEENS1_30default_config_static_selectorELNS0_4arch9wavefront6targetE1EEEvT1_.kd
    .uniform_work_group_size: 1
    .uses_dynamic_stack: false
    .vgpr_count:     0
    .vgpr_spill_count: 0
    .wavefront_size: 64
  - .agpr_count:     0
    .args:
      - .offset:         0
        .size:           104
        .value_kind:     by_value
    .group_segment_fixed_size: 0
    .kernarg_segment_align: 8
    .kernarg_segment_size: 104
    .language:       OpenCL C
    .language_version:
      - 2
      - 0
    .max_flat_workgroup_size: 256
    .name:           _ZN7rocprim17ROCPRIM_400000_NS6detail17trampoline_kernelINS0_14default_configENS1_20scan_config_selectorIlEEZZNS1_9scan_implILNS1_25lookback_scan_determinismE0ELb0ELb0ES3_PlS8_lN6thrust23THRUST_200600_302600_NS4plusIvEElEEDaPvRmT3_T4_T5_mT6_P12ihipStream_tbENKUlT_T0_E_clISt17integral_constantIbLb0EESQ_EEDaSL_SM_EUlSL_E_NS1_11comp_targetILNS1_3genE8ELNS1_11target_archE1030ELNS1_3gpuE2ELNS1_3repE0EEENS1_30default_config_static_selectorELNS0_4arch9wavefront6targetE1EEEvT1_
    .private_segment_fixed_size: 0
    .sgpr_count:     6
    .sgpr_spill_count: 0
    .symbol:         _ZN7rocprim17ROCPRIM_400000_NS6detail17trampoline_kernelINS0_14default_configENS1_20scan_config_selectorIlEEZZNS1_9scan_implILNS1_25lookback_scan_determinismE0ELb0ELb0ES3_PlS8_lN6thrust23THRUST_200600_302600_NS4plusIvEElEEDaPvRmT3_T4_T5_mT6_P12ihipStream_tbENKUlT_T0_E_clISt17integral_constantIbLb0EESQ_EEDaSL_SM_EUlSL_E_NS1_11comp_targetILNS1_3genE8ELNS1_11target_archE1030ELNS1_3gpuE2ELNS1_3repE0EEENS1_30default_config_static_selectorELNS0_4arch9wavefront6targetE1EEEvT1_.kd
    .uniform_work_group_size: 1
    .uses_dynamic_stack: false
    .vgpr_count:     0
    .vgpr_spill_count: 0
    .wavefront_size: 64
  - .agpr_count:     0
    .args:
      - .offset:         0
        .size:           40
        .value_kind:     by_value
    .group_segment_fixed_size: 0
    .kernarg_segment_align: 8
    .kernarg_segment_size: 40
    .language:       OpenCL C
    .language_version:
      - 2
      - 0
    .max_flat_workgroup_size: 256
    .name:           _ZN7rocprim17ROCPRIM_400000_NS6detail17trampoline_kernelINS0_14default_configENS1_20scan_config_selectorIlEEZZNS1_9scan_implILNS1_25lookback_scan_determinismE0ELb0ELb0ES3_PlS8_lN6thrust23THRUST_200600_302600_NS4plusIvEElEEDaPvRmT3_T4_T5_mT6_P12ihipStream_tbENKUlT_T0_E_clISt17integral_constantIbLb0EESQ_EEDaSL_SM_EUlSL_E0_NS1_11comp_targetILNS1_3genE0ELNS1_11target_archE4294967295ELNS1_3gpuE0ELNS1_3repE0EEENS1_30default_config_static_selectorELNS0_4arch9wavefront6targetE1EEEvT1_
    .private_segment_fixed_size: 0
    .sgpr_count:     6
    .sgpr_spill_count: 0
    .symbol:         _ZN7rocprim17ROCPRIM_400000_NS6detail17trampoline_kernelINS0_14default_configENS1_20scan_config_selectorIlEEZZNS1_9scan_implILNS1_25lookback_scan_determinismE0ELb0ELb0ES3_PlS8_lN6thrust23THRUST_200600_302600_NS4plusIvEElEEDaPvRmT3_T4_T5_mT6_P12ihipStream_tbENKUlT_T0_E_clISt17integral_constantIbLb0EESQ_EEDaSL_SM_EUlSL_E0_NS1_11comp_targetILNS1_3genE0ELNS1_11target_archE4294967295ELNS1_3gpuE0ELNS1_3repE0EEENS1_30default_config_static_selectorELNS0_4arch9wavefront6targetE1EEEvT1_.kd
    .uniform_work_group_size: 1
    .uses_dynamic_stack: false
    .vgpr_count:     0
    .vgpr_spill_count: 0
    .wavefront_size: 64
  - .agpr_count:     0
    .args:
      - .offset:         0
        .size:           40
        .value_kind:     by_value
    .group_segment_fixed_size: 30720
    .kernarg_segment_align: 8
    .kernarg_segment_size: 40
    .language:       OpenCL C
    .language_version:
      - 2
      - 0
    .max_flat_workgroup_size: 256
    .name:           _ZN7rocprim17ROCPRIM_400000_NS6detail17trampoline_kernelINS0_14default_configENS1_20scan_config_selectorIlEEZZNS1_9scan_implILNS1_25lookback_scan_determinismE0ELb0ELb0ES3_PlS8_lN6thrust23THRUST_200600_302600_NS4plusIvEElEEDaPvRmT3_T4_T5_mT6_P12ihipStream_tbENKUlT_T0_E_clISt17integral_constantIbLb0EESQ_EEDaSL_SM_EUlSL_E0_NS1_11comp_targetILNS1_3genE5ELNS1_11target_archE942ELNS1_3gpuE9ELNS1_3repE0EEENS1_30default_config_static_selectorELNS0_4arch9wavefront6targetE1EEEvT1_
    .private_segment_fixed_size: 0
    .sgpr_count:     46
    .sgpr_spill_count: 0
    .symbol:         _ZN7rocprim17ROCPRIM_400000_NS6detail17trampoline_kernelINS0_14default_configENS1_20scan_config_selectorIlEEZZNS1_9scan_implILNS1_25lookback_scan_determinismE0ELb0ELb0ES3_PlS8_lN6thrust23THRUST_200600_302600_NS4plusIvEElEEDaPvRmT3_T4_T5_mT6_P12ihipStream_tbENKUlT_T0_E_clISt17integral_constantIbLb0EESQ_EEDaSL_SM_EUlSL_E0_NS1_11comp_targetILNS1_3genE5ELNS1_11target_archE942ELNS1_3gpuE9ELNS1_3repE0EEENS1_30default_config_static_selectorELNS0_4arch9wavefront6targetE1EEEvT1_.kd
    .uniform_work_group_size: 1
    .uses_dynamic_stack: false
    .vgpr_count:     73
    .vgpr_spill_count: 0
    .wavefront_size: 64
  - .agpr_count:     0
    .args:
      - .offset:         0
        .size:           40
        .value_kind:     by_value
    .group_segment_fixed_size: 0
    .kernarg_segment_align: 8
    .kernarg_segment_size: 40
    .language:       OpenCL C
    .language_version:
      - 2
      - 0
    .max_flat_workgroup_size: 128
    .name:           _ZN7rocprim17ROCPRIM_400000_NS6detail17trampoline_kernelINS0_14default_configENS1_20scan_config_selectorIlEEZZNS1_9scan_implILNS1_25lookback_scan_determinismE0ELb0ELb0ES3_PlS8_lN6thrust23THRUST_200600_302600_NS4plusIvEElEEDaPvRmT3_T4_T5_mT6_P12ihipStream_tbENKUlT_T0_E_clISt17integral_constantIbLb0EESQ_EEDaSL_SM_EUlSL_E0_NS1_11comp_targetILNS1_3genE4ELNS1_11target_archE910ELNS1_3gpuE8ELNS1_3repE0EEENS1_30default_config_static_selectorELNS0_4arch9wavefront6targetE1EEEvT1_
    .private_segment_fixed_size: 0
    .sgpr_count:     6
    .sgpr_spill_count: 0
    .symbol:         _ZN7rocprim17ROCPRIM_400000_NS6detail17trampoline_kernelINS0_14default_configENS1_20scan_config_selectorIlEEZZNS1_9scan_implILNS1_25lookback_scan_determinismE0ELb0ELb0ES3_PlS8_lN6thrust23THRUST_200600_302600_NS4plusIvEElEEDaPvRmT3_T4_T5_mT6_P12ihipStream_tbENKUlT_T0_E_clISt17integral_constantIbLb0EESQ_EEDaSL_SM_EUlSL_E0_NS1_11comp_targetILNS1_3genE4ELNS1_11target_archE910ELNS1_3gpuE8ELNS1_3repE0EEENS1_30default_config_static_selectorELNS0_4arch9wavefront6targetE1EEEvT1_.kd
    .uniform_work_group_size: 1
    .uses_dynamic_stack: false
    .vgpr_count:     0
    .vgpr_spill_count: 0
    .wavefront_size: 64
  - .agpr_count:     0
    .args:
      - .offset:         0
        .size:           40
        .value_kind:     by_value
    .group_segment_fixed_size: 0
    .kernarg_segment_align: 8
    .kernarg_segment_size: 40
    .language:       OpenCL C
    .language_version:
      - 2
      - 0
    .max_flat_workgroup_size: 256
    .name:           _ZN7rocprim17ROCPRIM_400000_NS6detail17trampoline_kernelINS0_14default_configENS1_20scan_config_selectorIlEEZZNS1_9scan_implILNS1_25lookback_scan_determinismE0ELb0ELb0ES3_PlS8_lN6thrust23THRUST_200600_302600_NS4plusIvEElEEDaPvRmT3_T4_T5_mT6_P12ihipStream_tbENKUlT_T0_E_clISt17integral_constantIbLb0EESQ_EEDaSL_SM_EUlSL_E0_NS1_11comp_targetILNS1_3genE3ELNS1_11target_archE908ELNS1_3gpuE7ELNS1_3repE0EEENS1_30default_config_static_selectorELNS0_4arch9wavefront6targetE1EEEvT1_
    .private_segment_fixed_size: 0
    .sgpr_count:     6
    .sgpr_spill_count: 0
    .symbol:         _ZN7rocprim17ROCPRIM_400000_NS6detail17trampoline_kernelINS0_14default_configENS1_20scan_config_selectorIlEEZZNS1_9scan_implILNS1_25lookback_scan_determinismE0ELb0ELb0ES3_PlS8_lN6thrust23THRUST_200600_302600_NS4plusIvEElEEDaPvRmT3_T4_T5_mT6_P12ihipStream_tbENKUlT_T0_E_clISt17integral_constantIbLb0EESQ_EEDaSL_SM_EUlSL_E0_NS1_11comp_targetILNS1_3genE3ELNS1_11target_archE908ELNS1_3gpuE7ELNS1_3repE0EEENS1_30default_config_static_selectorELNS0_4arch9wavefront6targetE1EEEvT1_.kd
    .uniform_work_group_size: 1
    .uses_dynamic_stack: false
    .vgpr_count:     0
    .vgpr_spill_count: 0
    .wavefront_size: 64
  - .agpr_count:     0
    .args:
      - .offset:         0
        .size:           40
        .value_kind:     by_value
    .group_segment_fixed_size: 0
    .kernarg_segment_align: 8
    .kernarg_segment_size: 40
    .language:       OpenCL C
    .language_version:
      - 2
      - 0
    .max_flat_workgroup_size: 64
    .name:           _ZN7rocprim17ROCPRIM_400000_NS6detail17trampoline_kernelINS0_14default_configENS1_20scan_config_selectorIlEEZZNS1_9scan_implILNS1_25lookback_scan_determinismE0ELb0ELb0ES3_PlS8_lN6thrust23THRUST_200600_302600_NS4plusIvEElEEDaPvRmT3_T4_T5_mT6_P12ihipStream_tbENKUlT_T0_E_clISt17integral_constantIbLb0EESQ_EEDaSL_SM_EUlSL_E0_NS1_11comp_targetILNS1_3genE2ELNS1_11target_archE906ELNS1_3gpuE6ELNS1_3repE0EEENS1_30default_config_static_selectorELNS0_4arch9wavefront6targetE1EEEvT1_
    .private_segment_fixed_size: 0
    .sgpr_count:     6
    .sgpr_spill_count: 0
    .symbol:         _ZN7rocprim17ROCPRIM_400000_NS6detail17trampoline_kernelINS0_14default_configENS1_20scan_config_selectorIlEEZZNS1_9scan_implILNS1_25lookback_scan_determinismE0ELb0ELb0ES3_PlS8_lN6thrust23THRUST_200600_302600_NS4plusIvEElEEDaPvRmT3_T4_T5_mT6_P12ihipStream_tbENKUlT_T0_E_clISt17integral_constantIbLb0EESQ_EEDaSL_SM_EUlSL_E0_NS1_11comp_targetILNS1_3genE2ELNS1_11target_archE906ELNS1_3gpuE6ELNS1_3repE0EEENS1_30default_config_static_selectorELNS0_4arch9wavefront6targetE1EEEvT1_.kd
    .uniform_work_group_size: 1
    .uses_dynamic_stack: false
    .vgpr_count:     0
    .vgpr_spill_count: 0
    .wavefront_size: 64
  - .agpr_count:     0
    .args:
      - .offset:         0
        .size:           40
        .value_kind:     by_value
    .group_segment_fixed_size: 0
    .kernarg_segment_align: 8
    .kernarg_segment_size: 40
    .language:       OpenCL C
    .language_version:
      - 2
      - 0
    .max_flat_workgroup_size: 256
    .name:           _ZN7rocprim17ROCPRIM_400000_NS6detail17trampoline_kernelINS0_14default_configENS1_20scan_config_selectorIlEEZZNS1_9scan_implILNS1_25lookback_scan_determinismE0ELb0ELb0ES3_PlS8_lN6thrust23THRUST_200600_302600_NS4plusIvEElEEDaPvRmT3_T4_T5_mT6_P12ihipStream_tbENKUlT_T0_E_clISt17integral_constantIbLb0EESQ_EEDaSL_SM_EUlSL_E0_NS1_11comp_targetILNS1_3genE10ELNS1_11target_archE1201ELNS1_3gpuE5ELNS1_3repE0EEENS1_30default_config_static_selectorELNS0_4arch9wavefront6targetE1EEEvT1_
    .private_segment_fixed_size: 0
    .sgpr_count:     6
    .sgpr_spill_count: 0
    .symbol:         _ZN7rocprim17ROCPRIM_400000_NS6detail17trampoline_kernelINS0_14default_configENS1_20scan_config_selectorIlEEZZNS1_9scan_implILNS1_25lookback_scan_determinismE0ELb0ELb0ES3_PlS8_lN6thrust23THRUST_200600_302600_NS4plusIvEElEEDaPvRmT3_T4_T5_mT6_P12ihipStream_tbENKUlT_T0_E_clISt17integral_constantIbLb0EESQ_EEDaSL_SM_EUlSL_E0_NS1_11comp_targetILNS1_3genE10ELNS1_11target_archE1201ELNS1_3gpuE5ELNS1_3repE0EEENS1_30default_config_static_selectorELNS0_4arch9wavefront6targetE1EEEvT1_.kd
    .uniform_work_group_size: 1
    .uses_dynamic_stack: false
    .vgpr_count:     0
    .vgpr_spill_count: 0
    .wavefront_size: 64
  - .agpr_count:     0
    .args:
      - .offset:         0
        .size:           40
        .value_kind:     by_value
    .group_segment_fixed_size: 0
    .kernarg_segment_align: 8
    .kernarg_segment_size: 40
    .language:       OpenCL C
    .language_version:
      - 2
      - 0
    .max_flat_workgroup_size: 256
    .name:           _ZN7rocprim17ROCPRIM_400000_NS6detail17trampoline_kernelINS0_14default_configENS1_20scan_config_selectorIlEEZZNS1_9scan_implILNS1_25lookback_scan_determinismE0ELb0ELb0ES3_PlS8_lN6thrust23THRUST_200600_302600_NS4plusIvEElEEDaPvRmT3_T4_T5_mT6_P12ihipStream_tbENKUlT_T0_E_clISt17integral_constantIbLb0EESQ_EEDaSL_SM_EUlSL_E0_NS1_11comp_targetILNS1_3genE10ELNS1_11target_archE1200ELNS1_3gpuE4ELNS1_3repE0EEENS1_30default_config_static_selectorELNS0_4arch9wavefront6targetE1EEEvT1_
    .private_segment_fixed_size: 0
    .sgpr_count:     6
    .sgpr_spill_count: 0
    .symbol:         _ZN7rocprim17ROCPRIM_400000_NS6detail17trampoline_kernelINS0_14default_configENS1_20scan_config_selectorIlEEZZNS1_9scan_implILNS1_25lookback_scan_determinismE0ELb0ELb0ES3_PlS8_lN6thrust23THRUST_200600_302600_NS4plusIvEElEEDaPvRmT3_T4_T5_mT6_P12ihipStream_tbENKUlT_T0_E_clISt17integral_constantIbLb0EESQ_EEDaSL_SM_EUlSL_E0_NS1_11comp_targetILNS1_3genE10ELNS1_11target_archE1200ELNS1_3gpuE4ELNS1_3repE0EEENS1_30default_config_static_selectorELNS0_4arch9wavefront6targetE1EEEvT1_.kd
    .uniform_work_group_size: 1
    .uses_dynamic_stack: false
    .vgpr_count:     0
    .vgpr_spill_count: 0
    .wavefront_size: 64
  - .agpr_count:     0
    .args:
      - .offset:         0
        .size:           40
        .value_kind:     by_value
    .group_segment_fixed_size: 0
    .kernarg_segment_align: 8
    .kernarg_segment_size: 40
    .language:       OpenCL C
    .language_version:
      - 2
      - 0
    .max_flat_workgroup_size: 256
    .name:           _ZN7rocprim17ROCPRIM_400000_NS6detail17trampoline_kernelINS0_14default_configENS1_20scan_config_selectorIlEEZZNS1_9scan_implILNS1_25lookback_scan_determinismE0ELb0ELb0ES3_PlS8_lN6thrust23THRUST_200600_302600_NS4plusIvEElEEDaPvRmT3_T4_T5_mT6_P12ihipStream_tbENKUlT_T0_E_clISt17integral_constantIbLb0EESQ_EEDaSL_SM_EUlSL_E0_NS1_11comp_targetILNS1_3genE9ELNS1_11target_archE1100ELNS1_3gpuE3ELNS1_3repE0EEENS1_30default_config_static_selectorELNS0_4arch9wavefront6targetE1EEEvT1_
    .private_segment_fixed_size: 0
    .sgpr_count:     6
    .sgpr_spill_count: 0
    .symbol:         _ZN7rocprim17ROCPRIM_400000_NS6detail17trampoline_kernelINS0_14default_configENS1_20scan_config_selectorIlEEZZNS1_9scan_implILNS1_25lookback_scan_determinismE0ELb0ELb0ES3_PlS8_lN6thrust23THRUST_200600_302600_NS4plusIvEElEEDaPvRmT3_T4_T5_mT6_P12ihipStream_tbENKUlT_T0_E_clISt17integral_constantIbLb0EESQ_EEDaSL_SM_EUlSL_E0_NS1_11comp_targetILNS1_3genE9ELNS1_11target_archE1100ELNS1_3gpuE3ELNS1_3repE0EEENS1_30default_config_static_selectorELNS0_4arch9wavefront6targetE1EEEvT1_.kd
    .uniform_work_group_size: 1
    .uses_dynamic_stack: false
    .vgpr_count:     0
    .vgpr_spill_count: 0
    .wavefront_size: 64
  - .agpr_count:     0
    .args:
      - .offset:         0
        .size:           40
        .value_kind:     by_value
    .group_segment_fixed_size: 0
    .kernarg_segment_align: 8
    .kernarg_segment_size: 40
    .language:       OpenCL C
    .language_version:
      - 2
      - 0
    .max_flat_workgroup_size: 256
    .name:           _ZN7rocprim17ROCPRIM_400000_NS6detail17trampoline_kernelINS0_14default_configENS1_20scan_config_selectorIlEEZZNS1_9scan_implILNS1_25lookback_scan_determinismE0ELb0ELb0ES3_PlS8_lN6thrust23THRUST_200600_302600_NS4plusIvEElEEDaPvRmT3_T4_T5_mT6_P12ihipStream_tbENKUlT_T0_E_clISt17integral_constantIbLb0EESQ_EEDaSL_SM_EUlSL_E0_NS1_11comp_targetILNS1_3genE8ELNS1_11target_archE1030ELNS1_3gpuE2ELNS1_3repE0EEENS1_30default_config_static_selectorELNS0_4arch9wavefront6targetE1EEEvT1_
    .private_segment_fixed_size: 0
    .sgpr_count:     6
    .sgpr_spill_count: 0
    .symbol:         _ZN7rocprim17ROCPRIM_400000_NS6detail17trampoline_kernelINS0_14default_configENS1_20scan_config_selectorIlEEZZNS1_9scan_implILNS1_25lookback_scan_determinismE0ELb0ELb0ES3_PlS8_lN6thrust23THRUST_200600_302600_NS4plusIvEElEEDaPvRmT3_T4_T5_mT6_P12ihipStream_tbENKUlT_T0_E_clISt17integral_constantIbLb0EESQ_EEDaSL_SM_EUlSL_E0_NS1_11comp_targetILNS1_3genE8ELNS1_11target_archE1030ELNS1_3gpuE2ELNS1_3repE0EEENS1_30default_config_static_selectorELNS0_4arch9wavefront6targetE1EEEvT1_.kd
    .uniform_work_group_size: 1
    .uses_dynamic_stack: false
    .vgpr_count:     0
    .vgpr_spill_count: 0
    .wavefront_size: 64
  - .agpr_count:     0
    .args:
      - .address_space:  global
        .offset:         0
        .size:           8
        .value_kind:     global_buffer
      - .offset:         8
        .size:           4
        .value_kind:     by_value
      - .address_space:  global
        .offset:         16
        .size:           8
        .value_kind:     global_buffer
      - .offset:         24
        .size:           4
        .value_kind:     by_value
      - .address_space:  global
        .offset:         32
        .size:           8
        .value_kind:     global_buffer
      - .offset:         40
        .size:           4
        .value_kind:     hidden_block_count_x
      - .offset:         44
        .size:           4
        .value_kind:     hidden_block_count_y
      - .offset:         48
        .size:           4
        .value_kind:     hidden_block_count_z
      - .offset:         52
        .size:           2
        .value_kind:     hidden_group_size_x
      - .offset:         54
        .size:           2
        .value_kind:     hidden_group_size_y
      - .offset:         56
        .size:           2
        .value_kind:     hidden_group_size_z
      - .offset:         58
        .size:           2
        .value_kind:     hidden_remainder_x
      - .offset:         60
        .size:           2
        .value_kind:     hidden_remainder_y
      - .offset:         62
        .size:           2
        .value_kind:     hidden_remainder_z
      - .offset:         80
        .size:           8
        .value_kind:     hidden_global_offset_x
      - .offset:         88
        .size:           8
        .value_kind:     hidden_global_offset_y
      - .offset:         96
        .size:           8
        .value_kind:     hidden_global_offset_z
      - .offset:         104
        .size:           2
        .value_kind:     hidden_grid_dims
    .group_segment_fixed_size: 0
    .kernarg_segment_align: 8
    .kernarg_segment_size: 296
    .language:       OpenCL C
    .language_version:
      - 2
      - 0
    .max_flat_workgroup_size: 256
    .name:           _ZN7rocprim17ROCPRIM_400000_NS6detail31init_lookback_scan_state_kernelINS1_19lookback_scan_stateIlLb1ELb1EEENS1_16block_id_wrapperIjLb1EEEEEvT_jT0_jPNS7_10value_typeE
    .private_segment_fixed_size: 0
    .sgpr_count:     22
    .sgpr_spill_count: 0
    .symbol:         _ZN7rocprim17ROCPRIM_400000_NS6detail31init_lookback_scan_state_kernelINS1_19lookback_scan_stateIlLb1ELb1EEENS1_16block_id_wrapperIjLb1EEEEEvT_jT0_jPNS7_10value_typeE.kd
    .uniform_work_group_size: 1
    .uses_dynamic_stack: false
    .vgpr_count:     10
    .vgpr_spill_count: 0
    .wavefront_size: 64
  - .agpr_count:     0
    .args:
      - .offset:         0
        .size:           104
        .value_kind:     by_value
    .group_segment_fixed_size: 0
    .kernarg_segment_align: 8
    .kernarg_segment_size: 104
    .language:       OpenCL C
    .language_version:
      - 2
      - 0
    .max_flat_workgroup_size: 256
    .name:           _ZN7rocprim17ROCPRIM_400000_NS6detail17trampoline_kernelINS0_14default_configENS1_20scan_config_selectorIlEEZZNS1_9scan_implILNS1_25lookback_scan_determinismE0ELb0ELb0ES3_PlS8_lN6thrust23THRUST_200600_302600_NS4plusIvEElEEDaPvRmT3_T4_T5_mT6_P12ihipStream_tbENKUlT_T0_E_clISt17integral_constantIbLb1EESQ_EEDaSL_SM_EUlSL_E_NS1_11comp_targetILNS1_3genE0ELNS1_11target_archE4294967295ELNS1_3gpuE0ELNS1_3repE0EEENS1_30default_config_static_selectorELNS0_4arch9wavefront6targetE1EEEvT1_
    .private_segment_fixed_size: 0
    .sgpr_count:     6
    .sgpr_spill_count: 0
    .symbol:         _ZN7rocprim17ROCPRIM_400000_NS6detail17trampoline_kernelINS0_14default_configENS1_20scan_config_selectorIlEEZZNS1_9scan_implILNS1_25lookback_scan_determinismE0ELb0ELb0ES3_PlS8_lN6thrust23THRUST_200600_302600_NS4plusIvEElEEDaPvRmT3_T4_T5_mT6_P12ihipStream_tbENKUlT_T0_E_clISt17integral_constantIbLb1EESQ_EEDaSL_SM_EUlSL_E_NS1_11comp_targetILNS1_3genE0ELNS1_11target_archE4294967295ELNS1_3gpuE0ELNS1_3repE0EEENS1_30default_config_static_selectorELNS0_4arch9wavefront6targetE1EEEvT1_.kd
    .uniform_work_group_size: 1
    .uses_dynamic_stack: false
    .vgpr_count:     0
    .vgpr_spill_count: 0
    .wavefront_size: 64
  - .agpr_count:     0
    .args:
      - .offset:         0
        .size:           104
        .value_kind:     by_value
    .group_segment_fixed_size: 30720
    .kernarg_segment_align: 8
    .kernarg_segment_size: 104
    .language:       OpenCL C
    .language_version:
      - 2
      - 0
    .max_flat_workgroup_size: 256
    .name:           _ZN7rocprim17ROCPRIM_400000_NS6detail17trampoline_kernelINS0_14default_configENS1_20scan_config_selectorIlEEZZNS1_9scan_implILNS1_25lookback_scan_determinismE0ELb0ELb0ES3_PlS8_lN6thrust23THRUST_200600_302600_NS4plusIvEElEEDaPvRmT3_T4_T5_mT6_P12ihipStream_tbENKUlT_T0_E_clISt17integral_constantIbLb1EESQ_EEDaSL_SM_EUlSL_E_NS1_11comp_targetILNS1_3genE5ELNS1_11target_archE942ELNS1_3gpuE9ELNS1_3repE0EEENS1_30default_config_static_selectorELNS0_4arch9wavefront6targetE1EEEvT1_
    .private_segment_fixed_size: 0
    .sgpr_count:     44
    .sgpr_spill_count: 0
    .symbol:         _ZN7rocprim17ROCPRIM_400000_NS6detail17trampoline_kernelINS0_14default_configENS1_20scan_config_selectorIlEEZZNS1_9scan_implILNS1_25lookback_scan_determinismE0ELb0ELb0ES3_PlS8_lN6thrust23THRUST_200600_302600_NS4plusIvEElEEDaPvRmT3_T4_T5_mT6_P12ihipStream_tbENKUlT_T0_E_clISt17integral_constantIbLb1EESQ_EEDaSL_SM_EUlSL_E_NS1_11comp_targetILNS1_3genE5ELNS1_11target_archE942ELNS1_3gpuE9ELNS1_3repE0EEENS1_30default_config_static_selectorELNS0_4arch9wavefront6targetE1EEEvT1_.kd
    .uniform_work_group_size: 1
    .uses_dynamic_stack: false
    .vgpr_count:     78
    .vgpr_spill_count: 0
    .wavefront_size: 64
  - .agpr_count:     0
    .args:
      - .offset:         0
        .size:           104
        .value_kind:     by_value
    .group_segment_fixed_size: 0
    .kernarg_segment_align: 8
    .kernarg_segment_size: 104
    .language:       OpenCL C
    .language_version:
      - 2
      - 0
    .max_flat_workgroup_size: 128
    .name:           _ZN7rocprim17ROCPRIM_400000_NS6detail17trampoline_kernelINS0_14default_configENS1_20scan_config_selectorIlEEZZNS1_9scan_implILNS1_25lookback_scan_determinismE0ELb0ELb0ES3_PlS8_lN6thrust23THRUST_200600_302600_NS4plusIvEElEEDaPvRmT3_T4_T5_mT6_P12ihipStream_tbENKUlT_T0_E_clISt17integral_constantIbLb1EESQ_EEDaSL_SM_EUlSL_E_NS1_11comp_targetILNS1_3genE4ELNS1_11target_archE910ELNS1_3gpuE8ELNS1_3repE0EEENS1_30default_config_static_selectorELNS0_4arch9wavefront6targetE1EEEvT1_
    .private_segment_fixed_size: 0
    .sgpr_count:     6
    .sgpr_spill_count: 0
    .symbol:         _ZN7rocprim17ROCPRIM_400000_NS6detail17trampoline_kernelINS0_14default_configENS1_20scan_config_selectorIlEEZZNS1_9scan_implILNS1_25lookback_scan_determinismE0ELb0ELb0ES3_PlS8_lN6thrust23THRUST_200600_302600_NS4plusIvEElEEDaPvRmT3_T4_T5_mT6_P12ihipStream_tbENKUlT_T0_E_clISt17integral_constantIbLb1EESQ_EEDaSL_SM_EUlSL_E_NS1_11comp_targetILNS1_3genE4ELNS1_11target_archE910ELNS1_3gpuE8ELNS1_3repE0EEENS1_30default_config_static_selectorELNS0_4arch9wavefront6targetE1EEEvT1_.kd
    .uniform_work_group_size: 1
    .uses_dynamic_stack: false
    .vgpr_count:     0
    .vgpr_spill_count: 0
    .wavefront_size: 64
  - .agpr_count:     0
    .args:
      - .offset:         0
        .size:           104
        .value_kind:     by_value
    .group_segment_fixed_size: 0
    .kernarg_segment_align: 8
    .kernarg_segment_size: 104
    .language:       OpenCL C
    .language_version:
      - 2
      - 0
    .max_flat_workgroup_size: 256
    .name:           _ZN7rocprim17ROCPRIM_400000_NS6detail17trampoline_kernelINS0_14default_configENS1_20scan_config_selectorIlEEZZNS1_9scan_implILNS1_25lookback_scan_determinismE0ELb0ELb0ES3_PlS8_lN6thrust23THRUST_200600_302600_NS4plusIvEElEEDaPvRmT3_T4_T5_mT6_P12ihipStream_tbENKUlT_T0_E_clISt17integral_constantIbLb1EESQ_EEDaSL_SM_EUlSL_E_NS1_11comp_targetILNS1_3genE3ELNS1_11target_archE908ELNS1_3gpuE7ELNS1_3repE0EEENS1_30default_config_static_selectorELNS0_4arch9wavefront6targetE1EEEvT1_
    .private_segment_fixed_size: 0
    .sgpr_count:     6
    .sgpr_spill_count: 0
    .symbol:         _ZN7rocprim17ROCPRIM_400000_NS6detail17trampoline_kernelINS0_14default_configENS1_20scan_config_selectorIlEEZZNS1_9scan_implILNS1_25lookback_scan_determinismE0ELb0ELb0ES3_PlS8_lN6thrust23THRUST_200600_302600_NS4plusIvEElEEDaPvRmT3_T4_T5_mT6_P12ihipStream_tbENKUlT_T0_E_clISt17integral_constantIbLb1EESQ_EEDaSL_SM_EUlSL_E_NS1_11comp_targetILNS1_3genE3ELNS1_11target_archE908ELNS1_3gpuE7ELNS1_3repE0EEENS1_30default_config_static_selectorELNS0_4arch9wavefront6targetE1EEEvT1_.kd
    .uniform_work_group_size: 1
    .uses_dynamic_stack: false
    .vgpr_count:     0
    .vgpr_spill_count: 0
    .wavefront_size: 64
  - .agpr_count:     0
    .args:
      - .offset:         0
        .size:           104
        .value_kind:     by_value
    .group_segment_fixed_size: 0
    .kernarg_segment_align: 8
    .kernarg_segment_size: 104
    .language:       OpenCL C
    .language_version:
      - 2
      - 0
    .max_flat_workgroup_size: 64
    .name:           _ZN7rocprim17ROCPRIM_400000_NS6detail17trampoline_kernelINS0_14default_configENS1_20scan_config_selectorIlEEZZNS1_9scan_implILNS1_25lookback_scan_determinismE0ELb0ELb0ES3_PlS8_lN6thrust23THRUST_200600_302600_NS4plusIvEElEEDaPvRmT3_T4_T5_mT6_P12ihipStream_tbENKUlT_T0_E_clISt17integral_constantIbLb1EESQ_EEDaSL_SM_EUlSL_E_NS1_11comp_targetILNS1_3genE2ELNS1_11target_archE906ELNS1_3gpuE6ELNS1_3repE0EEENS1_30default_config_static_selectorELNS0_4arch9wavefront6targetE1EEEvT1_
    .private_segment_fixed_size: 0
    .sgpr_count:     6
    .sgpr_spill_count: 0
    .symbol:         _ZN7rocprim17ROCPRIM_400000_NS6detail17trampoline_kernelINS0_14default_configENS1_20scan_config_selectorIlEEZZNS1_9scan_implILNS1_25lookback_scan_determinismE0ELb0ELb0ES3_PlS8_lN6thrust23THRUST_200600_302600_NS4plusIvEElEEDaPvRmT3_T4_T5_mT6_P12ihipStream_tbENKUlT_T0_E_clISt17integral_constantIbLb1EESQ_EEDaSL_SM_EUlSL_E_NS1_11comp_targetILNS1_3genE2ELNS1_11target_archE906ELNS1_3gpuE6ELNS1_3repE0EEENS1_30default_config_static_selectorELNS0_4arch9wavefront6targetE1EEEvT1_.kd
    .uniform_work_group_size: 1
    .uses_dynamic_stack: false
    .vgpr_count:     0
    .vgpr_spill_count: 0
    .wavefront_size: 64
  - .agpr_count:     0
    .args:
      - .offset:         0
        .size:           104
        .value_kind:     by_value
    .group_segment_fixed_size: 0
    .kernarg_segment_align: 8
    .kernarg_segment_size: 104
    .language:       OpenCL C
    .language_version:
      - 2
      - 0
    .max_flat_workgroup_size: 256
    .name:           _ZN7rocprim17ROCPRIM_400000_NS6detail17trampoline_kernelINS0_14default_configENS1_20scan_config_selectorIlEEZZNS1_9scan_implILNS1_25lookback_scan_determinismE0ELb0ELb0ES3_PlS8_lN6thrust23THRUST_200600_302600_NS4plusIvEElEEDaPvRmT3_T4_T5_mT6_P12ihipStream_tbENKUlT_T0_E_clISt17integral_constantIbLb1EESQ_EEDaSL_SM_EUlSL_E_NS1_11comp_targetILNS1_3genE10ELNS1_11target_archE1201ELNS1_3gpuE5ELNS1_3repE0EEENS1_30default_config_static_selectorELNS0_4arch9wavefront6targetE1EEEvT1_
    .private_segment_fixed_size: 0
    .sgpr_count:     6
    .sgpr_spill_count: 0
    .symbol:         _ZN7rocprim17ROCPRIM_400000_NS6detail17trampoline_kernelINS0_14default_configENS1_20scan_config_selectorIlEEZZNS1_9scan_implILNS1_25lookback_scan_determinismE0ELb0ELb0ES3_PlS8_lN6thrust23THRUST_200600_302600_NS4plusIvEElEEDaPvRmT3_T4_T5_mT6_P12ihipStream_tbENKUlT_T0_E_clISt17integral_constantIbLb1EESQ_EEDaSL_SM_EUlSL_E_NS1_11comp_targetILNS1_3genE10ELNS1_11target_archE1201ELNS1_3gpuE5ELNS1_3repE0EEENS1_30default_config_static_selectorELNS0_4arch9wavefront6targetE1EEEvT1_.kd
    .uniform_work_group_size: 1
    .uses_dynamic_stack: false
    .vgpr_count:     0
    .vgpr_spill_count: 0
    .wavefront_size: 64
  - .agpr_count:     0
    .args:
      - .offset:         0
        .size:           104
        .value_kind:     by_value
    .group_segment_fixed_size: 0
    .kernarg_segment_align: 8
    .kernarg_segment_size: 104
    .language:       OpenCL C
    .language_version:
      - 2
      - 0
    .max_flat_workgroup_size: 256
    .name:           _ZN7rocprim17ROCPRIM_400000_NS6detail17trampoline_kernelINS0_14default_configENS1_20scan_config_selectorIlEEZZNS1_9scan_implILNS1_25lookback_scan_determinismE0ELb0ELb0ES3_PlS8_lN6thrust23THRUST_200600_302600_NS4plusIvEElEEDaPvRmT3_T4_T5_mT6_P12ihipStream_tbENKUlT_T0_E_clISt17integral_constantIbLb1EESQ_EEDaSL_SM_EUlSL_E_NS1_11comp_targetILNS1_3genE10ELNS1_11target_archE1200ELNS1_3gpuE4ELNS1_3repE0EEENS1_30default_config_static_selectorELNS0_4arch9wavefront6targetE1EEEvT1_
    .private_segment_fixed_size: 0
    .sgpr_count:     6
    .sgpr_spill_count: 0
    .symbol:         _ZN7rocprim17ROCPRIM_400000_NS6detail17trampoline_kernelINS0_14default_configENS1_20scan_config_selectorIlEEZZNS1_9scan_implILNS1_25lookback_scan_determinismE0ELb0ELb0ES3_PlS8_lN6thrust23THRUST_200600_302600_NS4plusIvEElEEDaPvRmT3_T4_T5_mT6_P12ihipStream_tbENKUlT_T0_E_clISt17integral_constantIbLb1EESQ_EEDaSL_SM_EUlSL_E_NS1_11comp_targetILNS1_3genE10ELNS1_11target_archE1200ELNS1_3gpuE4ELNS1_3repE0EEENS1_30default_config_static_selectorELNS0_4arch9wavefront6targetE1EEEvT1_.kd
    .uniform_work_group_size: 1
    .uses_dynamic_stack: false
    .vgpr_count:     0
    .vgpr_spill_count: 0
    .wavefront_size: 64
  - .agpr_count:     0
    .args:
      - .offset:         0
        .size:           104
        .value_kind:     by_value
    .group_segment_fixed_size: 0
    .kernarg_segment_align: 8
    .kernarg_segment_size: 104
    .language:       OpenCL C
    .language_version:
      - 2
      - 0
    .max_flat_workgroup_size: 256
    .name:           _ZN7rocprim17ROCPRIM_400000_NS6detail17trampoline_kernelINS0_14default_configENS1_20scan_config_selectorIlEEZZNS1_9scan_implILNS1_25lookback_scan_determinismE0ELb0ELb0ES3_PlS8_lN6thrust23THRUST_200600_302600_NS4plusIvEElEEDaPvRmT3_T4_T5_mT6_P12ihipStream_tbENKUlT_T0_E_clISt17integral_constantIbLb1EESQ_EEDaSL_SM_EUlSL_E_NS1_11comp_targetILNS1_3genE9ELNS1_11target_archE1100ELNS1_3gpuE3ELNS1_3repE0EEENS1_30default_config_static_selectorELNS0_4arch9wavefront6targetE1EEEvT1_
    .private_segment_fixed_size: 0
    .sgpr_count:     6
    .sgpr_spill_count: 0
    .symbol:         _ZN7rocprim17ROCPRIM_400000_NS6detail17trampoline_kernelINS0_14default_configENS1_20scan_config_selectorIlEEZZNS1_9scan_implILNS1_25lookback_scan_determinismE0ELb0ELb0ES3_PlS8_lN6thrust23THRUST_200600_302600_NS4plusIvEElEEDaPvRmT3_T4_T5_mT6_P12ihipStream_tbENKUlT_T0_E_clISt17integral_constantIbLb1EESQ_EEDaSL_SM_EUlSL_E_NS1_11comp_targetILNS1_3genE9ELNS1_11target_archE1100ELNS1_3gpuE3ELNS1_3repE0EEENS1_30default_config_static_selectorELNS0_4arch9wavefront6targetE1EEEvT1_.kd
    .uniform_work_group_size: 1
    .uses_dynamic_stack: false
    .vgpr_count:     0
    .vgpr_spill_count: 0
    .wavefront_size: 64
  - .agpr_count:     0
    .args:
      - .offset:         0
        .size:           104
        .value_kind:     by_value
    .group_segment_fixed_size: 0
    .kernarg_segment_align: 8
    .kernarg_segment_size: 104
    .language:       OpenCL C
    .language_version:
      - 2
      - 0
    .max_flat_workgroup_size: 256
    .name:           _ZN7rocprim17ROCPRIM_400000_NS6detail17trampoline_kernelINS0_14default_configENS1_20scan_config_selectorIlEEZZNS1_9scan_implILNS1_25lookback_scan_determinismE0ELb0ELb0ES3_PlS8_lN6thrust23THRUST_200600_302600_NS4plusIvEElEEDaPvRmT3_T4_T5_mT6_P12ihipStream_tbENKUlT_T0_E_clISt17integral_constantIbLb1EESQ_EEDaSL_SM_EUlSL_E_NS1_11comp_targetILNS1_3genE8ELNS1_11target_archE1030ELNS1_3gpuE2ELNS1_3repE0EEENS1_30default_config_static_selectorELNS0_4arch9wavefront6targetE1EEEvT1_
    .private_segment_fixed_size: 0
    .sgpr_count:     6
    .sgpr_spill_count: 0
    .symbol:         _ZN7rocprim17ROCPRIM_400000_NS6detail17trampoline_kernelINS0_14default_configENS1_20scan_config_selectorIlEEZZNS1_9scan_implILNS1_25lookback_scan_determinismE0ELb0ELb0ES3_PlS8_lN6thrust23THRUST_200600_302600_NS4plusIvEElEEDaPvRmT3_T4_T5_mT6_P12ihipStream_tbENKUlT_T0_E_clISt17integral_constantIbLb1EESQ_EEDaSL_SM_EUlSL_E_NS1_11comp_targetILNS1_3genE8ELNS1_11target_archE1030ELNS1_3gpuE2ELNS1_3repE0EEENS1_30default_config_static_selectorELNS0_4arch9wavefront6targetE1EEEvT1_.kd
    .uniform_work_group_size: 1
    .uses_dynamic_stack: false
    .vgpr_count:     0
    .vgpr_spill_count: 0
    .wavefront_size: 64
  - .agpr_count:     0
    .args:
      - .offset:         0
        .size:           40
        .value_kind:     by_value
    .group_segment_fixed_size: 0
    .kernarg_segment_align: 8
    .kernarg_segment_size: 40
    .language:       OpenCL C
    .language_version:
      - 2
      - 0
    .max_flat_workgroup_size: 256
    .name:           _ZN7rocprim17ROCPRIM_400000_NS6detail17trampoline_kernelINS0_14default_configENS1_20scan_config_selectorIlEEZZNS1_9scan_implILNS1_25lookback_scan_determinismE0ELb0ELb0ES3_PlS8_lN6thrust23THRUST_200600_302600_NS4plusIvEElEEDaPvRmT3_T4_T5_mT6_P12ihipStream_tbENKUlT_T0_E_clISt17integral_constantIbLb1EESQ_EEDaSL_SM_EUlSL_E0_NS1_11comp_targetILNS1_3genE0ELNS1_11target_archE4294967295ELNS1_3gpuE0ELNS1_3repE0EEENS1_30default_config_static_selectorELNS0_4arch9wavefront6targetE1EEEvT1_
    .private_segment_fixed_size: 0
    .sgpr_count:     6
    .sgpr_spill_count: 0
    .symbol:         _ZN7rocprim17ROCPRIM_400000_NS6detail17trampoline_kernelINS0_14default_configENS1_20scan_config_selectorIlEEZZNS1_9scan_implILNS1_25lookback_scan_determinismE0ELb0ELb0ES3_PlS8_lN6thrust23THRUST_200600_302600_NS4plusIvEElEEDaPvRmT3_T4_T5_mT6_P12ihipStream_tbENKUlT_T0_E_clISt17integral_constantIbLb1EESQ_EEDaSL_SM_EUlSL_E0_NS1_11comp_targetILNS1_3genE0ELNS1_11target_archE4294967295ELNS1_3gpuE0ELNS1_3repE0EEENS1_30default_config_static_selectorELNS0_4arch9wavefront6targetE1EEEvT1_.kd
    .uniform_work_group_size: 1
    .uses_dynamic_stack: false
    .vgpr_count:     0
    .vgpr_spill_count: 0
    .wavefront_size: 64
  - .agpr_count:     0
    .args:
      - .offset:         0
        .size:           40
        .value_kind:     by_value
    .group_segment_fixed_size: 30720
    .kernarg_segment_align: 8
    .kernarg_segment_size: 40
    .language:       OpenCL C
    .language_version:
      - 2
      - 0
    .max_flat_workgroup_size: 256
    .name:           _ZN7rocprim17ROCPRIM_400000_NS6detail17trampoline_kernelINS0_14default_configENS1_20scan_config_selectorIlEEZZNS1_9scan_implILNS1_25lookback_scan_determinismE0ELb0ELb0ES3_PlS8_lN6thrust23THRUST_200600_302600_NS4plusIvEElEEDaPvRmT3_T4_T5_mT6_P12ihipStream_tbENKUlT_T0_E_clISt17integral_constantIbLb1EESQ_EEDaSL_SM_EUlSL_E0_NS1_11comp_targetILNS1_3genE5ELNS1_11target_archE942ELNS1_3gpuE9ELNS1_3repE0EEENS1_30default_config_static_selectorELNS0_4arch9wavefront6targetE1EEEvT1_
    .private_segment_fixed_size: 0
    .sgpr_count:     46
    .sgpr_spill_count: 0
    .symbol:         _ZN7rocprim17ROCPRIM_400000_NS6detail17trampoline_kernelINS0_14default_configENS1_20scan_config_selectorIlEEZZNS1_9scan_implILNS1_25lookback_scan_determinismE0ELb0ELb0ES3_PlS8_lN6thrust23THRUST_200600_302600_NS4plusIvEElEEDaPvRmT3_T4_T5_mT6_P12ihipStream_tbENKUlT_T0_E_clISt17integral_constantIbLb1EESQ_EEDaSL_SM_EUlSL_E0_NS1_11comp_targetILNS1_3genE5ELNS1_11target_archE942ELNS1_3gpuE9ELNS1_3repE0EEENS1_30default_config_static_selectorELNS0_4arch9wavefront6targetE1EEEvT1_.kd
    .uniform_work_group_size: 1
    .uses_dynamic_stack: false
    .vgpr_count:     73
    .vgpr_spill_count: 0
    .wavefront_size: 64
  - .agpr_count:     0
    .args:
      - .offset:         0
        .size:           40
        .value_kind:     by_value
    .group_segment_fixed_size: 0
    .kernarg_segment_align: 8
    .kernarg_segment_size: 40
    .language:       OpenCL C
    .language_version:
      - 2
      - 0
    .max_flat_workgroup_size: 128
    .name:           _ZN7rocprim17ROCPRIM_400000_NS6detail17trampoline_kernelINS0_14default_configENS1_20scan_config_selectorIlEEZZNS1_9scan_implILNS1_25lookback_scan_determinismE0ELb0ELb0ES3_PlS8_lN6thrust23THRUST_200600_302600_NS4plusIvEElEEDaPvRmT3_T4_T5_mT6_P12ihipStream_tbENKUlT_T0_E_clISt17integral_constantIbLb1EESQ_EEDaSL_SM_EUlSL_E0_NS1_11comp_targetILNS1_3genE4ELNS1_11target_archE910ELNS1_3gpuE8ELNS1_3repE0EEENS1_30default_config_static_selectorELNS0_4arch9wavefront6targetE1EEEvT1_
    .private_segment_fixed_size: 0
    .sgpr_count:     6
    .sgpr_spill_count: 0
    .symbol:         _ZN7rocprim17ROCPRIM_400000_NS6detail17trampoline_kernelINS0_14default_configENS1_20scan_config_selectorIlEEZZNS1_9scan_implILNS1_25lookback_scan_determinismE0ELb0ELb0ES3_PlS8_lN6thrust23THRUST_200600_302600_NS4plusIvEElEEDaPvRmT3_T4_T5_mT6_P12ihipStream_tbENKUlT_T0_E_clISt17integral_constantIbLb1EESQ_EEDaSL_SM_EUlSL_E0_NS1_11comp_targetILNS1_3genE4ELNS1_11target_archE910ELNS1_3gpuE8ELNS1_3repE0EEENS1_30default_config_static_selectorELNS0_4arch9wavefront6targetE1EEEvT1_.kd
    .uniform_work_group_size: 1
    .uses_dynamic_stack: false
    .vgpr_count:     0
    .vgpr_spill_count: 0
    .wavefront_size: 64
  - .agpr_count:     0
    .args:
      - .offset:         0
        .size:           40
        .value_kind:     by_value
    .group_segment_fixed_size: 0
    .kernarg_segment_align: 8
    .kernarg_segment_size: 40
    .language:       OpenCL C
    .language_version:
      - 2
      - 0
    .max_flat_workgroup_size: 256
    .name:           _ZN7rocprim17ROCPRIM_400000_NS6detail17trampoline_kernelINS0_14default_configENS1_20scan_config_selectorIlEEZZNS1_9scan_implILNS1_25lookback_scan_determinismE0ELb0ELb0ES3_PlS8_lN6thrust23THRUST_200600_302600_NS4plusIvEElEEDaPvRmT3_T4_T5_mT6_P12ihipStream_tbENKUlT_T0_E_clISt17integral_constantIbLb1EESQ_EEDaSL_SM_EUlSL_E0_NS1_11comp_targetILNS1_3genE3ELNS1_11target_archE908ELNS1_3gpuE7ELNS1_3repE0EEENS1_30default_config_static_selectorELNS0_4arch9wavefront6targetE1EEEvT1_
    .private_segment_fixed_size: 0
    .sgpr_count:     6
    .sgpr_spill_count: 0
    .symbol:         _ZN7rocprim17ROCPRIM_400000_NS6detail17trampoline_kernelINS0_14default_configENS1_20scan_config_selectorIlEEZZNS1_9scan_implILNS1_25lookback_scan_determinismE0ELb0ELb0ES3_PlS8_lN6thrust23THRUST_200600_302600_NS4plusIvEElEEDaPvRmT3_T4_T5_mT6_P12ihipStream_tbENKUlT_T0_E_clISt17integral_constantIbLb1EESQ_EEDaSL_SM_EUlSL_E0_NS1_11comp_targetILNS1_3genE3ELNS1_11target_archE908ELNS1_3gpuE7ELNS1_3repE0EEENS1_30default_config_static_selectorELNS0_4arch9wavefront6targetE1EEEvT1_.kd
    .uniform_work_group_size: 1
    .uses_dynamic_stack: false
    .vgpr_count:     0
    .vgpr_spill_count: 0
    .wavefront_size: 64
  - .agpr_count:     0
    .args:
      - .offset:         0
        .size:           40
        .value_kind:     by_value
    .group_segment_fixed_size: 0
    .kernarg_segment_align: 8
    .kernarg_segment_size: 40
    .language:       OpenCL C
    .language_version:
      - 2
      - 0
    .max_flat_workgroup_size: 64
    .name:           _ZN7rocprim17ROCPRIM_400000_NS6detail17trampoline_kernelINS0_14default_configENS1_20scan_config_selectorIlEEZZNS1_9scan_implILNS1_25lookback_scan_determinismE0ELb0ELb0ES3_PlS8_lN6thrust23THRUST_200600_302600_NS4plusIvEElEEDaPvRmT3_T4_T5_mT6_P12ihipStream_tbENKUlT_T0_E_clISt17integral_constantIbLb1EESQ_EEDaSL_SM_EUlSL_E0_NS1_11comp_targetILNS1_3genE2ELNS1_11target_archE906ELNS1_3gpuE6ELNS1_3repE0EEENS1_30default_config_static_selectorELNS0_4arch9wavefront6targetE1EEEvT1_
    .private_segment_fixed_size: 0
    .sgpr_count:     6
    .sgpr_spill_count: 0
    .symbol:         _ZN7rocprim17ROCPRIM_400000_NS6detail17trampoline_kernelINS0_14default_configENS1_20scan_config_selectorIlEEZZNS1_9scan_implILNS1_25lookback_scan_determinismE0ELb0ELb0ES3_PlS8_lN6thrust23THRUST_200600_302600_NS4plusIvEElEEDaPvRmT3_T4_T5_mT6_P12ihipStream_tbENKUlT_T0_E_clISt17integral_constantIbLb1EESQ_EEDaSL_SM_EUlSL_E0_NS1_11comp_targetILNS1_3genE2ELNS1_11target_archE906ELNS1_3gpuE6ELNS1_3repE0EEENS1_30default_config_static_selectorELNS0_4arch9wavefront6targetE1EEEvT1_.kd
    .uniform_work_group_size: 1
    .uses_dynamic_stack: false
    .vgpr_count:     0
    .vgpr_spill_count: 0
    .wavefront_size: 64
  - .agpr_count:     0
    .args:
      - .offset:         0
        .size:           40
        .value_kind:     by_value
    .group_segment_fixed_size: 0
    .kernarg_segment_align: 8
    .kernarg_segment_size: 40
    .language:       OpenCL C
    .language_version:
      - 2
      - 0
    .max_flat_workgroup_size: 256
    .name:           _ZN7rocprim17ROCPRIM_400000_NS6detail17trampoline_kernelINS0_14default_configENS1_20scan_config_selectorIlEEZZNS1_9scan_implILNS1_25lookback_scan_determinismE0ELb0ELb0ES3_PlS8_lN6thrust23THRUST_200600_302600_NS4plusIvEElEEDaPvRmT3_T4_T5_mT6_P12ihipStream_tbENKUlT_T0_E_clISt17integral_constantIbLb1EESQ_EEDaSL_SM_EUlSL_E0_NS1_11comp_targetILNS1_3genE10ELNS1_11target_archE1201ELNS1_3gpuE5ELNS1_3repE0EEENS1_30default_config_static_selectorELNS0_4arch9wavefront6targetE1EEEvT1_
    .private_segment_fixed_size: 0
    .sgpr_count:     6
    .sgpr_spill_count: 0
    .symbol:         _ZN7rocprim17ROCPRIM_400000_NS6detail17trampoline_kernelINS0_14default_configENS1_20scan_config_selectorIlEEZZNS1_9scan_implILNS1_25lookback_scan_determinismE0ELb0ELb0ES3_PlS8_lN6thrust23THRUST_200600_302600_NS4plusIvEElEEDaPvRmT3_T4_T5_mT6_P12ihipStream_tbENKUlT_T0_E_clISt17integral_constantIbLb1EESQ_EEDaSL_SM_EUlSL_E0_NS1_11comp_targetILNS1_3genE10ELNS1_11target_archE1201ELNS1_3gpuE5ELNS1_3repE0EEENS1_30default_config_static_selectorELNS0_4arch9wavefront6targetE1EEEvT1_.kd
    .uniform_work_group_size: 1
    .uses_dynamic_stack: false
    .vgpr_count:     0
    .vgpr_spill_count: 0
    .wavefront_size: 64
  - .agpr_count:     0
    .args:
      - .offset:         0
        .size:           40
        .value_kind:     by_value
    .group_segment_fixed_size: 0
    .kernarg_segment_align: 8
    .kernarg_segment_size: 40
    .language:       OpenCL C
    .language_version:
      - 2
      - 0
    .max_flat_workgroup_size: 256
    .name:           _ZN7rocprim17ROCPRIM_400000_NS6detail17trampoline_kernelINS0_14default_configENS1_20scan_config_selectorIlEEZZNS1_9scan_implILNS1_25lookback_scan_determinismE0ELb0ELb0ES3_PlS8_lN6thrust23THRUST_200600_302600_NS4plusIvEElEEDaPvRmT3_T4_T5_mT6_P12ihipStream_tbENKUlT_T0_E_clISt17integral_constantIbLb1EESQ_EEDaSL_SM_EUlSL_E0_NS1_11comp_targetILNS1_3genE10ELNS1_11target_archE1200ELNS1_3gpuE4ELNS1_3repE0EEENS1_30default_config_static_selectorELNS0_4arch9wavefront6targetE1EEEvT1_
    .private_segment_fixed_size: 0
    .sgpr_count:     6
    .sgpr_spill_count: 0
    .symbol:         _ZN7rocprim17ROCPRIM_400000_NS6detail17trampoline_kernelINS0_14default_configENS1_20scan_config_selectorIlEEZZNS1_9scan_implILNS1_25lookback_scan_determinismE0ELb0ELb0ES3_PlS8_lN6thrust23THRUST_200600_302600_NS4plusIvEElEEDaPvRmT3_T4_T5_mT6_P12ihipStream_tbENKUlT_T0_E_clISt17integral_constantIbLb1EESQ_EEDaSL_SM_EUlSL_E0_NS1_11comp_targetILNS1_3genE10ELNS1_11target_archE1200ELNS1_3gpuE4ELNS1_3repE0EEENS1_30default_config_static_selectorELNS0_4arch9wavefront6targetE1EEEvT1_.kd
    .uniform_work_group_size: 1
    .uses_dynamic_stack: false
    .vgpr_count:     0
    .vgpr_spill_count: 0
    .wavefront_size: 64
  - .agpr_count:     0
    .args:
      - .offset:         0
        .size:           40
        .value_kind:     by_value
    .group_segment_fixed_size: 0
    .kernarg_segment_align: 8
    .kernarg_segment_size: 40
    .language:       OpenCL C
    .language_version:
      - 2
      - 0
    .max_flat_workgroup_size: 256
    .name:           _ZN7rocprim17ROCPRIM_400000_NS6detail17trampoline_kernelINS0_14default_configENS1_20scan_config_selectorIlEEZZNS1_9scan_implILNS1_25lookback_scan_determinismE0ELb0ELb0ES3_PlS8_lN6thrust23THRUST_200600_302600_NS4plusIvEElEEDaPvRmT3_T4_T5_mT6_P12ihipStream_tbENKUlT_T0_E_clISt17integral_constantIbLb1EESQ_EEDaSL_SM_EUlSL_E0_NS1_11comp_targetILNS1_3genE9ELNS1_11target_archE1100ELNS1_3gpuE3ELNS1_3repE0EEENS1_30default_config_static_selectorELNS0_4arch9wavefront6targetE1EEEvT1_
    .private_segment_fixed_size: 0
    .sgpr_count:     6
    .sgpr_spill_count: 0
    .symbol:         _ZN7rocprim17ROCPRIM_400000_NS6detail17trampoline_kernelINS0_14default_configENS1_20scan_config_selectorIlEEZZNS1_9scan_implILNS1_25lookback_scan_determinismE0ELb0ELb0ES3_PlS8_lN6thrust23THRUST_200600_302600_NS4plusIvEElEEDaPvRmT3_T4_T5_mT6_P12ihipStream_tbENKUlT_T0_E_clISt17integral_constantIbLb1EESQ_EEDaSL_SM_EUlSL_E0_NS1_11comp_targetILNS1_3genE9ELNS1_11target_archE1100ELNS1_3gpuE3ELNS1_3repE0EEENS1_30default_config_static_selectorELNS0_4arch9wavefront6targetE1EEEvT1_.kd
    .uniform_work_group_size: 1
    .uses_dynamic_stack: false
    .vgpr_count:     0
    .vgpr_spill_count: 0
    .wavefront_size: 64
  - .agpr_count:     0
    .args:
      - .offset:         0
        .size:           40
        .value_kind:     by_value
    .group_segment_fixed_size: 0
    .kernarg_segment_align: 8
    .kernarg_segment_size: 40
    .language:       OpenCL C
    .language_version:
      - 2
      - 0
    .max_flat_workgroup_size: 256
    .name:           _ZN7rocprim17ROCPRIM_400000_NS6detail17trampoline_kernelINS0_14default_configENS1_20scan_config_selectorIlEEZZNS1_9scan_implILNS1_25lookback_scan_determinismE0ELb0ELb0ES3_PlS8_lN6thrust23THRUST_200600_302600_NS4plusIvEElEEDaPvRmT3_T4_T5_mT6_P12ihipStream_tbENKUlT_T0_E_clISt17integral_constantIbLb1EESQ_EEDaSL_SM_EUlSL_E0_NS1_11comp_targetILNS1_3genE8ELNS1_11target_archE1030ELNS1_3gpuE2ELNS1_3repE0EEENS1_30default_config_static_selectorELNS0_4arch9wavefront6targetE1EEEvT1_
    .private_segment_fixed_size: 0
    .sgpr_count:     6
    .sgpr_spill_count: 0
    .symbol:         _ZN7rocprim17ROCPRIM_400000_NS6detail17trampoline_kernelINS0_14default_configENS1_20scan_config_selectorIlEEZZNS1_9scan_implILNS1_25lookback_scan_determinismE0ELb0ELb0ES3_PlS8_lN6thrust23THRUST_200600_302600_NS4plusIvEElEEDaPvRmT3_T4_T5_mT6_P12ihipStream_tbENKUlT_T0_E_clISt17integral_constantIbLb1EESQ_EEDaSL_SM_EUlSL_E0_NS1_11comp_targetILNS1_3genE8ELNS1_11target_archE1030ELNS1_3gpuE2ELNS1_3repE0EEENS1_30default_config_static_selectorELNS0_4arch9wavefront6targetE1EEEvT1_.kd
    .uniform_work_group_size: 1
    .uses_dynamic_stack: false
    .vgpr_count:     0
    .vgpr_spill_count: 0
    .wavefront_size: 64
  - .agpr_count:     0
    .args:
      - .address_space:  global
        .offset:         0
        .size:           8
        .value_kind:     global_buffer
      - .offset:         8
        .size:           4
        .value_kind:     by_value
      - .offset:         12
        .size:           1
        .value_kind:     by_value
      - .offset:         16
        .size:           4
        .value_kind:     by_value
      - .address_space:  global
        .offset:         24
        .size:           8
        .value_kind:     global_buffer
      - .offset:         32
        .size:           4
        .value_kind:     hidden_block_count_x
      - .offset:         36
        .size:           4
        .value_kind:     hidden_block_count_y
      - .offset:         40
        .size:           4
        .value_kind:     hidden_block_count_z
      - .offset:         44
        .size:           2
        .value_kind:     hidden_group_size_x
      - .offset:         46
        .size:           2
        .value_kind:     hidden_group_size_y
      - .offset:         48
        .size:           2
        .value_kind:     hidden_group_size_z
      - .offset:         50
        .size:           2
        .value_kind:     hidden_remainder_x
      - .offset:         52
        .size:           2
        .value_kind:     hidden_remainder_y
      - .offset:         54
        .size:           2
        .value_kind:     hidden_remainder_z
      - .offset:         72
        .size:           8
        .value_kind:     hidden_global_offset_x
      - .offset:         80
        .size:           8
        .value_kind:     hidden_global_offset_y
      - .offset:         88
        .size:           8
        .value_kind:     hidden_global_offset_z
      - .offset:         96
        .size:           2
        .value_kind:     hidden_grid_dims
    .group_segment_fixed_size: 0
    .kernarg_segment_align: 8
    .kernarg_segment_size: 288
    .language:       OpenCL C
    .language_version:
      - 2
      - 0
    .max_flat_workgroup_size: 256
    .name:           _ZN7rocprim17ROCPRIM_400000_NS6detail31init_lookback_scan_state_kernelINS1_19lookback_scan_stateIlLb1ELb1EEENS1_16block_id_wrapperIjLb0EEEEEvT_jT0_jPNS7_10value_typeE
    .private_segment_fixed_size: 0
    .sgpr_count:     20
    .sgpr_spill_count: 0
    .symbol:         _ZN7rocprim17ROCPRIM_400000_NS6detail31init_lookback_scan_state_kernelINS1_19lookback_scan_stateIlLb1ELb1EEENS1_16block_id_wrapperIjLb0EEEEEvT_jT0_jPNS7_10value_typeE.kd
    .uniform_work_group_size: 1
    .uses_dynamic_stack: false
    .vgpr_count:     10
    .vgpr_spill_count: 0
    .wavefront_size: 64
  - .agpr_count:     0
    .args:
      - .offset:         0
        .size:           104
        .value_kind:     by_value
    .group_segment_fixed_size: 0
    .kernarg_segment_align: 8
    .kernarg_segment_size: 104
    .language:       OpenCL C
    .language_version:
      - 2
      - 0
    .max_flat_workgroup_size: 256
    .name:           _ZN7rocprim17ROCPRIM_400000_NS6detail17trampoline_kernelINS0_14default_configENS1_20scan_config_selectorIlEEZZNS1_9scan_implILNS1_25lookback_scan_determinismE0ELb0ELb0ES3_PlS8_lN6thrust23THRUST_200600_302600_NS4plusIvEElEEDaPvRmT3_T4_T5_mT6_P12ihipStream_tbENKUlT_T0_E_clISt17integral_constantIbLb1EESP_IbLb0EEEEDaSL_SM_EUlSL_E_NS1_11comp_targetILNS1_3genE0ELNS1_11target_archE4294967295ELNS1_3gpuE0ELNS1_3repE0EEENS1_30default_config_static_selectorELNS0_4arch9wavefront6targetE1EEEvT1_
    .private_segment_fixed_size: 0
    .sgpr_count:     6
    .sgpr_spill_count: 0
    .symbol:         _ZN7rocprim17ROCPRIM_400000_NS6detail17trampoline_kernelINS0_14default_configENS1_20scan_config_selectorIlEEZZNS1_9scan_implILNS1_25lookback_scan_determinismE0ELb0ELb0ES3_PlS8_lN6thrust23THRUST_200600_302600_NS4plusIvEElEEDaPvRmT3_T4_T5_mT6_P12ihipStream_tbENKUlT_T0_E_clISt17integral_constantIbLb1EESP_IbLb0EEEEDaSL_SM_EUlSL_E_NS1_11comp_targetILNS1_3genE0ELNS1_11target_archE4294967295ELNS1_3gpuE0ELNS1_3repE0EEENS1_30default_config_static_selectorELNS0_4arch9wavefront6targetE1EEEvT1_.kd
    .uniform_work_group_size: 1
    .uses_dynamic_stack: false
    .vgpr_count:     0
    .vgpr_spill_count: 0
    .wavefront_size: 64
  - .agpr_count:     0
    .args:
      - .offset:         0
        .size:           104
        .value_kind:     by_value
    .group_segment_fixed_size: 30720
    .kernarg_segment_align: 8
    .kernarg_segment_size: 104
    .language:       OpenCL C
    .language_version:
      - 2
      - 0
    .max_flat_workgroup_size: 256
    .name:           _ZN7rocprim17ROCPRIM_400000_NS6detail17trampoline_kernelINS0_14default_configENS1_20scan_config_selectorIlEEZZNS1_9scan_implILNS1_25lookback_scan_determinismE0ELb0ELb0ES3_PlS8_lN6thrust23THRUST_200600_302600_NS4plusIvEElEEDaPvRmT3_T4_T5_mT6_P12ihipStream_tbENKUlT_T0_E_clISt17integral_constantIbLb1EESP_IbLb0EEEEDaSL_SM_EUlSL_E_NS1_11comp_targetILNS1_3genE5ELNS1_11target_archE942ELNS1_3gpuE9ELNS1_3repE0EEENS1_30default_config_static_selectorELNS0_4arch9wavefront6targetE1EEEvT1_
    .private_segment_fixed_size: 0
    .sgpr_count:     74
    .sgpr_spill_count: 0
    .symbol:         _ZN7rocprim17ROCPRIM_400000_NS6detail17trampoline_kernelINS0_14default_configENS1_20scan_config_selectorIlEEZZNS1_9scan_implILNS1_25lookback_scan_determinismE0ELb0ELb0ES3_PlS8_lN6thrust23THRUST_200600_302600_NS4plusIvEElEEDaPvRmT3_T4_T5_mT6_P12ihipStream_tbENKUlT_T0_E_clISt17integral_constantIbLb1EESP_IbLb0EEEEDaSL_SM_EUlSL_E_NS1_11comp_targetILNS1_3genE5ELNS1_11target_archE942ELNS1_3gpuE9ELNS1_3repE0EEENS1_30default_config_static_selectorELNS0_4arch9wavefront6targetE1EEEvT1_.kd
    .uniform_work_group_size: 1
    .uses_dynamic_stack: false
    .vgpr_count:     78
    .vgpr_spill_count: 0
    .wavefront_size: 64
  - .agpr_count:     0
    .args:
      - .offset:         0
        .size:           104
        .value_kind:     by_value
    .group_segment_fixed_size: 0
    .kernarg_segment_align: 8
    .kernarg_segment_size: 104
    .language:       OpenCL C
    .language_version:
      - 2
      - 0
    .max_flat_workgroup_size: 128
    .name:           _ZN7rocprim17ROCPRIM_400000_NS6detail17trampoline_kernelINS0_14default_configENS1_20scan_config_selectorIlEEZZNS1_9scan_implILNS1_25lookback_scan_determinismE0ELb0ELb0ES3_PlS8_lN6thrust23THRUST_200600_302600_NS4plusIvEElEEDaPvRmT3_T4_T5_mT6_P12ihipStream_tbENKUlT_T0_E_clISt17integral_constantIbLb1EESP_IbLb0EEEEDaSL_SM_EUlSL_E_NS1_11comp_targetILNS1_3genE4ELNS1_11target_archE910ELNS1_3gpuE8ELNS1_3repE0EEENS1_30default_config_static_selectorELNS0_4arch9wavefront6targetE1EEEvT1_
    .private_segment_fixed_size: 0
    .sgpr_count:     6
    .sgpr_spill_count: 0
    .symbol:         _ZN7rocprim17ROCPRIM_400000_NS6detail17trampoline_kernelINS0_14default_configENS1_20scan_config_selectorIlEEZZNS1_9scan_implILNS1_25lookback_scan_determinismE0ELb0ELb0ES3_PlS8_lN6thrust23THRUST_200600_302600_NS4plusIvEElEEDaPvRmT3_T4_T5_mT6_P12ihipStream_tbENKUlT_T0_E_clISt17integral_constantIbLb1EESP_IbLb0EEEEDaSL_SM_EUlSL_E_NS1_11comp_targetILNS1_3genE4ELNS1_11target_archE910ELNS1_3gpuE8ELNS1_3repE0EEENS1_30default_config_static_selectorELNS0_4arch9wavefront6targetE1EEEvT1_.kd
    .uniform_work_group_size: 1
    .uses_dynamic_stack: false
    .vgpr_count:     0
    .vgpr_spill_count: 0
    .wavefront_size: 64
  - .agpr_count:     0
    .args:
      - .offset:         0
        .size:           104
        .value_kind:     by_value
    .group_segment_fixed_size: 0
    .kernarg_segment_align: 8
    .kernarg_segment_size: 104
    .language:       OpenCL C
    .language_version:
      - 2
      - 0
    .max_flat_workgroup_size: 256
    .name:           _ZN7rocprim17ROCPRIM_400000_NS6detail17trampoline_kernelINS0_14default_configENS1_20scan_config_selectorIlEEZZNS1_9scan_implILNS1_25lookback_scan_determinismE0ELb0ELb0ES3_PlS8_lN6thrust23THRUST_200600_302600_NS4plusIvEElEEDaPvRmT3_T4_T5_mT6_P12ihipStream_tbENKUlT_T0_E_clISt17integral_constantIbLb1EESP_IbLb0EEEEDaSL_SM_EUlSL_E_NS1_11comp_targetILNS1_3genE3ELNS1_11target_archE908ELNS1_3gpuE7ELNS1_3repE0EEENS1_30default_config_static_selectorELNS0_4arch9wavefront6targetE1EEEvT1_
    .private_segment_fixed_size: 0
    .sgpr_count:     6
    .sgpr_spill_count: 0
    .symbol:         _ZN7rocprim17ROCPRIM_400000_NS6detail17trampoline_kernelINS0_14default_configENS1_20scan_config_selectorIlEEZZNS1_9scan_implILNS1_25lookback_scan_determinismE0ELb0ELb0ES3_PlS8_lN6thrust23THRUST_200600_302600_NS4plusIvEElEEDaPvRmT3_T4_T5_mT6_P12ihipStream_tbENKUlT_T0_E_clISt17integral_constantIbLb1EESP_IbLb0EEEEDaSL_SM_EUlSL_E_NS1_11comp_targetILNS1_3genE3ELNS1_11target_archE908ELNS1_3gpuE7ELNS1_3repE0EEENS1_30default_config_static_selectorELNS0_4arch9wavefront6targetE1EEEvT1_.kd
    .uniform_work_group_size: 1
    .uses_dynamic_stack: false
    .vgpr_count:     0
    .vgpr_spill_count: 0
    .wavefront_size: 64
  - .agpr_count:     0
    .args:
      - .offset:         0
        .size:           104
        .value_kind:     by_value
    .group_segment_fixed_size: 0
    .kernarg_segment_align: 8
    .kernarg_segment_size: 104
    .language:       OpenCL C
    .language_version:
      - 2
      - 0
    .max_flat_workgroup_size: 64
    .name:           _ZN7rocprim17ROCPRIM_400000_NS6detail17trampoline_kernelINS0_14default_configENS1_20scan_config_selectorIlEEZZNS1_9scan_implILNS1_25lookback_scan_determinismE0ELb0ELb0ES3_PlS8_lN6thrust23THRUST_200600_302600_NS4plusIvEElEEDaPvRmT3_T4_T5_mT6_P12ihipStream_tbENKUlT_T0_E_clISt17integral_constantIbLb1EESP_IbLb0EEEEDaSL_SM_EUlSL_E_NS1_11comp_targetILNS1_3genE2ELNS1_11target_archE906ELNS1_3gpuE6ELNS1_3repE0EEENS1_30default_config_static_selectorELNS0_4arch9wavefront6targetE1EEEvT1_
    .private_segment_fixed_size: 0
    .sgpr_count:     6
    .sgpr_spill_count: 0
    .symbol:         _ZN7rocprim17ROCPRIM_400000_NS6detail17trampoline_kernelINS0_14default_configENS1_20scan_config_selectorIlEEZZNS1_9scan_implILNS1_25lookback_scan_determinismE0ELb0ELb0ES3_PlS8_lN6thrust23THRUST_200600_302600_NS4plusIvEElEEDaPvRmT3_T4_T5_mT6_P12ihipStream_tbENKUlT_T0_E_clISt17integral_constantIbLb1EESP_IbLb0EEEEDaSL_SM_EUlSL_E_NS1_11comp_targetILNS1_3genE2ELNS1_11target_archE906ELNS1_3gpuE6ELNS1_3repE0EEENS1_30default_config_static_selectorELNS0_4arch9wavefront6targetE1EEEvT1_.kd
    .uniform_work_group_size: 1
    .uses_dynamic_stack: false
    .vgpr_count:     0
    .vgpr_spill_count: 0
    .wavefront_size: 64
  - .agpr_count:     0
    .args:
      - .offset:         0
        .size:           104
        .value_kind:     by_value
    .group_segment_fixed_size: 0
    .kernarg_segment_align: 8
    .kernarg_segment_size: 104
    .language:       OpenCL C
    .language_version:
      - 2
      - 0
    .max_flat_workgroup_size: 256
    .name:           _ZN7rocprim17ROCPRIM_400000_NS6detail17trampoline_kernelINS0_14default_configENS1_20scan_config_selectorIlEEZZNS1_9scan_implILNS1_25lookback_scan_determinismE0ELb0ELb0ES3_PlS8_lN6thrust23THRUST_200600_302600_NS4plusIvEElEEDaPvRmT3_T4_T5_mT6_P12ihipStream_tbENKUlT_T0_E_clISt17integral_constantIbLb1EESP_IbLb0EEEEDaSL_SM_EUlSL_E_NS1_11comp_targetILNS1_3genE10ELNS1_11target_archE1201ELNS1_3gpuE5ELNS1_3repE0EEENS1_30default_config_static_selectorELNS0_4arch9wavefront6targetE1EEEvT1_
    .private_segment_fixed_size: 0
    .sgpr_count:     6
    .sgpr_spill_count: 0
    .symbol:         _ZN7rocprim17ROCPRIM_400000_NS6detail17trampoline_kernelINS0_14default_configENS1_20scan_config_selectorIlEEZZNS1_9scan_implILNS1_25lookback_scan_determinismE0ELb0ELb0ES3_PlS8_lN6thrust23THRUST_200600_302600_NS4plusIvEElEEDaPvRmT3_T4_T5_mT6_P12ihipStream_tbENKUlT_T0_E_clISt17integral_constantIbLb1EESP_IbLb0EEEEDaSL_SM_EUlSL_E_NS1_11comp_targetILNS1_3genE10ELNS1_11target_archE1201ELNS1_3gpuE5ELNS1_3repE0EEENS1_30default_config_static_selectorELNS0_4arch9wavefront6targetE1EEEvT1_.kd
    .uniform_work_group_size: 1
    .uses_dynamic_stack: false
    .vgpr_count:     0
    .vgpr_spill_count: 0
    .wavefront_size: 64
  - .agpr_count:     0
    .args:
      - .offset:         0
        .size:           104
        .value_kind:     by_value
    .group_segment_fixed_size: 0
    .kernarg_segment_align: 8
    .kernarg_segment_size: 104
    .language:       OpenCL C
    .language_version:
      - 2
      - 0
    .max_flat_workgroup_size: 256
    .name:           _ZN7rocprim17ROCPRIM_400000_NS6detail17trampoline_kernelINS0_14default_configENS1_20scan_config_selectorIlEEZZNS1_9scan_implILNS1_25lookback_scan_determinismE0ELb0ELb0ES3_PlS8_lN6thrust23THRUST_200600_302600_NS4plusIvEElEEDaPvRmT3_T4_T5_mT6_P12ihipStream_tbENKUlT_T0_E_clISt17integral_constantIbLb1EESP_IbLb0EEEEDaSL_SM_EUlSL_E_NS1_11comp_targetILNS1_3genE10ELNS1_11target_archE1200ELNS1_3gpuE4ELNS1_3repE0EEENS1_30default_config_static_selectorELNS0_4arch9wavefront6targetE1EEEvT1_
    .private_segment_fixed_size: 0
    .sgpr_count:     6
    .sgpr_spill_count: 0
    .symbol:         _ZN7rocprim17ROCPRIM_400000_NS6detail17trampoline_kernelINS0_14default_configENS1_20scan_config_selectorIlEEZZNS1_9scan_implILNS1_25lookback_scan_determinismE0ELb0ELb0ES3_PlS8_lN6thrust23THRUST_200600_302600_NS4plusIvEElEEDaPvRmT3_T4_T5_mT6_P12ihipStream_tbENKUlT_T0_E_clISt17integral_constantIbLb1EESP_IbLb0EEEEDaSL_SM_EUlSL_E_NS1_11comp_targetILNS1_3genE10ELNS1_11target_archE1200ELNS1_3gpuE4ELNS1_3repE0EEENS1_30default_config_static_selectorELNS0_4arch9wavefront6targetE1EEEvT1_.kd
    .uniform_work_group_size: 1
    .uses_dynamic_stack: false
    .vgpr_count:     0
    .vgpr_spill_count: 0
    .wavefront_size: 64
  - .agpr_count:     0
    .args:
      - .offset:         0
        .size:           104
        .value_kind:     by_value
    .group_segment_fixed_size: 0
    .kernarg_segment_align: 8
    .kernarg_segment_size: 104
    .language:       OpenCL C
    .language_version:
      - 2
      - 0
    .max_flat_workgroup_size: 256
    .name:           _ZN7rocprim17ROCPRIM_400000_NS6detail17trampoline_kernelINS0_14default_configENS1_20scan_config_selectorIlEEZZNS1_9scan_implILNS1_25lookback_scan_determinismE0ELb0ELb0ES3_PlS8_lN6thrust23THRUST_200600_302600_NS4plusIvEElEEDaPvRmT3_T4_T5_mT6_P12ihipStream_tbENKUlT_T0_E_clISt17integral_constantIbLb1EESP_IbLb0EEEEDaSL_SM_EUlSL_E_NS1_11comp_targetILNS1_3genE9ELNS1_11target_archE1100ELNS1_3gpuE3ELNS1_3repE0EEENS1_30default_config_static_selectorELNS0_4arch9wavefront6targetE1EEEvT1_
    .private_segment_fixed_size: 0
    .sgpr_count:     6
    .sgpr_spill_count: 0
    .symbol:         _ZN7rocprim17ROCPRIM_400000_NS6detail17trampoline_kernelINS0_14default_configENS1_20scan_config_selectorIlEEZZNS1_9scan_implILNS1_25lookback_scan_determinismE0ELb0ELb0ES3_PlS8_lN6thrust23THRUST_200600_302600_NS4plusIvEElEEDaPvRmT3_T4_T5_mT6_P12ihipStream_tbENKUlT_T0_E_clISt17integral_constantIbLb1EESP_IbLb0EEEEDaSL_SM_EUlSL_E_NS1_11comp_targetILNS1_3genE9ELNS1_11target_archE1100ELNS1_3gpuE3ELNS1_3repE0EEENS1_30default_config_static_selectorELNS0_4arch9wavefront6targetE1EEEvT1_.kd
    .uniform_work_group_size: 1
    .uses_dynamic_stack: false
    .vgpr_count:     0
    .vgpr_spill_count: 0
    .wavefront_size: 64
  - .agpr_count:     0
    .args:
      - .offset:         0
        .size:           104
        .value_kind:     by_value
    .group_segment_fixed_size: 0
    .kernarg_segment_align: 8
    .kernarg_segment_size: 104
    .language:       OpenCL C
    .language_version:
      - 2
      - 0
    .max_flat_workgroup_size: 256
    .name:           _ZN7rocprim17ROCPRIM_400000_NS6detail17trampoline_kernelINS0_14default_configENS1_20scan_config_selectorIlEEZZNS1_9scan_implILNS1_25lookback_scan_determinismE0ELb0ELb0ES3_PlS8_lN6thrust23THRUST_200600_302600_NS4plusIvEElEEDaPvRmT3_T4_T5_mT6_P12ihipStream_tbENKUlT_T0_E_clISt17integral_constantIbLb1EESP_IbLb0EEEEDaSL_SM_EUlSL_E_NS1_11comp_targetILNS1_3genE8ELNS1_11target_archE1030ELNS1_3gpuE2ELNS1_3repE0EEENS1_30default_config_static_selectorELNS0_4arch9wavefront6targetE1EEEvT1_
    .private_segment_fixed_size: 0
    .sgpr_count:     6
    .sgpr_spill_count: 0
    .symbol:         _ZN7rocprim17ROCPRIM_400000_NS6detail17trampoline_kernelINS0_14default_configENS1_20scan_config_selectorIlEEZZNS1_9scan_implILNS1_25lookback_scan_determinismE0ELb0ELb0ES3_PlS8_lN6thrust23THRUST_200600_302600_NS4plusIvEElEEDaPvRmT3_T4_T5_mT6_P12ihipStream_tbENKUlT_T0_E_clISt17integral_constantIbLb1EESP_IbLb0EEEEDaSL_SM_EUlSL_E_NS1_11comp_targetILNS1_3genE8ELNS1_11target_archE1030ELNS1_3gpuE2ELNS1_3repE0EEENS1_30default_config_static_selectorELNS0_4arch9wavefront6targetE1EEEvT1_.kd
    .uniform_work_group_size: 1
    .uses_dynamic_stack: false
    .vgpr_count:     0
    .vgpr_spill_count: 0
    .wavefront_size: 64
  - .agpr_count:     0
    .args:
      - .offset:         0
        .size:           40
        .value_kind:     by_value
    .group_segment_fixed_size: 0
    .kernarg_segment_align: 8
    .kernarg_segment_size: 40
    .language:       OpenCL C
    .language_version:
      - 2
      - 0
    .max_flat_workgroup_size: 256
    .name:           _ZN7rocprim17ROCPRIM_400000_NS6detail17trampoline_kernelINS0_14default_configENS1_20scan_config_selectorIlEEZZNS1_9scan_implILNS1_25lookback_scan_determinismE0ELb0ELb0ES3_PlS8_lN6thrust23THRUST_200600_302600_NS4plusIvEElEEDaPvRmT3_T4_T5_mT6_P12ihipStream_tbENKUlT_T0_E_clISt17integral_constantIbLb1EESP_IbLb0EEEEDaSL_SM_EUlSL_E0_NS1_11comp_targetILNS1_3genE0ELNS1_11target_archE4294967295ELNS1_3gpuE0ELNS1_3repE0EEENS1_30default_config_static_selectorELNS0_4arch9wavefront6targetE1EEEvT1_
    .private_segment_fixed_size: 0
    .sgpr_count:     6
    .sgpr_spill_count: 0
    .symbol:         _ZN7rocprim17ROCPRIM_400000_NS6detail17trampoline_kernelINS0_14default_configENS1_20scan_config_selectorIlEEZZNS1_9scan_implILNS1_25lookback_scan_determinismE0ELb0ELb0ES3_PlS8_lN6thrust23THRUST_200600_302600_NS4plusIvEElEEDaPvRmT3_T4_T5_mT6_P12ihipStream_tbENKUlT_T0_E_clISt17integral_constantIbLb1EESP_IbLb0EEEEDaSL_SM_EUlSL_E0_NS1_11comp_targetILNS1_3genE0ELNS1_11target_archE4294967295ELNS1_3gpuE0ELNS1_3repE0EEENS1_30default_config_static_selectorELNS0_4arch9wavefront6targetE1EEEvT1_.kd
    .uniform_work_group_size: 1
    .uses_dynamic_stack: false
    .vgpr_count:     0
    .vgpr_spill_count: 0
    .wavefront_size: 64
  - .agpr_count:     0
    .args:
      - .offset:         0
        .size:           40
        .value_kind:     by_value
    .group_segment_fixed_size: 30720
    .kernarg_segment_align: 8
    .kernarg_segment_size: 40
    .language:       OpenCL C
    .language_version:
      - 2
      - 0
    .max_flat_workgroup_size: 256
    .name:           _ZN7rocprim17ROCPRIM_400000_NS6detail17trampoline_kernelINS0_14default_configENS1_20scan_config_selectorIlEEZZNS1_9scan_implILNS1_25lookback_scan_determinismE0ELb0ELb0ES3_PlS8_lN6thrust23THRUST_200600_302600_NS4plusIvEElEEDaPvRmT3_T4_T5_mT6_P12ihipStream_tbENKUlT_T0_E_clISt17integral_constantIbLb1EESP_IbLb0EEEEDaSL_SM_EUlSL_E0_NS1_11comp_targetILNS1_3genE5ELNS1_11target_archE942ELNS1_3gpuE9ELNS1_3repE0EEENS1_30default_config_static_selectorELNS0_4arch9wavefront6targetE1EEEvT1_
    .private_segment_fixed_size: 0
    .sgpr_count:     46
    .sgpr_spill_count: 0
    .symbol:         _ZN7rocprim17ROCPRIM_400000_NS6detail17trampoline_kernelINS0_14default_configENS1_20scan_config_selectorIlEEZZNS1_9scan_implILNS1_25lookback_scan_determinismE0ELb0ELb0ES3_PlS8_lN6thrust23THRUST_200600_302600_NS4plusIvEElEEDaPvRmT3_T4_T5_mT6_P12ihipStream_tbENKUlT_T0_E_clISt17integral_constantIbLb1EESP_IbLb0EEEEDaSL_SM_EUlSL_E0_NS1_11comp_targetILNS1_3genE5ELNS1_11target_archE942ELNS1_3gpuE9ELNS1_3repE0EEENS1_30default_config_static_selectorELNS0_4arch9wavefront6targetE1EEEvT1_.kd
    .uniform_work_group_size: 1
    .uses_dynamic_stack: false
    .vgpr_count:     73
    .vgpr_spill_count: 0
    .wavefront_size: 64
  - .agpr_count:     0
    .args:
      - .offset:         0
        .size:           40
        .value_kind:     by_value
    .group_segment_fixed_size: 0
    .kernarg_segment_align: 8
    .kernarg_segment_size: 40
    .language:       OpenCL C
    .language_version:
      - 2
      - 0
    .max_flat_workgroup_size: 128
    .name:           _ZN7rocprim17ROCPRIM_400000_NS6detail17trampoline_kernelINS0_14default_configENS1_20scan_config_selectorIlEEZZNS1_9scan_implILNS1_25lookback_scan_determinismE0ELb0ELb0ES3_PlS8_lN6thrust23THRUST_200600_302600_NS4plusIvEElEEDaPvRmT3_T4_T5_mT6_P12ihipStream_tbENKUlT_T0_E_clISt17integral_constantIbLb1EESP_IbLb0EEEEDaSL_SM_EUlSL_E0_NS1_11comp_targetILNS1_3genE4ELNS1_11target_archE910ELNS1_3gpuE8ELNS1_3repE0EEENS1_30default_config_static_selectorELNS0_4arch9wavefront6targetE1EEEvT1_
    .private_segment_fixed_size: 0
    .sgpr_count:     6
    .sgpr_spill_count: 0
    .symbol:         _ZN7rocprim17ROCPRIM_400000_NS6detail17trampoline_kernelINS0_14default_configENS1_20scan_config_selectorIlEEZZNS1_9scan_implILNS1_25lookback_scan_determinismE0ELb0ELb0ES3_PlS8_lN6thrust23THRUST_200600_302600_NS4plusIvEElEEDaPvRmT3_T4_T5_mT6_P12ihipStream_tbENKUlT_T0_E_clISt17integral_constantIbLb1EESP_IbLb0EEEEDaSL_SM_EUlSL_E0_NS1_11comp_targetILNS1_3genE4ELNS1_11target_archE910ELNS1_3gpuE8ELNS1_3repE0EEENS1_30default_config_static_selectorELNS0_4arch9wavefront6targetE1EEEvT1_.kd
    .uniform_work_group_size: 1
    .uses_dynamic_stack: false
    .vgpr_count:     0
    .vgpr_spill_count: 0
    .wavefront_size: 64
  - .agpr_count:     0
    .args:
      - .offset:         0
        .size:           40
        .value_kind:     by_value
    .group_segment_fixed_size: 0
    .kernarg_segment_align: 8
    .kernarg_segment_size: 40
    .language:       OpenCL C
    .language_version:
      - 2
      - 0
    .max_flat_workgroup_size: 256
    .name:           _ZN7rocprim17ROCPRIM_400000_NS6detail17trampoline_kernelINS0_14default_configENS1_20scan_config_selectorIlEEZZNS1_9scan_implILNS1_25lookback_scan_determinismE0ELb0ELb0ES3_PlS8_lN6thrust23THRUST_200600_302600_NS4plusIvEElEEDaPvRmT3_T4_T5_mT6_P12ihipStream_tbENKUlT_T0_E_clISt17integral_constantIbLb1EESP_IbLb0EEEEDaSL_SM_EUlSL_E0_NS1_11comp_targetILNS1_3genE3ELNS1_11target_archE908ELNS1_3gpuE7ELNS1_3repE0EEENS1_30default_config_static_selectorELNS0_4arch9wavefront6targetE1EEEvT1_
    .private_segment_fixed_size: 0
    .sgpr_count:     6
    .sgpr_spill_count: 0
    .symbol:         _ZN7rocprim17ROCPRIM_400000_NS6detail17trampoline_kernelINS0_14default_configENS1_20scan_config_selectorIlEEZZNS1_9scan_implILNS1_25lookback_scan_determinismE0ELb0ELb0ES3_PlS8_lN6thrust23THRUST_200600_302600_NS4plusIvEElEEDaPvRmT3_T4_T5_mT6_P12ihipStream_tbENKUlT_T0_E_clISt17integral_constantIbLb1EESP_IbLb0EEEEDaSL_SM_EUlSL_E0_NS1_11comp_targetILNS1_3genE3ELNS1_11target_archE908ELNS1_3gpuE7ELNS1_3repE0EEENS1_30default_config_static_selectorELNS0_4arch9wavefront6targetE1EEEvT1_.kd
    .uniform_work_group_size: 1
    .uses_dynamic_stack: false
    .vgpr_count:     0
    .vgpr_spill_count: 0
    .wavefront_size: 64
  - .agpr_count:     0
    .args:
      - .offset:         0
        .size:           40
        .value_kind:     by_value
    .group_segment_fixed_size: 0
    .kernarg_segment_align: 8
    .kernarg_segment_size: 40
    .language:       OpenCL C
    .language_version:
      - 2
      - 0
    .max_flat_workgroup_size: 64
    .name:           _ZN7rocprim17ROCPRIM_400000_NS6detail17trampoline_kernelINS0_14default_configENS1_20scan_config_selectorIlEEZZNS1_9scan_implILNS1_25lookback_scan_determinismE0ELb0ELb0ES3_PlS8_lN6thrust23THRUST_200600_302600_NS4plusIvEElEEDaPvRmT3_T4_T5_mT6_P12ihipStream_tbENKUlT_T0_E_clISt17integral_constantIbLb1EESP_IbLb0EEEEDaSL_SM_EUlSL_E0_NS1_11comp_targetILNS1_3genE2ELNS1_11target_archE906ELNS1_3gpuE6ELNS1_3repE0EEENS1_30default_config_static_selectorELNS0_4arch9wavefront6targetE1EEEvT1_
    .private_segment_fixed_size: 0
    .sgpr_count:     6
    .sgpr_spill_count: 0
    .symbol:         _ZN7rocprim17ROCPRIM_400000_NS6detail17trampoline_kernelINS0_14default_configENS1_20scan_config_selectorIlEEZZNS1_9scan_implILNS1_25lookback_scan_determinismE0ELb0ELb0ES3_PlS8_lN6thrust23THRUST_200600_302600_NS4plusIvEElEEDaPvRmT3_T4_T5_mT6_P12ihipStream_tbENKUlT_T0_E_clISt17integral_constantIbLb1EESP_IbLb0EEEEDaSL_SM_EUlSL_E0_NS1_11comp_targetILNS1_3genE2ELNS1_11target_archE906ELNS1_3gpuE6ELNS1_3repE0EEENS1_30default_config_static_selectorELNS0_4arch9wavefront6targetE1EEEvT1_.kd
    .uniform_work_group_size: 1
    .uses_dynamic_stack: false
    .vgpr_count:     0
    .vgpr_spill_count: 0
    .wavefront_size: 64
  - .agpr_count:     0
    .args:
      - .offset:         0
        .size:           40
        .value_kind:     by_value
    .group_segment_fixed_size: 0
    .kernarg_segment_align: 8
    .kernarg_segment_size: 40
    .language:       OpenCL C
    .language_version:
      - 2
      - 0
    .max_flat_workgroup_size: 256
    .name:           _ZN7rocprim17ROCPRIM_400000_NS6detail17trampoline_kernelINS0_14default_configENS1_20scan_config_selectorIlEEZZNS1_9scan_implILNS1_25lookback_scan_determinismE0ELb0ELb0ES3_PlS8_lN6thrust23THRUST_200600_302600_NS4plusIvEElEEDaPvRmT3_T4_T5_mT6_P12ihipStream_tbENKUlT_T0_E_clISt17integral_constantIbLb1EESP_IbLb0EEEEDaSL_SM_EUlSL_E0_NS1_11comp_targetILNS1_3genE10ELNS1_11target_archE1201ELNS1_3gpuE5ELNS1_3repE0EEENS1_30default_config_static_selectorELNS0_4arch9wavefront6targetE1EEEvT1_
    .private_segment_fixed_size: 0
    .sgpr_count:     6
    .sgpr_spill_count: 0
    .symbol:         _ZN7rocprim17ROCPRIM_400000_NS6detail17trampoline_kernelINS0_14default_configENS1_20scan_config_selectorIlEEZZNS1_9scan_implILNS1_25lookback_scan_determinismE0ELb0ELb0ES3_PlS8_lN6thrust23THRUST_200600_302600_NS4plusIvEElEEDaPvRmT3_T4_T5_mT6_P12ihipStream_tbENKUlT_T0_E_clISt17integral_constantIbLb1EESP_IbLb0EEEEDaSL_SM_EUlSL_E0_NS1_11comp_targetILNS1_3genE10ELNS1_11target_archE1201ELNS1_3gpuE5ELNS1_3repE0EEENS1_30default_config_static_selectorELNS0_4arch9wavefront6targetE1EEEvT1_.kd
    .uniform_work_group_size: 1
    .uses_dynamic_stack: false
    .vgpr_count:     0
    .vgpr_spill_count: 0
    .wavefront_size: 64
  - .agpr_count:     0
    .args:
      - .offset:         0
        .size:           40
        .value_kind:     by_value
    .group_segment_fixed_size: 0
    .kernarg_segment_align: 8
    .kernarg_segment_size: 40
    .language:       OpenCL C
    .language_version:
      - 2
      - 0
    .max_flat_workgroup_size: 256
    .name:           _ZN7rocprim17ROCPRIM_400000_NS6detail17trampoline_kernelINS0_14default_configENS1_20scan_config_selectorIlEEZZNS1_9scan_implILNS1_25lookback_scan_determinismE0ELb0ELb0ES3_PlS8_lN6thrust23THRUST_200600_302600_NS4plusIvEElEEDaPvRmT3_T4_T5_mT6_P12ihipStream_tbENKUlT_T0_E_clISt17integral_constantIbLb1EESP_IbLb0EEEEDaSL_SM_EUlSL_E0_NS1_11comp_targetILNS1_3genE10ELNS1_11target_archE1200ELNS1_3gpuE4ELNS1_3repE0EEENS1_30default_config_static_selectorELNS0_4arch9wavefront6targetE1EEEvT1_
    .private_segment_fixed_size: 0
    .sgpr_count:     6
    .sgpr_spill_count: 0
    .symbol:         _ZN7rocprim17ROCPRIM_400000_NS6detail17trampoline_kernelINS0_14default_configENS1_20scan_config_selectorIlEEZZNS1_9scan_implILNS1_25lookback_scan_determinismE0ELb0ELb0ES3_PlS8_lN6thrust23THRUST_200600_302600_NS4plusIvEElEEDaPvRmT3_T4_T5_mT6_P12ihipStream_tbENKUlT_T0_E_clISt17integral_constantIbLb1EESP_IbLb0EEEEDaSL_SM_EUlSL_E0_NS1_11comp_targetILNS1_3genE10ELNS1_11target_archE1200ELNS1_3gpuE4ELNS1_3repE0EEENS1_30default_config_static_selectorELNS0_4arch9wavefront6targetE1EEEvT1_.kd
    .uniform_work_group_size: 1
    .uses_dynamic_stack: false
    .vgpr_count:     0
    .vgpr_spill_count: 0
    .wavefront_size: 64
  - .agpr_count:     0
    .args:
      - .offset:         0
        .size:           40
        .value_kind:     by_value
    .group_segment_fixed_size: 0
    .kernarg_segment_align: 8
    .kernarg_segment_size: 40
    .language:       OpenCL C
    .language_version:
      - 2
      - 0
    .max_flat_workgroup_size: 256
    .name:           _ZN7rocprim17ROCPRIM_400000_NS6detail17trampoline_kernelINS0_14default_configENS1_20scan_config_selectorIlEEZZNS1_9scan_implILNS1_25lookback_scan_determinismE0ELb0ELb0ES3_PlS8_lN6thrust23THRUST_200600_302600_NS4plusIvEElEEDaPvRmT3_T4_T5_mT6_P12ihipStream_tbENKUlT_T0_E_clISt17integral_constantIbLb1EESP_IbLb0EEEEDaSL_SM_EUlSL_E0_NS1_11comp_targetILNS1_3genE9ELNS1_11target_archE1100ELNS1_3gpuE3ELNS1_3repE0EEENS1_30default_config_static_selectorELNS0_4arch9wavefront6targetE1EEEvT1_
    .private_segment_fixed_size: 0
    .sgpr_count:     6
    .sgpr_spill_count: 0
    .symbol:         _ZN7rocprim17ROCPRIM_400000_NS6detail17trampoline_kernelINS0_14default_configENS1_20scan_config_selectorIlEEZZNS1_9scan_implILNS1_25lookback_scan_determinismE0ELb0ELb0ES3_PlS8_lN6thrust23THRUST_200600_302600_NS4plusIvEElEEDaPvRmT3_T4_T5_mT6_P12ihipStream_tbENKUlT_T0_E_clISt17integral_constantIbLb1EESP_IbLb0EEEEDaSL_SM_EUlSL_E0_NS1_11comp_targetILNS1_3genE9ELNS1_11target_archE1100ELNS1_3gpuE3ELNS1_3repE0EEENS1_30default_config_static_selectorELNS0_4arch9wavefront6targetE1EEEvT1_.kd
    .uniform_work_group_size: 1
    .uses_dynamic_stack: false
    .vgpr_count:     0
    .vgpr_spill_count: 0
    .wavefront_size: 64
  - .agpr_count:     0
    .args:
      - .offset:         0
        .size:           40
        .value_kind:     by_value
    .group_segment_fixed_size: 0
    .kernarg_segment_align: 8
    .kernarg_segment_size: 40
    .language:       OpenCL C
    .language_version:
      - 2
      - 0
    .max_flat_workgroup_size: 256
    .name:           _ZN7rocprim17ROCPRIM_400000_NS6detail17trampoline_kernelINS0_14default_configENS1_20scan_config_selectorIlEEZZNS1_9scan_implILNS1_25lookback_scan_determinismE0ELb0ELb0ES3_PlS8_lN6thrust23THRUST_200600_302600_NS4plusIvEElEEDaPvRmT3_T4_T5_mT6_P12ihipStream_tbENKUlT_T0_E_clISt17integral_constantIbLb1EESP_IbLb0EEEEDaSL_SM_EUlSL_E0_NS1_11comp_targetILNS1_3genE8ELNS1_11target_archE1030ELNS1_3gpuE2ELNS1_3repE0EEENS1_30default_config_static_selectorELNS0_4arch9wavefront6targetE1EEEvT1_
    .private_segment_fixed_size: 0
    .sgpr_count:     6
    .sgpr_spill_count: 0
    .symbol:         _ZN7rocprim17ROCPRIM_400000_NS6detail17trampoline_kernelINS0_14default_configENS1_20scan_config_selectorIlEEZZNS1_9scan_implILNS1_25lookback_scan_determinismE0ELb0ELb0ES3_PlS8_lN6thrust23THRUST_200600_302600_NS4plusIvEElEEDaPvRmT3_T4_T5_mT6_P12ihipStream_tbENKUlT_T0_E_clISt17integral_constantIbLb1EESP_IbLb0EEEEDaSL_SM_EUlSL_E0_NS1_11comp_targetILNS1_3genE8ELNS1_11target_archE1030ELNS1_3gpuE2ELNS1_3repE0EEENS1_30default_config_static_selectorELNS0_4arch9wavefront6targetE1EEEvT1_.kd
    .uniform_work_group_size: 1
    .uses_dynamic_stack: false
    .vgpr_count:     0
    .vgpr_spill_count: 0
    .wavefront_size: 64
  - .agpr_count:     0
    .args:
      - .address_space:  global
        .offset:         0
        .size:           8
        .value_kind:     global_buffer
      - .offset:         8
        .size:           4
        .value_kind:     by_value
      - .address_space:  global
        .offset:         16
        .size:           8
        .value_kind:     global_buffer
      - .offset:         24
        .size:           4
        .value_kind:     by_value
      - .address_space:  global
        .offset:         32
        .size:           8
        .value_kind:     global_buffer
      - .offset:         40
        .size:           4
        .value_kind:     hidden_block_count_x
      - .offset:         44
        .size:           4
        .value_kind:     hidden_block_count_y
      - .offset:         48
        .size:           4
        .value_kind:     hidden_block_count_z
      - .offset:         52
        .size:           2
        .value_kind:     hidden_group_size_x
      - .offset:         54
        .size:           2
        .value_kind:     hidden_group_size_y
      - .offset:         56
        .size:           2
        .value_kind:     hidden_group_size_z
      - .offset:         58
        .size:           2
        .value_kind:     hidden_remainder_x
      - .offset:         60
        .size:           2
        .value_kind:     hidden_remainder_y
      - .offset:         62
        .size:           2
        .value_kind:     hidden_remainder_z
      - .offset:         80
        .size:           8
        .value_kind:     hidden_global_offset_x
      - .offset:         88
        .size:           8
        .value_kind:     hidden_global_offset_y
      - .offset:         96
        .size:           8
        .value_kind:     hidden_global_offset_z
      - .offset:         104
        .size:           2
        .value_kind:     hidden_grid_dims
    .group_segment_fixed_size: 0
    .kernarg_segment_align: 8
    .kernarg_segment_size: 296
    .language:       OpenCL C
    .language_version:
      - 2
      - 0
    .max_flat_workgroup_size: 256
    .name:           _ZN7rocprim17ROCPRIM_400000_NS6detail31init_lookback_scan_state_kernelINS1_19lookback_scan_stateIlLb0ELb1EEENS1_16block_id_wrapperIjLb1EEEEEvT_jT0_jPNS7_10value_typeE
    .private_segment_fixed_size: 0
    .sgpr_count:     21
    .sgpr_spill_count: 0
    .symbol:         _ZN7rocprim17ROCPRIM_400000_NS6detail31init_lookback_scan_state_kernelINS1_19lookback_scan_stateIlLb0ELb1EEENS1_16block_id_wrapperIjLb1EEEEEvT_jT0_jPNS7_10value_typeE.kd
    .uniform_work_group_size: 1
    .uses_dynamic_stack: false
    .vgpr_count:     10
    .vgpr_spill_count: 0
    .wavefront_size: 64
  - .agpr_count:     0
    .args:
      - .offset:         0
        .size:           104
        .value_kind:     by_value
    .group_segment_fixed_size: 0
    .kernarg_segment_align: 8
    .kernarg_segment_size: 104
    .language:       OpenCL C
    .language_version:
      - 2
      - 0
    .max_flat_workgroup_size: 256
    .name:           _ZN7rocprim17ROCPRIM_400000_NS6detail17trampoline_kernelINS0_14default_configENS1_20scan_config_selectorIlEEZZNS1_9scan_implILNS1_25lookback_scan_determinismE0ELb0ELb0ES3_PlS8_lN6thrust23THRUST_200600_302600_NS4plusIvEElEEDaPvRmT3_T4_T5_mT6_P12ihipStream_tbENKUlT_T0_E_clISt17integral_constantIbLb0EESP_IbLb1EEEEDaSL_SM_EUlSL_E_NS1_11comp_targetILNS1_3genE0ELNS1_11target_archE4294967295ELNS1_3gpuE0ELNS1_3repE0EEENS1_30default_config_static_selectorELNS0_4arch9wavefront6targetE1EEEvT1_
    .private_segment_fixed_size: 0
    .sgpr_count:     6
    .sgpr_spill_count: 0
    .symbol:         _ZN7rocprim17ROCPRIM_400000_NS6detail17trampoline_kernelINS0_14default_configENS1_20scan_config_selectorIlEEZZNS1_9scan_implILNS1_25lookback_scan_determinismE0ELb0ELb0ES3_PlS8_lN6thrust23THRUST_200600_302600_NS4plusIvEElEEDaPvRmT3_T4_T5_mT6_P12ihipStream_tbENKUlT_T0_E_clISt17integral_constantIbLb0EESP_IbLb1EEEEDaSL_SM_EUlSL_E_NS1_11comp_targetILNS1_3genE0ELNS1_11target_archE4294967295ELNS1_3gpuE0ELNS1_3repE0EEENS1_30default_config_static_selectorELNS0_4arch9wavefront6targetE1EEEvT1_.kd
    .uniform_work_group_size: 1
    .uses_dynamic_stack: false
    .vgpr_count:     0
    .vgpr_spill_count: 0
    .wavefront_size: 64
  - .agpr_count:     0
    .args:
      - .offset:         0
        .size:           104
        .value_kind:     by_value
    .group_segment_fixed_size: 30720
    .kernarg_segment_align: 8
    .kernarg_segment_size: 104
    .language:       OpenCL C
    .language_version:
      - 2
      - 0
    .max_flat_workgroup_size: 256
    .name:           _ZN7rocprim17ROCPRIM_400000_NS6detail17trampoline_kernelINS0_14default_configENS1_20scan_config_selectorIlEEZZNS1_9scan_implILNS1_25lookback_scan_determinismE0ELb0ELb0ES3_PlS8_lN6thrust23THRUST_200600_302600_NS4plusIvEElEEDaPvRmT3_T4_T5_mT6_P12ihipStream_tbENKUlT_T0_E_clISt17integral_constantIbLb0EESP_IbLb1EEEEDaSL_SM_EUlSL_E_NS1_11comp_targetILNS1_3genE5ELNS1_11target_archE942ELNS1_3gpuE9ELNS1_3repE0EEENS1_30default_config_static_selectorELNS0_4arch9wavefront6targetE1EEEvT1_
    .private_segment_fixed_size: 0
    .sgpr_count:     42
    .sgpr_spill_count: 0
    .symbol:         _ZN7rocprim17ROCPRIM_400000_NS6detail17trampoline_kernelINS0_14default_configENS1_20scan_config_selectorIlEEZZNS1_9scan_implILNS1_25lookback_scan_determinismE0ELb0ELb0ES3_PlS8_lN6thrust23THRUST_200600_302600_NS4plusIvEElEEDaPvRmT3_T4_T5_mT6_P12ihipStream_tbENKUlT_T0_E_clISt17integral_constantIbLb0EESP_IbLb1EEEEDaSL_SM_EUlSL_E_NS1_11comp_targetILNS1_3genE5ELNS1_11target_archE942ELNS1_3gpuE9ELNS1_3repE0EEENS1_30default_config_static_selectorELNS0_4arch9wavefront6targetE1EEEvT1_.kd
    .uniform_work_group_size: 1
    .uses_dynamic_stack: false
    .vgpr_count:     78
    .vgpr_spill_count: 0
    .wavefront_size: 64
  - .agpr_count:     0
    .args:
      - .offset:         0
        .size:           104
        .value_kind:     by_value
    .group_segment_fixed_size: 0
    .kernarg_segment_align: 8
    .kernarg_segment_size: 104
    .language:       OpenCL C
    .language_version:
      - 2
      - 0
    .max_flat_workgroup_size: 128
    .name:           _ZN7rocprim17ROCPRIM_400000_NS6detail17trampoline_kernelINS0_14default_configENS1_20scan_config_selectorIlEEZZNS1_9scan_implILNS1_25lookback_scan_determinismE0ELb0ELb0ES3_PlS8_lN6thrust23THRUST_200600_302600_NS4plusIvEElEEDaPvRmT3_T4_T5_mT6_P12ihipStream_tbENKUlT_T0_E_clISt17integral_constantIbLb0EESP_IbLb1EEEEDaSL_SM_EUlSL_E_NS1_11comp_targetILNS1_3genE4ELNS1_11target_archE910ELNS1_3gpuE8ELNS1_3repE0EEENS1_30default_config_static_selectorELNS0_4arch9wavefront6targetE1EEEvT1_
    .private_segment_fixed_size: 0
    .sgpr_count:     6
    .sgpr_spill_count: 0
    .symbol:         _ZN7rocprim17ROCPRIM_400000_NS6detail17trampoline_kernelINS0_14default_configENS1_20scan_config_selectorIlEEZZNS1_9scan_implILNS1_25lookback_scan_determinismE0ELb0ELb0ES3_PlS8_lN6thrust23THRUST_200600_302600_NS4plusIvEElEEDaPvRmT3_T4_T5_mT6_P12ihipStream_tbENKUlT_T0_E_clISt17integral_constantIbLb0EESP_IbLb1EEEEDaSL_SM_EUlSL_E_NS1_11comp_targetILNS1_3genE4ELNS1_11target_archE910ELNS1_3gpuE8ELNS1_3repE0EEENS1_30default_config_static_selectorELNS0_4arch9wavefront6targetE1EEEvT1_.kd
    .uniform_work_group_size: 1
    .uses_dynamic_stack: false
    .vgpr_count:     0
    .vgpr_spill_count: 0
    .wavefront_size: 64
  - .agpr_count:     0
    .args:
      - .offset:         0
        .size:           104
        .value_kind:     by_value
    .group_segment_fixed_size: 0
    .kernarg_segment_align: 8
    .kernarg_segment_size: 104
    .language:       OpenCL C
    .language_version:
      - 2
      - 0
    .max_flat_workgroup_size: 256
    .name:           _ZN7rocprim17ROCPRIM_400000_NS6detail17trampoline_kernelINS0_14default_configENS1_20scan_config_selectorIlEEZZNS1_9scan_implILNS1_25lookback_scan_determinismE0ELb0ELb0ES3_PlS8_lN6thrust23THRUST_200600_302600_NS4plusIvEElEEDaPvRmT3_T4_T5_mT6_P12ihipStream_tbENKUlT_T0_E_clISt17integral_constantIbLb0EESP_IbLb1EEEEDaSL_SM_EUlSL_E_NS1_11comp_targetILNS1_3genE3ELNS1_11target_archE908ELNS1_3gpuE7ELNS1_3repE0EEENS1_30default_config_static_selectorELNS0_4arch9wavefront6targetE1EEEvT1_
    .private_segment_fixed_size: 0
    .sgpr_count:     6
    .sgpr_spill_count: 0
    .symbol:         _ZN7rocprim17ROCPRIM_400000_NS6detail17trampoline_kernelINS0_14default_configENS1_20scan_config_selectorIlEEZZNS1_9scan_implILNS1_25lookback_scan_determinismE0ELb0ELb0ES3_PlS8_lN6thrust23THRUST_200600_302600_NS4plusIvEElEEDaPvRmT3_T4_T5_mT6_P12ihipStream_tbENKUlT_T0_E_clISt17integral_constantIbLb0EESP_IbLb1EEEEDaSL_SM_EUlSL_E_NS1_11comp_targetILNS1_3genE3ELNS1_11target_archE908ELNS1_3gpuE7ELNS1_3repE0EEENS1_30default_config_static_selectorELNS0_4arch9wavefront6targetE1EEEvT1_.kd
    .uniform_work_group_size: 1
    .uses_dynamic_stack: false
    .vgpr_count:     0
    .vgpr_spill_count: 0
    .wavefront_size: 64
  - .agpr_count:     0
    .args:
      - .offset:         0
        .size:           104
        .value_kind:     by_value
    .group_segment_fixed_size: 0
    .kernarg_segment_align: 8
    .kernarg_segment_size: 104
    .language:       OpenCL C
    .language_version:
      - 2
      - 0
    .max_flat_workgroup_size: 64
    .name:           _ZN7rocprim17ROCPRIM_400000_NS6detail17trampoline_kernelINS0_14default_configENS1_20scan_config_selectorIlEEZZNS1_9scan_implILNS1_25lookback_scan_determinismE0ELb0ELb0ES3_PlS8_lN6thrust23THRUST_200600_302600_NS4plusIvEElEEDaPvRmT3_T4_T5_mT6_P12ihipStream_tbENKUlT_T0_E_clISt17integral_constantIbLb0EESP_IbLb1EEEEDaSL_SM_EUlSL_E_NS1_11comp_targetILNS1_3genE2ELNS1_11target_archE906ELNS1_3gpuE6ELNS1_3repE0EEENS1_30default_config_static_selectorELNS0_4arch9wavefront6targetE1EEEvT1_
    .private_segment_fixed_size: 0
    .sgpr_count:     6
    .sgpr_spill_count: 0
    .symbol:         _ZN7rocprim17ROCPRIM_400000_NS6detail17trampoline_kernelINS0_14default_configENS1_20scan_config_selectorIlEEZZNS1_9scan_implILNS1_25lookback_scan_determinismE0ELb0ELb0ES3_PlS8_lN6thrust23THRUST_200600_302600_NS4plusIvEElEEDaPvRmT3_T4_T5_mT6_P12ihipStream_tbENKUlT_T0_E_clISt17integral_constantIbLb0EESP_IbLb1EEEEDaSL_SM_EUlSL_E_NS1_11comp_targetILNS1_3genE2ELNS1_11target_archE906ELNS1_3gpuE6ELNS1_3repE0EEENS1_30default_config_static_selectorELNS0_4arch9wavefront6targetE1EEEvT1_.kd
    .uniform_work_group_size: 1
    .uses_dynamic_stack: false
    .vgpr_count:     0
    .vgpr_spill_count: 0
    .wavefront_size: 64
  - .agpr_count:     0
    .args:
      - .offset:         0
        .size:           104
        .value_kind:     by_value
    .group_segment_fixed_size: 0
    .kernarg_segment_align: 8
    .kernarg_segment_size: 104
    .language:       OpenCL C
    .language_version:
      - 2
      - 0
    .max_flat_workgroup_size: 256
    .name:           _ZN7rocprim17ROCPRIM_400000_NS6detail17trampoline_kernelINS0_14default_configENS1_20scan_config_selectorIlEEZZNS1_9scan_implILNS1_25lookback_scan_determinismE0ELb0ELb0ES3_PlS8_lN6thrust23THRUST_200600_302600_NS4plusIvEElEEDaPvRmT3_T4_T5_mT6_P12ihipStream_tbENKUlT_T0_E_clISt17integral_constantIbLb0EESP_IbLb1EEEEDaSL_SM_EUlSL_E_NS1_11comp_targetILNS1_3genE10ELNS1_11target_archE1201ELNS1_3gpuE5ELNS1_3repE0EEENS1_30default_config_static_selectorELNS0_4arch9wavefront6targetE1EEEvT1_
    .private_segment_fixed_size: 0
    .sgpr_count:     6
    .sgpr_spill_count: 0
    .symbol:         _ZN7rocprim17ROCPRIM_400000_NS6detail17trampoline_kernelINS0_14default_configENS1_20scan_config_selectorIlEEZZNS1_9scan_implILNS1_25lookback_scan_determinismE0ELb0ELb0ES3_PlS8_lN6thrust23THRUST_200600_302600_NS4plusIvEElEEDaPvRmT3_T4_T5_mT6_P12ihipStream_tbENKUlT_T0_E_clISt17integral_constantIbLb0EESP_IbLb1EEEEDaSL_SM_EUlSL_E_NS1_11comp_targetILNS1_3genE10ELNS1_11target_archE1201ELNS1_3gpuE5ELNS1_3repE0EEENS1_30default_config_static_selectorELNS0_4arch9wavefront6targetE1EEEvT1_.kd
    .uniform_work_group_size: 1
    .uses_dynamic_stack: false
    .vgpr_count:     0
    .vgpr_spill_count: 0
    .wavefront_size: 64
  - .agpr_count:     0
    .args:
      - .offset:         0
        .size:           104
        .value_kind:     by_value
    .group_segment_fixed_size: 0
    .kernarg_segment_align: 8
    .kernarg_segment_size: 104
    .language:       OpenCL C
    .language_version:
      - 2
      - 0
    .max_flat_workgroup_size: 256
    .name:           _ZN7rocprim17ROCPRIM_400000_NS6detail17trampoline_kernelINS0_14default_configENS1_20scan_config_selectorIlEEZZNS1_9scan_implILNS1_25lookback_scan_determinismE0ELb0ELb0ES3_PlS8_lN6thrust23THRUST_200600_302600_NS4plusIvEElEEDaPvRmT3_T4_T5_mT6_P12ihipStream_tbENKUlT_T0_E_clISt17integral_constantIbLb0EESP_IbLb1EEEEDaSL_SM_EUlSL_E_NS1_11comp_targetILNS1_3genE10ELNS1_11target_archE1200ELNS1_3gpuE4ELNS1_3repE0EEENS1_30default_config_static_selectorELNS0_4arch9wavefront6targetE1EEEvT1_
    .private_segment_fixed_size: 0
    .sgpr_count:     6
    .sgpr_spill_count: 0
    .symbol:         _ZN7rocprim17ROCPRIM_400000_NS6detail17trampoline_kernelINS0_14default_configENS1_20scan_config_selectorIlEEZZNS1_9scan_implILNS1_25lookback_scan_determinismE0ELb0ELb0ES3_PlS8_lN6thrust23THRUST_200600_302600_NS4plusIvEElEEDaPvRmT3_T4_T5_mT6_P12ihipStream_tbENKUlT_T0_E_clISt17integral_constantIbLb0EESP_IbLb1EEEEDaSL_SM_EUlSL_E_NS1_11comp_targetILNS1_3genE10ELNS1_11target_archE1200ELNS1_3gpuE4ELNS1_3repE0EEENS1_30default_config_static_selectorELNS0_4arch9wavefront6targetE1EEEvT1_.kd
    .uniform_work_group_size: 1
    .uses_dynamic_stack: false
    .vgpr_count:     0
    .vgpr_spill_count: 0
    .wavefront_size: 64
  - .agpr_count:     0
    .args:
      - .offset:         0
        .size:           104
        .value_kind:     by_value
    .group_segment_fixed_size: 0
    .kernarg_segment_align: 8
    .kernarg_segment_size: 104
    .language:       OpenCL C
    .language_version:
      - 2
      - 0
    .max_flat_workgroup_size: 256
    .name:           _ZN7rocprim17ROCPRIM_400000_NS6detail17trampoline_kernelINS0_14default_configENS1_20scan_config_selectorIlEEZZNS1_9scan_implILNS1_25lookback_scan_determinismE0ELb0ELb0ES3_PlS8_lN6thrust23THRUST_200600_302600_NS4plusIvEElEEDaPvRmT3_T4_T5_mT6_P12ihipStream_tbENKUlT_T0_E_clISt17integral_constantIbLb0EESP_IbLb1EEEEDaSL_SM_EUlSL_E_NS1_11comp_targetILNS1_3genE9ELNS1_11target_archE1100ELNS1_3gpuE3ELNS1_3repE0EEENS1_30default_config_static_selectorELNS0_4arch9wavefront6targetE1EEEvT1_
    .private_segment_fixed_size: 0
    .sgpr_count:     6
    .sgpr_spill_count: 0
    .symbol:         _ZN7rocprim17ROCPRIM_400000_NS6detail17trampoline_kernelINS0_14default_configENS1_20scan_config_selectorIlEEZZNS1_9scan_implILNS1_25lookback_scan_determinismE0ELb0ELb0ES3_PlS8_lN6thrust23THRUST_200600_302600_NS4plusIvEElEEDaPvRmT3_T4_T5_mT6_P12ihipStream_tbENKUlT_T0_E_clISt17integral_constantIbLb0EESP_IbLb1EEEEDaSL_SM_EUlSL_E_NS1_11comp_targetILNS1_3genE9ELNS1_11target_archE1100ELNS1_3gpuE3ELNS1_3repE0EEENS1_30default_config_static_selectorELNS0_4arch9wavefront6targetE1EEEvT1_.kd
    .uniform_work_group_size: 1
    .uses_dynamic_stack: false
    .vgpr_count:     0
    .vgpr_spill_count: 0
    .wavefront_size: 64
  - .agpr_count:     0
    .args:
      - .offset:         0
        .size:           104
        .value_kind:     by_value
    .group_segment_fixed_size: 0
    .kernarg_segment_align: 8
    .kernarg_segment_size: 104
    .language:       OpenCL C
    .language_version:
      - 2
      - 0
    .max_flat_workgroup_size: 256
    .name:           _ZN7rocprim17ROCPRIM_400000_NS6detail17trampoline_kernelINS0_14default_configENS1_20scan_config_selectorIlEEZZNS1_9scan_implILNS1_25lookback_scan_determinismE0ELb0ELb0ES3_PlS8_lN6thrust23THRUST_200600_302600_NS4plusIvEElEEDaPvRmT3_T4_T5_mT6_P12ihipStream_tbENKUlT_T0_E_clISt17integral_constantIbLb0EESP_IbLb1EEEEDaSL_SM_EUlSL_E_NS1_11comp_targetILNS1_3genE8ELNS1_11target_archE1030ELNS1_3gpuE2ELNS1_3repE0EEENS1_30default_config_static_selectorELNS0_4arch9wavefront6targetE1EEEvT1_
    .private_segment_fixed_size: 0
    .sgpr_count:     6
    .sgpr_spill_count: 0
    .symbol:         _ZN7rocprim17ROCPRIM_400000_NS6detail17trampoline_kernelINS0_14default_configENS1_20scan_config_selectorIlEEZZNS1_9scan_implILNS1_25lookback_scan_determinismE0ELb0ELb0ES3_PlS8_lN6thrust23THRUST_200600_302600_NS4plusIvEElEEDaPvRmT3_T4_T5_mT6_P12ihipStream_tbENKUlT_T0_E_clISt17integral_constantIbLb0EESP_IbLb1EEEEDaSL_SM_EUlSL_E_NS1_11comp_targetILNS1_3genE8ELNS1_11target_archE1030ELNS1_3gpuE2ELNS1_3repE0EEENS1_30default_config_static_selectorELNS0_4arch9wavefront6targetE1EEEvT1_.kd
    .uniform_work_group_size: 1
    .uses_dynamic_stack: false
    .vgpr_count:     0
    .vgpr_spill_count: 0
    .wavefront_size: 64
  - .agpr_count:     0
    .args:
      - .offset:         0
        .size:           40
        .value_kind:     by_value
    .group_segment_fixed_size: 0
    .kernarg_segment_align: 8
    .kernarg_segment_size: 40
    .language:       OpenCL C
    .language_version:
      - 2
      - 0
    .max_flat_workgroup_size: 256
    .name:           _ZN7rocprim17ROCPRIM_400000_NS6detail17trampoline_kernelINS0_14default_configENS1_20scan_config_selectorIlEEZZNS1_9scan_implILNS1_25lookback_scan_determinismE0ELb0ELb0ES3_PlS8_lN6thrust23THRUST_200600_302600_NS4plusIvEElEEDaPvRmT3_T4_T5_mT6_P12ihipStream_tbENKUlT_T0_E_clISt17integral_constantIbLb0EESP_IbLb1EEEEDaSL_SM_EUlSL_E0_NS1_11comp_targetILNS1_3genE0ELNS1_11target_archE4294967295ELNS1_3gpuE0ELNS1_3repE0EEENS1_30default_config_static_selectorELNS0_4arch9wavefront6targetE1EEEvT1_
    .private_segment_fixed_size: 0
    .sgpr_count:     6
    .sgpr_spill_count: 0
    .symbol:         _ZN7rocprim17ROCPRIM_400000_NS6detail17trampoline_kernelINS0_14default_configENS1_20scan_config_selectorIlEEZZNS1_9scan_implILNS1_25lookback_scan_determinismE0ELb0ELb0ES3_PlS8_lN6thrust23THRUST_200600_302600_NS4plusIvEElEEDaPvRmT3_T4_T5_mT6_P12ihipStream_tbENKUlT_T0_E_clISt17integral_constantIbLb0EESP_IbLb1EEEEDaSL_SM_EUlSL_E0_NS1_11comp_targetILNS1_3genE0ELNS1_11target_archE4294967295ELNS1_3gpuE0ELNS1_3repE0EEENS1_30default_config_static_selectorELNS0_4arch9wavefront6targetE1EEEvT1_.kd
    .uniform_work_group_size: 1
    .uses_dynamic_stack: false
    .vgpr_count:     0
    .vgpr_spill_count: 0
    .wavefront_size: 64
  - .agpr_count:     0
    .args:
      - .offset:         0
        .size:           40
        .value_kind:     by_value
    .group_segment_fixed_size: 30720
    .kernarg_segment_align: 8
    .kernarg_segment_size: 40
    .language:       OpenCL C
    .language_version:
      - 2
      - 0
    .max_flat_workgroup_size: 256
    .name:           _ZN7rocprim17ROCPRIM_400000_NS6detail17trampoline_kernelINS0_14default_configENS1_20scan_config_selectorIlEEZZNS1_9scan_implILNS1_25lookback_scan_determinismE0ELb0ELb0ES3_PlS8_lN6thrust23THRUST_200600_302600_NS4plusIvEElEEDaPvRmT3_T4_T5_mT6_P12ihipStream_tbENKUlT_T0_E_clISt17integral_constantIbLb0EESP_IbLb1EEEEDaSL_SM_EUlSL_E0_NS1_11comp_targetILNS1_3genE5ELNS1_11target_archE942ELNS1_3gpuE9ELNS1_3repE0EEENS1_30default_config_static_selectorELNS0_4arch9wavefront6targetE1EEEvT1_
    .private_segment_fixed_size: 0
    .sgpr_count:     46
    .sgpr_spill_count: 0
    .symbol:         _ZN7rocprim17ROCPRIM_400000_NS6detail17trampoline_kernelINS0_14default_configENS1_20scan_config_selectorIlEEZZNS1_9scan_implILNS1_25lookback_scan_determinismE0ELb0ELb0ES3_PlS8_lN6thrust23THRUST_200600_302600_NS4plusIvEElEEDaPvRmT3_T4_T5_mT6_P12ihipStream_tbENKUlT_T0_E_clISt17integral_constantIbLb0EESP_IbLb1EEEEDaSL_SM_EUlSL_E0_NS1_11comp_targetILNS1_3genE5ELNS1_11target_archE942ELNS1_3gpuE9ELNS1_3repE0EEENS1_30default_config_static_selectorELNS0_4arch9wavefront6targetE1EEEvT1_.kd
    .uniform_work_group_size: 1
    .uses_dynamic_stack: false
    .vgpr_count:     73
    .vgpr_spill_count: 0
    .wavefront_size: 64
  - .agpr_count:     0
    .args:
      - .offset:         0
        .size:           40
        .value_kind:     by_value
    .group_segment_fixed_size: 0
    .kernarg_segment_align: 8
    .kernarg_segment_size: 40
    .language:       OpenCL C
    .language_version:
      - 2
      - 0
    .max_flat_workgroup_size: 128
    .name:           _ZN7rocprim17ROCPRIM_400000_NS6detail17trampoline_kernelINS0_14default_configENS1_20scan_config_selectorIlEEZZNS1_9scan_implILNS1_25lookback_scan_determinismE0ELb0ELb0ES3_PlS8_lN6thrust23THRUST_200600_302600_NS4plusIvEElEEDaPvRmT3_T4_T5_mT6_P12ihipStream_tbENKUlT_T0_E_clISt17integral_constantIbLb0EESP_IbLb1EEEEDaSL_SM_EUlSL_E0_NS1_11comp_targetILNS1_3genE4ELNS1_11target_archE910ELNS1_3gpuE8ELNS1_3repE0EEENS1_30default_config_static_selectorELNS0_4arch9wavefront6targetE1EEEvT1_
    .private_segment_fixed_size: 0
    .sgpr_count:     6
    .sgpr_spill_count: 0
    .symbol:         _ZN7rocprim17ROCPRIM_400000_NS6detail17trampoline_kernelINS0_14default_configENS1_20scan_config_selectorIlEEZZNS1_9scan_implILNS1_25lookback_scan_determinismE0ELb0ELb0ES3_PlS8_lN6thrust23THRUST_200600_302600_NS4plusIvEElEEDaPvRmT3_T4_T5_mT6_P12ihipStream_tbENKUlT_T0_E_clISt17integral_constantIbLb0EESP_IbLb1EEEEDaSL_SM_EUlSL_E0_NS1_11comp_targetILNS1_3genE4ELNS1_11target_archE910ELNS1_3gpuE8ELNS1_3repE0EEENS1_30default_config_static_selectorELNS0_4arch9wavefront6targetE1EEEvT1_.kd
    .uniform_work_group_size: 1
    .uses_dynamic_stack: false
    .vgpr_count:     0
    .vgpr_spill_count: 0
    .wavefront_size: 64
  - .agpr_count:     0
    .args:
      - .offset:         0
        .size:           40
        .value_kind:     by_value
    .group_segment_fixed_size: 0
    .kernarg_segment_align: 8
    .kernarg_segment_size: 40
    .language:       OpenCL C
    .language_version:
      - 2
      - 0
    .max_flat_workgroup_size: 256
    .name:           _ZN7rocprim17ROCPRIM_400000_NS6detail17trampoline_kernelINS0_14default_configENS1_20scan_config_selectorIlEEZZNS1_9scan_implILNS1_25lookback_scan_determinismE0ELb0ELb0ES3_PlS8_lN6thrust23THRUST_200600_302600_NS4plusIvEElEEDaPvRmT3_T4_T5_mT6_P12ihipStream_tbENKUlT_T0_E_clISt17integral_constantIbLb0EESP_IbLb1EEEEDaSL_SM_EUlSL_E0_NS1_11comp_targetILNS1_3genE3ELNS1_11target_archE908ELNS1_3gpuE7ELNS1_3repE0EEENS1_30default_config_static_selectorELNS0_4arch9wavefront6targetE1EEEvT1_
    .private_segment_fixed_size: 0
    .sgpr_count:     6
    .sgpr_spill_count: 0
    .symbol:         _ZN7rocprim17ROCPRIM_400000_NS6detail17trampoline_kernelINS0_14default_configENS1_20scan_config_selectorIlEEZZNS1_9scan_implILNS1_25lookback_scan_determinismE0ELb0ELb0ES3_PlS8_lN6thrust23THRUST_200600_302600_NS4plusIvEElEEDaPvRmT3_T4_T5_mT6_P12ihipStream_tbENKUlT_T0_E_clISt17integral_constantIbLb0EESP_IbLb1EEEEDaSL_SM_EUlSL_E0_NS1_11comp_targetILNS1_3genE3ELNS1_11target_archE908ELNS1_3gpuE7ELNS1_3repE0EEENS1_30default_config_static_selectorELNS0_4arch9wavefront6targetE1EEEvT1_.kd
    .uniform_work_group_size: 1
    .uses_dynamic_stack: false
    .vgpr_count:     0
    .vgpr_spill_count: 0
    .wavefront_size: 64
  - .agpr_count:     0
    .args:
      - .offset:         0
        .size:           40
        .value_kind:     by_value
    .group_segment_fixed_size: 0
    .kernarg_segment_align: 8
    .kernarg_segment_size: 40
    .language:       OpenCL C
    .language_version:
      - 2
      - 0
    .max_flat_workgroup_size: 64
    .name:           _ZN7rocprim17ROCPRIM_400000_NS6detail17trampoline_kernelINS0_14default_configENS1_20scan_config_selectorIlEEZZNS1_9scan_implILNS1_25lookback_scan_determinismE0ELb0ELb0ES3_PlS8_lN6thrust23THRUST_200600_302600_NS4plusIvEElEEDaPvRmT3_T4_T5_mT6_P12ihipStream_tbENKUlT_T0_E_clISt17integral_constantIbLb0EESP_IbLb1EEEEDaSL_SM_EUlSL_E0_NS1_11comp_targetILNS1_3genE2ELNS1_11target_archE906ELNS1_3gpuE6ELNS1_3repE0EEENS1_30default_config_static_selectorELNS0_4arch9wavefront6targetE1EEEvT1_
    .private_segment_fixed_size: 0
    .sgpr_count:     6
    .sgpr_spill_count: 0
    .symbol:         _ZN7rocprim17ROCPRIM_400000_NS6detail17trampoline_kernelINS0_14default_configENS1_20scan_config_selectorIlEEZZNS1_9scan_implILNS1_25lookback_scan_determinismE0ELb0ELb0ES3_PlS8_lN6thrust23THRUST_200600_302600_NS4plusIvEElEEDaPvRmT3_T4_T5_mT6_P12ihipStream_tbENKUlT_T0_E_clISt17integral_constantIbLb0EESP_IbLb1EEEEDaSL_SM_EUlSL_E0_NS1_11comp_targetILNS1_3genE2ELNS1_11target_archE906ELNS1_3gpuE6ELNS1_3repE0EEENS1_30default_config_static_selectorELNS0_4arch9wavefront6targetE1EEEvT1_.kd
    .uniform_work_group_size: 1
    .uses_dynamic_stack: false
    .vgpr_count:     0
    .vgpr_spill_count: 0
    .wavefront_size: 64
  - .agpr_count:     0
    .args:
      - .offset:         0
        .size:           40
        .value_kind:     by_value
    .group_segment_fixed_size: 0
    .kernarg_segment_align: 8
    .kernarg_segment_size: 40
    .language:       OpenCL C
    .language_version:
      - 2
      - 0
    .max_flat_workgroup_size: 256
    .name:           _ZN7rocprim17ROCPRIM_400000_NS6detail17trampoline_kernelINS0_14default_configENS1_20scan_config_selectorIlEEZZNS1_9scan_implILNS1_25lookback_scan_determinismE0ELb0ELb0ES3_PlS8_lN6thrust23THRUST_200600_302600_NS4plusIvEElEEDaPvRmT3_T4_T5_mT6_P12ihipStream_tbENKUlT_T0_E_clISt17integral_constantIbLb0EESP_IbLb1EEEEDaSL_SM_EUlSL_E0_NS1_11comp_targetILNS1_3genE10ELNS1_11target_archE1201ELNS1_3gpuE5ELNS1_3repE0EEENS1_30default_config_static_selectorELNS0_4arch9wavefront6targetE1EEEvT1_
    .private_segment_fixed_size: 0
    .sgpr_count:     6
    .sgpr_spill_count: 0
    .symbol:         _ZN7rocprim17ROCPRIM_400000_NS6detail17trampoline_kernelINS0_14default_configENS1_20scan_config_selectorIlEEZZNS1_9scan_implILNS1_25lookback_scan_determinismE0ELb0ELb0ES3_PlS8_lN6thrust23THRUST_200600_302600_NS4plusIvEElEEDaPvRmT3_T4_T5_mT6_P12ihipStream_tbENKUlT_T0_E_clISt17integral_constantIbLb0EESP_IbLb1EEEEDaSL_SM_EUlSL_E0_NS1_11comp_targetILNS1_3genE10ELNS1_11target_archE1201ELNS1_3gpuE5ELNS1_3repE0EEENS1_30default_config_static_selectorELNS0_4arch9wavefront6targetE1EEEvT1_.kd
    .uniform_work_group_size: 1
    .uses_dynamic_stack: false
    .vgpr_count:     0
    .vgpr_spill_count: 0
    .wavefront_size: 64
  - .agpr_count:     0
    .args:
      - .offset:         0
        .size:           40
        .value_kind:     by_value
    .group_segment_fixed_size: 0
    .kernarg_segment_align: 8
    .kernarg_segment_size: 40
    .language:       OpenCL C
    .language_version:
      - 2
      - 0
    .max_flat_workgroup_size: 256
    .name:           _ZN7rocprim17ROCPRIM_400000_NS6detail17trampoline_kernelINS0_14default_configENS1_20scan_config_selectorIlEEZZNS1_9scan_implILNS1_25lookback_scan_determinismE0ELb0ELb0ES3_PlS8_lN6thrust23THRUST_200600_302600_NS4plusIvEElEEDaPvRmT3_T4_T5_mT6_P12ihipStream_tbENKUlT_T0_E_clISt17integral_constantIbLb0EESP_IbLb1EEEEDaSL_SM_EUlSL_E0_NS1_11comp_targetILNS1_3genE10ELNS1_11target_archE1200ELNS1_3gpuE4ELNS1_3repE0EEENS1_30default_config_static_selectorELNS0_4arch9wavefront6targetE1EEEvT1_
    .private_segment_fixed_size: 0
    .sgpr_count:     6
    .sgpr_spill_count: 0
    .symbol:         _ZN7rocprim17ROCPRIM_400000_NS6detail17trampoline_kernelINS0_14default_configENS1_20scan_config_selectorIlEEZZNS1_9scan_implILNS1_25lookback_scan_determinismE0ELb0ELb0ES3_PlS8_lN6thrust23THRUST_200600_302600_NS4plusIvEElEEDaPvRmT3_T4_T5_mT6_P12ihipStream_tbENKUlT_T0_E_clISt17integral_constantIbLb0EESP_IbLb1EEEEDaSL_SM_EUlSL_E0_NS1_11comp_targetILNS1_3genE10ELNS1_11target_archE1200ELNS1_3gpuE4ELNS1_3repE0EEENS1_30default_config_static_selectorELNS0_4arch9wavefront6targetE1EEEvT1_.kd
    .uniform_work_group_size: 1
    .uses_dynamic_stack: false
    .vgpr_count:     0
    .vgpr_spill_count: 0
    .wavefront_size: 64
  - .agpr_count:     0
    .args:
      - .offset:         0
        .size:           40
        .value_kind:     by_value
    .group_segment_fixed_size: 0
    .kernarg_segment_align: 8
    .kernarg_segment_size: 40
    .language:       OpenCL C
    .language_version:
      - 2
      - 0
    .max_flat_workgroup_size: 256
    .name:           _ZN7rocprim17ROCPRIM_400000_NS6detail17trampoline_kernelINS0_14default_configENS1_20scan_config_selectorIlEEZZNS1_9scan_implILNS1_25lookback_scan_determinismE0ELb0ELb0ES3_PlS8_lN6thrust23THRUST_200600_302600_NS4plusIvEElEEDaPvRmT3_T4_T5_mT6_P12ihipStream_tbENKUlT_T0_E_clISt17integral_constantIbLb0EESP_IbLb1EEEEDaSL_SM_EUlSL_E0_NS1_11comp_targetILNS1_3genE9ELNS1_11target_archE1100ELNS1_3gpuE3ELNS1_3repE0EEENS1_30default_config_static_selectorELNS0_4arch9wavefront6targetE1EEEvT1_
    .private_segment_fixed_size: 0
    .sgpr_count:     6
    .sgpr_spill_count: 0
    .symbol:         _ZN7rocprim17ROCPRIM_400000_NS6detail17trampoline_kernelINS0_14default_configENS1_20scan_config_selectorIlEEZZNS1_9scan_implILNS1_25lookback_scan_determinismE0ELb0ELb0ES3_PlS8_lN6thrust23THRUST_200600_302600_NS4plusIvEElEEDaPvRmT3_T4_T5_mT6_P12ihipStream_tbENKUlT_T0_E_clISt17integral_constantIbLb0EESP_IbLb1EEEEDaSL_SM_EUlSL_E0_NS1_11comp_targetILNS1_3genE9ELNS1_11target_archE1100ELNS1_3gpuE3ELNS1_3repE0EEENS1_30default_config_static_selectorELNS0_4arch9wavefront6targetE1EEEvT1_.kd
    .uniform_work_group_size: 1
    .uses_dynamic_stack: false
    .vgpr_count:     0
    .vgpr_spill_count: 0
    .wavefront_size: 64
  - .agpr_count:     0
    .args:
      - .offset:         0
        .size:           40
        .value_kind:     by_value
    .group_segment_fixed_size: 0
    .kernarg_segment_align: 8
    .kernarg_segment_size: 40
    .language:       OpenCL C
    .language_version:
      - 2
      - 0
    .max_flat_workgroup_size: 256
    .name:           _ZN7rocprim17ROCPRIM_400000_NS6detail17trampoline_kernelINS0_14default_configENS1_20scan_config_selectorIlEEZZNS1_9scan_implILNS1_25lookback_scan_determinismE0ELb0ELb0ES3_PlS8_lN6thrust23THRUST_200600_302600_NS4plusIvEElEEDaPvRmT3_T4_T5_mT6_P12ihipStream_tbENKUlT_T0_E_clISt17integral_constantIbLb0EESP_IbLb1EEEEDaSL_SM_EUlSL_E0_NS1_11comp_targetILNS1_3genE8ELNS1_11target_archE1030ELNS1_3gpuE2ELNS1_3repE0EEENS1_30default_config_static_selectorELNS0_4arch9wavefront6targetE1EEEvT1_
    .private_segment_fixed_size: 0
    .sgpr_count:     6
    .sgpr_spill_count: 0
    .symbol:         _ZN7rocprim17ROCPRIM_400000_NS6detail17trampoline_kernelINS0_14default_configENS1_20scan_config_selectorIlEEZZNS1_9scan_implILNS1_25lookback_scan_determinismE0ELb0ELb0ES3_PlS8_lN6thrust23THRUST_200600_302600_NS4plusIvEElEEDaPvRmT3_T4_T5_mT6_P12ihipStream_tbENKUlT_T0_E_clISt17integral_constantIbLb0EESP_IbLb1EEEEDaSL_SM_EUlSL_E0_NS1_11comp_targetILNS1_3genE8ELNS1_11target_archE1030ELNS1_3gpuE2ELNS1_3repE0EEENS1_30default_config_static_selectorELNS0_4arch9wavefront6targetE1EEEvT1_.kd
    .uniform_work_group_size: 1
    .uses_dynamic_stack: false
    .vgpr_count:     0
    .vgpr_spill_count: 0
    .wavefront_size: 64
  - .agpr_count:     0
    .args:
      - .offset:         0
        .size:           32
        .value_kind:     by_value
      - .offset:         32
        .size:           8
        .value_kind:     by_value
      - .offset:         40
        .size:           8
        .value_kind:     by_value
    .group_segment_fixed_size: 0
    .kernarg_segment_align: 8
    .kernarg_segment_size: 48
    .language:       OpenCL C
    .language_version:
      - 2
      - 0
    .max_flat_workgroup_size: 256
    .name:           _ZN6thrust23THRUST_200600_302600_NS11hip_rocprim14__parallel_for6kernelILj256ENS1_11__transform17unary_transform_fIPlNS0_20permutation_iteratorIS6_PKlEENS4_14no_stencil_tagENS1_8identityENS4_21always_true_predicateEEElLj1EEEvT0_T1_SG_
    .private_segment_fixed_size: 0
    .sgpr_count:     16
    .sgpr_spill_count: 0
    .symbol:         _ZN6thrust23THRUST_200600_302600_NS11hip_rocprim14__parallel_for6kernelILj256ENS1_11__transform17unary_transform_fIPlNS0_20permutation_iteratorIS6_PKlEENS4_14no_stencil_tagENS1_8identityENS4_21always_true_predicateEEElLj1EEEvT0_T1_SG_.kd
    .uniform_work_group_size: 1
    .uses_dynamic_stack: false
    .vgpr_count:     8
    .vgpr_spill_count: 0
    .wavefront_size: 64
  - .agpr_count:     0
    .args:
      - .address_space:  global
        .offset:         0
        .size:           8
        .value_kind:     global_buffer
      - .offset:         8
        .size:           4
        .value_kind:     by_value
      - .offset:         12
        .size:           1
        .value_kind:     by_value
      - .offset:         16
        .size:           4
        .value_kind:     by_value
      - .address_space:  global
        .offset:         24
        .size:           8
        .value_kind:     global_buffer
      - .offset:         32
        .size:           4
        .value_kind:     hidden_block_count_x
      - .offset:         36
        .size:           4
        .value_kind:     hidden_block_count_y
      - .offset:         40
        .size:           4
        .value_kind:     hidden_block_count_z
      - .offset:         44
        .size:           2
        .value_kind:     hidden_group_size_x
      - .offset:         46
        .size:           2
        .value_kind:     hidden_group_size_y
      - .offset:         48
        .size:           2
        .value_kind:     hidden_group_size_z
      - .offset:         50
        .size:           2
        .value_kind:     hidden_remainder_x
      - .offset:         52
        .size:           2
        .value_kind:     hidden_remainder_y
      - .offset:         54
        .size:           2
        .value_kind:     hidden_remainder_z
      - .offset:         72
        .size:           8
        .value_kind:     hidden_global_offset_x
      - .offset:         80
        .size:           8
        .value_kind:     hidden_global_offset_y
      - .offset:         88
        .size:           8
        .value_kind:     hidden_global_offset_z
      - .offset:         96
        .size:           2
        .value_kind:     hidden_grid_dims
    .group_segment_fixed_size: 0
    .kernarg_segment_align: 8
    .kernarg_segment_size: 288
    .language:       OpenCL C
    .language_version:
      - 2
      - 0
    .max_flat_workgroup_size: 256
    .name:           _ZN7rocprim17ROCPRIM_400000_NS6detail31init_lookback_scan_state_kernelINS1_19lookback_scan_stateIjLb0ELb1EEENS1_16block_id_wrapperIjLb0EEEEEvT_jT0_jPNS7_10value_typeE
    .private_segment_fixed_size: 0
    .sgpr_count:     15
    .sgpr_spill_count: 0
    .symbol:         _ZN7rocprim17ROCPRIM_400000_NS6detail31init_lookback_scan_state_kernelINS1_19lookback_scan_stateIjLb0ELb1EEENS1_16block_id_wrapperIjLb0EEEEEvT_jT0_jPNS7_10value_typeE.kd
    .uniform_work_group_size: 1
    .uses_dynamic_stack: false
    .vgpr_count:     6
    .vgpr_spill_count: 0
    .wavefront_size: 64
  - .agpr_count:     0
    .args:
      - .offset:         0
        .size:           120
        .value_kind:     by_value
    .group_segment_fixed_size: 0
    .kernarg_segment_align: 8
    .kernarg_segment_size: 120
    .language:       OpenCL C
    .language_version:
      - 2
      - 0
    .max_flat_workgroup_size: 512
    .name:           _ZN7rocprim17ROCPRIM_400000_NS6detail17trampoline_kernelINS0_14default_configENS1_25partition_config_selectorILNS1_17partition_subalgoE8ElNS0_10empty_typeEbEEZZNS1_14partition_implILS5_8ELb0ES3_jPlPS6_PKS6_NS0_5tupleIJS9_S6_EEENSD_IJSA_SA_EEENS0_18inequality_wrapperIZN2at6native12_GLOBAL__N_124unique_dim_cuda_templateIhEESt5tupleIJNSH_6TensorESM_SM_EERKSM_lbbbEUlllE0_EEPmJS6_EEE10hipError_tPvRmT3_T4_T5_T6_T7_T9_mT8_P12ihipStream_tbDpT10_ENKUlT_T0_E_clISt17integral_constantIbLb0EES1C_EEDaS17_S18_EUlS17_E_NS1_11comp_targetILNS1_3genE0ELNS1_11target_archE4294967295ELNS1_3gpuE0ELNS1_3repE0EEENS1_30default_config_static_selectorELNS0_4arch9wavefront6targetE1EEEvT1_
    .private_segment_fixed_size: 0
    .sgpr_count:     6
    .sgpr_spill_count: 0
    .symbol:         _ZN7rocprim17ROCPRIM_400000_NS6detail17trampoline_kernelINS0_14default_configENS1_25partition_config_selectorILNS1_17partition_subalgoE8ElNS0_10empty_typeEbEEZZNS1_14partition_implILS5_8ELb0ES3_jPlPS6_PKS6_NS0_5tupleIJS9_S6_EEENSD_IJSA_SA_EEENS0_18inequality_wrapperIZN2at6native12_GLOBAL__N_124unique_dim_cuda_templateIhEESt5tupleIJNSH_6TensorESM_SM_EERKSM_lbbbEUlllE0_EEPmJS6_EEE10hipError_tPvRmT3_T4_T5_T6_T7_T9_mT8_P12ihipStream_tbDpT10_ENKUlT_T0_E_clISt17integral_constantIbLb0EES1C_EEDaS17_S18_EUlS17_E_NS1_11comp_targetILNS1_3genE0ELNS1_11target_archE4294967295ELNS1_3gpuE0ELNS1_3repE0EEENS1_30default_config_static_selectorELNS0_4arch9wavefront6targetE1EEEvT1_.kd
    .uniform_work_group_size: 1
    .uses_dynamic_stack: false
    .vgpr_count:     0
    .vgpr_spill_count: 0
    .wavefront_size: 64
  - .agpr_count:     0
    .args:
      - .offset:         0
        .size:           120
        .value_kind:     by_value
    .group_segment_fixed_size: 28684
    .kernarg_segment_align: 8
    .kernarg_segment_size: 120
    .language:       OpenCL C
    .language_version:
      - 2
      - 0
    .max_flat_workgroup_size: 512
    .name:           _ZN7rocprim17ROCPRIM_400000_NS6detail17trampoline_kernelINS0_14default_configENS1_25partition_config_selectorILNS1_17partition_subalgoE8ElNS0_10empty_typeEbEEZZNS1_14partition_implILS5_8ELb0ES3_jPlPS6_PKS6_NS0_5tupleIJS9_S6_EEENSD_IJSA_SA_EEENS0_18inequality_wrapperIZN2at6native12_GLOBAL__N_124unique_dim_cuda_templateIhEESt5tupleIJNSH_6TensorESM_SM_EERKSM_lbbbEUlllE0_EEPmJS6_EEE10hipError_tPvRmT3_T4_T5_T6_T7_T9_mT8_P12ihipStream_tbDpT10_ENKUlT_T0_E_clISt17integral_constantIbLb0EES1C_EEDaS17_S18_EUlS17_E_NS1_11comp_targetILNS1_3genE5ELNS1_11target_archE942ELNS1_3gpuE9ELNS1_3repE0EEENS1_30default_config_static_selectorELNS0_4arch9wavefront6targetE1EEEvT1_
    .private_segment_fixed_size: 0
    .sgpr_count:     58
    .sgpr_spill_count: 0
    .symbol:         _ZN7rocprim17ROCPRIM_400000_NS6detail17trampoline_kernelINS0_14default_configENS1_25partition_config_selectorILNS1_17partition_subalgoE8ElNS0_10empty_typeEbEEZZNS1_14partition_implILS5_8ELb0ES3_jPlPS6_PKS6_NS0_5tupleIJS9_S6_EEENSD_IJSA_SA_EEENS0_18inequality_wrapperIZN2at6native12_GLOBAL__N_124unique_dim_cuda_templateIhEESt5tupleIJNSH_6TensorESM_SM_EERKSM_lbbbEUlllE0_EEPmJS6_EEE10hipError_tPvRmT3_T4_T5_T6_T7_T9_mT8_P12ihipStream_tbDpT10_ENKUlT_T0_E_clISt17integral_constantIbLb0EES1C_EEDaS17_S18_EUlS17_E_NS1_11comp_targetILNS1_3genE5ELNS1_11target_archE942ELNS1_3gpuE9ELNS1_3repE0EEENS1_30default_config_static_selectorELNS0_4arch9wavefront6targetE1EEEvT1_.kd
    .uniform_work_group_size: 1
    .uses_dynamic_stack: false
    .vgpr_count:     52
    .vgpr_spill_count: 0
    .wavefront_size: 64
  - .agpr_count:     0
    .args:
      - .offset:         0
        .size:           120
        .value_kind:     by_value
    .group_segment_fixed_size: 0
    .kernarg_segment_align: 8
    .kernarg_segment_size: 120
    .language:       OpenCL C
    .language_version:
      - 2
      - 0
    .max_flat_workgroup_size: 256
    .name:           _ZN7rocprim17ROCPRIM_400000_NS6detail17trampoline_kernelINS0_14default_configENS1_25partition_config_selectorILNS1_17partition_subalgoE8ElNS0_10empty_typeEbEEZZNS1_14partition_implILS5_8ELb0ES3_jPlPS6_PKS6_NS0_5tupleIJS9_S6_EEENSD_IJSA_SA_EEENS0_18inequality_wrapperIZN2at6native12_GLOBAL__N_124unique_dim_cuda_templateIhEESt5tupleIJNSH_6TensorESM_SM_EERKSM_lbbbEUlllE0_EEPmJS6_EEE10hipError_tPvRmT3_T4_T5_T6_T7_T9_mT8_P12ihipStream_tbDpT10_ENKUlT_T0_E_clISt17integral_constantIbLb0EES1C_EEDaS17_S18_EUlS17_E_NS1_11comp_targetILNS1_3genE4ELNS1_11target_archE910ELNS1_3gpuE8ELNS1_3repE0EEENS1_30default_config_static_selectorELNS0_4arch9wavefront6targetE1EEEvT1_
    .private_segment_fixed_size: 0
    .sgpr_count:     6
    .sgpr_spill_count: 0
    .symbol:         _ZN7rocprim17ROCPRIM_400000_NS6detail17trampoline_kernelINS0_14default_configENS1_25partition_config_selectorILNS1_17partition_subalgoE8ElNS0_10empty_typeEbEEZZNS1_14partition_implILS5_8ELb0ES3_jPlPS6_PKS6_NS0_5tupleIJS9_S6_EEENSD_IJSA_SA_EEENS0_18inequality_wrapperIZN2at6native12_GLOBAL__N_124unique_dim_cuda_templateIhEESt5tupleIJNSH_6TensorESM_SM_EERKSM_lbbbEUlllE0_EEPmJS6_EEE10hipError_tPvRmT3_T4_T5_T6_T7_T9_mT8_P12ihipStream_tbDpT10_ENKUlT_T0_E_clISt17integral_constantIbLb0EES1C_EEDaS17_S18_EUlS17_E_NS1_11comp_targetILNS1_3genE4ELNS1_11target_archE910ELNS1_3gpuE8ELNS1_3repE0EEENS1_30default_config_static_selectorELNS0_4arch9wavefront6targetE1EEEvT1_.kd
    .uniform_work_group_size: 1
    .uses_dynamic_stack: false
    .vgpr_count:     0
    .vgpr_spill_count: 0
    .wavefront_size: 64
  - .agpr_count:     0
    .args:
      - .offset:         0
        .size:           120
        .value_kind:     by_value
    .group_segment_fixed_size: 0
    .kernarg_segment_align: 8
    .kernarg_segment_size: 120
    .language:       OpenCL C
    .language_version:
      - 2
      - 0
    .max_flat_workgroup_size: 512
    .name:           _ZN7rocprim17ROCPRIM_400000_NS6detail17trampoline_kernelINS0_14default_configENS1_25partition_config_selectorILNS1_17partition_subalgoE8ElNS0_10empty_typeEbEEZZNS1_14partition_implILS5_8ELb0ES3_jPlPS6_PKS6_NS0_5tupleIJS9_S6_EEENSD_IJSA_SA_EEENS0_18inequality_wrapperIZN2at6native12_GLOBAL__N_124unique_dim_cuda_templateIhEESt5tupleIJNSH_6TensorESM_SM_EERKSM_lbbbEUlllE0_EEPmJS6_EEE10hipError_tPvRmT3_T4_T5_T6_T7_T9_mT8_P12ihipStream_tbDpT10_ENKUlT_T0_E_clISt17integral_constantIbLb0EES1C_EEDaS17_S18_EUlS17_E_NS1_11comp_targetILNS1_3genE3ELNS1_11target_archE908ELNS1_3gpuE7ELNS1_3repE0EEENS1_30default_config_static_selectorELNS0_4arch9wavefront6targetE1EEEvT1_
    .private_segment_fixed_size: 0
    .sgpr_count:     6
    .sgpr_spill_count: 0
    .symbol:         _ZN7rocprim17ROCPRIM_400000_NS6detail17trampoline_kernelINS0_14default_configENS1_25partition_config_selectorILNS1_17partition_subalgoE8ElNS0_10empty_typeEbEEZZNS1_14partition_implILS5_8ELb0ES3_jPlPS6_PKS6_NS0_5tupleIJS9_S6_EEENSD_IJSA_SA_EEENS0_18inequality_wrapperIZN2at6native12_GLOBAL__N_124unique_dim_cuda_templateIhEESt5tupleIJNSH_6TensorESM_SM_EERKSM_lbbbEUlllE0_EEPmJS6_EEE10hipError_tPvRmT3_T4_T5_T6_T7_T9_mT8_P12ihipStream_tbDpT10_ENKUlT_T0_E_clISt17integral_constantIbLb0EES1C_EEDaS17_S18_EUlS17_E_NS1_11comp_targetILNS1_3genE3ELNS1_11target_archE908ELNS1_3gpuE7ELNS1_3repE0EEENS1_30default_config_static_selectorELNS0_4arch9wavefront6targetE1EEEvT1_.kd
    .uniform_work_group_size: 1
    .uses_dynamic_stack: false
    .vgpr_count:     0
    .vgpr_spill_count: 0
    .wavefront_size: 64
  - .agpr_count:     0
    .args:
      - .offset:         0
        .size:           120
        .value_kind:     by_value
    .group_segment_fixed_size: 0
    .kernarg_segment_align: 8
    .kernarg_segment_size: 120
    .language:       OpenCL C
    .language_version:
      - 2
      - 0
    .max_flat_workgroup_size: 256
    .name:           _ZN7rocprim17ROCPRIM_400000_NS6detail17trampoline_kernelINS0_14default_configENS1_25partition_config_selectorILNS1_17partition_subalgoE8ElNS0_10empty_typeEbEEZZNS1_14partition_implILS5_8ELb0ES3_jPlPS6_PKS6_NS0_5tupleIJS9_S6_EEENSD_IJSA_SA_EEENS0_18inequality_wrapperIZN2at6native12_GLOBAL__N_124unique_dim_cuda_templateIhEESt5tupleIJNSH_6TensorESM_SM_EERKSM_lbbbEUlllE0_EEPmJS6_EEE10hipError_tPvRmT3_T4_T5_T6_T7_T9_mT8_P12ihipStream_tbDpT10_ENKUlT_T0_E_clISt17integral_constantIbLb0EES1C_EEDaS17_S18_EUlS17_E_NS1_11comp_targetILNS1_3genE2ELNS1_11target_archE906ELNS1_3gpuE6ELNS1_3repE0EEENS1_30default_config_static_selectorELNS0_4arch9wavefront6targetE1EEEvT1_
    .private_segment_fixed_size: 0
    .sgpr_count:     6
    .sgpr_spill_count: 0
    .symbol:         _ZN7rocprim17ROCPRIM_400000_NS6detail17trampoline_kernelINS0_14default_configENS1_25partition_config_selectorILNS1_17partition_subalgoE8ElNS0_10empty_typeEbEEZZNS1_14partition_implILS5_8ELb0ES3_jPlPS6_PKS6_NS0_5tupleIJS9_S6_EEENSD_IJSA_SA_EEENS0_18inequality_wrapperIZN2at6native12_GLOBAL__N_124unique_dim_cuda_templateIhEESt5tupleIJNSH_6TensorESM_SM_EERKSM_lbbbEUlllE0_EEPmJS6_EEE10hipError_tPvRmT3_T4_T5_T6_T7_T9_mT8_P12ihipStream_tbDpT10_ENKUlT_T0_E_clISt17integral_constantIbLb0EES1C_EEDaS17_S18_EUlS17_E_NS1_11comp_targetILNS1_3genE2ELNS1_11target_archE906ELNS1_3gpuE6ELNS1_3repE0EEENS1_30default_config_static_selectorELNS0_4arch9wavefront6targetE1EEEvT1_.kd
    .uniform_work_group_size: 1
    .uses_dynamic_stack: false
    .vgpr_count:     0
    .vgpr_spill_count: 0
    .wavefront_size: 64
  - .agpr_count:     0
    .args:
      - .offset:         0
        .size:           120
        .value_kind:     by_value
    .group_segment_fixed_size: 0
    .kernarg_segment_align: 8
    .kernarg_segment_size: 120
    .language:       OpenCL C
    .language_version:
      - 2
      - 0
    .max_flat_workgroup_size: 384
    .name:           _ZN7rocprim17ROCPRIM_400000_NS6detail17trampoline_kernelINS0_14default_configENS1_25partition_config_selectorILNS1_17partition_subalgoE8ElNS0_10empty_typeEbEEZZNS1_14partition_implILS5_8ELb0ES3_jPlPS6_PKS6_NS0_5tupleIJS9_S6_EEENSD_IJSA_SA_EEENS0_18inequality_wrapperIZN2at6native12_GLOBAL__N_124unique_dim_cuda_templateIhEESt5tupleIJNSH_6TensorESM_SM_EERKSM_lbbbEUlllE0_EEPmJS6_EEE10hipError_tPvRmT3_T4_T5_T6_T7_T9_mT8_P12ihipStream_tbDpT10_ENKUlT_T0_E_clISt17integral_constantIbLb0EES1C_EEDaS17_S18_EUlS17_E_NS1_11comp_targetILNS1_3genE10ELNS1_11target_archE1200ELNS1_3gpuE4ELNS1_3repE0EEENS1_30default_config_static_selectorELNS0_4arch9wavefront6targetE1EEEvT1_
    .private_segment_fixed_size: 0
    .sgpr_count:     6
    .sgpr_spill_count: 0
    .symbol:         _ZN7rocprim17ROCPRIM_400000_NS6detail17trampoline_kernelINS0_14default_configENS1_25partition_config_selectorILNS1_17partition_subalgoE8ElNS0_10empty_typeEbEEZZNS1_14partition_implILS5_8ELb0ES3_jPlPS6_PKS6_NS0_5tupleIJS9_S6_EEENSD_IJSA_SA_EEENS0_18inequality_wrapperIZN2at6native12_GLOBAL__N_124unique_dim_cuda_templateIhEESt5tupleIJNSH_6TensorESM_SM_EERKSM_lbbbEUlllE0_EEPmJS6_EEE10hipError_tPvRmT3_T4_T5_T6_T7_T9_mT8_P12ihipStream_tbDpT10_ENKUlT_T0_E_clISt17integral_constantIbLb0EES1C_EEDaS17_S18_EUlS17_E_NS1_11comp_targetILNS1_3genE10ELNS1_11target_archE1200ELNS1_3gpuE4ELNS1_3repE0EEENS1_30default_config_static_selectorELNS0_4arch9wavefront6targetE1EEEvT1_.kd
    .uniform_work_group_size: 1
    .uses_dynamic_stack: false
    .vgpr_count:     0
    .vgpr_spill_count: 0
    .wavefront_size: 64
  - .agpr_count:     0
    .args:
      - .offset:         0
        .size:           120
        .value_kind:     by_value
    .group_segment_fixed_size: 0
    .kernarg_segment_align: 8
    .kernarg_segment_size: 120
    .language:       OpenCL C
    .language_version:
      - 2
      - 0
    .max_flat_workgroup_size: 512
    .name:           _ZN7rocprim17ROCPRIM_400000_NS6detail17trampoline_kernelINS0_14default_configENS1_25partition_config_selectorILNS1_17partition_subalgoE8ElNS0_10empty_typeEbEEZZNS1_14partition_implILS5_8ELb0ES3_jPlPS6_PKS6_NS0_5tupleIJS9_S6_EEENSD_IJSA_SA_EEENS0_18inequality_wrapperIZN2at6native12_GLOBAL__N_124unique_dim_cuda_templateIhEESt5tupleIJNSH_6TensorESM_SM_EERKSM_lbbbEUlllE0_EEPmJS6_EEE10hipError_tPvRmT3_T4_T5_T6_T7_T9_mT8_P12ihipStream_tbDpT10_ENKUlT_T0_E_clISt17integral_constantIbLb0EES1C_EEDaS17_S18_EUlS17_E_NS1_11comp_targetILNS1_3genE9ELNS1_11target_archE1100ELNS1_3gpuE3ELNS1_3repE0EEENS1_30default_config_static_selectorELNS0_4arch9wavefront6targetE1EEEvT1_
    .private_segment_fixed_size: 0
    .sgpr_count:     6
    .sgpr_spill_count: 0
    .symbol:         _ZN7rocprim17ROCPRIM_400000_NS6detail17trampoline_kernelINS0_14default_configENS1_25partition_config_selectorILNS1_17partition_subalgoE8ElNS0_10empty_typeEbEEZZNS1_14partition_implILS5_8ELb0ES3_jPlPS6_PKS6_NS0_5tupleIJS9_S6_EEENSD_IJSA_SA_EEENS0_18inequality_wrapperIZN2at6native12_GLOBAL__N_124unique_dim_cuda_templateIhEESt5tupleIJNSH_6TensorESM_SM_EERKSM_lbbbEUlllE0_EEPmJS6_EEE10hipError_tPvRmT3_T4_T5_T6_T7_T9_mT8_P12ihipStream_tbDpT10_ENKUlT_T0_E_clISt17integral_constantIbLb0EES1C_EEDaS17_S18_EUlS17_E_NS1_11comp_targetILNS1_3genE9ELNS1_11target_archE1100ELNS1_3gpuE3ELNS1_3repE0EEENS1_30default_config_static_selectorELNS0_4arch9wavefront6targetE1EEEvT1_.kd
    .uniform_work_group_size: 1
    .uses_dynamic_stack: false
    .vgpr_count:     0
    .vgpr_spill_count: 0
    .wavefront_size: 64
  - .agpr_count:     0
    .args:
      - .offset:         0
        .size:           120
        .value_kind:     by_value
    .group_segment_fixed_size: 0
    .kernarg_segment_align: 8
    .kernarg_segment_size: 120
    .language:       OpenCL C
    .language_version:
      - 2
      - 0
    .max_flat_workgroup_size: 512
    .name:           _ZN7rocprim17ROCPRIM_400000_NS6detail17trampoline_kernelINS0_14default_configENS1_25partition_config_selectorILNS1_17partition_subalgoE8ElNS0_10empty_typeEbEEZZNS1_14partition_implILS5_8ELb0ES3_jPlPS6_PKS6_NS0_5tupleIJS9_S6_EEENSD_IJSA_SA_EEENS0_18inequality_wrapperIZN2at6native12_GLOBAL__N_124unique_dim_cuda_templateIhEESt5tupleIJNSH_6TensorESM_SM_EERKSM_lbbbEUlllE0_EEPmJS6_EEE10hipError_tPvRmT3_T4_T5_T6_T7_T9_mT8_P12ihipStream_tbDpT10_ENKUlT_T0_E_clISt17integral_constantIbLb0EES1C_EEDaS17_S18_EUlS17_E_NS1_11comp_targetILNS1_3genE8ELNS1_11target_archE1030ELNS1_3gpuE2ELNS1_3repE0EEENS1_30default_config_static_selectorELNS0_4arch9wavefront6targetE1EEEvT1_
    .private_segment_fixed_size: 0
    .sgpr_count:     6
    .sgpr_spill_count: 0
    .symbol:         _ZN7rocprim17ROCPRIM_400000_NS6detail17trampoline_kernelINS0_14default_configENS1_25partition_config_selectorILNS1_17partition_subalgoE8ElNS0_10empty_typeEbEEZZNS1_14partition_implILS5_8ELb0ES3_jPlPS6_PKS6_NS0_5tupleIJS9_S6_EEENSD_IJSA_SA_EEENS0_18inequality_wrapperIZN2at6native12_GLOBAL__N_124unique_dim_cuda_templateIhEESt5tupleIJNSH_6TensorESM_SM_EERKSM_lbbbEUlllE0_EEPmJS6_EEE10hipError_tPvRmT3_T4_T5_T6_T7_T9_mT8_P12ihipStream_tbDpT10_ENKUlT_T0_E_clISt17integral_constantIbLb0EES1C_EEDaS17_S18_EUlS17_E_NS1_11comp_targetILNS1_3genE8ELNS1_11target_archE1030ELNS1_3gpuE2ELNS1_3repE0EEENS1_30default_config_static_selectorELNS0_4arch9wavefront6targetE1EEEvT1_.kd
    .uniform_work_group_size: 1
    .uses_dynamic_stack: false
    .vgpr_count:     0
    .vgpr_spill_count: 0
    .wavefront_size: 64
  - .agpr_count:     0
    .args:
      - .offset:         0
        .size:           40
        .value_kind:     by_value
    .group_segment_fixed_size: 0
    .kernarg_segment_align: 8
    .kernarg_segment_size: 40
    .language:       OpenCL C
    .language_version:
      - 2
      - 0
    .max_flat_workgroup_size: 128
    .name:           _ZN7rocprim17ROCPRIM_400000_NS6detail17trampoline_kernelINS0_14default_configENS1_25transform_config_selectorImLb1EEEZNS1_14transform_implILb1ES3_S5_PmS7_NS0_8identityIvEEEE10hipError_tT2_T3_mT4_P12ihipStream_tbEUlT_E_NS1_11comp_targetILNS1_3genE0ELNS1_11target_archE4294967295ELNS1_3gpuE0ELNS1_3repE0EEENS1_30default_config_static_selectorELNS0_4arch9wavefront6targetE1EEEvT1_
    .private_segment_fixed_size: 0
    .sgpr_count:     6
    .sgpr_spill_count: 0
    .symbol:         _ZN7rocprim17ROCPRIM_400000_NS6detail17trampoline_kernelINS0_14default_configENS1_25transform_config_selectorImLb1EEEZNS1_14transform_implILb1ES3_S5_PmS7_NS0_8identityIvEEEE10hipError_tT2_T3_mT4_P12ihipStream_tbEUlT_E_NS1_11comp_targetILNS1_3genE0ELNS1_11target_archE4294967295ELNS1_3gpuE0ELNS1_3repE0EEENS1_30default_config_static_selectorELNS0_4arch9wavefront6targetE1EEEvT1_.kd
    .uniform_work_group_size: 1
    .uses_dynamic_stack: false
    .vgpr_count:     0
    .vgpr_spill_count: 0
    .wavefront_size: 64
  - .agpr_count:     0
    .args:
      - .offset:         0
        .size:           40
        .value_kind:     by_value
    .group_segment_fixed_size: 0
    .kernarg_segment_align: 8
    .kernarg_segment_size: 40
    .language:       OpenCL C
    .language_version:
      - 2
      - 0
    .max_flat_workgroup_size: 1024
    .name:           _ZN7rocprim17ROCPRIM_400000_NS6detail17trampoline_kernelINS0_14default_configENS1_25transform_config_selectorImLb1EEEZNS1_14transform_implILb1ES3_S5_PmS7_NS0_8identityIvEEEE10hipError_tT2_T3_mT4_P12ihipStream_tbEUlT_E_NS1_11comp_targetILNS1_3genE10ELNS1_11target_archE1201ELNS1_3gpuE5ELNS1_3repE0EEENS1_30default_config_static_selectorELNS0_4arch9wavefront6targetE1EEEvT1_
    .private_segment_fixed_size: 0
    .sgpr_count:     6
    .sgpr_spill_count: 0
    .symbol:         _ZN7rocprim17ROCPRIM_400000_NS6detail17trampoline_kernelINS0_14default_configENS1_25transform_config_selectorImLb1EEEZNS1_14transform_implILb1ES3_S5_PmS7_NS0_8identityIvEEEE10hipError_tT2_T3_mT4_P12ihipStream_tbEUlT_E_NS1_11comp_targetILNS1_3genE10ELNS1_11target_archE1201ELNS1_3gpuE5ELNS1_3repE0EEENS1_30default_config_static_selectorELNS0_4arch9wavefront6targetE1EEEvT1_.kd
    .uniform_work_group_size: 1
    .uses_dynamic_stack: false
    .vgpr_count:     0
    .vgpr_spill_count: 0
    .wavefront_size: 64
  - .agpr_count:     0
    .args:
      - .offset:         0
        .size:           40
        .value_kind:     by_value
      - .offset:         40
        .size:           4
        .value_kind:     hidden_block_count_x
      - .offset:         44
        .size:           4
        .value_kind:     hidden_block_count_y
      - .offset:         48
        .size:           4
        .value_kind:     hidden_block_count_z
      - .offset:         52
        .size:           2
        .value_kind:     hidden_group_size_x
      - .offset:         54
        .size:           2
        .value_kind:     hidden_group_size_y
      - .offset:         56
        .size:           2
        .value_kind:     hidden_group_size_z
      - .offset:         58
        .size:           2
        .value_kind:     hidden_remainder_x
      - .offset:         60
        .size:           2
        .value_kind:     hidden_remainder_y
      - .offset:         62
        .size:           2
        .value_kind:     hidden_remainder_z
      - .offset:         80
        .size:           8
        .value_kind:     hidden_global_offset_x
      - .offset:         88
        .size:           8
        .value_kind:     hidden_global_offset_y
      - .offset:         96
        .size:           8
        .value_kind:     hidden_global_offset_z
      - .offset:         104
        .size:           2
        .value_kind:     hidden_grid_dims
    .group_segment_fixed_size: 0
    .kernarg_segment_align: 8
    .kernarg_segment_size: 296
    .language:       OpenCL C
    .language_version:
      - 2
      - 0
    .max_flat_workgroup_size: 512
    .name:           _ZN7rocprim17ROCPRIM_400000_NS6detail17trampoline_kernelINS0_14default_configENS1_25transform_config_selectorImLb1EEEZNS1_14transform_implILb1ES3_S5_PmS7_NS0_8identityIvEEEE10hipError_tT2_T3_mT4_P12ihipStream_tbEUlT_E_NS1_11comp_targetILNS1_3genE5ELNS1_11target_archE942ELNS1_3gpuE9ELNS1_3repE0EEENS1_30default_config_static_selectorELNS0_4arch9wavefront6targetE1EEEvT1_
    .private_segment_fixed_size: 0
    .sgpr_count:     18
    .sgpr_spill_count: 0
    .symbol:         _ZN7rocprim17ROCPRIM_400000_NS6detail17trampoline_kernelINS0_14default_configENS1_25transform_config_selectorImLb1EEEZNS1_14transform_implILb1ES3_S5_PmS7_NS0_8identityIvEEEE10hipError_tT2_T3_mT4_P12ihipStream_tbEUlT_E_NS1_11comp_targetILNS1_3genE5ELNS1_11target_archE942ELNS1_3gpuE9ELNS1_3repE0EEENS1_30default_config_static_selectorELNS0_4arch9wavefront6targetE1EEEvT1_.kd
    .uniform_work_group_size: 1
    .uses_dynamic_stack: false
    .vgpr_count:     8
    .vgpr_spill_count: 0
    .wavefront_size: 64
  - .agpr_count:     0
    .args:
      - .offset:         0
        .size:           40
        .value_kind:     by_value
    .group_segment_fixed_size: 0
    .kernarg_segment_align: 8
    .kernarg_segment_size: 40
    .language:       OpenCL C
    .language_version:
      - 2
      - 0
    .max_flat_workgroup_size: 1024
    .name:           _ZN7rocprim17ROCPRIM_400000_NS6detail17trampoline_kernelINS0_14default_configENS1_25transform_config_selectorImLb1EEEZNS1_14transform_implILb1ES3_S5_PmS7_NS0_8identityIvEEEE10hipError_tT2_T3_mT4_P12ihipStream_tbEUlT_E_NS1_11comp_targetILNS1_3genE4ELNS1_11target_archE910ELNS1_3gpuE8ELNS1_3repE0EEENS1_30default_config_static_selectorELNS0_4arch9wavefront6targetE1EEEvT1_
    .private_segment_fixed_size: 0
    .sgpr_count:     6
    .sgpr_spill_count: 0
    .symbol:         _ZN7rocprim17ROCPRIM_400000_NS6detail17trampoline_kernelINS0_14default_configENS1_25transform_config_selectorImLb1EEEZNS1_14transform_implILb1ES3_S5_PmS7_NS0_8identityIvEEEE10hipError_tT2_T3_mT4_P12ihipStream_tbEUlT_E_NS1_11comp_targetILNS1_3genE4ELNS1_11target_archE910ELNS1_3gpuE8ELNS1_3repE0EEENS1_30default_config_static_selectorELNS0_4arch9wavefront6targetE1EEEvT1_.kd
    .uniform_work_group_size: 1
    .uses_dynamic_stack: false
    .vgpr_count:     0
    .vgpr_spill_count: 0
    .wavefront_size: 64
  - .agpr_count:     0
    .args:
      - .offset:         0
        .size:           40
        .value_kind:     by_value
    .group_segment_fixed_size: 0
    .kernarg_segment_align: 8
    .kernarg_segment_size: 40
    .language:       OpenCL C
    .language_version:
      - 2
      - 0
    .max_flat_workgroup_size: 128
    .name:           _ZN7rocprim17ROCPRIM_400000_NS6detail17trampoline_kernelINS0_14default_configENS1_25transform_config_selectorImLb1EEEZNS1_14transform_implILb1ES3_S5_PmS7_NS0_8identityIvEEEE10hipError_tT2_T3_mT4_P12ihipStream_tbEUlT_E_NS1_11comp_targetILNS1_3genE3ELNS1_11target_archE908ELNS1_3gpuE7ELNS1_3repE0EEENS1_30default_config_static_selectorELNS0_4arch9wavefront6targetE1EEEvT1_
    .private_segment_fixed_size: 0
    .sgpr_count:     6
    .sgpr_spill_count: 0
    .symbol:         _ZN7rocprim17ROCPRIM_400000_NS6detail17trampoline_kernelINS0_14default_configENS1_25transform_config_selectorImLb1EEEZNS1_14transform_implILb1ES3_S5_PmS7_NS0_8identityIvEEEE10hipError_tT2_T3_mT4_P12ihipStream_tbEUlT_E_NS1_11comp_targetILNS1_3genE3ELNS1_11target_archE908ELNS1_3gpuE7ELNS1_3repE0EEENS1_30default_config_static_selectorELNS0_4arch9wavefront6targetE1EEEvT1_.kd
    .uniform_work_group_size: 1
    .uses_dynamic_stack: false
    .vgpr_count:     0
    .vgpr_spill_count: 0
    .wavefront_size: 64
  - .agpr_count:     0
    .args:
      - .offset:         0
        .size:           40
        .value_kind:     by_value
    .group_segment_fixed_size: 0
    .kernarg_segment_align: 8
    .kernarg_segment_size: 40
    .language:       OpenCL C
    .language_version:
      - 2
      - 0
    .max_flat_workgroup_size: 512
    .name:           _ZN7rocprim17ROCPRIM_400000_NS6detail17trampoline_kernelINS0_14default_configENS1_25transform_config_selectorImLb1EEEZNS1_14transform_implILb1ES3_S5_PmS7_NS0_8identityIvEEEE10hipError_tT2_T3_mT4_P12ihipStream_tbEUlT_E_NS1_11comp_targetILNS1_3genE2ELNS1_11target_archE906ELNS1_3gpuE6ELNS1_3repE0EEENS1_30default_config_static_selectorELNS0_4arch9wavefront6targetE1EEEvT1_
    .private_segment_fixed_size: 0
    .sgpr_count:     6
    .sgpr_spill_count: 0
    .symbol:         _ZN7rocprim17ROCPRIM_400000_NS6detail17trampoline_kernelINS0_14default_configENS1_25transform_config_selectorImLb1EEEZNS1_14transform_implILb1ES3_S5_PmS7_NS0_8identityIvEEEE10hipError_tT2_T3_mT4_P12ihipStream_tbEUlT_E_NS1_11comp_targetILNS1_3genE2ELNS1_11target_archE906ELNS1_3gpuE6ELNS1_3repE0EEENS1_30default_config_static_selectorELNS0_4arch9wavefront6targetE1EEEvT1_.kd
    .uniform_work_group_size: 1
    .uses_dynamic_stack: false
    .vgpr_count:     0
    .vgpr_spill_count: 0
    .wavefront_size: 64
  - .agpr_count:     0
    .args:
      - .offset:         0
        .size:           40
        .value_kind:     by_value
    .group_segment_fixed_size: 0
    .kernarg_segment_align: 8
    .kernarg_segment_size: 40
    .language:       OpenCL C
    .language_version:
      - 2
      - 0
    .max_flat_workgroup_size: 1024
    .name:           _ZN7rocprim17ROCPRIM_400000_NS6detail17trampoline_kernelINS0_14default_configENS1_25transform_config_selectorImLb1EEEZNS1_14transform_implILb1ES3_S5_PmS7_NS0_8identityIvEEEE10hipError_tT2_T3_mT4_P12ihipStream_tbEUlT_E_NS1_11comp_targetILNS1_3genE9ELNS1_11target_archE1100ELNS1_3gpuE3ELNS1_3repE0EEENS1_30default_config_static_selectorELNS0_4arch9wavefront6targetE1EEEvT1_
    .private_segment_fixed_size: 0
    .sgpr_count:     6
    .sgpr_spill_count: 0
    .symbol:         _ZN7rocprim17ROCPRIM_400000_NS6detail17trampoline_kernelINS0_14default_configENS1_25transform_config_selectorImLb1EEEZNS1_14transform_implILb1ES3_S5_PmS7_NS0_8identityIvEEEE10hipError_tT2_T3_mT4_P12ihipStream_tbEUlT_E_NS1_11comp_targetILNS1_3genE9ELNS1_11target_archE1100ELNS1_3gpuE3ELNS1_3repE0EEENS1_30default_config_static_selectorELNS0_4arch9wavefront6targetE1EEEvT1_.kd
    .uniform_work_group_size: 1
    .uses_dynamic_stack: false
    .vgpr_count:     0
    .vgpr_spill_count: 0
    .wavefront_size: 64
  - .agpr_count:     0
    .args:
      - .offset:         0
        .size:           40
        .value_kind:     by_value
    .group_segment_fixed_size: 0
    .kernarg_segment_align: 8
    .kernarg_segment_size: 40
    .language:       OpenCL C
    .language_version:
      - 2
      - 0
    .max_flat_workgroup_size: 1024
    .name:           _ZN7rocprim17ROCPRIM_400000_NS6detail17trampoline_kernelINS0_14default_configENS1_25transform_config_selectorImLb1EEEZNS1_14transform_implILb1ES3_S5_PmS7_NS0_8identityIvEEEE10hipError_tT2_T3_mT4_P12ihipStream_tbEUlT_E_NS1_11comp_targetILNS1_3genE8ELNS1_11target_archE1030ELNS1_3gpuE2ELNS1_3repE0EEENS1_30default_config_static_selectorELNS0_4arch9wavefront6targetE1EEEvT1_
    .private_segment_fixed_size: 0
    .sgpr_count:     6
    .sgpr_spill_count: 0
    .symbol:         _ZN7rocprim17ROCPRIM_400000_NS6detail17trampoline_kernelINS0_14default_configENS1_25transform_config_selectorImLb1EEEZNS1_14transform_implILb1ES3_S5_PmS7_NS0_8identityIvEEEE10hipError_tT2_T3_mT4_P12ihipStream_tbEUlT_E_NS1_11comp_targetILNS1_3genE8ELNS1_11target_archE1030ELNS1_3gpuE2ELNS1_3repE0EEENS1_30default_config_static_selectorELNS0_4arch9wavefront6targetE1EEEvT1_.kd
    .uniform_work_group_size: 1
    .uses_dynamic_stack: false
    .vgpr_count:     0
    .vgpr_spill_count: 0
    .wavefront_size: 64
  - .agpr_count:     0
    .args:
      - .address_space:  global
        .offset:         0
        .size:           8
        .value_kind:     global_buffer
      - .offset:         8
        .size:           4
        .value_kind:     by_value
      - .address_space:  global
        .offset:         16
        .size:           8
        .value_kind:     global_buffer
      - .offset:         24
        .size:           4
        .value_kind:     by_value
      - .address_space:  global
        .offset:         32
        .size:           8
        .value_kind:     global_buffer
      - .offset:         40
        .size:           4
        .value_kind:     hidden_block_count_x
      - .offset:         44
        .size:           4
        .value_kind:     hidden_block_count_y
      - .offset:         48
        .size:           4
        .value_kind:     hidden_block_count_z
      - .offset:         52
        .size:           2
        .value_kind:     hidden_group_size_x
      - .offset:         54
        .size:           2
        .value_kind:     hidden_group_size_y
      - .offset:         56
        .size:           2
        .value_kind:     hidden_group_size_z
      - .offset:         58
        .size:           2
        .value_kind:     hidden_remainder_x
      - .offset:         60
        .size:           2
        .value_kind:     hidden_remainder_y
      - .offset:         62
        .size:           2
        .value_kind:     hidden_remainder_z
      - .offset:         80
        .size:           8
        .value_kind:     hidden_global_offset_x
      - .offset:         88
        .size:           8
        .value_kind:     hidden_global_offset_y
      - .offset:         96
        .size:           8
        .value_kind:     hidden_global_offset_z
      - .offset:         104
        .size:           2
        .value_kind:     hidden_grid_dims
    .group_segment_fixed_size: 0
    .kernarg_segment_align: 8
    .kernarg_segment_size: 296
    .language:       OpenCL C
    .language_version:
      - 2
      - 0
    .max_flat_workgroup_size: 256
    .name:           _ZN7rocprim17ROCPRIM_400000_NS6detail31init_lookback_scan_state_kernelINS1_19lookback_scan_stateIjLb1ELb1EEENS1_16block_id_wrapperIjLb1EEEEEvT_jT0_jPNS7_10value_typeE
    .private_segment_fixed_size: 0
    .sgpr_count:     20
    .sgpr_spill_count: 0
    .symbol:         _ZN7rocprim17ROCPRIM_400000_NS6detail31init_lookback_scan_state_kernelINS1_19lookback_scan_stateIjLb1ELb1EEENS1_16block_id_wrapperIjLb1EEEEEvT_jT0_jPNS7_10value_typeE.kd
    .uniform_work_group_size: 1
    .uses_dynamic_stack: false
    .vgpr_count:     6
    .vgpr_spill_count: 0
    .wavefront_size: 64
  - .agpr_count:     0
    .args:
      - .offset:         0
        .size:           136
        .value_kind:     by_value
    .group_segment_fixed_size: 0
    .kernarg_segment_align: 8
    .kernarg_segment_size: 136
    .language:       OpenCL C
    .language_version:
      - 2
      - 0
    .max_flat_workgroup_size: 512
    .name:           _ZN7rocprim17ROCPRIM_400000_NS6detail17trampoline_kernelINS0_14default_configENS1_25partition_config_selectorILNS1_17partition_subalgoE8ElNS0_10empty_typeEbEEZZNS1_14partition_implILS5_8ELb0ES3_jPlPS6_PKS6_NS0_5tupleIJS9_S6_EEENSD_IJSA_SA_EEENS0_18inequality_wrapperIZN2at6native12_GLOBAL__N_124unique_dim_cuda_templateIhEESt5tupleIJNSH_6TensorESM_SM_EERKSM_lbbbEUlllE0_EEPmJS6_EEE10hipError_tPvRmT3_T4_T5_T6_T7_T9_mT8_P12ihipStream_tbDpT10_ENKUlT_T0_E_clISt17integral_constantIbLb1EES1C_EEDaS17_S18_EUlS17_E_NS1_11comp_targetILNS1_3genE0ELNS1_11target_archE4294967295ELNS1_3gpuE0ELNS1_3repE0EEENS1_30default_config_static_selectorELNS0_4arch9wavefront6targetE1EEEvT1_
    .private_segment_fixed_size: 0
    .sgpr_count:     6
    .sgpr_spill_count: 0
    .symbol:         _ZN7rocprim17ROCPRIM_400000_NS6detail17trampoline_kernelINS0_14default_configENS1_25partition_config_selectorILNS1_17partition_subalgoE8ElNS0_10empty_typeEbEEZZNS1_14partition_implILS5_8ELb0ES3_jPlPS6_PKS6_NS0_5tupleIJS9_S6_EEENSD_IJSA_SA_EEENS0_18inequality_wrapperIZN2at6native12_GLOBAL__N_124unique_dim_cuda_templateIhEESt5tupleIJNSH_6TensorESM_SM_EERKSM_lbbbEUlllE0_EEPmJS6_EEE10hipError_tPvRmT3_T4_T5_T6_T7_T9_mT8_P12ihipStream_tbDpT10_ENKUlT_T0_E_clISt17integral_constantIbLb1EES1C_EEDaS17_S18_EUlS17_E_NS1_11comp_targetILNS1_3genE0ELNS1_11target_archE4294967295ELNS1_3gpuE0ELNS1_3repE0EEENS1_30default_config_static_selectorELNS0_4arch9wavefront6targetE1EEEvT1_.kd
    .uniform_work_group_size: 1
    .uses_dynamic_stack: false
    .vgpr_count:     0
    .vgpr_spill_count: 0
    .wavefront_size: 64
  - .agpr_count:     0
    .args:
      - .offset:         0
        .size:           136
        .value_kind:     by_value
    .group_segment_fixed_size: 28684
    .kernarg_segment_align: 8
    .kernarg_segment_size: 136
    .language:       OpenCL C
    .language_version:
      - 2
      - 0
    .max_flat_workgroup_size: 512
    .name:           _ZN7rocprim17ROCPRIM_400000_NS6detail17trampoline_kernelINS0_14default_configENS1_25partition_config_selectorILNS1_17partition_subalgoE8ElNS0_10empty_typeEbEEZZNS1_14partition_implILS5_8ELb0ES3_jPlPS6_PKS6_NS0_5tupleIJS9_S6_EEENSD_IJSA_SA_EEENS0_18inequality_wrapperIZN2at6native12_GLOBAL__N_124unique_dim_cuda_templateIhEESt5tupleIJNSH_6TensorESM_SM_EERKSM_lbbbEUlllE0_EEPmJS6_EEE10hipError_tPvRmT3_T4_T5_T6_T7_T9_mT8_P12ihipStream_tbDpT10_ENKUlT_T0_E_clISt17integral_constantIbLb1EES1C_EEDaS17_S18_EUlS17_E_NS1_11comp_targetILNS1_3genE5ELNS1_11target_archE942ELNS1_3gpuE9ELNS1_3repE0EEENS1_30default_config_static_selectorELNS0_4arch9wavefront6targetE1EEEvT1_
    .private_segment_fixed_size: 0
    .sgpr_count:     62
    .sgpr_spill_count: 0
    .symbol:         _ZN7rocprim17ROCPRIM_400000_NS6detail17trampoline_kernelINS0_14default_configENS1_25partition_config_selectorILNS1_17partition_subalgoE8ElNS0_10empty_typeEbEEZZNS1_14partition_implILS5_8ELb0ES3_jPlPS6_PKS6_NS0_5tupleIJS9_S6_EEENSD_IJSA_SA_EEENS0_18inequality_wrapperIZN2at6native12_GLOBAL__N_124unique_dim_cuda_templateIhEESt5tupleIJNSH_6TensorESM_SM_EERKSM_lbbbEUlllE0_EEPmJS6_EEE10hipError_tPvRmT3_T4_T5_T6_T7_T9_mT8_P12ihipStream_tbDpT10_ENKUlT_T0_E_clISt17integral_constantIbLb1EES1C_EEDaS17_S18_EUlS17_E_NS1_11comp_targetILNS1_3genE5ELNS1_11target_archE942ELNS1_3gpuE9ELNS1_3repE0EEENS1_30default_config_static_selectorELNS0_4arch9wavefront6targetE1EEEvT1_.kd
    .uniform_work_group_size: 1
    .uses_dynamic_stack: false
    .vgpr_count:     52
    .vgpr_spill_count: 0
    .wavefront_size: 64
  - .agpr_count:     0
    .args:
      - .offset:         0
        .size:           136
        .value_kind:     by_value
    .group_segment_fixed_size: 0
    .kernarg_segment_align: 8
    .kernarg_segment_size: 136
    .language:       OpenCL C
    .language_version:
      - 2
      - 0
    .max_flat_workgroup_size: 256
    .name:           _ZN7rocprim17ROCPRIM_400000_NS6detail17trampoline_kernelINS0_14default_configENS1_25partition_config_selectorILNS1_17partition_subalgoE8ElNS0_10empty_typeEbEEZZNS1_14partition_implILS5_8ELb0ES3_jPlPS6_PKS6_NS0_5tupleIJS9_S6_EEENSD_IJSA_SA_EEENS0_18inequality_wrapperIZN2at6native12_GLOBAL__N_124unique_dim_cuda_templateIhEESt5tupleIJNSH_6TensorESM_SM_EERKSM_lbbbEUlllE0_EEPmJS6_EEE10hipError_tPvRmT3_T4_T5_T6_T7_T9_mT8_P12ihipStream_tbDpT10_ENKUlT_T0_E_clISt17integral_constantIbLb1EES1C_EEDaS17_S18_EUlS17_E_NS1_11comp_targetILNS1_3genE4ELNS1_11target_archE910ELNS1_3gpuE8ELNS1_3repE0EEENS1_30default_config_static_selectorELNS0_4arch9wavefront6targetE1EEEvT1_
    .private_segment_fixed_size: 0
    .sgpr_count:     6
    .sgpr_spill_count: 0
    .symbol:         _ZN7rocprim17ROCPRIM_400000_NS6detail17trampoline_kernelINS0_14default_configENS1_25partition_config_selectorILNS1_17partition_subalgoE8ElNS0_10empty_typeEbEEZZNS1_14partition_implILS5_8ELb0ES3_jPlPS6_PKS6_NS0_5tupleIJS9_S6_EEENSD_IJSA_SA_EEENS0_18inequality_wrapperIZN2at6native12_GLOBAL__N_124unique_dim_cuda_templateIhEESt5tupleIJNSH_6TensorESM_SM_EERKSM_lbbbEUlllE0_EEPmJS6_EEE10hipError_tPvRmT3_T4_T5_T6_T7_T9_mT8_P12ihipStream_tbDpT10_ENKUlT_T0_E_clISt17integral_constantIbLb1EES1C_EEDaS17_S18_EUlS17_E_NS1_11comp_targetILNS1_3genE4ELNS1_11target_archE910ELNS1_3gpuE8ELNS1_3repE0EEENS1_30default_config_static_selectorELNS0_4arch9wavefront6targetE1EEEvT1_.kd
    .uniform_work_group_size: 1
    .uses_dynamic_stack: false
    .vgpr_count:     0
    .vgpr_spill_count: 0
    .wavefront_size: 64
  - .agpr_count:     0
    .args:
      - .offset:         0
        .size:           136
        .value_kind:     by_value
    .group_segment_fixed_size: 0
    .kernarg_segment_align: 8
    .kernarg_segment_size: 136
    .language:       OpenCL C
    .language_version:
      - 2
      - 0
    .max_flat_workgroup_size: 512
    .name:           _ZN7rocprim17ROCPRIM_400000_NS6detail17trampoline_kernelINS0_14default_configENS1_25partition_config_selectorILNS1_17partition_subalgoE8ElNS0_10empty_typeEbEEZZNS1_14partition_implILS5_8ELb0ES3_jPlPS6_PKS6_NS0_5tupleIJS9_S6_EEENSD_IJSA_SA_EEENS0_18inequality_wrapperIZN2at6native12_GLOBAL__N_124unique_dim_cuda_templateIhEESt5tupleIJNSH_6TensorESM_SM_EERKSM_lbbbEUlllE0_EEPmJS6_EEE10hipError_tPvRmT3_T4_T5_T6_T7_T9_mT8_P12ihipStream_tbDpT10_ENKUlT_T0_E_clISt17integral_constantIbLb1EES1C_EEDaS17_S18_EUlS17_E_NS1_11comp_targetILNS1_3genE3ELNS1_11target_archE908ELNS1_3gpuE7ELNS1_3repE0EEENS1_30default_config_static_selectorELNS0_4arch9wavefront6targetE1EEEvT1_
    .private_segment_fixed_size: 0
    .sgpr_count:     6
    .sgpr_spill_count: 0
    .symbol:         _ZN7rocprim17ROCPRIM_400000_NS6detail17trampoline_kernelINS0_14default_configENS1_25partition_config_selectorILNS1_17partition_subalgoE8ElNS0_10empty_typeEbEEZZNS1_14partition_implILS5_8ELb0ES3_jPlPS6_PKS6_NS0_5tupleIJS9_S6_EEENSD_IJSA_SA_EEENS0_18inequality_wrapperIZN2at6native12_GLOBAL__N_124unique_dim_cuda_templateIhEESt5tupleIJNSH_6TensorESM_SM_EERKSM_lbbbEUlllE0_EEPmJS6_EEE10hipError_tPvRmT3_T4_T5_T6_T7_T9_mT8_P12ihipStream_tbDpT10_ENKUlT_T0_E_clISt17integral_constantIbLb1EES1C_EEDaS17_S18_EUlS17_E_NS1_11comp_targetILNS1_3genE3ELNS1_11target_archE908ELNS1_3gpuE7ELNS1_3repE0EEENS1_30default_config_static_selectorELNS0_4arch9wavefront6targetE1EEEvT1_.kd
    .uniform_work_group_size: 1
    .uses_dynamic_stack: false
    .vgpr_count:     0
    .vgpr_spill_count: 0
    .wavefront_size: 64
  - .agpr_count:     0
    .args:
      - .offset:         0
        .size:           136
        .value_kind:     by_value
    .group_segment_fixed_size: 0
    .kernarg_segment_align: 8
    .kernarg_segment_size: 136
    .language:       OpenCL C
    .language_version:
      - 2
      - 0
    .max_flat_workgroup_size: 256
    .name:           _ZN7rocprim17ROCPRIM_400000_NS6detail17trampoline_kernelINS0_14default_configENS1_25partition_config_selectorILNS1_17partition_subalgoE8ElNS0_10empty_typeEbEEZZNS1_14partition_implILS5_8ELb0ES3_jPlPS6_PKS6_NS0_5tupleIJS9_S6_EEENSD_IJSA_SA_EEENS0_18inequality_wrapperIZN2at6native12_GLOBAL__N_124unique_dim_cuda_templateIhEESt5tupleIJNSH_6TensorESM_SM_EERKSM_lbbbEUlllE0_EEPmJS6_EEE10hipError_tPvRmT3_T4_T5_T6_T7_T9_mT8_P12ihipStream_tbDpT10_ENKUlT_T0_E_clISt17integral_constantIbLb1EES1C_EEDaS17_S18_EUlS17_E_NS1_11comp_targetILNS1_3genE2ELNS1_11target_archE906ELNS1_3gpuE6ELNS1_3repE0EEENS1_30default_config_static_selectorELNS0_4arch9wavefront6targetE1EEEvT1_
    .private_segment_fixed_size: 0
    .sgpr_count:     6
    .sgpr_spill_count: 0
    .symbol:         _ZN7rocprim17ROCPRIM_400000_NS6detail17trampoline_kernelINS0_14default_configENS1_25partition_config_selectorILNS1_17partition_subalgoE8ElNS0_10empty_typeEbEEZZNS1_14partition_implILS5_8ELb0ES3_jPlPS6_PKS6_NS0_5tupleIJS9_S6_EEENSD_IJSA_SA_EEENS0_18inequality_wrapperIZN2at6native12_GLOBAL__N_124unique_dim_cuda_templateIhEESt5tupleIJNSH_6TensorESM_SM_EERKSM_lbbbEUlllE0_EEPmJS6_EEE10hipError_tPvRmT3_T4_T5_T6_T7_T9_mT8_P12ihipStream_tbDpT10_ENKUlT_T0_E_clISt17integral_constantIbLb1EES1C_EEDaS17_S18_EUlS17_E_NS1_11comp_targetILNS1_3genE2ELNS1_11target_archE906ELNS1_3gpuE6ELNS1_3repE0EEENS1_30default_config_static_selectorELNS0_4arch9wavefront6targetE1EEEvT1_.kd
    .uniform_work_group_size: 1
    .uses_dynamic_stack: false
    .vgpr_count:     0
    .vgpr_spill_count: 0
    .wavefront_size: 64
  - .agpr_count:     0
    .args:
      - .offset:         0
        .size:           136
        .value_kind:     by_value
    .group_segment_fixed_size: 0
    .kernarg_segment_align: 8
    .kernarg_segment_size: 136
    .language:       OpenCL C
    .language_version:
      - 2
      - 0
    .max_flat_workgroup_size: 384
    .name:           _ZN7rocprim17ROCPRIM_400000_NS6detail17trampoline_kernelINS0_14default_configENS1_25partition_config_selectorILNS1_17partition_subalgoE8ElNS0_10empty_typeEbEEZZNS1_14partition_implILS5_8ELb0ES3_jPlPS6_PKS6_NS0_5tupleIJS9_S6_EEENSD_IJSA_SA_EEENS0_18inequality_wrapperIZN2at6native12_GLOBAL__N_124unique_dim_cuda_templateIhEESt5tupleIJNSH_6TensorESM_SM_EERKSM_lbbbEUlllE0_EEPmJS6_EEE10hipError_tPvRmT3_T4_T5_T6_T7_T9_mT8_P12ihipStream_tbDpT10_ENKUlT_T0_E_clISt17integral_constantIbLb1EES1C_EEDaS17_S18_EUlS17_E_NS1_11comp_targetILNS1_3genE10ELNS1_11target_archE1200ELNS1_3gpuE4ELNS1_3repE0EEENS1_30default_config_static_selectorELNS0_4arch9wavefront6targetE1EEEvT1_
    .private_segment_fixed_size: 0
    .sgpr_count:     6
    .sgpr_spill_count: 0
    .symbol:         _ZN7rocprim17ROCPRIM_400000_NS6detail17trampoline_kernelINS0_14default_configENS1_25partition_config_selectorILNS1_17partition_subalgoE8ElNS0_10empty_typeEbEEZZNS1_14partition_implILS5_8ELb0ES3_jPlPS6_PKS6_NS0_5tupleIJS9_S6_EEENSD_IJSA_SA_EEENS0_18inequality_wrapperIZN2at6native12_GLOBAL__N_124unique_dim_cuda_templateIhEESt5tupleIJNSH_6TensorESM_SM_EERKSM_lbbbEUlllE0_EEPmJS6_EEE10hipError_tPvRmT3_T4_T5_T6_T7_T9_mT8_P12ihipStream_tbDpT10_ENKUlT_T0_E_clISt17integral_constantIbLb1EES1C_EEDaS17_S18_EUlS17_E_NS1_11comp_targetILNS1_3genE10ELNS1_11target_archE1200ELNS1_3gpuE4ELNS1_3repE0EEENS1_30default_config_static_selectorELNS0_4arch9wavefront6targetE1EEEvT1_.kd
    .uniform_work_group_size: 1
    .uses_dynamic_stack: false
    .vgpr_count:     0
    .vgpr_spill_count: 0
    .wavefront_size: 64
  - .agpr_count:     0
    .args:
      - .offset:         0
        .size:           136
        .value_kind:     by_value
    .group_segment_fixed_size: 0
    .kernarg_segment_align: 8
    .kernarg_segment_size: 136
    .language:       OpenCL C
    .language_version:
      - 2
      - 0
    .max_flat_workgroup_size: 512
    .name:           _ZN7rocprim17ROCPRIM_400000_NS6detail17trampoline_kernelINS0_14default_configENS1_25partition_config_selectorILNS1_17partition_subalgoE8ElNS0_10empty_typeEbEEZZNS1_14partition_implILS5_8ELb0ES3_jPlPS6_PKS6_NS0_5tupleIJS9_S6_EEENSD_IJSA_SA_EEENS0_18inequality_wrapperIZN2at6native12_GLOBAL__N_124unique_dim_cuda_templateIhEESt5tupleIJNSH_6TensorESM_SM_EERKSM_lbbbEUlllE0_EEPmJS6_EEE10hipError_tPvRmT3_T4_T5_T6_T7_T9_mT8_P12ihipStream_tbDpT10_ENKUlT_T0_E_clISt17integral_constantIbLb1EES1C_EEDaS17_S18_EUlS17_E_NS1_11comp_targetILNS1_3genE9ELNS1_11target_archE1100ELNS1_3gpuE3ELNS1_3repE0EEENS1_30default_config_static_selectorELNS0_4arch9wavefront6targetE1EEEvT1_
    .private_segment_fixed_size: 0
    .sgpr_count:     6
    .sgpr_spill_count: 0
    .symbol:         _ZN7rocprim17ROCPRIM_400000_NS6detail17trampoline_kernelINS0_14default_configENS1_25partition_config_selectorILNS1_17partition_subalgoE8ElNS0_10empty_typeEbEEZZNS1_14partition_implILS5_8ELb0ES3_jPlPS6_PKS6_NS0_5tupleIJS9_S6_EEENSD_IJSA_SA_EEENS0_18inequality_wrapperIZN2at6native12_GLOBAL__N_124unique_dim_cuda_templateIhEESt5tupleIJNSH_6TensorESM_SM_EERKSM_lbbbEUlllE0_EEPmJS6_EEE10hipError_tPvRmT3_T4_T5_T6_T7_T9_mT8_P12ihipStream_tbDpT10_ENKUlT_T0_E_clISt17integral_constantIbLb1EES1C_EEDaS17_S18_EUlS17_E_NS1_11comp_targetILNS1_3genE9ELNS1_11target_archE1100ELNS1_3gpuE3ELNS1_3repE0EEENS1_30default_config_static_selectorELNS0_4arch9wavefront6targetE1EEEvT1_.kd
    .uniform_work_group_size: 1
    .uses_dynamic_stack: false
    .vgpr_count:     0
    .vgpr_spill_count: 0
    .wavefront_size: 64
  - .agpr_count:     0
    .args:
      - .offset:         0
        .size:           136
        .value_kind:     by_value
    .group_segment_fixed_size: 0
    .kernarg_segment_align: 8
    .kernarg_segment_size: 136
    .language:       OpenCL C
    .language_version:
      - 2
      - 0
    .max_flat_workgroup_size: 512
    .name:           _ZN7rocprim17ROCPRIM_400000_NS6detail17trampoline_kernelINS0_14default_configENS1_25partition_config_selectorILNS1_17partition_subalgoE8ElNS0_10empty_typeEbEEZZNS1_14partition_implILS5_8ELb0ES3_jPlPS6_PKS6_NS0_5tupleIJS9_S6_EEENSD_IJSA_SA_EEENS0_18inequality_wrapperIZN2at6native12_GLOBAL__N_124unique_dim_cuda_templateIhEESt5tupleIJNSH_6TensorESM_SM_EERKSM_lbbbEUlllE0_EEPmJS6_EEE10hipError_tPvRmT3_T4_T5_T6_T7_T9_mT8_P12ihipStream_tbDpT10_ENKUlT_T0_E_clISt17integral_constantIbLb1EES1C_EEDaS17_S18_EUlS17_E_NS1_11comp_targetILNS1_3genE8ELNS1_11target_archE1030ELNS1_3gpuE2ELNS1_3repE0EEENS1_30default_config_static_selectorELNS0_4arch9wavefront6targetE1EEEvT1_
    .private_segment_fixed_size: 0
    .sgpr_count:     6
    .sgpr_spill_count: 0
    .symbol:         _ZN7rocprim17ROCPRIM_400000_NS6detail17trampoline_kernelINS0_14default_configENS1_25partition_config_selectorILNS1_17partition_subalgoE8ElNS0_10empty_typeEbEEZZNS1_14partition_implILS5_8ELb0ES3_jPlPS6_PKS6_NS0_5tupleIJS9_S6_EEENSD_IJSA_SA_EEENS0_18inequality_wrapperIZN2at6native12_GLOBAL__N_124unique_dim_cuda_templateIhEESt5tupleIJNSH_6TensorESM_SM_EERKSM_lbbbEUlllE0_EEPmJS6_EEE10hipError_tPvRmT3_T4_T5_T6_T7_T9_mT8_P12ihipStream_tbDpT10_ENKUlT_T0_E_clISt17integral_constantIbLb1EES1C_EEDaS17_S18_EUlS17_E_NS1_11comp_targetILNS1_3genE8ELNS1_11target_archE1030ELNS1_3gpuE2ELNS1_3repE0EEENS1_30default_config_static_selectorELNS0_4arch9wavefront6targetE1EEEvT1_.kd
    .uniform_work_group_size: 1
    .uses_dynamic_stack: false
    .vgpr_count:     0
    .vgpr_spill_count: 0
    .wavefront_size: 64
  - .agpr_count:     0
    .args:
      - .address_space:  global
        .offset:         0
        .size:           8
        .value_kind:     global_buffer
      - .offset:         8
        .size:           4
        .value_kind:     by_value
      - .offset:         12
        .size:           1
        .value_kind:     by_value
      - .offset:         16
        .size:           4
        .value_kind:     by_value
      - .address_space:  global
        .offset:         24
        .size:           8
        .value_kind:     global_buffer
      - .offset:         32
        .size:           4
        .value_kind:     hidden_block_count_x
      - .offset:         36
        .size:           4
        .value_kind:     hidden_block_count_y
      - .offset:         40
        .size:           4
        .value_kind:     hidden_block_count_z
      - .offset:         44
        .size:           2
        .value_kind:     hidden_group_size_x
      - .offset:         46
        .size:           2
        .value_kind:     hidden_group_size_y
      - .offset:         48
        .size:           2
        .value_kind:     hidden_group_size_z
      - .offset:         50
        .size:           2
        .value_kind:     hidden_remainder_x
      - .offset:         52
        .size:           2
        .value_kind:     hidden_remainder_y
      - .offset:         54
        .size:           2
        .value_kind:     hidden_remainder_z
      - .offset:         72
        .size:           8
        .value_kind:     hidden_global_offset_x
      - .offset:         80
        .size:           8
        .value_kind:     hidden_global_offset_y
      - .offset:         88
        .size:           8
        .value_kind:     hidden_global_offset_z
      - .offset:         96
        .size:           2
        .value_kind:     hidden_grid_dims
    .group_segment_fixed_size: 0
    .kernarg_segment_align: 8
    .kernarg_segment_size: 288
    .language:       OpenCL C
    .language_version:
      - 2
      - 0
    .max_flat_workgroup_size: 256
    .name:           _ZN7rocprim17ROCPRIM_400000_NS6detail31init_lookback_scan_state_kernelINS1_19lookback_scan_stateIjLb1ELb1EEENS1_16block_id_wrapperIjLb0EEEEEvT_jT0_jPNS7_10value_typeE
    .private_segment_fixed_size: 0
    .sgpr_count:     18
    .sgpr_spill_count: 0
    .symbol:         _ZN7rocprim17ROCPRIM_400000_NS6detail31init_lookback_scan_state_kernelINS1_19lookback_scan_stateIjLb1ELb1EEENS1_16block_id_wrapperIjLb0EEEEEvT_jT0_jPNS7_10value_typeE.kd
    .uniform_work_group_size: 1
    .uses_dynamic_stack: false
    .vgpr_count:     6
    .vgpr_spill_count: 0
    .wavefront_size: 64
  - .agpr_count:     0
    .args:
      - .offset:         0
        .size:           120
        .value_kind:     by_value
    .group_segment_fixed_size: 0
    .kernarg_segment_align: 8
    .kernarg_segment_size: 120
    .language:       OpenCL C
    .language_version:
      - 2
      - 0
    .max_flat_workgroup_size: 512
    .name:           _ZN7rocprim17ROCPRIM_400000_NS6detail17trampoline_kernelINS0_14default_configENS1_25partition_config_selectorILNS1_17partition_subalgoE8ElNS0_10empty_typeEbEEZZNS1_14partition_implILS5_8ELb0ES3_jPlPS6_PKS6_NS0_5tupleIJS9_S6_EEENSD_IJSA_SA_EEENS0_18inequality_wrapperIZN2at6native12_GLOBAL__N_124unique_dim_cuda_templateIhEESt5tupleIJNSH_6TensorESM_SM_EERKSM_lbbbEUlllE0_EEPmJS6_EEE10hipError_tPvRmT3_T4_T5_T6_T7_T9_mT8_P12ihipStream_tbDpT10_ENKUlT_T0_E_clISt17integral_constantIbLb1EES1B_IbLb0EEEEDaS17_S18_EUlS17_E_NS1_11comp_targetILNS1_3genE0ELNS1_11target_archE4294967295ELNS1_3gpuE0ELNS1_3repE0EEENS1_30default_config_static_selectorELNS0_4arch9wavefront6targetE1EEEvT1_
    .private_segment_fixed_size: 0
    .sgpr_count:     6
    .sgpr_spill_count: 0
    .symbol:         _ZN7rocprim17ROCPRIM_400000_NS6detail17trampoline_kernelINS0_14default_configENS1_25partition_config_selectorILNS1_17partition_subalgoE8ElNS0_10empty_typeEbEEZZNS1_14partition_implILS5_8ELb0ES3_jPlPS6_PKS6_NS0_5tupleIJS9_S6_EEENSD_IJSA_SA_EEENS0_18inequality_wrapperIZN2at6native12_GLOBAL__N_124unique_dim_cuda_templateIhEESt5tupleIJNSH_6TensorESM_SM_EERKSM_lbbbEUlllE0_EEPmJS6_EEE10hipError_tPvRmT3_T4_T5_T6_T7_T9_mT8_P12ihipStream_tbDpT10_ENKUlT_T0_E_clISt17integral_constantIbLb1EES1B_IbLb0EEEEDaS17_S18_EUlS17_E_NS1_11comp_targetILNS1_3genE0ELNS1_11target_archE4294967295ELNS1_3gpuE0ELNS1_3repE0EEENS1_30default_config_static_selectorELNS0_4arch9wavefront6targetE1EEEvT1_.kd
    .uniform_work_group_size: 1
    .uses_dynamic_stack: false
    .vgpr_count:     0
    .vgpr_spill_count: 0
    .wavefront_size: 64
  - .agpr_count:     0
    .args:
      - .offset:         0
        .size:           120
        .value_kind:     by_value
    .group_segment_fixed_size: 28684
    .kernarg_segment_align: 8
    .kernarg_segment_size: 120
    .language:       OpenCL C
    .language_version:
      - 2
      - 0
    .max_flat_workgroup_size: 512
    .name:           _ZN7rocprim17ROCPRIM_400000_NS6detail17trampoline_kernelINS0_14default_configENS1_25partition_config_selectorILNS1_17partition_subalgoE8ElNS0_10empty_typeEbEEZZNS1_14partition_implILS5_8ELb0ES3_jPlPS6_PKS6_NS0_5tupleIJS9_S6_EEENSD_IJSA_SA_EEENS0_18inequality_wrapperIZN2at6native12_GLOBAL__N_124unique_dim_cuda_templateIhEESt5tupleIJNSH_6TensorESM_SM_EERKSM_lbbbEUlllE0_EEPmJS6_EEE10hipError_tPvRmT3_T4_T5_T6_T7_T9_mT8_P12ihipStream_tbDpT10_ENKUlT_T0_E_clISt17integral_constantIbLb1EES1B_IbLb0EEEEDaS17_S18_EUlS17_E_NS1_11comp_targetILNS1_3genE5ELNS1_11target_archE942ELNS1_3gpuE9ELNS1_3repE0EEENS1_30default_config_static_selectorELNS0_4arch9wavefront6targetE1EEEvT1_
    .private_segment_fixed_size: 0
    .sgpr_count:     58
    .sgpr_spill_count: 0
    .symbol:         _ZN7rocprim17ROCPRIM_400000_NS6detail17trampoline_kernelINS0_14default_configENS1_25partition_config_selectorILNS1_17partition_subalgoE8ElNS0_10empty_typeEbEEZZNS1_14partition_implILS5_8ELb0ES3_jPlPS6_PKS6_NS0_5tupleIJS9_S6_EEENSD_IJSA_SA_EEENS0_18inequality_wrapperIZN2at6native12_GLOBAL__N_124unique_dim_cuda_templateIhEESt5tupleIJNSH_6TensorESM_SM_EERKSM_lbbbEUlllE0_EEPmJS6_EEE10hipError_tPvRmT3_T4_T5_T6_T7_T9_mT8_P12ihipStream_tbDpT10_ENKUlT_T0_E_clISt17integral_constantIbLb1EES1B_IbLb0EEEEDaS17_S18_EUlS17_E_NS1_11comp_targetILNS1_3genE5ELNS1_11target_archE942ELNS1_3gpuE9ELNS1_3repE0EEENS1_30default_config_static_selectorELNS0_4arch9wavefront6targetE1EEEvT1_.kd
    .uniform_work_group_size: 1
    .uses_dynamic_stack: false
    .vgpr_count:     52
    .vgpr_spill_count: 0
    .wavefront_size: 64
  - .agpr_count:     0
    .args:
      - .offset:         0
        .size:           120
        .value_kind:     by_value
    .group_segment_fixed_size: 0
    .kernarg_segment_align: 8
    .kernarg_segment_size: 120
    .language:       OpenCL C
    .language_version:
      - 2
      - 0
    .max_flat_workgroup_size: 256
    .name:           _ZN7rocprim17ROCPRIM_400000_NS6detail17trampoline_kernelINS0_14default_configENS1_25partition_config_selectorILNS1_17partition_subalgoE8ElNS0_10empty_typeEbEEZZNS1_14partition_implILS5_8ELb0ES3_jPlPS6_PKS6_NS0_5tupleIJS9_S6_EEENSD_IJSA_SA_EEENS0_18inequality_wrapperIZN2at6native12_GLOBAL__N_124unique_dim_cuda_templateIhEESt5tupleIJNSH_6TensorESM_SM_EERKSM_lbbbEUlllE0_EEPmJS6_EEE10hipError_tPvRmT3_T4_T5_T6_T7_T9_mT8_P12ihipStream_tbDpT10_ENKUlT_T0_E_clISt17integral_constantIbLb1EES1B_IbLb0EEEEDaS17_S18_EUlS17_E_NS1_11comp_targetILNS1_3genE4ELNS1_11target_archE910ELNS1_3gpuE8ELNS1_3repE0EEENS1_30default_config_static_selectorELNS0_4arch9wavefront6targetE1EEEvT1_
    .private_segment_fixed_size: 0
    .sgpr_count:     6
    .sgpr_spill_count: 0
    .symbol:         _ZN7rocprim17ROCPRIM_400000_NS6detail17trampoline_kernelINS0_14default_configENS1_25partition_config_selectorILNS1_17partition_subalgoE8ElNS0_10empty_typeEbEEZZNS1_14partition_implILS5_8ELb0ES3_jPlPS6_PKS6_NS0_5tupleIJS9_S6_EEENSD_IJSA_SA_EEENS0_18inequality_wrapperIZN2at6native12_GLOBAL__N_124unique_dim_cuda_templateIhEESt5tupleIJNSH_6TensorESM_SM_EERKSM_lbbbEUlllE0_EEPmJS6_EEE10hipError_tPvRmT3_T4_T5_T6_T7_T9_mT8_P12ihipStream_tbDpT10_ENKUlT_T0_E_clISt17integral_constantIbLb1EES1B_IbLb0EEEEDaS17_S18_EUlS17_E_NS1_11comp_targetILNS1_3genE4ELNS1_11target_archE910ELNS1_3gpuE8ELNS1_3repE0EEENS1_30default_config_static_selectorELNS0_4arch9wavefront6targetE1EEEvT1_.kd
    .uniform_work_group_size: 1
    .uses_dynamic_stack: false
    .vgpr_count:     0
    .vgpr_spill_count: 0
    .wavefront_size: 64
  - .agpr_count:     0
    .args:
      - .offset:         0
        .size:           120
        .value_kind:     by_value
    .group_segment_fixed_size: 0
    .kernarg_segment_align: 8
    .kernarg_segment_size: 120
    .language:       OpenCL C
    .language_version:
      - 2
      - 0
    .max_flat_workgroup_size: 512
    .name:           _ZN7rocprim17ROCPRIM_400000_NS6detail17trampoline_kernelINS0_14default_configENS1_25partition_config_selectorILNS1_17partition_subalgoE8ElNS0_10empty_typeEbEEZZNS1_14partition_implILS5_8ELb0ES3_jPlPS6_PKS6_NS0_5tupleIJS9_S6_EEENSD_IJSA_SA_EEENS0_18inequality_wrapperIZN2at6native12_GLOBAL__N_124unique_dim_cuda_templateIhEESt5tupleIJNSH_6TensorESM_SM_EERKSM_lbbbEUlllE0_EEPmJS6_EEE10hipError_tPvRmT3_T4_T5_T6_T7_T9_mT8_P12ihipStream_tbDpT10_ENKUlT_T0_E_clISt17integral_constantIbLb1EES1B_IbLb0EEEEDaS17_S18_EUlS17_E_NS1_11comp_targetILNS1_3genE3ELNS1_11target_archE908ELNS1_3gpuE7ELNS1_3repE0EEENS1_30default_config_static_selectorELNS0_4arch9wavefront6targetE1EEEvT1_
    .private_segment_fixed_size: 0
    .sgpr_count:     6
    .sgpr_spill_count: 0
    .symbol:         _ZN7rocprim17ROCPRIM_400000_NS6detail17trampoline_kernelINS0_14default_configENS1_25partition_config_selectorILNS1_17partition_subalgoE8ElNS0_10empty_typeEbEEZZNS1_14partition_implILS5_8ELb0ES3_jPlPS6_PKS6_NS0_5tupleIJS9_S6_EEENSD_IJSA_SA_EEENS0_18inequality_wrapperIZN2at6native12_GLOBAL__N_124unique_dim_cuda_templateIhEESt5tupleIJNSH_6TensorESM_SM_EERKSM_lbbbEUlllE0_EEPmJS6_EEE10hipError_tPvRmT3_T4_T5_T6_T7_T9_mT8_P12ihipStream_tbDpT10_ENKUlT_T0_E_clISt17integral_constantIbLb1EES1B_IbLb0EEEEDaS17_S18_EUlS17_E_NS1_11comp_targetILNS1_3genE3ELNS1_11target_archE908ELNS1_3gpuE7ELNS1_3repE0EEENS1_30default_config_static_selectorELNS0_4arch9wavefront6targetE1EEEvT1_.kd
    .uniform_work_group_size: 1
    .uses_dynamic_stack: false
    .vgpr_count:     0
    .vgpr_spill_count: 0
    .wavefront_size: 64
  - .agpr_count:     0
    .args:
      - .offset:         0
        .size:           120
        .value_kind:     by_value
    .group_segment_fixed_size: 0
    .kernarg_segment_align: 8
    .kernarg_segment_size: 120
    .language:       OpenCL C
    .language_version:
      - 2
      - 0
    .max_flat_workgroup_size: 256
    .name:           _ZN7rocprim17ROCPRIM_400000_NS6detail17trampoline_kernelINS0_14default_configENS1_25partition_config_selectorILNS1_17partition_subalgoE8ElNS0_10empty_typeEbEEZZNS1_14partition_implILS5_8ELb0ES3_jPlPS6_PKS6_NS0_5tupleIJS9_S6_EEENSD_IJSA_SA_EEENS0_18inequality_wrapperIZN2at6native12_GLOBAL__N_124unique_dim_cuda_templateIhEESt5tupleIJNSH_6TensorESM_SM_EERKSM_lbbbEUlllE0_EEPmJS6_EEE10hipError_tPvRmT3_T4_T5_T6_T7_T9_mT8_P12ihipStream_tbDpT10_ENKUlT_T0_E_clISt17integral_constantIbLb1EES1B_IbLb0EEEEDaS17_S18_EUlS17_E_NS1_11comp_targetILNS1_3genE2ELNS1_11target_archE906ELNS1_3gpuE6ELNS1_3repE0EEENS1_30default_config_static_selectorELNS0_4arch9wavefront6targetE1EEEvT1_
    .private_segment_fixed_size: 0
    .sgpr_count:     6
    .sgpr_spill_count: 0
    .symbol:         _ZN7rocprim17ROCPRIM_400000_NS6detail17trampoline_kernelINS0_14default_configENS1_25partition_config_selectorILNS1_17partition_subalgoE8ElNS0_10empty_typeEbEEZZNS1_14partition_implILS5_8ELb0ES3_jPlPS6_PKS6_NS0_5tupleIJS9_S6_EEENSD_IJSA_SA_EEENS0_18inequality_wrapperIZN2at6native12_GLOBAL__N_124unique_dim_cuda_templateIhEESt5tupleIJNSH_6TensorESM_SM_EERKSM_lbbbEUlllE0_EEPmJS6_EEE10hipError_tPvRmT3_T4_T5_T6_T7_T9_mT8_P12ihipStream_tbDpT10_ENKUlT_T0_E_clISt17integral_constantIbLb1EES1B_IbLb0EEEEDaS17_S18_EUlS17_E_NS1_11comp_targetILNS1_3genE2ELNS1_11target_archE906ELNS1_3gpuE6ELNS1_3repE0EEENS1_30default_config_static_selectorELNS0_4arch9wavefront6targetE1EEEvT1_.kd
    .uniform_work_group_size: 1
    .uses_dynamic_stack: false
    .vgpr_count:     0
    .vgpr_spill_count: 0
    .wavefront_size: 64
  - .agpr_count:     0
    .args:
      - .offset:         0
        .size:           120
        .value_kind:     by_value
    .group_segment_fixed_size: 0
    .kernarg_segment_align: 8
    .kernarg_segment_size: 120
    .language:       OpenCL C
    .language_version:
      - 2
      - 0
    .max_flat_workgroup_size: 384
    .name:           _ZN7rocprim17ROCPRIM_400000_NS6detail17trampoline_kernelINS0_14default_configENS1_25partition_config_selectorILNS1_17partition_subalgoE8ElNS0_10empty_typeEbEEZZNS1_14partition_implILS5_8ELb0ES3_jPlPS6_PKS6_NS0_5tupleIJS9_S6_EEENSD_IJSA_SA_EEENS0_18inequality_wrapperIZN2at6native12_GLOBAL__N_124unique_dim_cuda_templateIhEESt5tupleIJNSH_6TensorESM_SM_EERKSM_lbbbEUlllE0_EEPmJS6_EEE10hipError_tPvRmT3_T4_T5_T6_T7_T9_mT8_P12ihipStream_tbDpT10_ENKUlT_T0_E_clISt17integral_constantIbLb1EES1B_IbLb0EEEEDaS17_S18_EUlS17_E_NS1_11comp_targetILNS1_3genE10ELNS1_11target_archE1200ELNS1_3gpuE4ELNS1_3repE0EEENS1_30default_config_static_selectorELNS0_4arch9wavefront6targetE1EEEvT1_
    .private_segment_fixed_size: 0
    .sgpr_count:     6
    .sgpr_spill_count: 0
    .symbol:         _ZN7rocprim17ROCPRIM_400000_NS6detail17trampoline_kernelINS0_14default_configENS1_25partition_config_selectorILNS1_17partition_subalgoE8ElNS0_10empty_typeEbEEZZNS1_14partition_implILS5_8ELb0ES3_jPlPS6_PKS6_NS0_5tupleIJS9_S6_EEENSD_IJSA_SA_EEENS0_18inequality_wrapperIZN2at6native12_GLOBAL__N_124unique_dim_cuda_templateIhEESt5tupleIJNSH_6TensorESM_SM_EERKSM_lbbbEUlllE0_EEPmJS6_EEE10hipError_tPvRmT3_T4_T5_T6_T7_T9_mT8_P12ihipStream_tbDpT10_ENKUlT_T0_E_clISt17integral_constantIbLb1EES1B_IbLb0EEEEDaS17_S18_EUlS17_E_NS1_11comp_targetILNS1_3genE10ELNS1_11target_archE1200ELNS1_3gpuE4ELNS1_3repE0EEENS1_30default_config_static_selectorELNS0_4arch9wavefront6targetE1EEEvT1_.kd
    .uniform_work_group_size: 1
    .uses_dynamic_stack: false
    .vgpr_count:     0
    .vgpr_spill_count: 0
    .wavefront_size: 64
  - .agpr_count:     0
    .args:
      - .offset:         0
        .size:           120
        .value_kind:     by_value
    .group_segment_fixed_size: 0
    .kernarg_segment_align: 8
    .kernarg_segment_size: 120
    .language:       OpenCL C
    .language_version:
      - 2
      - 0
    .max_flat_workgroup_size: 512
    .name:           _ZN7rocprim17ROCPRIM_400000_NS6detail17trampoline_kernelINS0_14default_configENS1_25partition_config_selectorILNS1_17partition_subalgoE8ElNS0_10empty_typeEbEEZZNS1_14partition_implILS5_8ELb0ES3_jPlPS6_PKS6_NS0_5tupleIJS9_S6_EEENSD_IJSA_SA_EEENS0_18inequality_wrapperIZN2at6native12_GLOBAL__N_124unique_dim_cuda_templateIhEESt5tupleIJNSH_6TensorESM_SM_EERKSM_lbbbEUlllE0_EEPmJS6_EEE10hipError_tPvRmT3_T4_T5_T6_T7_T9_mT8_P12ihipStream_tbDpT10_ENKUlT_T0_E_clISt17integral_constantIbLb1EES1B_IbLb0EEEEDaS17_S18_EUlS17_E_NS1_11comp_targetILNS1_3genE9ELNS1_11target_archE1100ELNS1_3gpuE3ELNS1_3repE0EEENS1_30default_config_static_selectorELNS0_4arch9wavefront6targetE1EEEvT1_
    .private_segment_fixed_size: 0
    .sgpr_count:     6
    .sgpr_spill_count: 0
    .symbol:         _ZN7rocprim17ROCPRIM_400000_NS6detail17trampoline_kernelINS0_14default_configENS1_25partition_config_selectorILNS1_17partition_subalgoE8ElNS0_10empty_typeEbEEZZNS1_14partition_implILS5_8ELb0ES3_jPlPS6_PKS6_NS0_5tupleIJS9_S6_EEENSD_IJSA_SA_EEENS0_18inequality_wrapperIZN2at6native12_GLOBAL__N_124unique_dim_cuda_templateIhEESt5tupleIJNSH_6TensorESM_SM_EERKSM_lbbbEUlllE0_EEPmJS6_EEE10hipError_tPvRmT3_T4_T5_T6_T7_T9_mT8_P12ihipStream_tbDpT10_ENKUlT_T0_E_clISt17integral_constantIbLb1EES1B_IbLb0EEEEDaS17_S18_EUlS17_E_NS1_11comp_targetILNS1_3genE9ELNS1_11target_archE1100ELNS1_3gpuE3ELNS1_3repE0EEENS1_30default_config_static_selectorELNS0_4arch9wavefront6targetE1EEEvT1_.kd
    .uniform_work_group_size: 1
    .uses_dynamic_stack: false
    .vgpr_count:     0
    .vgpr_spill_count: 0
    .wavefront_size: 64
  - .agpr_count:     0
    .args:
      - .offset:         0
        .size:           120
        .value_kind:     by_value
    .group_segment_fixed_size: 0
    .kernarg_segment_align: 8
    .kernarg_segment_size: 120
    .language:       OpenCL C
    .language_version:
      - 2
      - 0
    .max_flat_workgroup_size: 512
    .name:           _ZN7rocprim17ROCPRIM_400000_NS6detail17trampoline_kernelINS0_14default_configENS1_25partition_config_selectorILNS1_17partition_subalgoE8ElNS0_10empty_typeEbEEZZNS1_14partition_implILS5_8ELb0ES3_jPlPS6_PKS6_NS0_5tupleIJS9_S6_EEENSD_IJSA_SA_EEENS0_18inequality_wrapperIZN2at6native12_GLOBAL__N_124unique_dim_cuda_templateIhEESt5tupleIJNSH_6TensorESM_SM_EERKSM_lbbbEUlllE0_EEPmJS6_EEE10hipError_tPvRmT3_T4_T5_T6_T7_T9_mT8_P12ihipStream_tbDpT10_ENKUlT_T0_E_clISt17integral_constantIbLb1EES1B_IbLb0EEEEDaS17_S18_EUlS17_E_NS1_11comp_targetILNS1_3genE8ELNS1_11target_archE1030ELNS1_3gpuE2ELNS1_3repE0EEENS1_30default_config_static_selectorELNS0_4arch9wavefront6targetE1EEEvT1_
    .private_segment_fixed_size: 0
    .sgpr_count:     6
    .sgpr_spill_count: 0
    .symbol:         _ZN7rocprim17ROCPRIM_400000_NS6detail17trampoline_kernelINS0_14default_configENS1_25partition_config_selectorILNS1_17partition_subalgoE8ElNS0_10empty_typeEbEEZZNS1_14partition_implILS5_8ELb0ES3_jPlPS6_PKS6_NS0_5tupleIJS9_S6_EEENSD_IJSA_SA_EEENS0_18inequality_wrapperIZN2at6native12_GLOBAL__N_124unique_dim_cuda_templateIhEESt5tupleIJNSH_6TensorESM_SM_EERKSM_lbbbEUlllE0_EEPmJS6_EEE10hipError_tPvRmT3_T4_T5_T6_T7_T9_mT8_P12ihipStream_tbDpT10_ENKUlT_T0_E_clISt17integral_constantIbLb1EES1B_IbLb0EEEEDaS17_S18_EUlS17_E_NS1_11comp_targetILNS1_3genE8ELNS1_11target_archE1030ELNS1_3gpuE2ELNS1_3repE0EEENS1_30default_config_static_selectorELNS0_4arch9wavefront6targetE1EEEvT1_.kd
    .uniform_work_group_size: 1
    .uses_dynamic_stack: false
    .vgpr_count:     0
    .vgpr_spill_count: 0
    .wavefront_size: 64
  - .agpr_count:     0
    .args:
      - .address_space:  global
        .offset:         0
        .size:           8
        .value_kind:     global_buffer
      - .offset:         8
        .size:           4
        .value_kind:     by_value
      - .address_space:  global
        .offset:         16
        .size:           8
        .value_kind:     global_buffer
      - .offset:         24
        .size:           4
        .value_kind:     by_value
      - .address_space:  global
        .offset:         32
        .size:           8
        .value_kind:     global_buffer
      - .offset:         40
        .size:           4
        .value_kind:     hidden_block_count_x
      - .offset:         44
        .size:           4
        .value_kind:     hidden_block_count_y
      - .offset:         48
        .size:           4
        .value_kind:     hidden_block_count_z
      - .offset:         52
        .size:           2
        .value_kind:     hidden_group_size_x
      - .offset:         54
        .size:           2
        .value_kind:     hidden_group_size_y
      - .offset:         56
        .size:           2
        .value_kind:     hidden_group_size_z
      - .offset:         58
        .size:           2
        .value_kind:     hidden_remainder_x
      - .offset:         60
        .size:           2
        .value_kind:     hidden_remainder_y
      - .offset:         62
        .size:           2
        .value_kind:     hidden_remainder_z
      - .offset:         80
        .size:           8
        .value_kind:     hidden_global_offset_x
      - .offset:         88
        .size:           8
        .value_kind:     hidden_global_offset_y
      - .offset:         96
        .size:           8
        .value_kind:     hidden_global_offset_z
      - .offset:         104
        .size:           2
        .value_kind:     hidden_grid_dims
    .group_segment_fixed_size: 0
    .kernarg_segment_align: 8
    .kernarg_segment_size: 296
    .language:       OpenCL C
    .language_version:
      - 2
      - 0
    .max_flat_workgroup_size: 256
    .name:           _ZN7rocprim17ROCPRIM_400000_NS6detail31init_lookback_scan_state_kernelINS1_19lookback_scan_stateIjLb0ELb1EEENS1_16block_id_wrapperIjLb1EEEEEvT_jT0_jPNS7_10value_typeE
    .private_segment_fixed_size: 0
    .sgpr_count:     17
    .sgpr_spill_count: 0
    .symbol:         _ZN7rocprim17ROCPRIM_400000_NS6detail31init_lookback_scan_state_kernelINS1_19lookback_scan_stateIjLb0ELb1EEENS1_16block_id_wrapperIjLb1EEEEEvT_jT0_jPNS7_10value_typeE.kd
    .uniform_work_group_size: 1
    .uses_dynamic_stack: false
    .vgpr_count:     6
    .vgpr_spill_count: 0
    .wavefront_size: 64
  - .agpr_count:     0
    .args:
      - .offset:         0
        .size:           136
        .value_kind:     by_value
    .group_segment_fixed_size: 0
    .kernarg_segment_align: 8
    .kernarg_segment_size: 136
    .language:       OpenCL C
    .language_version:
      - 2
      - 0
    .max_flat_workgroup_size: 512
    .name:           _ZN7rocprim17ROCPRIM_400000_NS6detail17trampoline_kernelINS0_14default_configENS1_25partition_config_selectorILNS1_17partition_subalgoE8ElNS0_10empty_typeEbEEZZNS1_14partition_implILS5_8ELb0ES3_jPlPS6_PKS6_NS0_5tupleIJS9_S6_EEENSD_IJSA_SA_EEENS0_18inequality_wrapperIZN2at6native12_GLOBAL__N_124unique_dim_cuda_templateIhEESt5tupleIJNSH_6TensorESM_SM_EERKSM_lbbbEUlllE0_EEPmJS6_EEE10hipError_tPvRmT3_T4_T5_T6_T7_T9_mT8_P12ihipStream_tbDpT10_ENKUlT_T0_E_clISt17integral_constantIbLb0EES1B_IbLb1EEEEDaS17_S18_EUlS17_E_NS1_11comp_targetILNS1_3genE0ELNS1_11target_archE4294967295ELNS1_3gpuE0ELNS1_3repE0EEENS1_30default_config_static_selectorELNS0_4arch9wavefront6targetE1EEEvT1_
    .private_segment_fixed_size: 0
    .sgpr_count:     6
    .sgpr_spill_count: 0
    .symbol:         _ZN7rocprim17ROCPRIM_400000_NS6detail17trampoline_kernelINS0_14default_configENS1_25partition_config_selectorILNS1_17partition_subalgoE8ElNS0_10empty_typeEbEEZZNS1_14partition_implILS5_8ELb0ES3_jPlPS6_PKS6_NS0_5tupleIJS9_S6_EEENSD_IJSA_SA_EEENS0_18inequality_wrapperIZN2at6native12_GLOBAL__N_124unique_dim_cuda_templateIhEESt5tupleIJNSH_6TensorESM_SM_EERKSM_lbbbEUlllE0_EEPmJS6_EEE10hipError_tPvRmT3_T4_T5_T6_T7_T9_mT8_P12ihipStream_tbDpT10_ENKUlT_T0_E_clISt17integral_constantIbLb0EES1B_IbLb1EEEEDaS17_S18_EUlS17_E_NS1_11comp_targetILNS1_3genE0ELNS1_11target_archE4294967295ELNS1_3gpuE0ELNS1_3repE0EEENS1_30default_config_static_selectorELNS0_4arch9wavefront6targetE1EEEvT1_.kd
    .uniform_work_group_size: 1
    .uses_dynamic_stack: false
    .vgpr_count:     0
    .vgpr_spill_count: 0
    .wavefront_size: 64
  - .agpr_count:     0
    .args:
      - .offset:         0
        .size:           136
        .value_kind:     by_value
    .group_segment_fixed_size: 28684
    .kernarg_segment_align: 8
    .kernarg_segment_size: 136
    .language:       OpenCL C
    .language_version:
      - 2
      - 0
    .max_flat_workgroup_size: 512
    .name:           _ZN7rocprim17ROCPRIM_400000_NS6detail17trampoline_kernelINS0_14default_configENS1_25partition_config_selectorILNS1_17partition_subalgoE8ElNS0_10empty_typeEbEEZZNS1_14partition_implILS5_8ELb0ES3_jPlPS6_PKS6_NS0_5tupleIJS9_S6_EEENSD_IJSA_SA_EEENS0_18inequality_wrapperIZN2at6native12_GLOBAL__N_124unique_dim_cuda_templateIhEESt5tupleIJNSH_6TensorESM_SM_EERKSM_lbbbEUlllE0_EEPmJS6_EEE10hipError_tPvRmT3_T4_T5_T6_T7_T9_mT8_P12ihipStream_tbDpT10_ENKUlT_T0_E_clISt17integral_constantIbLb0EES1B_IbLb1EEEEDaS17_S18_EUlS17_E_NS1_11comp_targetILNS1_3genE5ELNS1_11target_archE942ELNS1_3gpuE9ELNS1_3repE0EEENS1_30default_config_static_selectorELNS0_4arch9wavefront6targetE1EEEvT1_
    .private_segment_fixed_size: 0
    .sgpr_count:     62
    .sgpr_spill_count: 0
    .symbol:         _ZN7rocprim17ROCPRIM_400000_NS6detail17trampoline_kernelINS0_14default_configENS1_25partition_config_selectorILNS1_17partition_subalgoE8ElNS0_10empty_typeEbEEZZNS1_14partition_implILS5_8ELb0ES3_jPlPS6_PKS6_NS0_5tupleIJS9_S6_EEENSD_IJSA_SA_EEENS0_18inequality_wrapperIZN2at6native12_GLOBAL__N_124unique_dim_cuda_templateIhEESt5tupleIJNSH_6TensorESM_SM_EERKSM_lbbbEUlllE0_EEPmJS6_EEE10hipError_tPvRmT3_T4_T5_T6_T7_T9_mT8_P12ihipStream_tbDpT10_ENKUlT_T0_E_clISt17integral_constantIbLb0EES1B_IbLb1EEEEDaS17_S18_EUlS17_E_NS1_11comp_targetILNS1_3genE5ELNS1_11target_archE942ELNS1_3gpuE9ELNS1_3repE0EEENS1_30default_config_static_selectorELNS0_4arch9wavefront6targetE1EEEvT1_.kd
    .uniform_work_group_size: 1
    .uses_dynamic_stack: false
    .vgpr_count:     52
    .vgpr_spill_count: 0
    .wavefront_size: 64
  - .agpr_count:     0
    .args:
      - .offset:         0
        .size:           136
        .value_kind:     by_value
    .group_segment_fixed_size: 0
    .kernarg_segment_align: 8
    .kernarg_segment_size: 136
    .language:       OpenCL C
    .language_version:
      - 2
      - 0
    .max_flat_workgroup_size: 256
    .name:           _ZN7rocprim17ROCPRIM_400000_NS6detail17trampoline_kernelINS0_14default_configENS1_25partition_config_selectorILNS1_17partition_subalgoE8ElNS0_10empty_typeEbEEZZNS1_14partition_implILS5_8ELb0ES3_jPlPS6_PKS6_NS0_5tupleIJS9_S6_EEENSD_IJSA_SA_EEENS0_18inequality_wrapperIZN2at6native12_GLOBAL__N_124unique_dim_cuda_templateIhEESt5tupleIJNSH_6TensorESM_SM_EERKSM_lbbbEUlllE0_EEPmJS6_EEE10hipError_tPvRmT3_T4_T5_T6_T7_T9_mT8_P12ihipStream_tbDpT10_ENKUlT_T0_E_clISt17integral_constantIbLb0EES1B_IbLb1EEEEDaS17_S18_EUlS17_E_NS1_11comp_targetILNS1_3genE4ELNS1_11target_archE910ELNS1_3gpuE8ELNS1_3repE0EEENS1_30default_config_static_selectorELNS0_4arch9wavefront6targetE1EEEvT1_
    .private_segment_fixed_size: 0
    .sgpr_count:     6
    .sgpr_spill_count: 0
    .symbol:         _ZN7rocprim17ROCPRIM_400000_NS6detail17trampoline_kernelINS0_14default_configENS1_25partition_config_selectorILNS1_17partition_subalgoE8ElNS0_10empty_typeEbEEZZNS1_14partition_implILS5_8ELb0ES3_jPlPS6_PKS6_NS0_5tupleIJS9_S6_EEENSD_IJSA_SA_EEENS0_18inequality_wrapperIZN2at6native12_GLOBAL__N_124unique_dim_cuda_templateIhEESt5tupleIJNSH_6TensorESM_SM_EERKSM_lbbbEUlllE0_EEPmJS6_EEE10hipError_tPvRmT3_T4_T5_T6_T7_T9_mT8_P12ihipStream_tbDpT10_ENKUlT_T0_E_clISt17integral_constantIbLb0EES1B_IbLb1EEEEDaS17_S18_EUlS17_E_NS1_11comp_targetILNS1_3genE4ELNS1_11target_archE910ELNS1_3gpuE8ELNS1_3repE0EEENS1_30default_config_static_selectorELNS0_4arch9wavefront6targetE1EEEvT1_.kd
    .uniform_work_group_size: 1
    .uses_dynamic_stack: false
    .vgpr_count:     0
    .vgpr_spill_count: 0
    .wavefront_size: 64
  - .agpr_count:     0
    .args:
      - .offset:         0
        .size:           136
        .value_kind:     by_value
    .group_segment_fixed_size: 0
    .kernarg_segment_align: 8
    .kernarg_segment_size: 136
    .language:       OpenCL C
    .language_version:
      - 2
      - 0
    .max_flat_workgroup_size: 512
    .name:           _ZN7rocprim17ROCPRIM_400000_NS6detail17trampoline_kernelINS0_14default_configENS1_25partition_config_selectorILNS1_17partition_subalgoE8ElNS0_10empty_typeEbEEZZNS1_14partition_implILS5_8ELb0ES3_jPlPS6_PKS6_NS0_5tupleIJS9_S6_EEENSD_IJSA_SA_EEENS0_18inequality_wrapperIZN2at6native12_GLOBAL__N_124unique_dim_cuda_templateIhEESt5tupleIJNSH_6TensorESM_SM_EERKSM_lbbbEUlllE0_EEPmJS6_EEE10hipError_tPvRmT3_T4_T5_T6_T7_T9_mT8_P12ihipStream_tbDpT10_ENKUlT_T0_E_clISt17integral_constantIbLb0EES1B_IbLb1EEEEDaS17_S18_EUlS17_E_NS1_11comp_targetILNS1_3genE3ELNS1_11target_archE908ELNS1_3gpuE7ELNS1_3repE0EEENS1_30default_config_static_selectorELNS0_4arch9wavefront6targetE1EEEvT1_
    .private_segment_fixed_size: 0
    .sgpr_count:     6
    .sgpr_spill_count: 0
    .symbol:         _ZN7rocprim17ROCPRIM_400000_NS6detail17trampoline_kernelINS0_14default_configENS1_25partition_config_selectorILNS1_17partition_subalgoE8ElNS0_10empty_typeEbEEZZNS1_14partition_implILS5_8ELb0ES3_jPlPS6_PKS6_NS0_5tupleIJS9_S6_EEENSD_IJSA_SA_EEENS0_18inequality_wrapperIZN2at6native12_GLOBAL__N_124unique_dim_cuda_templateIhEESt5tupleIJNSH_6TensorESM_SM_EERKSM_lbbbEUlllE0_EEPmJS6_EEE10hipError_tPvRmT3_T4_T5_T6_T7_T9_mT8_P12ihipStream_tbDpT10_ENKUlT_T0_E_clISt17integral_constantIbLb0EES1B_IbLb1EEEEDaS17_S18_EUlS17_E_NS1_11comp_targetILNS1_3genE3ELNS1_11target_archE908ELNS1_3gpuE7ELNS1_3repE0EEENS1_30default_config_static_selectorELNS0_4arch9wavefront6targetE1EEEvT1_.kd
    .uniform_work_group_size: 1
    .uses_dynamic_stack: false
    .vgpr_count:     0
    .vgpr_spill_count: 0
    .wavefront_size: 64
  - .agpr_count:     0
    .args:
      - .offset:         0
        .size:           136
        .value_kind:     by_value
    .group_segment_fixed_size: 0
    .kernarg_segment_align: 8
    .kernarg_segment_size: 136
    .language:       OpenCL C
    .language_version:
      - 2
      - 0
    .max_flat_workgroup_size: 256
    .name:           _ZN7rocprim17ROCPRIM_400000_NS6detail17trampoline_kernelINS0_14default_configENS1_25partition_config_selectorILNS1_17partition_subalgoE8ElNS0_10empty_typeEbEEZZNS1_14partition_implILS5_8ELb0ES3_jPlPS6_PKS6_NS0_5tupleIJS9_S6_EEENSD_IJSA_SA_EEENS0_18inequality_wrapperIZN2at6native12_GLOBAL__N_124unique_dim_cuda_templateIhEESt5tupleIJNSH_6TensorESM_SM_EERKSM_lbbbEUlllE0_EEPmJS6_EEE10hipError_tPvRmT3_T4_T5_T6_T7_T9_mT8_P12ihipStream_tbDpT10_ENKUlT_T0_E_clISt17integral_constantIbLb0EES1B_IbLb1EEEEDaS17_S18_EUlS17_E_NS1_11comp_targetILNS1_3genE2ELNS1_11target_archE906ELNS1_3gpuE6ELNS1_3repE0EEENS1_30default_config_static_selectorELNS0_4arch9wavefront6targetE1EEEvT1_
    .private_segment_fixed_size: 0
    .sgpr_count:     6
    .sgpr_spill_count: 0
    .symbol:         _ZN7rocprim17ROCPRIM_400000_NS6detail17trampoline_kernelINS0_14default_configENS1_25partition_config_selectorILNS1_17partition_subalgoE8ElNS0_10empty_typeEbEEZZNS1_14partition_implILS5_8ELb0ES3_jPlPS6_PKS6_NS0_5tupleIJS9_S6_EEENSD_IJSA_SA_EEENS0_18inequality_wrapperIZN2at6native12_GLOBAL__N_124unique_dim_cuda_templateIhEESt5tupleIJNSH_6TensorESM_SM_EERKSM_lbbbEUlllE0_EEPmJS6_EEE10hipError_tPvRmT3_T4_T5_T6_T7_T9_mT8_P12ihipStream_tbDpT10_ENKUlT_T0_E_clISt17integral_constantIbLb0EES1B_IbLb1EEEEDaS17_S18_EUlS17_E_NS1_11comp_targetILNS1_3genE2ELNS1_11target_archE906ELNS1_3gpuE6ELNS1_3repE0EEENS1_30default_config_static_selectorELNS0_4arch9wavefront6targetE1EEEvT1_.kd
    .uniform_work_group_size: 1
    .uses_dynamic_stack: false
    .vgpr_count:     0
    .vgpr_spill_count: 0
    .wavefront_size: 64
  - .agpr_count:     0
    .args:
      - .offset:         0
        .size:           136
        .value_kind:     by_value
    .group_segment_fixed_size: 0
    .kernarg_segment_align: 8
    .kernarg_segment_size: 136
    .language:       OpenCL C
    .language_version:
      - 2
      - 0
    .max_flat_workgroup_size: 384
    .name:           _ZN7rocprim17ROCPRIM_400000_NS6detail17trampoline_kernelINS0_14default_configENS1_25partition_config_selectorILNS1_17partition_subalgoE8ElNS0_10empty_typeEbEEZZNS1_14partition_implILS5_8ELb0ES3_jPlPS6_PKS6_NS0_5tupleIJS9_S6_EEENSD_IJSA_SA_EEENS0_18inequality_wrapperIZN2at6native12_GLOBAL__N_124unique_dim_cuda_templateIhEESt5tupleIJNSH_6TensorESM_SM_EERKSM_lbbbEUlllE0_EEPmJS6_EEE10hipError_tPvRmT3_T4_T5_T6_T7_T9_mT8_P12ihipStream_tbDpT10_ENKUlT_T0_E_clISt17integral_constantIbLb0EES1B_IbLb1EEEEDaS17_S18_EUlS17_E_NS1_11comp_targetILNS1_3genE10ELNS1_11target_archE1200ELNS1_3gpuE4ELNS1_3repE0EEENS1_30default_config_static_selectorELNS0_4arch9wavefront6targetE1EEEvT1_
    .private_segment_fixed_size: 0
    .sgpr_count:     6
    .sgpr_spill_count: 0
    .symbol:         _ZN7rocprim17ROCPRIM_400000_NS6detail17trampoline_kernelINS0_14default_configENS1_25partition_config_selectorILNS1_17partition_subalgoE8ElNS0_10empty_typeEbEEZZNS1_14partition_implILS5_8ELb0ES3_jPlPS6_PKS6_NS0_5tupleIJS9_S6_EEENSD_IJSA_SA_EEENS0_18inequality_wrapperIZN2at6native12_GLOBAL__N_124unique_dim_cuda_templateIhEESt5tupleIJNSH_6TensorESM_SM_EERKSM_lbbbEUlllE0_EEPmJS6_EEE10hipError_tPvRmT3_T4_T5_T6_T7_T9_mT8_P12ihipStream_tbDpT10_ENKUlT_T0_E_clISt17integral_constantIbLb0EES1B_IbLb1EEEEDaS17_S18_EUlS17_E_NS1_11comp_targetILNS1_3genE10ELNS1_11target_archE1200ELNS1_3gpuE4ELNS1_3repE0EEENS1_30default_config_static_selectorELNS0_4arch9wavefront6targetE1EEEvT1_.kd
    .uniform_work_group_size: 1
    .uses_dynamic_stack: false
    .vgpr_count:     0
    .vgpr_spill_count: 0
    .wavefront_size: 64
  - .agpr_count:     0
    .args:
      - .offset:         0
        .size:           136
        .value_kind:     by_value
    .group_segment_fixed_size: 0
    .kernarg_segment_align: 8
    .kernarg_segment_size: 136
    .language:       OpenCL C
    .language_version:
      - 2
      - 0
    .max_flat_workgroup_size: 512
    .name:           _ZN7rocprim17ROCPRIM_400000_NS6detail17trampoline_kernelINS0_14default_configENS1_25partition_config_selectorILNS1_17partition_subalgoE8ElNS0_10empty_typeEbEEZZNS1_14partition_implILS5_8ELb0ES3_jPlPS6_PKS6_NS0_5tupleIJS9_S6_EEENSD_IJSA_SA_EEENS0_18inequality_wrapperIZN2at6native12_GLOBAL__N_124unique_dim_cuda_templateIhEESt5tupleIJNSH_6TensorESM_SM_EERKSM_lbbbEUlllE0_EEPmJS6_EEE10hipError_tPvRmT3_T4_T5_T6_T7_T9_mT8_P12ihipStream_tbDpT10_ENKUlT_T0_E_clISt17integral_constantIbLb0EES1B_IbLb1EEEEDaS17_S18_EUlS17_E_NS1_11comp_targetILNS1_3genE9ELNS1_11target_archE1100ELNS1_3gpuE3ELNS1_3repE0EEENS1_30default_config_static_selectorELNS0_4arch9wavefront6targetE1EEEvT1_
    .private_segment_fixed_size: 0
    .sgpr_count:     6
    .sgpr_spill_count: 0
    .symbol:         _ZN7rocprim17ROCPRIM_400000_NS6detail17trampoline_kernelINS0_14default_configENS1_25partition_config_selectorILNS1_17partition_subalgoE8ElNS0_10empty_typeEbEEZZNS1_14partition_implILS5_8ELb0ES3_jPlPS6_PKS6_NS0_5tupleIJS9_S6_EEENSD_IJSA_SA_EEENS0_18inequality_wrapperIZN2at6native12_GLOBAL__N_124unique_dim_cuda_templateIhEESt5tupleIJNSH_6TensorESM_SM_EERKSM_lbbbEUlllE0_EEPmJS6_EEE10hipError_tPvRmT3_T4_T5_T6_T7_T9_mT8_P12ihipStream_tbDpT10_ENKUlT_T0_E_clISt17integral_constantIbLb0EES1B_IbLb1EEEEDaS17_S18_EUlS17_E_NS1_11comp_targetILNS1_3genE9ELNS1_11target_archE1100ELNS1_3gpuE3ELNS1_3repE0EEENS1_30default_config_static_selectorELNS0_4arch9wavefront6targetE1EEEvT1_.kd
    .uniform_work_group_size: 1
    .uses_dynamic_stack: false
    .vgpr_count:     0
    .vgpr_spill_count: 0
    .wavefront_size: 64
  - .agpr_count:     0
    .args:
      - .offset:         0
        .size:           136
        .value_kind:     by_value
    .group_segment_fixed_size: 0
    .kernarg_segment_align: 8
    .kernarg_segment_size: 136
    .language:       OpenCL C
    .language_version:
      - 2
      - 0
    .max_flat_workgroup_size: 512
    .name:           _ZN7rocprim17ROCPRIM_400000_NS6detail17trampoline_kernelINS0_14default_configENS1_25partition_config_selectorILNS1_17partition_subalgoE8ElNS0_10empty_typeEbEEZZNS1_14partition_implILS5_8ELb0ES3_jPlPS6_PKS6_NS0_5tupleIJS9_S6_EEENSD_IJSA_SA_EEENS0_18inequality_wrapperIZN2at6native12_GLOBAL__N_124unique_dim_cuda_templateIhEESt5tupleIJNSH_6TensorESM_SM_EERKSM_lbbbEUlllE0_EEPmJS6_EEE10hipError_tPvRmT3_T4_T5_T6_T7_T9_mT8_P12ihipStream_tbDpT10_ENKUlT_T0_E_clISt17integral_constantIbLb0EES1B_IbLb1EEEEDaS17_S18_EUlS17_E_NS1_11comp_targetILNS1_3genE8ELNS1_11target_archE1030ELNS1_3gpuE2ELNS1_3repE0EEENS1_30default_config_static_selectorELNS0_4arch9wavefront6targetE1EEEvT1_
    .private_segment_fixed_size: 0
    .sgpr_count:     6
    .sgpr_spill_count: 0
    .symbol:         _ZN7rocprim17ROCPRIM_400000_NS6detail17trampoline_kernelINS0_14default_configENS1_25partition_config_selectorILNS1_17partition_subalgoE8ElNS0_10empty_typeEbEEZZNS1_14partition_implILS5_8ELb0ES3_jPlPS6_PKS6_NS0_5tupleIJS9_S6_EEENSD_IJSA_SA_EEENS0_18inequality_wrapperIZN2at6native12_GLOBAL__N_124unique_dim_cuda_templateIhEESt5tupleIJNSH_6TensorESM_SM_EERKSM_lbbbEUlllE0_EEPmJS6_EEE10hipError_tPvRmT3_T4_T5_T6_T7_T9_mT8_P12ihipStream_tbDpT10_ENKUlT_T0_E_clISt17integral_constantIbLb0EES1B_IbLb1EEEEDaS17_S18_EUlS17_E_NS1_11comp_targetILNS1_3genE8ELNS1_11target_archE1030ELNS1_3gpuE2ELNS1_3repE0EEENS1_30default_config_static_selectorELNS0_4arch9wavefront6targetE1EEEvT1_.kd
    .uniform_work_group_size: 1
    .uses_dynamic_stack: false
    .vgpr_count:     0
    .vgpr_spill_count: 0
    .wavefront_size: 64
  - .agpr_count:     0
    .args:
      - .offset:         0
        .size:           120
        .value_kind:     by_value
    .group_segment_fixed_size: 0
    .kernarg_segment_align: 8
    .kernarg_segment_size: 120
    .language:       OpenCL C
    .language_version:
      - 2
      - 0
    .max_flat_workgroup_size: 128
    .name:           _ZN7rocprim17ROCPRIM_400000_NS6detail17trampoline_kernelINS0_14default_configENS1_25partition_config_selectorILNS1_17partition_subalgoE9EllbEEZZNS1_14partition_implILS5_9ELb0ES3_jPlS8_PNS0_10empty_typeENS0_5tupleIJS8_S9_EEENSB_IJS8_SA_EEENS0_18inequality_wrapperIZN2at6native12_GLOBAL__N_124unique_dim_cuda_templateIhEESt5tupleIJNSF_6TensorESK_SK_EERKSK_lbbbEUlllE0_EEPmJS9_EEE10hipError_tPvRmT3_T4_T5_T6_T7_T9_mT8_P12ihipStream_tbDpT10_ENKUlT_T0_E_clISt17integral_constantIbLb0EES1A_EEDaS15_S16_EUlS15_E_NS1_11comp_targetILNS1_3genE0ELNS1_11target_archE4294967295ELNS1_3gpuE0ELNS1_3repE0EEENS1_30default_config_static_selectorELNS0_4arch9wavefront6targetE1EEEvT1_
    .private_segment_fixed_size: 0
    .sgpr_count:     6
    .sgpr_spill_count: 0
    .symbol:         _ZN7rocprim17ROCPRIM_400000_NS6detail17trampoline_kernelINS0_14default_configENS1_25partition_config_selectorILNS1_17partition_subalgoE9EllbEEZZNS1_14partition_implILS5_9ELb0ES3_jPlS8_PNS0_10empty_typeENS0_5tupleIJS8_S9_EEENSB_IJS8_SA_EEENS0_18inequality_wrapperIZN2at6native12_GLOBAL__N_124unique_dim_cuda_templateIhEESt5tupleIJNSF_6TensorESK_SK_EERKSK_lbbbEUlllE0_EEPmJS9_EEE10hipError_tPvRmT3_T4_T5_T6_T7_T9_mT8_P12ihipStream_tbDpT10_ENKUlT_T0_E_clISt17integral_constantIbLb0EES1A_EEDaS15_S16_EUlS15_E_NS1_11comp_targetILNS1_3genE0ELNS1_11target_archE4294967295ELNS1_3gpuE0ELNS1_3repE0EEENS1_30default_config_static_selectorELNS0_4arch9wavefront6targetE1EEEvT1_.kd
    .uniform_work_group_size: 1
    .uses_dynamic_stack: false
    .vgpr_count:     0
    .vgpr_spill_count: 0
    .wavefront_size: 64
  - .agpr_count:     0
    .args:
      - .offset:         0
        .size:           120
        .value_kind:     by_value
    .group_segment_fixed_size: 28684
    .kernarg_segment_align: 8
    .kernarg_segment_size: 120
    .language:       OpenCL C
    .language_version:
      - 2
      - 0
    .max_flat_workgroup_size: 512
    .name:           _ZN7rocprim17ROCPRIM_400000_NS6detail17trampoline_kernelINS0_14default_configENS1_25partition_config_selectorILNS1_17partition_subalgoE9EllbEEZZNS1_14partition_implILS5_9ELb0ES3_jPlS8_PNS0_10empty_typeENS0_5tupleIJS8_S9_EEENSB_IJS8_SA_EEENS0_18inequality_wrapperIZN2at6native12_GLOBAL__N_124unique_dim_cuda_templateIhEESt5tupleIJNSF_6TensorESK_SK_EERKSK_lbbbEUlllE0_EEPmJS9_EEE10hipError_tPvRmT3_T4_T5_T6_T7_T9_mT8_P12ihipStream_tbDpT10_ENKUlT_T0_E_clISt17integral_constantIbLb0EES1A_EEDaS15_S16_EUlS15_E_NS1_11comp_targetILNS1_3genE5ELNS1_11target_archE942ELNS1_3gpuE9ELNS1_3repE0EEENS1_30default_config_static_selectorELNS0_4arch9wavefront6targetE1EEEvT1_
    .private_segment_fixed_size: 0
    .sgpr_count:     58
    .sgpr_spill_count: 0
    .symbol:         _ZN7rocprim17ROCPRIM_400000_NS6detail17trampoline_kernelINS0_14default_configENS1_25partition_config_selectorILNS1_17partition_subalgoE9EllbEEZZNS1_14partition_implILS5_9ELb0ES3_jPlS8_PNS0_10empty_typeENS0_5tupleIJS8_S9_EEENSB_IJS8_SA_EEENS0_18inequality_wrapperIZN2at6native12_GLOBAL__N_124unique_dim_cuda_templateIhEESt5tupleIJNSF_6TensorESK_SK_EERKSK_lbbbEUlllE0_EEPmJS9_EEE10hipError_tPvRmT3_T4_T5_T6_T7_T9_mT8_P12ihipStream_tbDpT10_ENKUlT_T0_E_clISt17integral_constantIbLb0EES1A_EEDaS15_S16_EUlS15_E_NS1_11comp_targetILNS1_3genE5ELNS1_11target_archE942ELNS1_3gpuE9ELNS1_3repE0EEENS1_30default_config_static_selectorELNS0_4arch9wavefront6targetE1EEEvT1_.kd
    .uniform_work_group_size: 1
    .uses_dynamic_stack: false
    .vgpr_count:     66
    .vgpr_spill_count: 0
    .wavefront_size: 64
  - .agpr_count:     0
    .args:
      - .offset:         0
        .size:           120
        .value_kind:     by_value
    .group_segment_fixed_size: 0
    .kernarg_segment_align: 8
    .kernarg_segment_size: 120
    .language:       OpenCL C
    .language_version:
      - 2
      - 0
    .max_flat_workgroup_size: 128
    .name:           _ZN7rocprim17ROCPRIM_400000_NS6detail17trampoline_kernelINS0_14default_configENS1_25partition_config_selectorILNS1_17partition_subalgoE9EllbEEZZNS1_14partition_implILS5_9ELb0ES3_jPlS8_PNS0_10empty_typeENS0_5tupleIJS8_S9_EEENSB_IJS8_SA_EEENS0_18inequality_wrapperIZN2at6native12_GLOBAL__N_124unique_dim_cuda_templateIhEESt5tupleIJNSF_6TensorESK_SK_EERKSK_lbbbEUlllE0_EEPmJS9_EEE10hipError_tPvRmT3_T4_T5_T6_T7_T9_mT8_P12ihipStream_tbDpT10_ENKUlT_T0_E_clISt17integral_constantIbLb0EES1A_EEDaS15_S16_EUlS15_E_NS1_11comp_targetILNS1_3genE4ELNS1_11target_archE910ELNS1_3gpuE8ELNS1_3repE0EEENS1_30default_config_static_selectorELNS0_4arch9wavefront6targetE1EEEvT1_
    .private_segment_fixed_size: 0
    .sgpr_count:     6
    .sgpr_spill_count: 0
    .symbol:         _ZN7rocprim17ROCPRIM_400000_NS6detail17trampoline_kernelINS0_14default_configENS1_25partition_config_selectorILNS1_17partition_subalgoE9EllbEEZZNS1_14partition_implILS5_9ELb0ES3_jPlS8_PNS0_10empty_typeENS0_5tupleIJS8_S9_EEENSB_IJS8_SA_EEENS0_18inequality_wrapperIZN2at6native12_GLOBAL__N_124unique_dim_cuda_templateIhEESt5tupleIJNSF_6TensorESK_SK_EERKSK_lbbbEUlllE0_EEPmJS9_EEE10hipError_tPvRmT3_T4_T5_T6_T7_T9_mT8_P12ihipStream_tbDpT10_ENKUlT_T0_E_clISt17integral_constantIbLb0EES1A_EEDaS15_S16_EUlS15_E_NS1_11comp_targetILNS1_3genE4ELNS1_11target_archE910ELNS1_3gpuE8ELNS1_3repE0EEENS1_30default_config_static_selectorELNS0_4arch9wavefront6targetE1EEEvT1_.kd
    .uniform_work_group_size: 1
    .uses_dynamic_stack: false
    .vgpr_count:     0
    .vgpr_spill_count: 0
    .wavefront_size: 64
  - .agpr_count:     0
    .args:
      - .offset:         0
        .size:           120
        .value_kind:     by_value
    .group_segment_fixed_size: 0
    .kernarg_segment_align: 8
    .kernarg_segment_size: 120
    .language:       OpenCL C
    .language_version:
      - 2
      - 0
    .max_flat_workgroup_size: 128
    .name:           _ZN7rocprim17ROCPRIM_400000_NS6detail17trampoline_kernelINS0_14default_configENS1_25partition_config_selectorILNS1_17partition_subalgoE9EllbEEZZNS1_14partition_implILS5_9ELb0ES3_jPlS8_PNS0_10empty_typeENS0_5tupleIJS8_S9_EEENSB_IJS8_SA_EEENS0_18inequality_wrapperIZN2at6native12_GLOBAL__N_124unique_dim_cuda_templateIhEESt5tupleIJNSF_6TensorESK_SK_EERKSK_lbbbEUlllE0_EEPmJS9_EEE10hipError_tPvRmT3_T4_T5_T6_T7_T9_mT8_P12ihipStream_tbDpT10_ENKUlT_T0_E_clISt17integral_constantIbLb0EES1A_EEDaS15_S16_EUlS15_E_NS1_11comp_targetILNS1_3genE3ELNS1_11target_archE908ELNS1_3gpuE7ELNS1_3repE0EEENS1_30default_config_static_selectorELNS0_4arch9wavefront6targetE1EEEvT1_
    .private_segment_fixed_size: 0
    .sgpr_count:     6
    .sgpr_spill_count: 0
    .symbol:         _ZN7rocprim17ROCPRIM_400000_NS6detail17trampoline_kernelINS0_14default_configENS1_25partition_config_selectorILNS1_17partition_subalgoE9EllbEEZZNS1_14partition_implILS5_9ELb0ES3_jPlS8_PNS0_10empty_typeENS0_5tupleIJS8_S9_EEENSB_IJS8_SA_EEENS0_18inequality_wrapperIZN2at6native12_GLOBAL__N_124unique_dim_cuda_templateIhEESt5tupleIJNSF_6TensorESK_SK_EERKSK_lbbbEUlllE0_EEPmJS9_EEE10hipError_tPvRmT3_T4_T5_T6_T7_T9_mT8_P12ihipStream_tbDpT10_ENKUlT_T0_E_clISt17integral_constantIbLb0EES1A_EEDaS15_S16_EUlS15_E_NS1_11comp_targetILNS1_3genE3ELNS1_11target_archE908ELNS1_3gpuE7ELNS1_3repE0EEENS1_30default_config_static_selectorELNS0_4arch9wavefront6targetE1EEEvT1_.kd
    .uniform_work_group_size: 1
    .uses_dynamic_stack: false
    .vgpr_count:     0
    .vgpr_spill_count: 0
    .wavefront_size: 64
  - .agpr_count:     0
    .args:
      - .offset:         0
        .size:           120
        .value_kind:     by_value
    .group_segment_fixed_size: 0
    .kernarg_segment_align: 8
    .kernarg_segment_size: 120
    .language:       OpenCL C
    .language_version:
      - 2
      - 0
    .max_flat_workgroup_size: 192
    .name:           _ZN7rocprim17ROCPRIM_400000_NS6detail17trampoline_kernelINS0_14default_configENS1_25partition_config_selectorILNS1_17partition_subalgoE9EllbEEZZNS1_14partition_implILS5_9ELb0ES3_jPlS8_PNS0_10empty_typeENS0_5tupleIJS8_S9_EEENSB_IJS8_SA_EEENS0_18inequality_wrapperIZN2at6native12_GLOBAL__N_124unique_dim_cuda_templateIhEESt5tupleIJNSF_6TensorESK_SK_EERKSK_lbbbEUlllE0_EEPmJS9_EEE10hipError_tPvRmT3_T4_T5_T6_T7_T9_mT8_P12ihipStream_tbDpT10_ENKUlT_T0_E_clISt17integral_constantIbLb0EES1A_EEDaS15_S16_EUlS15_E_NS1_11comp_targetILNS1_3genE2ELNS1_11target_archE906ELNS1_3gpuE6ELNS1_3repE0EEENS1_30default_config_static_selectorELNS0_4arch9wavefront6targetE1EEEvT1_
    .private_segment_fixed_size: 0
    .sgpr_count:     6
    .sgpr_spill_count: 0
    .symbol:         _ZN7rocprim17ROCPRIM_400000_NS6detail17trampoline_kernelINS0_14default_configENS1_25partition_config_selectorILNS1_17partition_subalgoE9EllbEEZZNS1_14partition_implILS5_9ELb0ES3_jPlS8_PNS0_10empty_typeENS0_5tupleIJS8_S9_EEENSB_IJS8_SA_EEENS0_18inequality_wrapperIZN2at6native12_GLOBAL__N_124unique_dim_cuda_templateIhEESt5tupleIJNSF_6TensorESK_SK_EERKSK_lbbbEUlllE0_EEPmJS9_EEE10hipError_tPvRmT3_T4_T5_T6_T7_T9_mT8_P12ihipStream_tbDpT10_ENKUlT_T0_E_clISt17integral_constantIbLb0EES1A_EEDaS15_S16_EUlS15_E_NS1_11comp_targetILNS1_3genE2ELNS1_11target_archE906ELNS1_3gpuE6ELNS1_3repE0EEENS1_30default_config_static_selectorELNS0_4arch9wavefront6targetE1EEEvT1_.kd
    .uniform_work_group_size: 1
    .uses_dynamic_stack: false
    .vgpr_count:     0
    .vgpr_spill_count: 0
    .wavefront_size: 64
  - .agpr_count:     0
    .args:
      - .offset:         0
        .size:           120
        .value_kind:     by_value
    .group_segment_fixed_size: 0
    .kernarg_segment_align: 8
    .kernarg_segment_size: 120
    .language:       OpenCL C
    .language_version:
      - 2
      - 0
    .max_flat_workgroup_size: 384
    .name:           _ZN7rocprim17ROCPRIM_400000_NS6detail17trampoline_kernelINS0_14default_configENS1_25partition_config_selectorILNS1_17partition_subalgoE9EllbEEZZNS1_14partition_implILS5_9ELb0ES3_jPlS8_PNS0_10empty_typeENS0_5tupleIJS8_S9_EEENSB_IJS8_SA_EEENS0_18inequality_wrapperIZN2at6native12_GLOBAL__N_124unique_dim_cuda_templateIhEESt5tupleIJNSF_6TensorESK_SK_EERKSK_lbbbEUlllE0_EEPmJS9_EEE10hipError_tPvRmT3_T4_T5_T6_T7_T9_mT8_P12ihipStream_tbDpT10_ENKUlT_T0_E_clISt17integral_constantIbLb0EES1A_EEDaS15_S16_EUlS15_E_NS1_11comp_targetILNS1_3genE10ELNS1_11target_archE1200ELNS1_3gpuE4ELNS1_3repE0EEENS1_30default_config_static_selectorELNS0_4arch9wavefront6targetE1EEEvT1_
    .private_segment_fixed_size: 0
    .sgpr_count:     6
    .sgpr_spill_count: 0
    .symbol:         _ZN7rocprim17ROCPRIM_400000_NS6detail17trampoline_kernelINS0_14default_configENS1_25partition_config_selectorILNS1_17partition_subalgoE9EllbEEZZNS1_14partition_implILS5_9ELb0ES3_jPlS8_PNS0_10empty_typeENS0_5tupleIJS8_S9_EEENSB_IJS8_SA_EEENS0_18inequality_wrapperIZN2at6native12_GLOBAL__N_124unique_dim_cuda_templateIhEESt5tupleIJNSF_6TensorESK_SK_EERKSK_lbbbEUlllE0_EEPmJS9_EEE10hipError_tPvRmT3_T4_T5_T6_T7_T9_mT8_P12ihipStream_tbDpT10_ENKUlT_T0_E_clISt17integral_constantIbLb0EES1A_EEDaS15_S16_EUlS15_E_NS1_11comp_targetILNS1_3genE10ELNS1_11target_archE1200ELNS1_3gpuE4ELNS1_3repE0EEENS1_30default_config_static_selectorELNS0_4arch9wavefront6targetE1EEEvT1_.kd
    .uniform_work_group_size: 1
    .uses_dynamic_stack: false
    .vgpr_count:     0
    .vgpr_spill_count: 0
    .wavefront_size: 64
  - .agpr_count:     0
    .args:
      - .offset:         0
        .size:           120
        .value_kind:     by_value
    .group_segment_fixed_size: 0
    .kernarg_segment_align: 8
    .kernarg_segment_size: 120
    .language:       OpenCL C
    .language_version:
      - 2
      - 0
    .max_flat_workgroup_size: 512
    .name:           _ZN7rocprim17ROCPRIM_400000_NS6detail17trampoline_kernelINS0_14default_configENS1_25partition_config_selectorILNS1_17partition_subalgoE9EllbEEZZNS1_14partition_implILS5_9ELb0ES3_jPlS8_PNS0_10empty_typeENS0_5tupleIJS8_S9_EEENSB_IJS8_SA_EEENS0_18inequality_wrapperIZN2at6native12_GLOBAL__N_124unique_dim_cuda_templateIhEESt5tupleIJNSF_6TensorESK_SK_EERKSK_lbbbEUlllE0_EEPmJS9_EEE10hipError_tPvRmT3_T4_T5_T6_T7_T9_mT8_P12ihipStream_tbDpT10_ENKUlT_T0_E_clISt17integral_constantIbLb0EES1A_EEDaS15_S16_EUlS15_E_NS1_11comp_targetILNS1_3genE9ELNS1_11target_archE1100ELNS1_3gpuE3ELNS1_3repE0EEENS1_30default_config_static_selectorELNS0_4arch9wavefront6targetE1EEEvT1_
    .private_segment_fixed_size: 0
    .sgpr_count:     6
    .sgpr_spill_count: 0
    .symbol:         _ZN7rocprim17ROCPRIM_400000_NS6detail17trampoline_kernelINS0_14default_configENS1_25partition_config_selectorILNS1_17partition_subalgoE9EllbEEZZNS1_14partition_implILS5_9ELb0ES3_jPlS8_PNS0_10empty_typeENS0_5tupleIJS8_S9_EEENSB_IJS8_SA_EEENS0_18inequality_wrapperIZN2at6native12_GLOBAL__N_124unique_dim_cuda_templateIhEESt5tupleIJNSF_6TensorESK_SK_EERKSK_lbbbEUlllE0_EEPmJS9_EEE10hipError_tPvRmT3_T4_T5_T6_T7_T9_mT8_P12ihipStream_tbDpT10_ENKUlT_T0_E_clISt17integral_constantIbLb0EES1A_EEDaS15_S16_EUlS15_E_NS1_11comp_targetILNS1_3genE9ELNS1_11target_archE1100ELNS1_3gpuE3ELNS1_3repE0EEENS1_30default_config_static_selectorELNS0_4arch9wavefront6targetE1EEEvT1_.kd
    .uniform_work_group_size: 1
    .uses_dynamic_stack: false
    .vgpr_count:     0
    .vgpr_spill_count: 0
    .wavefront_size: 64
  - .agpr_count:     0
    .args:
      - .offset:         0
        .size:           120
        .value_kind:     by_value
    .group_segment_fixed_size: 0
    .kernarg_segment_align: 8
    .kernarg_segment_size: 120
    .language:       OpenCL C
    .language_version:
      - 2
      - 0
    .max_flat_workgroup_size: 512
    .name:           _ZN7rocprim17ROCPRIM_400000_NS6detail17trampoline_kernelINS0_14default_configENS1_25partition_config_selectorILNS1_17partition_subalgoE9EllbEEZZNS1_14partition_implILS5_9ELb0ES3_jPlS8_PNS0_10empty_typeENS0_5tupleIJS8_S9_EEENSB_IJS8_SA_EEENS0_18inequality_wrapperIZN2at6native12_GLOBAL__N_124unique_dim_cuda_templateIhEESt5tupleIJNSF_6TensorESK_SK_EERKSK_lbbbEUlllE0_EEPmJS9_EEE10hipError_tPvRmT3_T4_T5_T6_T7_T9_mT8_P12ihipStream_tbDpT10_ENKUlT_T0_E_clISt17integral_constantIbLb0EES1A_EEDaS15_S16_EUlS15_E_NS1_11comp_targetILNS1_3genE8ELNS1_11target_archE1030ELNS1_3gpuE2ELNS1_3repE0EEENS1_30default_config_static_selectorELNS0_4arch9wavefront6targetE1EEEvT1_
    .private_segment_fixed_size: 0
    .sgpr_count:     6
    .sgpr_spill_count: 0
    .symbol:         _ZN7rocprim17ROCPRIM_400000_NS6detail17trampoline_kernelINS0_14default_configENS1_25partition_config_selectorILNS1_17partition_subalgoE9EllbEEZZNS1_14partition_implILS5_9ELb0ES3_jPlS8_PNS0_10empty_typeENS0_5tupleIJS8_S9_EEENSB_IJS8_SA_EEENS0_18inequality_wrapperIZN2at6native12_GLOBAL__N_124unique_dim_cuda_templateIhEESt5tupleIJNSF_6TensorESK_SK_EERKSK_lbbbEUlllE0_EEPmJS9_EEE10hipError_tPvRmT3_T4_T5_T6_T7_T9_mT8_P12ihipStream_tbDpT10_ENKUlT_T0_E_clISt17integral_constantIbLb0EES1A_EEDaS15_S16_EUlS15_E_NS1_11comp_targetILNS1_3genE8ELNS1_11target_archE1030ELNS1_3gpuE2ELNS1_3repE0EEENS1_30default_config_static_selectorELNS0_4arch9wavefront6targetE1EEEvT1_.kd
    .uniform_work_group_size: 1
    .uses_dynamic_stack: false
    .vgpr_count:     0
    .vgpr_spill_count: 0
    .wavefront_size: 64
  - .agpr_count:     0
    .args:
      - .offset:         0
        .size:           136
        .value_kind:     by_value
    .group_segment_fixed_size: 0
    .kernarg_segment_align: 8
    .kernarg_segment_size: 136
    .language:       OpenCL C
    .language_version:
      - 2
      - 0
    .max_flat_workgroup_size: 128
    .name:           _ZN7rocprim17ROCPRIM_400000_NS6detail17trampoline_kernelINS0_14default_configENS1_25partition_config_selectorILNS1_17partition_subalgoE9EllbEEZZNS1_14partition_implILS5_9ELb0ES3_jPlS8_PNS0_10empty_typeENS0_5tupleIJS8_S9_EEENSB_IJS8_SA_EEENS0_18inequality_wrapperIZN2at6native12_GLOBAL__N_124unique_dim_cuda_templateIhEESt5tupleIJNSF_6TensorESK_SK_EERKSK_lbbbEUlllE0_EEPmJS9_EEE10hipError_tPvRmT3_T4_T5_T6_T7_T9_mT8_P12ihipStream_tbDpT10_ENKUlT_T0_E_clISt17integral_constantIbLb1EES1A_EEDaS15_S16_EUlS15_E_NS1_11comp_targetILNS1_3genE0ELNS1_11target_archE4294967295ELNS1_3gpuE0ELNS1_3repE0EEENS1_30default_config_static_selectorELNS0_4arch9wavefront6targetE1EEEvT1_
    .private_segment_fixed_size: 0
    .sgpr_count:     6
    .sgpr_spill_count: 0
    .symbol:         _ZN7rocprim17ROCPRIM_400000_NS6detail17trampoline_kernelINS0_14default_configENS1_25partition_config_selectorILNS1_17partition_subalgoE9EllbEEZZNS1_14partition_implILS5_9ELb0ES3_jPlS8_PNS0_10empty_typeENS0_5tupleIJS8_S9_EEENSB_IJS8_SA_EEENS0_18inequality_wrapperIZN2at6native12_GLOBAL__N_124unique_dim_cuda_templateIhEESt5tupleIJNSF_6TensorESK_SK_EERKSK_lbbbEUlllE0_EEPmJS9_EEE10hipError_tPvRmT3_T4_T5_T6_T7_T9_mT8_P12ihipStream_tbDpT10_ENKUlT_T0_E_clISt17integral_constantIbLb1EES1A_EEDaS15_S16_EUlS15_E_NS1_11comp_targetILNS1_3genE0ELNS1_11target_archE4294967295ELNS1_3gpuE0ELNS1_3repE0EEENS1_30default_config_static_selectorELNS0_4arch9wavefront6targetE1EEEvT1_.kd
    .uniform_work_group_size: 1
    .uses_dynamic_stack: false
    .vgpr_count:     0
    .vgpr_spill_count: 0
    .wavefront_size: 64
  - .agpr_count:     0
    .args:
      - .offset:         0
        .size:           136
        .value_kind:     by_value
    .group_segment_fixed_size: 28684
    .kernarg_segment_align: 8
    .kernarg_segment_size: 136
    .language:       OpenCL C
    .language_version:
      - 2
      - 0
    .max_flat_workgroup_size: 512
    .name:           _ZN7rocprim17ROCPRIM_400000_NS6detail17trampoline_kernelINS0_14default_configENS1_25partition_config_selectorILNS1_17partition_subalgoE9EllbEEZZNS1_14partition_implILS5_9ELb0ES3_jPlS8_PNS0_10empty_typeENS0_5tupleIJS8_S9_EEENSB_IJS8_SA_EEENS0_18inequality_wrapperIZN2at6native12_GLOBAL__N_124unique_dim_cuda_templateIhEESt5tupleIJNSF_6TensorESK_SK_EERKSK_lbbbEUlllE0_EEPmJS9_EEE10hipError_tPvRmT3_T4_T5_T6_T7_T9_mT8_P12ihipStream_tbDpT10_ENKUlT_T0_E_clISt17integral_constantIbLb1EES1A_EEDaS15_S16_EUlS15_E_NS1_11comp_targetILNS1_3genE5ELNS1_11target_archE942ELNS1_3gpuE9ELNS1_3repE0EEENS1_30default_config_static_selectorELNS0_4arch9wavefront6targetE1EEEvT1_
    .private_segment_fixed_size: 0
    .sgpr_count:     64
    .sgpr_spill_count: 0
    .symbol:         _ZN7rocprim17ROCPRIM_400000_NS6detail17trampoline_kernelINS0_14default_configENS1_25partition_config_selectorILNS1_17partition_subalgoE9EllbEEZZNS1_14partition_implILS5_9ELb0ES3_jPlS8_PNS0_10empty_typeENS0_5tupleIJS8_S9_EEENSB_IJS8_SA_EEENS0_18inequality_wrapperIZN2at6native12_GLOBAL__N_124unique_dim_cuda_templateIhEESt5tupleIJNSF_6TensorESK_SK_EERKSK_lbbbEUlllE0_EEPmJS9_EEE10hipError_tPvRmT3_T4_T5_T6_T7_T9_mT8_P12ihipStream_tbDpT10_ENKUlT_T0_E_clISt17integral_constantIbLb1EES1A_EEDaS15_S16_EUlS15_E_NS1_11comp_targetILNS1_3genE5ELNS1_11target_archE942ELNS1_3gpuE9ELNS1_3repE0EEENS1_30default_config_static_selectorELNS0_4arch9wavefront6targetE1EEEvT1_.kd
    .uniform_work_group_size: 1
    .uses_dynamic_stack: false
    .vgpr_count:     66
    .vgpr_spill_count: 0
    .wavefront_size: 64
  - .agpr_count:     0
    .args:
      - .offset:         0
        .size:           136
        .value_kind:     by_value
    .group_segment_fixed_size: 0
    .kernarg_segment_align: 8
    .kernarg_segment_size: 136
    .language:       OpenCL C
    .language_version:
      - 2
      - 0
    .max_flat_workgroup_size: 128
    .name:           _ZN7rocprim17ROCPRIM_400000_NS6detail17trampoline_kernelINS0_14default_configENS1_25partition_config_selectorILNS1_17partition_subalgoE9EllbEEZZNS1_14partition_implILS5_9ELb0ES3_jPlS8_PNS0_10empty_typeENS0_5tupleIJS8_S9_EEENSB_IJS8_SA_EEENS0_18inequality_wrapperIZN2at6native12_GLOBAL__N_124unique_dim_cuda_templateIhEESt5tupleIJNSF_6TensorESK_SK_EERKSK_lbbbEUlllE0_EEPmJS9_EEE10hipError_tPvRmT3_T4_T5_T6_T7_T9_mT8_P12ihipStream_tbDpT10_ENKUlT_T0_E_clISt17integral_constantIbLb1EES1A_EEDaS15_S16_EUlS15_E_NS1_11comp_targetILNS1_3genE4ELNS1_11target_archE910ELNS1_3gpuE8ELNS1_3repE0EEENS1_30default_config_static_selectorELNS0_4arch9wavefront6targetE1EEEvT1_
    .private_segment_fixed_size: 0
    .sgpr_count:     6
    .sgpr_spill_count: 0
    .symbol:         _ZN7rocprim17ROCPRIM_400000_NS6detail17trampoline_kernelINS0_14default_configENS1_25partition_config_selectorILNS1_17partition_subalgoE9EllbEEZZNS1_14partition_implILS5_9ELb0ES3_jPlS8_PNS0_10empty_typeENS0_5tupleIJS8_S9_EEENSB_IJS8_SA_EEENS0_18inequality_wrapperIZN2at6native12_GLOBAL__N_124unique_dim_cuda_templateIhEESt5tupleIJNSF_6TensorESK_SK_EERKSK_lbbbEUlllE0_EEPmJS9_EEE10hipError_tPvRmT3_T4_T5_T6_T7_T9_mT8_P12ihipStream_tbDpT10_ENKUlT_T0_E_clISt17integral_constantIbLb1EES1A_EEDaS15_S16_EUlS15_E_NS1_11comp_targetILNS1_3genE4ELNS1_11target_archE910ELNS1_3gpuE8ELNS1_3repE0EEENS1_30default_config_static_selectorELNS0_4arch9wavefront6targetE1EEEvT1_.kd
    .uniform_work_group_size: 1
    .uses_dynamic_stack: false
    .vgpr_count:     0
    .vgpr_spill_count: 0
    .wavefront_size: 64
  - .agpr_count:     0
    .args:
      - .offset:         0
        .size:           136
        .value_kind:     by_value
    .group_segment_fixed_size: 0
    .kernarg_segment_align: 8
    .kernarg_segment_size: 136
    .language:       OpenCL C
    .language_version:
      - 2
      - 0
    .max_flat_workgroup_size: 128
    .name:           _ZN7rocprim17ROCPRIM_400000_NS6detail17trampoline_kernelINS0_14default_configENS1_25partition_config_selectorILNS1_17partition_subalgoE9EllbEEZZNS1_14partition_implILS5_9ELb0ES3_jPlS8_PNS0_10empty_typeENS0_5tupleIJS8_S9_EEENSB_IJS8_SA_EEENS0_18inequality_wrapperIZN2at6native12_GLOBAL__N_124unique_dim_cuda_templateIhEESt5tupleIJNSF_6TensorESK_SK_EERKSK_lbbbEUlllE0_EEPmJS9_EEE10hipError_tPvRmT3_T4_T5_T6_T7_T9_mT8_P12ihipStream_tbDpT10_ENKUlT_T0_E_clISt17integral_constantIbLb1EES1A_EEDaS15_S16_EUlS15_E_NS1_11comp_targetILNS1_3genE3ELNS1_11target_archE908ELNS1_3gpuE7ELNS1_3repE0EEENS1_30default_config_static_selectorELNS0_4arch9wavefront6targetE1EEEvT1_
    .private_segment_fixed_size: 0
    .sgpr_count:     6
    .sgpr_spill_count: 0
    .symbol:         _ZN7rocprim17ROCPRIM_400000_NS6detail17trampoline_kernelINS0_14default_configENS1_25partition_config_selectorILNS1_17partition_subalgoE9EllbEEZZNS1_14partition_implILS5_9ELb0ES3_jPlS8_PNS0_10empty_typeENS0_5tupleIJS8_S9_EEENSB_IJS8_SA_EEENS0_18inequality_wrapperIZN2at6native12_GLOBAL__N_124unique_dim_cuda_templateIhEESt5tupleIJNSF_6TensorESK_SK_EERKSK_lbbbEUlllE0_EEPmJS9_EEE10hipError_tPvRmT3_T4_T5_T6_T7_T9_mT8_P12ihipStream_tbDpT10_ENKUlT_T0_E_clISt17integral_constantIbLb1EES1A_EEDaS15_S16_EUlS15_E_NS1_11comp_targetILNS1_3genE3ELNS1_11target_archE908ELNS1_3gpuE7ELNS1_3repE0EEENS1_30default_config_static_selectorELNS0_4arch9wavefront6targetE1EEEvT1_.kd
    .uniform_work_group_size: 1
    .uses_dynamic_stack: false
    .vgpr_count:     0
    .vgpr_spill_count: 0
    .wavefront_size: 64
  - .agpr_count:     0
    .args:
      - .offset:         0
        .size:           136
        .value_kind:     by_value
    .group_segment_fixed_size: 0
    .kernarg_segment_align: 8
    .kernarg_segment_size: 136
    .language:       OpenCL C
    .language_version:
      - 2
      - 0
    .max_flat_workgroup_size: 192
    .name:           _ZN7rocprim17ROCPRIM_400000_NS6detail17trampoline_kernelINS0_14default_configENS1_25partition_config_selectorILNS1_17partition_subalgoE9EllbEEZZNS1_14partition_implILS5_9ELb0ES3_jPlS8_PNS0_10empty_typeENS0_5tupleIJS8_S9_EEENSB_IJS8_SA_EEENS0_18inequality_wrapperIZN2at6native12_GLOBAL__N_124unique_dim_cuda_templateIhEESt5tupleIJNSF_6TensorESK_SK_EERKSK_lbbbEUlllE0_EEPmJS9_EEE10hipError_tPvRmT3_T4_T5_T6_T7_T9_mT8_P12ihipStream_tbDpT10_ENKUlT_T0_E_clISt17integral_constantIbLb1EES1A_EEDaS15_S16_EUlS15_E_NS1_11comp_targetILNS1_3genE2ELNS1_11target_archE906ELNS1_3gpuE6ELNS1_3repE0EEENS1_30default_config_static_selectorELNS0_4arch9wavefront6targetE1EEEvT1_
    .private_segment_fixed_size: 0
    .sgpr_count:     6
    .sgpr_spill_count: 0
    .symbol:         _ZN7rocprim17ROCPRIM_400000_NS6detail17trampoline_kernelINS0_14default_configENS1_25partition_config_selectorILNS1_17partition_subalgoE9EllbEEZZNS1_14partition_implILS5_9ELb0ES3_jPlS8_PNS0_10empty_typeENS0_5tupleIJS8_S9_EEENSB_IJS8_SA_EEENS0_18inequality_wrapperIZN2at6native12_GLOBAL__N_124unique_dim_cuda_templateIhEESt5tupleIJNSF_6TensorESK_SK_EERKSK_lbbbEUlllE0_EEPmJS9_EEE10hipError_tPvRmT3_T4_T5_T6_T7_T9_mT8_P12ihipStream_tbDpT10_ENKUlT_T0_E_clISt17integral_constantIbLb1EES1A_EEDaS15_S16_EUlS15_E_NS1_11comp_targetILNS1_3genE2ELNS1_11target_archE906ELNS1_3gpuE6ELNS1_3repE0EEENS1_30default_config_static_selectorELNS0_4arch9wavefront6targetE1EEEvT1_.kd
    .uniform_work_group_size: 1
    .uses_dynamic_stack: false
    .vgpr_count:     0
    .vgpr_spill_count: 0
    .wavefront_size: 64
  - .agpr_count:     0
    .args:
      - .offset:         0
        .size:           136
        .value_kind:     by_value
    .group_segment_fixed_size: 0
    .kernarg_segment_align: 8
    .kernarg_segment_size: 136
    .language:       OpenCL C
    .language_version:
      - 2
      - 0
    .max_flat_workgroup_size: 384
    .name:           _ZN7rocprim17ROCPRIM_400000_NS6detail17trampoline_kernelINS0_14default_configENS1_25partition_config_selectorILNS1_17partition_subalgoE9EllbEEZZNS1_14partition_implILS5_9ELb0ES3_jPlS8_PNS0_10empty_typeENS0_5tupleIJS8_S9_EEENSB_IJS8_SA_EEENS0_18inequality_wrapperIZN2at6native12_GLOBAL__N_124unique_dim_cuda_templateIhEESt5tupleIJNSF_6TensorESK_SK_EERKSK_lbbbEUlllE0_EEPmJS9_EEE10hipError_tPvRmT3_T4_T5_T6_T7_T9_mT8_P12ihipStream_tbDpT10_ENKUlT_T0_E_clISt17integral_constantIbLb1EES1A_EEDaS15_S16_EUlS15_E_NS1_11comp_targetILNS1_3genE10ELNS1_11target_archE1200ELNS1_3gpuE4ELNS1_3repE0EEENS1_30default_config_static_selectorELNS0_4arch9wavefront6targetE1EEEvT1_
    .private_segment_fixed_size: 0
    .sgpr_count:     6
    .sgpr_spill_count: 0
    .symbol:         _ZN7rocprim17ROCPRIM_400000_NS6detail17trampoline_kernelINS0_14default_configENS1_25partition_config_selectorILNS1_17partition_subalgoE9EllbEEZZNS1_14partition_implILS5_9ELb0ES3_jPlS8_PNS0_10empty_typeENS0_5tupleIJS8_S9_EEENSB_IJS8_SA_EEENS0_18inequality_wrapperIZN2at6native12_GLOBAL__N_124unique_dim_cuda_templateIhEESt5tupleIJNSF_6TensorESK_SK_EERKSK_lbbbEUlllE0_EEPmJS9_EEE10hipError_tPvRmT3_T4_T5_T6_T7_T9_mT8_P12ihipStream_tbDpT10_ENKUlT_T0_E_clISt17integral_constantIbLb1EES1A_EEDaS15_S16_EUlS15_E_NS1_11comp_targetILNS1_3genE10ELNS1_11target_archE1200ELNS1_3gpuE4ELNS1_3repE0EEENS1_30default_config_static_selectorELNS0_4arch9wavefront6targetE1EEEvT1_.kd
    .uniform_work_group_size: 1
    .uses_dynamic_stack: false
    .vgpr_count:     0
    .vgpr_spill_count: 0
    .wavefront_size: 64
  - .agpr_count:     0
    .args:
      - .offset:         0
        .size:           136
        .value_kind:     by_value
    .group_segment_fixed_size: 0
    .kernarg_segment_align: 8
    .kernarg_segment_size: 136
    .language:       OpenCL C
    .language_version:
      - 2
      - 0
    .max_flat_workgroup_size: 512
    .name:           _ZN7rocprim17ROCPRIM_400000_NS6detail17trampoline_kernelINS0_14default_configENS1_25partition_config_selectorILNS1_17partition_subalgoE9EllbEEZZNS1_14partition_implILS5_9ELb0ES3_jPlS8_PNS0_10empty_typeENS0_5tupleIJS8_S9_EEENSB_IJS8_SA_EEENS0_18inequality_wrapperIZN2at6native12_GLOBAL__N_124unique_dim_cuda_templateIhEESt5tupleIJNSF_6TensorESK_SK_EERKSK_lbbbEUlllE0_EEPmJS9_EEE10hipError_tPvRmT3_T4_T5_T6_T7_T9_mT8_P12ihipStream_tbDpT10_ENKUlT_T0_E_clISt17integral_constantIbLb1EES1A_EEDaS15_S16_EUlS15_E_NS1_11comp_targetILNS1_3genE9ELNS1_11target_archE1100ELNS1_3gpuE3ELNS1_3repE0EEENS1_30default_config_static_selectorELNS0_4arch9wavefront6targetE1EEEvT1_
    .private_segment_fixed_size: 0
    .sgpr_count:     6
    .sgpr_spill_count: 0
    .symbol:         _ZN7rocprim17ROCPRIM_400000_NS6detail17trampoline_kernelINS0_14default_configENS1_25partition_config_selectorILNS1_17partition_subalgoE9EllbEEZZNS1_14partition_implILS5_9ELb0ES3_jPlS8_PNS0_10empty_typeENS0_5tupleIJS8_S9_EEENSB_IJS8_SA_EEENS0_18inequality_wrapperIZN2at6native12_GLOBAL__N_124unique_dim_cuda_templateIhEESt5tupleIJNSF_6TensorESK_SK_EERKSK_lbbbEUlllE0_EEPmJS9_EEE10hipError_tPvRmT3_T4_T5_T6_T7_T9_mT8_P12ihipStream_tbDpT10_ENKUlT_T0_E_clISt17integral_constantIbLb1EES1A_EEDaS15_S16_EUlS15_E_NS1_11comp_targetILNS1_3genE9ELNS1_11target_archE1100ELNS1_3gpuE3ELNS1_3repE0EEENS1_30default_config_static_selectorELNS0_4arch9wavefront6targetE1EEEvT1_.kd
    .uniform_work_group_size: 1
    .uses_dynamic_stack: false
    .vgpr_count:     0
    .vgpr_spill_count: 0
    .wavefront_size: 64
  - .agpr_count:     0
    .args:
      - .offset:         0
        .size:           136
        .value_kind:     by_value
    .group_segment_fixed_size: 0
    .kernarg_segment_align: 8
    .kernarg_segment_size: 136
    .language:       OpenCL C
    .language_version:
      - 2
      - 0
    .max_flat_workgroup_size: 512
    .name:           _ZN7rocprim17ROCPRIM_400000_NS6detail17trampoline_kernelINS0_14default_configENS1_25partition_config_selectorILNS1_17partition_subalgoE9EllbEEZZNS1_14partition_implILS5_9ELb0ES3_jPlS8_PNS0_10empty_typeENS0_5tupleIJS8_S9_EEENSB_IJS8_SA_EEENS0_18inequality_wrapperIZN2at6native12_GLOBAL__N_124unique_dim_cuda_templateIhEESt5tupleIJNSF_6TensorESK_SK_EERKSK_lbbbEUlllE0_EEPmJS9_EEE10hipError_tPvRmT3_T4_T5_T6_T7_T9_mT8_P12ihipStream_tbDpT10_ENKUlT_T0_E_clISt17integral_constantIbLb1EES1A_EEDaS15_S16_EUlS15_E_NS1_11comp_targetILNS1_3genE8ELNS1_11target_archE1030ELNS1_3gpuE2ELNS1_3repE0EEENS1_30default_config_static_selectorELNS0_4arch9wavefront6targetE1EEEvT1_
    .private_segment_fixed_size: 0
    .sgpr_count:     6
    .sgpr_spill_count: 0
    .symbol:         _ZN7rocprim17ROCPRIM_400000_NS6detail17trampoline_kernelINS0_14default_configENS1_25partition_config_selectorILNS1_17partition_subalgoE9EllbEEZZNS1_14partition_implILS5_9ELb0ES3_jPlS8_PNS0_10empty_typeENS0_5tupleIJS8_S9_EEENSB_IJS8_SA_EEENS0_18inequality_wrapperIZN2at6native12_GLOBAL__N_124unique_dim_cuda_templateIhEESt5tupleIJNSF_6TensorESK_SK_EERKSK_lbbbEUlllE0_EEPmJS9_EEE10hipError_tPvRmT3_T4_T5_T6_T7_T9_mT8_P12ihipStream_tbDpT10_ENKUlT_T0_E_clISt17integral_constantIbLb1EES1A_EEDaS15_S16_EUlS15_E_NS1_11comp_targetILNS1_3genE8ELNS1_11target_archE1030ELNS1_3gpuE2ELNS1_3repE0EEENS1_30default_config_static_selectorELNS0_4arch9wavefront6targetE1EEEvT1_.kd
    .uniform_work_group_size: 1
    .uses_dynamic_stack: false
    .vgpr_count:     0
    .vgpr_spill_count: 0
    .wavefront_size: 64
  - .agpr_count:     0
    .args:
      - .offset:         0
        .size:           120
        .value_kind:     by_value
    .group_segment_fixed_size: 0
    .kernarg_segment_align: 8
    .kernarg_segment_size: 120
    .language:       OpenCL C
    .language_version:
      - 2
      - 0
    .max_flat_workgroup_size: 128
    .name:           _ZN7rocprim17ROCPRIM_400000_NS6detail17trampoline_kernelINS0_14default_configENS1_25partition_config_selectorILNS1_17partition_subalgoE9EllbEEZZNS1_14partition_implILS5_9ELb0ES3_jPlS8_PNS0_10empty_typeENS0_5tupleIJS8_S9_EEENSB_IJS8_SA_EEENS0_18inequality_wrapperIZN2at6native12_GLOBAL__N_124unique_dim_cuda_templateIhEESt5tupleIJNSF_6TensorESK_SK_EERKSK_lbbbEUlllE0_EEPmJS9_EEE10hipError_tPvRmT3_T4_T5_T6_T7_T9_mT8_P12ihipStream_tbDpT10_ENKUlT_T0_E_clISt17integral_constantIbLb1EES19_IbLb0EEEEDaS15_S16_EUlS15_E_NS1_11comp_targetILNS1_3genE0ELNS1_11target_archE4294967295ELNS1_3gpuE0ELNS1_3repE0EEENS1_30default_config_static_selectorELNS0_4arch9wavefront6targetE1EEEvT1_
    .private_segment_fixed_size: 0
    .sgpr_count:     6
    .sgpr_spill_count: 0
    .symbol:         _ZN7rocprim17ROCPRIM_400000_NS6detail17trampoline_kernelINS0_14default_configENS1_25partition_config_selectorILNS1_17partition_subalgoE9EllbEEZZNS1_14partition_implILS5_9ELb0ES3_jPlS8_PNS0_10empty_typeENS0_5tupleIJS8_S9_EEENSB_IJS8_SA_EEENS0_18inequality_wrapperIZN2at6native12_GLOBAL__N_124unique_dim_cuda_templateIhEESt5tupleIJNSF_6TensorESK_SK_EERKSK_lbbbEUlllE0_EEPmJS9_EEE10hipError_tPvRmT3_T4_T5_T6_T7_T9_mT8_P12ihipStream_tbDpT10_ENKUlT_T0_E_clISt17integral_constantIbLb1EES19_IbLb0EEEEDaS15_S16_EUlS15_E_NS1_11comp_targetILNS1_3genE0ELNS1_11target_archE4294967295ELNS1_3gpuE0ELNS1_3repE0EEENS1_30default_config_static_selectorELNS0_4arch9wavefront6targetE1EEEvT1_.kd
    .uniform_work_group_size: 1
    .uses_dynamic_stack: false
    .vgpr_count:     0
    .vgpr_spill_count: 0
    .wavefront_size: 64
  - .agpr_count:     0
    .args:
      - .offset:         0
        .size:           120
        .value_kind:     by_value
    .group_segment_fixed_size: 28684
    .kernarg_segment_align: 8
    .kernarg_segment_size: 120
    .language:       OpenCL C
    .language_version:
      - 2
      - 0
    .max_flat_workgroup_size: 512
    .name:           _ZN7rocprim17ROCPRIM_400000_NS6detail17trampoline_kernelINS0_14default_configENS1_25partition_config_selectorILNS1_17partition_subalgoE9EllbEEZZNS1_14partition_implILS5_9ELb0ES3_jPlS8_PNS0_10empty_typeENS0_5tupleIJS8_S9_EEENSB_IJS8_SA_EEENS0_18inequality_wrapperIZN2at6native12_GLOBAL__N_124unique_dim_cuda_templateIhEESt5tupleIJNSF_6TensorESK_SK_EERKSK_lbbbEUlllE0_EEPmJS9_EEE10hipError_tPvRmT3_T4_T5_T6_T7_T9_mT8_P12ihipStream_tbDpT10_ENKUlT_T0_E_clISt17integral_constantIbLb1EES19_IbLb0EEEEDaS15_S16_EUlS15_E_NS1_11comp_targetILNS1_3genE5ELNS1_11target_archE942ELNS1_3gpuE9ELNS1_3repE0EEENS1_30default_config_static_selectorELNS0_4arch9wavefront6targetE1EEEvT1_
    .private_segment_fixed_size: 0
    .sgpr_count:     58
    .sgpr_spill_count: 0
    .symbol:         _ZN7rocprim17ROCPRIM_400000_NS6detail17trampoline_kernelINS0_14default_configENS1_25partition_config_selectorILNS1_17partition_subalgoE9EllbEEZZNS1_14partition_implILS5_9ELb0ES3_jPlS8_PNS0_10empty_typeENS0_5tupleIJS8_S9_EEENSB_IJS8_SA_EEENS0_18inequality_wrapperIZN2at6native12_GLOBAL__N_124unique_dim_cuda_templateIhEESt5tupleIJNSF_6TensorESK_SK_EERKSK_lbbbEUlllE0_EEPmJS9_EEE10hipError_tPvRmT3_T4_T5_T6_T7_T9_mT8_P12ihipStream_tbDpT10_ENKUlT_T0_E_clISt17integral_constantIbLb1EES19_IbLb0EEEEDaS15_S16_EUlS15_E_NS1_11comp_targetILNS1_3genE5ELNS1_11target_archE942ELNS1_3gpuE9ELNS1_3repE0EEENS1_30default_config_static_selectorELNS0_4arch9wavefront6targetE1EEEvT1_.kd
    .uniform_work_group_size: 1
    .uses_dynamic_stack: false
    .vgpr_count:     66
    .vgpr_spill_count: 0
    .wavefront_size: 64
  - .agpr_count:     0
    .args:
      - .offset:         0
        .size:           120
        .value_kind:     by_value
    .group_segment_fixed_size: 0
    .kernarg_segment_align: 8
    .kernarg_segment_size: 120
    .language:       OpenCL C
    .language_version:
      - 2
      - 0
    .max_flat_workgroup_size: 128
    .name:           _ZN7rocprim17ROCPRIM_400000_NS6detail17trampoline_kernelINS0_14default_configENS1_25partition_config_selectorILNS1_17partition_subalgoE9EllbEEZZNS1_14partition_implILS5_9ELb0ES3_jPlS8_PNS0_10empty_typeENS0_5tupleIJS8_S9_EEENSB_IJS8_SA_EEENS0_18inequality_wrapperIZN2at6native12_GLOBAL__N_124unique_dim_cuda_templateIhEESt5tupleIJNSF_6TensorESK_SK_EERKSK_lbbbEUlllE0_EEPmJS9_EEE10hipError_tPvRmT3_T4_T5_T6_T7_T9_mT8_P12ihipStream_tbDpT10_ENKUlT_T0_E_clISt17integral_constantIbLb1EES19_IbLb0EEEEDaS15_S16_EUlS15_E_NS1_11comp_targetILNS1_3genE4ELNS1_11target_archE910ELNS1_3gpuE8ELNS1_3repE0EEENS1_30default_config_static_selectorELNS0_4arch9wavefront6targetE1EEEvT1_
    .private_segment_fixed_size: 0
    .sgpr_count:     6
    .sgpr_spill_count: 0
    .symbol:         _ZN7rocprim17ROCPRIM_400000_NS6detail17trampoline_kernelINS0_14default_configENS1_25partition_config_selectorILNS1_17partition_subalgoE9EllbEEZZNS1_14partition_implILS5_9ELb0ES3_jPlS8_PNS0_10empty_typeENS0_5tupleIJS8_S9_EEENSB_IJS8_SA_EEENS0_18inequality_wrapperIZN2at6native12_GLOBAL__N_124unique_dim_cuda_templateIhEESt5tupleIJNSF_6TensorESK_SK_EERKSK_lbbbEUlllE0_EEPmJS9_EEE10hipError_tPvRmT3_T4_T5_T6_T7_T9_mT8_P12ihipStream_tbDpT10_ENKUlT_T0_E_clISt17integral_constantIbLb1EES19_IbLb0EEEEDaS15_S16_EUlS15_E_NS1_11comp_targetILNS1_3genE4ELNS1_11target_archE910ELNS1_3gpuE8ELNS1_3repE0EEENS1_30default_config_static_selectorELNS0_4arch9wavefront6targetE1EEEvT1_.kd
    .uniform_work_group_size: 1
    .uses_dynamic_stack: false
    .vgpr_count:     0
    .vgpr_spill_count: 0
    .wavefront_size: 64
  - .agpr_count:     0
    .args:
      - .offset:         0
        .size:           120
        .value_kind:     by_value
    .group_segment_fixed_size: 0
    .kernarg_segment_align: 8
    .kernarg_segment_size: 120
    .language:       OpenCL C
    .language_version:
      - 2
      - 0
    .max_flat_workgroup_size: 128
    .name:           _ZN7rocprim17ROCPRIM_400000_NS6detail17trampoline_kernelINS0_14default_configENS1_25partition_config_selectorILNS1_17partition_subalgoE9EllbEEZZNS1_14partition_implILS5_9ELb0ES3_jPlS8_PNS0_10empty_typeENS0_5tupleIJS8_S9_EEENSB_IJS8_SA_EEENS0_18inequality_wrapperIZN2at6native12_GLOBAL__N_124unique_dim_cuda_templateIhEESt5tupleIJNSF_6TensorESK_SK_EERKSK_lbbbEUlllE0_EEPmJS9_EEE10hipError_tPvRmT3_T4_T5_T6_T7_T9_mT8_P12ihipStream_tbDpT10_ENKUlT_T0_E_clISt17integral_constantIbLb1EES19_IbLb0EEEEDaS15_S16_EUlS15_E_NS1_11comp_targetILNS1_3genE3ELNS1_11target_archE908ELNS1_3gpuE7ELNS1_3repE0EEENS1_30default_config_static_selectorELNS0_4arch9wavefront6targetE1EEEvT1_
    .private_segment_fixed_size: 0
    .sgpr_count:     6
    .sgpr_spill_count: 0
    .symbol:         _ZN7rocprim17ROCPRIM_400000_NS6detail17trampoline_kernelINS0_14default_configENS1_25partition_config_selectorILNS1_17partition_subalgoE9EllbEEZZNS1_14partition_implILS5_9ELb0ES3_jPlS8_PNS0_10empty_typeENS0_5tupleIJS8_S9_EEENSB_IJS8_SA_EEENS0_18inequality_wrapperIZN2at6native12_GLOBAL__N_124unique_dim_cuda_templateIhEESt5tupleIJNSF_6TensorESK_SK_EERKSK_lbbbEUlllE0_EEPmJS9_EEE10hipError_tPvRmT3_T4_T5_T6_T7_T9_mT8_P12ihipStream_tbDpT10_ENKUlT_T0_E_clISt17integral_constantIbLb1EES19_IbLb0EEEEDaS15_S16_EUlS15_E_NS1_11comp_targetILNS1_3genE3ELNS1_11target_archE908ELNS1_3gpuE7ELNS1_3repE0EEENS1_30default_config_static_selectorELNS0_4arch9wavefront6targetE1EEEvT1_.kd
    .uniform_work_group_size: 1
    .uses_dynamic_stack: false
    .vgpr_count:     0
    .vgpr_spill_count: 0
    .wavefront_size: 64
  - .agpr_count:     0
    .args:
      - .offset:         0
        .size:           120
        .value_kind:     by_value
    .group_segment_fixed_size: 0
    .kernarg_segment_align: 8
    .kernarg_segment_size: 120
    .language:       OpenCL C
    .language_version:
      - 2
      - 0
    .max_flat_workgroup_size: 192
    .name:           _ZN7rocprim17ROCPRIM_400000_NS6detail17trampoline_kernelINS0_14default_configENS1_25partition_config_selectorILNS1_17partition_subalgoE9EllbEEZZNS1_14partition_implILS5_9ELb0ES3_jPlS8_PNS0_10empty_typeENS0_5tupleIJS8_S9_EEENSB_IJS8_SA_EEENS0_18inequality_wrapperIZN2at6native12_GLOBAL__N_124unique_dim_cuda_templateIhEESt5tupleIJNSF_6TensorESK_SK_EERKSK_lbbbEUlllE0_EEPmJS9_EEE10hipError_tPvRmT3_T4_T5_T6_T7_T9_mT8_P12ihipStream_tbDpT10_ENKUlT_T0_E_clISt17integral_constantIbLb1EES19_IbLb0EEEEDaS15_S16_EUlS15_E_NS1_11comp_targetILNS1_3genE2ELNS1_11target_archE906ELNS1_3gpuE6ELNS1_3repE0EEENS1_30default_config_static_selectorELNS0_4arch9wavefront6targetE1EEEvT1_
    .private_segment_fixed_size: 0
    .sgpr_count:     6
    .sgpr_spill_count: 0
    .symbol:         _ZN7rocprim17ROCPRIM_400000_NS6detail17trampoline_kernelINS0_14default_configENS1_25partition_config_selectorILNS1_17partition_subalgoE9EllbEEZZNS1_14partition_implILS5_9ELb0ES3_jPlS8_PNS0_10empty_typeENS0_5tupleIJS8_S9_EEENSB_IJS8_SA_EEENS0_18inequality_wrapperIZN2at6native12_GLOBAL__N_124unique_dim_cuda_templateIhEESt5tupleIJNSF_6TensorESK_SK_EERKSK_lbbbEUlllE0_EEPmJS9_EEE10hipError_tPvRmT3_T4_T5_T6_T7_T9_mT8_P12ihipStream_tbDpT10_ENKUlT_T0_E_clISt17integral_constantIbLb1EES19_IbLb0EEEEDaS15_S16_EUlS15_E_NS1_11comp_targetILNS1_3genE2ELNS1_11target_archE906ELNS1_3gpuE6ELNS1_3repE0EEENS1_30default_config_static_selectorELNS0_4arch9wavefront6targetE1EEEvT1_.kd
    .uniform_work_group_size: 1
    .uses_dynamic_stack: false
    .vgpr_count:     0
    .vgpr_spill_count: 0
    .wavefront_size: 64
  - .agpr_count:     0
    .args:
      - .offset:         0
        .size:           120
        .value_kind:     by_value
    .group_segment_fixed_size: 0
    .kernarg_segment_align: 8
    .kernarg_segment_size: 120
    .language:       OpenCL C
    .language_version:
      - 2
      - 0
    .max_flat_workgroup_size: 384
    .name:           _ZN7rocprim17ROCPRIM_400000_NS6detail17trampoline_kernelINS0_14default_configENS1_25partition_config_selectorILNS1_17partition_subalgoE9EllbEEZZNS1_14partition_implILS5_9ELb0ES3_jPlS8_PNS0_10empty_typeENS0_5tupleIJS8_S9_EEENSB_IJS8_SA_EEENS0_18inequality_wrapperIZN2at6native12_GLOBAL__N_124unique_dim_cuda_templateIhEESt5tupleIJNSF_6TensorESK_SK_EERKSK_lbbbEUlllE0_EEPmJS9_EEE10hipError_tPvRmT3_T4_T5_T6_T7_T9_mT8_P12ihipStream_tbDpT10_ENKUlT_T0_E_clISt17integral_constantIbLb1EES19_IbLb0EEEEDaS15_S16_EUlS15_E_NS1_11comp_targetILNS1_3genE10ELNS1_11target_archE1200ELNS1_3gpuE4ELNS1_3repE0EEENS1_30default_config_static_selectorELNS0_4arch9wavefront6targetE1EEEvT1_
    .private_segment_fixed_size: 0
    .sgpr_count:     6
    .sgpr_spill_count: 0
    .symbol:         _ZN7rocprim17ROCPRIM_400000_NS6detail17trampoline_kernelINS0_14default_configENS1_25partition_config_selectorILNS1_17partition_subalgoE9EllbEEZZNS1_14partition_implILS5_9ELb0ES3_jPlS8_PNS0_10empty_typeENS0_5tupleIJS8_S9_EEENSB_IJS8_SA_EEENS0_18inequality_wrapperIZN2at6native12_GLOBAL__N_124unique_dim_cuda_templateIhEESt5tupleIJNSF_6TensorESK_SK_EERKSK_lbbbEUlllE0_EEPmJS9_EEE10hipError_tPvRmT3_T4_T5_T6_T7_T9_mT8_P12ihipStream_tbDpT10_ENKUlT_T0_E_clISt17integral_constantIbLb1EES19_IbLb0EEEEDaS15_S16_EUlS15_E_NS1_11comp_targetILNS1_3genE10ELNS1_11target_archE1200ELNS1_3gpuE4ELNS1_3repE0EEENS1_30default_config_static_selectorELNS0_4arch9wavefront6targetE1EEEvT1_.kd
    .uniform_work_group_size: 1
    .uses_dynamic_stack: false
    .vgpr_count:     0
    .vgpr_spill_count: 0
    .wavefront_size: 64
  - .agpr_count:     0
    .args:
      - .offset:         0
        .size:           120
        .value_kind:     by_value
    .group_segment_fixed_size: 0
    .kernarg_segment_align: 8
    .kernarg_segment_size: 120
    .language:       OpenCL C
    .language_version:
      - 2
      - 0
    .max_flat_workgroup_size: 512
    .name:           _ZN7rocprim17ROCPRIM_400000_NS6detail17trampoline_kernelINS0_14default_configENS1_25partition_config_selectorILNS1_17partition_subalgoE9EllbEEZZNS1_14partition_implILS5_9ELb0ES3_jPlS8_PNS0_10empty_typeENS0_5tupleIJS8_S9_EEENSB_IJS8_SA_EEENS0_18inequality_wrapperIZN2at6native12_GLOBAL__N_124unique_dim_cuda_templateIhEESt5tupleIJNSF_6TensorESK_SK_EERKSK_lbbbEUlllE0_EEPmJS9_EEE10hipError_tPvRmT3_T4_T5_T6_T7_T9_mT8_P12ihipStream_tbDpT10_ENKUlT_T0_E_clISt17integral_constantIbLb1EES19_IbLb0EEEEDaS15_S16_EUlS15_E_NS1_11comp_targetILNS1_3genE9ELNS1_11target_archE1100ELNS1_3gpuE3ELNS1_3repE0EEENS1_30default_config_static_selectorELNS0_4arch9wavefront6targetE1EEEvT1_
    .private_segment_fixed_size: 0
    .sgpr_count:     6
    .sgpr_spill_count: 0
    .symbol:         _ZN7rocprim17ROCPRIM_400000_NS6detail17trampoline_kernelINS0_14default_configENS1_25partition_config_selectorILNS1_17partition_subalgoE9EllbEEZZNS1_14partition_implILS5_9ELb0ES3_jPlS8_PNS0_10empty_typeENS0_5tupleIJS8_S9_EEENSB_IJS8_SA_EEENS0_18inequality_wrapperIZN2at6native12_GLOBAL__N_124unique_dim_cuda_templateIhEESt5tupleIJNSF_6TensorESK_SK_EERKSK_lbbbEUlllE0_EEPmJS9_EEE10hipError_tPvRmT3_T4_T5_T6_T7_T9_mT8_P12ihipStream_tbDpT10_ENKUlT_T0_E_clISt17integral_constantIbLb1EES19_IbLb0EEEEDaS15_S16_EUlS15_E_NS1_11comp_targetILNS1_3genE9ELNS1_11target_archE1100ELNS1_3gpuE3ELNS1_3repE0EEENS1_30default_config_static_selectorELNS0_4arch9wavefront6targetE1EEEvT1_.kd
    .uniform_work_group_size: 1
    .uses_dynamic_stack: false
    .vgpr_count:     0
    .vgpr_spill_count: 0
    .wavefront_size: 64
  - .agpr_count:     0
    .args:
      - .offset:         0
        .size:           120
        .value_kind:     by_value
    .group_segment_fixed_size: 0
    .kernarg_segment_align: 8
    .kernarg_segment_size: 120
    .language:       OpenCL C
    .language_version:
      - 2
      - 0
    .max_flat_workgroup_size: 512
    .name:           _ZN7rocprim17ROCPRIM_400000_NS6detail17trampoline_kernelINS0_14default_configENS1_25partition_config_selectorILNS1_17partition_subalgoE9EllbEEZZNS1_14partition_implILS5_9ELb0ES3_jPlS8_PNS0_10empty_typeENS0_5tupleIJS8_S9_EEENSB_IJS8_SA_EEENS0_18inequality_wrapperIZN2at6native12_GLOBAL__N_124unique_dim_cuda_templateIhEESt5tupleIJNSF_6TensorESK_SK_EERKSK_lbbbEUlllE0_EEPmJS9_EEE10hipError_tPvRmT3_T4_T5_T6_T7_T9_mT8_P12ihipStream_tbDpT10_ENKUlT_T0_E_clISt17integral_constantIbLb1EES19_IbLb0EEEEDaS15_S16_EUlS15_E_NS1_11comp_targetILNS1_3genE8ELNS1_11target_archE1030ELNS1_3gpuE2ELNS1_3repE0EEENS1_30default_config_static_selectorELNS0_4arch9wavefront6targetE1EEEvT1_
    .private_segment_fixed_size: 0
    .sgpr_count:     6
    .sgpr_spill_count: 0
    .symbol:         _ZN7rocprim17ROCPRIM_400000_NS6detail17trampoline_kernelINS0_14default_configENS1_25partition_config_selectorILNS1_17partition_subalgoE9EllbEEZZNS1_14partition_implILS5_9ELb0ES3_jPlS8_PNS0_10empty_typeENS0_5tupleIJS8_S9_EEENSB_IJS8_SA_EEENS0_18inequality_wrapperIZN2at6native12_GLOBAL__N_124unique_dim_cuda_templateIhEESt5tupleIJNSF_6TensorESK_SK_EERKSK_lbbbEUlllE0_EEPmJS9_EEE10hipError_tPvRmT3_T4_T5_T6_T7_T9_mT8_P12ihipStream_tbDpT10_ENKUlT_T0_E_clISt17integral_constantIbLb1EES19_IbLb0EEEEDaS15_S16_EUlS15_E_NS1_11comp_targetILNS1_3genE8ELNS1_11target_archE1030ELNS1_3gpuE2ELNS1_3repE0EEENS1_30default_config_static_selectorELNS0_4arch9wavefront6targetE1EEEvT1_.kd
    .uniform_work_group_size: 1
    .uses_dynamic_stack: false
    .vgpr_count:     0
    .vgpr_spill_count: 0
    .wavefront_size: 64
  - .agpr_count:     0
    .args:
      - .offset:         0
        .size:           136
        .value_kind:     by_value
    .group_segment_fixed_size: 0
    .kernarg_segment_align: 8
    .kernarg_segment_size: 136
    .language:       OpenCL C
    .language_version:
      - 2
      - 0
    .max_flat_workgroup_size: 128
    .name:           _ZN7rocprim17ROCPRIM_400000_NS6detail17trampoline_kernelINS0_14default_configENS1_25partition_config_selectorILNS1_17partition_subalgoE9EllbEEZZNS1_14partition_implILS5_9ELb0ES3_jPlS8_PNS0_10empty_typeENS0_5tupleIJS8_S9_EEENSB_IJS8_SA_EEENS0_18inequality_wrapperIZN2at6native12_GLOBAL__N_124unique_dim_cuda_templateIhEESt5tupleIJNSF_6TensorESK_SK_EERKSK_lbbbEUlllE0_EEPmJS9_EEE10hipError_tPvRmT3_T4_T5_T6_T7_T9_mT8_P12ihipStream_tbDpT10_ENKUlT_T0_E_clISt17integral_constantIbLb0EES19_IbLb1EEEEDaS15_S16_EUlS15_E_NS1_11comp_targetILNS1_3genE0ELNS1_11target_archE4294967295ELNS1_3gpuE0ELNS1_3repE0EEENS1_30default_config_static_selectorELNS0_4arch9wavefront6targetE1EEEvT1_
    .private_segment_fixed_size: 0
    .sgpr_count:     6
    .sgpr_spill_count: 0
    .symbol:         _ZN7rocprim17ROCPRIM_400000_NS6detail17trampoline_kernelINS0_14default_configENS1_25partition_config_selectorILNS1_17partition_subalgoE9EllbEEZZNS1_14partition_implILS5_9ELb0ES3_jPlS8_PNS0_10empty_typeENS0_5tupleIJS8_S9_EEENSB_IJS8_SA_EEENS0_18inequality_wrapperIZN2at6native12_GLOBAL__N_124unique_dim_cuda_templateIhEESt5tupleIJNSF_6TensorESK_SK_EERKSK_lbbbEUlllE0_EEPmJS9_EEE10hipError_tPvRmT3_T4_T5_T6_T7_T9_mT8_P12ihipStream_tbDpT10_ENKUlT_T0_E_clISt17integral_constantIbLb0EES19_IbLb1EEEEDaS15_S16_EUlS15_E_NS1_11comp_targetILNS1_3genE0ELNS1_11target_archE4294967295ELNS1_3gpuE0ELNS1_3repE0EEENS1_30default_config_static_selectorELNS0_4arch9wavefront6targetE1EEEvT1_.kd
    .uniform_work_group_size: 1
    .uses_dynamic_stack: false
    .vgpr_count:     0
    .vgpr_spill_count: 0
    .wavefront_size: 64
  - .agpr_count:     0
    .args:
      - .offset:         0
        .size:           136
        .value_kind:     by_value
    .group_segment_fixed_size: 28684
    .kernarg_segment_align: 8
    .kernarg_segment_size: 136
    .language:       OpenCL C
    .language_version:
      - 2
      - 0
    .max_flat_workgroup_size: 512
    .name:           _ZN7rocprim17ROCPRIM_400000_NS6detail17trampoline_kernelINS0_14default_configENS1_25partition_config_selectorILNS1_17partition_subalgoE9EllbEEZZNS1_14partition_implILS5_9ELb0ES3_jPlS8_PNS0_10empty_typeENS0_5tupleIJS8_S9_EEENSB_IJS8_SA_EEENS0_18inequality_wrapperIZN2at6native12_GLOBAL__N_124unique_dim_cuda_templateIhEESt5tupleIJNSF_6TensorESK_SK_EERKSK_lbbbEUlllE0_EEPmJS9_EEE10hipError_tPvRmT3_T4_T5_T6_T7_T9_mT8_P12ihipStream_tbDpT10_ENKUlT_T0_E_clISt17integral_constantIbLb0EES19_IbLb1EEEEDaS15_S16_EUlS15_E_NS1_11comp_targetILNS1_3genE5ELNS1_11target_archE942ELNS1_3gpuE9ELNS1_3repE0EEENS1_30default_config_static_selectorELNS0_4arch9wavefront6targetE1EEEvT1_
    .private_segment_fixed_size: 0
    .sgpr_count:     64
    .sgpr_spill_count: 0
    .symbol:         _ZN7rocprim17ROCPRIM_400000_NS6detail17trampoline_kernelINS0_14default_configENS1_25partition_config_selectorILNS1_17partition_subalgoE9EllbEEZZNS1_14partition_implILS5_9ELb0ES3_jPlS8_PNS0_10empty_typeENS0_5tupleIJS8_S9_EEENSB_IJS8_SA_EEENS0_18inequality_wrapperIZN2at6native12_GLOBAL__N_124unique_dim_cuda_templateIhEESt5tupleIJNSF_6TensorESK_SK_EERKSK_lbbbEUlllE0_EEPmJS9_EEE10hipError_tPvRmT3_T4_T5_T6_T7_T9_mT8_P12ihipStream_tbDpT10_ENKUlT_T0_E_clISt17integral_constantIbLb0EES19_IbLb1EEEEDaS15_S16_EUlS15_E_NS1_11comp_targetILNS1_3genE5ELNS1_11target_archE942ELNS1_3gpuE9ELNS1_3repE0EEENS1_30default_config_static_selectorELNS0_4arch9wavefront6targetE1EEEvT1_.kd
    .uniform_work_group_size: 1
    .uses_dynamic_stack: false
    .vgpr_count:     66
    .vgpr_spill_count: 0
    .wavefront_size: 64
  - .agpr_count:     0
    .args:
      - .offset:         0
        .size:           136
        .value_kind:     by_value
    .group_segment_fixed_size: 0
    .kernarg_segment_align: 8
    .kernarg_segment_size: 136
    .language:       OpenCL C
    .language_version:
      - 2
      - 0
    .max_flat_workgroup_size: 128
    .name:           _ZN7rocprim17ROCPRIM_400000_NS6detail17trampoline_kernelINS0_14default_configENS1_25partition_config_selectorILNS1_17partition_subalgoE9EllbEEZZNS1_14partition_implILS5_9ELb0ES3_jPlS8_PNS0_10empty_typeENS0_5tupleIJS8_S9_EEENSB_IJS8_SA_EEENS0_18inequality_wrapperIZN2at6native12_GLOBAL__N_124unique_dim_cuda_templateIhEESt5tupleIJNSF_6TensorESK_SK_EERKSK_lbbbEUlllE0_EEPmJS9_EEE10hipError_tPvRmT3_T4_T5_T6_T7_T9_mT8_P12ihipStream_tbDpT10_ENKUlT_T0_E_clISt17integral_constantIbLb0EES19_IbLb1EEEEDaS15_S16_EUlS15_E_NS1_11comp_targetILNS1_3genE4ELNS1_11target_archE910ELNS1_3gpuE8ELNS1_3repE0EEENS1_30default_config_static_selectorELNS0_4arch9wavefront6targetE1EEEvT1_
    .private_segment_fixed_size: 0
    .sgpr_count:     6
    .sgpr_spill_count: 0
    .symbol:         _ZN7rocprim17ROCPRIM_400000_NS6detail17trampoline_kernelINS0_14default_configENS1_25partition_config_selectorILNS1_17partition_subalgoE9EllbEEZZNS1_14partition_implILS5_9ELb0ES3_jPlS8_PNS0_10empty_typeENS0_5tupleIJS8_S9_EEENSB_IJS8_SA_EEENS0_18inequality_wrapperIZN2at6native12_GLOBAL__N_124unique_dim_cuda_templateIhEESt5tupleIJNSF_6TensorESK_SK_EERKSK_lbbbEUlllE0_EEPmJS9_EEE10hipError_tPvRmT3_T4_T5_T6_T7_T9_mT8_P12ihipStream_tbDpT10_ENKUlT_T0_E_clISt17integral_constantIbLb0EES19_IbLb1EEEEDaS15_S16_EUlS15_E_NS1_11comp_targetILNS1_3genE4ELNS1_11target_archE910ELNS1_3gpuE8ELNS1_3repE0EEENS1_30default_config_static_selectorELNS0_4arch9wavefront6targetE1EEEvT1_.kd
    .uniform_work_group_size: 1
    .uses_dynamic_stack: false
    .vgpr_count:     0
    .vgpr_spill_count: 0
    .wavefront_size: 64
  - .agpr_count:     0
    .args:
      - .offset:         0
        .size:           136
        .value_kind:     by_value
    .group_segment_fixed_size: 0
    .kernarg_segment_align: 8
    .kernarg_segment_size: 136
    .language:       OpenCL C
    .language_version:
      - 2
      - 0
    .max_flat_workgroup_size: 128
    .name:           _ZN7rocprim17ROCPRIM_400000_NS6detail17trampoline_kernelINS0_14default_configENS1_25partition_config_selectorILNS1_17partition_subalgoE9EllbEEZZNS1_14partition_implILS5_9ELb0ES3_jPlS8_PNS0_10empty_typeENS0_5tupleIJS8_S9_EEENSB_IJS8_SA_EEENS0_18inequality_wrapperIZN2at6native12_GLOBAL__N_124unique_dim_cuda_templateIhEESt5tupleIJNSF_6TensorESK_SK_EERKSK_lbbbEUlllE0_EEPmJS9_EEE10hipError_tPvRmT3_T4_T5_T6_T7_T9_mT8_P12ihipStream_tbDpT10_ENKUlT_T0_E_clISt17integral_constantIbLb0EES19_IbLb1EEEEDaS15_S16_EUlS15_E_NS1_11comp_targetILNS1_3genE3ELNS1_11target_archE908ELNS1_3gpuE7ELNS1_3repE0EEENS1_30default_config_static_selectorELNS0_4arch9wavefront6targetE1EEEvT1_
    .private_segment_fixed_size: 0
    .sgpr_count:     6
    .sgpr_spill_count: 0
    .symbol:         _ZN7rocprim17ROCPRIM_400000_NS6detail17trampoline_kernelINS0_14default_configENS1_25partition_config_selectorILNS1_17partition_subalgoE9EllbEEZZNS1_14partition_implILS5_9ELb0ES3_jPlS8_PNS0_10empty_typeENS0_5tupleIJS8_S9_EEENSB_IJS8_SA_EEENS0_18inequality_wrapperIZN2at6native12_GLOBAL__N_124unique_dim_cuda_templateIhEESt5tupleIJNSF_6TensorESK_SK_EERKSK_lbbbEUlllE0_EEPmJS9_EEE10hipError_tPvRmT3_T4_T5_T6_T7_T9_mT8_P12ihipStream_tbDpT10_ENKUlT_T0_E_clISt17integral_constantIbLb0EES19_IbLb1EEEEDaS15_S16_EUlS15_E_NS1_11comp_targetILNS1_3genE3ELNS1_11target_archE908ELNS1_3gpuE7ELNS1_3repE0EEENS1_30default_config_static_selectorELNS0_4arch9wavefront6targetE1EEEvT1_.kd
    .uniform_work_group_size: 1
    .uses_dynamic_stack: false
    .vgpr_count:     0
    .vgpr_spill_count: 0
    .wavefront_size: 64
  - .agpr_count:     0
    .args:
      - .offset:         0
        .size:           136
        .value_kind:     by_value
    .group_segment_fixed_size: 0
    .kernarg_segment_align: 8
    .kernarg_segment_size: 136
    .language:       OpenCL C
    .language_version:
      - 2
      - 0
    .max_flat_workgroup_size: 192
    .name:           _ZN7rocprim17ROCPRIM_400000_NS6detail17trampoline_kernelINS0_14default_configENS1_25partition_config_selectorILNS1_17partition_subalgoE9EllbEEZZNS1_14partition_implILS5_9ELb0ES3_jPlS8_PNS0_10empty_typeENS0_5tupleIJS8_S9_EEENSB_IJS8_SA_EEENS0_18inequality_wrapperIZN2at6native12_GLOBAL__N_124unique_dim_cuda_templateIhEESt5tupleIJNSF_6TensorESK_SK_EERKSK_lbbbEUlllE0_EEPmJS9_EEE10hipError_tPvRmT3_T4_T5_T6_T7_T9_mT8_P12ihipStream_tbDpT10_ENKUlT_T0_E_clISt17integral_constantIbLb0EES19_IbLb1EEEEDaS15_S16_EUlS15_E_NS1_11comp_targetILNS1_3genE2ELNS1_11target_archE906ELNS1_3gpuE6ELNS1_3repE0EEENS1_30default_config_static_selectorELNS0_4arch9wavefront6targetE1EEEvT1_
    .private_segment_fixed_size: 0
    .sgpr_count:     6
    .sgpr_spill_count: 0
    .symbol:         _ZN7rocprim17ROCPRIM_400000_NS6detail17trampoline_kernelINS0_14default_configENS1_25partition_config_selectorILNS1_17partition_subalgoE9EllbEEZZNS1_14partition_implILS5_9ELb0ES3_jPlS8_PNS0_10empty_typeENS0_5tupleIJS8_S9_EEENSB_IJS8_SA_EEENS0_18inequality_wrapperIZN2at6native12_GLOBAL__N_124unique_dim_cuda_templateIhEESt5tupleIJNSF_6TensorESK_SK_EERKSK_lbbbEUlllE0_EEPmJS9_EEE10hipError_tPvRmT3_T4_T5_T6_T7_T9_mT8_P12ihipStream_tbDpT10_ENKUlT_T0_E_clISt17integral_constantIbLb0EES19_IbLb1EEEEDaS15_S16_EUlS15_E_NS1_11comp_targetILNS1_3genE2ELNS1_11target_archE906ELNS1_3gpuE6ELNS1_3repE0EEENS1_30default_config_static_selectorELNS0_4arch9wavefront6targetE1EEEvT1_.kd
    .uniform_work_group_size: 1
    .uses_dynamic_stack: false
    .vgpr_count:     0
    .vgpr_spill_count: 0
    .wavefront_size: 64
  - .agpr_count:     0
    .args:
      - .offset:         0
        .size:           136
        .value_kind:     by_value
    .group_segment_fixed_size: 0
    .kernarg_segment_align: 8
    .kernarg_segment_size: 136
    .language:       OpenCL C
    .language_version:
      - 2
      - 0
    .max_flat_workgroup_size: 384
    .name:           _ZN7rocprim17ROCPRIM_400000_NS6detail17trampoline_kernelINS0_14default_configENS1_25partition_config_selectorILNS1_17partition_subalgoE9EllbEEZZNS1_14partition_implILS5_9ELb0ES3_jPlS8_PNS0_10empty_typeENS0_5tupleIJS8_S9_EEENSB_IJS8_SA_EEENS0_18inequality_wrapperIZN2at6native12_GLOBAL__N_124unique_dim_cuda_templateIhEESt5tupleIJNSF_6TensorESK_SK_EERKSK_lbbbEUlllE0_EEPmJS9_EEE10hipError_tPvRmT3_T4_T5_T6_T7_T9_mT8_P12ihipStream_tbDpT10_ENKUlT_T0_E_clISt17integral_constantIbLb0EES19_IbLb1EEEEDaS15_S16_EUlS15_E_NS1_11comp_targetILNS1_3genE10ELNS1_11target_archE1200ELNS1_3gpuE4ELNS1_3repE0EEENS1_30default_config_static_selectorELNS0_4arch9wavefront6targetE1EEEvT1_
    .private_segment_fixed_size: 0
    .sgpr_count:     6
    .sgpr_spill_count: 0
    .symbol:         _ZN7rocprim17ROCPRIM_400000_NS6detail17trampoline_kernelINS0_14default_configENS1_25partition_config_selectorILNS1_17partition_subalgoE9EllbEEZZNS1_14partition_implILS5_9ELb0ES3_jPlS8_PNS0_10empty_typeENS0_5tupleIJS8_S9_EEENSB_IJS8_SA_EEENS0_18inequality_wrapperIZN2at6native12_GLOBAL__N_124unique_dim_cuda_templateIhEESt5tupleIJNSF_6TensorESK_SK_EERKSK_lbbbEUlllE0_EEPmJS9_EEE10hipError_tPvRmT3_T4_T5_T6_T7_T9_mT8_P12ihipStream_tbDpT10_ENKUlT_T0_E_clISt17integral_constantIbLb0EES19_IbLb1EEEEDaS15_S16_EUlS15_E_NS1_11comp_targetILNS1_3genE10ELNS1_11target_archE1200ELNS1_3gpuE4ELNS1_3repE0EEENS1_30default_config_static_selectorELNS0_4arch9wavefront6targetE1EEEvT1_.kd
    .uniform_work_group_size: 1
    .uses_dynamic_stack: false
    .vgpr_count:     0
    .vgpr_spill_count: 0
    .wavefront_size: 64
  - .agpr_count:     0
    .args:
      - .offset:         0
        .size:           136
        .value_kind:     by_value
    .group_segment_fixed_size: 0
    .kernarg_segment_align: 8
    .kernarg_segment_size: 136
    .language:       OpenCL C
    .language_version:
      - 2
      - 0
    .max_flat_workgroup_size: 512
    .name:           _ZN7rocprim17ROCPRIM_400000_NS6detail17trampoline_kernelINS0_14default_configENS1_25partition_config_selectorILNS1_17partition_subalgoE9EllbEEZZNS1_14partition_implILS5_9ELb0ES3_jPlS8_PNS0_10empty_typeENS0_5tupleIJS8_S9_EEENSB_IJS8_SA_EEENS0_18inequality_wrapperIZN2at6native12_GLOBAL__N_124unique_dim_cuda_templateIhEESt5tupleIJNSF_6TensorESK_SK_EERKSK_lbbbEUlllE0_EEPmJS9_EEE10hipError_tPvRmT3_T4_T5_T6_T7_T9_mT8_P12ihipStream_tbDpT10_ENKUlT_T0_E_clISt17integral_constantIbLb0EES19_IbLb1EEEEDaS15_S16_EUlS15_E_NS1_11comp_targetILNS1_3genE9ELNS1_11target_archE1100ELNS1_3gpuE3ELNS1_3repE0EEENS1_30default_config_static_selectorELNS0_4arch9wavefront6targetE1EEEvT1_
    .private_segment_fixed_size: 0
    .sgpr_count:     6
    .sgpr_spill_count: 0
    .symbol:         _ZN7rocprim17ROCPRIM_400000_NS6detail17trampoline_kernelINS0_14default_configENS1_25partition_config_selectorILNS1_17partition_subalgoE9EllbEEZZNS1_14partition_implILS5_9ELb0ES3_jPlS8_PNS0_10empty_typeENS0_5tupleIJS8_S9_EEENSB_IJS8_SA_EEENS0_18inequality_wrapperIZN2at6native12_GLOBAL__N_124unique_dim_cuda_templateIhEESt5tupleIJNSF_6TensorESK_SK_EERKSK_lbbbEUlllE0_EEPmJS9_EEE10hipError_tPvRmT3_T4_T5_T6_T7_T9_mT8_P12ihipStream_tbDpT10_ENKUlT_T0_E_clISt17integral_constantIbLb0EES19_IbLb1EEEEDaS15_S16_EUlS15_E_NS1_11comp_targetILNS1_3genE9ELNS1_11target_archE1100ELNS1_3gpuE3ELNS1_3repE0EEENS1_30default_config_static_selectorELNS0_4arch9wavefront6targetE1EEEvT1_.kd
    .uniform_work_group_size: 1
    .uses_dynamic_stack: false
    .vgpr_count:     0
    .vgpr_spill_count: 0
    .wavefront_size: 64
  - .agpr_count:     0
    .args:
      - .offset:         0
        .size:           136
        .value_kind:     by_value
    .group_segment_fixed_size: 0
    .kernarg_segment_align: 8
    .kernarg_segment_size: 136
    .language:       OpenCL C
    .language_version:
      - 2
      - 0
    .max_flat_workgroup_size: 512
    .name:           _ZN7rocprim17ROCPRIM_400000_NS6detail17trampoline_kernelINS0_14default_configENS1_25partition_config_selectorILNS1_17partition_subalgoE9EllbEEZZNS1_14partition_implILS5_9ELb0ES3_jPlS8_PNS0_10empty_typeENS0_5tupleIJS8_S9_EEENSB_IJS8_SA_EEENS0_18inequality_wrapperIZN2at6native12_GLOBAL__N_124unique_dim_cuda_templateIhEESt5tupleIJNSF_6TensorESK_SK_EERKSK_lbbbEUlllE0_EEPmJS9_EEE10hipError_tPvRmT3_T4_T5_T6_T7_T9_mT8_P12ihipStream_tbDpT10_ENKUlT_T0_E_clISt17integral_constantIbLb0EES19_IbLb1EEEEDaS15_S16_EUlS15_E_NS1_11comp_targetILNS1_3genE8ELNS1_11target_archE1030ELNS1_3gpuE2ELNS1_3repE0EEENS1_30default_config_static_selectorELNS0_4arch9wavefront6targetE1EEEvT1_
    .private_segment_fixed_size: 0
    .sgpr_count:     6
    .sgpr_spill_count: 0
    .symbol:         _ZN7rocprim17ROCPRIM_400000_NS6detail17trampoline_kernelINS0_14default_configENS1_25partition_config_selectorILNS1_17partition_subalgoE9EllbEEZZNS1_14partition_implILS5_9ELb0ES3_jPlS8_PNS0_10empty_typeENS0_5tupleIJS8_S9_EEENSB_IJS8_SA_EEENS0_18inequality_wrapperIZN2at6native12_GLOBAL__N_124unique_dim_cuda_templateIhEESt5tupleIJNSF_6TensorESK_SK_EERKSK_lbbbEUlllE0_EEPmJS9_EEE10hipError_tPvRmT3_T4_T5_T6_T7_T9_mT8_P12ihipStream_tbDpT10_ENKUlT_T0_E_clISt17integral_constantIbLb0EES19_IbLb1EEEEDaS15_S16_EUlS15_E_NS1_11comp_targetILNS1_3genE8ELNS1_11target_archE1030ELNS1_3gpuE2ELNS1_3repE0EEENS1_30default_config_static_selectorELNS0_4arch9wavefront6targetE1EEEvT1_.kd
    .uniform_work_group_size: 1
    .uses_dynamic_stack: false
    .vgpr_count:     0
    .vgpr_spill_count: 0
    .wavefront_size: 64
  - .agpr_count:     0
    .args:
      - .offset:         0
        .size:           56
        .value_kind:     by_value
    .group_segment_fixed_size: 0
    .kernarg_segment_align: 8
    .kernarg_segment_size: 56
    .language:       OpenCL C
    .language_version:
      - 2
      - 0
    .max_flat_workgroup_size: 128
    .name:           _ZN7rocprim17ROCPRIM_400000_NS6detail17trampoline_kernelINS0_14default_configENS1_35adjacent_difference_config_selectorILb0ElEEZNS1_24adjacent_difference_implIS3_Lb0ELb0EPlS7_N6thrust23THRUST_200600_302600_NS5minusIlEEEE10hipError_tPvRmT2_T3_mT4_P12ihipStream_tbEUlT_E_NS1_11comp_targetILNS1_3genE0ELNS1_11target_archE4294967295ELNS1_3gpuE0ELNS1_3repE0EEENS1_30default_config_static_selectorELNS0_4arch9wavefront6targetE1EEEvT1_
    .private_segment_fixed_size: 0
    .sgpr_count:     6
    .sgpr_spill_count: 0
    .symbol:         _ZN7rocprim17ROCPRIM_400000_NS6detail17trampoline_kernelINS0_14default_configENS1_35adjacent_difference_config_selectorILb0ElEEZNS1_24adjacent_difference_implIS3_Lb0ELb0EPlS7_N6thrust23THRUST_200600_302600_NS5minusIlEEEE10hipError_tPvRmT2_T3_mT4_P12ihipStream_tbEUlT_E_NS1_11comp_targetILNS1_3genE0ELNS1_11target_archE4294967295ELNS1_3gpuE0ELNS1_3repE0EEENS1_30default_config_static_selectorELNS0_4arch9wavefront6targetE1EEEvT1_.kd
    .uniform_work_group_size: 1
    .uses_dynamic_stack: false
    .vgpr_count:     0
    .vgpr_spill_count: 0
    .wavefront_size: 64
  - .agpr_count:     0
    .args:
      - .offset:         0
        .size:           56
        .value_kind:     by_value
    .group_segment_fixed_size: 0
    .kernarg_segment_align: 8
    .kernarg_segment_size: 56
    .language:       OpenCL C
    .language_version:
      - 2
      - 0
    .max_flat_workgroup_size: 128
    .name:           _ZN7rocprim17ROCPRIM_400000_NS6detail17trampoline_kernelINS0_14default_configENS1_35adjacent_difference_config_selectorILb0ElEEZNS1_24adjacent_difference_implIS3_Lb0ELb0EPlS7_N6thrust23THRUST_200600_302600_NS5minusIlEEEE10hipError_tPvRmT2_T3_mT4_P12ihipStream_tbEUlT_E_NS1_11comp_targetILNS1_3genE10ELNS1_11target_archE1201ELNS1_3gpuE5ELNS1_3repE0EEENS1_30default_config_static_selectorELNS0_4arch9wavefront6targetE1EEEvT1_
    .private_segment_fixed_size: 0
    .sgpr_count:     6
    .sgpr_spill_count: 0
    .symbol:         _ZN7rocprim17ROCPRIM_400000_NS6detail17trampoline_kernelINS0_14default_configENS1_35adjacent_difference_config_selectorILb0ElEEZNS1_24adjacent_difference_implIS3_Lb0ELb0EPlS7_N6thrust23THRUST_200600_302600_NS5minusIlEEEE10hipError_tPvRmT2_T3_mT4_P12ihipStream_tbEUlT_E_NS1_11comp_targetILNS1_3genE10ELNS1_11target_archE1201ELNS1_3gpuE5ELNS1_3repE0EEENS1_30default_config_static_selectorELNS0_4arch9wavefront6targetE1EEEvT1_.kd
    .uniform_work_group_size: 1
    .uses_dynamic_stack: false
    .vgpr_count:     0
    .vgpr_spill_count: 0
    .wavefront_size: 64
  - .agpr_count:     0
    .args:
      - .offset:         0
        .size:           56
        .value_kind:     by_value
    .group_segment_fixed_size: 6656
    .kernarg_segment_align: 8
    .kernarg_segment_size: 56
    .language:       OpenCL C
    .language_version:
      - 2
      - 0
    .max_flat_workgroup_size: 64
    .name:           _ZN7rocprim17ROCPRIM_400000_NS6detail17trampoline_kernelINS0_14default_configENS1_35adjacent_difference_config_selectorILb0ElEEZNS1_24adjacent_difference_implIS3_Lb0ELb0EPlS7_N6thrust23THRUST_200600_302600_NS5minusIlEEEE10hipError_tPvRmT2_T3_mT4_P12ihipStream_tbEUlT_E_NS1_11comp_targetILNS1_3genE5ELNS1_11target_archE942ELNS1_3gpuE9ELNS1_3repE0EEENS1_30default_config_static_selectorELNS0_4arch9wavefront6targetE1EEEvT1_
    .private_segment_fixed_size: 0
    .sgpr_count:     29
    .sgpr_spill_count: 0
    .symbol:         _ZN7rocprim17ROCPRIM_400000_NS6detail17trampoline_kernelINS0_14default_configENS1_35adjacent_difference_config_selectorILb0ElEEZNS1_24adjacent_difference_implIS3_Lb0ELb0EPlS7_N6thrust23THRUST_200600_302600_NS5minusIlEEEE10hipError_tPvRmT2_T3_mT4_P12ihipStream_tbEUlT_E_NS1_11comp_targetILNS1_3genE5ELNS1_11target_archE942ELNS1_3gpuE9ELNS1_3repE0EEENS1_30default_config_static_selectorELNS0_4arch9wavefront6targetE1EEEvT1_.kd
    .uniform_work_group_size: 1
    .uses_dynamic_stack: false
    .vgpr_count:     58
    .vgpr_spill_count: 0
    .wavefront_size: 64
  - .agpr_count:     0
    .args:
      - .offset:         0
        .size:           56
        .value_kind:     by_value
    .group_segment_fixed_size: 0
    .kernarg_segment_align: 8
    .kernarg_segment_size: 56
    .language:       OpenCL C
    .language_version:
      - 2
      - 0
    .max_flat_workgroup_size: 256
    .name:           _ZN7rocprim17ROCPRIM_400000_NS6detail17trampoline_kernelINS0_14default_configENS1_35adjacent_difference_config_selectorILb0ElEEZNS1_24adjacent_difference_implIS3_Lb0ELb0EPlS7_N6thrust23THRUST_200600_302600_NS5minusIlEEEE10hipError_tPvRmT2_T3_mT4_P12ihipStream_tbEUlT_E_NS1_11comp_targetILNS1_3genE4ELNS1_11target_archE910ELNS1_3gpuE8ELNS1_3repE0EEENS1_30default_config_static_selectorELNS0_4arch9wavefront6targetE1EEEvT1_
    .private_segment_fixed_size: 0
    .sgpr_count:     6
    .sgpr_spill_count: 0
    .symbol:         _ZN7rocprim17ROCPRIM_400000_NS6detail17trampoline_kernelINS0_14default_configENS1_35adjacent_difference_config_selectorILb0ElEEZNS1_24adjacent_difference_implIS3_Lb0ELb0EPlS7_N6thrust23THRUST_200600_302600_NS5minusIlEEEE10hipError_tPvRmT2_T3_mT4_P12ihipStream_tbEUlT_E_NS1_11comp_targetILNS1_3genE4ELNS1_11target_archE910ELNS1_3gpuE8ELNS1_3repE0EEENS1_30default_config_static_selectorELNS0_4arch9wavefront6targetE1EEEvT1_.kd
    .uniform_work_group_size: 1
    .uses_dynamic_stack: false
    .vgpr_count:     0
    .vgpr_spill_count: 0
    .wavefront_size: 64
  - .agpr_count:     0
    .args:
      - .offset:         0
        .size:           56
        .value_kind:     by_value
    .group_segment_fixed_size: 0
    .kernarg_segment_align: 8
    .kernarg_segment_size: 56
    .language:       OpenCL C
    .language_version:
      - 2
      - 0
    .max_flat_workgroup_size: 128
    .name:           _ZN7rocprim17ROCPRIM_400000_NS6detail17trampoline_kernelINS0_14default_configENS1_35adjacent_difference_config_selectorILb0ElEEZNS1_24adjacent_difference_implIS3_Lb0ELb0EPlS7_N6thrust23THRUST_200600_302600_NS5minusIlEEEE10hipError_tPvRmT2_T3_mT4_P12ihipStream_tbEUlT_E_NS1_11comp_targetILNS1_3genE3ELNS1_11target_archE908ELNS1_3gpuE7ELNS1_3repE0EEENS1_30default_config_static_selectorELNS0_4arch9wavefront6targetE1EEEvT1_
    .private_segment_fixed_size: 0
    .sgpr_count:     6
    .sgpr_spill_count: 0
    .symbol:         _ZN7rocprim17ROCPRIM_400000_NS6detail17trampoline_kernelINS0_14default_configENS1_35adjacent_difference_config_selectorILb0ElEEZNS1_24adjacent_difference_implIS3_Lb0ELb0EPlS7_N6thrust23THRUST_200600_302600_NS5minusIlEEEE10hipError_tPvRmT2_T3_mT4_P12ihipStream_tbEUlT_E_NS1_11comp_targetILNS1_3genE3ELNS1_11target_archE908ELNS1_3gpuE7ELNS1_3repE0EEENS1_30default_config_static_selectorELNS0_4arch9wavefront6targetE1EEEvT1_.kd
    .uniform_work_group_size: 1
    .uses_dynamic_stack: false
    .vgpr_count:     0
    .vgpr_spill_count: 0
    .wavefront_size: 64
  - .agpr_count:     0
    .args:
      - .offset:         0
        .size:           56
        .value_kind:     by_value
    .group_segment_fixed_size: 0
    .kernarg_segment_align: 8
    .kernarg_segment_size: 56
    .language:       OpenCL C
    .language_version:
      - 2
      - 0
    .max_flat_workgroup_size: 128
    .name:           _ZN7rocprim17ROCPRIM_400000_NS6detail17trampoline_kernelINS0_14default_configENS1_35adjacent_difference_config_selectorILb0ElEEZNS1_24adjacent_difference_implIS3_Lb0ELb0EPlS7_N6thrust23THRUST_200600_302600_NS5minusIlEEEE10hipError_tPvRmT2_T3_mT4_P12ihipStream_tbEUlT_E_NS1_11comp_targetILNS1_3genE2ELNS1_11target_archE906ELNS1_3gpuE6ELNS1_3repE0EEENS1_30default_config_static_selectorELNS0_4arch9wavefront6targetE1EEEvT1_
    .private_segment_fixed_size: 0
    .sgpr_count:     6
    .sgpr_spill_count: 0
    .symbol:         _ZN7rocprim17ROCPRIM_400000_NS6detail17trampoline_kernelINS0_14default_configENS1_35adjacent_difference_config_selectorILb0ElEEZNS1_24adjacent_difference_implIS3_Lb0ELb0EPlS7_N6thrust23THRUST_200600_302600_NS5minusIlEEEE10hipError_tPvRmT2_T3_mT4_P12ihipStream_tbEUlT_E_NS1_11comp_targetILNS1_3genE2ELNS1_11target_archE906ELNS1_3gpuE6ELNS1_3repE0EEENS1_30default_config_static_selectorELNS0_4arch9wavefront6targetE1EEEvT1_.kd
    .uniform_work_group_size: 1
    .uses_dynamic_stack: false
    .vgpr_count:     0
    .vgpr_spill_count: 0
    .wavefront_size: 64
  - .agpr_count:     0
    .args:
      - .offset:         0
        .size:           56
        .value_kind:     by_value
    .group_segment_fixed_size: 0
    .kernarg_segment_align: 8
    .kernarg_segment_size: 56
    .language:       OpenCL C
    .language_version:
      - 2
      - 0
    .max_flat_workgroup_size: 512
    .name:           _ZN7rocprim17ROCPRIM_400000_NS6detail17trampoline_kernelINS0_14default_configENS1_35adjacent_difference_config_selectorILb0ElEEZNS1_24adjacent_difference_implIS3_Lb0ELb0EPlS7_N6thrust23THRUST_200600_302600_NS5minusIlEEEE10hipError_tPvRmT2_T3_mT4_P12ihipStream_tbEUlT_E_NS1_11comp_targetILNS1_3genE9ELNS1_11target_archE1100ELNS1_3gpuE3ELNS1_3repE0EEENS1_30default_config_static_selectorELNS0_4arch9wavefront6targetE1EEEvT1_
    .private_segment_fixed_size: 0
    .sgpr_count:     6
    .sgpr_spill_count: 0
    .symbol:         _ZN7rocprim17ROCPRIM_400000_NS6detail17trampoline_kernelINS0_14default_configENS1_35adjacent_difference_config_selectorILb0ElEEZNS1_24adjacent_difference_implIS3_Lb0ELb0EPlS7_N6thrust23THRUST_200600_302600_NS5minusIlEEEE10hipError_tPvRmT2_T3_mT4_P12ihipStream_tbEUlT_E_NS1_11comp_targetILNS1_3genE9ELNS1_11target_archE1100ELNS1_3gpuE3ELNS1_3repE0EEENS1_30default_config_static_selectorELNS0_4arch9wavefront6targetE1EEEvT1_.kd
    .uniform_work_group_size: 1
    .uses_dynamic_stack: false
    .vgpr_count:     0
    .vgpr_spill_count: 0
    .wavefront_size: 64
  - .agpr_count:     0
    .args:
      - .offset:         0
        .size:           56
        .value_kind:     by_value
    .group_segment_fixed_size: 0
    .kernarg_segment_align: 8
    .kernarg_segment_size: 56
    .language:       OpenCL C
    .language_version:
      - 2
      - 0
    .max_flat_workgroup_size: 1024
    .name:           _ZN7rocprim17ROCPRIM_400000_NS6detail17trampoline_kernelINS0_14default_configENS1_35adjacent_difference_config_selectorILb0ElEEZNS1_24adjacent_difference_implIS3_Lb0ELb0EPlS7_N6thrust23THRUST_200600_302600_NS5minusIlEEEE10hipError_tPvRmT2_T3_mT4_P12ihipStream_tbEUlT_E_NS1_11comp_targetILNS1_3genE8ELNS1_11target_archE1030ELNS1_3gpuE2ELNS1_3repE0EEENS1_30default_config_static_selectorELNS0_4arch9wavefront6targetE1EEEvT1_
    .private_segment_fixed_size: 0
    .sgpr_count:     6
    .sgpr_spill_count: 0
    .symbol:         _ZN7rocprim17ROCPRIM_400000_NS6detail17trampoline_kernelINS0_14default_configENS1_35adjacent_difference_config_selectorILb0ElEEZNS1_24adjacent_difference_implIS3_Lb0ELb0EPlS7_N6thrust23THRUST_200600_302600_NS5minusIlEEEE10hipError_tPvRmT2_T3_mT4_P12ihipStream_tbEUlT_E_NS1_11comp_targetILNS1_3genE8ELNS1_11target_archE1030ELNS1_3gpuE2ELNS1_3repE0EEENS1_30default_config_static_selectorELNS0_4arch9wavefront6targetE1EEEvT1_.kd
    .uniform_work_group_size: 1
    .uses_dynamic_stack: false
    .vgpr_count:     0
    .vgpr_spill_count: 0
    .wavefront_size: 64
  - .agpr_count:     0
    .args:
      - .offset:         0
        .size:           56
        .value_kind:     by_value
    .group_segment_fixed_size: 0
    .kernarg_segment_align: 8
    .kernarg_segment_size: 56
    .language:       OpenCL C
    .language_version:
      - 2
      - 0
    .max_flat_workgroup_size: 128
    .name:           _ZN7rocprim17ROCPRIM_400000_NS6detail17trampoline_kernelINS0_14default_configENS1_25transform_config_selectorIlLb0EEEZNS1_14transform_implILb0ES3_S5_NS0_18transform_iteratorINS0_17counting_iteratorImlEEZNS1_24adjacent_difference_implIS3_Lb1ELb0EPlSB_N6thrust23THRUST_200600_302600_NS5minusIlEEEE10hipError_tPvRmT2_T3_mT4_P12ihipStream_tbEUlmE_lEESB_NS0_8identityIvEEEESG_SJ_SK_mSL_SN_bEUlT_E_NS1_11comp_targetILNS1_3genE0ELNS1_11target_archE4294967295ELNS1_3gpuE0ELNS1_3repE0EEENS1_30default_config_static_selectorELNS0_4arch9wavefront6targetE1EEEvT1_
    .private_segment_fixed_size: 0
    .sgpr_count:     6
    .sgpr_spill_count: 0
    .symbol:         _ZN7rocprim17ROCPRIM_400000_NS6detail17trampoline_kernelINS0_14default_configENS1_25transform_config_selectorIlLb0EEEZNS1_14transform_implILb0ES3_S5_NS0_18transform_iteratorINS0_17counting_iteratorImlEEZNS1_24adjacent_difference_implIS3_Lb1ELb0EPlSB_N6thrust23THRUST_200600_302600_NS5minusIlEEEE10hipError_tPvRmT2_T3_mT4_P12ihipStream_tbEUlmE_lEESB_NS0_8identityIvEEEESG_SJ_SK_mSL_SN_bEUlT_E_NS1_11comp_targetILNS1_3genE0ELNS1_11target_archE4294967295ELNS1_3gpuE0ELNS1_3repE0EEENS1_30default_config_static_selectorELNS0_4arch9wavefront6targetE1EEEvT1_.kd
    .uniform_work_group_size: 1
    .uses_dynamic_stack: false
    .vgpr_count:     0
    .vgpr_spill_count: 0
    .wavefront_size: 64
  - .agpr_count:     0
    .args:
      - .offset:         0
        .size:           56
        .value_kind:     by_value
      - .offset:         56
        .size:           4
        .value_kind:     hidden_block_count_x
      - .offset:         60
        .size:           4
        .value_kind:     hidden_block_count_y
      - .offset:         64
        .size:           4
        .value_kind:     hidden_block_count_z
      - .offset:         68
        .size:           2
        .value_kind:     hidden_group_size_x
      - .offset:         70
        .size:           2
        .value_kind:     hidden_group_size_y
      - .offset:         72
        .size:           2
        .value_kind:     hidden_group_size_z
      - .offset:         74
        .size:           2
        .value_kind:     hidden_remainder_x
      - .offset:         76
        .size:           2
        .value_kind:     hidden_remainder_y
      - .offset:         78
        .size:           2
        .value_kind:     hidden_remainder_z
      - .offset:         96
        .size:           8
        .value_kind:     hidden_global_offset_x
      - .offset:         104
        .size:           8
        .value_kind:     hidden_global_offset_y
      - .offset:         112
        .size:           8
        .value_kind:     hidden_global_offset_z
      - .offset:         120
        .size:           2
        .value_kind:     hidden_grid_dims
    .group_segment_fixed_size: 0
    .kernarg_segment_align: 8
    .kernarg_segment_size: 312
    .language:       OpenCL C
    .language_version:
      - 2
      - 0
    .max_flat_workgroup_size: 512
    .name:           _ZN7rocprim17ROCPRIM_400000_NS6detail17trampoline_kernelINS0_14default_configENS1_25transform_config_selectorIlLb0EEEZNS1_14transform_implILb0ES3_S5_NS0_18transform_iteratorINS0_17counting_iteratorImlEEZNS1_24adjacent_difference_implIS3_Lb1ELb0EPlSB_N6thrust23THRUST_200600_302600_NS5minusIlEEEE10hipError_tPvRmT2_T3_mT4_P12ihipStream_tbEUlmE_lEESB_NS0_8identityIvEEEESG_SJ_SK_mSL_SN_bEUlT_E_NS1_11comp_targetILNS1_3genE5ELNS1_11target_archE942ELNS1_3gpuE9ELNS1_3repE0EEENS1_30default_config_static_selectorELNS0_4arch9wavefront6targetE1EEEvT1_
    .private_segment_fixed_size: 0
    .sgpr_count:     26
    .sgpr_spill_count: 0
    .symbol:         _ZN7rocprim17ROCPRIM_400000_NS6detail17trampoline_kernelINS0_14default_configENS1_25transform_config_selectorIlLb0EEEZNS1_14transform_implILb0ES3_S5_NS0_18transform_iteratorINS0_17counting_iteratorImlEEZNS1_24adjacent_difference_implIS3_Lb1ELb0EPlSB_N6thrust23THRUST_200600_302600_NS5minusIlEEEE10hipError_tPvRmT2_T3_mT4_P12ihipStream_tbEUlmE_lEESB_NS0_8identityIvEEEESG_SJ_SK_mSL_SN_bEUlT_E_NS1_11comp_targetILNS1_3genE5ELNS1_11target_archE942ELNS1_3gpuE9ELNS1_3repE0EEENS1_30default_config_static_selectorELNS0_4arch9wavefront6targetE1EEEvT1_.kd
    .uniform_work_group_size: 1
    .uses_dynamic_stack: false
    .vgpr_count:     12
    .vgpr_spill_count: 0
    .wavefront_size: 64
  - .agpr_count:     0
    .args:
      - .offset:         0
        .size:           56
        .value_kind:     by_value
    .group_segment_fixed_size: 0
    .kernarg_segment_align: 8
    .kernarg_segment_size: 56
    .language:       OpenCL C
    .language_version:
      - 2
      - 0
    .max_flat_workgroup_size: 256
    .name:           _ZN7rocprim17ROCPRIM_400000_NS6detail17trampoline_kernelINS0_14default_configENS1_25transform_config_selectorIlLb0EEEZNS1_14transform_implILb0ES3_S5_NS0_18transform_iteratorINS0_17counting_iteratorImlEEZNS1_24adjacent_difference_implIS3_Lb1ELb0EPlSB_N6thrust23THRUST_200600_302600_NS5minusIlEEEE10hipError_tPvRmT2_T3_mT4_P12ihipStream_tbEUlmE_lEESB_NS0_8identityIvEEEESG_SJ_SK_mSL_SN_bEUlT_E_NS1_11comp_targetILNS1_3genE4ELNS1_11target_archE910ELNS1_3gpuE8ELNS1_3repE0EEENS1_30default_config_static_selectorELNS0_4arch9wavefront6targetE1EEEvT1_
    .private_segment_fixed_size: 0
    .sgpr_count:     6
    .sgpr_spill_count: 0
    .symbol:         _ZN7rocprim17ROCPRIM_400000_NS6detail17trampoline_kernelINS0_14default_configENS1_25transform_config_selectorIlLb0EEEZNS1_14transform_implILb0ES3_S5_NS0_18transform_iteratorINS0_17counting_iteratorImlEEZNS1_24adjacent_difference_implIS3_Lb1ELb0EPlSB_N6thrust23THRUST_200600_302600_NS5minusIlEEEE10hipError_tPvRmT2_T3_mT4_P12ihipStream_tbEUlmE_lEESB_NS0_8identityIvEEEESG_SJ_SK_mSL_SN_bEUlT_E_NS1_11comp_targetILNS1_3genE4ELNS1_11target_archE910ELNS1_3gpuE8ELNS1_3repE0EEENS1_30default_config_static_selectorELNS0_4arch9wavefront6targetE1EEEvT1_.kd
    .uniform_work_group_size: 1
    .uses_dynamic_stack: false
    .vgpr_count:     0
    .vgpr_spill_count: 0
    .wavefront_size: 64
  - .agpr_count:     0
    .args:
      - .offset:         0
        .size:           56
        .value_kind:     by_value
    .group_segment_fixed_size: 0
    .kernarg_segment_align: 8
    .kernarg_segment_size: 56
    .language:       OpenCL C
    .language_version:
      - 2
      - 0
    .max_flat_workgroup_size: 128
    .name:           _ZN7rocprim17ROCPRIM_400000_NS6detail17trampoline_kernelINS0_14default_configENS1_25transform_config_selectorIlLb0EEEZNS1_14transform_implILb0ES3_S5_NS0_18transform_iteratorINS0_17counting_iteratorImlEEZNS1_24adjacent_difference_implIS3_Lb1ELb0EPlSB_N6thrust23THRUST_200600_302600_NS5minusIlEEEE10hipError_tPvRmT2_T3_mT4_P12ihipStream_tbEUlmE_lEESB_NS0_8identityIvEEEESG_SJ_SK_mSL_SN_bEUlT_E_NS1_11comp_targetILNS1_3genE3ELNS1_11target_archE908ELNS1_3gpuE7ELNS1_3repE0EEENS1_30default_config_static_selectorELNS0_4arch9wavefront6targetE1EEEvT1_
    .private_segment_fixed_size: 0
    .sgpr_count:     6
    .sgpr_spill_count: 0
    .symbol:         _ZN7rocprim17ROCPRIM_400000_NS6detail17trampoline_kernelINS0_14default_configENS1_25transform_config_selectorIlLb0EEEZNS1_14transform_implILb0ES3_S5_NS0_18transform_iteratorINS0_17counting_iteratorImlEEZNS1_24adjacent_difference_implIS3_Lb1ELb0EPlSB_N6thrust23THRUST_200600_302600_NS5minusIlEEEE10hipError_tPvRmT2_T3_mT4_P12ihipStream_tbEUlmE_lEESB_NS0_8identityIvEEEESG_SJ_SK_mSL_SN_bEUlT_E_NS1_11comp_targetILNS1_3genE3ELNS1_11target_archE908ELNS1_3gpuE7ELNS1_3repE0EEENS1_30default_config_static_selectorELNS0_4arch9wavefront6targetE1EEEvT1_.kd
    .uniform_work_group_size: 1
    .uses_dynamic_stack: false
    .vgpr_count:     0
    .vgpr_spill_count: 0
    .wavefront_size: 64
  - .agpr_count:     0
    .args:
      - .offset:         0
        .size:           56
        .value_kind:     by_value
    .group_segment_fixed_size: 0
    .kernarg_segment_align: 8
    .kernarg_segment_size: 56
    .language:       OpenCL C
    .language_version:
      - 2
      - 0
    .max_flat_workgroup_size: 512
    .name:           _ZN7rocprim17ROCPRIM_400000_NS6detail17trampoline_kernelINS0_14default_configENS1_25transform_config_selectorIlLb0EEEZNS1_14transform_implILb0ES3_S5_NS0_18transform_iteratorINS0_17counting_iteratorImlEEZNS1_24adjacent_difference_implIS3_Lb1ELb0EPlSB_N6thrust23THRUST_200600_302600_NS5minusIlEEEE10hipError_tPvRmT2_T3_mT4_P12ihipStream_tbEUlmE_lEESB_NS0_8identityIvEEEESG_SJ_SK_mSL_SN_bEUlT_E_NS1_11comp_targetILNS1_3genE2ELNS1_11target_archE906ELNS1_3gpuE6ELNS1_3repE0EEENS1_30default_config_static_selectorELNS0_4arch9wavefront6targetE1EEEvT1_
    .private_segment_fixed_size: 0
    .sgpr_count:     6
    .sgpr_spill_count: 0
    .symbol:         _ZN7rocprim17ROCPRIM_400000_NS6detail17trampoline_kernelINS0_14default_configENS1_25transform_config_selectorIlLb0EEEZNS1_14transform_implILb0ES3_S5_NS0_18transform_iteratorINS0_17counting_iteratorImlEEZNS1_24adjacent_difference_implIS3_Lb1ELb0EPlSB_N6thrust23THRUST_200600_302600_NS5minusIlEEEE10hipError_tPvRmT2_T3_mT4_P12ihipStream_tbEUlmE_lEESB_NS0_8identityIvEEEESG_SJ_SK_mSL_SN_bEUlT_E_NS1_11comp_targetILNS1_3genE2ELNS1_11target_archE906ELNS1_3gpuE6ELNS1_3repE0EEENS1_30default_config_static_selectorELNS0_4arch9wavefront6targetE1EEEvT1_.kd
    .uniform_work_group_size: 1
    .uses_dynamic_stack: false
    .vgpr_count:     0
    .vgpr_spill_count: 0
    .wavefront_size: 64
  - .agpr_count:     0
    .args:
      - .offset:         0
        .size:           56
        .value_kind:     by_value
    .group_segment_fixed_size: 0
    .kernarg_segment_align: 8
    .kernarg_segment_size: 56
    .language:       OpenCL C
    .language_version:
      - 2
      - 0
    .max_flat_workgroup_size: 1024
    .name:           _ZN7rocprim17ROCPRIM_400000_NS6detail17trampoline_kernelINS0_14default_configENS1_25transform_config_selectorIlLb0EEEZNS1_14transform_implILb0ES3_S5_NS0_18transform_iteratorINS0_17counting_iteratorImlEEZNS1_24adjacent_difference_implIS3_Lb1ELb0EPlSB_N6thrust23THRUST_200600_302600_NS5minusIlEEEE10hipError_tPvRmT2_T3_mT4_P12ihipStream_tbEUlmE_lEESB_NS0_8identityIvEEEESG_SJ_SK_mSL_SN_bEUlT_E_NS1_11comp_targetILNS1_3genE10ELNS1_11target_archE1201ELNS1_3gpuE5ELNS1_3repE0EEENS1_30default_config_static_selectorELNS0_4arch9wavefront6targetE1EEEvT1_
    .private_segment_fixed_size: 0
    .sgpr_count:     6
    .sgpr_spill_count: 0
    .symbol:         _ZN7rocprim17ROCPRIM_400000_NS6detail17trampoline_kernelINS0_14default_configENS1_25transform_config_selectorIlLb0EEEZNS1_14transform_implILb0ES3_S5_NS0_18transform_iteratorINS0_17counting_iteratorImlEEZNS1_24adjacent_difference_implIS3_Lb1ELb0EPlSB_N6thrust23THRUST_200600_302600_NS5minusIlEEEE10hipError_tPvRmT2_T3_mT4_P12ihipStream_tbEUlmE_lEESB_NS0_8identityIvEEEESG_SJ_SK_mSL_SN_bEUlT_E_NS1_11comp_targetILNS1_3genE10ELNS1_11target_archE1201ELNS1_3gpuE5ELNS1_3repE0EEENS1_30default_config_static_selectorELNS0_4arch9wavefront6targetE1EEEvT1_.kd
    .uniform_work_group_size: 1
    .uses_dynamic_stack: false
    .vgpr_count:     0
    .vgpr_spill_count: 0
    .wavefront_size: 64
  - .agpr_count:     0
    .args:
      - .offset:         0
        .size:           56
        .value_kind:     by_value
    .group_segment_fixed_size: 0
    .kernarg_segment_align: 8
    .kernarg_segment_size: 56
    .language:       OpenCL C
    .language_version:
      - 2
      - 0
    .max_flat_workgroup_size: 512
    .name:           _ZN7rocprim17ROCPRIM_400000_NS6detail17trampoline_kernelINS0_14default_configENS1_25transform_config_selectorIlLb0EEEZNS1_14transform_implILb0ES3_S5_NS0_18transform_iteratorINS0_17counting_iteratorImlEEZNS1_24adjacent_difference_implIS3_Lb1ELb0EPlSB_N6thrust23THRUST_200600_302600_NS5minusIlEEEE10hipError_tPvRmT2_T3_mT4_P12ihipStream_tbEUlmE_lEESB_NS0_8identityIvEEEESG_SJ_SK_mSL_SN_bEUlT_E_NS1_11comp_targetILNS1_3genE10ELNS1_11target_archE1200ELNS1_3gpuE4ELNS1_3repE0EEENS1_30default_config_static_selectorELNS0_4arch9wavefront6targetE1EEEvT1_
    .private_segment_fixed_size: 0
    .sgpr_count:     6
    .sgpr_spill_count: 0
    .symbol:         _ZN7rocprim17ROCPRIM_400000_NS6detail17trampoline_kernelINS0_14default_configENS1_25transform_config_selectorIlLb0EEEZNS1_14transform_implILb0ES3_S5_NS0_18transform_iteratorINS0_17counting_iteratorImlEEZNS1_24adjacent_difference_implIS3_Lb1ELb0EPlSB_N6thrust23THRUST_200600_302600_NS5minusIlEEEE10hipError_tPvRmT2_T3_mT4_P12ihipStream_tbEUlmE_lEESB_NS0_8identityIvEEEESG_SJ_SK_mSL_SN_bEUlT_E_NS1_11comp_targetILNS1_3genE10ELNS1_11target_archE1200ELNS1_3gpuE4ELNS1_3repE0EEENS1_30default_config_static_selectorELNS0_4arch9wavefront6targetE1EEEvT1_.kd
    .uniform_work_group_size: 1
    .uses_dynamic_stack: false
    .vgpr_count:     0
    .vgpr_spill_count: 0
    .wavefront_size: 64
  - .agpr_count:     0
    .args:
      - .offset:         0
        .size:           56
        .value_kind:     by_value
    .group_segment_fixed_size: 0
    .kernarg_segment_align: 8
    .kernarg_segment_size: 56
    .language:       OpenCL C
    .language_version:
      - 2
      - 0
    .max_flat_workgroup_size: 512
    .name:           _ZN7rocprim17ROCPRIM_400000_NS6detail17trampoline_kernelINS0_14default_configENS1_25transform_config_selectorIlLb0EEEZNS1_14transform_implILb0ES3_S5_NS0_18transform_iteratorINS0_17counting_iteratorImlEEZNS1_24adjacent_difference_implIS3_Lb1ELb0EPlSB_N6thrust23THRUST_200600_302600_NS5minusIlEEEE10hipError_tPvRmT2_T3_mT4_P12ihipStream_tbEUlmE_lEESB_NS0_8identityIvEEEESG_SJ_SK_mSL_SN_bEUlT_E_NS1_11comp_targetILNS1_3genE9ELNS1_11target_archE1100ELNS1_3gpuE3ELNS1_3repE0EEENS1_30default_config_static_selectorELNS0_4arch9wavefront6targetE1EEEvT1_
    .private_segment_fixed_size: 0
    .sgpr_count:     6
    .sgpr_spill_count: 0
    .symbol:         _ZN7rocprim17ROCPRIM_400000_NS6detail17trampoline_kernelINS0_14default_configENS1_25transform_config_selectorIlLb0EEEZNS1_14transform_implILb0ES3_S5_NS0_18transform_iteratorINS0_17counting_iteratorImlEEZNS1_24adjacent_difference_implIS3_Lb1ELb0EPlSB_N6thrust23THRUST_200600_302600_NS5minusIlEEEE10hipError_tPvRmT2_T3_mT4_P12ihipStream_tbEUlmE_lEESB_NS0_8identityIvEEEESG_SJ_SK_mSL_SN_bEUlT_E_NS1_11comp_targetILNS1_3genE9ELNS1_11target_archE1100ELNS1_3gpuE3ELNS1_3repE0EEENS1_30default_config_static_selectorELNS0_4arch9wavefront6targetE1EEEvT1_.kd
    .uniform_work_group_size: 1
    .uses_dynamic_stack: false
    .vgpr_count:     0
    .vgpr_spill_count: 0
    .wavefront_size: 64
  - .agpr_count:     0
    .args:
      - .offset:         0
        .size:           56
        .value_kind:     by_value
    .group_segment_fixed_size: 0
    .kernarg_segment_align: 8
    .kernarg_segment_size: 56
    .language:       OpenCL C
    .language_version:
      - 2
      - 0
    .max_flat_workgroup_size: 512
    .name:           _ZN7rocprim17ROCPRIM_400000_NS6detail17trampoline_kernelINS0_14default_configENS1_25transform_config_selectorIlLb0EEEZNS1_14transform_implILb0ES3_S5_NS0_18transform_iteratorINS0_17counting_iteratorImlEEZNS1_24adjacent_difference_implIS3_Lb1ELb0EPlSB_N6thrust23THRUST_200600_302600_NS5minusIlEEEE10hipError_tPvRmT2_T3_mT4_P12ihipStream_tbEUlmE_lEESB_NS0_8identityIvEEEESG_SJ_SK_mSL_SN_bEUlT_E_NS1_11comp_targetILNS1_3genE8ELNS1_11target_archE1030ELNS1_3gpuE2ELNS1_3repE0EEENS1_30default_config_static_selectorELNS0_4arch9wavefront6targetE1EEEvT1_
    .private_segment_fixed_size: 0
    .sgpr_count:     6
    .sgpr_spill_count: 0
    .symbol:         _ZN7rocprim17ROCPRIM_400000_NS6detail17trampoline_kernelINS0_14default_configENS1_25transform_config_selectorIlLb0EEEZNS1_14transform_implILb0ES3_S5_NS0_18transform_iteratorINS0_17counting_iteratorImlEEZNS1_24adjacent_difference_implIS3_Lb1ELb0EPlSB_N6thrust23THRUST_200600_302600_NS5minusIlEEEE10hipError_tPvRmT2_T3_mT4_P12ihipStream_tbEUlmE_lEESB_NS0_8identityIvEEEESG_SJ_SK_mSL_SN_bEUlT_E_NS1_11comp_targetILNS1_3genE8ELNS1_11target_archE1030ELNS1_3gpuE2ELNS1_3repE0EEENS1_30default_config_static_selectorELNS0_4arch9wavefront6targetE1EEEvT1_.kd
    .uniform_work_group_size: 1
    .uses_dynamic_stack: false
    .vgpr_count:     0
    .vgpr_spill_count: 0
    .wavefront_size: 64
  - .agpr_count:     0
    .args:
      - .offset:         0
        .size:           56
        .value_kind:     by_value
    .group_segment_fixed_size: 0
    .kernarg_segment_align: 8
    .kernarg_segment_size: 56
    .language:       OpenCL C
    .language_version:
      - 2
      - 0
    .max_flat_workgroup_size: 512
    .name:           _ZN7rocprim17ROCPRIM_400000_NS6detail17trampoline_kernelINS0_14default_configENS1_35adjacent_difference_config_selectorILb1ElEEZNS1_24adjacent_difference_implIS3_Lb1ELb0EPlS7_N6thrust23THRUST_200600_302600_NS5minusIlEEEE10hipError_tPvRmT2_T3_mT4_P12ihipStream_tbEUlT_E_NS1_11comp_targetILNS1_3genE0ELNS1_11target_archE4294967295ELNS1_3gpuE0ELNS1_3repE0EEENS1_30default_config_static_selectorELNS0_4arch9wavefront6targetE1EEEvT1_
    .private_segment_fixed_size: 0
    .sgpr_count:     6
    .sgpr_spill_count: 0
    .symbol:         _ZN7rocprim17ROCPRIM_400000_NS6detail17trampoline_kernelINS0_14default_configENS1_35adjacent_difference_config_selectorILb1ElEEZNS1_24adjacent_difference_implIS3_Lb1ELb0EPlS7_N6thrust23THRUST_200600_302600_NS5minusIlEEEE10hipError_tPvRmT2_T3_mT4_P12ihipStream_tbEUlT_E_NS1_11comp_targetILNS1_3genE0ELNS1_11target_archE4294967295ELNS1_3gpuE0ELNS1_3repE0EEENS1_30default_config_static_selectorELNS0_4arch9wavefront6targetE1EEEvT1_.kd
    .uniform_work_group_size: 1
    .uses_dynamic_stack: false
    .vgpr_count:     0
    .vgpr_spill_count: 0
    .wavefront_size: 64
  - .agpr_count:     0
    .args:
      - .offset:         0
        .size:           56
        .value_kind:     by_value
    .group_segment_fixed_size: 0
    .kernarg_segment_align: 8
    .kernarg_segment_size: 56
    .language:       OpenCL C
    .language_version:
      - 2
      - 0
    .max_flat_workgroup_size: 32
    .name:           _ZN7rocprim17ROCPRIM_400000_NS6detail17trampoline_kernelINS0_14default_configENS1_35adjacent_difference_config_selectorILb1ElEEZNS1_24adjacent_difference_implIS3_Lb1ELb0EPlS7_N6thrust23THRUST_200600_302600_NS5minusIlEEEE10hipError_tPvRmT2_T3_mT4_P12ihipStream_tbEUlT_E_NS1_11comp_targetILNS1_3genE10ELNS1_11target_archE1201ELNS1_3gpuE5ELNS1_3repE0EEENS1_30default_config_static_selectorELNS0_4arch9wavefront6targetE1EEEvT1_
    .private_segment_fixed_size: 0
    .sgpr_count:     6
    .sgpr_spill_count: 0
    .symbol:         _ZN7rocprim17ROCPRIM_400000_NS6detail17trampoline_kernelINS0_14default_configENS1_35adjacent_difference_config_selectorILb1ElEEZNS1_24adjacent_difference_implIS3_Lb1ELb0EPlS7_N6thrust23THRUST_200600_302600_NS5minusIlEEEE10hipError_tPvRmT2_T3_mT4_P12ihipStream_tbEUlT_E_NS1_11comp_targetILNS1_3genE10ELNS1_11target_archE1201ELNS1_3gpuE5ELNS1_3repE0EEENS1_30default_config_static_selectorELNS0_4arch9wavefront6targetE1EEEvT1_.kd
    .uniform_work_group_size: 1
    .uses_dynamic_stack: false
    .vgpr_count:     0
    .vgpr_spill_count: 0
    .wavefront_size: 64
  - .agpr_count:     0
    .args:
      - .offset:         0
        .size:           56
        .value_kind:     by_value
    .group_segment_fixed_size: 22528
    .kernarg_segment_align: 8
    .kernarg_segment_size: 56
    .language:       OpenCL C
    .language_version:
      - 2
      - 0
    .max_flat_workgroup_size: 256
    .name:           _ZN7rocprim17ROCPRIM_400000_NS6detail17trampoline_kernelINS0_14default_configENS1_35adjacent_difference_config_selectorILb1ElEEZNS1_24adjacent_difference_implIS3_Lb1ELb0EPlS7_N6thrust23THRUST_200600_302600_NS5minusIlEEEE10hipError_tPvRmT2_T3_mT4_P12ihipStream_tbEUlT_E_NS1_11comp_targetILNS1_3genE5ELNS1_11target_archE942ELNS1_3gpuE9ELNS1_3repE0EEENS1_30default_config_static_selectorELNS0_4arch9wavefront6targetE1EEEvT1_
    .private_segment_fixed_size: 0
    .sgpr_count:     35
    .sgpr_spill_count: 0
    .symbol:         _ZN7rocprim17ROCPRIM_400000_NS6detail17trampoline_kernelINS0_14default_configENS1_35adjacent_difference_config_selectorILb1ElEEZNS1_24adjacent_difference_implIS3_Lb1ELb0EPlS7_N6thrust23THRUST_200600_302600_NS5minusIlEEEE10hipError_tPvRmT2_T3_mT4_P12ihipStream_tbEUlT_E_NS1_11comp_targetILNS1_3genE5ELNS1_11target_archE942ELNS1_3gpuE9ELNS1_3repE0EEENS1_30default_config_static_selectorELNS0_4arch9wavefront6targetE1EEEvT1_.kd
    .uniform_work_group_size: 1
    .uses_dynamic_stack: false
    .vgpr_count:     50
    .vgpr_spill_count: 0
    .wavefront_size: 64
  - .agpr_count:     0
    .args:
      - .offset:         0
        .size:           56
        .value_kind:     by_value
    .group_segment_fixed_size: 0
    .kernarg_segment_align: 8
    .kernarg_segment_size: 56
    .language:       OpenCL C
    .language_version:
      - 2
      - 0
    .max_flat_workgroup_size: 512
    .name:           _ZN7rocprim17ROCPRIM_400000_NS6detail17trampoline_kernelINS0_14default_configENS1_35adjacent_difference_config_selectorILb1ElEEZNS1_24adjacent_difference_implIS3_Lb1ELb0EPlS7_N6thrust23THRUST_200600_302600_NS5minusIlEEEE10hipError_tPvRmT2_T3_mT4_P12ihipStream_tbEUlT_E_NS1_11comp_targetILNS1_3genE4ELNS1_11target_archE910ELNS1_3gpuE8ELNS1_3repE0EEENS1_30default_config_static_selectorELNS0_4arch9wavefront6targetE1EEEvT1_
    .private_segment_fixed_size: 0
    .sgpr_count:     6
    .sgpr_spill_count: 0
    .symbol:         _ZN7rocprim17ROCPRIM_400000_NS6detail17trampoline_kernelINS0_14default_configENS1_35adjacent_difference_config_selectorILb1ElEEZNS1_24adjacent_difference_implIS3_Lb1ELb0EPlS7_N6thrust23THRUST_200600_302600_NS5minusIlEEEE10hipError_tPvRmT2_T3_mT4_P12ihipStream_tbEUlT_E_NS1_11comp_targetILNS1_3genE4ELNS1_11target_archE910ELNS1_3gpuE8ELNS1_3repE0EEENS1_30default_config_static_selectorELNS0_4arch9wavefront6targetE1EEEvT1_.kd
    .uniform_work_group_size: 1
    .uses_dynamic_stack: false
    .vgpr_count:     0
    .vgpr_spill_count: 0
    .wavefront_size: 64
  - .agpr_count:     0
    .args:
      - .offset:         0
        .size:           56
        .value_kind:     by_value
    .group_segment_fixed_size: 0
    .kernarg_segment_align: 8
    .kernarg_segment_size: 56
    .language:       OpenCL C
    .language_version:
      - 2
      - 0
    .max_flat_workgroup_size: 512
    .name:           _ZN7rocprim17ROCPRIM_400000_NS6detail17trampoline_kernelINS0_14default_configENS1_35adjacent_difference_config_selectorILb1ElEEZNS1_24adjacent_difference_implIS3_Lb1ELb0EPlS7_N6thrust23THRUST_200600_302600_NS5minusIlEEEE10hipError_tPvRmT2_T3_mT4_P12ihipStream_tbEUlT_E_NS1_11comp_targetILNS1_3genE3ELNS1_11target_archE908ELNS1_3gpuE7ELNS1_3repE0EEENS1_30default_config_static_selectorELNS0_4arch9wavefront6targetE1EEEvT1_
    .private_segment_fixed_size: 0
    .sgpr_count:     6
    .sgpr_spill_count: 0
    .symbol:         _ZN7rocprim17ROCPRIM_400000_NS6detail17trampoline_kernelINS0_14default_configENS1_35adjacent_difference_config_selectorILb1ElEEZNS1_24adjacent_difference_implIS3_Lb1ELb0EPlS7_N6thrust23THRUST_200600_302600_NS5minusIlEEEE10hipError_tPvRmT2_T3_mT4_P12ihipStream_tbEUlT_E_NS1_11comp_targetILNS1_3genE3ELNS1_11target_archE908ELNS1_3gpuE7ELNS1_3repE0EEENS1_30default_config_static_selectorELNS0_4arch9wavefront6targetE1EEEvT1_.kd
    .uniform_work_group_size: 1
    .uses_dynamic_stack: false
    .vgpr_count:     0
    .vgpr_spill_count: 0
    .wavefront_size: 64
  - .agpr_count:     0
    .args:
      - .offset:         0
        .size:           56
        .value_kind:     by_value
    .group_segment_fixed_size: 0
    .kernarg_segment_align: 8
    .kernarg_segment_size: 56
    .language:       OpenCL C
    .language_version:
      - 2
      - 0
    .max_flat_workgroup_size: 128
    .name:           _ZN7rocprim17ROCPRIM_400000_NS6detail17trampoline_kernelINS0_14default_configENS1_35adjacent_difference_config_selectorILb1ElEEZNS1_24adjacent_difference_implIS3_Lb1ELb0EPlS7_N6thrust23THRUST_200600_302600_NS5minusIlEEEE10hipError_tPvRmT2_T3_mT4_P12ihipStream_tbEUlT_E_NS1_11comp_targetILNS1_3genE2ELNS1_11target_archE906ELNS1_3gpuE6ELNS1_3repE0EEENS1_30default_config_static_selectorELNS0_4arch9wavefront6targetE1EEEvT1_
    .private_segment_fixed_size: 0
    .sgpr_count:     6
    .sgpr_spill_count: 0
    .symbol:         _ZN7rocprim17ROCPRIM_400000_NS6detail17trampoline_kernelINS0_14default_configENS1_35adjacent_difference_config_selectorILb1ElEEZNS1_24adjacent_difference_implIS3_Lb1ELb0EPlS7_N6thrust23THRUST_200600_302600_NS5minusIlEEEE10hipError_tPvRmT2_T3_mT4_P12ihipStream_tbEUlT_E_NS1_11comp_targetILNS1_3genE2ELNS1_11target_archE906ELNS1_3gpuE6ELNS1_3repE0EEENS1_30default_config_static_selectorELNS0_4arch9wavefront6targetE1EEEvT1_.kd
    .uniform_work_group_size: 1
    .uses_dynamic_stack: false
    .vgpr_count:     0
    .vgpr_spill_count: 0
    .wavefront_size: 64
  - .agpr_count:     0
    .args:
      - .offset:         0
        .size:           56
        .value_kind:     by_value
    .group_segment_fixed_size: 0
    .kernarg_segment_align: 8
    .kernarg_segment_size: 56
    .language:       OpenCL C
    .language_version:
      - 2
      - 0
    .max_flat_workgroup_size: 128
    .name:           _ZN7rocprim17ROCPRIM_400000_NS6detail17trampoline_kernelINS0_14default_configENS1_35adjacent_difference_config_selectorILb1ElEEZNS1_24adjacent_difference_implIS3_Lb1ELb0EPlS7_N6thrust23THRUST_200600_302600_NS5minusIlEEEE10hipError_tPvRmT2_T3_mT4_P12ihipStream_tbEUlT_E_NS1_11comp_targetILNS1_3genE9ELNS1_11target_archE1100ELNS1_3gpuE3ELNS1_3repE0EEENS1_30default_config_static_selectorELNS0_4arch9wavefront6targetE1EEEvT1_
    .private_segment_fixed_size: 0
    .sgpr_count:     6
    .sgpr_spill_count: 0
    .symbol:         _ZN7rocprim17ROCPRIM_400000_NS6detail17trampoline_kernelINS0_14default_configENS1_35adjacent_difference_config_selectorILb1ElEEZNS1_24adjacent_difference_implIS3_Lb1ELb0EPlS7_N6thrust23THRUST_200600_302600_NS5minusIlEEEE10hipError_tPvRmT2_T3_mT4_P12ihipStream_tbEUlT_E_NS1_11comp_targetILNS1_3genE9ELNS1_11target_archE1100ELNS1_3gpuE3ELNS1_3repE0EEENS1_30default_config_static_selectorELNS0_4arch9wavefront6targetE1EEEvT1_.kd
    .uniform_work_group_size: 1
    .uses_dynamic_stack: false
    .vgpr_count:     0
    .vgpr_spill_count: 0
    .wavefront_size: 64
  - .agpr_count:     0
    .args:
      - .offset:         0
        .size:           56
        .value_kind:     by_value
    .group_segment_fixed_size: 0
    .kernarg_segment_align: 8
    .kernarg_segment_size: 56
    .language:       OpenCL C
    .language_version:
      - 2
      - 0
    .max_flat_workgroup_size: 32
    .name:           _ZN7rocprim17ROCPRIM_400000_NS6detail17trampoline_kernelINS0_14default_configENS1_35adjacent_difference_config_selectorILb1ElEEZNS1_24adjacent_difference_implIS3_Lb1ELb0EPlS7_N6thrust23THRUST_200600_302600_NS5minusIlEEEE10hipError_tPvRmT2_T3_mT4_P12ihipStream_tbEUlT_E_NS1_11comp_targetILNS1_3genE8ELNS1_11target_archE1030ELNS1_3gpuE2ELNS1_3repE0EEENS1_30default_config_static_selectorELNS0_4arch9wavefront6targetE1EEEvT1_
    .private_segment_fixed_size: 0
    .sgpr_count:     6
    .sgpr_spill_count: 0
    .symbol:         _ZN7rocprim17ROCPRIM_400000_NS6detail17trampoline_kernelINS0_14default_configENS1_35adjacent_difference_config_selectorILb1ElEEZNS1_24adjacent_difference_implIS3_Lb1ELb0EPlS7_N6thrust23THRUST_200600_302600_NS5minusIlEEEE10hipError_tPvRmT2_T3_mT4_P12ihipStream_tbEUlT_E_NS1_11comp_targetILNS1_3genE8ELNS1_11target_archE1030ELNS1_3gpuE2ELNS1_3repE0EEENS1_30default_config_static_selectorELNS0_4arch9wavefront6targetE1EEEvT1_.kd
    .uniform_work_group_size: 1
    .uses_dynamic_stack: false
    .vgpr_count:     0
    .vgpr_spill_count: 0
    .wavefront_size: 64
  - .agpr_count:     0
    .args:
      - .offset:         0
        .size:           72
        .value_kind:     by_value
    .group_segment_fixed_size: 0
    .kernarg_segment_align: 8
    .kernarg_segment_size: 72
    .language:       OpenCL C
    .language_version:
      - 2
      - 0
    .max_flat_workgroup_size: 256
    .name:           _ZN7rocprim17ROCPRIM_400000_NS6detail17trampoline_kernelINS0_14default_configENS1_37merge_sort_block_sort_config_selectorIlNS0_10empty_typeEEEZNS1_21merge_sort_block_sortIS3_PlS8_PS5_S9_ZN2at6native12_GLOBAL__N_124unique_dim_cuda_templateIaEESt5tupleIJNSA_6TensorESF_SF_EERKSF_lbbbEUlllE_EE10hipError_tT0_T1_T2_T3_mRjT4_P12ihipStream_tbNS1_7vsmem_tEEUlT_E_NS1_11comp_targetILNS1_3genE0ELNS1_11target_archE4294967295ELNS1_3gpuE0ELNS1_3repE0EEENS1_30default_config_static_selectorELNS0_4arch9wavefront6targetE1EEEvSM_
    .private_segment_fixed_size: 0
    .sgpr_count:     6
    .sgpr_spill_count: 0
    .symbol:         _ZN7rocprim17ROCPRIM_400000_NS6detail17trampoline_kernelINS0_14default_configENS1_37merge_sort_block_sort_config_selectorIlNS0_10empty_typeEEEZNS1_21merge_sort_block_sortIS3_PlS8_PS5_S9_ZN2at6native12_GLOBAL__N_124unique_dim_cuda_templateIaEESt5tupleIJNSA_6TensorESF_SF_EERKSF_lbbbEUlllE_EE10hipError_tT0_T1_T2_T3_mRjT4_P12ihipStream_tbNS1_7vsmem_tEEUlT_E_NS1_11comp_targetILNS1_3genE0ELNS1_11target_archE4294967295ELNS1_3gpuE0ELNS1_3repE0EEENS1_30default_config_static_selectorELNS0_4arch9wavefront6targetE1EEEvSM_.kd
    .uniform_work_group_size: 1
    .uses_dynamic_stack: false
    .vgpr_count:     0
    .vgpr_spill_count: 0
    .wavefront_size: 64
  - .agpr_count:     0
    .args:
      - .offset:         0
        .size:           72
        .value_kind:     by_value
      - .offset:         72
        .size:           4
        .value_kind:     hidden_block_count_x
      - .offset:         76
        .size:           4
        .value_kind:     hidden_block_count_y
      - .offset:         80
        .size:           4
        .value_kind:     hidden_block_count_z
      - .offset:         84
        .size:           2
        .value_kind:     hidden_group_size_x
      - .offset:         86
        .size:           2
        .value_kind:     hidden_group_size_y
      - .offset:         88
        .size:           2
        .value_kind:     hidden_group_size_z
      - .offset:         90
        .size:           2
        .value_kind:     hidden_remainder_x
      - .offset:         92
        .size:           2
        .value_kind:     hidden_remainder_y
      - .offset:         94
        .size:           2
        .value_kind:     hidden_remainder_z
      - .offset:         112
        .size:           8
        .value_kind:     hidden_global_offset_x
      - .offset:         120
        .size:           8
        .value_kind:     hidden_global_offset_y
      - .offset:         128
        .size:           8
        .value_kind:     hidden_global_offset_z
      - .offset:         136
        .size:           2
        .value_kind:     hidden_grid_dims
      - .offset:         152
        .size:           8
        .value_kind:     hidden_hostcall_buffer
      - .offset:         160
        .size:           8
        .value_kind:     hidden_multigrid_sync_arg
      - .offset:         168
        .size:           8
        .value_kind:     hidden_heap_v1
      - .offset:         176
        .size:           8
        .value_kind:     hidden_default_queue
      - .offset:         184
        .size:           8
        .value_kind:     hidden_completion_action
      - .offset:         272
        .size:           8
        .value_kind:     hidden_queue_ptr
    .group_segment_fixed_size: 16896
    .kernarg_segment_align: 8
    .kernarg_segment_size: 328
    .language:       OpenCL C
    .language_version:
      - 2
      - 0
    .max_flat_workgroup_size: 256
    .name:           _ZN7rocprim17ROCPRIM_400000_NS6detail17trampoline_kernelINS0_14default_configENS1_37merge_sort_block_sort_config_selectorIlNS0_10empty_typeEEEZNS1_21merge_sort_block_sortIS3_PlS8_PS5_S9_ZN2at6native12_GLOBAL__N_124unique_dim_cuda_templateIaEESt5tupleIJNSA_6TensorESF_SF_EERKSF_lbbbEUlllE_EE10hipError_tT0_T1_T2_T3_mRjT4_P12ihipStream_tbNS1_7vsmem_tEEUlT_E_NS1_11comp_targetILNS1_3genE5ELNS1_11target_archE942ELNS1_3gpuE9ELNS1_3repE0EEENS1_30default_config_static_selectorELNS0_4arch9wavefront6targetE1EEEvSM_
    .private_segment_fixed_size: 8
    .sgpr_count:     74
    .sgpr_spill_count: 0
    .symbol:         _ZN7rocprim17ROCPRIM_400000_NS6detail17trampoline_kernelINS0_14default_configENS1_37merge_sort_block_sort_config_selectorIlNS0_10empty_typeEEEZNS1_21merge_sort_block_sortIS3_PlS8_PS5_S9_ZN2at6native12_GLOBAL__N_124unique_dim_cuda_templateIaEESt5tupleIJNSA_6TensorESF_SF_EERKSF_lbbbEUlllE_EE10hipError_tT0_T1_T2_T3_mRjT4_P12ihipStream_tbNS1_7vsmem_tEEUlT_E_NS1_11comp_targetILNS1_3genE5ELNS1_11target_archE942ELNS1_3gpuE9ELNS1_3repE0EEENS1_30default_config_static_selectorELNS0_4arch9wavefront6targetE1EEEvSM_.kd
    .uniform_work_group_size: 1
    .uses_dynamic_stack: false
    .vgpr_count:     119
    .vgpr_spill_count: 0
    .wavefront_size: 64
  - .agpr_count:     0
    .args:
      - .offset:         0
        .size:           72
        .value_kind:     by_value
    .group_segment_fixed_size: 0
    .kernarg_segment_align: 8
    .kernarg_segment_size: 72
    .language:       OpenCL C
    .language_version:
      - 2
      - 0
    .max_flat_workgroup_size: 256
    .name:           _ZN7rocprim17ROCPRIM_400000_NS6detail17trampoline_kernelINS0_14default_configENS1_37merge_sort_block_sort_config_selectorIlNS0_10empty_typeEEEZNS1_21merge_sort_block_sortIS3_PlS8_PS5_S9_ZN2at6native12_GLOBAL__N_124unique_dim_cuda_templateIaEESt5tupleIJNSA_6TensorESF_SF_EERKSF_lbbbEUlllE_EE10hipError_tT0_T1_T2_T3_mRjT4_P12ihipStream_tbNS1_7vsmem_tEEUlT_E_NS1_11comp_targetILNS1_3genE4ELNS1_11target_archE910ELNS1_3gpuE8ELNS1_3repE0EEENS1_30default_config_static_selectorELNS0_4arch9wavefront6targetE1EEEvSM_
    .private_segment_fixed_size: 0
    .sgpr_count:     6
    .sgpr_spill_count: 0
    .symbol:         _ZN7rocprim17ROCPRIM_400000_NS6detail17trampoline_kernelINS0_14default_configENS1_37merge_sort_block_sort_config_selectorIlNS0_10empty_typeEEEZNS1_21merge_sort_block_sortIS3_PlS8_PS5_S9_ZN2at6native12_GLOBAL__N_124unique_dim_cuda_templateIaEESt5tupleIJNSA_6TensorESF_SF_EERKSF_lbbbEUlllE_EE10hipError_tT0_T1_T2_T3_mRjT4_P12ihipStream_tbNS1_7vsmem_tEEUlT_E_NS1_11comp_targetILNS1_3genE4ELNS1_11target_archE910ELNS1_3gpuE8ELNS1_3repE0EEENS1_30default_config_static_selectorELNS0_4arch9wavefront6targetE1EEEvSM_.kd
    .uniform_work_group_size: 1
    .uses_dynamic_stack: false
    .vgpr_count:     0
    .vgpr_spill_count: 0
    .wavefront_size: 64
  - .agpr_count:     0
    .args:
      - .offset:         0
        .size:           72
        .value_kind:     by_value
    .group_segment_fixed_size: 0
    .kernarg_segment_align: 8
    .kernarg_segment_size: 72
    .language:       OpenCL C
    .language_version:
      - 2
      - 0
    .max_flat_workgroup_size: 256
    .name:           _ZN7rocprim17ROCPRIM_400000_NS6detail17trampoline_kernelINS0_14default_configENS1_37merge_sort_block_sort_config_selectorIlNS0_10empty_typeEEEZNS1_21merge_sort_block_sortIS3_PlS8_PS5_S9_ZN2at6native12_GLOBAL__N_124unique_dim_cuda_templateIaEESt5tupleIJNSA_6TensorESF_SF_EERKSF_lbbbEUlllE_EE10hipError_tT0_T1_T2_T3_mRjT4_P12ihipStream_tbNS1_7vsmem_tEEUlT_E_NS1_11comp_targetILNS1_3genE3ELNS1_11target_archE908ELNS1_3gpuE7ELNS1_3repE0EEENS1_30default_config_static_selectorELNS0_4arch9wavefront6targetE1EEEvSM_
    .private_segment_fixed_size: 0
    .sgpr_count:     6
    .sgpr_spill_count: 0
    .symbol:         _ZN7rocprim17ROCPRIM_400000_NS6detail17trampoline_kernelINS0_14default_configENS1_37merge_sort_block_sort_config_selectorIlNS0_10empty_typeEEEZNS1_21merge_sort_block_sortIS3_PlS8_PS5_S9_ZN2at6native12_GLOBAL__N_124unique_dim_cuda_templateIaEESt5tupleIJNSA_6TensorESF_SF_EERKSF_lbbbEUlllE_EE10hipError_tT0_T1_T2_T3_mRjT4_P12ihipStream_tbNS1_7vsmem_tEEUlT_E_NS1_11comp_targetILNS1_3genE3ELNS1_11target_archE908ELNS1_3gpuE7ELNS1_3repE0EEENS1_30default_config_static_selectorELNS0_4arch9wavefront6targetE1EEEvSM_.kd
    .uniform_work_group_size: 1
    .uses_dynamic_stack: false
    .vgpr_count:     0
    .vgpr_spill_count: 0
    .wavefront_size: 64
  - .agpr_count:     0
    .args:
      - .offset:         0
        .size:           72
        .value_kind:     by_value
    .group_segment_fixed_size: 0
    .kernarg_segment_align: 8
    .kernarg_segment_size: 72
    .language:       OpenCL C
    .language_version:
      - 2
      - 0
    .max_flat_workgroup_size: 256
    .name:           _ZN7rocprim17ROCPRIM_400000_NS6detail17trampoline_kernelINS0_14default_configENS1_37merge_sort_block_sort_config_selectorIlNS0_10empty_typeEEEZNS1_21merge_sort_block_sortIS3_PlS8_PS5_S9_ZN2at6native12_GLOBAL__N_124unique_dim_cuda_templateIaEESt5tupleIJNSA_6TensorESF_SF_EERKSF_lbbbEUlllE_EE10hipError_tT0_T1_T2_T3_mRjT4_P12ihipStream_tbNS1_7vsmem_tEEUlT_E_NS1_11comp_targetILNS1_3genE2ELNS1_11target_archE906ELNS1_3gpuE6ELNS1_3repE0EEENS1_30default_config_static_selectorELNS0_4arch9wavefront6targetE1EEEvSM_
    .private_segment_fixed_size: 0
    .sgpr_count:     6
    .sgpr_spill_count: 0
    .symbol:         _ZN7rocprim17ROCPRIM_400000_NS6detail17trampoline_kernelINS0_14default_configENS1_37merge_sort_block_sort_config_selectorIlNS0_10empty_typeEEEZNS1_21merge_sort_block_sortIS3_PlS8_PS5_S9_ZN2at6native12_GLOBAL__N_124unique_dim_cuda_templateIaEESt5tupleIJNSA_6TensorESF_SF_EERKSF_lbbbEUlllE_EE10hipError_tT0_T1_T2_T3_mRjT4_P12ihipStream_tbNS1_7vsmem_tEEUlT_E_NS1_11comp_targetILNS1_3genE2ELNS1_11target_archE906ELNS1_3gpuE6ELNS1_3repE0EEENS1_30default_config_static_selectorELNS0_4arch9wavefront6targetE1EEEvSM_.kd
    .uniform_work_group_size: 1
    .uses_dynamic_stack: false
    .vgpr_count:     0
    .vgpr_spill_count: 0
    .wavefront_size: 64
  - .agpr_count:     0
    .args:
      - .offset:         0
        .size:           72
        .value_kind:     by_value
    .group_segment_fixed_size: 0
    .kernarg_segment_align: 8
    .kernarg_segment_size: 72
    .language:       OpenCL C
    .language_version:
      - 2
      - 0
    .max_flat_workgroup_size: 256
    .name:           _ZN7rocprim17ROCPRIM_400000_NS6detail17trampoline_kernelINS0_14default_configENS1_37merge_sort_block_sort_config_selectorIlNS0_10empty_typeEEEZNS1_21merge_sort_block_sortIS3_PlS8_PS5_S9_ZN2at6native12_GLOBAL__N_124unique_dim_cuda_templateIaEESt5tupleIJNSA_6TensorESF_SF_EERKSF_lbbbEUlllE_EE10hipError_tT0_T1_T2_T3_mRjT4_P12ihipStream_tbNS1_7vsmem_tEEUlT_E_NS1_11comp_targetILNS1_3genE10ELNS1_11target_archE1201ELNS1_3gpuE5ELNS1_3repE0EEENS1_30default_config_static_selectorELNS0_4arch9wavefront6targetE1EEEvSM_
    .private_segment_fixed_size: 0
    .sgpr_count:     6
    .sgpr_spill_count: 0
    .symbol:         _ZN7rocprim17ROCPRIM_400000_NS6detail17trampoline_kernelINS0_14default_configENS1_37merge_sort_block_sort_config_selectorIlNS0_10empty_typeEEEZNS1_21merge_sort_block_sortIS3_PlS8_PS5_S9_ZN2at6native12_GLOBAL__N_124unique_dim_cuda_templateIaEESt5tupleIJNSA_6TensorESF_SF_EERKSF_lbbbEUlllE_EE10hipError_tT0_T1_T2_T3_mRjT4_P12ihipStream_tbNS1_7vsmem_tEEUlT_E_NS1_11comp_targetILNS1_3genE10ELNS1_11target_archE1201ELNS1_3gpuE5ELNS1_3repE0EEENS1_30default_config_static_selectorELNS0_4arch9wavefront6targetE1EEEvSM_.kd
    .uniform_work_group_size: 1
    .uses_dynamic_stack: false
    .vgpr_count:     0
    .vgpr_spill_count: 0
    .wavefront_size: 64
  - .agpr_count:     0
    .args:
      - .offset:         0
        .size:           72
        .value_kind:     by_value
    .group_segment_fixed_size: 0
    .kernarg_segment_align: 8
    .kernarg_segment_size: 72
    .language:       OpenCL C
    .language_version:
      - 2
      - 0
    .max_flat_workgroup_size: 512
    .name:           _ZN7rocprim17ROCPRIM_400000_NS6detail17trampoline_kernelINS0_14default_configENS1_37merge_sort_block_sort_config_selectorIlNS0_10empty_typeEEEZNS1_21merge_sort_block_sortIS3_PlS8_PS5_S9_ZN2at6native12_GLOBAL__N_124unique_dim_cuda_templateIaEESt5tupleIJNSA_6TensorESF_SF_EERKSF_lbbbEUlllE_EE10hipError_tT0_T1_T2_T3_mRjT4_P12ihipStream_tbNS1_7vsmem_tEEUlT_E_NS1_11comp_targetILNS1_3genE10ELNS1_11target_archE1200ELNS1_3gpuE4ELNS1_3repE0EEENS1_30default_config_static_selectorELNS0_4arch9wavefront6targetE1EEEvSM_
    .private_segment_fixed_size: 0
    .sgpr_count:     6
    .sgpr_spill_count: 0
    .symbol:         _ZN7rocprim17ROCPRIM_400000_NS6detail17trampoline_kernelINS0_14default_configENS1_37merge_sort_block_sort_config_selectorIlNS0_10empty_typeEEEZNS1_21merge_sort_block_sortIS3_PlS8_PS5_S9_ZN2at6native12_GLOBAL__N_124unique_dim_cuda_templateIaEESt5tupleIJNSA_6TensorESF_SF_EERKSF_lbbbEUlllE_EE10hipError_tT0_T1_T2_T3_mRjT4_P12ihipStream_tbNS1_7vsmem_tEEUlT_E_NS1_11comp_targetILNS1_3genE10ELNS1_11target_archE1200ELNS1_3gpuE4ELNS1_3repE0EEENS1_30default_config_static_selectorELNS0_4arch9wavefront6targetE1EEEvSM_.kd
    .uniform_work_group_size: 1
    .uses_dynamic_stack: false
    .vgpr_count:     0
    .vgpr_spill_count: 0
    .wavefront_size: 64
  - .agpr_count:     0
    .args:
      - .offset:         0
        .size:           72
        .value_kind:     by_value
    .group_segment_fixed_size: 0
    .kernarg_segment_align: 8
    .kernarg_segment_size: 72
    .language:       OpenCL C
    .language_version:
      - 2
      - 0
    .max_flat_workgroup_size: 256
    .name:           _ZN7rocprim17ROCPRIM_400000_NS6detail17trampoline_kernelINS0_14default_configENS1_37merge_sort_block_sort_config_selectorIlNS0_10empty_typeEEEZNS1_21merge_sort_block_sortIS3_PlS8_PS5_S9_ZN2at6native12_GLOBAL__N_124unique_dim_cuda_templateIaEESt5tupleIJNSA_6TensorESF_SF_EERKSF_lbbbEUlllE_EE10hipError_tT0_T1_T2_T3_mRjT4_P12ihipStream_tbNS1_7vsmem_tEEUlT_E_NS1_11comp_targetILNS1_3genE9ELNS1_11target_archE1100ELNS1_3gpuE3ELNS1_3repE0EEENS1_30default_config_static_selectorELNS0_4arch9wavefront6targetE1EEEvSM_
    .private_segment_fixed_size: 0
    .sgpr_count:     6
    .sgpr_spill_count: 0
    .symbol:         _ZN7rocprim17ROCPRIM_400000_NS6detail17trampoline_kernelINS0_14default_configENS1_37merge_sort_block_sort_config_selectorIlNS0_10empty_typeEEEZNS1_21merge_sort_block_sortIS3_PlS8_PS5_S9_ZN2at6native12_GLOBAL__N_124unique_dim_cuda_templateIaEESt5tupleIJNSA_6TensorESF_SF_EERKSF_lbbbEUlllE_EE10hipError_tT0_T1_T2_T3_mRjT4_P12ihipStream_tbNS1_7vsmem_tEEUlT_E_NS1_11comp_targetILNS1_3genE9ELNS1_11target_archE1100ELNS1_3gpuE3ELNS1_3repE0EEENS1_30default_config_static_selectorELNS0_4arch9wavefront6targetE1EEEvSM_.kd
    .uniform_work_group_size: 1
    .uses_dynamic_stack: false
    .vgpr_count:     0
    .vgpr_spill_count: 0
    .wavefront_size: 64
  - .agpr_count:     0
    .args:
      - .offset:         0
        .size:           72
        .value_kind:     by_value
    .group_segment_fixed_size: 0
    .kernarg_segment_align: 8
    .kernarg_segment_size: 72
    .language:       OpenCL C
    .language_version:
      - 2
      - 0
    .max_flat_workgroup_size: 256
    .name:           _ZN7rocprim17ROCPRIM_400000_NS6detail17trampoline_kernelINS0_14default_configENS1_37merge_sort_block_sort_config_selectorIlNS0_10empty_typeEEEZNS1_21merge_sort_block_sortIS3_PlS8_PS5_S9_ZN2at6native12_GLOBAL__N_124unique_dim_cuda_templateIaEESt5tupleIJNSA_6TensorESF_SF_EERKSF_lbbbEUlllE_EE10hipError_tT0_T1_T2_T3_mRjT4_P12ihipStream_tbNS1_7vsmem_tEEUlT_E_NS1_11comp_targetILNS1_3genE8ELNS1_11target_archE1030ELNS1_3gpuE2ELNS1_3repE0EEENS1_30default_config_static_selectorELNS0_4arch9wavefront6targetE1EEEvSM_
    .private_segment_fixed_size: 0
    .sgpr_count:     6
    .sgpr_spill_count: 0
    .symbol:         _ZN7rocprim17ROCPRIM_400000_NS6detail17trampoline_kernelINS0_14default_configENS1_37merge_sort_block_sort_config_selectorIlNS0_10empty_typeEEEZNS1_21merge_sort_block_sortIS3_PlS8_PS5_S9_ZN2at6native12_GLOBAL__N_124unique_dim_cuda_templateIaEESt5tupleIJNSA_6TensorESF_SF_EERKSF_lbbbEUlllE_EE10hipError_tT0_T1_T2_T3_mRjT4_P12ihipStream_tbNS1_7vsmem_tEEUlT_E_NS1_11comp_targetILNS1_3genE8ELNS1_11target_archE1030ELNS1_3gpuE2ELNS1_3repE0EEENS1_30default_config_static_selectorELNS0_4arch9wavefront6targetE1EEEvSM_.kd
    .uniform_work_group_size: 1
    .uses_dynamic_stack: false
    .vgpr_count:     0
    .vgpr_spill_count: 0
    .wavefront_size: 64
  - .agpr_count:     0
    .args:
      - .offset:         0
        .size:           56
        .value_kind:     by_value
    .group_segment_fixed_size: 0
    .kernarg_segment_align: 8
    .kernarg_segment_size: 56
    .language:       OpenCL C
    .language_version:
      - 2
      - 0
    .max_flat_workgroup_size: 128
    .name:           _ZN7rocprim17ROCPRIM_400000_NS6detail17trampoline_kernelINS0_14default_configENS1_38merge_sort_block_merge_config_selectorIlNS0_10empty_typeEEEZZNS1_27merge_sort_block_merge_implIS3_PlPS5_mZN2at6native12_GLOBAL__N_124unique_dim_cuda_templateIaEESt5tupleIJNSA_6TensorESF_SF_EERKSF_lbbbEUlllE_EE10hipError_tT0_T1_T2_jT3_P12ihipStream_tbPNSt15iterator_traitsISL_E10value_typeEPNSR_ISM_E10value_typeEPSN_NS1_7vsmem_tEENKUlT_SL_SM_SN_E_clIS8_S8_S9_S9_EESK_S10_SL_SM_SN_EUlS10_E_NS1_11comp_targetILNS1_3genE0ELNS1_11target_archE4294967295ELNS1_3gpuE0ELNS1_3repE0EEENS1_48merge_mergepath_partition_config_static_selectorELNS0_4arch9wavefront6targetE1EEEvSM_
    .private_segment_fixed_size: 0
    .sgpr_count:     6
    .sgpr_spill_count: 0
    .symbol:         _ZN7rocprim17ROCPRIM_400000_NS6detail17trampoline_kernelINS0_14default_configENS1_38merge_sort_block_merge_config_selectorIlNS0_10empty_typeEEEZZNS1_27merge_sort_block_merge_implIS3_PlPS5_mZN2at6native12_GLOBAL__N_124unique_dim_cuda_templateIaEESt5tupleIJNSA_6TensorESF_SF_EERKSF_lbbbEUlllE_EE10hipError_tT0_T1_T2_jT3_P12ihipStream_tbPNSt15iterator_traitsISL_E10value_typeEPNSR_ISM_E10value_typeEPSN_NS1_7vsmem_tEENKUlT_SL_SM_SN_E_clIS8_S8_S9_S9_EESK_S10_SL_SM_SN_EUlS10_E_NS1_11comp_targetILNS1_3genE0ELNS1_11target_archE4294967295ELNS1_3gpuE0ELNS1_3repE0EEENS1_48merge_mergepath_partition_config_static_selectorELNS0_4arch9wavefront6targetE1EEEvSM_.kd
    .uniform_work_group_size: 1
    .uses_dynamic_stack: false
    .vgpr_count:     0
    .vgpr_spill_count: 0
    .wavefront_size: 64
  - .agpr_count:     0
    .args:
      - .offset:         0
        .size:           56
        .value_kind:     by_value
    .group_segment_fixed_size: 0
    .kernarg_segment_align: 8
    .kernarg_segment_size: 56
    .language:       OpenCL C
    .language_version:
      - 2
      - 0
    .max_flat_workgroup_size: 128
    .name:           _ZN7rocprim17ROCPRIM_400000_NS6detail17trampoline_kernelINS0_14default_configENS1_38merge_sort_block_merge_config_selectorIlNS0_10empty_typeEEEZZNS1_27merge_sort_block_merge_implIS3_PlPS5_mZN2at6native12_GLOBAL__N_124unique_dim_cuda_templateIaEESt5tupleIJNSA_6TensorESF_SF_EERKSF_lbbbEUlllE_EE10hipError_tT0_T1_T2_jT3_P12ihipStream_tbPNSt15iterator_traitsISL_E10value_typeEPNSR_ISM_E10value_typeEPSN_NS1_7vsmem_tEENKUlT_SL_SM_SN_E_clIS8_S8_S9_S9_EESK_S10_SL_SM_SN_EUlS10_E_NS1_11comp_targetILNS1_3genE10ELNS1_11target_archE1201ELNS1_3gpuE5ELNS1_3repE0EEENS1_48merge_mergepath_partition_config_static_selectorELNS0_4arch9wavefront6targetE1EEEvSM_
    .private_segment_fixed_size: 0
    .sgpr_count:     6
    .sgpr_spill_count: 0
    .symbol:         _ZN7rocprim17ROCPRIM_400000_NS6detail17trampoline_kernelINS0_14default_configENS1_38merge_sort_block_merge_config_selectorIlNS0_10empty_typeEEEZZNS1_27merge_sort_block_merge_implIS3_PlPS5_mZN2at6native12_GLOBAL__N_124unique_dim_cuda_templateIaEESt5tupleIJNSA_6TensorESF_SF_EERKSF_lbbbEUlllE_EE10hipError_tT0_T1_T2_jT3_P12ihipStream_tbPNSt15iterator_traitsISL_E10value_typeEPNSR_ISM_E10value_typeEPSN_NS1_7vsmem_tEENKUlT_SL_SM_SN_E_clIS8_S8_S9_S9_EESK_S10_SL_SM_SN_EUlS10_E_NS1_11comp_targetILNS1_3genE10ELNS1_11target_archE1201ELNS1_3gpuE5ELNS1_3repE0EEENS1_48merge_mergepath_partition_config_static_selectorELNS0_4arch9wavefront6targetE1EEEvSM_.kd
    .uniform_work_group_size: 1
    .uses_dynamic_stack: false
    .vgpr_count:     0
    .vgpr_spill_count: 0
    .wavefront_size: 64
  - .agpr_count:     0
    .args:
      - .offset:         0
        .size:           56
        .value_kind:     by_value
    .group_segment_fixed_size: 0
    .kernarg_segment_align: 8
    .kernarg_segment_size: 56
    .language:       OpenCL C
    .language_version:
      - 2
      - 0
    .max_flat_workgroup_size: 128
    .name:           _ZN7rocprim17ROCPRIM_400000_NS6detail17trampoline_kernelINS0_14default_configENS1_38merge_sort_block_merge_config_selectorIlNS0_10empty_typeEEEZZNS1_27merge_sort_block_merge_implIS3_PlPS5_mZN2at6native12_GLOBAL__N_124unique_dim_cuda_templateIaEESt5tupleIJNSA_6TensorESF_SF_EERKSF_lbbbEUlllE_EE10hipError_tT0_T1_T2_jT3_P12ihipStream_tbPNSt15iterator_traitsISL_E10value_typeEPNSR_ISM_E10value_typeEPSN_NS1_7vsmem_tEENKUlT_SL_SM_SN_E_clIS8_S8_S9_S9_EESK_S10_SL_SM_SN_EUlS10_E_NS1_11comp_targetILNS1_3genE5ELNS1_11target_archE942ELNS1_3gpuE9ELNS1_3repE0EEENS1_48merge_mergepath_partition_config_static_selectorELNS0_4arch9wavefront6targetE1EEEvSM_
    .private_segment_fixed_size: 0
    .sgpr_count:     38
    .sgpr_spill_count: 0
    .symbol:         _ZN7rocprim17ROCPRIM_400000_NS6detail17trampoline_kernelINS0_14default_configENS1_38merge_sort_block_merge_config_selectorIlNS0_10empty_typeEEEZZNS1_27merge_sort_block_merge_implIS3_PlPS5_mZN2at6native12_GLOBAL__N_124unique_dim_cuda_templateIaEESt5tupleIJNSA_6TensorESF_SF_EERKSF_lbbbEUlllE_EE10hipError_tT0_T1_T2_jT3_P12ihipStream_tbPNSt15iterator_traitsISL_E10value_typeEPNSR_ISM_E10value_typeEPSN_NS1_7vsmem_tEENKUlT_SL_SM_SN_E_clIS8_S8_S9_S9_EESK_S10_SL_SM_SN_EUlS10_E_NS1_11comp_targetILNS1_3genE5ELNS1_11target_archE942ELNS1_3gpuE9ELNS1_3repE0EEENS1_48merge_mergepath_partition_config_static_selectorELNS0_4arch9wavefront6targetE1EEEvSM_.kd
    .uniform_work_group_size: 1
    .uses_dynamic_stack: false
    .vgpr_count:     23
    .vgpr_spill_count: 0
    .wavefront_size: 64
  - .agpr_count:     0
    .args:
      - .offset:         0
        .size:           56
        .value_kind:     by_value
    .group_segment_fixed_size: 0
    .kernarg_segment_align: 8
    .kernarg_segment_size: 56
    .language:       OpenCL C
    .language_version:
      - 2
      - 0
    .max_flat_workgroup_size: 128
    .name:           _ZN7rocprim17ROCPRIM_400000_NS6detail17trampoline_kernelINS0_14default_configENS1_38merge_sort_block_merge_config_selectorIlNS0_10empty_typeEEEZZNS1_27merge_sort_block_merge_implIS3_PlPS5_mZN2at6native12_GLOBAL__N_124unique_dim_cuda_templateIaEESt5tupleIJNSA_6TensorESF_SF_EERKSF_lbbbEUlllE_EE10hipError_tT0_T1_T2_jT3_P12ihipStream_tbPNSt15iterator_traitsISL_E10value_typeEPNSR_ISM_E10value_typeEPSN_NS1_7vsmem_tEENKUlT_SL_SM_SN_E_clIS8_S8_S9_S9_EESK_S10_SL_SM_SN_EUlS10_E_NS1_11comp_targetILNS1_3genE4ELNS1_11target_archE910ELNS1_3gpuE8ELNS1_3repE0EEENS1_48merge_mergepath_partition_config_static_selectorELNS0_4arch9wavefront6targetE1EEEvSM_
    .private_segment_fixed_size: 0
    .sgpr_count:     6
    .sgpr_spill_count: 0
    .symbol:         _ZN7rocprim17ROCPRIM_400000_NS6detail17trampoline_kernelINS0_14default_configENS1_38merge_sort_block_merge_config_selectorIlNS0_10empty_typeEEEZZNS1_27merge_sort_block_merge_implIS3_PlPS5_mZN2at6native12_GLOBAL__N_124unique_dim_cuda_templateIaEESt5tupleIJNSA_6TensorESF_SF_EERKSF_lbbbEUlllE_EE10hipError_tT0_T1_T2_jT3_P12ihipStream_tbPNSt15iterator_traitsISL_E10value_typeEPNSR_ISM_E10value_typeEPSN_NS1_7vsmem_tEENKUlT_SL_SM_SN_E_clIS8_S8_S9_S9_EESK_S10_SL_SM_SN_EUlS10_E_NS1_11comp_targetILNS1_3genE4ELNS1_11target_archE910ELNS1_3gpuE8ELNS1_3repE0EEENS1_48merge_mergepath_partition_config_static_selectorELNS0_4arch9wavefront6targetE1EEEvSM_.kd
    .uniform_work_group_size: 1
    .uses_dynamic_stack: false
    .vgpr_count:     0
    .vgpr_spill_count: 0
    .wavefront_size: 64
  - .agpr_count:     0
    .args:
      - .offset:         0
        .size:           56
        .value_kind:     by_value
    .group_segment_fixed_size: 0
    .kernarg_segment_align: 8
    .kernarg_segment_size: 56
    .language:       OpenCL C
    .language_version:
      - 2
      - 0
    .max_flat_workgroup_size: 128
    .name:           _ZN7rocprim17ROCPRIM_400000_NS6detail17trampoline_kernelINS0_14default_configENS1_38merge_sort_block_merge_config_selectorIlNS0_10empty_typeEEEZZNS1_27merge_sort_block_merge_implIS3_PlPS5_mZN2at6native12_GLOBAL__N_124unique_dim_cuda_templateIaEESt5tupleIJNSA_6TensorESF_SF_EERKSF_lbbbEUlllE_EE10hipError_tT0_T1_T2_jT3_P12ihipStream_tbPNSt15iterator_traitsISL_E10value_typeEPNSR_ISM_E10value_typeEPSN_NS1_7vsmem_tEENKUlT_SL_SM_SN_E_clIS8_S8_S9_S9_EESK_S10_SL_SM_SN_EUlS10_E_NS1_11comp_targetILNS1_3genE3ELNS1_11target_archE908ELNS1_3gpuE7ELNS1_3repE0EEENS1_48merge_mergepath_partition_config_static_selectorELNS0_4arch9wavefront6targetE1EEEvSM_
    .private_segment_fixed_size: 0
    .sgpr_count:     6
    .sgpr_spill_count: 0
    .symbol:         _ZN7rocprim17ROCPRIM_400000_NS6detail17trampoline_kernelINS0_14default_configENS1_38merge_sort_block_merge_config_selectorIlNS0_10empty_typeEEEZZNS1_27merge_sort_block_merge_implIS3_PlPS5_mZN2at6native12_GLOBAL__N_124unique_dim_cuda_templateIaEESt5tupleIJNSA_6TensorESF_SF_EERKSF_lbbbEUlllE_EE10hipError_tT0_T1_T2_jT3_P12ihipStream_tbPNSt15iterator_traitsISL_E10value_typeEPNSR_ISM_E10value_typeEPSN_NS1_7vsmem_tEENKUlT_SL_SM_SN_E_clIS8_S8_S9_S9_EESK_S10_SL_SM_SN_EUlS10_E_NS1_11comp_targetILNS1_3genE3ELNS1_11target_archE908ELNS1_3gpuE7ELNS1_3repE0EEENS1_48merge_mergepath_partition_config_static_selectorELNS0_4arch9wavefront6targetE1EEEvSM_.kd
    .uniform_work_group_size: 1
    .uses_dynamic_stack: false
    .vgpr_count:     0
    .vgpr_spill_count: 0
    .wavefront_size: 64
  - .agpr_count:     0
    .args:
      - .offset:         0
        .size:           56
        .value_kind:     by_value
    .group_segment_fixed_size: 0
    .kernarg_segment_align: 8
    .kernarg_segment_size: 56
    .language:       OpenCL C
    .language_version:
      - 2
      - 0
    .max_flat_workgroup_size: 128
    .name:           _ZN7rocprim17ROCPRIM_400000_NS6detail17trampoline_kernelINS0_14default_configENS1_38merge_sort_block_merge_config_selectorIlNS0_10empty_typeEEEZZNS1_27merge_sort_block_merge_implIS3_PlPS5_mZN2at6native12_GLOBAL__N_124unique_dim_cuda_templateIaEESt5tupleIJNSA_6TensorESF_SF_EERKSF_lbbbEUlllE_EE10hipError_tT0_T1_T2_jT3_P12ihipStream_tbPNSt15iterator_traitsISL_E10value_typeEPNSR_ISM_E10value_typeEPSN_NS1_7vsmem_tEENKUlT_SL_SM_SN_E_clIS8_S8_S9_S9_EESK_S10_SL_SM_SN_EUlS10_E_NS1_11comp_targetILNS1_3genE2ELNS1_11target_archE906ELNS1_3gpuE6ELNS1_3repE0EEENS1_48merge_mergepath_partition_config_static_selectorELNS0_4arch9wavefront6targetE1EEEvSM_
    .private_segment_fixed_size: 0
    .sgpr_count:     6
    .sgpr_spill_count: 0
    .symbol:         _ZN7rocprim17ROCPRIM_400000_NS6detail17trampoline_kernelINS0_14default_configENS1_38merge_sort_block_merge_config_selectorIlNS0_10empty_typeEEEZZNS1_27merge_sort_block_merge_implIS3_PlPS5_mZN2at6native12_GLOBAL__N_124unique_dim_cuda_templateIaEESt5tupleIJNSA_6TensorESF_SF_EERKSF_lbbbEUlllE_EE10hipError_tT0_T1_T2_jT3_P12ihipStream_tbPNSt15iterator_traitsISL_E10value_typeEPNSR_ISM_E10value_typeEPSN_NS1_7vsmem_tEENKUlT_SL_SM_SN_E_clIS8_S8_S9_S9_EESK_S10_SL_SM_SN_EUlS10_E_NS1_11comp_targetILNS1_3genE2ELNS1_11target_archE906ELNS1_3gpuE6ELNS1_3repE0EEENS1_48merge_mergepath_partition_config_static_selectorELNS0_4arch9wavefront6targetE1EEEvSM_.kd
    .uniform_work_group_size: 1
    .uses_dynamic_stack: false
    .vgpr_count:     0
    .vgpr_spill_count: 0
    .wavefront_size: 64
  - .agpr_count:     0
    .args:
      - .offset:         0
        .size:           56
        .value_kind:     by_value
    .group_segment_fixed_size: 0
    .kernarg_segment_align: 8
    .kernarg_segment_size: 56
    .language:       OpenCL C
    .language_version:
      - 2
      - 0
    .max_flat_workgroup_size: 128
    .name:           _ZN7rocprim17ROCPRIM_400000_NS6detail17trampoline_kernelINS0_14default_configENS1_38merge_sort_block_merge_config_selectorIlNS0_10empty_typeEEEZZNS1_27merge_sort_block_merge_implIS3_PlPS5_mZN2at6native12_GLOBAL__N_124unique_dim_cuda_templateIaEESt5tupleIJNSA_6TensorESF_SF_EERKSF_lbbbEUlllE_EE10hipError_tT0_T1_T2_jT3_P12ihipStream_tbPNSt15iterator_traitsISL_E10value_typeEPNSR_ISM_E10value_typeEPSN_NS1_7vsmem_tEENKUlT_SL_SM_SN_E_clIS8_S8_S9_S9_EESK_S10_SL_SM_SN_EUlS10_E_NS1_11comp_targetILNS1_3genE9ELNS1_11target_archE1100ELNS1_3gpuE3ELNS1_3repE0EEENS1_48merge_mergepath_partition_config_static_selectorELNS0_4arch9wavefront6targetE1EEEvSM_
    .private_segment_fixed_size: 0
    .sgpr_count:     6
    .sgpr_spill_count: 0
    .symbol:         _ZN7rocprim17ROCPRIM_400000_NS6detail17trampoline_kernelINS0_14default_configENS1_38merge_sort_block_merge_config_selectorIlNS0_10empty_typeEEEZZNS1_27merge_sort_block_merge_implIS3_PlPS5_mZN2at6native12_GLOBAL__N_124unique_dim_cuda_templateIaEESt5tupleIJNSA_6TensorESF_SF_EERKSF_lbbbEUlllE_EE10hipError_tT0_T1_T2_jT3_P12ihipStream_tbPNSt15iterator_traitsISL_E10value_typeEPNSR_ISM_E10value_typeEPSN_NS1_7vsmem_tEENKUlT_SL_SM_SN_E_clIS8_S8_S9_S9_EESK_S10_SL_SM_SN_EUlS10_E_NS1_11comp_targetILNS1_3genE9ELNS1_11target_archE1100ELNS1_3gpuE3ELNS1_3repE0EEENS1_48merge_mergepath_partition_config_static_selectorELNS0_4arch9wavefront6targetE1EEEvSM_.kd
    .uniform_work_group_size: 1
    .uses_dynamic_stack: false
    .vgpr_count:     0
    .vgpr_spill_count: 0
    .wavefront_size: 64
  - .agpr_count:     0
    .args:
      - .offset:         0
        .size:           56
        .value_kind:     by_value
    .group_segment_fixed_size: 0
    .kernarg_segment_align: 8
    .kernarg_segment_size: 56
    .language:       OpenCL C
    .language_version:
      - 2
      - 0
    .max_flat_workgroup_size: 128
    .name:           _ZN7rocprim17ROCPRIM_400000_NS6detail17trampoline_kernelINS0_14default_configENS1_38merge_sort_block_merge_config_selectorIlNS0_10empty_typeEEEZZNS1_27merge_sort_block_merge_implIS3_PlPS5_mZN2at6native12_GLOBAL__N_124unique_dim_cuda_templateIaEESt5tupleIJNSA_6TensorESF_SF_EERKSF_lbbbEUlllE_EE10hipError_tT0_T1_T2_jT3_P12ihipStream_tbPNSt15iterator_traitsISL_E10value_typeEPNSR_ISM_E10value_typeEPSN_NS1_7vsmem_tEENKUlT_SL_SM_SN_E_clIS8_S8_S9_S9_EESK_S10_SL_SM_SN_EUlS10_E_NS1_11comp_targetILNS1_3genE8ELNS1_11target_archE1030ELNS1_3gpuE2ELNS1_3repE0EEENS1_48merge_mergepath_partition_config_static_selectorELNS0_4arch9wavefront6targetE1EEEvSM_
    .private_segment_fixed_size: 0
    .sgpr_count:     6
    .sgpr_spill_count: 0
    .symbol:         _ZN7rocprim17ROCPRIM_400000_NS6detail17trampoline_kernelINS0_14default_configENS1_38merge_sort_block_merge_config_selectorIlNS0_10empty_typeEEEZZNS1_27merge_sort_block_merge_implIS3_PlPS5_mZN2at6native12_GLOBAL__N_124unique_dim_cuda_templateIaEESt5tupleIJNSA_6TensorESF_SF_EERKSF_lbbbEUlllE_EE10hipError_tT0_T1_T2_jT3_P12ihipStream_tbPNSt15iterator_traitsISL_E10value_typeEPNSR_ISM_E10value_typeEPSN_NS1_7vsmem_tEENKUlT_SL_SM_SN_E_clIS8_S8_S9_S9_EESK_S10_SL_SM_SN_EUlS10_E_NS1_11comp_targetILNS1_3genE8ELNS1_11target_archE1030ELNS1_3gpuE2ELNS1_3repE0EEENS1_48merge_mergepath_partition_config_static_selectorELNS0_4arch9wavefront6targetE1EEEvSM_.kd
    .uniform_work_group_size: 1
    .uses_dynamic_stack: false
    .vgpr_count:     0
    .vgpr_spill_count: 0
    .wavefront_size: 64
  - .agpr_count:     0
    .args:
      - .offset:         0
        .size:           88
        .value_kind:     by_value
    .group_segment_fixed_size: 0
    .kernarg_segment_align: 8
    .kernarg_segment_size: 88
    .language:       OpenCL C
    .language_version:
      - 2
      - 0
    .max_flat_workgroup_size: 128
    .name:           _ZN7rocprim17ROCPRIM_400000_NS6detail17trampoline_kernelINS0_14default_configENS1_38merge_sort_block_merge_config_selectorIlNS0_10empty_typeEEEZZNS1_27merge_sort_block_merge_implIS3_PlPS5_mZN2at6native12_GLOBAL__N_124unique_dim_cuda_templateIaEESt5tupleIJNSA_6TensorESF_SF_EERKSF_lbbbEUlllE_EE10hipError_tT0_T1_T2_jT3_P12ihipStream_tbPNSt15iterator_traitsISL_E10value_typeEPNSR_ISM_E10value_typeEPSN_NS1_7vsmem_tEENKUlT_SL_SM_SN_E_clIS8_S8_S9_S9_EESK_S10_SL_SM_SN_EUlS10_E0_NS1_11comp_targetILNS1_3genE0ELNS1_11target_archE4294967295ELNS1_3gpuE0ELNS1_3repE0EEENS1_38merge_mergepath_config_static_selectorELNS0_4arch9wavefront6targetE1EEEvSM_
    .private_segment_fixed_size: 0
    .sgpr_count:     6
    .sgpr_spill_count: 0
    .symbol:         _ZN7rocprim17ROCPRIM_400000_NS6detail17trampoline_kernelINS0_14default_configENS1_38merge_sort_block_merge_config_selectorIlNS0_10empty_typeEEEZZNS1_27merge_sort_block_merge_implIS3_PlPS5_mZN2at6native12_GLOBAL__N_124unique_dim_cuda_templateIaEESt5tupleIJNSA_6TensorESF_SF_EERKSF_lbbbEUlllE_EE10hipError_tT0_T1_T2_jT3_P12ihipStream_tbPNSt15iterator_traitsISL_E10value_typeEPNSR_ISM_E10value_typeEPSN_NS1_7vsmem_tEENKUlT_SL_SM_SN_E_clIS8_S8_S9_S9_EESK_S10_SL_SM_SN_EUlS10_E0_NS1_11comp_targetILNS1_3genE0ELNS1_11target_archE4294967295ELNS1_3gpuE0ELNS1_3repE0EEENS1_38merge_mergepath_config_static_selectorELNS0_4arch9wavefront6targetE1EEEvSM_.kd
    .uniform_work_group_size: 1
    .uses_dynamic_stack: false
    .vgpr_count:     0
    .vgpr_spill_count: 0
    .wavefront_size: 64
  - .agpr_count:     0
    .args:
      - .offset:         0
        .size:           88
        .value_kind:     by_value
    .group_segment_fixed_size: 0
    .kernarg_segment_align: 8
    .kernarg_segment_size: 88
    .language:       OpenCL C
    .language_version:
      - 2
      - 0
    .max_flat_workgroup_size: 512
    .name:           _ZN7rocprim17ROCPRIM_400000_NS6detail17trampoline_kernelINS0_14default_configENS1_38merge_sort_block_merge_config_selectorIlNS0_10empty_typeEEEZZNS1_27merge_sort_block_merge_implIS3_PlPS5_mZN2at6native12_GLOBAL__N_124unique_dim_cuda_templateIaEESt5tupleIJNSA_6TensorESF_SF_EERKSF_lbbbEUlllE_EE10hipError_tT0_T1_T2_jT3_P12ihipStream_tbPNSt15iterator_traitsISL_E10value_typeEPNSR_ISM_E10value_typeEPSN_NS1_7vsmem_tEENKUlT_SL_SM_SN_E_clIS8_S8_S9_S9_EESK_S10_SL_SM_SN_EUlS10_E0_NS1_11comp_targetILNS1_3genE10ELNS1_11target_archE1201ELNS1_3gpuE5ELNS1_3repE0EEENS1_38merge_mergepath_config_static_selectorELNS0_4arch9wavefront6targetE1EEEvSM_
    .private_segment_fixed_size: 0
    .sgpr_count:     6
    .sgpr_spill_count: 0
    .symbol:         _ZN7rocprim17ROCPRIM_400000_NS6detail17trampoline_kernelINS0_14default_configENS1_38merge_sort_block_merge_config_selectorIlNS0_10empty_typeEEEZZNS1_27merge_sort_block_merge_implIS3_PlPS5_mZN2at6native12_GLOBAL__N_124unique_dim_cuda_templateIaEESt5tupleIJNSA_6TensorESF_SF_EERKSF_lbbbEUlllE_EE10hipError_tT0_T1_T2_jT3_P12ihipStream_tbPNSt15iterator_traitsISL_E10value_typeEPNSR_ISM_E10value_typeEPSN_NS1_7vsmem_tEENKUlT_SL_SM_SN_E_clIS8_S8_S9_S9_EESK_S10_SL_SM_SN_EUlS10_E0_NS1_11comp_targetILNS1_3genE10ELNS1_11target_archE1201ELNS1_3gpuE5ELNS1_3repE0EEENS1_38merge_mergepath_config_static_selectorELNS0_4arch9wavefront6targetE1EEEvSM_.kd
    .uniform_work_group_size: 1
    .uses_dynamic_stack: false
    .vgpr_count:     0
    .vgpr_spill_count: 0
    .wavefront_size: 64
  - .agpr_count:     0
    .args:
      - .offset:         0
        .size:           88
        .value_kind:     by_value
      - .offset:         88
        .size:           4
        .value_kind:     hidden_block_count_x
      - .offset:         92
        .size:           4
        .value_kind:     hidden_block_count_y
      - .offset:         96
        .size:           4
        .value_kind:     hidden_block_count_z
      - .offset:         100
        .size:           2
        .value_kind:     hidden_group_size_x
      - .offset:         102
        .size:           2
        .value_kind:     hidden_group_size_y
      - .offset:         104
        .size:           2
        .value_kind:     hidden_group_size_z
      - .offset:         106
        .size:           2
        .value_kind:     hidden_remainder_x
      - .offset:         108
        .size:           2
        .value_kind:     hidden_remainder_y
      - .offset:         110
        .size:           2
        .value_kind:     hidden_remainder_z
      - .offset:         128
        .size:           8
        .value_kind:     hidden_global_offset_x
      - .offset:         136
        .size:           8
        .value_kind:     hidden_global_offset_y
      - .offset:         144
        .size:           8
        .value_kind:     hidden_global_offset_z
      - .offset:         152
        .size:           2
        .value_kind:     hidden_grid_dims
    .group_segment_fixed_size: 8448
    .kernarg_segment_align: 8
    .kernarg_segment_size: 344
    .language:       OpenCL C
    .language_version:
      - 2
      - 0
    .max_flat_workgroup_size: 128
    .name:           _ZN7rocprim17ROCPRIM_400000_NS6detail17trampoline_kernelINS0_14default_configENS1_38merge_sort_block_merge_config_selectorIlNS0_10empty_typeEEEZZNS1_27merge_sort_block_merge_implIS3_PlPS5_mZN2at6native12_GLOBAL__N_124unique_dim_cuda_templateIaEESt5tupleIJNSA_6TensorESF_SF_EERKSF_lbbbEUlllE_EE10hipError_tT0_T1_T2_jT3_P12ihipStream_tbPNSt15iterator_traitsISL_E10value_typeEPNSR_ISM_E10value_typeEPSN_NS1_7vsmem_tEENKUlT_SL_SM_SN_E_clIS8_S8_S9_S9_EESK_S10_SL_SM_SN_EUlS10_E0_NS1_11comp_targetILNS1_3genE5ELNS1_11target_archE942ELNS1_3gpuE9ELNS1_3repE0EEENS1_38merge_mergepath_config_static_selectorELNS0_4arch9wavefront6targetE1EEEvSM_
    .private_segment_fixed_size: 0
    .sgpr_count:     60
    .sgpr_spill_count: 0
    .symbol:         _ZN7rocprim17ROCPRIM_400000_NS6detail17trampoline_kernelINS0_14default_configENS1_38merge_sort_block_merge_config_selectorIlNS0_10empty_typeEEEZZNS1_27merge_sort_block_merge_implIS3_PlPS5_mZN2at6native12_GLOBAL__N_124unique_dim_cuda_templateIaEESt5tupleIJNSA_6TensorESF_SF_EERKSF_lbbbEUlllE_EE10hipError_tT0_T1_T2_jT3_P12ihipStream_tbPNSt15iterator_traitsISL_E10value_typeEPNSR_ISM_E10value_typeEPSN_NS1_7vsmem_tEENKUlT_SL_SM_SN_E_clIS8_S8_S9_S9_EESK_S10_SL_SM_SN_EUlS10_E0_NS1_11comp_targetILNS1_3genE5ELNS1_11target_archE942ELNS1_3gpuE9ELNS1_3repE0EEENS1_38merge_mergepath_config_static_selectorELNS0_4arch9wavefront6targetE1EEEvSM_.kd
    .uniform_work_group_size: 1
    .uses_dynamic_stack: false
    .vgpr_count:     40
    .vgpr_spill_count: 0
    .wavefront_size: 64
  - .agpr_count:     0
    .args:
      - .offset:         0
        .size:           88
        .value_kind:     by_value
    .group_segment_fixed_size: 0
    .kernarg_segment_align: 8
    .kernarg_segment_size: 88
    .language:       OpenCL C
    .language_version:
      - 2
      - 0
    .max_flat_workgroup_size: 256
    .name:           _ZN7rocprim17ROCPRIM_400000_NS6detail17trampoline_kernelINS0_14default_configENS1_38merge_sort_block_merge_config_selectorIlNS0_10empty_typeEEEZZNS1_27merge_sort_block_merge_implIS3_PlPS5_mZN2at6native12_GLOBAL__N_124unique_dim_cuda_templateIaEESt5tupleIJNSA_6TensorESF_SF_EERKSF_lbbbEUlllE_EE10hipError_tT0_T1_T2_jT3_P12ihipStream_tbPNSt15iterator_traitsISL_E10value_typeEPNSR_ISM_E10value_typeEPSN_NS1_7vsmem_tEENKUlT_SL_SM_SN_E_clIS8_S8_S9_S9_EESK_S10_SL_SM_SN_EUlS10_E0_NS1_11comp_targetILNS1_3genE4ELNS1_11target_archE910ELNS1_3gpuE8ELNS1_3repE0EEENS1_38merge_mergepath_config_static_selectorELNS0_4arch9wavefront6targetE1EEEvSM_
    .private_segment_fixed_size: 0
    .sgpr_count:     6
    .sgpr_spill_count: 0
    .symbol:         _ZN7rocprim17ROCPRIM_400000_NS6detail17trampoline_kernelINS0_14default_configENS1_38merge_sort_block_merge_config_selectorIlNS0_10empty_typeEEEZZNS1_27merge_sort_block_merge_implIS3_PlPS5_mZN2at6native12_GLOBAL__N_124unique_dim_cuda_templateIaEESt5tupleIJNSA_6TensorESF_SF_EERKSF_lbbbEUlllE_EE10hipError_tT0_T1_T2_jT3_P12ihipStream_tbPNSt15iterator_traitsISL_E10value_typeEPNSR_ISM_E10value_typeEPSN_NS1_7vsmem_tEENKUlT_SL_SM_SN_E_clIS8_S8_S9_S9_EESK_S10_SL_SM_SN_EUlS10_E0_NS1_11comp_targetILNS1_3genE4ELNS1_11target_archE910ELNS1_3gpuE8ELNS1_3repE0EEENS1_38merge_mergepath_config_static_selectorELNS0_4arch9wavefront6targetE1EEEvSM_.kd
    .uniform_work_group_size: 1
    .uses_dynamic_stack: false
    .vgpr_count:     0
    .vgpr_spill_count: 0
    .wavefront_size: 64
  - .agpr_count:     0
    .args:
      - .offset:         0
        .size:           88
        .value_kind:     by_value
    .group_segment_fixed_size: 0
    .kernarg_segment_align: 8
    .kernarg_segment_size: 88
    .language:       OpenCL C
    .language_version:
      - 2
      - 0
    .max_flat_workgroup_size: 128
    .name:           _ZN7rocprim17ROCPRIM_400000_NS6detail17trampoline_kernelINS0_14default_configENS1_38merge_sort_block_merge_config_selectorIlNS0_10empty_typeEEEZZNS1_27merge_sort_block_merge_implIS3_PlPS5_mZN2at6native12_GLOBAL__N_124unique_dim_cuda_templateIaEESt5tupleIJNSA_6TensorESF_SF_EERKSF_lbbbEUlllE_EE10hipError_tT0_T1_T2_jT3_P12ihipStream_tbPNSt15iterator_traitsISL_E10value_typeEPNSR_ISM_E10value_typeEPSN_NS1_7vsmem_tEENKUlT_SL_SM_SN_E_clIS8_S8_S9_S9_EESK_S10_SL_SM_SN_EUlS10_E0_NS1_11comp_targetILNS1_3genE3ELNS1_11target_archE908ELNS1_3gpuE7ELNS1_3repE0EEENS1_38merge_mergepath_config_static_selectorELNS0_4arch9wavefront6targetE1EEEvSM_
    .private_segment_fixed_size: 0
    .sgpr_count:     6
    .sgpr_spill_count: 0
    .symbol:         _ZN7rocprim17ROCPRIM_400000_NS6detail17trampoline_kernelINS0_14default_configENS1_38merge_sort_block_merge_config_selectorIlNS0_10empty_typeEEEZZNS1_27merge_sort_block_merge_implIS3_PlPS5_mZN2at6native12_GLOBAL__N_124unique_dim_cuda_templateIaEESt5tupleIJNSA_6TensorESF_SF_EERKSF_lbbbEUlllE_EE10hipError_tT0_T1_T2_jT3_P12ihipStream_tbPNSt15iterator_traitsISL_E10value_typeEPNSR_ISM_E10value_typeEPSN_NS1_7vsmem_tEENKUlT_SL_SM_SN_E_clIS8_S8_S9_S9_EESK_S10_SL_SM_SN_EUlS10_E0_NS1_11comp_targetILNS1_3genE3ELNS1_11target_archE908ELNS1_3gpuE7ELNS1_3repE0EEENS1_38merge_mergepath_config_static_selectorELNS0_4arch9wavefront6targetE1EEEvSM_.kd
    .uniform_work_group_size: 1
    .uses_dynamic_stack: false
    .vgpr_count:     0
    .vgpr_spill_count: 0
    .wavefront_size: 64
  - .agpr_count:     0
    .args:
      - .offset:         0
        .size:           88
        .value_kind:     by_value
    .group_segment_fixed_size: 0
    .kernarg_segment_align: 8
    .kernarg_segment_size: 88
    .language:       OpenCL C
    .language_version:
      - 2
      - 0
    .max_flat_workgroup_size: 256
    .name:           _ZN7rocprim17ROCPRIM_400000_NS6detail17trampoline_kernelINS0_14default_configENS1_38merge_sort_block_merge_config_selectorIlNS0_10empty_typeEEEZZNS1_27merge_sort_block_merge_implIS3_PlPS5_mZN2at6native12_GLOBAL__N_124unique_dim_cuda_templateIaEESt5tupleIJNSA_6TensorESF_SF_EERKSF_lbbbEUlllE_EE10hipError_tT0_T1_T2_jT3_P12ihipStream_tbPNSt15iterator_traitsISL_E10value_typeEPNSR_ISM_E10value_typeEPSN_NS1_7vsmem_tEENKUlT_SL_SM_SN_E_clIS8_S8_S9_S9_EESK_S10_SL_SM_SN_EUlS10_E0_NS1_11comp_targetILNS1_3genE2ELNS1_11target_archE906ELNS1_3gpuE6ELNS1_3repE0EEENS1_38merge_mergepath_config_static_selectorELNS0_4arch9wavefront6targetE1EEEvSM_
    .private_segment_fixed_size: 0
    .sgpr_count:     6
    .sgpr_spill_count: 0
    .symbol:         _ZN7rocprim17ROCPRIM_400000_NS6detail17trampoline_kernelINS0_14default_configENS1_38merge_sort_block_merge_config_selectorIlNS0_10empty_typeEEEZZNS1_27merge_sort_block_merge_implIS3_PlPS5_mZN2at6native12_GLOBAL__N_124unique_dim_cuda_templateIaEESt5tupleIJNSA_6TensorESF_SF_EERKSF_lbbbEUlllE_EE10hipError_tT0_T1_T2_jT3_P12ihipStream_tbPNSt15iterator_traitsISL_E10value_typeEPNSR_ISM_E10value_typeEPSN_NS1_7vsmem_tEENKUlT_SL_SM_SN_E_clIS8_S8_S9_S9_EESK_S10_SL_SM_SN_EUlS10_E0_NS1_11comp_targetILNS1_3genE2ELNS1_11target_archE906ELNS1_3gpuE6ELNS1_3repE0EEENS1_38merge_mergepath_config_static_selectorELNS0_4arch9wavefront6targetE1EEEvSM_.kd
    .uniform_work_group_size: 1
    .uses_dynamic_stack: false
    .vgpr_count:     0
    .vgpr_spill_count: 0
    .wavefront_size: 64
  - .agpr_count:     0
    .args:
      - .offset:         0
        .size:           88
        .value_kind:     by_value
    .group_segment_fixed_size: 0
    .kernarg_segment_align: 8
    .kernarg_segment_size: 88
    .language:       OpenCL C
    .language_version:
      - 2
      - 0
    .max_flat_workgroup_size: 512
    .name:           _ZN7rocprim17ROCPRIM_400000_NS6detail17trampoline_kernelINS0_14default_configENS1_38merge_sort_block_merge_config_selectorIlNS0_10empty_typeEEEZZNS1_27merge_sort_block_merge_implIS3_PlPS5_mZN2at6native12_GLOBAL__N_124unique_dim_cuda_templateIaEESt5tupleIJNSA_6TensorESF_SF_EERKSF_lbbbEUlllE_EE10hipError_tT0_T1_T2_jT3_P12ihipStream_tbPNSt15iterator_traitsISL_E10value_typeEPNSR_ISM_E10value_typeEPSN_NS1_7vsmem_tEENKUlT_SL_SM_SN_E_clIS8_S8_S9_S9_EESK_S10_SL_SM_SN_EUlS10_E0_NS1_11comp_targetILNS1_3genE9ELNS1_11target_archE1100ELNS1_3gpuE3ELNS1_3repE0EEENS1_38merge_mergepath_config_static_selectorELNS0_4arch9wavefront6targetE1EEEvSM_
    .private_segment_fixed_size: 0
    .sgpr_count:     6
    .sgpr_spill_count: 0
    .symbol:         _ZN7rocprim17ROCPRIM_400000_NS6detail17trampoline_kernelINS0_14default_configENS1_38merge_sort_block_merge_config_selectorIlNS0_10empty_typeEEEZZNS1_27merge_sort_block_merge_implIS3_PlPS5_mZN2at6native12_GLOBAL__N_124unique_dim_cuda_templateIaEESt5tupleIJNSA_6TensorESF_SF_EERKSF_lbbbEUlllE_EE10hipError_tT0_T1_T2_jT3_P12ihipStream_tbPNSt15iterator_traitsISL_E10value_typeEPNSR_ISM_E10value_typeEPSN_NS1_7vsmem_tEENKUlT_SL_SM_SN_E_clIS8_S8_S9_S9_EESK_S10_SL_SM_SN_EUlS10_E0_NS1_11comp_targetILNS1_3genE9ELNS1_11target_archE1100ELNS1_3gpuE3ELNS1_3repE0EEENS1_38merge_mergepath_config_static_selectorELNS0_4arch9wavefront6targetE1EEEvSM_.kd
    .uniform_work_group_size: 1
    .uses_dynamic_stack: false
    .vgpr_count:     0
    .vgpr_spill_count: 0
    .wavefront_size: 64
  - .agpr_count:     0
    .args:
      - .offset:         0
        .size:           88
        .value_kind:     by_value
    .group_segment_fixed_size: 0
    .kernarg_segment_align: 8
    .kernarg_segment_size: 88
    .language:       OpenCL C
    .language_version:
      - 2
      - 0
    .max_flat_workgroup_size: 1024
    .name:           _ZN7rocprim17ROCPRIM_400000_NS6detail17trampoline_kernelINS0_14default_configENS1_38merge_sort_block_merge_config_selectorIlNS0_10empty_typeEEEZZNS1_27merge_sort_block_merge_implIS3_PlPS5_mZN2at6native12_GLOBAL__N_124unique_dim_cuda_templateIaEESt5tupleIJNSA_6TensorESF_SF_EERKSF_lbbbEUlllE_EE10hipError_tT0_T1_T2_jT3_P12ihipStream_tbPNSt15iterator_traitsISL_E10value_typeEPNSR_ISM_E10value_typeEPSN_NS1_7vsmem_tEENKUlT_SL_SM_SN_E_clIS8_S8_S9_S9_EESK_S10_SL_SM_SN_EUlS10_E0_NS1_11comp_targetILNS1_3genE8ELNS1_11target_archE1030ELNS1_3gpuE2ELNS1_3repE0EEENS1_38merge_mergepath_config_static_selectorELNS0_4arch9wavefront6targetE1EEEvSM_
    .private_segment_fixed_size: 0
    .sgpr_count:     6
    .sgpr_spill_count: 0
    .symbol:         _ZN7rocprim17ROCPRIM_400000_NS6detail17trampoline_kernelINS0_14default_configENS1_38merge_sort_block_merge_config_selectorIlNS0_10empty_typeEEEZZNS1_27merge_sort_block_merge_implIS3_PlPS5_mZN2at6native12_GLOBAL__N_124unique_dim_cuda_templateIaEESt5tupleIJNSA_6TensorESF_SF_EERKSF_lbbbEUlllE_EE10hipError_tT0_T1_T2_jT3_P12ihipStream_tbPNSt15iterator_traitsISL_E10value_typeEPNSR_ISM_E10value_typeEPSN_NS1_7vsmem_tEENKUlT_SL_SM_SN_E_clIS8_S8_S9_S9_EESK_S10_SL_SM_SN_EUlS10_E0_NS1_11comp_targetILNS1_3genE8ELNS1_11target_archE1030ELNS1_3gpuE2ELNS1_3repE0EEENS1_38merge_mergepath_config_static_selectorELNS0_4arch9wavefront6targetE1EEEvSM_.kd
    .uniform_work_group_size: 1
    .uses_dynamic_stack: false
    .vgpr_count:     0
    .vgpr_spill_count: 0
    .wavefront_size: 64
  - .agpr_count:     0
    .args:
      - .offset:         0
        .size:           64
        .value_kind:     by_value
    .group_segment_fixed_size: 0
    .kernarg_segment_align: 8
    .kernarg_segment_size: 64
    .language:       OpenCL C
    .language_version:
      - 2
      - 0
    .max_flat_workgroup_size: 256
    .name:           _ZN7rocprim17ROCPRIM_400000_NS6detail17trampoline_kernelINS0_14default_configENS1_38merge_sort_block_merge_config_selectorIlNS0_10empty_typeEEEZZNS1_27merge_sort_block_merge_implIS3_PlPS5_mZN2at6native12_GLOBAL__N_124unique_dim_cuda_templateIaEESt5tupleIJNSA_6TensorESF_SF_EERKSF_lbbbEUlllE_EE10hipError_tT0_T1_T2_jT3_P12ihipStream_tbPNSt15iterator_traitsISL_E10value_typeEPNSR_ISM_E10value_typeEPSN_NS1_7vsmem_tEENKUlT_SL_SM_SN_E_clIS8_S8_S9_S9_EESK_S10_SL_SM_SN_EUlS10_E1_NS1_11comp_targetILNS1_3genE0ELNS1_11target_archE4294967295ELNS1_3gpuE0ELNS1_3repE0EEENS1_36merge_oddeven_config_static_selectorELNS0_4arch9wavefront6targetE1EEEvSM_
    .private_segment_fixed_size: 0
    .sgpr_count:     6
    .sgpr_spill_count: 0
    .symbol:         _ZN7rocprim17ROCPRIM_400000_NS6detail17trampoline_kernelINS0_14default_configENS1_38merge_sort_block_merge_config_selectorIlNS0_10empty_typeEEEZZNS1_27merge_sort_block_merge_implIS3_PlPS5_mZN2at6native12_GLOBAL__N_124unique_dim_cuda_templateIaEESt5tupleIJNSA_6TensorESF_SF_EERKSF_lbbbEUlllE_EE10hipError_tT0_T1_T2_jT3_P12ihipStream_tbPNSt15iterator_traitsISL_E10value_typeEPNSR_ISM_E10value_typeEPSN_NS1_7vsmem_tEENKUlT_SL_SM_SN_E_clIS8_S8_S9_S9_EESK_S10_SL_SM_SN_EUlS10_E1_NS1_11comp_targetILNS1_3genE0ELNS1_11target_archE4294967295ELNS1_3gpuE0ELNS1_3repE0EEENS1_36merge_oddeven_config_static_selectorELNS0_4arch9wavefront6targetE1EEEvSM_.kd
    .uniform_work_group_size: 1
    .uses_dynamic_stack: false
    .vgpr_count:     0
    .vgpr_spill_count: 0
    .wavefront_size: 64
  - .agpr_count:     0
    .args:
      - .offset:         0
        .size:           64
        .value_kind:     by_value
    .group_segment_fixed_size: 0
    .kernarg_segment_align: 8
    .kernarg_segment_size: 64
    .language:       OpenCL C
    .language_version:
      - 2
      - 0
    .max_flat_workgroup_size: 256
    .name:           _ZN7rocprim17ROCPRIM_400000_NS6detail17trampoline_kernelINS0_14default_configENS1_38merge_sort_block_merge_config_selectorIlNS0_10empty_typeEEEZZNS1_27merge_sort_block_merge_implIS3_PlPS5_mZN2at6native12_GLOBAL__N_124unique_dim_cuda_templateIaEESt5tupleIJNSA_6TensorESF_SF_EERKSF_lbbbEUlllE_EE10hipError_tT0_T1_T2_jT3_P12ihipStream_tbPNSt15iterator_traitsISL_E10value_typeEPNSR_ISM_E10value_typeEPSN_NS1_7vsmem_tEENKUlT_SL_SM_SN_E_clIS8_S8_S9_S9_EESK_S10_SL_SM_SN_EUlS10_E1_NS1_11comp_targetILNS1_3genE10ELNS1_11target_archE1201ELNS1_3gpuE5ELNS1_3repE0EEENS1_36merge_oddeven_config_static_selectorELNS0_4arch9wavefront6targetE1EEEvSM_
    .private_segment_fixed_size: 0
    .sgpr_count:     6
    .sgpr_spill_count: 0
    .symbol:         _ZN7rocprim17ROCPRIM_400000_NS6detail17trampoline_kernelINS0_14default_configENS1_38merge_sort_block_merge_config_selectorIlNS0_10empty_typeEEEZZNS1_27merge_sort_block_merge_implIS3_PlPS5_mZN2at6native12_GLOBAL__N_124unique_dim_cuda_templateIaEESt5tupleIJNSA_6TensorESF_SF_EERKSF_lbbbEUlllE_EE10hipError_tT0_T1_T2_jT3_P12ihipStream_tbPNSt15iterator_traitsISL_E10value_typeEPNSR_ISM_E10value_typeEPSN_NS1_7vsmem_tEENKUlT_SL_SM_SN_E_clIS8_S8_S9_S9_EESK_S10_SL_SM_SN_EUlS10_E1_NS1_11comp_targetILNS1_3genE10ELNS1_11target_archE1201ELNS1_3gpuE5ELNS1_3repE0EEENS1_36merge_oddeven_config_static_selectorELNS0_4arch9wavefront6targetE1EEEvSM_.kd
    .uniform_work_group_size: 1
    .uses_dynamic_stack: false
    .vgpr_count:     0
    .vgpr_spill_count: 0
    .wavefront_size: 64
  - .agpr_count:     0
    .args:
      - .offset:         0
        .size:           64
        .value_kind:     by_value
    .group_segment_fixed_size: 0
    .kernarg_segment_align: 8
    .kernarg_segment_size: 64
    .language:       OpenCL C
    .language_version:
      - 2
      - 0
    .max_flat_workgroup_size: 256
    .name:           _ZN7rocprim17ROCPRIM_400000_NS6detail17trampoline_kernelINS0_14default_configENS1_38merge_sort_block_merge_config_selectorIlNS0_10empty_typeEEEZZNS1_27merge_sort_block_merge_implIS3_PlPS5_mZN2at6native12_GLOBAL__N_124unique_dim_cuda_templateIaEESt5tupleIJNSA_6TensorESF_SF_EERKSF_lbbbEUlllE_EE10hipError_tT0_T1_T2_jT3_P12ihipStream_tbPNSt15iterator_traitsISL_E10value_typeEPNSR_ISM_E10value_typeEPSN_NS1_7vsmem_tEENKUlT_SL_SM_SN_E_clIS8_S8_S9_S9_EESK_S10_SL_SM_SN_EUlS10_E1_NS1_11comp_targetILNS1_3genE5ELNS1_11target_archE942ELNS1_3gpuE9ELNS1_3repE0EEENS1_36merge_oddeven_config_static_selectorELNS0_4arch9wavefront6targetE1EEEvSM_
    .private_segment_fixed_size: 0
    .sgpr_count:     50
    .sgpr_spill_count: 0
    .symbol:         _ZN7rocprim17ROCPRIM_400000_NS6detail17trampoline_kernelINS0_14default_configENS1_38merge_sort_block_merge_config_selectorIlNS0_10empty_typeEEEZZNS1_27merge_sort_block_merge_implIS3_PlPS5_mZN2at6native12_GLOBAL__N_124unique_dim_cuda_templateIaEESt5tupleIJNSA_6TensorESF_SF_EERKSF_lbbbEUlllE_EE10hipError_tT0_T1_T2_jT3_P12ihipStream_tbPNSt15iterator_traitsISL_E10value_typeEPNSR_ISM_E10value_typeEPSN_NS1_7vsmem_tEENKUlT_SL_SM_SN_E_clIS8_S8_S9_S9_EESK_S10_SL_SM_SN_EUlS10_E1_NS1_11comp_targetILNS1_3genE5ELNS1_11target_archE942ELNS1_3gpuE9ELNS1_3repE0EEENS1_36merge_oddeven_config_static_selectorELNS0_4arch9wavefront6targetE1EEEvSM_.kd
    .uniform_work_group_size: 1
    .uses_dynamic_stack: false
    .vgpr_count:     19
    .vgpr_spill_count: 0
    .wavefront_size: 64
  - .agpr_count:     0
    .args:
      - .offset:         0
        .size:           64
        .value_kind:     by_value
    .group_segment_fixed_size: 0
    .kernarg_segment_align: 8
    .kernarg_segment_size: 64
    .language:       OpenCL C
    .language_version:
      - 2
      - 0
    .max_flat_workgroup_size: 256
    .name:           _ZN7rocprim17ROCPRIM_400000_NS6detail17trampoline_kernelINS0_14default_configENS1_38merge_sort_block_merge_config_selectorIlNS0_10empty_typeEEEZZNS1_27merge_sort_block_merge_implIS3_PlPS5_mZN2at6native12_GLOBAL__N_124unique_dim_cuda_templateIaEESt5tupleIJNSA_6TensorESF_SF_EERKSF_lbbbEUlllE_EE10hipError_tT0_T1_T2_jT3_P12ihipStream_tbPNSt15iterator_traitsISL_E10value_typeEPNSR_ISM_E10value_typeEPSN_NS1_7vsmem_tEENKUlT_SL_SM_SN_E_clIS8_S8_S9_S9_EESK_S10_SL_SM_SN_EUlS10_E1_NS1_11comp_targetILNS1_3genE4ELNS1_11target_archE910ELNS1_3gpuE8ELNS1_3repE0EEENS1_36merge_oddeven_config_static_selectorELNS0_4arch9wavefront6targetE1EEEvSM_
    .private_segment_fixed_size: 0
    .sgpr_count:     6
    .sgpr_spill_count: 0
    .symbol:         _ZN7rocprim17ROCPRIM_400000_NS6detail17trampoline_kernelINS0_14default_configENS1_38merge_sort_block_merge_config_selectorIlNS0_10empty_typeEEEZZNS1_27merge_sort_block_merge_implIS3_PlPS5_mZN2at6native12_GLOBAL__N_124unique_dim_cuda_templateIaEESt5tupleIJNSA_6TensorESF_SF_EERKSF_lbbbEUlllE_EE10hipError_tT0_T1_T2_jT3_P12ihipStream_tbPNSt15iterator_traitsISL_E10value_typeEPNSR_ISM_E10value_typeEPSN_NS1_7vsmem_tEENKUlT_SL_SM_SN_E_clIS8_S8_S9_S9_EESK_S10_SL_SM_SN_EUlS10_E1_NS1_11comp_targetILNS1_3genE4ELNS1_11target_archE910ELNS1_3gpuE8ELNS1_3repE0EEENS1_36merge_oddeven_config_static_selectorELNS0_4arch9wavefront6targetE1EEEvSM_.kd
    .uniform_work_group_size: 1
    .uses_dynamic_stack: false
    .vgpr_count:     0
    .vgpr_spill_count: 0
    .wavefront_size: 64
  - .agpr_count:     0
    .args:
      - .offset:         0
        .size:           64
        .value_kind:     by_value
    .group_segment_fixed_size: 0
    .kernarg_segment_align: 8
    .kernarg_segment_size: 64
    .language:       OpenCL C
    .language_version:
      - 2
      - 0
    .max_flat_workgroup_size: 256
    .name:           _ZN7rocprim17ROCPRIM_400000_NS6detail17trampoline_kernelINS0_14default_configENS1_38merge_sort_block_merge_config_selectorIlNS0_10empty_typeEEEZZNS1_27merge_sort_block_merge_implIS3_PlPS5_mZN2at6native12_GLOBAL__N_124unique_dim_cuda_templateIaEESt5tupleIJNSA_6TensorESF_SF_EERKSF_lbbbEUlllE_EE10hipError_tT0_T1_T2_jT3_P12ihipStream_tbPNSt15iterator_traitsISL_E10value_typeEPNSR_ISM_E10value_typeEPSN_NS1_7vsmem_tEENKUlT_SL_SM_SN_E_clIS8_S8_S9_S9_EESK_S10_SL_SM_SN_EUlS10_E1_NS1_11comp_targetILNS1_3genE3ELNS1_11target_archE908ELNS1_3gpuE7ELNS1_3repE0EEENS1_36merge_oddeven_config_static_selectorELNS0_4arch9wavefront6targetE1EEEvSM_
    .private_segment_fixed_size: 0
    .sgpr_count:     6
    .sgpr_spill_count: 0
    .symbol:         _ZN7rocprim17ROCPRIM_400000_NS6detail17trampoline_kernelINS0_14default_configENS1_38merge_sort_block_merge_config_selectorIlNS0_10empty_typeEEEZZNS1_27merge_sort_block_merge_implIS3_PlPS5_mZN2at6native12_GLOBAL__N_124unique_dim_cuda_templateIaEESt5tupleIJNSA_6TensorESF_SF_EERKSF_lbbbEUlllE_EE10hipError_tT0_T1_T2_jT3_P12ihipStream_tbPNSt15iterator_traitsISL_E10value_typeEPNSR_ISM_E10value_typeEPSN_NS1_7vsmem_tEENKUlT_SL_SM_SN_E_clIS8_S8_S9_S9_EESK_S10_SL_SM_SN_EUlS10_E1_NS1_11comp_targetILNS1_3genE3ELNS1_11target_archE908ELNS1_3gpuE7ELNS1_3repE0EEENS1_36merge_oddeven_config_static_selectorELNS0_4arch9wavefront6targetE1EEEvSM_.kd
    .uniform_work_group_size: 1
    .uses_dynamic_stack: false
    .vgpr_count:     0
    .vgpr_spill_count: 0
    .wavefront_size: 64
  - .agpr_count:     0
    .args:
      - .offset:         0
        .size:           64
        .value_kind:     by_value
    .group_segment_fixed_size: 0
    .kernarg_segment_align: 8
    .kernarg_segment_size: 64
    .language:       OpenCL C
    .language_version:
      - 2
      - 0
    .max_flat_workgroup_size: 256
    .name:           _ZN7rocprim17ROCPRIM_400000_NS6detail17trampoline_kernelINS0_14default_configENS1_38merge_sort_block_merge_config_selectorIlNS0_10empty_typeEEEZZNS1_27merge_sort_block_merge_implIS3_PlPS5_mZN2at6native12_GLOBAL__N_124unique_dim_cuda_templateIaEESt5tupleIJNSA_6TensorESF_SF_EERKSF_lbbbEUlllE_EE10hipError_tT0_T1_T2_jT3_P12ihipStream_tbPNSt15iterator_traitsISL_E10value_typeEPNSR_ISM_E10value_typeEPSN_NS1_7vsmem_tEENKUlT_SL_SM_SN_E_clIS8_S8_S9_S9_EESK_S10_SL_SM_SN_EUlS10_E1_NS1_11comp_targetILNS1_3genE2ELNS1_11target_archE906ELNS1_3gpuE6ELNS1_3repE0EEENS1_36merge_oddeven_config_static_selectorELNS0_4arch9wavefront6targetE1EEEvSM_
    .private_segment_fixed_size: 0
    .sgpr_count:     6
    .sgpr_spill_count: 0
    .symbol:         _ZN7rocprim17ROCPRIM_400000_NS6detail17trampoline_kernelINS0_14default_configENS1_38merge_sort_block_merge_config_selectorIlNS0_10empty_typeEEEZZNS1_27merge_sort_block_merge_implIS3_PlPS5_mZN2at6native12_GLOBAL__N_124unique_dim_cuda_templateIaEESt5tupleIJNSA_6TensorESF_SF_EERKSF_lbbbEUlllE_EE10hipError_tT0_T1_T2_jT3_P12ihipStream_tbPNSt15iterator_traitsISL_E10value_typeEPNSR_ISM_E10value_typeEPSN_NS1_7vsmem_tEENKUlT_SL_SM_SN_E_clIS8_S8_S9_S9_EESK_S10_SL_SM_SN_EUlS10_E1_NS1_11comp_targetILNS1_3genE2ELNS1_11target_archE906ELNS1_3gpuE6ELNS1_3repE0EEENS1_36merge_oddeven_config_static_selectorELNS0_4arch9wavefront6targetE1EEEvSM_.kd
    .uniform_work_group_size: 1
    .uses_dynamic_stack: false
    .vgpr_count:     0
    .vgpr_spill_count: 0
    .wavefront_size: 64
  - .agpr_count:     0
    .args:
      - .offset:         0
        .size:           64
        .value_kind:     by_value
    .group_segment_fixed_size: 0
    .kernarg_segment_align: 8
    .kernarg_segment_size: 64
    .language:       OpenCL C
    .language_version:
      - 2
      - 0
    .max_flat_workgroup_size: 256
    .name:           _ZN7rocprim17ROCPRIM_400000_NS6detail17trampoline_kernelINS0_14default_configENS1_38merge_sort_block_merge_config_selectorIlNS0_10empty_typeEEEZZNS1_27merge_sort_block_merge_implIS3_PlPS5_mZN2at6native12_GLOBAL__N_124unique_dim_cuda_templateIaEESt5tupleIJNSA_6TensorESF_SF_EERKSF_lbbbEUlllE_EE10hipError_tT0_T1_T2_jT3_P12ihipStream_tbPNSt15iterator_traitsISL_E10value_typeEPNSR_ISM_E10value_typeEPSN_NS1_7vsmem_tEENKUlT_SL_SM_SN_E_clIS8_S8_S9_S9_EESK_S10_SL_SM_SN_EUlS10_E1_NS1_11comp_targetILNS1_3genE9ELNS1_11target_archE1100ELNS1_3gpuE3ELNS1_3repE0EEENS1_36merge_oddeven_config_static_selectorELNS0_4arch9wavefront6targetE1EEEvSM_
    .private_segment_fixed_size: 0
    .sgpr_count:     6
    .sgpr_spill_count: 0
    .symbol:         _ZN7rocprim17ROCPRIM_400000_NS6detail17trampoline_kernelINS0_14default_configENS1_38merge_sort_block_merge_config_selectorIlNS0_10empty_typeEEEZZNS1_27merge_sort_block_merge_implIS3_PlPS5_mZN2at6native12_GLOBAL__N_124unique_dim_cuda_templateIaEESt5tupleIJNSA_6TensorESF_SF_EERKSF_lbbbEUlllE_EE10hipError_tT0_T1_T2_jT3_P12ihipStream_tbPNSt15iterator_traitsISL_E10value_typeEPNSR_ISM_E10value_typeEPSN_NS1_7vsmem_tEENKUlT_SL_SM_SN_E_clIS8_S8_S9_S9_EESK_S10_SL_SM_SN_EUlS10_E1_NS1_11comp_targetILNS1_3genE9ELNS1_11target_archE1100ELNS1_3gpuE3ELNS1_3repE0EEENS1_36merge_oddeven_config_static_selectorELNS0_4arch9wavefront6targetE1EEEvSM_.kd
    .uniform_work_group_size: 1
    .uses_dynamic_stack: false
    .vgpr_count:     0
    .vgpr_spill_count: 0
    .wavefront_size: 64
  - .agpr_count:     0
    .args:
      - .offset:         0
        .size:           64
        .value_kind:     by_value
    .group_segment_fixed_size: 0
    .kernarg_segment_align: 8
    .kernarg_segment_size: 64
    .language:       OpenCL C
    .language_version:
      - 2
      - 0
    .max_flat_workgroup_size: 256
    .name:           _ZN7rocprim17ROCPRIM_400000_NS6detail17trampoline_kernelINS0_14default_configENS1_38merge_sort_block_merge_config_selectorIlNS0_10empty_typeEEEZZNS1_27merge_sort_block_merge_implIS3_PlPS5_mZN2at6native12_GLOBAL__N_124unique_dim_cuda_templateIaEESt5tupleIJNSA_6TensorESF_SF_EERKSF_lbbbEUlllE_EE10hipError_tT0_T1_T2_jT3_P12ihipStream_tbPNSt15iterator_traitsISL_E10value_typeEPNSR_ISM_E10value_typeEPSN_NS1_7vsmem_tEENKUlT_SL_SM_SN_E_clIS8_S8_S9_S9_EESK_S10_SL_SM_SN_EUlS10_E1_NS1_11comp_targetILNS1_3genE8ELNS1_11target_archE1030ELNS1_3gpuE2ELNS1_3repE0EEENS1_36merge_oddeven_config_static_selectorELNS0_4arch9wavefront6targetE1EEEvSM_
    .private_segment_fixed_size: 0
    .sgpr_count:     6
    .sgpr_spill_count: 0
    .symbol:         _ZN7rocprim17ROCPRIM_400000_NS6detail17trampoline_kernelINS0_14default_configENS1_38merge_sort_block_merge_config_selectorIlNS0_10empty_typeEEEZZNS1_27merge_sort_block_merge_implIS3_PlPS5_mZN2at6native12_GLOBAL__N_124unique_dim_cuda_templateIaEESt5tupleIJNSA_6TensorESF_SF_EERKSF_lbbbEUlllE_EE10hipError_tT0_T1_T2_jT3_P12ihipStream_tbPNSt15iterator_traitsISL_E10value_typeEPNSR_ISM_E10value_typeEPSN_NS1_7vsmem_tEENKUlT_SL_SM_SN_E_clIS8_S8_S9_S9_EESK_S10_SL_SM_SN_EUlS10_E1_NS1_11comp_targetILNS1_3genE8ELNS1_11target_archE1030ELNS1_3gpuE2ELNS1_3repE0EEENS1_36merge_oddeven_config_static_selectorELNS0_4arch9wavefront6targetE1EEEvSM_.kd
    .uniform_work_group_size: 1
    .uses_dynamic_stack: false
    .vgpr_count:     0
    .vgpr_spill_count: 0
    .wavefront_size: 64
  - .agpr_count:     0
    .args:
      - .offset:         0
        .size:           64
        .value_kind:     by_value
    .group_segment_fixed_size: 0
    .kernarg_segment_align: 8
    .kernarg_segment_size: 64
    .language:       OpenCL C
    .language_version:
      - 2
      - 0
    .max_flat_workgroup_size: 128
    .name:           _ZN7rocprim17ROCPRIM_400000_NS6detail17trampoline_kernelINS0_14default_configENS1_35adjacent_difference_config_selectorILb0ElEEZNS1_24adjacent_difference_implIS3_Lb0ELb0EPlS7_ZN2at6native12_GLOBAL__N_124unique_dim_cuda_templateIaEESt5tupleIJNS8_6TensorESD_SD_EERKSD_lbbbEUlllE1_EE10hipError_tPvRmT2_T3_mT4_P12ihipStream_tbEUlT_E_NS1_11comp_targetILNS1_3genE0ELNS1_11target_archE4294967295ELNS1_3gpuE0ELNS1_3repE0EEENS1_30default_config_static_selectorELNS0_4arch9wavefront6targetE1EEEvT1_
    .private_segment_fixed_size: 0
    .sgpr_count:     6
    .sgpr_spill_count: 0
    .symbol:         _ZN7rocprim17ROCPRIM_400000_NS6detail17trampoline_kernelINS0_14default_configENS1_35adjacent_difference_config_selectorILb0ElEEZNS1_24adjacent_difference_implIS3_Lb0ELb0EPlS7_ZN2at6native12_GLOBAL__N_124unique_dim_cuda_templateIaEESt5tupleIJNS8_6TensorESD_SD_EERKSD_lbbbEUlllE1_EE10hipError_tPvRmT2_T3_mT4_P12ihipStream_tbEUlT_E_NS1_11comp_targetILNS1_3genE0ELNS1_11target_archE4294967295ELNS1_3gpuE0ELNS1_3repE0EEENS1_30default_config_static_selectorELNS0_4arch9wavefront6targetE1EEEvT1_.kd
    .uniform_work_group_size: 1
    .uses_dynamic_stack: false
    .vgpr_count:     0
    .vgpr_spill_count: 0
    .wavefront_size: 64
  - .agpr_count:     0
    .args:
      - .offset:         0
        .size:           64
        .value_kind:     by_value
    .group_segment_fixed_size: 0
    .kernarg_segment_align: 8
    .kernarg_segment_size: 64
    .language:       OpenCL C
    .language_version:
      - 2
      - 0
    .max_flat_workgroup_size: 128
    .name:           _ZN7rocprim17ROCPRIM_400000_NS6detail17trampoline_kernelINS0_14default_configENS1_35adjacent_difference_config_selectorILb0ElEEZNS1_24adjacent_difference_implIS3_Lb0ELb0EPlS7_ZN2at6native12_GLOBAL__N_124unique_dim_cuda_templateIaEESt5tupleIJNS8_6TensorESD_SD_EERKSD_lbbbEUlllE1_EE10hipError_tPvRmT2_T3_mT4_P12ihipStream_tbEUlT_E_NS1_11comp_targetILNS1_3genE10ELNS1_11target_archE1201ELNS1_3gpuE5ELNS1_3repE0EEENS1_30default_config_static_selectorELNS0_4arch9wavefront6targetE1EEEvT1_
    .private_segment_fixed_size: 0
    .sgpr_count:     6
    .sgpr_spill_count: 0
    .symbol:         _ZN7rocprim17ROCPRIM_400000_NS6detail17trampoline_kernelINS0_14default_configENS1_35adjacent_difference_config_selectorILb0ElEEZNS1_24adjacent_difference_implIS3_Lb0ELb0EPlS7_ZN2at6native12_GLOBAL__N_124unique_dim_cuda_templateIaEESt5tupleIJNS8_6TensorESD_SD_EERKSD_lbbbEUlllE1_EE10hipError_tPvRmT2_T3_mT4_P12ihipStream_tbEUlT_E_NS1_11comp_targetILNS1_3genE10ELNS1_11target_archE1201ELNS1_3gpuE5ELNS1_3repE0EEENS1_30default_config_static_selectorELNS0_4arch9wavefront6targetE1EEEvT1_.kd
    .uniform_work_group_size: 1
    .uses_dynamic_stack: false
    .vgpr_count:     0
    .vgpr_spill_count: 0
    .wavefront_size: 64
  - .agpr_count:     0
    .args:
      - .offset:         0
        .size:           64
        .value_kind:     by_value
    .group_segment_fixed_size: 6656
    .kernarg_segment_align: 8
    .kernarg_segment_size: 64
    .language:       OpenCL C
    .language_version:
      - 2
      - 0
    .max_flat_workgroup_size: 64
    .name:           _ZN7rocprim17ROCPRIM_400000_NS6detail17trampoline_kernelINS0_14default_configENS1_35adjacent_difference_config_selectorILb0ElEEZNS1_24adjacent_difference_implIS3_Lb0ELb0EPlS7_ZN2at6native12_GLOBAL__N_124unique_dim_cuda_templateIaEESt5tupleIJNS8_6TensorESD_SD_EERKSD_lbbbEUlllE1_EE10hipError_tPvRmT2_T3_mT4_P12ihipStream_tbEUlT_E_NS1_11comp_targetILNS1_3genE5ELNS1_11target_archE942ELNS1_3gpuE9ELNS1_3repE0EEENS1_30default_config_static_selectorELNS0_4arch9wavefront6targetE1EEEvT1_
    .private_segment_fixed_size: 0
    .sgpr_count:     44
    .sgpr_spill_count: 0
    .symbol:         _ZN7rocprim17ROCPRIM_400000_NS6detail17trampoline_kernelINS0_14default_configENS1_35adjacent_difference_config_selectorILb0ElEEZNS1_24adjacent_difference_implIS3_Lb0ELb0EPlS7_ZN2at6native12_GLOBAL__N_124unique_dim_cuda_templateIaEESt5tupleIJNS8_6TensorESD_SD_EERKSD_lbbbEUlllE1_EE10hipError_tPvRmT2_T3_mT4_P12ihipStream_tbEUlT_E_NS1_11comp_targetILNS1_3genE5ELNS1_11target_archE942ELNS1_3gpuE9ELNS1_3repE0EEENS1_30default_config_static_selectorELNS0_4arch9wavefront6targetE1EEEvT1_.kd
    .uniform_work_group_size: 1
    .uses_dynamic_stack: false
    .vgpr_count:     84
    .vgpr_spill_count: 0
    .wavefront_size: 64
  - .agpr_count:     0
    .args:
      - .offset:         0
        .size:           64
        .value_kind:     by_value
    .group_segment_fixed_size: 0
    .kernarg_segment_align: 8
    .kernarg_segment_size: 64
    .language:       OpenCL C
    .language_version:
      - 2
      - 0
    .max_flat_workgroup_size: 256
    .name:           _ZN7rocprim17ROCPRIM_400000_NS6detail17trampoline_kernelINS0_14default_configENS1_35adjacent_difference_config_selectorILb0ElEEZNS1_24adjacent_difference_implIS3_Lb0ELb0EPlS7_ZN2at6native12_GLOBAL__N_124unique_dim_cuda_templateIaEESt5tupleIJNS8_6TensorESD_SD_EERKSD_lbbbEUlllE1_EE10hipError_tPvRmT2_T3_mT4_P12ihipStream_tbEUlT_E_NS1_11comp_targetILNS1_3genE4ELNS1_11target_archE910ELNS1_3gpuE8ELNS1_3repE0EEENS1_30default_config_static_selectorELNS0_4arch9wavefront6targetE1EEEvT1_
    .private_segment_fixed_size: 0
    .sgpr_count:     6
    .sgpr_spill_count: 0
    .symbol:         _ZN7rocprim17ROCPRIM_400000_NS6detail17trampoline_kernelINS0_14default_configENS1_35adjacent_difference_config_selectorILb0ElEEZNS1_24adjacent_difference_implIS3_Lb0ELb0EPlS7_ZN2at6native12_GLOBAL__N_124unique_dim_cuda_templateIaEESt5tupleIJNS8_6TensorESD_SD_EERKSD_lbbbEUlllE1_EE10hipError_tPvRmT2_T3_mT4_P12ihipStream_tbEUlT_E_NS1_11comp_targetILNS1_3genE4ELNS1_11target_archE910ELNS1_3gpuE8ELNS1_3repE0EEENS1_30default_config_static_selectorELNS0_4arch9wavefront6targetE1EEEvT1_.kd
    .uniform_work_group_size: 1
    .uses_dynamic_stack: false
    .vgpr_count:     0
    .vgpr_spill_count: 0
    .wavefront_size: 64
  - .agpr_count:     0
    .args:
      - .offset:         0
        .size:           64
        .value_kind:     by_value
    .group_segment_fixed_size: 0
    .kernarg_segment_align: 8
    .kernarg_segment_size: 64
    .language:       OpenCL C
    .language_version:
      - 2
      - 0
    .max_flat_workgroup_size: 128
    .name:           _ZN7rocprim17ROCPRIM_400000_NS6detail17trampoline_kernelINS0_14default_configENS1_35adjacent_difference_config_selectorILb0ElEEZNS1_24adjacent_difference_implIS3_Lb0ELb0EPlS7_ZN2at6native12_GLOBAL__N_124unique_dim_cuda_templateIaEESt5tupleIJNS8_6TensorESD_SD_EERKSD_lbbbEUlllE1_EE10hipError_tPvRmT2_T3_mT4_P12ihipStream_tbEUlT_E_NS1_11comp_targetILNS1_3genE3ELNS1_11target_archE908ELNS1_3gpuE7ELNS1_3repE0EEENS1_30default_config_static_selectorELNS0_4arch9wavefront6targetE1EEEvT1_
    .private_segment_fixed_size: 0
    .sgpr_count:     6
    .sgpr_spill_count: 0
    .symbol:         _ZN7rocprim17ROCPRIM_400000_NS6detail17trampoline_kernelINS0_14default_configENS1_35adjacent_difference_config_selectorILb0ElEEZNS1_24adjacent_difference_implIS3_Lb0ELb0EPlS7_ZN2at6native12_GLOBAL__N_124unique_dim_cuda_templateIaEESt5tupleIJNS8_6TensorESD_SD_EERKSD_lbbbEUlllE1_EE10hipError_tPvRmT2_T3_mT4_P12ihipStream_tbEUlT_E_NS1_11comp_targetILNS1_3genE3ELNS1_11target_archE908ELNS1_3gpuE7ELNS1_3repE0EEENS1_30default_config_static_selectorELNS0_4arch9wavefront6targetE1EEEvT1_.kd
    .uniform_work_group_size: 1
    .uses_dynamic_stack: false
    .vgpr_count:     0
    .vgpr_spill_count: 0
    .wavefront_size: 64
  - .agpr_count:     0
    .args:
      - .offset:         0
        .size:           64
        .value_kind:     by_value
    .group_segment_fixed_size: 0
    .kernarg_segment_align: 8
    .kernarg_segment_size: 64
    .language:       OpenCL C
    .language_version:
      - 2
      - 0
    .max_flat_workgroup_size: 128
    .name:           _ZN7rocprim17ROCPRIM_400000_NS6detail17trampoline_kernelINS0_14default_configENS1_35adjacent_difference_config_selectorILb0ElEEZNS1_24adjacent_difference_implIS3_Lb0ELb0EPlS7_ZN2at6native12_GLOBAL__N_124unique_dim_cuda_templateIaEESt5tupleIJNS8_6TensorESD_SD_EERKSD_lbbbEUlllE1_EE10hipError_tPvRmT2_T3_mT4_P12ihipStream_tbEUlT_E_NS1_11comp_targetILNS1_3genE2ELNS1_11target_archE906ELNS1_3gpuE6ELNS1_3repE0EEENS1_30default_config_static_selectorELNS0_4arch9wavefront6targetE1EEEvT1_
    .private_segment_fixed_size: 0
    .sgpr_count:     6
    .sgpr_spill_count: 0
    .symbol:         _ZN7rocprim17ROCPRIM_400000_NS6detail17trampoline_kernelINS0_14default_configENS1_35adjacent_difference_config_selectorILb0ElEEZNS1_24adjacent_difference_implIS3_Lb0ELb0EPlS7_ZN2at6native12_GLOBAL__N_124unique_dim_cuda_templateIaEESt5tupleIJNS8_6TensorESD_SD_EERKSD_lbbbEUlllE1_EE10hipError_tPvRmT2_T3_mT4_P12ihipStream_tbEUlT_E_NS1_11comp_targetILNS1_3genE2ELNS1_11target_archE906ELNS1_3gpuE6ELNS1_3repE0EEENS1_30default_config_static_selectorELNS0_4arch9wavefront6targetE1EEEvT1_.kd
    .uniform_work_group_size: 1
    .uses_dynamic_stack: false
    .vgpr_count:     0
    .vgpr_spill_count: 0
    .wavefront_size: 64
  - .agpr_count:     0
    .args:
      - .offset:         0
        .size:           64
        .value_kind:     by_value
    .group_segment_fixed_size: 0
    .kernarg_segment_align: 8
    .kernarg_segment_size: 64
    .language:       OpenCL C
    .language_version:
      - 2
      - 0
    .max_flat_workgroup_size: 512
    .name:           _ZN7rocprim17ROCPRIM_400000_NS6detail17trampoline_kernelINS0_14default_configENS1_35adjacent_difference_config_selectorILb0ElEEZNS1_24adjacent_difference_implIS3_Lb0ELb0EPlS7_ZN2at6native12_GLOBAL__N_124unique_dim_cuda_templateIaEESt5tupleIJNS8_6TensorESD_SD_EERKSD_lbbbEUlllE1_EE10hipError_tPvRmT2_T3_mT4_P12ihipStream_tbEUlT_E_NS1_11comp_targetILNS1_3genE9ELNS1_11target_archE1100ELNS1_3gpuE3ELNS1_3repE0EEENS1_30default_config_static_selectorELNS0_4arch9wavefront6targetE1EEEvT1_
    .private_segment_fixed_size: 0
    .sgpr_count:     6
    .sgpr_spill_count: 0
    .symbol:         _ZN7rocprim17ROCPRIM_400000_NS6detail17trampoline_kernelINS0_14default_configENS1_35adjacent_difference_config_selectorILb0ElEEZNS1_24adjacent_difference_implIS3_Lb0ELb0EPlS7_ZN2at6native12_GLOBAL__N_124unique_dim_cuda_templateIaEESt5tupleIJNS8_6TensorESD_SD_EERKSD_lbbbEUlllE1_EE10hipError_tPvRmT2_T3_mT4_P12ihipStream_tbEUlT_E_NS1_11comp_targetILNS1_3genE9ELNS1_11target_archE1100ELNS1_3gpuE3ELNS1_3repE0EEENS1_30default_config_static_selectorELNS0_4arch9wavefront6targetE1EEEvT1_.kd
    .uniform_work_group_size: 1
    .uses_dynamic_stack: false
    .vgpr_count:     0
    .vgpr_spill_count: 0
    .wavefront_size: 64
  - .agpr_count:     0
    .args:
      - .offset:         0
        .size:           64
        .value_kind:     by_value
    .group_segment_fixed_size: 0
    .kernarg_segment_align: 8
    .kernarg_segment_size: 64
    .language:       OpenCL C
    .language_version:
      - 2
      - 0
    .max_flat_workgroup_size: 1024
    .name:           _ZN7rocprim17ROCPRIM_400000_NS6detail17trampoline_kernelINS0_14default_configENS1_35adjacent_difference_config_selectorILb0ElEEZNS1_24adjacent_difference_implIS3_Lb0ELb0EPlS7_ZN2at6native12_GLOBAL__N_124unique_dim_cuda_templateIaEESt5tupleIJNS8_6TensorESD_SD_EERKSD_lbbbEUlllE1_EE10hipError_tPvRmT2_T3_mT4_P12ihipStream_tbEUlT_E_NS1_11comp_targetILNS1_3genE8ELNS1_11target_archE1030ELNS1_3gpuE2ELNS1_3repE0EEENS1_30default_config_static_selectorELNS0_4arch9wavefront6targetE1EEEvT1_
    .private_segment_fixed_size: 0
    .sgpr_count:     6
    .sgpr_spill_count: 0
    .symbol:         _ZN7rocprim17ROCPRIM_400000_NS6detail17trampoline_kernelINS0_14default_configENS1_35adjacent_difference_config_selectorILb0ElEEZNS1_24adjacent_difference_implIS3_Lb0ELb0EPlS7_ZN2at6native12_GLOBAL__N_124unique_dim_cuda_templateIaEESt5tupleIJNS8_6TensorESD_SD_EERKSD_lbbbEUlllE1_EE10hipError_tPvRmT2_T3_mT4_P12ihipStream_tbEUlT_E_NS1_11comp_targetILNS1_3genE8ELNS1_11target_archE1030ELNS1_3gpuE2ELNS1_3repE0EEENS1_30default_config_static_selectorELNS0_4arch9wavefront6targetE1EEEvT1_.kd
    .uniform_work_group_size: 1
    .uses_dynamic_stack: false
    .vgpr_count:     0
    .vgpr_spill_count: 0
    .wavefront_size: 64
  - .agpr_count:     0
    .args:
      - .offset:         0
        .size:           56
        .value_kind:     by_value
    .group_segment_fixed_size: 0
    .kernarg_segment_align: 8
    .kernarg_segment_size: 56
    .language:       OpenCL C
    .language_version:
      - 2
      - 0
    .max_flat_workgroup_size: 128
    .name:           _ZN7rocprim17ROCPRIM_400000_NS6detail17trampoline_kernelINS0_14default_configENS1_25transform_config_selectorIlLb0EEEZNS1_14transform_implILb0ES3_S5_NS0_18transform_iteratorINS0_17counting_iteratorImlEEZNS1_24adjacent_difference_implIS3_Lb1ELb0EPlSB_ZN2at6native12_GLOBAL__N_124unique_dim_cuda_templateIaEESt5tupleIJNSC_6TensorESH_SH_EERKSH_lbbbEUlllE1_EE10hipError_tPvRmT2_T3_mT4_P12ihipStream_tbEUlmE_lEESB_NS0_8identityIvEEEESM_SP_SQ_mSR_ST_bEUlT_E_NS1_11comp_targetILNS1_3genE0ELNS1_11target_archE4294967295ELNS1_3gpuE0ELNS1_3repE0EEENS1_30default_config_static_selectorELNS0_4arch9wavefront6targetE1EEEvT1_
    .private_segment_fixed_size: 0
    .sgpr_count:     6
    .sgpr_spill_count: 0
    .symbol:         _ZN7rocprim17ROCPRIM_400000_NS6detail17trampoline_kernelINS0_14default_configENS1_25transform_config_selectorIlLb0EEEZNS1_14transform_implILb0ES3_S5_NS0_18transform_iteratorINS0_17counting_iteratorImlEEZNS1_24adjacent_difference_implIS3_Lb1ELb0EPlSB_ZN2at6native12_GLOBAL__N_124unique_dim_cuda_templateIaEESt5tupleIJNSC_6TensorESH_SH_EERKSH_lbbbEUlllE1_EE10hipError_tPvRmT2_T3_mT4_P12ihipStream_tbEUlmE_lEESB_NS0_8identityIvEEEESM_SP_SQ_mSR_ST_bEUlT_E_NS1_11comp_targetILNS1_3genE0ELNS1_11target_archE4294967295ELNS1_3gpuE0ELNS1_3repE0EEENS1_30default_config_static_selectorELNS0_4arch9wavefront6targetE1EEEvT1_.kd
    .uniform_work_group_size: 1
    .uses_dynamic_stack: false
    .vgpr_count:     0
    .vgpr_spill_count: 0
    .wavefront_size: 64
  - .agpr_count:     0
    .args:
      - .offset:         0
        .size:           56
        .value_kind:     by_value
      - .offset:         56
        .size:           4
        .value_kind:     hidden_block_count_x
      - .offset:         60
        .size:           4
        .value_kind:     hidden_block_count_y
      - .offset:         64
        .size:           4
        .value_kind:     hidden_block_count_z
      - .offset:         68
        .size:           2
        .value_kind:     hidden_group_size_x
      - .offset:         70
        .size:           2
        .value_kind:     hidden_group_size_y
      - .offset:         72
        .size:           2
        .value_kind:     hidden_group_size_z
      - .offset:         74
        .size:           2
        .value_kind:     hidden_remainder_x
      - .offset:         76
        .size:           2
        .value_kind:     hidden_remainder_y
      - .offset:         78
        .size:           2
        .value_kind:     hidden_remainder_z
      - .offset:         96
        .size:           8
        .value_kind:     hidden_global_offset_x
      - .offset:         104
        .size:           8
        .value_kind:     hidden_global_offset_y
      - .offset:         112
        .size:           8
        .value_kind:     hidden_global_offset_z
      - .offset:         120
        .size:           2
        .value_kind:     hidden_grid_dims
    .group_segment_fixed_size: 0
    .kernarg_segment_align: 8
    .kernarg_segment_size: 312
    .language:       OpenCL C
    .language_version:
      - 2
      - 0
    .max_flat_workgroup_size: 512
    .name:           _ZN7rocprim17ROCPRIM_400000_NS6detail17trampoline_kernelINS0_14default_configENS1_25transform_config_selectorIlLb0EEEZNS1_14transform_implILb0ES3_S5_NS0_18transform_iteratorINS0_17counting_iteratorImlEEZNS1_24adjacent_difference_implIS3_Lb1ELb0EPlSB_ZN2at6native12_GLOBAL__N_124unique_dim_cuda_templateIaEESt5tupleIJNSC_6TensorESH_SH_EERKSH_lbbbEUlllE1_EE10hipError_tPvRmT2_T3_mT4_P12ihipStream_tbEUlmE_lEESB_NS0_8identityIvEEEESM_SP_SQ_mSR_ST_bEUlT_E_NS1_11comp_targetILNS1_3genE5ELNS1_11target_archE942ELNS1_3gpuE9ELNS1_3repE0EEENS1_30default_config_static_selectorELNS0_4arch9wavefront6targetE1EEEvT1_
    .private_segment_fixed_size: 0
    .sgpr_count:     26
    .sgpr_spill_count: 0
    .symbol:         _ZN7rocprim17ROCPRIM_400000_NS6detail17trampoline_kernelINS0_14default_configENS1_25transform_config_selectorIlLb0EEEZNS1_14transform_implILb0ES3_S5_NS0_18transform_iteratorINS0_17counting_iteratorImlEEZNS1_24adjacent_difference_implIS3_Lb1ELb0EPlSB_ZN2at6native12_GLOBAL__N_124unique_dim_cuda_templateIaEESt5tupleIJNSC_6TensorESH_SH_EERKSH_lbbbEUlllE1_EE10hipError_tPvRmT2_T3_mT4_P12ihipStream_tbEUlmE_lEESB_NS0_8identityIvEEEESM_SP_SQ_mSR_ST_bEUlT_E_NS1_11comp_targetILNS1_3genE5ELNS1_11target_archE942ELNS1_3gpuE9ELNS1_3repE0EEENS1_30default_config_static_selectorELNS0_4arch9wavefront6targetE1EEEvT1_.kd
    .uniform_work_group_size: 1
    .uses_dynamic_stack: false
    .vgpr_count:     12
    .vgpr_spill_count: 0
    .wavefront_size: 64
  - .agpr_count:     0
    .args:
      - .offset:         0
        .size:           56
        .value_kind:     by_value
    .group_segment_fixed_size: 0
    .kernarg_segment_align: 8
    .kernarg_segment_size: 56
    .language:       OpenCL C
    .language_version:
      - 2
      - 0
    .max_flat_workgroup_size: 256
    .name:           _ZN7rocprim17ROCPRIM_400000_NS6detail17trampoline_kernelINS0_14default_configENS1_25transform_config_selectorIlLb0EEEZNS1_14transform_implILb0ES3_S5_NS0_18transform_iteratorINS0_17counting_iteratorImlEEZNS1_24adjacent_difference_implIS3_Lb1ELb0EPlSB_ZN2at6native12_GLOBAL__N_124unique_dim_cuda_templateIaEESt5tupleIJNSC_6TensorESH_SH_EERKSH_lbbbEUlllE1_EE10hipError_tPvRmT2_T3_mT4_P12ihipStream_tbEUlmE_lEESB_NS0_8identityIvEEEESM_SP_SQ_mSR_ST_bEUlT_E_NS1_11comp_targetILNS1_3genE4ELNS1_11target_archE910ELNS1_3gpuE8ELNS1_3repE0EEENS1_30default_config_static_selectorELNS0_4arch9wavefront6targetE1EEEvT1_
    .private_segment_fixed_size: 0
    .sgpr_count:     6
    .sgpr_spill_count: 0
    .symbol:         _ZN7rocprim17ROCPRIM_400000_NS6detail17trampoline_kernelINS0_14default_configENS1_25transform_config_selectorIlLb0EEEZNS1_14transform_implILb0ES3_S5_NS0_18transform_iteratorINS0_17counting_iteratorImlEEZNS1_24adjacent_difference_implIS3_Lb1ELb0EPlSB_ZN2at6native12_GLOBAL__N_124unique_dim_cuda_templateIaEESt5tupleIJNSC_6TensorESH_SH_EERKSH_lbbbEUlllE1_EE10hipError_tPvRmT2_T3_mT4_P12ihipStream_tbEUlmE_lEESB_NS0_8identityIvEEEESM_SP_SQ_mSR_ST_bEUlT_E_NS1_11comp_targetILNS1_3genE4ELNS1_11target_archE910ELNS1_3gpuE8ELNS1_3repE0EEENS1_30default_config_static_selectorELNS0_4arch9wavefront6targetE1EEEvT1_.kd
    .uniform_work_group_size: 1
    .uses_dynamic_stack: false
    .vgpr_count:     0
    .vgpr_spill_count: 0
    .wavefront_size: 64
  - .agpr_count:     0
    .args:
      - .offset:         0
        .size:           56
        .value_kind:     by_value
    .group_segment_fixed_size: 0
    .kernarg_segment_align: 8
    .kernarg_segment_size: 56
    .language:       OpenCL C
    .language_version:
      - 2
      - 0
    .max_flat_workgroup_size: 128
    .name:           _ZN7rocprim17ROCPRIM_400000_NS6detail17trampoline_kernelINS0_14default_configENS1_25transform_config_selectorIlLb0EEEZNS1_14transform_implILb0ES3_S5_NS0_18transform_iteratorINS0_17counting_iteratorImlEEZNS1_24adjacent_difference_implIS3_Lb1ELb0EPlSB_ZN2at6native12_GLOBAL__N_124unique_dim_cuda_templateIaEESt5tupleIJNSC_6TensorESH_SH_EERKSH_lbbbEUlllE1_EE10hipError_tPvRmT2_T3_mT4_P12ihipStream_tbEUlmE_lEESB_NS0_8identityIvEEEESM_SP_SQ_mSR_ST_bEUlT_E_NS1_11comp_targetILNS1_3genE3ELNS1_11target_archE908ELNS1_3gpuE7ELNS1_3repE0EEENS1_30default_config_static_selectorELNS0_4arch9wavefront6targetE1EEEvT1_
    .private_segment_fixed_size: 0
    .sgpr_count:     6
    .sgpr_spill_count: 0
    .symbol:         _ZN7rocprim17ROCPRIM_400000_NS6detail17trampoline_kernelINS0_14default_configENS1_25transform_config_selectorIlLb0EEEZNS1_14transform_implILb0ES3_S5_NS0_18transform_iteratorINS0_17counting_iteratorImlEEZNS1_24adjacent_difference_implIS3_Lb1ELb0EPlSB_ZN2at6native12_GLOBAL__N_124unique_dim_cuda_templateIaEESt5tupleIJNSC_6TensorESH_SH_EERKSH_lbbbEUlllE1_EE10hipError_tPvRmT2_T3_mT4_P12ihipStream_tbEUlmE_lEESB_NS0_8identityIvEEEESM_SP_SQ_mSR_ST_bEUlT_E_NS1_11comp_targetILNS1_3genE3ELNS1_11target_archE908ELNS1_3gpuE7ELNS1_3repE0EEENS1_30default_config_static_selectorELNS0_4arch9wavefront6targetE1EEEvT1_.kd
    .uniform_work_group_size: 1
    .uses_dynamic_stack: false
    .vgpr_count:     0
    .vgpr_spill_count: 0
    .wavefront_size: 64
  - .agpr_count:     0
    .args:
      - .offset:         0
        .size:           56
        .value_kind:     by_value
    .group_segment_fixed_size: 0
    .kernarg_segment_align: 8
    .kernarg_segment_size: 56
    .language:       OpenCL C
    .language_version:
      - 2
      - 0
    .max_flat_workgroup_size: 512
    .name:           _ZN7rocprim17ROCPRIM_400000_NS6detail17trampoline_kernelINS0_14default_configENS1_25transform_config_selectorIlLb0EEEZNS1_14transform_implILb0ES3_S5_NS0_18transform_iteratorINS0_17counting_iteratorImlEEZNS1_24adjacent_difference_implIS3_Lb1ELb0EPlSB_ZN2at6native12_GLOBAL__N_124unique_dim_cuda_templateIaEESt5tupleIJNSC_6TensorESH_SH_EERKSH_lbbbEUlllE1_EE10hipError_tPvRmT2_T3_mT4_P12ihipStream_tbEUlmE_lEESB_NS0_8identityIvEEEESM_SP_SQ_mSR_ST_bEUlT_E_NS1_11comp_targetILNS1_3genE2ELNS1_11target_archE906ELNS1_3gpuE6ELNS1_3repE0EEENS1_30default_config_static_selectorELNS0_4arch9wavefront6targetE1EEEvT1_
    .private_segment_fixed_size: 0
    .sgpr_count:     6
    .sgpr_spill_count: 0
    .symbol:         _ZN7rocprim17ROCPRIM_400000_NS6detail17trampoline_kernelINS0_14default_configENS1_25transform_config_selectorIlLb0EEEZNS1_14transform_implILb0ES3_S5_NS0_18transform_iteratorINS0_17counting_iteratorImlEEZNS1_24adjacent_difference_implIS3_Lb1ELb0EPlSB_ZN2at6native12_GLOBAL__N_124unique_dim_cuda_templateIaEESt5tupleIJNSC_6TensorESH_SH_EERKSH_lbbbEUlllE1_EE10hipError_tPvRmT2_T3_mT4_P12ihipStream_tbEUlmE_lEESB_NS0_8identityIvEEEESM_SP_SQ_mSR_ST_bEUlT_E_NS1_11comp_targetILNS1_3genE2ELNS1_11target_archE906ELNS1_3gpuE6ELNS1_3repE0EEENS1_30default_config_static_selectorELNS0_4arch9wavefront6targetE1EEEvT1_.kd
    .uniform_work_group_size: 1
    .uses_dynamic_stack: false
    .vgpr_count:     0
    .vgpr_spill_count: 0
    .wavefront_size: 64
  - .agpr_count:     0
    .args:
      - .offset:         0
        .size:           56
        .value_kind:     by_value
    .group_segment_fixed_size: 0
    .kernarg_segment_align: 8
    .kernarg_segment_size: 56
    .language:       OpenCL C
    .language_version:
      - 2
      - 0
    .max_flat_workgroup_size: 1024
    .name:           _ZN7rocprim17ROCPRIM_400000_NS6detail17trampoline_kernelINS0_14default_configENS1_25transform_config_selectorIlLb0EEEZNS1_14transform_implILb0ES3_S5_NS0_18transform_iteratorINS0_17counting_iteratorImlEEZNS1_24adjacent_difference_implIS3_Lb1ELb0EPlSB_ZN2at6native12_GLOBAL__N_124unique_dim_cuda_templateIaEESt5tupleIJNSC_6TensorESH_SH_EERKSH_lbbbEUlllE1_EE10hipError_tPvRmT2_T3_mT4_P12ihipStream_tbEUlmE_lEESB_NS0_8identityIvEEEESM_SP_SQ_mSR_ST_bEUlT_E_NS1_11comp_targetILNS1_3genE10ELNS1_11target_archE1201ELNS1_3gpuE5ELNS1_3repE0EEENS1_30default_config_static_selectorELNS0_4arch9wavefront6targetE1EEEvT1_
    .private_segment_fixed_size: 0
    .sgpr_count:     6
    .sgpr_spill_count: 0
    .symbol:         _ZN7rocprim17ROCPRIM_400000_NS6detail17trampoline_kernelINS0_14default_configENS1_25transform_config_selectorIlLb0EEEZNS1_14transform_implILb0ES3_S5_NS0_18transform_iteratorINS0_17counting_iteratorImlEEZNS1_24adjacent_difference_implIS3_Lb1ELb0EPlSB_ZN2at6native12_GLOBAL__N_124unique_dim_cuda_templateIaEESt5tupleIJNSC_6TensorESH_SH_EERKSH_lbbbEUlllE1_EE10hipError_tPvRmT2_T3_mT4_P12ihipStream_tbEUlmE_lEESB_NS0_8identityIvEEEESM_SP_SQ_mSR_ST_bEUlT_E_NS1_11comp_targetILNS1_3genE10ELNS1_11target_archE1201ELNS1_3gpuE5ELNS1_3repE0EEENS1_30default_config_static_selectorELNS0_4arch9wavefront6targetE1EEEvT1_.kd
    .uniform_work_group_size: 1
    .uses_dynamic_stack: false
    .vgpr_count:     0
    .vgpr_spill_count: 0
    .wavefront_size: 64
  - .agpr_count:     0
    .args:
      - .offset:         0
        .size:           56
        .value_kind:     by_value
    .group_segment_fixed_size: 0
    .kernarg_segment_align: 8
    .kernarg_segment_size: 56
    .language:       OpenCL C
    .language_version:
      - 2
      - 0
    .max_flat_workgroup_size: 512
    .name:           _ZN7rocprim17ROCPRIM_400000_NS6detail17trampoline_kernelINS0_14default_configENS1_25transform_config_selectorIlLb0EEEZNS1_14transform_implILb0ES3_S5_NS0_18transform_iteratorINS0_17counting_iteratorImlEEZNS1_24adjacent_difference_implIS3_Lb1ELb0EPlSB_ZN2at6native12_GLOBAL__N_124unique_dim_cuda_templateIaEESt5tupleIJNSC_6TensorESH_SH_EERKSH_lbbbEUlllE1_EE10hipError_tPvRmT2_T3_mT4_P12ihipStream_tbEUlmE_lEESB_NS0_8identityIvEEEESM_SP_SQ_mSR_ST_bEUlT_E_NS1_11comp_targetILNS1_3genE10ELNS1_11target_archE1200ELNS1_3gpuE4ELNS1_3repE0EEENS1_30default_config_static_selectorELNS0_4arch9wavefront6targetE1EEEvT1_
    .private_segment_fixed_size: 0
    .sgpr_count:     6
    .sgpr_spill_count: 0
    .symbol:         _ZN7rocprim17ROCPRIM_400000_NS6detail17trampoline_kernelINS0_14default_configENS1_25transform_config_selectorIlLb0EEEZNS1_14transform_implILb0ES3_S5_NS0_18transform_iteratorINS0_17counting_iteratorImlEEZNS1_24adjacent_difference_implIS3_Lb1ELb0EPlSB_ZN2at6native12_GLOBAL__N_124unique_dim_cuda_templateIaEESt5tupleIJNSC_6TensorESH_SH_EERKSH_lbbbEUlllE1_EE10hipError_tPvRmT2_T3_mT4_P12ihipStream_tbEUlmE_lEESB_NS0_8identityIvEEEESM_SP_SQ_mSR_ST_bEUlT_E_NS1_11comp_targetILNS1_3genE10ELNS1_11target_archE1200ELNS1_3gpuE4ELNS1_3repE0EEENS1_30default_config_static_selectorELNS0_4arch9wavefront6targetE1EEEvT1_.kd
    .uniform_work_group_size: 1
    .uses_dynamic_stack: false
    .vgpr_count:     0
    .vgpr_spill_count: 0
    .wavefront_size: 64
  - .agpr_count:     0
    .args:
      - .offset:         0
        .size:           56
        .value_kind:     by_value
    .group_segment_fixed_size: 0
    .kernarg_segment_align: 8
    .kernarg_segment_size: 56
    .language:       OpenCL C
    .language_version:
      - 2
      - 0
    .max_flat_workgroup_size: 512
    .name:           _ZN7rocprim17ROCPRIM_400000_NS6detail17trampoline_kernelINS0_14default_configENS1_25transform_config_selectorIlLb0EEEZNS1_14transform_implILb0ES3_S5_NS0_18transform_iteratorINS0_17counting_iteratorImlEEZNS1_24adjacent_difference_implIS3_Lb1ELb0EPlSB_ZN2at6native12_GLOBAL__N_124unique_dim_cuda_templateIaEESt5tupleIJNSC_6TensorESH_SH_EERKSH_lbbbEUlllE1_EE10hipError_tPvRmT2_T3_mT4_P12ihipStream_tbEUlmE_lEESB_NS0_8identityIvEEEESM_SP_SQ_mSR_ST_bEUlT_E_NS1_11comp_targetILNS1_3genE9ELNS1_11target_archE1100ELNS1_3gpuE3ELNS1_3repE0EEENS1_30default_config_static_selectorELNS0_4arch9wavefront6targetE1EEEvT1_
    .private_segment_fixed_size: 0
    .sgpr_count:     6
    .sgpr_spill_count: 0
    .symbol:         _ZN7rocprim17ROCPRIM_400000_NS6detail17trampoline_kernelINS0_14default_configENS1_25transform_config_selectorIlLb0EEEZNS1_14transform_implILb0ES3_S5_NS0_18transform_iteratorINS0_17counting_iteratorImlEEZNS1_24adjacent_difference_implIS3_Lb1ELb0EPlSB_ZN2at6native12_GLOBAL__N_124unique_dim_cuda_templateIaEESt5tupleIJNSC_6TensorESH_SH_EERKSH_lbbbEUlllE1_EE10hipError_tPvRmT2_T3_mT4_P12ihipStream_tbEUlmE_lEESB_NS0_8identityIvEEEESM_SP_SQ_mSR_ST_bEUlT_E_NS1_11comp_targetILNS1_3genE9ELNS1_11target_archE1100ELNS1_3gpuE3ELNS1_3repE0EEENS1_30default_config_static_selectorELNS0_4arch9wavefront6targetE1EEEvT1_.kd
    .uniform_work_group_size: 1
    .uses_dynamic_stack: false
    .vgpr_count:     0
    .vgpr_spill_count: 0
    .wavefront_size: 64
  - .agpr_count:     0
    .args:
      - .offset:         0
        .size:           56
        .value_kind:     by_value
    .group_segment_fixed_size: 0
    .kernarg_segment_align: 8
    .kernarg_segment_size: 56
    .language:       OpenCL C
    .language_version:
      - 2
      - 0
    .max_flat_workgroup_size: 512
    .name:           _ZN7rocprim17ROCPRIM_400000_NS6detail17trampoline_kernelINS0_14default_configENS1_25transform_config_selectorIlLb0EEEZNS1_14transform_implILb0ES3_S5_NS0_18transform_iteratorINS0_17counting_iteratorImlEEZNS1_24adjacent_difference_implIS3_Lb1ELb0EPlSB_ZN2at6native12_GLOBAL__N_124unique_dim_cuda_templateIaEESt5tupleIJNSC_6TensorESH_SH_EERKSH_lbbbEUlllE1_EE10hipError_tPvRmT2_T3_mT4_P12ihipStream_tbEUlmE_lEESB_NS0_8identityIvEEEESM_SP_SQ_mSR_ST_bEUlT_E_NS1_11comp_targetILNS1_3genE8ELNS1_11target_archE1030ELNS1_3gpuE2ELNS1_3repE0EEENS1_30default_config_static_selectorELNS0_4arch9wavefront6targetE1EEEvT1_
    .private_segment_fixed_size: 0
    .sgpr_count:     6
    .sgpr_spill_count: 0
    .symbol:         _ZN7rocprim17ROCPRIM_400000_NS6detail17trampoline_kernelINS0_14default_configENS1_25transform_config_selectorIlLb0EEEZNS1_14transform_implILb0ES3_S5_NS0_18transform_iteratorINS0_17counting_iteratorImlEEZNS1_24adjacent_difference_implIS3_Lb1ELb0EPlSB_ZN2at6native12_GLOBAL__N_124unique_dim_cuda_templateIaEESt5tupleIJNSC_6TensorESH_SH_EERKSH_lbbbEUlllE1_EE10hipError_tPvRmT2_T3_mT4_P12ihipStream_tbEUlmE_lEESB_NS0_8identityIvEEEESM_SP_SQ_mSR_ST_bEUlT_E_NS1_11comp_targetILNS1_3genE8ELNS1_11target_archE1030ELNS1_3gpuE2ELNS1_3repE0EEENS1_30default_config_static_selectorELNS0_4arch9wavefront6targetE1EEEvT1_.kd
    .uniform_work_group_size: 1
    .uses_dynamic_stack: false
    .vgpr_count:     0
    .vgpr_spill_count: 0
    .wavefront_size: 64
  - .agpr_count:     0
    .args:
      - .offset:         0
        .size:           64
        .value_kind:     by_value
    .group_segment_fixed_size: 0
    .kernarg_segment_align: 8
    .kernarg_segment_size: 64
    .language:       OpenCL C
    .language_version:
      - 2
      - 0
    .max_flat_workgroup_size: 512
    .name:           _ZN7rocprim17ROCPRIM_400000_NS6detail17trampoline_kernelINS0_14default_configENS1_35adjacent_difference_config_selectorILb1ElEEZNS1_24adjacent_difference_implIS3_Lb1ELb0EPlS7_ZN2at6native12_GLOBAL__N_124unique_dim_cuda_templateIaEESt5tupleIJNS8_6TensorESD_SD_EERKSD_lbbbEUlllE1_EE10hipError_tPvRmT2_T3_mT4_P12ihipStream_tbEUlT_E_NS1_11comp_targetILNS1_3genE0ELNS1_11target_archE4294967295ELNS1_3gpuE0ELNS1_3repE0EEENS1_30default_config_static_selectorELNS0_4arch9wavefront6targetE1EEEvT1_
    .private_segment_fixed_size: 0
    .sgpr_count:     6
    .sgpr_spill_count: 0
    .symbol:         _ZN7rocprim17ROCPRIM_400000_NS6detail17trampoline_kernelINS0_14default_configENS1_35adjacent_difference_config_selectorILb1ElEEZNS1_24adjacent_difference_implIS3_Lb1ELb0EPlS7_ZN2at6native12_GLOBAL__N_124unique_dim_cuda_templateIaEESt5tupleIJNS8_6TensorESD_SD_EERKSD_lbbbEUlllE1_EE10hipError_tPvRmT2_T3_mT4_P12ihipStream_tbEUlT_E_NS1_11comp_targetILNS1_3genE0ELNS1_11target_archE4294967295ELNS1_3gpuE0ELNS1_3repE0EEENS1_30default_config_static_selectorELNS0_4arch9wavefront6targetE1EEEvT1_.kd
    .uniform_work_group_size: 1
    .uses_dynamic_stack: false
    .vgpr_count:     0
    .vgpr_spill_count: 0
    .wavefront_size: 64
  - .agpr_count:     0
    .args:
      - .offset:         0
        .size:           64
        .value_kind:     by_value
    .group_segment_fixed_size: 0
    .kernarg_segment_align: 8
    .kernarg_segment_size: 64
    .language:       OpenCL C
    .language_version:
      - 2
      - 0
    .max_flat_workgroup_size: 32
    .name:           _ZN7rocprim17ROCPRIM_400000_NS6detail17trampoline_kernelINS0_14default_configENS1_35adjacent_difference_config_selectorILb1ElEEZNS1_24adjacent_difference_implIS3_Lb1ELb0EPlS7_ZN2at6native12_GLOBAL__N_124unique_dim_cuda_templateIaEESt5tupleIJNS8_6TensorESD_SD_EERKSD_lbbbEUlllE1_EE10hipError_tPvRmT2_T3_mT4_P12ihipStream_tbEUlT_E_NS1_11comp_targetILNS1_3genE10ELNS1_11target_archE1201ELNS1_3gpuE5ELNS1_3repE0EEENS1_30default_config_static_selectorELNS0_4arch9wavefront6targetE1EEEvT1_
    .private_segment_fixed_size: 0
    .sgpr_count:     6
    .sgpr_spill_count: 0
    .symbol:         _ZN7rocprim17ROCPRIM_400000_NS6detail17trampoline_kernelINS0_14default_configENS1_35adjacent_difference_config_selectorILb1ElEEZNS1_24adjacent_difference_implIS3_Lb1ELb0EPlS7_ZN2at6native12_GLOBAL__N_124unique_dim_cuda_templateIaEESt5tupleIJNS8_6TensorESD_SD_EERKSD_lbbbEUlllE1_EE10hipError_tPvRmT2_T3_mT4_P12ihipStream_tbEUlT_E_NS1_11comp_targetILNS1_3genE10ELNS1_11target_archE1201ELNS1_3gpuE5ELNS1_3repE0EEENS1_30default_config_static_selectorELNS0_4arch9wavefront6targetE1EEEvT1_.kd
    .uniform_work_group_size: 1
    .uses_dynamic_stack: false
    .vgpr_count:     0
    .vgpr_spill_count: 0
    .wavefront_size: 64
  - .agpr_count:     0
    .args:
      - .offset:         0
        .size:           64
        .value_kind:     by_value
    .group_segment_fixed_size: 22528
    .kernarg_segment_align: 8
    .kernarg_segment_size: 64
    .language:       OpenCL C
    .language_version:
      - 2
      - 0
    .max_flat_workgroup_size: 256
    .name:           _ZN7rocprim17ROCPRIM_400000_NS6detail17trampoline_kernelINS0_14default_configENS1_35adjacent_difference_config_selectorILb1ElEEZNS1_24adjacent_difference_implIS3_Lb1ELb0EPlS7_ZN2at6native12_GLOBAL__N_124unique_dim_cuda_templateIaEESt5tupleIJNS8_6TensorESD_SD_EERKSD_lbbbEUlllE1_EE10hipError_tPvRmT2_T3_mT4_P12ihipStream_tbEUlT_E_NS1_11comp_targetILNS1_3genE5ELNS1_11target_archE942ELNS1_3gpuE9ELNS1_3repE0EEENS1_30default_config_static_selectorELNS0_4arch9wavefront6targetE1EEEvT1_
    .private_segment_fixed_size: 0
    .sgpr_count:     44
    .sgpr_spill_count: 0
    .symbol:         _ZN7rocprim17ROCPRIM_400000_NS6detail17trampoline_kernelINS0_14default_configENS1_35adjacent_difference_config_selectorILb1ElEEZNS1_24adjacent_difference_implIS3_Lb1ELb0EPlS7_ZN2at6native12_GLOBAL__N_124unique_dim_cuda_templateIaEESt5tupleIJNS8_6TensorESD_SD_EERKSD_lbbbEUlllE1_EE10hipError_tPvRmT2_T3_mT4_P12ihipStream_tbEUlT_E_NS1_11comp_targetILNS1_3genE5ELNS1_11target_archE942ELNS1_3gpuE9ELNS1_3repE0EEENS1_30default_config_static_selectorELNS0_4arch9wavefront6targetE1EEEvT1_.kd
    .uniform_work_group_size: 1
    .uses_dynamic_stack: false
    .vgpr_count:     70
    .vgpr_spill_count: 0
    .wavefront_size: 64
  - .agpr_count:     0
    .args:
      - .offset:         0
        .size:           64
        .value_kind:     by_value
    .group_segment_fixed_size: 0
    .kernarg_segment_align: 8
    .kernarg_segment_size: 64
    .language:       OpenCL C
    .language_version:
      - 2
      - 0
    .max_flat_workgroup_size: 512
    .name:           _ZN7rocprim17ROCPRIM_400000_NS6detail17trampoline_kernelINS0_14default_configENS1_35adjacent_difference_config_selectorILb1ElEEZNS1_24adjacent_difference_implIS3_Lb1ELb0EPlS7_ZN2at6native12_GLOBAL__N_124unique_dim_cuda_templateIaEESt5tupleIJNS8_6TensorESD_SD_EERKSD_lbbbEUlllE1_EE10hipError_tPvRmT2_T3_mT4_P12ihipStream_tbEUlT_E_NS1_11comp_targetILNS1_3genE4ELNS1_11target_archE910ELNS1_3gpuE8ELNS1_3repE0EEENS1_30default_config_static_selectorELNS0_4arch9wavefront6targetE1EEEvT1_
    .private_segment_fixed_size: 0
    .sgpr_count:     6
    .sgpr_spill_count: 0
    .symbol:         _ZN7rocprim17ROCPRIM_400000_NS6detail17trampoline_kernelINS0_14default_configENS1_35adjacent_difference_config_selectorILb1ElEEZNS1_24adjacent_difference_implIS3_Lb1ELb0EPlS7_ZN2at6native12_GLOBAL__N_124unique_dim_cuda_templateIaEESt5tupleIJNS8_6TensorESD_SD_EERKSD_lbbbEUlllE1_EE10hipError_tPvRmT2_T3_mT4_P12ihipStream_tbEUlT_E_NS1_11comp_targetILNS1_3genE4ELNS1_11target_archE910ELNS1_3gpuE8ELNS1_3repE0EEENS1_30default_config_static_selectorELNS0_4arch9wavefront6targetE1EEEvT1_.kd
    .uniform_work_group_size: 1
    .uses_dynamic_stack: false
    .vgpr_count:     0
    .vgpr_spill_count: 0
    .wavefront_size: 64
  - .agpr_count:     0
    .args:
      - .offset:         0
        .size:           64
        .value_kind:     by_value
    .group_segment_fixed_size: 0
    .kernarg_segment_align: 8
    .kernarg_segment_size: 64
    .language:       OpenCL C
    .language_version:
      - 2
      - 0
    .max_flat_workgroup_size: 512
    .name:           _ZN7rocprim17ROCPRIM_400000_NS6detail17trampoline_kernelINS0_14default_configENS1_35adjacent_difference_config_selectorILb1ElEEZNS1_24adjacent_difference_implIS3_Lb1ELb0EPlS7_ZN2at6native12_GLOBAL__N_124unique_dim_cuda_templateIaEESt5tupleIJNS8_6TensorESD_SD_EERKSD_lbbbEUlllE1_EE10hipError_tPvRmT2_T3_mT4_P12ihipStream_tbEUlT_E_NS1_11comp_targetILNS1_3genE3ELNS1_11target_archE908ELNS1_3gpuE7ELNS1_3repE0EEENS1_30default_config_static_selectorELNS0_4arch9wavefront6targetE1EEEvT1_
    .private_segment_fixed_size: 0
    .sgpr_count:     6
    .sgpr_spill_count: 0
    .symbol:         _ZN7rocprim17ROCPRIM_400000_NS6detail17trampoline_kernelINS0_14default_configENS1_35adjacent_difference_config_selectorILb1ElEEZNS1_24adjacent_difference_implIS3_Lb1ELb0EPlS7_ZN2at6native12_GLOBAL__N_124unique_dim_cuda_templateIaEESt5tupleIJNS8_6TensorESD_SD_EERKSD_lbbbEUlllE1_EE10hipError_tPvRmT2_T3_mT4_P12ihipStream_tbEUlT_E_NS1_11comp_targetILNS1_3genE3ELNS1_11target_archE908ELNS1_3gpuE7ELNS1_3repE0EEENS1_30default_config_static_selectorELNS0_4arch9wavefront6targetE1EEEvT1_.kd
    .uniform_work_group_size: 1
    .uses_dynamic_stack: false
    .vgpr_count:     0
    .vgpr_spill_count: 0
    .wavefront_size: 64
  - .agpr_count:     0
    .args:
      - .offset:         0
        .size:           64
        .value_kind:     by_value
    .group_segment_fixed_size: 0
    .kernarg_segment_align: 8
    .kernarg_segment_size: 64
    .language:       OpenCL C
    .language_version:
      - 2
      - 0
    .max_flat_workgroup_size: 128
    .name:           _ZN7rocprim17ROCPRIM_400000_NS6detail17trampoline_kernelINS0_14default_configENS1_35adjacent_difference_config_selectorILb1ElEEZNS1_24adjacent_difference_implIS3_Lb1ELb0EPlS7_ZN2at6native12_GLOBAL__N_124unique_dim_cuda_templateIaEESt5tupleIJNS8_6TensorESD_SD_EERKSD_lbbbEUlllE1_EE10hipError_tPvRmT2_T3_mT4_P12ihipStream_tbEUlT_E_NS1_11comp_targetILNS1_3genE2ELNS1_11target_archE906ELNS1_3gpuE6ELNS1_3repE0EEENS1_30default_config_static_selectorELNS0_4arch9wavefront6targetE1EEEvT1_
    .private_segment_fixed_size: 0
    .sgpr_count:     6
    .sgpr_spill_count: 0
    .symbol:         _ZN7rocprim17ROCPRIM_400000_NS6detail17trampoline_kernelINS0_14default_configENS1_35adjacent_difference_config_selectorILb1ElEEZNS1_24adjacent_difference_implIS3_Lb1ELb0EPlS7_ZN2at6native12_GLOBAL__N_124unique_dim_cuda_templateIaEESt5tupleIJNS8_6TensorESD_SD_EERKSD_lbbbEUlllE1_EE10hipError_tPvRmT2_T3_mT4_P12ihipStream_tbEUlT_E_NS1_11comp_targetILNS1_3genE2ELNS1_11target_archE906ELNS1_3gpuE6ELNS1_3repE0EEENS1_30default_config_static_selectorELNS0_4arch9wavefront6targetE1EEEvT1_.kd
    .uniform_work_group_size: 1
    .uses_dynamic_stack: false
    .vgpr_count:     0
    .vgpr_spill_count: 0
    .wavefront_size: 64
  - .agpr_count:     0
    .args:
      - .offset:         0
        .size:           64
        .value_kind:     by_value
    .group_segment_fixed_size: 0
    .kernarg_segment_align: 8
    .kernarg_segment_size: 64
    .language:       OpenCL C
    .language_version:
      - 2
      - 0
    .max_flat_workgroup_size: 128
    .name:           _ZN7rocprim17ROCPRIM_400000_NS6detail17trampoline_kernelINS0_14default_configENS1_35adjacent_difference_config_selectorILb1ElEEZNS1_24adjacent_difference_implIS3_Lb1ELb0EPlS7_ZN2at6native12_GLOBAL__N_124unique_dim_cuda_templateIaEESt5tupleIJNS8_6TensorESD_SD_EERKSD_lbbbEUlllE1_EE10hipError_tPvRmT2_T3_mT4_P12ihipStream_tbEUlT_E_NS1_11comp_targetILNS1_3genE9ELNS1_11target_archE1100ELNS1_3gpuE3ELNS1_3repE0EEENS1_30default_config_static_selectorELNS0_4arch9wavefront6targetE1EEEvT1_
    .private_segment_fixed_size: 0
    .sgpr_count:     6
    .sgpr_spill_count: 0
    .symbol:         _ZN7rocprim17ROCPRIM_400000_NS6detail17trampoline_kernelINS0_14default_configENS1_35adjacent_difference_config_selectorILb1ElEEZNS1_24adjacent_difference_implIS3_Lb1ELb0EPlS7_ZN2at6native12_GLOBAL__N_124unique_dim_cuda_templateIaEESt5tupleIJNS8_6TensorESD_SD_EERKSD_lbbbEUlllE1_EE10hipError_tPvRmT2_T3_mT4_P12ihipStream_tbEUlT_E_NS1_11comp_targetILNS1_3genE9ELNS1_11target_archE1100ELNS1_3gpuE3ELNS1_3repE0EEENS1_30default_config_static_selectorELNS0_4arch9wavefront6targetE1EEEvT1_.kd
    .uniform_work_group_size: 1
    .uses_dynamic_stack: false
    .vgpr_count:     0
    .vgpr_spill_count: 0
    .wavefront_size: 64
  - .agpr_count:     0
    .args:
      - .offset:         0
        .size:           64
        .value_kind:     by_value
    .group_segment_fixed_size: 0
    .kernarg_segment_align: 8
    .kernarg_segment_size: 64
    .language:       OpenCL C
    .language_version:
      - 2
      - 0
    .max_flat_workgroup_size: 32
    .name:           _ZN7rocprim17ROCPRIM_400000_NS6detail17trampoline_kernelINS0_14default_configENS1_35adjacent_difference_config_selectorILb1ElEEZNS1_24adjacent_difference_implIS3_Lb1ELb0EPlS7_ZN2at6native12_GLOBAL__N_124unique_dim_cuda_templateIaEESt5tupleIJNS8_6TensorESD_SD_EERKSD_lbbbEUlllE1_EE10hipError_tPvRmT2_T3_mT4_P12ihipStream_tbEUlT_E_NS1_11comp_targetILNS1_3genE8ELNS1_11target_archE1030ELNS1_3gpuE2ELNS1_3repE0EEENS1_30default_config_static_selectorELNS0_4arch9wavefront6targetE1EEEvT1_
    .private_segment_fixed_size: 0
    .sgpr_count:     6
    .sgpr_spill_count: 0
    .symbol:         _ZN7rocprim17ROCPRIM_400000_NS6detail17trampoline_kernelINS0_14default_configENS1_35adjacent_difference_config_selectorILb1ElEEZNS1_24adjacent_difference_implIS3_Lb1ELb0EPlS7_ZN2at6native12_GLOBAL__N_124unique_dim_cuda_templateIaEESt5tupleIJNS8_6TensorESD_SD_EERKSD_lbbbEUlllE1_EE10hipError_tPvRmT2_T3_mT4_P12ihipStream_tbEUlT_E_NS1_11comp_targetILNS1_3genE8ELNS1_11target_archE1030ELNS1_3gpuE2ELNS1_3repE0EEENS1_30default_config_static_selectorELNS0_4arch9wavefront6targetE1EEEvT1_.kd
    .uniform_work_group_size: 1
    .uses_dynamic_stack: false
    .vgpr_count:     0
    .vgpr_spill_count: 0
    .wavefront_size: 64
  - .agpr_count:     0
    .args:
      - .offset:         0
        .size:           120
        .value_kind:     by_value
    .group_segment_fixed_size: 0
    .kernarg_segment_align: 8
    .kernarg_segment_size: 120
    .language:       OpenCL C
    .language_version:
      - 2
      - 0
    .max_flat_workgroup_size: 512
    .name:           _ZN7rocprim17ROCPRIM_400000_NS6detail17trampoline_kernelINS0_14default_configENS1_25partition_config_selectorILNS1_17partition_subalgoE8ElNS0_10empty_typeEbEEZZNS1_14partition_implILS5_8ELb0ES3_jPlPS6_PKS6_NS0_5tupleIJS9_S6_EEENSD_IJSA_SA_EEENS0_18inequality_wrapperIZN2at6native12_GLOBAL__N_124unique_dim_cuda_templateIaEESt5tupleIJNSH_6TensorESM_SM_EERKSM_lbbbEUlllE0_EEPmJS6_EEE10hipError_tPvRmT3_T4_T5_T6_T7_T9_mT8_P12ihipStream_tbDpT10_ENKUlT_T0_E_clISt17integral_constantIbLb0EES1C_EEDaS17_S18_EUlS17_E_NS1_11comp_targetILNS1_3genE0ELNS1_11target_archE4294967295ELNS1_3gpuE0ELNS1_3repE0EEENS1_30default_config_static_selectorELNS0_4arch9wavefront6targetE1EEEvT1_
    .private_segment_fixed_size: 0
    .sgpr_count:     6
    .sgpr_spill_count: 0
    .symbol:         _ZN7rocprim17ROCPRIM_400000_NS6detail17trampoline_kernelINS0_14default_configENS1_25partition_config_selectorILNS1_17partition_subalgoE8ElNS0_10empty_typeEbEEZZNS1_14partition_implILS5_8ELb0ES3_jPlPS6_PKS6_NS0_5tupleIJS9_S6_EEENSD_IJSA_SA_EEENS0_18inequality_wrapperIZN2at6native12_GLOBAL__N_124unique_dim_cuda_templateIaEESt5tupleIJNSH_6TensorESM_SM_EERKSM_lbbbEUlllE0_EEPmJS6_EEE10hipError_tPvRmT3_T4_T5_T6_T7_T9_mT8_P12ihipStream_tbDpT10_ENKUlT_T0_E_clISt17integral_constantIbLb0EES1C_EEDaS17_S18_EUlS17_E_NS1_11comp_targetILNS1_3genE0ELNS1_11target_archE4294967295ELNS1_3gpuE0ELNS1_3repE0EEENS1_30default_config_static_selectorELNS0_4arch9wavefront6targetE1EEEvT1_.kd
    .uniform_work_group_size: 1
    .uses_dynamic_stack: false
    .vgpr_count:     0
    .vgpr_spill_count: 0
    .wavefront_size: 64
  - .agpr_count:     0
    .args:
      - .offset:         0
        .size:           120
        .value_kind:     by_value
    .group_segment_fixed_size: 28684
    .kernarg_segment_align: 8
    .kernarg_segment_size: 120
    .language:       OpenCL C
    .language_version:
      - 2
      - 0
    .max_flat_workgroup_size: 512
    .name:           _ZN7rocprim17ROCPRIM_400000_NS6detail17trampoline_kernelINS0_14default_configENS1_25partition_config_selectorILNS1_17partition_subalgoE8ElNS0_10empty_typeEbEEZZNS1_14partition_implILS5_8ELb0ES3_jPlPS6_PKS6_NS0_5tupleIJS9_S6_EEENSD_IJSA_SA_EEENS0_18inequality_wrapperIZN2at6native12_GLOBAL__N_124unique_dim_cuda_templateIaEESt5tupleIJNSH_6TensorESM_SM_EERKSM_lbbbEUlllE0_EEPmJS6_EEE10hipError_tPvRmT3_T4_T5_T6_T7_T9_mT8_P12ihipStream_tbDpT10_ENKUlT_T0_E_clISt17integral_constantIbLb0EES1C_EEDaS17_S18_EUlS17_E_NS1_11comp_targetILNS1_3genE5ELNS1_11target_archE942ELNS1_3gpuE9ELNS1_3repE0EEENS1_30default_config_static_selectorELNS0_4arch9wavefront6targetE1EEEvT1_
    .private_segment_fixed_size: 0
    .sgpr_count:     58
    .sgpr_spill_count: 0
    .symbol:         _ZN7rocprim17ROCPRIM_400000_NS6detail17trampoline_kernelINS0_14default_configENS1_25partition_config_selectorILNS1_17partition_subalgoE8ElNS0_10empty_typeEbEEZZNS1_14partition_implILS5_8ELb0ES3_jPlPS6_PKS6_NS0_5tupleIJS9_S6_EEENSD_IJSA_SA_EEENS0_18inequality_wrapperIZN2at6native12_GLOBAL__N_124unique_dim_cuda_templateIaEESt5tupleIJNSH_6TensorESM_SM_EERKSM_lbbbEUlllE0_EEPmJS6_EEE10hipError_tPvRmT3_T4_T5_T6_T7_T9_mT8_P12ihipStream_tbDpT10_ENKUlT_T0_E_clISt17integral_constantIbLb0EES1C_EEDaS17_S18_EUlS17_E_NS1_11comp_targetILNS1_3genE5ELNS1_11target_archE942ELNS1_3gpuE9ELNS1_3repE0EEENS1_30default_config_static_selectorELNS0_4arch9wavefront6targetE1EEEvT1_.kd
    .uniform_work_group_size: 1
    .uses_dynamic_stack: false
    .vgpr_count:     52
    .vgpr_spill_count: 0
    .wavefront_size: 64
  - .agpr_count:     0
    .args:
      - .offset:         0
        .size:           120
        .value_kind:     by_value
    .group_segment_fixed_size: 0
    .kernarg_segment_align: 8
    .kernarg_segment_size: 120
    .language:       OpenCL C
    .language_version:
      - 2
      - 0
    .max_flat_workgroup_size: 256
    .name:           _ZN7rocprim17ROCPRIM_400000_NS6detail17trampoline_kernelINS0_14default_configENS1_25partition_config_selectorILNS1_17partition_subalgoE8ElNS0_10empty_typeEbEEZZNS1_14partition_implILS5_8ELb0ES3_jPlPS6_PKS6_NS0_5tupleIJS9_S6_EEENSD_IJSA_SA_EEENS0_18inequality_wrapperIZN2at6native12_GLOBAL__N_124unique_dim_cuda_templateIaEESt5tupleIJNSH_6TensorESM_SM_EERKSM_lbbbEUlllE0_EEPmJS6_EEE10hipError_tPvRmT3_T4_T5_T6_T7_T9_mT8_P12ihipStream_tbDpT10_ENKUlT_T0_E_clISt17integral_constantIbLb0EES1C_EEDaS17_S18_EUlS17_E_NS1_11comp_targetILNS1_3genE4ELNS1_11target_archE910ELNS1_3gpuE8ELNS1_3repE0EEENS1_30default_config_static_selectorELNS0_4arch9wavefront6targetE1EEEvT1_
    .private_segment_fixed_size: 0
    .sgpr_count:     6
    .sgpr_spill_count: 0
    .symbol:         _ZN7rocprim17ROCPRIM_400000_NS6detail17trampoline_kernelINS0_14default_configENS1_25partition_config_selectorILNS1_17partition_subalgoE8ElNS0_10empty_typeEbEEZZNS1_14partition_implILS5_8ELb0ES3_jPlPS6_PKS6_NS0_5tupleIJS9_S6_EEENSD_IJSA_SA_EEENS0_18inequality_wrapperIZN2at6native12_GLOBAL__N_124unique_dim_cuda_templateIaEESt5tupleIJNSH_6TensorESM_SM_EERKSM_lbbbEUlllE0_EEPmJS6_EEE10hipError_tPvRmT3_T4_T5_T6_T7_T9_mT8_P12ihipStream_tbDpT10_ENKUlT_T0_E_clISt17integral_constantIbLb0EES1C_EEDaS17_S18_EUlS17_E_NS1_11comp_targetILNS1_3genE4ELNS1_11target_archE910ELNS1_3gpuE8ELNS1_3repE0EEENS1_30default_config_static_selectorELNS0_4arch9wavefront6targetE1EEEvT1_.kd
    .uniform_work_group_size: 1
    .uses_dynamic_stack: false
    .vgpr_count:     0
    .vgpr_spill_count: 0
    .wavefront_size: 64
  - .agpr_count:     0
    .args:
      - .offset:         0
        .size:           120
        .value_kind:     by_value
    .group_segment_fixed_size: 0
    .kernarg_segment_align: 8
    .kernarg_segment_size: 120
    .language:       OpenCL C
    .language_version:
      - 2
      - 0
    .max_flat_workgroup_size: 512
    .name:           _ZN7rocprim17ROCPRIM_400000_NS6detail17trampoline_kernelINS0_14default_configENS1_25partition_config_selectorILNS1_17partition_subalgoE8ElNS0_10empty_typeEbEEZZNS1_14partition_implILS5_8ELb0ES3_jPlPS6_PKS6_NS0_5tupleIJS9_S6_EEENSD_IJSA_SA_EEENS0_18inequality_wrapperIZN2at6native12_GLOBAL__N_124unique_dim_cuda_templateIaEESt5tupleIJNSH_6TensorESM_SM_EERKSM_lbbbEUlllE0_EEPmJS6_EEE10hipError_tPvRmT3_T4_T5_T6_T7_T9_mT8_P12ihipStream_tbDpT10_ENKUlT_T0_E_clISt17integral_constantIbLb0EES1C_EEDaS17_S18_EUlS17_E_NS1_11comp_targetILNS1_3genE3ELNS1_11target_archE908ELNS1_3gpuE7ELNS1_3repE0EEENS1_30default_config_static_selectorELNS0_4arch9wavefront6targetE1EEEvT1_
    .private_segment_fixed_size: 0
    .sgpr_count:     6
    .sgpr_spill_count: 0
    .symbol:         _ZN7rocprim17ROCPRIM_400000_NS6detail17trampoline_kernelINS0_14default_configENS1_25partition_config_selectorILNS1_17partition_subalgoE8ElNS0_10empty_typeEbEEZZNS1_14partition_implILS5_8ELb0ES3_jPlPS6_PKS6_NS0_5tupleIJS9_S6_EEENSD_IJSA_SA_EEENS0_18inequality_wrapperIZN2at6native12_GLOBAL__N_124unique_dim_cuda_templateIaEESt5tupleIJNSH_6TensorESM_SM_EERKSM_lbbbEUlllE0_EEPmJS6_EEE10hipError_tPvRmT3_T4_T5_T6_T7_T9_mT8_P12ihipStream_tbDpT10_ENKUlT_T0_E_clISt17integral_constantIbLb0EES1C_EEDaS17_S18_EUlS17_E_NS1_11comp_targetILNS1_3genE3ELNS1_11target_archE908ELNS1_3gpuE7ELNS1_3repE0EEENS1_30default_config_static_selectorELNS0_4arch9wavefront6targetE1EEEvT1_.kd
    .uniform_work_group_size: 1
    .uses_dynamic_stack: false
    .vgpr_count:     0
    .vgpr_spill_count: 0
    .wavefront_size: 64
  - .agpr_count:     0
    .args:
      - .offset:         0
        .size:           120
        .value_kind:     by_value
    .group_segment_fixed_size: 0
    .kernarg_segment_align: 8
    .kernarg_segment_size: 120
    .language:       OpenCL C
    .language_version:
      - 2
      - 0
    .max_flat_workgroup_size: 256
    .name:           _ZN7rocprim17ROCPRIM_400000_NS6detail17trampoline_kernelINS0_14default_configENS1_25partition_config_selectorILNS1_17partition_subalgoE8ElNS0_10empty_typeEbEEZZNS1_14partition_implILS5_8ELb0ES3_jPlPS6_PKS6_NS0_5tupleIJS9_S6_EEENSD_IJSA_SA_EEENS0_18inequality_wrapperIZN2at6native12_GLOBAL__N_124unique_dim_cuda_templateIaEESt5tupleIJNSH_6TensorESM_SM_EERKSM_lbbbEUlllE0_EEPmJS6_EEE10hipError_tPvRmT3_T4_T5_T6_T7_T9_mT8_P12ihipStream_tbDpT10_ENKUlT_T0_E_clISt17integral_constantIbLb0EES1C_EEDaS17_S18_EUlS17_E_NS1_11comp_targetILNS1_3genE2ELNS1_11target_archE906ELNS1_3gpuE6ELNS1_3repE0EEENS1_30default_config_static_selectorELNS0_4arch9wavefront6targetE1EEEvT1_
    .private_segment_fixed_size: 0
    .sgpr_count:     6
    .sgpr_spill_count: 0
    .symbol:         _ZN7rocprim17ROCPRIM_400000_NS6detail17trampoline_kernelINS0_14default_configENS1_25partition_config_selectorILNS1_17partition_subalgoE8ElNS0_10empty_typeEbEEZZNS1_14partition_implILS5_8ELb0ES3_jPlPS6_PKS6_NS0_5tupleIJS9_S6_EEENSD_IJSA_SA_EEENS0_18inequality_wrapperIZN2at6native12_GLOBAL__N_124unique_dim_cuda_templateIaEESt5tupleIJNSH_6TensorESM_SM_EERKSM_lbbbEUlllE0_EEPmJS6_EEE10hipError_tPvRmT3_T4_T5_T6_T7_T9_mT8_P12ihipStream_tbDpT10_ENKUlT_T0_E_clISt17integral_constantIbLb0EES1C_EEDaS17_S18_EUlS17_E_NS1_11comp_targetILNS1_3genE2ELNS1_11target_archE906ELNS1_3gpuE6ELNS1_3repE0EEENS1_30default_config_static_selectorELNS0_4arch9wavefront6targetE1EEEvT1_.kd
    .uniform_work_group_size: 1
    .uses_dynamic_stack: false
    .vgpr_count:     0
    .vgpr_spill_count: 0
    .wavefront_size: 64
  - .agpr_count:     0
    .args:
      - .offset:         0
        .size:           120
        .value_kind:     by_value
    .group_segment_fixed_size: 0
    .kernarg_segment_align: 8
    .kernarg_segment_size: 120
    .language:       OpenCL C
    .language_version:
      - 2
      - 0
    .max_flat_workgroup_size: 384
    .name:           _ZN7rocprim17ROCPRIM_400000_NS6detail17trampoline_kernelINS0_14default_configENS1_25partition_config_selectorILNS1_17partition_subalgoE8ElNS0_10empty_typeEbEEZZNS1_14partition_implILS5_8ELb0ES3_jPlPS6_PKS6_NS0_5tupleIJS9_S6_EEENSD_IJSA_SA_EEENS0_18inequality_wrapperIZN2at6native12_GLOBAL__N_124unique_dim_cuda_templateIaEESt5tupleIJNSH_6TensorESM_SM_EERKSM_lbbbEUlllE0_EEPmJS6_EEE10hipError_tPvRmT3_T4_T5_T6_T7_T9_mT8_P12ihipStream_tbDpT10_ENKUlT_T0_E_clISt17integral_constantIbLb0EES1C_EEDaS17_S18_EUlS17_E_NS1_11comp_targetILNS1_3genE10ELNS1_11target_archE1200ELNS1_3gpuE4ELNS1_3repE0EEENS1_30default_config_static_selectorELNS0_4arch9wavefront6targetE1EEEvT1_
    .private_segment_fixed_size: 0
    .sgpr_count:     6
    .sgpr_spill_count: 0
    .symbol:         _ZN7rocprim17ROCPRIM_400000_NS6detail17trampoline_kernelINS0_14default_configENS1_25partition_config_selectorILNS1_17partition_subalgoE8ElNS0_10empty_typeEbEEZZNS1_14partition_implILS5_8ELb0ES3_jPlPS6_PKS6_NS0_5tupleIJS9_S6_EEENSD_IJSA_SA_EEENS0_18inequality_wrapperIZN2at6native12_GLOBAL__N_124unique_dim_cuda_templateIaEESt5tupleIJNSH_6TensorESM_SM_EERKSM_lbbbEUlllE0_EEPmJS6_EEE10hipError_tPvRmT3_T4_T5_T6_T7_T9_mT8_P12ihipStream_tbDpT10_ENKUlT_T0_E_clISt17integral_constantIbLb0EES1C_EEDaS17_S18_EUlS17_E_NS1_11comp_targetILNS1_3genE10ELNS1_11target_archE1200ELNS1_3gpuE4ELNS1_3repE0EEENS1_30default_config_static_selectorELNS0_4arch9wavefront6targetE1EEEvT1_.kd
    .uniform_work_group_size: 1
    .uses_dynamic_stack: false
    .vgpr_count:     0
    .vgpr_spill_count: 0
    .wavefront_size: 64
  - .agpr_count:     0
    .args:
      - .offset:         0
        .size:           120
        .value_kind:     by_value
    .group_segment_fixed_size: 0
    .kernarg_segment_align: 8
    .kernarg_segment_size: 120
    .language:       OpenCL C
    .language_version:
      - 2
      - 0
    .max_flat_workgroup_size: 512
    .name:           _ZN7rocprim17ROCPRIM_400000_NS6detail17trampoline_kernelINS0_14default_configENS1_25partition_config_selectorILNS1_17partition_subalgoE8ElNS0_10empty_typeEbEEZZNS1_14partition_implILS5_8ELb0ES3_jPlPS6_PKS6_NS0_5tupleIJS9_S6_EEENSD_IJSA_SA_EEENS0_18inequality_wrapperIZN2at6native12_GLOBAL__N_124unique_dim_cuda_templateIaEESt5tupleIJNSH_6TensorESM_SM_EERKSM_lbbbEUlllE0_EEPmJS6_EEE10hipError_tPvRmT3_T4_T5_T6_T7_T9_mT8_P12ihipStream_tbDpT10_ENKUlT_T0_E_clISt17integral_constantIbLb0EES1C_EEDaS17_S18_EUlS17_E_NS1_11comp_targetILNS1_3genE9ELNS1_11target_archE1100ELNS1_3gpuE3ELNS1_3repE0EEENS1_30default_config_static_selectorELNS0_4arch9wavefront6targetE1EEEvT1_
    .private_segment_fixed_size: 0
    .sgpr_count:     6
    .sgpr_spill_count: 0
    .symbol:         _ZN7rocprim17ROCPRIM_400000_NS6detail17trampoline_kernelINS0_14default_configENS1_25partition_config_selectorILNS1_17partition_subalgoE8ElNS0_10empty_typeEbEEZZNS1_14partition_implILS5_8ELb0ES3_jPlPS6_PKS6_NS0_5tupleIJS9_S6_EEENSD_IJSA_SA_EEENS0_18inequality_wrapperIZN2at6native12_GLOBAL__N_124unique_dim_cuda_templateIaEESt5tupleIJNSH_6TensorESM_SM_EERKSM_lbbbEUlllE0_EEPmJS6_EEE10hipError_tPvRmT3_T4_T5_T6_T7_T9_mT8_P12ihipStream_tbDpT10_ENKUlT_T0_E_clISt17integral_constantIbLb0EES1C_EEDaS17_S18_EUlS17_E_NS1_11comp_targetILNS1_3genE9ELNS1_11target_archE1100ELNS1_3gpuE3ELNS1_3repE0EEENS1_30default_config_static_selectorELNS0_4arch9wavefront6targetE1EEEvT1_.kd
    .uniform_work_group_size: 1
    .uses_dynamic_stack: false
    .vgpr_count:     0
    .vgpr_spill_count: 0
    .wavefront_size: 64
  - .agpr_count:     0
    .args:
      - .offset:         0
        .size:           120
        .value_kind:     by_value
    .group_segment_fixed_size: 0
    .kernarg_segment_align: 8
    .kernarg_segment_size: 120
    .language:       OpenCL C
    .language_version:
      - 2
      - 0
    .max_flat_workgroup_size: 512
    .name:           _ZN7rocprim17ROCPRIM_400000_NS6detail17trampoline_kernelINS0_14default_configENS1_25partition_config_selectorILNS1_17partition_subalgoE8ElNS0_10empty_typeEbEEZZNS1_14partition_implILS5_8ELb0ES3_jPlPS6_PKS6_NS0_5tupleIJS9_S6_EEENSD_IJSA_SA_EEENS0_18inequality_wrapperIZN2at6native12_GLOBAL__N_124unique_dim_cuda_templateIaEESt5tupleIJNSH_6TensorESM_SM_EERKSM_lbbbEUlllE0_EEPmJS6_EEE10hipError_tPvRmT3_T4_T5_T6_T7_T9_mT8_P12ihipStream_tbDpT10_ENKUlT_T0_E_clISt17integral_constantIbLb0EES1C_EEDaS17_S18_EUlS17_E_NS1_11comp_targetILNS1_3genE8ELNS1_11target_archE1030ELNS1_3gpuE2ELNS1_3repE0EEENS1_30default_config_static_selectorELNS0_4arch9wavefront6targetE1EEEvT1_
    .private_segment_fixed_size: 0
    .sgpr_count:     6
    .sgpr_spill_count: 0
    .symbol:         _ZN7rocprim17ROCPRIM_400000_NS6detail17trampoline_kernelINS0_14default_configENS1_25partition_config_selectorILNS1_17partition_subalgoE8ElNS0_10empty_typeEbEEZZNS1_14partition_implILS5_8ELb0ES3_jPlPS6_PKS6_NS0_5tupleIJS9_S6_EEENSD_IJSA_SA_EEENS0_18inequality_wrapperIZN2at6native12_GLOBAL__N_124unique_dim_cuda_templateIaEESt5tupleIJNSH_6TensorESM_SM_EERKSM_lbbbEUlllE0_EEPmJS6_EEE10hipError_tPvRmT3_T4_T5_T6_T7_T9_mT8_P12ihipStream_tbDpT10_ENKUlT_T0_E_clISt17integral_constantIbLb0EES1C_EEDaS17_S18_EUlS17_E_NS1_11comp_targetILNS1_3genE8ELNS1_11target_archE1030ELNS1_3gpuE2ELNS1_3repE0EEENS1_30default_config_static_selectorELNS0_4arch9wavefront6targetE1EEEvT1_.kd
    .uniform_work_group_size: 1
    .uses_dynamic_stack: false
    .vgpr_count:     0
    .vgpr_spill_count: 0
    .wavefront_size: 64
  - .agpr_count:     0
    .args:
      - .offset:         0
        .size:           136
        .value_kind:     by_value
    .group_segment_fixed_size: 0
    .kernarg_segment_align: 8
    .kernarg_segment_size: 136
    .language:       OpenCL C
    .language_version:
      - 2
      - 0
    .max_flat_workgroup_size: 512
    .name:           _ZN7rocprim17ROCPRIM_400000_NS6detail17trampoline_kernelINS0_14default_configENS1_25partition_config_selectorILNS1_17partition_subalgoE8ElNS0_10empty_typeEbEEZZNS1_14partition_implILS5_8ELb0ES3_jPlPS6_PKS6_NS0_5tupleIJS9_S6_EEENSD_IJSA_SA_EEENS0_18inequality_wrapperIZN2at6native12_GLOBAL__N_124unique_dim_cuda_templateIaEESt5tupleIJNSH_6TensorESM_SM_EERKSM_lbbbEUlllE0_EEPmJS6_EEE10hipError_tPvRmT3_T4_T5_T6_T7_T9_mT8_P12ihipStream_tbDpT10_ENKUlT_T0_E_clISt17integral_constantIbLb1EES1C_EEDaS17_S18_EUlS17_E_NS1_11comp_targetILNS1_3genE0ELNS1_11target_archE4294967295ELNS1_3gpuE0ELNS1_3repE0EEENS1_30default_config_static_selectorELNS0_4arch9wavefront6targetE1EEEvT1_
    .private_segment_fixed_size: 0
    .sgpr_count:     6
    .sgpr_spill_count: 0
    .symbol:         _ZN7rocprim17ROCPRIM_400000_NS6detail17trampoline_kernelINS0_14default_configENS1_25partition_config_selectorILNS1_17partition_subalgoE8ElNS0_10empty_typeEbEEZZNS1_14partition_implILS5_8ELb0ES3_jPlPS6_PKS6_NS0_5tupleIJS9_S6_EEENSD_IJSA_SA_EEENS0_18inequality_wrapperIZN2at6native12_GLOBAL__N_124unique_dim_cuda_templateIaEESt5tupleIJNSH_6TensorESM_SM_EERKSM_lbbbEUlllE0_EEPmJS6_EEE10hipError_tPvRmT3_T4_T5_T6_T7_T9_mT8_P12ihipStream_tbDpT10_ENKUlT_T0_E_clISt17integral_constantIbLb1EES1C_EEDaS17_S18_EUlS17_E_NS1_11comp_targetILNS1_3genE0ELNS1_11target_archE4294967295ELNS1_3gpuE0ELNS1_3repE0EEENS1_30default_config_static_selectorELNS0_4arch9wavefront6targetE1EEEvT1_.kd
    .uniform_work_group_size: 1
    .uses_dynamic_stack: false
    .vgpr_count:     0
    .vgpr_spill_count: 0
    .wavefront_size: 64
  - .agpr_count:     0
    .args:
      - .offset:         0
        .size:           136
        .value_kind:     by_value
    .group_segment_fixed_size: 28684
    .kernarg_segment_align: 8
    .kernarg_segment_size: 136
    .language:       OpenCL C
    .language_version:
      - 2
      - 0
    .max_flat_workgroup_size: 512
    .name:           _ZN7rocprim17ROCPRIM_400000_NS6detail17trampoline_kernelINS0_14default_configENS1_25partition_config_selectorILNS1_17partition_subalgoE8ElNS0_10empty_typeEbEEZZNS1_14partition_implILS5_8ELb0ES3_jPlPS6_PKS6_NS0_5tupleIJS9_S6_EEENSD_IJSA_SA_EEENS0_18inequality_wrapperIZN2at6native12_GLOBAL__N_124unique_dim_cuda_templateIaEESt5tupleIJNSH_6TensorESM_SM_EERKSM_lbbbEUlllE0_EEPmJS6_EEE10hipError_tPvRmT3_T4_T5_T6_T7_T9_mT8_P12ihipStream_tbDpT10_ENKUlT_T0_E_clISt17integral_constantIbLb1EES1C_EEDaS17_S18_EUlS17_E_NS1_11comp_targetILNS1_3genE5ELNS1_11target_archE942ELNS1_3gpuE9ELNS1_3repE0EEENS1_30default_config_static_selectorELNS0_4arch9wavefront6targetE1EEEvT1_
    .private_segment_fixed_size: 0
    .sgpr_count:     62
    .sgpr_spill_count: 0
    .symbol:         _ZN7rocprim17ROCPRIM_400000_NS6detail17trampoline_kernelINS0_14default_configENS1_25partition_config_selectorILNS1_17partition_subalgoE8ElNS0_10empty_typeEbEEZZNS1_14partition_implILS5_8ELb0ES3_jPlPS6_PKS6_NS0_5tupleIJS9_S6_EEENSD_IJSA_SA_EEENS0_18inequality_wrapperIZN2at6native12_GLOBAL__N_124unique_dim_cuda_templateIaEESt5tupleIJNSH_6TensorESM_SM_EERKSM_lbbbEUlllE0_EEPmJS6_EEE10hipError_tPvRmT3_T4_T5_T6_T7_T9_mT8_P12ihipStream_tbDpT10_ENKUlT_T0_E_clISt17integral_constantIbLb1EES1C_EEDaS17_S18_EUlS17_E_NS1_11comp_targetILNS1_3genE5ELNS1_11target_archE942ELNS1_3gpuE9ELNS1_3repE0EEENS1_30default_config_static_selectorELNS0_4arch9wavefront6targetE1EEEvT1_.kd
    .uniform_work_group_size: 1
    .uses_dynamic_stack: false
    .vgpr_count:     52
    .vgpr_spill_count: 0
    .wavefront_size: 64
  - .agpr_count:     0
    .args:
      - .offset:         0
        .size:           136
        .value_kind:     by_value
    .group_segment_fixed_size: 0
    .kernarg_segment_align: 8
    .kernarg_segment_size: 136
    .language:       OpenCL C
    .language_version:
      - 2
      - 0
    .max_flat_workgroup_size: 256
    .name:           _ZN7rocprim17ROCPRIM_400000_NS6detail17trampoline_kernelINS0_14default_configENS1_25partition_config_selectorILNS1_17partition_subalgoE8ElNS0_10empty_typeEbEEZZNS1_14partition_implILS5_8ELb0ES3_jPlPS6_PKS6_NS0_5tupleIJS9_S6_EEENSD_IJSA_SA_EEENS0_18inequality_wrapperIZN2at6native12_GLOBAL__N_124unique_dim_cuda_templateIaEESt5tupleIJNSH_6TensorESM_SM_EERKSM_lbbbEUlllE0_EEPmJS6_EEE10hipError_tPvRmT3_T4_T5_T6_T7_T9_mT8_P12ihipStream_tbDpT10_ENKUlT_T0_E_clISt17integral_constantIbLb1EES1C_EEDaS17_S18_EUlS17_E_NS1_11comp_targetILNS1_3genE4ELNS1_11target_archE910ELNS1_3gpuE8ELNS1_3repE0EEENS1_30default_config_static_selectorELNS0_4arch9wavefront6targetE1EEEvT1_
    .private_segment_fixed_size: 0
    .sgpr_count:     6
    .sgpr_spill_count: 0
    .symbol:         _ZN7rocprim17ROCPRIM_400000_NS6detail17trampoline_kernelINS0_14default_configENS1_25partition_config_selectorILNS1_17partition_subalgoE8ElNS0_10empty_typeEbEEZZNS1_14partition_implILS5_8ELb0ES3_jPlPS6_PKS6_NS0_5tupleIJS9_S6_EEENSD_IJSA_SA_EEENS0_18inequality_wrapperIZN2at6native12_GLOBAL__N_124unique_dim_cuda_templateIaEESt5tupleIJNSH_6TensorESM_SM_EERKSM_lbbbEUlllE0_EEPmJS6_EEE10hipError_tPvRmT3_T4_T5_T6_T7_T9_mT8_P12ihipStream_tbDpT10_ENKUlT_T0_E_clISt17integral_constantIbLb1EES1C_EEDaS17_S18_EUlS17_E_NS1_11comp_targetILNS1_3genE4ELNS1_11target_archE910ELNS1_3gpuE8ELNS1_3repE0EEENS1_30default_config_static_selectorELNS0_4arch9wavefront6targetE1EEEvT1_.kd
    .uniform_work_group_size: 1
    .uses_dynamic_stack: false
    .vgpr_count:     0
    .vgpr_spill_count: 0
    .wavefront_size: 64
  - .agpr_count:     0
    .args:
      - .offset:         0
        .size:           136
        .value_kind:     by_value
    .group_segment_fixed_size: 0
    .kernarg_segment_align: 8
    .kernarg_segment_size: 136
    .language:       OpenCL C
    .language_version:
      - 2
      - 0
    .max_flat_workgroup_size: 512
    .name:           _ZN7rocprim17ROCPRIM_400000_NS6detail17trampoline_kernelINS0_14default_configENS1_25partition_config_selectorILNS1_17partition_subalgoE8ElNS0_10empty_typeEbEEZZNS1_14partition_implILS5_8ELb0ES3_jPlPS6_PKS6_NS0_5tupleIJS9_S6_EEENSD_IJSA_SA_EEENS0_18inequality_wrapperIZN2at6native12_GLOBAL__N_124unique_dim_cuda_templateIaEESt5tupleIJNSH_6TensorESM_SM_EERKSM_lbbbEUlllE0_EEPmJS6_EEE10hipError_tPvRmT3_T4_T5_T6_T7_T9_mT8_P12ihipStream_tbDpT10_ENKUlT_T0_E_clISt17integral_constantIbLb1EES1C_EEDaS17_S18_EUlS17_E_NS1_11comp_targetILNS1_3genE3ELNS1_11target_archE908ELNS1_3gpuE7ELNS1_3repE0EEENS1_30default_config_static_selectorELNS0_4arch9wavefront6targetE1EEEvT1_
    .private_segment_fixed_size: 0
    .sgpr_count:     6
    .sgpr_spill_count: 0
    .symbol:         _ZN7rocprim17ROCPRIM_400000_NS6detail17trampoline_kernelINS0_14default_configENS1_25partition_config_selectorILNS1_17partition_subalgoE8ElNS0_10empty_typeEbEEZZNS1_14partition_implILS5_8ELb0ES3_jPlPS6_PKS6_NS0_5tupleIJS9_S6_EEENSD_IJSA_SA_EEENS0_18inequality_wrapperIZN2at6native12_GLOBAL__N_124unique_dim_cuda_templateIaEESt5tupleIJNSH_6TensorESM_SM_EERKSM_lbbbEUlllE0_EEPmJS6_EEE10hipError_tPvRmT3_T4_T5_T6_T7_T9_mT8_P12ihipStream_tbDpT10_ENKUlT_T0_E_clISt17integral_constantIbLb1EES1C_EEDaS17_S18_EUlS17_E_NS1_11comp_targetILNS1_3genE3ELNS1_11target_archE908ELNS1_3gpuE7ELNS1_3repE0EEENS1_30default_config_static_selectorELNS0_4arch9wavefront6targetE1EEEvT1_.kd
    .uniform_work_group_size: 1
    .uses_dynamic_stack: false
    .vgpr_count:     0
    .vgpr_spill_count: 0
    .wavefront_size: 64
  - .agpr_count:     0
    .args:
      - .offset:         0
        .size:           136
        .value_kind:     by_value
    .group_segment_fixed_size: 0
    .kernarg_segment_align: 8
    .kernarg_segment_size: 136
    .language:       OpenCL C
    .language_version:
      - 2
      - 0
    .max_flat_workgroup_size: 256
    .name:           _ZN7rocprim17ROCPRIM_400000_NS6detail17trampoline_kernelINS0_14default_configENS1_25partition_config_selectorILNS1_17partition_subalgoE8ElNS0_10empty_typeEbEEZZNS1_14partition_implILS5_8ELb0ES3_jPlPS6_PKS6_NS0_5tupleIJS9_S6_EEENSD_IJSA_SA_EEENS0_18inequality_wrapperIZN2at6native12_GLOBAL__N_124unique_dim_cuda_templateIaEESt5tupleIJNSH_6TensorESM_SM_EERKSM_lbbbEUlllE0_EEPmJS6_EEE10hipError_tPvRmT3_T4_T5_T6_T7_T9_mT8_P12ihipStream_tbDpT10_ENKUlT_T0_E_clISt17integral_constantIbLb1EES1C_EEDaS17_S18_EUlS17_E_NS1_11comp_targetILNS1_3genE2ELNS1_11target_archE906ELNS1_3gpuE6ELNS1_3repE0EEENS1_30default_config_static_selectorELNS0_4arch9wavefront6targetE1EEEvT1_
    .private_segment_fixed_size: 0
    .sgpr_count:     6
    .sgpr_spill_count: 0
    .symbol:         _ZN7rocprim17ROCPRIM_400000_NS6detail17trampoline_kernelINS0_14default_configENS1_25partition_config_selectorILNS1_17partition_subalgoE8ElNS0_10empty_typeEbEEZZNS1_14partition_implILS5_8ELb0ES3_jPlPS6_PKS6_NS0_5tupleIJS9_S6_EEENSD_IJSA_SA_EEENS0_18inequality_wrapperIZN2at6native12_GLOBAL__N_124unique_dim_cuda_templateIaEESt5tupleIJNSH_6TensorESM_SM_EERKSM_lbbbEUlllE0_EEPmJS6_EEE10hipError_tPvRmT3_T4_T5_T6_T7_T9_mT8_P12ihipStream_tbDpT10_ENKUlT_T0_E_clISt17integral_constantIbLb1EES1C_EEDaS17_S18_EUlS17_E_NS1_11comp_targetILNS1_3genE2ELNS1_11target_archE906ELNS1_3gpuE6ELNS1_3repE0EEENS1_30default_config_static_selectorELNS0_4arch9wavefront6targetE1EEEvT1_.kd
    .uniform_work_group_size: 1
    .uses_dynamic_stack: false
    .vgpr_count:     0
    .vgpr_spill_count: 0
    .wavefront_size: 64
  - .agpr_count:     0
    .args:
      - .offset:         0
        .size:           136
        .value_kind:     by_value
    .group_segment_fixed_size: 0
    .kernarg_segment_align: 8
    .kernarg_segment_size: 136
    .language:       OpenCL C
    .language_version:
      - 2
      - 0
    .max_flat_workgroup_size: 384
    .name:           _ZN7rocprim17ROCPRIM_400000_NS6detail17trampoline_kernelINS0_14default_configENS1_25partition_config_selectorILNS1_17partition_subalgoE8ElNS0_10empty_typeEbEEZZNS1_14partition_implILS5_8ELb0ES3_jPlPS6_PKS6_NS0_5tupleIJS9_S6_EEENSD_IJSA_SA_EEENS0_18inequality_wrapperIZN2at6native12_GLOBAL__N_124unique_dim_cuda_templateIaEESt5tupleIJNSH_6TensorESM_SM_EERKSM_lbbbEUlllE0_EEPmJS6_EEE10hipError_tPvRmT3_T4_T5_T6_T7_T9_mT8_P12ihipStream_tbDpT10_ENKUlT_T0_E_clISt17integral_constantIbLb1EES1C_EEDaS17_S18_EUlS17_E_NS1_11comp_targetILNS1_3genE10ELNS1_11target_archE1200ELNS1_3gpuE4ELNS1_3repE0EEENS1_30default_config_static_selectorELNS0_4arch9wavefront6targetE1EEEvT1_
    .private_segment_fixed_size: 0
    .sgpr_count:     6
    .sgpr_spill_count: 0
    .symbol:         _ZN7rocprim17ROCPRIM_400000_NS6detail17trampoline_kernelINS0_14default_configENS1_25partition_config_selectorILNS1_17partition_subalgoE8ElNS0_10empty_typeEbEEZZNS1_14partition_implILS5_8ELb0ES3_jPlPS6_PKS6_NS0_5tupleIJS9_S6_EEENSD_IJSA_SA_EEENS0_18inequality_wrapperIZN2at6native12_GLOBAL__N_124unique_dim_cuda_templateIaEESt5tupleIJNSH_6TensorESM_SM_EERKSM_lbbbEUlllE0_EEPmJS6_EEE10hipError_tPvRmT3_T4_T5_T6_T7_T9_mT8_P12ihipStream_tbDpT10_ENKUlT_T0_E_clISt17integral_constantIbLb1EES1C_EEDaS17_S18_EUlS17_E_NS1_11comp_targetILNS1_3genE10ELNS1_11target_archE1200ELNS1_3gpuE4ELNS1_3repE0EEENS1_30default_config_static_selectorELNS0_4arch9wavefront6targetE1EEEvT1_.kd
    .uniform_work_group_size: 1
    .uses_dynamic_stack: false
    .vgpr_count:     0
    .vgpr_spill_count: 0
    .wavefront_size: 64
  - .agpr_count:     0
    .args:
      - .offset:         0
        .size:           136
        .value_kind:     by_value
    .group_segment_fixed_size: 0
    .kernarg_segment_align: 8
    .kernarg_segment_size: 136
    .language:       OpenCL C
    .language_version:
      - 2
      - 0
    .max_flat_workgroup_size: 512
    .name:           _ZN7rocprim17ROCPRIM_400000_NS6detail17trampoline_kernelINS0_14default_configENS1_25partition_config_selectorILNS1_17partition_subalgoE8ElNS0_10empty_typeEbEEZZNS1_14partition_implILS5_8ELb0ES3_jPlPS6_PKS6_NS0_5tupleIJS9_S6_EEENSD_IJSA_SA_EEENS0_18inequality_wrapperIZN2at6native12_GLOBAL__N_124unique_dim_cuda_templateIaEESt5tupleIJNSH_6TensorESM_SM_EERKSM_lbbbEUlllE0_EEPmJS6_EEE10hipError_tPvRmT3_T4_T5_T6_T7_T9_mT8_P12ihipStream_tbDpT10_ENKUlT_T0_E_clISt17integral_constantIbLb1EES1C_EEDaS17_S18_EUlS17_E_NS1_11comp_targetILNS1_3genE9ELNS1_11target_archE1100ELNS1_3gpuE3ELNS1_3repE0EEENS1_30default_config_static_selectorELNS0_4arch9wavefront6targetE1EEEvT1_
    .private_segment_fixed_size: 0
    .sgpr_count:     6
    .sgpr_spill_count: 0
    .symbol:         _ZN7rocprim17ROCPRIM_400000_NS6detail17trampoline_kernelINS0_14default_configENS1_25partition_config_selectorILNS1_17partition_subalgoE8ElNS0_10empty_typeEbEEZZNS1_14partition_implILS5_8ELb0ES3_jPlPS6_PKS6_NS0_5tupleIJS9_S6_EEENSD_IJSA_SA_EEENS0_18inequality_wrapperIZN2at6native12_GLOBAL__N_124unique_dim_cuda_templateIaEESt5tupleIJNSH_6TensorESM_SM_EERKSM_lbbbEUlllE0_EEPmJS6_EEE10hipError_tPvRmT3_T4_T5_T6_T7_T9_mT8_P12ihipStream_tbDpT10_ENKUlT_T0_E_clISt17integral_constantIbLb1EES1C_EEDaS17_S18_EUlS17_E_NS1_11comp_targetILNS1_3genE9ELNS1_11target_archE1100ELNS1_3gpuE3ELNS1_3repE0EEENS1_30default_config_static_selectorELNS0_4arch9wavefront6targetE1EEEvT1_.kd
    .uniform_work_group_size: 1
    .uses_dynamic_stack: false
    .vgpr_count:     0
    .vgpr_spill_count: 0
    .wavefront_size: 64
  - .agpr_count:     0
    .args:
      - .offset:         0
        .size:           136
        .value_kind:     by_value
    .group_segment_fixed_size: 0
    .kernarg_segment_align: 8
    .kernarg_segment_size: 136
    .language:       OpenCL C
    .language_version:
      - 2
      - 0
    .max_flat_workgroup_size: 512
    .name:           _ZN7rocprim17ROCPRIM_400000_NS6detail17trampoline_kernelINS0_14default_configENS1_25partition_config_selectorILNS1_17partition_subalgoE8ElNS0_10empty_typeEbEEZZNS1_14partition_implILS5_8ELb0ES3_jPlPS6_PKS6_NS0_5tupleIJS9_S6_EEENSD_IJSA_SA_EEENS0_18inequality_wrapperIZN2at6native12_GLOBAL__N_124unique_dim_cuda_templateIaEESt5tupleIJNSH_6TensorESM_SM_EERKSM_lbbbEUlllE0_EEPmJS6_EEE10hipError_tPvRmT3_T4_T5_T6_T7_T9_mT8_P12ihipStream_tbDpT10_ENKUlT_T0_E_clISt17integral_constantIbLb1EES1C_EEDaS17_S18_EUlS17_E_NS1_11comp_targetILNS1_3genE8ELNS1_11target_archE1030ELNS1_3gpuE2ELNS1_3repE0EEENS1_30default_config_static_selectorELNS0_4arch9wavefront6targetE1EEEvT1_
    .private_segment_fixed_size: 0
    .sgpr_count:     6
    .sgpr_spill_count: 0
    .symbol:         _ZN7rocprim17ROCPRIM_400000_NS6detail17trampoline_kernelINS0_14default_configENS1_25partition_config_selectorILNS1_17partition_subalgoE8ElNS0_10empty_typeEbEEZZNS1_14partition_implILS5_8ELb0ES3_jPlPS6_PKS6_NS0_5tupleIJS9_S6_EEENSD_IJSA_SA_EEENS0_18inequality_wrapperIZN2at6native12_GLOBAL__N_124unique_dim_cuda_templateIaEESt5tupleIJNSH_6TensorESM_SM_EERKSM_lbbbEUlllE0_EEPmJS6_EEE10hipError_tPvRmT3_T4_T5_T6_T7_T9_mT8_P12ihipStream_tbDpT10_ENKUlT_T0_E_clISt17integral_constantIbLb1EES1C_EEDaS17_S18_EUlS17_E_NS1_11comp_targetILNS1_3genE8ELNS1_11target_archE1030ELNS1_3gpuE2ELNS1_3repE0EEENS1_30default_config_static_selectorELNS0_4arch9wavefront6targetE1EEEvT1_.kd
    .uniform_work_group_size: 1
    .uses_dynamic_stack: false
    .vgpr_count:     0
    .vgpr_spill_count: 0
    .wavefront_size: 64
  - .agpr_count:     0
    .args:
      - .offset:         0
        .size:           120
        .value_kind:     by_value
    .group_segment_fixed_size: 0
    .kernarg_segment_align: 8
    .kernarg_segment_size: 120
    .language:       OpenCL C
    .language_version:
      - 2
      - 0
    .max_flat_workgroup_size: 512
    .name:           _ZN7rocprim17ROCPRIM_400000_NS6detail17trampoline_kernelINS0_14default_configENS1_25partition_config_selectorILNS1_17partition_subalgoE8ElNS0_10empty_typeEbEEZZNS1_14partition_implILS5_8ELb0ES3_jPlPS6_PKS6_NS0_5tupleIJS9_S6_EEENSD_IJSA_SA_EEENS0_18inequality_wrapperIZN2at6native12_GLOBAL__N_124unique_dim_cuda_templateIaEESt5tupleIJNSH_6TensorESM_SM_EERKSM_lbbbEUlllE0_EEPmJS6_EEE10hipError_tPvRmT3_T4_T5_T6_T7_T9_mT8_P12ihipStream_tbDpT10_ENKUlT_T0_E_clISt17integral_constantIbLb1EES1B_IbLb0EEEEDaS17_S18_EUlS17_E_NS1_11comp_targetILNS1_3genE0ELNS1_11target_archE4294967295ELNS1_3gpuE0ELNS1_3repE0EEENS1_30default_config_static_selectorELNS0_4arch9wavefront6targetE1EEEvT1_
    .private_segment_fixed_size: 0
    .sgpr_count:     6
    .sgpr_spill_count: 0
    .symbol:         _ZN7rocprim17ROCPRIM_400000_NS6detail17trampoline_kernelINS0_14default_configENS1_25partition_config_selectorILNS1_17partition_subalgoE8ElNS0_10empty_typeEbEEZZNS1_14partition_implILS5_8ELb0ES3_jPlPS6_PKS6_NS0_5tupleIJS9_S6_EEENSD_IJSA_SA_EEENS0_18inequality_wrapperIZN2at6native12_GLOBAL__N_124unique_dim_cuda_templateIaEESt5tupleIJNSH_6TensorESM_SM_EERKSM_lbbbEUlllE0_EEPmJS6_EEE10hipError_tPvRmT3_T4_T5_T6_T7_T9_mT8_P12ihipStream_tbDpT10_ENKUlT_T0_E_clISt17integral_constantIbLb1EES1B_IbLb0EEEEDaS17_S18_EUlS17_E_NS1_11comp_targetILNS1_3genE0ELNS1_11target_archE4294967295ELNS1_3gpuE0ELNS1_3repE0EEENS1_30default_config_static_selectorELNS0_4arch9wavefront6targetE1EEEvT1_.kd
    .uniform_work_group_size: 1
    .uses_dynamic_stack: false
    .vgpr_count:     0
    .vgpr_spill_count: 0
    .wavefront_size: 64
  - .agpr_count:     0
    .args:
      - .offset:         0
        .size:           120
        .value_kind:     by_value
    .group_segment_fixed_size: 28684
    .kernarg_segment_align: 8
    .kernarg_segment_size: 120
    .language:       OpenCL C
    .language_version:
      - 2
      - 0
    .max_flat_workgroup_size: 512
    .name:           _ZN7rocprim17ROCPRIM_400000_NS6detail17trampoline_kernelINS0_14default_configENS1_25partition_config_selectorILNS1_17partition_subalgoE8ElNS0_10empty_typeEbEEZZNS1_14partition_implILS5_8ELb0ES3_jPlPS6_PKS6_NS0_5tupleIJS9_S6_EEENSD_IJSA_SA_EEENS0_18inequality_wrapperIZN2at6native12_GLOBAL__N_124unique_dim_cuda_templateIaEESt5tupleIJNSH_6TensorESM_SM_EERKSM_lbbbEUlllE0_EEPmJS6_EEE10hipError_tPvRmT3_T4_T5_T6_T7_T9_mT8_P12ihipStream_tbDpT10_ENKUlT_T0_E_clISt17integral_constantIbLb1EES1B_IbLb0EEEEDaS17_S18_EUlS17_E_NS1_11comp_targetILNS1_3genE5ELNS1_11target_archE942ELNS1_3gpuE9ELNS1_3repE0EEENS1_30default_config_static_selectorELNS0_4arch9wavefront6targetE1EEEvT1_
    .private_segment_fixed_size: 0
    .sgpr_count:     58
    .sgpr_spill_count: 0
    .symbol:         _ZN7rocprim17ROCPRIM_400000_NS6detail17trampoline_kernelINS0_14default_configENS1_25partition_config_selectorILNS1_17partition_subalgoE8ElNS0_10empty_typeEbEEZZNS1_14partition_implILS5_8ELb0ES3_jPlPS6_PKS6_NS0_5tupleIJS9_S6_EEENSD_IJSA_SA_EEENS0_18inequality_wrapperIZN2at6native12_GLOBAL__N_124unique_dim_cuda_templateIaEESt5tupleIJNSH_6TensorESM_SM_EERKSM_lbbbEUlllE0_EEPmJS6_EEE10hipError_tPvRmT3_T4_T5_T6_T7_T9_mT8_P12ihipStream_tbDpT10_ENKUlT_T0_E_clISt17integral_constantIbLb1EES1B_IbLb0EEEEDaS17_S18_EUlS17_E_NS1_11comp_targetILNS1_3genE5ELNS1_11target_archE942ELNS1_3gpuE9ELNS1_3repE0EEENS1_30default_config_static_selectorELNS0_4arch9wavefront6targetE1EEEvT1_.kd
    .uniform_work_group_size: 1
    .uses_dynamic_stack: false
    .vgpr_count:     52
    .vgpr_spill_count: 0
    .wavefront_size: 64
  - .agpr_count:     0
    .args:
      - .offset:         0
        .size:           120
        .value_kind:     by_value
    .group_segment_fixed_size: 0
    .kernarg_segment_align: 8
    .kernarg_segment_size: 120
    .language:       OpenCL C
    .language_version:
      - 2
      - 0
    .max_flat_workgroup_size: 256
    .name:           _ZN7rocprim17ROCPRIM_400000_NS6detail17trampoline_kernelINS0_14default_configENS1_25partition_config_selectorILNS1_17partition_subalgoE8ElNS0_10empty_typeEbEEZZNS1_14partition_implILS5_8ELb0ES3_jPlPS6_PKS6_NS0_5tupleIJS9_S6_EEENSD_IJSA_SA_EEENS0_18inequality_wrapperIZN2at6native12_GLOBAL__N_124unique_dim_cuda_templateIaEESt5tupleIJNSH_6TensorESM_SM_EERKSM_lbbbEUlllE0_EEPmJS6_EEE10hipError_tPvRmT3_T4_T5_T6_T7_T9_mT8_P12ihipStream_tbDpT10_ENKUlT_T0_E_clISt17integral_constantIbLb1EES1B_IbLb0EEEEDaS17_S18_EUlS17_E_NS1_11comp_targetILNS1_3genE4ELNS1_11target_archE910ELNS1_3gpuE8ELNS1_3repE0EEENS1_30default_config_static_selectorELNS0_4arch9wavefront6targetE1EEEvT1_
    .private_segment_fixed_size: 0
    .sgpr_count:     6
    .sgpr_spill_count: 0
    .symbol:         _ZN7rocprim17ROCPRIM_400000_NS6detail17trampoline_kernelINS0_14default_configENS1_25partition_config_selectorILNS1_17partition_subalgoE8ElNS0_10empty_typeEbEEZZNS1_14partition_implILS5_8ELb0ES3_jPlPS6_PKS6_NS0_5tupleIJS9_S6_EEENSD_IJSA_SA_EEENS0_18inequality_wrapperIZN2at6native12_GLOBAL__N_124unique_dim_cuda_templateIaEESt5tupleIJNSH_6TensorESM_SM_EERKSM_lbbbEUlllE0_EEPmJS6_EEE10hipError_tPvRmT3_T4_T5_T6_T7_T9_mT8_P12ihipStream_tbDpT10_ENKUlT_T0_E_clISt17integral_constantIbLb1EES1B_IbLb0EEEEDaS17_S18_EUlS17_E_NS1_11comp_targetILNS1_3genE4ELNS1_11target_archE910ELNS1_3gpuE8ELNS1_3repE0EEENS1_30default_config_static_selectorELNS0_4arch9wavefront6targetE1EEEvT1_.kd
    .uniform_work_group_size: 1
    .uses_dynamic_stack: false
    .vgpr_count:     0
    .vgpr_spill_count: 0
    .wavefront_size: 64
  - .agpr_count:     0
    .args:
      - .offset:         0
        .size:           120
        .value_kind:     by_value
    .group_segment_fixed_size: 0
    .kernarg_segment_align: 8
    .kernarg_segment_size: 120
    .language:       OpenCL C
    .language_version:
      - 2
      - 0
    .max_flat_workgroup_size: 512
    .name:           _ZN7rocprim17ROCPRIM_400000_NS6detail17trampoline_kernelINS0_14default_configENS1_25partition_config_selectorILNS1_17partition_subalgoE8ElNS0_10empty_typeEbEEZZNS1_14partition_implILS5_8ELb0ES3_jPlPS6_PKS6_NS0_5tupleIJS9_S6_EEENSD_IJSA_SA_EEENS0_18inequality_wrapperIZN2at6native12_GLOBAL__N_124unique_dim_cuda_templateIaEESt5tupleIJNSH_6TensorESM_SM_EERKSM_lbbbEUlllE0_EEPmJS6_EEE10hipError_tPvRmT3_T4_T5_T6_T7_T9_mT8_P12ihipStream_tbDpT10_ENKUlT_T0_E_clISt17integral_constantIbLb1EES1B_IbLb0EEEEDaS17_S18_EUlS17_E_NS1_11comp_targetILNS1_3genE3ELNS1_11target_archE908ELNS1_3gpuE7ELNS1_3repE0EEENS1_30default_config_static_selectorELNS0_4arch9wavefront6targetE1EEEvT1_
    .private_segment_fixed_size: 0
    .sgpr_count:     6
    .sgpr_spill_count: 0
    .symbol:         _ZN7rocprim17ROCPRIM_400000_NS6detail17trampoline_kernelINS0_14default_configENS1_25partition_config_selectorILNS1_17partition_subalgoE8ElNS0_10empty_typeEbEEZZNS1_14partition_implILS5_8ELb0ES3_jPlPS6_PKS6_NS0_5tupleIJS9_S6_EEENSD_IJSA_SA_EEENS0_18inequality_wrapperIZN2at6native12_GLOBAL__N_124unique_dim_cuda_templateIaEESt5tupleIJNSH_6TensorESM_SM_EERKSM_lbbbEUlllE0_EEPmJS6_EEE10hipError_tPvRmT3_T4_T5_T6_T7_T9_mT8_P12ihipStream_tbDpT10_ENKUlT_T0_E_clISt17integral_constantIbLb1EES1B_IbLb0EEEEDaS17_S18_EUlS17_E_NS1_11comp_targetILNS1_3genE3ELNS1_11target_archE908ELNS1_3gpuE7ELNS1_3repE0EEENS1_30default_config_static_selectorELNS0_4arch9wavefront6targetE1EEEvT1_.kd
    .uniform_work_group_size: 1
    .uses_dynamic_stack: false
    .vgpr_count:     0
    .vgpr_spill_count: 0
    .wavefront_size: 64
  - .agpr_count:     0
    .args:
      - .offset:         0
        .size:           120
        .value_kind:     by_value
    .group_segment_fixed_size: 0
    .kernarg_segment_align: 8
    .kernarg_segment_size: 120
    .language:       OpenCL C
    .language_version:
      - 2
      - 0
    .max_flat_workgroup_size: 256
    .name:           _ZN7rocprim17ROCPRIM_400000_NS6detail17trampoline_kernelINS0_14default_configENS1_25partition_config_selectorILNS1_17partition_subalgoE8ElNS0_10empty_typeEbEEZZNS1_14partition_implILS5_8ELb0ES3_jPlPS6_PKS6_NS0_5tupleIJS9_S6_EEENSD_IJSA_SA_EEENS0_18inequality_wrapperIZN2at6native12_GLOBAL__N_124unique_dim_cuda_templateIaEESt5tupleIJNSH_6TensorESM_SM_EERKSM_lbbbEUlllE0_EEPmJS6_EEE10hipError_tPvRmT3_T4_T5_T6_T7_T9_mT8_P12ihipStream_tbDpT10_ENKUlT_T0_E_clISt17integral_constantIbLb1EES1B_IbLb0EEEEDaS17_S18_EUlS17_E_NS1_11comp_targetILNS1_3genE2ELNS1_11target_archE906ELNS1_3gpuE6ELNS1_3repE0EEENS1_30default_config_static_selectorELNS0_4arch9wavefront6targetE1EEEvT1_
    .private_segment_fixed_size: 0
    .sgpr_count:     6
    .sgpr_spill_count: 0
    .symbol:         _ZN7rocprim17ROCPRIM_400000_NS6detail17trampoline_kernelINS0_14default_configENS1_25partition_config_selectorILNS1_17partition_subalgoE8ElNS0_10empty_typeEbEEZZNS1_14partition_implILS5_8ELb0ES3_jPlPS6_PKS6_NS0_5tupleIJS9_S6_EEENSD_IJSA_SA_EEENS0_18inequality_wrapperIZN2at6native12_GLOBAL__N_124unique_dim_cuda_templateIaEESt5tupleIJNSH_6TensorESM_SM_EERKSM_lbbbEUlllE0_EEPmJS6_EEE10hipError_tPvRmT3_T4_T5_T6_T7_T9_mT8_P12ihipStream_tbDpT10_ENKUlT_T0_E_clISt17integral_constantIbLb1EES1B_IbLb0EEEEDaS17_S18_EUlS17_E_NS1_11comp_targetILNS1_3genE2ELNS1_11target_archE906ELNS1_3gpuE6ELNS1_3repE0EEENS1_30default_config_static_selectorELNS0_4arch9wavefront6targetE1EEEvT1_.kd
    .uniform_work_group_size: 1
    .uses_dynamic_stack: false
    .vgpr_count:     0
    .vgpr_spill_count: 0
    .wavefront_size: 64
  - .agpr_count:     0
    .args:
      - .offset:         0
        .size:           120
        .value_kind:     by_value
    .group_segment_fixed_size: 0
    .kernarg_segment_align: 8
    .kernarg_segment_size: 120
    .language:       OpenCL C
    .language_version:
      - 2
      - 0
    .max_flat_workgroup_size: 384
    .name:           _ZN7rocprim17ROCPRIM_400000_NS6detail17trampoline_kernelINS0_14default_configENS1_25partition_config_selectorILNS1_17partition_subalgoE8ElNS0_10empty_typeEbEEZZNS1_14partition_implILS5_8ELb0ES3_jPlPS6_PKS6_NS0_5tupleIJS9_S6_EEENSD_IJSA_SA_EEENS0_18inequality_wrapperIZN2at6native12_GLOBAL__N_124unique_dim_cuda_templateIaEESt5tupleIJNSH_6TensorESM_SM_EERKSM_lbbbEUlllE0_EEPmJS6_EEE10hipError_tPvRmT3_T4_T5_T6_T7_T9_mT8_P12ihipStream_tbDpT10_ENKUlT_T0_E_clISt17integral_constantIbLb1EES1B_IbLb0EEEEDaS17_S18_EUlS17_E_NS1_11comp_targetILNS1_3genE10ELNS1_11target_archE1200ELNS1_3gpuE4ELNS1_3repE0EEENS1_30default_config_static_selectorELNS0_4arch9wavefront6targetE1EEEvT1_
    .private_segment_fixed_size: 0
    .sgpr_count:     6
    .sgpr_spill_count: 0
    .symbol:         _ZN7rocprim17ROCPRIM_400000_NS6detail17trampoline_kernelINS0_14default_configENS1_25partition_config_selectorILNS1_17partition_subalgoE8ElNS0_10empty_typeEbEEZZNS1_14partition_implILS5_8ELb0ES3_jPlPS6_PKS6_NS0_5tupleIJS9_S6_EEENSD_IJSA_SA_EEENS0_18inequality_wrapperIZN2at6native12_GLOBAL__N_124unique_dim_cuda_templateIaEESt5tupleIJNSH_6TensorESM_SM_EERKSM_lbbbEUlllE0_EEPmJS6_EEE10hipError_tPvRmT3_T4_T5_T6_T7_T9_mT8_P12ihipStream_tbDpT10_ENKUlT_T0_E_clISt17integral_constantIbLb1EES1B_IbLb0EEEEDaS17_S18_EUlS17_E_NS1_11comp_targetILNS1_3genE10ELNS1_11target_archE1200ELNS1_3gpuE4ELNS1_3repE0EEENS1_30default_config_static_selectorELNS0_4arch9wavefront6targetE1EEEvT1_.kd
    .uniform_work_group_size: 1
    .uses_dynamic_stack: false
    .vgpr_count:     0
    .vgpr_spill_count: 0
    .wavefront_size: 64
  - .agpr_count:     0
    .args:
      - .offset:         0
        .size:           120
        .value_kind:     by_value
    .group_segment_fixed_size: 0
    .kernarg_segment_align: 8
    .kernarg_segment_size: 120
    .language:       OpenCL C
    .language_version:
      - 2
      - 0
    .max_flat_workgroup_size: 512
    .name:           _ZN7rocprim17ROCPRIM_400000_NS6detail17trampoline_kernelINS0_14default_configENS1_25partition_config_selectorILNS1_17partition_subalgoE8ElNS0_10empty_typeEbEEZZNS1_14partition_implILS5_8ELb0ES3_jPlPS6_PKS6_NS0_5tupleIJS9_S6_EEENSD_IJSA_SA_EEENS0_18inequality_wrapperIZN2at6native12_GLOBAL__N_124unique_dim_cuda_templateIaEESt5tupleIJNSH_6TensorESM_SM_EERKSM_lbbbEUlllE0_EEPmJS6_EEE10hipError_tPvRmT3_T4_T5_T6_T7_T9_mT8_P12ihipStream_tbDpT10_ENKUlT_T0_E_clISt17integral_constantIbLb1EES1B_IbLb0EEEEDaS17_S18_EUlS17_E_NS1_11comp_targetILNS1_3genE9ELNS1_11target_archE1100ELNS1_3gpuE3ELNS1_3repE0EEENS1_30default_config_static_selectorELNS0_4arch9wavefront6targetE1EEEvT1_
    .private_segment_fixed_size: 0
    .sgpr_count:     6
    .sgpr_spill_count: 0
    .symbol:         _ZN7rocprim17ROCPRIM_400000_NS6detail17trampoline_kernelINS0_14default_configENS1_25partition_config_selectorILNS1_17partition_subalgoE8ElNS0_10empty_typeEbEEZZNS1_14partition_implILS5_8ELb0ES3_jPlPS6_PKS6_NS0_5tupleIJS9_S6_EEENSD_IJSA_SA_EEENS0_18inequality_wrapperIZN2at6native12_GLOBAL__N_124unique_dim_cuda_templateIaEESt5tupleIJNSH_6TensorESM_SM_EERKSM_lbbbEUlllE0_EEPmJS6_EEE10hipError_tPvRmT3_T4_T5_T6_T7_T9_mT8_P12ihipStream_tbDpT10_ENKUlT_T0_E_clISt17integral_constantIbLb1EES1B_IbLb0EEEEDaS17_S18_EUlS17_E_NS1_11comp_targetILNS1_3genE9ELNS1_11target_archE1100ELNS1_3gpuE3ELNS1_3repE0EEENS1_30default_config_static_selectorELNS0_4arch9wavefront6targetE1EEEvT1_.kd
    .uniform_work_group_size: 1
    .uses_dynamic_stack: false
    .vgpr_count:     0
    .vgpr_spill_count: 0
    .wavefront_size: 64
  - .agpr_count:     0
    .args:
      - .offset:         0
        .size:           120
        .value_kind:     by_value
    .group_segment_fixed_size: 0
    .kernarg_segment_align: 8
    .kernarg_segment_size: 120
    .language:       OpenCL C
    .language_version:
      - 2
      - 0
    .max_flat_workgroup_size: 512
    .name:           _ZN7rocprim17ROCPRIM_400000_NS6detail17trampoline_kernelINS0_14default_configENS1_25partition_config_selectorILNS1_17partition_subalgoE8ElNS0_10empty_typeEbEEZZNS1_14partition_implILS5_8ELb0ES3_jPlPS6_PKS6_NS0_5tupleIJS9_S6_EEENSD_IJSA_SA_EEENS0_18inequality_wrapperIZN2at6native12_GLOBAL__N_124unique_dim_cuda_templateIaEESt5tupleIJNSH_6TensorESM_SM_EERKSM_lbbbEUlllE0_EEPmJS6_EEE10hipError_tPvRmT3_T4_T5_T6_T7_T9_mT8_P12ihipStream_tbDpT10_ENKUlT_T0_E_clISt17integral_constantIbLb1EES1B_IbLb0EEEEDaS17_S18_EUlS17_E_NS1_11comp_targetILNS1_3genE8ELNS1_11target_archE1030ELNS1_3gpuE2ELNS1_3repE0EEENS1_30default_config_static_selectorELNS0_4arch9wavefront6targetE1EEEvT1_
    .private_segment_fixed_size: 0
    .sgpr_count:     6
    .sgpr_spill_count: 0
    .symbol:         _ZN7rocprim17ROCPRIM_400000_NS6detail17trampoline_kernelINS0_14default_configENS1_25partition_config_selectorILNS1_17partition_subalgoE8ElNS0_10empty_typeEbEEZZNS1_14partition_implILS5_8ELb0ES3_jPlPS6_PKS6_NS0_5tupleIJS9_S6_EEENSD_IJSA_SA_EEENS0_18inequality_wrapperIZN2at6native12_GLOBAL__N_124unique_dim_cuda_templateIaEESt5tupleIJNSH_6TensorESM_SM_EERKSM_lbbbEUlllE0_EEPmJS6_EEE10hipError_tPvRmT3_T4_T5_T6_T7_T9_mT8_P12ihipStream_tbDpT10_ENKUlT_T0_E_clISt17integral_constantIbLb1EES1B_IbLb0EEEEDaS17_S18_EUlS17_E_NS1_11comp_targetILNS1_3genE8ELNS1_11target_archE1030ELNS1_3gpuE2ELNS1_3repE0EEENS1_30default_config_static_selectorELNS0_4arch9wavefront6targetE1EEEvT1_.kd
    .uniform_work_group_size: 1
    .uses_dynamic_stack: false
    .vgpr_count:     0
    .vgpr_spill_count: 0
    .wavefront_size: 64
  - .agpr_count:     0
    .args:
      - .offset:         0
        .size:           136
        .value_kind:     by_value
    .group_segment_fixed_size: 0
    .kernarg_segment_align: 8
    .kernarg_segment_size: 136
    .language:       OpenCL C
    .language_version:
      - 2
      - 0
    .max_flat_workgroup_size: 512
    .name:           _ZN7rocprim17ROCPRIM_400000_NS6detail17trampoline_kernelINS0_14default_configENS1_25partition_config_selectorILNS1_17partition_subalgoE8ElNS0_10empty_typeEbEEZZNS1_14partition_implILS5_8ELb0ES3_jPlPS6_PKS6_NS0_5tupleIJS9_S6_EEENSD_IJSA_SA_EEENS0_18inequality_wrapperIZN2at6native12_GLOBAL__N_124unique_dim_cuda_templateIaEESt5tupleIJNSH_6TensorESM_SM_EERKSM_lbbbEUlllE0_EEPmJS6_EEE10hipError_tPvRmT3_T4_T5_T6_T7_T9_mT8_P12ihipStream_tbDpT10_ENKUlT_T0_E_clISt17integral_constantIbLb0EES1B_IbLb1EEEEDaS17_S18_EUlS17_E_NS1_11comp_targetILNS1_3genE0ELNS1_11target_archE4294967295ELNS1_3gpuE0ELNS1_3repE0EEENS1_30default_config_static_selectorELNS0_4arch9wavefront6targetE1EEEvT1_
    .private_segment_fixed_size: 0
    .sgpr_count:     6
    .sgpr_spill_count: 0
    .symbol:         _ZN7rocprim17ROCPRIM_400000_NS6detail17trampoline_kernelINS0_14default_configENS1_25partition_config_selectorILNS1_17partition_subalgoE8ElNS0_10empty_typeEbEEZZNS1_14partition_implILS5_8ELb0ES3_jPlPS6_PKS6_NS0_5tupleIJS9_S6_EEENSD_IJSA_SA_EEENS0_18inequality_wrapperIZN2at6native12_GLOBAL__N_124unique_dim_cuda_templateIaEESt5tupleIJNSH_6TensorESM_SM_EERKSM_lbbbEUlllE0_EEPmJS6_EEE10hipError_tPvRmT3_T4_T5_T6_T7_T9_mT8_P12ihipStream_tbDpT10_ENKUlT_T0_E_clISt17integral_constantIbLb0EES1B_IbLb1EEEEDaS17_S18_EUlS17_E_NS1_11comp_targetILNS1_3genE0ELNS1_11target_archE4294967295ELNS1_3gpuE0ELNS1_3repE0EEENS1_30default_config_static_selectorELNS0_4arch9wavefront6targetE1EEEvT1_.kd
    .uniform_work_group_size: 1
    .uses_dynamic_stack: false
    .vgpr_count:     0
    .vgpr_spill_count: 0
    .wavefront_size: 64
  - .agpr_count:     0
    .args:
      - .offset:         0
        .size:           136
        .value_kind:     by_value
    .group_segment_fixed_size: 28684
    .kernarg_segment_align: 8
    .kernarg_segment_size: 136
    .language:       OpenCL C
    .language_version:
      - 2
      - 0
    .max_flat_workgroup_size: 512
    .name:           _ZN7rocprim17ROCPRIM_400000_NS6detail17trampoline_kernelINS0_14default_configENS1_25partition_config_selectorILNS1_17partition_subalgoE8ElNS0_10empty_typeEbEEZZNS1_14partition_implILS5_8ELb0ES3_jPlPS6_PKS6_NS0_5tupleIJS9_S6_EEENSD_IJSA_SA_EEENS0_18inequality_wrapperIZN2at6native12_GLOBAL__N_124unique_dim_cuda_templateIaEESt5tupleIJNSH_6TensorESM_SM_EERKSM_lbbbEUlllE0_EEPmJS6_EEE10hipError_tPvRmT3_T4_T5_T6_T7_T9_mT8_P12ihipStream_tbDpT10_ENKUlT_T0_E_clISt17integral_constantIbLb0EES1B_IbLb1EEEEDaS17_S18_EUlS17_E_NS1_11comp_targetILNS1_3genE5ELNS1_11target_archE942ELNS1_3gpuE9ELNS1_3repE0EEENS1_30default_config_static_selectorELNS0_4arch9wavefront6targetE1EEEvT1_
    .private_segment_fixed_size: 0
    .sgpr_count:     62
    .sgpr_spill_count: 0
    .symbol:         _ZN7rocprim17ROCPRIM_400000_NS6detail17trampoline_kernelINS0_14default_configENS1_25partition_config_selectorILNS1_17partition_subalgoE8ElNS0_10empty_typeEbEEZZNS1_14partition_implILS5_8ELb0ES3_jPlPS6_PKS6_NS0_5tupleIJS9_S6_EEENSD_IJSA_SA_EEENS0_18inequality_wrapperIZN2at6native12_GLOBAL__N_124unique_dim_cuda_templateIaEESt5tupleIJNSH_6TensorESM_SM_EERKSM_lbbbEUlllE0_EEPmJS6_EEE10hipError_tPvRmT3_T4_T5_T6_T7_T9_mT8_P12ihipStream_tbDpT10_ENKUlT_T0_E_clISt17integral_constantIbLb0EES1B_IbLb1EEEEDaS17_S18_EUlS17_E_NS1_11comp_targetILNS1_3genE5ELNS1_11target_archE942ELNS1_3gpuE9ELNS1_3repE0EEENS1_30default_config_static_selectorELNS0_4arch9wavefront6targetE1EEEvT1_.kd
    .uniform_work_group_size: 1
    .uses_dynamic_stack: false
    .vgpr_count:     52
    .vgpr_spill_count: 0
    .wavefront_size: 64
  - .agpr_count:     0
    .args:
      - .offset:         0
        .size:           136
        .value_kind:     by_value
    .group_segment_fixed_size: 0
    .kernarg_segment_align: 8
    .kernarg_segment_size: 136
    .language:       OpenCL C
    .language_version:
      - 2
      - 0
    .max_flat_workgroup_size: 256
    .name:           _ZN7rocprim17ROCPRIM_400000_NS6detail17trampoline_kernelINS0_14default_configENS1_25partition_config_selectorILNS1_17partition_subalgoE8ElNS0_10empty_typeEbEEZZNS1_14partition_implILS5_8ELb0ES3_jPlPS6_PKS6_NS0_5tupleIJS9_S6_EEENSD_IJSA_SA_EEENS0_18inequality_wrapperIZN2at6native12_GLOBAL__N_124unique_dim_cuda_templateIaEESt5tupleIJNSH_6TensorESM_SM_EERKSM_lbbbEUlllE0_EEPmJS6_EEE10hipError_tPvRmT3_T4_T5_T6_T7_T9_mT8_P12ihipStream_tbDpT10_ENKUlT_T0_E_clISt17integral_constantIbLb0EES1B_IbLb1EEEEDaS17_S18_EUlS17_E_NS1_11comp_targetILNS1_3genE4ELNS1_11target_archE910ELNS1_3gpuE8ELNS1_3repE0EEENS1_30default_config_static_selectorELNS0_4arch9wavefront6targetE1EEEvT1_
    .private_segment_fixed_size: 0
    .sgpr_count:     6
    .sgpr_spill_count: 0
    .symbol:         _ZN7rocprim17ROCPRIM_400000_NS6detail17trampoline_kernelINS0_14default_configENS1_25partition_config_selectorILNS1_17partition_subalgoE8ElNS0_10empty_typeEbEEZZNS1_14partition_implILS5_8ELb0ES3_jPlPS6_PKS6_NS0_5tupleIJS9_S6_EEENSD_IJSA_SA_EEENS0_18inequality_wrapperIZN2at6native12_GLOBAL__N_124unique_dim_cuda_templateIaEESt5tupleIJNSH_6TensorESM_SM_EERKSM_lbbbEUlllE0_EEPmJS6_EEE10hipError_tPvRmT3_T4_T5_T6_T7_T9_mT8_P12ihipStream_tbDpT10_ENKUlT_T0_E_clISt17integral_constantIbLb0EES1B_IbLb1EEEEDaS17_S18_EUlS17_E_NS1_11comp_targetILNS1_3genE4ELNS1_11target_archE910ELNS1_3gpuE8ELNS1_3repE0EEENS1_30default_config_static_selectorELNS0_4arch9wavefront6targetE1EEEvT1_.kd
    .uniform_work_group_size: 1
    .uses_dynamic_stack: false
    .vgpr_count:     0
    .vgpr_spill_count: 0
    .wavefront_size: 64
  - .agpr_count:     0
    .args:
      - .offset:         0
        .size:           136
        .value_kind:     by_value
    .group_segment_fixed_size: 0
    .kernarg_segment_align: 8
    .kernarg_segment_size: 136
    .language:       OpenCL C
    .language_version:
      - 2
      - 0
    .max_flat_workgroup_size: 512
    .name:           _ZN7rocprim17ROCPRIM_400000_NS6detail17trampoline_kernelINS0_14default_configENS1_25partition_config_selectorILNS1_17partition_subalgoE8ElNS0_10empty_typeEbEEZZNS1_14partition_implILS5_8ELb0ES3_jPlPS6_PKS6_NS0_5tupleIJS9_S6_EEENSD_IJSA_SA_EEENS0_18inequality_wrapperIZN2at6native12_GLOBAL__N_124unique_dim_cuda_templateIaEESt5tupleIJNSH_6TensorESM_SM_EERKSM_lbbbEUlllE0_EEPmJS6_EEE10hipError_tPvRmT3_T4_T5_T6_T7_T9_mT8_P12ihipStream_tbDpT10_ENKUlT_T0_E_clISt17integral_constantIbLb0EES1B_IbLb1EEEEDaS17_S18_EUlS17_E_NS1_11comp_targetILNS1_3genE3ELNS1_11target_archE908ELNS1_3gpuE7ELNS1_3repE0EEENS1_30default_config_static_selectorELNS0_4arch9wavefront6targetE1EEEvT1_
    .private_segment_fixed_size: 0
    .sgpr_count:     6
    .sgpr_spill_count: 0
    .symbol:         _ZN7rocprim17ROCPRIM_400000_NS6detail17trampoline_kernelINS0_14default_configENS1_25partition_config_selectorILNS1_17partition_subalgoE8ElNS0_10empty_typeEbEEZZNS1_14partition_implILS5_8ELb0ES3_jPlPS6_PKS6_NS0_5tupleIJS9_S6_EEENSD_IJSA_SA_EEENS0_18inequality_wrapperIZN2at6native12_GLOBAL__N_124unique_dim_cuda_templateIaEESt5tupleIJNSH_6TensorESM_SM_EERKSM_lbbbEUlllE0_EEPmJS6_EEE10hipError_tPvRmT3_T4_T5_T6_T7_T9_mT8_P12ihipStream_tbDpT10_ENKUlT_T0_E_clISt17integral_constantIbLb0EES1B_IbLb1EEEEDaS17_S18_EUlS17_E_NS1_11comp_targetILNS1_3genE3ELNS1_11target_archE908ELNS1_3gpuE7ELNS1_3repE0EEENS1_30default_config_static_selectorELNS0_4arch9wavefront6targetE1EEEvT1_.kd
    .uniform_work_group_size: 1
    .uses_dynamic_stack: false
    .vgpr_count:     0
    .vgpr_spill_count: 0
    .wavefront_size: 64
  - .agpr_count:     0
    .args:
      - .offset:         0
        .size:           136
        .value_kind:     by_value
    .group_segment_fixed_size: 0
    .kernarg_segment_align: 8
    .kernarg_segment_size: 136
    .language:       OpenCL C
    .language_version:
      - 2
      - 0
    .max_flat_workgroup_size: 256
    .name:           _ZN7rocprim17ROCPRIM_400000_NS6detail17trampoline_kernelINS0_14default_configENS1_25partition_config_selectorILNS1_17partition_subalgoE8ElNS0_10empty_typeEbEEZZNS1_14partition_implILS5_8ELb0ES3_jPlPS6_PKS6_NS0_5tupleIJS9_S6_EEENSD_IJSA_SA_EEENS0_18inequality_wrapperIZN2at6native12_GLOBAL__N_124unique_dim_cuda_templateIaEESt5tupleIJNSH_6TensorESM_SM_EERKSM_lbbbEUlllE0_EEPmJS6_EEE10hipError_tPvRmT3_T4_T5_T6_T7_T9_mT8_P12ihipStream_tbDpT10_ENKUlT_T0_E_clISt17integral_constantIbLb0EES1B_IbLb1EEEEDaS17_S18_EUlS17_E_NS1_11comp_targetILNS1_3genE2ELNS1_11target_archE906ELNS1_3gpuE6ELNS1_3repE0EEENS1_30default_config_static_selectorELNS0_4arch9wavefront6targetE1EEEvT1_
    .private_segment_fixed_size: 0
    .sgpr_count:     6
    .sgpr_spill_count: 0
    .symbol:         _ZN7rocprim17ROCPRIM_400000_NS6detail17trampoline_kernelINS0_14default_configENS1_25partition_config_selectorILNS1_17partition_subalgoE8ElNS0_10empty_typeEbEEZZNS1_14partition_implILS5_8ELb0ES3_jPlPS6_PKS6_NS0_5tupleIJS9_S6_EEENSD_IJSA_SA_EEENS0_18inequality_wrapperIZN2at6native12_GLOBAL__N_124unique_dim_cuda_templateIaEESt5tupleIJNSH_6TensorESM_SM_EERKSM_lbbbEUlllE0_EEPmJS6_EEE10hipError_tPvRmT3_T4_T5_T6_T7_T9_mT8_P12ihipStream_tbDpT10_ENKUlT_T0_E_clISt17integral_constantIbLb0EES1B_IbLb1EEEEDaS17_S18_EUlS17_E_NS1_11comp_targetILNS1_3genE2ELNS1_11target_archE906ELNS1_3gpuE6ELNS1_3repE0EEENS1_30default_config_static_selectorELNS0_4arch9wavefront6targetE1EEEvT1_.kd
    .uniform_work_group_size: 1
    .uses_dynamic_stack: false
    .vgpr_count:     0
    .vgpr_spill_count: 0
    .wavefront_size: 64
  - .agpr_count:     0
    .args:
      - .offset:         0
        .size:           136
        .value_kind:     by_value
    .group_segment_fixed_size: 0
    .kernarg_segment_align: 8
    .kernarg_segment_size: 136
    .language:       OpenCL C
    .language_version:
      - 2
      - 0
    .max_flat_workgroup_size: 384
    .name:           _ZN7rocprim17ROCPRIM_400000_NS6detail17trampoline_kernelINS0_14default_configENS1_25partition_config_selectorILNS1_17partition_subalgoE8ElNS0_10empty_typeEbEEZZNS1_14partition_implILS5_8ELb0ES3_jPlPS6_PKS6_NS0_5tupleIJS9_S6_EEENSD_IJSA_SA_EEENS0_18inequality_wrapperIZN2at6native12_GLOBAL__N_124unique_dim_cuda_templateIaEESt5tupleIJNSH_6TensorESM_SM_EERKSM_lbbbEUlllE0_EEPmJS6_EEE10hipError_tPvRmT3_T4_T5_T6_T7_T9_mT8_P12ihipStream_tbDpT10_ENKUlT_T0_E_clISt17integral_constantIbLb0EES1B_IbLb1EEEEDaS17_S18_EUlS17_E_NS1_11comp_targetILNS1_3genE10ELNS1_11target_archE1200ELNS1_3gpuE4ELNS1_3repE0EEENS1_30default_config_static_selectorELNS0_4arch9wavefront6targetE1EEEvT1_
    .private_segment_fixed_size: 0
    .sgpr_count:     6
    .sgpr_spill_count: 0
    .symbol:         _ZN7rocprim17ROCPRIM_400000_NS6detail17trampoline_kernelINS0_14default_configENS1_25partition_config_selectorILNS1_17partition_subalgoE8ElNS0_10empty_typeEbEEZZNS1_14partition_implILS5_8ELb0ES3_jPlPS6_PKS6_NS0_5tupleIJS9_S6_EEENSD_IJSA_SA_EEENS0_18inequality_wrapperIZN2at6native12_GLOBAL__N_124unique_dim_cuda_templateIaEESt5tupleIJNSH_6TensorESM_SM_EERKSM_lbbbEUlllE0_EEPmJS6_EEE10hipError_tPvRmT3_T4_T5_T6_T7_T9_mT8_P12ihipStream_tbDpT10_ENKUlT_T0_E_clISt17integral_constantIbLb0EES1B_IbLb1EEEEDaS17_S18_EUlS17_E_NS1_11comp_targetILNS1_3genE10ELNS1_11target_archE1200ELNS1_3gpuE4ELNS1_3repE0EEENS1_30default_config_static_selectorELNS0_4arch9wavefront6targetE1EEEvT1_.kd
    .uniform_work_group_size: 1
    .uses_dynamic_stack: false
    .vgpr_count:     0
    .vgpr_spill_count: 0
    .wavefront_size: 64
  - .agpr_count:     0
    .args:
      - .offset:         0
        .size:           136
        .value_kind:     by_value
    .group_segment_fixed_size: 0
    .kernarg_segment_align: 8
    .kernarg_segment_size: 136
    .language:       OpenCL C
    .language_version:
      - 2
      - 0
    .max_flat_workgroup_size: 512
    .name:           _ZN7rocprim17ROCPRIM_400000_NS6detail17trampoline_kernelINS0_14default_configENS1_25partition_config_selectorILNS1_17partition_subalgoE8ElNS0_10empty_typeEbEEZZNS1_14partition_implILS5_8ELb0ES3_jPlPS6_PKS6_NS0_5tupleIJS9_S6_EEENSD_IJSA_SA_EEENS0_18inequality_wrapperIZN2at6native12_GLOBAL__N_124unique_dim_cuda_templateIaEESt5tupleIJNSH_6TensorESM_SM_EERKSM_lbbbEUlllE0_EEPmJS6_EEE10hipError_tPvRmT3_T4_T5_T6_T7_T9_mT8_P12ihipStream_tbDpT10_ENKUlT_T0_E_clISt17integral_constantIbLb0EES1B_IbLb1EEEEDaS17_S18_EUlS17_E_NS1_11comp_targetILNS1_3genE9ELNS1_11target_archE1100ELNS1_3gpuE3ELNS1_3repE0EEENS1_30default_config_static_selectorELNS0_4arch9wavefront6targetE1EEEvT1_
    .private_segment_fixed_size: 0
    .sgpr_count:     6
    .sgpr_spill_count: 0
    .symbol:         _ZN7rocprim17ROCPRIM_400000_NS6detail17trampoline_kernelINS0_14default_configENS1_25partition_config_selectorILNS1_17partition_subalgoE8ElNS0_10empty_typeEbEEZZNS1_14partition_implILS5_8ELb0ES3_jPlPS6_PKS6_NS0_5tupleIJS9_S6_EEENSD_IJSA_SA_EEENS0_18inequality_wrapperIZN2at6native12_GLOBAL__N_124unique_dim_cuda_templateIaEESt5tupleIJNSH_6TensorESM_SM_EERKSM_lbbbEUlllE0_EEPmJS6_EEE10hipError_tPvRmT3_T4_T5_T6_T7_T9_mT8_P12ihipStream_tbDpT10_ENKUlT_T0_E_clISt17integral_constantIbLb0EES1B_IbLb1EEEEDaS17_S18_EUlS17_E_NS1_11comp_targetILNS1_3genE9ELNS1_11target_archE1100ELNS1_3gpuE3ELNS1_3repE0EEENS1_30default_config_static_selectorELNS0_4arch9wavefront6targetE1EEEvT1_.kd
    .uniform_work_group_size: 1
    .uses_dynamic_stack: false
    .vgpr_count:     0
    .vgpr_spill_count: 0
    .wavefront_size: 64
  - .agpr_count:     0
    .args:
      - .offset:         0
        .size:           136
        .value_kind:     by_value
    .group_segment_fixed_size: 0
    .kernarg_segment_align: 8
    .kernarg_segment_size: 136
    .language:       OpenCL C
    .language_version:
      - 2
      - 0
    .max_flat_workgroup_size: 512
    .name:           _ZN7rocprim17ROCPRIM_400000_NS6detail17trampoline_kernelINS0_14default_configENS1_25partition_config_selectorILNS1_17partition_subalgoE8ElNS0_10empty_typeEbEEZZNS1_14partition_implILS5_8ELb0ES3_jPlPS6_PKS6_NS0_5tupleIJS9_S6_EEENSD_IJSA_SA_EEENS0_18inequality_wrapperIZN2at6native12_GLOBAL__N_124unique_dim_cuda_templateIaEESt5tupleIJNSH_6TensorESM_SM_EERKSM_lbbbEUlllE0_EEPmJS6_EEE10hipError_tPvRmT3_T4_T5_T6_T7_T9_mT8_P12ihipStream_tbDpT10_ENKUlT_T0_E_clISt17integral_constantIbLb0EES1B_IbLb1EEEEDaS17_S18_EUlS17_E_NS1_11comp_targetILNS1_3genE8ELNS1_11target_archE1030ELNS1_3gpuE2ELNS1_3repE0EEENS1_30default_config_static_selectorELNS0_4arch9wavefront6targetE1EEEvT1_
    .private_segment_fixed_size: 0
    .sgpr_count:     6
    .sgpr_spill_count: 0
    .symbol:         _ZN7rocprim17ROCPRIM_400000_NS6detail17trampoline_kernelINS0_14default_configENS1_25partition_config_selectorILNS1_17partition_subalgoE8ElNS0_10empty_typeEbEEZZNS1_14partition_implILS5_8ELb0ES3_jPlPS6_PKS6_NS0_5tupleIJS9_S6_EEENSD_IJSA_SA_EEENS0_18inequality_wrapperIZN2at6native12_GLOBAL__N_124unique_dim_cuda_templateIaEESt5tupleIJNSH_6TensorESM_SM_EERKSM_lbbbEUlllE0_EEPmJS6_EEE10hipError_tPvRmT3_T4_T5_T6_T7_T9_mT8_P12ihipStream_tbDpT10_ENKUlT_T0_E_clISt17integral_constantIbLb0EES1B_IbLb1EEEEDaS17_S18_EUlS17_E_NS1_11comp_targetILNS1_3genE8ELNS1_11target_archE1030ELNS1_3gpuE2ELNS1_3repE0EEENS1_30default_config_static_selectorELNS0_4arch9wavefront6targetE1EEEvT1_.kd
    .uniform_work_group_size: 1
    .uses_dynamic_stack: false
    .vgpr_count:     0
    .vgpr_spill_count: 0
    .wavefront_size: 64
  - .agpr_count:     0
    .args:
      - .offset:         0
        .size:           120
        .value_kind:     by_value
    .group_segment_fixed_size: 0
    .kernarg_segment_align: 8
    .kernarg_segment_size: 120
    .language:       OpenCL C
    .language_version:
      - 2
      - 0
    .max_flat_workgroup_size: 128
    .name:           _ZN7rocprim17ROCPRIM_400000_NS6detail17trampoline_kernelINS0_14default_configENS1_25partition_config_selectorILNS1_17partition_subalgoE9EllbEEZZNS1_14partition_implILS5_9ELb0ES3_jPlS8_PNS0_10empty_typeENS0_5tupleIJS8_S9_EEENSB_IJS8_SA_EEENS0_18inequality_wrapperIZN2at6native12_GLOBAL__N_124unique_dim_cuda_templateIaEESt5tupleIJNSF_6TensorESK_SK_EERKSK_lbbbEUlllE0_EEPmJS9_EEE10hipError_tPvRmT3_T4_T5_T6_T7_T9_mT8_P12ihipStream_tbDpT10_ENKUlT_T0_E_clISt17integral_constantIbLb0EES1A_EEDaS15_S16_EUlS15_E_NS1_11comp_targetILNS1_3genE0ELNS1_11target_archE4294967295ELNS1_3gpuE0ELNS1_3repE0EEENS1_30default_config_static_selectorELNS0_4arch9wavefront6targetE1EEEvT1_
    .private_segment_fixed_size: 0
    .sgpr_count:     6
    .sgpr_spill_count: 0
    .symbol:         _ZN7rocprim17ROCPRIM_400000_NS6detail17trampoline_kernelINS0_14default_configENS1_25partition_config_selectorILNS1_17partition_subalgoE9EllbEEZZNS1_14partition_implILS5_9ELb0ES3_jPlS8_PNS0_10empty_typeENS0_5tupleIJS8_S9_EEENSB_IJS8_SA_EEENS0_18inequality_wrapperIZN2at6native12_GLOBAL__N_124unique_dim_cuda_templateIaEESt5tupleIJNSF_6TensorESK_SK_EERKSK_lbbbEUlllE0_EEPmJS9_EEE10hipError_tPvRmT3_T4_T5_T6_T7_T9_mT8_P12ihipStream_tbDpT10_ENKUlT_T0_E_clISt17integral_constantIbLb0EES1A_EEDaS15_S16_EUlS15_E_NS1_11comp_targetILNS1_3genE0ELNS1_11target_archE4294967295ELNS1_3gpuE0ELNS1_3repE0EEENS1_30default_config_static_selectorELNS0_4arch9wavefront6targetE1EEEvT1_.kd
    .uniform_work_group_size: 1
    .uses_dynamic_stack: false
    .vgpr_count:     0
    .vgpr_spill_count: 0
    .wavefront_size: 64
  - .agpr_count:     0
    .args:
      - .offset:         0
        .size:           120
        .value_kind:     by_value
    .group_segment_fixed_size: 28684
    .kernarg_segment_align: 8
    .kernarg_segment_size: 120
    .language:       OpenCL C
    .language_version:
      - 2
      - 0
    .max_flat_workgroup_size: 512
    .name:           _ZN7rocprim17ROCPRIM_400000_NS6detail17trampoline_kernelINS0_14default_configENS1_25partition_config_selectorILNS1_17partition_subalgoE9EllbEEZZNS1_14partition_implILS5_9ELb0ES3_jPlS8_PNS0_10empty_typeENS0_5tupleIJS8_S9_EEENSB_IJS8_SA_EEENS0_18inequality_wrapperIZN2at6native12_GLOBAL__N_124unique_dim_cuda_templateIaEESt5tupleIJNSF_6TensorESK_SK_EERKSK_lbbbEUlllE0_EEPmJS9_EEE10hipError_tPvRmT3_T4_T5_T6_T7_T9_mT8_P12ihipStream_tbDpT10_ENKUlT_T0_E_clISt17integral_constantIbLb0EES1A_EEDaS15_S16_EUlS15_E_NS1_11comp_targetILNS1_3genE5ELNS1_11target_archE942ELNS1_3gpuE9ELNS1_3repE0EEENS1_30default_config_static_selectorELNS0_4arch9wavefront6targetE1EEEvT1_
    .private_segment_fixed_size: 0
    .sgpr_count:     58
    .sgpr_spill_count: 0
    .symbol:         _ZN7rocprim17ROCPRIM_400000_NS6detail17trampoline_kernelINS0_14default_configENS1_25partition_config_selectorILNS1_17partition_subalgoE9EllbEEZZNS1_14partition_implILS5_9ELb0ES3_jPlS8_PNS0_10empty_typeENS0_5tupleIJS8_S9_EEENSB_IJS8_SA_EEENS0_18inequality_wrapperIZN2at6native12_GLOBAL__N_124unique_dim_cuda_templateIaEESt5tupleIJNSF_6TensorESK_SK_EERKSK_lbbbEUlllE0_EEPmJS9_EEE10hipError_tPvRmT3_T4_T5_T6_T7_T9_mT8_P12ihipStream_tbDpT10_ENKUlT_T0_E_clISt17integral_constantIbLb0EES1A_EEDaS15_S16_EUlS15_E_NS1_11comp_targetILNS1_3genE5ELNS1_11target_archE942ELNS1_3gpuE9ELNS1_3repE0EEENS1_30default_config_static_selectorELNS0_4arch9wavefront6targetE1EEEvT1_.kd
    .uniform_work_group_size: 1
    .uses_dynamic_stack: false
    .vgpr_count:     66
    .vgpr_spill_count: 0
    .wavefront_size: 64
  - .agpr_count:     0
    .args:
      - .offset:         0
        .size:           120
        .value_kind:     by_value
    .group_segment_fixed_size: 0
    .kernarg_segment_align: 8
    .kernarg_segment_size: 120
    .language:       OpenCL C
    .language_version:
      - 2
      - 0
    .max_flat_workgroup_size: 128
    .name:           _ZN7rocprim17ROCPRIM_400000_NS6detail17trampoline_kernelINS0_14default_configENS1_25partition_config_selectorILNS1_17partition_subalgoE9EllbEEZZNS1_14partition_implILS5_9ELb0ES3_jPlS8_PNS0_10empty_typeENS0_5tupleIJS8_S9_EEENSB_IJS8_SA_EEENS0_18inequality_wrapperIZN2at6native12_GLOBAL__N_124unique_dim_cuda_templateIaEESt5tupleIJNSF_6TensorESK_SK_EERKSK_lbbbEUlllE0_EEPmJS9_EEE10hipError_tPvRmT3_T4_T5_T6_T7_T9_mT8_P12ihipStream_tbDpT10_ENKUlT_T0_E_clISt17integral_constantIbLb0EES1A_EEDaS15_S16_EUlS15_E_NS1_11comp_targetILNS1_3genE4ELNS1_11target_archE910ELNS1_3gpuE8ELNS1_3repE0EEENS1_30default_config_static_selectorELNS0_4arch9wavefront6targetE1EEEvT1_
    .private_segment_fixed_size: 0
    .sgpr_count:     6
    .sgpr_spill_count: 0
    .symbol:         _ZN7rocprim17ROCPRIM_400000_NS6detail17trampoline_kernelINS0_14default_configENS1_25partition_config_selectorILNS1_17partition_subalgoE9EllbEEZZNS1_14partition_implILS5_9ELb0ES3_jPlS8_PNS0_10empty_typeENS0_5tupleIJS8_S9_EEENSB_IJS8_SA_EEENS0_18inequality_wrapperIZN2at6native12_GLOBAL__N_124unique_dim_cuda_templateIaEESt5tupleIJNSF_6TensorESK_SK_EERKSK_lbbbEUlllE0_EEPmJS9_EEE10hipError_tPvRmT3_T4_T5_T6_T7_T9_mT8_P12ihipStream_tbDpT10_ENKUlT_T0_E_clISt17integral_constantIbLb0EES1A_EEDaS15_S16_EUlS15_E_NS1_11comp_targetILNS1_3genE4ELNS1_11target_archE910ELNS1_3gpuE8ELNS1_3repE0EEENS1_30default_config_static_selectorELNS0_4arch9wavefront6targetE1EEEvT1_.kd
    .uniform_work_group_size: 1
    .uses_dynamic_stack: false
    .vgpr_count:     0
    .vgpr_spill_count: 0
    .wavefront_size: 64
  - .agpr_count:     0
    .args:
      - .offset:         0
        .size:           120
        .value_kind:     by_value
    .group_segment_fixed_size: 0
    .kernarg_segment_align: 8
    .kernarg_segment_size: 120
    .language:       OpenCL C
    .language_version:
      - 2
      - 0
    .max_flat_workgroup_size: 128
    .name:           _ZN7rocprim17ROCPRIM_400000_NS6detail17trampoline_kernelINS0_14default_configENS1_25partition_config_selectorILNS1_17partition_subalgoE9EllbEEZZNS1_14partition_implILS5_9ELb0ES3_jPlS8_PNS0_10empty_typeENS0_5tupleIJS8_S9_EEENSB_IJS8_SA_EEENS0_18inequality_wrapperIZN2at6native12_GLOBAL__N_124unique_dim_cuda_templateIaEESt5tupleIJNSF_6TensorESK_SK_EERKSK_lbbbEUlllE0_EEPmJS9_EEE10hipError_tPvRmT3_T4_T5_T6_T7_T9_mT8_P12ihipStream_tbDpT10_ENKUlT_T0_E_clISt17integral_constantIbLb0EES1A_EEDaS15_S16_EUlS15_E_NS1_11comp_targetILNS1_3genE3ELNS1_11target_archE908ELNS1_3gpuE7ELNS1_3repE0EEENS1_30default_config_static_selectorELNS0_4arch9wavefront6targetE1EEEvT1_
    .private_segment_fixed_size: 0
    .sgpr_count:     6
    .sgpr_spill_count: 0
    .symbol:         _ZN7rocprim17ROCPRIM_400000_NS6detail17trampoline_kernelINS0_14default_configENS1_25partition_config_selectorILNS1_17partition_subalgoE9EllbEEZZNS1_14partition_implILS5_9ELb0ES3_jPlS8_PNS0_10empty_typeENS0_5tupleIJS8_S9_EEENSB_IJS8_SA_EEENS0_18inequality_wrapperIZN2at6native12_GLOBAL__N_124unique_dim_cuda_templateIaEESt5tupleIJNSF_6TensorESK_SK_EERKSK_lbbbEUlllE0_EEPmJS9_EEE10hipError_tPvRmT3_T4_T5_T6_T7_T9_mT8_P12ihipStream_tbDpT10_ENKUlT_T0_E_clISt17integral_constantIbLb0EES1A_EEDaS15_S16_EUlS15_E_NS1_11comp_targetILNS1_3genE3ELNS1_11target_archE908ELNS1_3gpuE7ELNS1_3repE0EEENS1_30default_config_static_selectorELNS0_4arch9wavefront6targetE1EEEvT1_.kd
    .uniform_work_group_size: 1
    .uses_dynamic_stack: false
    .vgpr_count:     0
    .vgpr_spill_count: 0
    .wavefront_size: 64
  - .agpr_count:     0
    .args:
      - .offset:         0
        .size:           120
        .value_kind:     by_value
    .group_segment_fixed_size: 0
    .kernarg_segment_align: 8
    .kernarg_segment_size: 120
    .language:       OpenCL C
    .language_version:
      - 2
      - 0
    .max_flat_workgroup_size: 192
    .name:           _ZN7rocprim17ROCPRIM_400000_NS6detail17trampoline_kernelINS0_14default_configENS1_25partition_config_selectorILNS1_17partition_subalgoE9EllbEEZZNS1_14partition_implILS5_9ELb0ES3_jPlS8_PNS0_10empty_typeENS0_5tupleIJS8_S9_EEENSB_IJS8_SA_EEENS0_18inequality_wrapperIZN2at6native12_GLOBAL__N_124unique_dim_cuda_templateIaEESt5tupleIJNSF_6TensorESK_SK_EERKSK_lbbbEUlllE0_EEPmJS9_EEE10hipError_tPvRmT3_T4_T5_T6_T7_T9_mT8_P12ihipStream_tbDpT10_ENKUlT_T0_E_clISt17integral_constantIbLb0EES1A_EEDaS15_S16_EUlS15_E_NS1_11comp_targetILNS1_3genE2ELNS1_11target_archE906ELNS1_3gpuE6ELNS1_3repE0EEENS1_30default_config_static_selectorELNS0_4arch9wavefront6targetE1EEEvT1_
    .private_segment_fixed_size: 0
    .sgpr_count:     6
    .sgpr_spill_count: 0
    .symbol:         _ZN7rocprim17ROCPRIM_400000_NS6detail17trampoline_kernelINS0_14default_configENS1_25partition_config_selectorILNS1_17partition_subalgoE9EllbEEZZNS1_14partition_implILS5_9ELb0ES3_jPlS8_PNS0_10empty_typeENS0_5tupleIJS8_S9_EEENSB_IJS8_SA_EEENS0_18inequality_wrapperIZN2at6native12_GLOBAL__N_124unique_dim_cuda_templateIaEESt5tupleIJNSF_6TensorESK_SK_EERKSK_lbbbEUlllE0_EEPmJS9_EEE10hipError_tPvRmT3_T4_T5_T6_T7_T9_mT8_P12ihipStream_tbDpT10_ENKUlT_T0_E_clISt17integral_constantIbLb0EES1A_EEDaS15_S16_EUlS15_E_NS1_11comp_targetILNS1_3genE2ELNS1_11target_archE906ELNS1_3gpuE6ELNS1_3repE0EEENS1_30default_config_static_selectorELNS0_4arch9wavefront6targetE1EEEvT1_.kd
    .uniform_work_group_size: 1
    .uses_dynamic_stack: false
    .vgpr_count:     0
    .vgpr_spill_count: 0
    .wavefront_size: 64
  - .agpr_count:     0
    .args:
      - .offset:         0
        .size:           120
        .value_kind:     by_value
    .group_segment_fixed_size: 0
    .kernarg_segment_align: 8
    .kernarg_segment_size: 120
    .language:       OpenCL C
    .language_version:
      - 2
      - 0
    .max_flat_workgroup_size: 384
    .name:           _ZN7rocprim17ROCPRIM_400000_NS6detail17trampoline_kernelINS0_14default_configENS1_25partition_config_selectorILNS1_17partition_subalgoE9EllbEEZZNS1_14partition_implILS5_9ELb0ES3_jPlS8_PNS0_10empty_typeENS0_5tupleIJS8_S9_EEENSB_IJS8_SA_EEENS0_18inequality_wrapperIZN2at6native12_GLOBAL__N_124unique_dim_cuda_templateIaEESt5tupleIJNSF_6TensorESK_SK_EERKSK_lbbbEUlllE0_EEPmJS9_EEE10hipError_tPvRmT3_T4_T5_T6_T7_T9_mT8_P12ihipStream_tbDpT10_ENKUlT_T0_E_clISt17integral_constantIbLb0EES1A_EEDaS15_S16_EUlS15_E_NS1_11comp_targetILNS1_3genE10ELNS1_11target_archE1200ELNS1_3gpuE4ELNS1_3repE0EEENS1_30default_config_static_selectorELNS0_4arch9wavefront6targetE1EEEvT1_
    .private_segment_fixed_size: 0
    .sgpr_count:     6
    .sgpr_spill_count: 0
    .symbol:         _ZN7rocprim17ROCPRIM_400000_NS6detail17trampoline_kernelINS0_14default_configENS1_25partition_config_selectorILNS1_17partition_subalgoE9EllbEEZZNS1_14partition_implILS5_9ELb0ES3_jPlS8_PNS0_10empty_typeENS0_5tupleIJS8_S9_EEENSB_IJS8_SA_EEENS0_18inequality_wrapperIZN2at6native12_GLOBAL__N_124unique_dim_cuda_templateIaEESt5tupleIJNSF_6TensorESK_SK_EERKSK_lbbbEUlllE0_EEPmJS9_EEE10hipError_tPvRmT3_T4_T5_T6_T7_T9_mT8_P12ihipStream_tbDpT10_ENKUlT_T0_E_clISt17integral_constantIbLb0EES1A_EEDaS15_S16_EUlS15_E_NS1_11comp_targetILNS1_3genE10ELNS1_11target_archE1200ELNS1_3gpuE4ELNS1_3repE0EEENS1_30default_config_static_selectorELNS0_4arch9wavefront6targetE1EEEvT1_.kd
    .uniform_work_group_size: 1
    .uses_dynamic_stack: false
    .vgpr_count:     0
    .vgpr_spill_count: 0
    .wavefront_size: 64
  - .agpr_count:     0
    .args:
      - .offset:         0
        .size:           120
        .value_kind:     by_value
    .group_segment_fixed_size: 0
    .kernarg_segment_align: 8
    .kernarg_segment_size: 120
    .language:       OpenCL C
    .language_version:
      - 2
      - 0
    .max_flat_workgroup_size: 512
    .name:           _ZN7rocprim17ROCPRIM_400000_NS6detail17trampoline_kernelINS0_14default_configENS1_25partition_config_selectorILNS1_17partition_subalgoE9EllbEEZZNS1_14partition_implILS5_9ELb0ES3_jPlS8_PNS0_10empty_typeENS0_5tupleIJS8_S9_EEENSB_IJS8_SA_EEENS0_18inequality_wrapperIZN2at6native12_GLOBAL__N_124unique_dim_cuda_templateIaEESt5tupleIJNSF_6TensorESK_SK_EERKSK_lbbbEUlllE0_EEPmJS9_EEE10hipError_tPvRmT3_T4_T5_T6_T7_T9_mT8_P12ihipStream_tbDpT10_ENKUlT_T0_E_clISt17integral_constantIbLb0EES1A_EEDaS15_S16_EUlS15_E_NS1_11comp_targetILNS1_3genE9ELNS1_11target_archE1100ELNS1_3gpuE3ELNS1_3repE0EEENS1_30default_config_static_selectorELNS0_4arch9wavefront6targetE1EEEvT1_
    .private_segment_fixed_size: 0
    .sgpr_count:     6
    .sgpr_spill_count: 0
    .symbol:         _ZN7rocprim17ROCPRIM_400000_NS6detail17trampoline_kernelINS0_14default_configENS1_25partition_config_selectorILNS1_17partition_subalgoE9EllbEEZZNS1_14partition_implILS5_9ELb0ES3_jPlS8_PNS0_10empty_typeENS0_5tupleIJS8_S9_EEENSB_IJS8_SA_EEENS0_18inequality_wrapperIZN2at6native12_GLOBAL__N_124unique_dim_cuda_templateIaEESt5tupleIJNSF_6TensorESK_SK_EERKSK_lbbbEUlllE0_EEPmJS9_EEE10hipError_tPvRmT3_T4_T5_T6_T7_T9_mT8_P12ihipStream_tbDpT10_ENKUlT_T0_E_clISt17integral_constantIbLb0EES1A_EEDaS15_S16_EUlS15_E_NS1_11comp_targetILNS1_3genE9ELNS1_11target_archE1100ELNS1_3gpuE3ELNS1_3repE0EEENS1_30default_config_static_selectorELNS0_4arch9wavefront6targetE1EEEvT1_.kd
    .uniform_work_group_size: 1
    .uses_dynamic_stack: false
    .vgpr_count:     0
    .vgpr_spill_count: 0
    .wavefront_size: 64
  - .agpr_count:     0
    .args:
      - .offset:         0
        .size:           120
        .value_kind:     by_value
    .group_segment_fixed_size: 0
    .kernarg_segment_align: 8
    .kernarg_segment_size: 120
    .language:       OpenCL C
    .language_version:
      - 2
      - 0
    .max_flat_workgroup_size: 512
    .name:           _ZN7rocprim17ROCPRIM_400000_NS6detail17trampoline_kernelINS0_14default_configENS1_25partition_config_selectorILNS1_17partition_subalgoE9EllbEEZZNS1_14partition_implILS5_9ELb0ES3_jPlS8_PNS0_10empty_typeENS0_5tupleIJS8_S9_EEENSB_IJS8_SA_EEENS0_18inequality_wrapperIZN2at6native12_GLOBAL__N_124unique_dim_cuda_templateIaEESt5tupleIJNSF_6TensorESK_SK_EERKSK_lbbbEUlllE0_EEPmJS9_EEE10hipError_tPvRmT3_T4_T5_T6_T7_T9_mT8_P12ihipStream_tbDpT10_ENKUlT_T0_E_clISt17integral_constantIbLb0EES1A_EEDaS15_S16_EUlS15_E_NS1_11comp_targetILNS1_3genE8ELNS1_11target_archE1030ELNS1_3gpuE2ELNS1_3repE0EEENS1_30default_config_static_selectorELNS0_4arch9wavefront6targetE1EEEvT1_
    .private_segment_fixed_size: 0
    .sgpr_count:     6
    .sgpr_spill_count: 0
    .symbol:         _ZN7rocprim17ROCPRIM_400000_NS6detail17trampoline_kernelINS0_14default_configENS1_25partition_config_selectorILNS1_17partition_subalgoE9EllbEEZZNS1_14partition_implILS5_9ELb0ES3_jPlS8_PNS0_10empty_typeENS0_5tupleIJS8_S9_EEENSB_IJS8_SA_EEENS0_18inequality_wrapperIZN2at6native12_GLOBAL__N_124unique_dim_cuda_templateIaEESt5tupleIJNSF_6TensorESK_SK_EERKSK_lbbbEUlllE0_EEPmJS9_EEE10hipError_tPvRmT3_T4_T5_T6_T7_T9_mT8_P12ihipStream_tbDpT10_ENKUlT_T0_E_clISt17integral_constantIbLb0EES1A_EEDaS15_S16_EUlS15_E_NS1_11comp_targetILNS1_3genE8ELNS1_11target_archE1030ELNS1_3gpuE2ELNS1_3repE0EEENS1_30default_config_static_selectorELNS0_4arch9wavefront6targetE1EEEvT1_.kd
    .uniform_work_group_size: 1
    .uses_dynamic_stack: false
    .vgpr_count:     0
    .vgpr_spill_count: 0
    .wavefront_size: 64
  - .agpr_count:     0
    .args:
      - .offset:         0
        .size:           136
        .value_kind:     by_value
    .group_segment_fixed_size: 0
    .kernarg_segment_align: 8
    .kernarg_segment_size: 136
    .language:       OpenCL C
    .language_version:
      - 2
      - 0
    .max_flat_workgroup_size: 128
    .name:           _ZN7rocprim17ROCPRIM_400000_NS6detail17trampoline_kernelINS0_14default_configENS1_25partition_config_selectorILNS1_17partition_subalgoE9EllbEEZZNS1_14partition_implILS5_9ELb0ES3_jPlS8_PNS0_10empty_typeENS0_5tupleIJS8_S9_EEENSB_IJS8_SA_EEENS0_18inequality_wrapperIZN2at6native12_GLOBAL__N_124unique_dim_cuda_templateIaEESt5tupleIJNSF_6TensorESK_SK_EERKSK_lbbbEUlllE0_EEPmJS9_EEE10hipError_tPvRmT3_T4_T5_T6_T7_T9_mT8_P12ihipStream_tbDpT10_ENKUlT_T0_E_clISt17integral_constantIbLb1EES1A_EEDaS15_S16_EUlS15_E_NS1_11comp_targetILNS1_3genE0ELNS1_11target_archE4294967295ELNS1_3gpuE0ELNS1_3repE0EEENS1_30default_config_static_selectorELNS0_4arch9wavefront6targetE1EEEvT1_
    .private_segment_fixed_size: 0
    .sgpr_count:     6
    .sgpr_spill_count: 0
    .symbol:         _ZN7rocprim17ROCPRIM_400000_NS6detail17trampoline_kernelINS0_14default_configENS1_25partition_config_selectorILNS1_17partition_subalgoE9EllbEEZZNS1_14partition_implILS5_9ELb0ES3_jPlS8_PNS0_10empty_typeENS0_5tupleIJS8_S9_EEENSB_IJS8_SA_EEENS0_18inequality_wrapperIZN2at6native12_GLOBAL__N_124unique_dim_cuda_templateIaEESt5tupleIJNSF_6TensorESK_SK_EERKSK_lbbbEUlllE0_EEPmJS9_EEE10hipError_tPvRmT3_T4_T5_T6_T7_T9_mT8_P12ihipStream_tbDpT10_ENKUlT_T0_E_clISt17integral_constantIbLb1EES1A_EEDaS15_S16_EUlS15_E_NS1_11comp_targetILNS1_3genE0ELNS1_11target_archE4294967295ELNS1_3gpuE0ELNS1_3repE0EEENS1_30default_config_static_selectorELNS0_4arch9wavefront6targetE1EEEvT1_.kd
    .uniform_work_group_size: 1
    .uses_dynamic_stack: false
    .vgpr_count:     0
    .vgpr_spill_count: 0
    .wavefront_size: 64
  - .agpr_count:     0
    .args:
      - .offset:         0
        .size:           136
        .value_kind:     by_value
    .group_segment_fixed_size: 28684
    .kernarg_segment_align: 8
    .kernarg_segment_size: 136
    .language:       OpenCL C
    .language_version:
      - 2
      - 0
    .max_flat_workgroup_size: 512
    .name:           _ZN7rocprim17ROCPRIM_400000_NS6detail17trampoline_kernelINS0_14default_configENS1_25partition_config_selectorILNS1_17partition_subalgoE9EllbEEZZNS1_14partition_implILS5_9ELb0ES3_jPlS8_PNS0_10empty_typeENS0_5tupleIJS8_S9_EEENSB_IJS8_SA_EEENS0_18inequality_wrapperIZN2at6native12_GLOBAL__N_124unique_dim_cuda_templateIaEESt5tupleIJNSF_6TensorESK_SK_EERKSK_lbbbEUlllE0_EEPmJS9_EEE10hipError_tPvRmT3_T4_T5_T6_T7_T9_mT8_P12ihipStream_tbDpT10_ENKUlT_T0_E_clISt17integral_constantIbLb1EES1A_EEDaS15_S16_EUlS15_E_NS1_11comp_targetILNS1_3genE5ELNS1_11target_archE942ELNS1_3gpuE9ELNS1_3repE0EEENS1_30default_config_static_selectorELNS0_4arch9wavefront6targetE1EEEvT1_
    .private_segment_fixed_size: 0
    .sgpr_count:     64
    .sgpr_spill_count: 0
    .symbol:         _ZN7rocprim17ROCPRIM_400000_NS6detail17trampoline_kernelINS0_14default_configENS1_25partition_config_selectorILNS1_17partition_subalgoE9EllbEEZZNS1_14partition_implILS5_9ELb0ES3_jPlS8_PNS0_10empty_typeENS0_5tupleIJS8_S9_EEENSB_IJS8_SA_EEENS0_18inequality_wrapperIZN2at6native12_GLOBAL__N_124unique_dim_cuda_templateIaEESt5tupleIJNSF_6TensorESK_SK_EERKSK_lbbbEUlllE0_EEPmJS9_EEE10hipError_tPvRmT3_T4_T5_T6_T7_T9_mT8_P12ihipStream_tbDpT10_ENKUlT_T0_E_clISt17integral_constantIbLb1EES1A_EEDaS15_S16_EUlS15_E_NS1_11comp_targetILNS1_3genE5ELNS1_11target_archE942ELNS1_3gpuE9ELNS1_3repE0EEENS1_30default_config_static_selectorELNS0_4arch9wavefront6targetE1EEEvT1_.kd
    .uniform_work_group_size: 1
    .uses_dynamic_stack: false
    .vgpr_count:     66
    .vgpr_spill_count: 0
    .wavefront_size: 64
  - .agpr_count:     0
    .args:
      - .offset:         0
        .size:           136
        .value_kind:     by_value
    .group_segment_fixed_size: 0
    .kernarg_segment_align: 8
    .kernarg_segment_size: 136
    .language:       OpenCL C
    .language_version:
      - 2
      - 0
    .max_flat_workgroup_size: 128
    .name:           _ZN7rocprim17ROCPRIM_400000_NS6detail17trampoline_kernelINS0_14default_configENS1_25partition_config_selectorILNS1_17partition_subalgoE9EllbEEZZNS1_14partition_implILS5_9ELb0ES3_jPlS8_PNS0_10empty_typeENS0_5tupleIJS8_S9_EEENSB_IJS8_SA_EEENS0_18inequality_wrapperIZN2at6native12_GLOBAL__N_124unique_dim_cuda_templateIaEESt5tupleIJNSF_6TensorESK_SK_EERKSK_lbbbEUlllE0_EEPmJS9_EEE10hipError_tPvRmT3_T4_T5_T6_T7_T9_mT8_P12ihipStream_tbDpT10_ENKUlT_T0_E_clISt17integral_constantIbLb1EES1A_EEDaS15_S16_EUlS15_E_NS1_11comp_targetILNS1_3genE4ELNS1_11target_archE910ELNS1_3gpuE8ELNS1_3repE0EEENS1_30default_config_static_selectorELNS0_4arch9wavefront6targetE1EEEvT1_
    .private_segment_fixed_size: 0
    .sgpr_count:     6
    .sgpr_spill_count: 0
    .symbol:         _ZN7rocprim17ROCPRIM_400000_NS6detail17trampoline_kernelINS0_14default_configENS1_25partition_config_selectorILNS1_17partition_subalgoE9EllbEEZZNS1_14partition_implILS5_9ELb0ES3_jPlS8_PNS0_10empty_typeENS0_5tupleIJS8_S9_EEENSB_IJS8_SA_EEENS0_18inequality_wrapperIZN2at6native12_GLOBAL__N_124unique_dim_cuda_templateIaEESt5tupleIJNSF_6TensorESK_SK_EERKSK_lbbbEUlllE0_EEPmJS9_EEE10hipError_tPvRmT3_T4_T5_T6_T7_T9_mT8_P12ihipStream_tbDpT10_ENKUlT_T0_E_clISt17integral_constantIbLb1EES1A_EEDaS15_S16_EUlS15_E_NS1_11comp_targetILNS1_3genE4ELNS1_11target_archE910ELNS1_3gpuE8ELNS1_3repE0EEENS1_30default_config_static_selectorELNS0_4arch9wavefront6targetE1EEEvT1_.kd
    .uniform_work_group_size: 1
    .uses_dynamic_stack: false
    .vgpr_count:     0
    .vgpr_spill_count: 0
    .wavefront_size: 64
  - .agpr_count:     0
    .args:
      - .offset:         0
        .size:           136
        .value_kind:     by_value
    .group_segment_fixed_size: 0
    .kernarg_segment_align: 8
    .kernarg_segment_size: 136
    .language:       OpenCL C
    .language_version:
      - 2
      - 0
    .max_flat_workgroup_size: 128
    .name:           _ZN7rocprim17ROCPRIM_400000_NS6detail17trampoline_kernelINS0_14default_configENS1_25partition_config_selectorILNS1_17partition_subalgoE9EllbEEZZNS1_14partition_implILS5_9ELb0ES3_jPlS8_PNS0_10empty_typeENS0_5tupleIJS8_S9_EEENSB_IJS8_SA_EEENS0_18inequality_wrapperIZN2at6native12_GLOBAL__N_124unique_dim_cuda_templateIaEESt5tupleIJNSF_6TensorESK_SK_EERKSK_lbbbEUlllE0_EEPmJS9_EEE10hipError_tPvRmT3_T4_T5_T6_T7_T9_mT8_P12ihipStream_tbDpT10_ENKUlT_T0_E_clISt17integral_constantIbLb1EES1A_EEDaS15_S16_EUlS15_E_NS1_11comp_targetILNS1_3genE3ELNS1_11target_archE908ELNS1_3gpuE7ELNS1_3repE0EEENS1_30default_config_static_selectorELNS0_4arch9wavefront6targetE1EEEvT1_
    .private_segment_fixed_size: 0
    .sgpr_count:     6
    .sgpr_spill_count: 0
    .symbol:         _ZN7rocprim17ROCPRIM_400000_NS6detail17trampoline_kernelINS0_14default_configENS1_25partition_config_selectorILNS1_17partition_subalgoE9EllbEEZZNS1_14partition_implILS5_9ELb0ES3_jPlS8_PNS0_10empty_typeENS0_5tupleIJS8_S9_EEENSB_IJS8_SA_EEENS0_18inequality_wrapperIZN2at6native12_GLOBAL__N_124unique_dim_cuda_templateIaEESt5tupleIJNSF_6TensorESK_SK_EERKSK_lbbbEUlllE0_EEPmJS9_EEE10hipError_tPvRmT3_T4_T5_T6_T7_T9_mT8_P12ihipStream_tbDpT10_ENKUlT_T0_E_clISt17integral_constantIbLb1EES1A_EEDaS15_S16_EUlS15_E_NS1_11comp_targetILNS1_3genE3ELNS1_11target_archE908ELNS1_3gpuE7ELNS1_3repE0EEENS1_30default_config_static_selectorELNS0_4arch9wavefront6targetE1EEEvT1_.kd
    .uniform_work_group_size: 1
    .uses_dynamic_stack: false
    .vgpr_count:     0
    .vgpr_spill_count: 0
    .wavefront_size: 64
  - .agpr_count:     0
    .args:
      - .offset:         0
        .size:           136
        .value_kind:     by_value
    .group_segment_fixed_size: 0
    .kernarg_segment_align: 8
    .kernarg_segment_size: 136
    .language:       OpenCL C
    .language_version:
      - 2
      - 0
    .max_flat_workgroup_size: 192
    .name:           _ZN7rocprim17ROCPRIM_400000_NS6detail17trampoline_kernelINS0_14default_configENS1_25partition_config_selectorILNS1_17partition_subalgoE9EllbEEZZNS1_14partition_implILS5_9ELb0ES3_jPlS8_PNS0_10empty_typeENS0_5tupleIJS8_S9_EEENSB_IJS8_SA_EEENS0_18inequality_wrapperIZN2at6native12_GLOBAL__N_124unique_dim_cuda_templateIaEESt5tupleIJNSF_6TensorESK_SK_EERKSK_lbbbEUlllE0_EEPmJS9_EEE10hipError_tPvRmT3_T4_T5_T6_T7_T9_mT8_P12ihipStream_tbDpT10_ENKUlT_T0_E_clISt17integral_constantIbLb1EES1A_EEDaS15_S16_EUlS15_E_NS1_11comp_targetILNS1_3genE2ELNS1_11target_archE906ELNS1_3gpuE6ELNS1_3repE0EEENS1_30default_config_static_selectorELNS0_4arch9wavefront6targetE1EEEvT1_
    .private_segment_fixed_size: 0
    .sgpr_count:     6
    .sgpr_spill_count: 0
    .symbol:         _ZN7rocprim17ROCPRIM_400000_NS6detail17trampoline_kernelINS0_14default_configENS1_25partition_config_selectorILNS1_17partition_subalgoE9EllbEEZZNS1_14partition_implILS5_9ELb0ES3_jPlS8_PNS0_10empty_typeENS0_5tupleIJS8_S9_EEENSB_IJS8_SA_EEENS0_18inequality_wrapperIZN2at6native12_GLOBAL__N_124unique_dim_cuda_templateIaEESt5tupleIJNSF_6TensorESK_SK_EERKSK_lbbbEUlllE0_EEPmJS9_EEE10hipError_tPvRmT3_T4_T5_T6_T7_T9_mT8_P12ihipStream_tbDpT10_ENKUlT_T0_E_clISt17integral_constantIbLb1EES1A_EEDaS15_S16_EUlS15_E_NS1_11comp_targetILNS1_3genE2ELNS1_11target_archE906ELNS1_3gpuE6ELNS1_3repE0EEENS1_30default_config_static_selectorELNS0_4arch9wavefront6targetE1EEEvT1_.kd
    .uniform_work_group_size: 1
    .uses_dynamic_stack: false
    .vgpr_count:     0
    .vgpr_spill_count: 0
    .wavefront_size: 64
  - .agpr_count:     0
    .args:
      - .offset:         0
        .size:           136
        .value_kind:     by_value
    .group_segment_fixed_size: 0
    .kernarg_segment_align: 8
    .kernarg_segment_size: 136
    .language:       OpenCL C
    .language_version:
      - 2
      - 0
    .max_flat_workgroup_size: 384
    .name:           _ZN7rocprim17ROCPRIM_400000_NS6detail17trampoline_kernelINS0_14default_configENS1_25partition_config_selectorILNS1_17partition_subalgoE9EllbEEZZNS1_14partition_implILS5_9ELb0ES3_jPlS8_PNS0_10empty_typeENS0_5tupleIJS8_S9_EEENSB_IJS8_SA_EEENS0_18inequality_wrapperIZN2at6native12_GLOBAL__N_124unique_dim_cuda_templateIaEESt5tupleIJNSF_6TensorESK_SK_EERKSK_lbbbEUlllE0_EEPmJS9_EEE10hipError_tPvRmT3_T4_T5_T6_T7_T9_mT8_P12ihipStream_tbDpT10_ENKUlT_T0_E_clISt17integral_constantIbLb1EES1A_EEDaS15_S16_EUlS15_E_NS1_11comp_targetILNS1_3genE10ELNS1_11target_archE1200ELNS1_3gpuE4ELNS1_3repE0EEENS1_30default_config_static_selectorELNS0_4arch9wavefront6targetE1EEEvT1_
    .private_segment_fixed_size: 0
    .sgpr_count:     6
    .sgpr_spill_count: 0
    .symbol:         _ZN7rocprim17ROCPRIM_400000_NS6detail17trampoline_kernelINS0_14default_configENS1_25partition_config_selectorILNS1_17partition_subalgoE9EllbEEZZNS1_14partition_implILS5_9ELb0ES3_jPlS8_PNS0_10empty_typeENS0_5tupleIJS8_S9_EEENSB_IJS8_SA_EEENS0_18inequality_wrapperIZN2at6native12_GLOBAL__N_124unique_dim_cuda_templateIaEESt5tupleIJNSF_6TensorESK_SK_EERKSK_lbbbEUlllE0_EEPmJS9_EEE10hipError_tPvRmT3_T4_T5_T6_T7_T9_mT8_P12ihipStream_tbDpT10_ENKUlT_T0_E_clISt17integral_constantIbLb1EES1A_EEDaS15_S16_EUlS15_E_NS1_11comp_targetILNS1_3genE10ELNS1_11target_archE1200ELNS1_3gpuE4ELNS1_3repE0EEENS1_30default_config_static_selectorELNS0_4arch9wavefront6targetE1EEEvT1_.kd
    .uniform_work_group_size: 1
    .uses_dynamic_stack: false
    .vgpr_count:     0
    .vgpr_spill_count: 0
    .wavefront_size: 64
  - .agpr_count:     0
    .args:
      - .offset:         0
        .size:           136
        .value_kind:     by_value
    .group_segment_fixed_size: 0
    .kernarg_segment_align: 8
    .kernarg_segment_size: 136
    .language:       OpenCL C
    .language_version:
      - 2
      - 0
    .max_flat_workgroup_size: 512
    .name:           _ZN7rocprim17ROCPRIM_400000_NS6detail17trampoline_kernelINS0_14default_configENS1_25partition_config_selectorILNS1_17partition_subalgoE9EllbEEZZNS1_14partition_implILS5_9ELb0ES3_jPlS8_PNS0_10empty_typeENS0_5tupleIJS8_S9_EEENSB_IJS8_SA_EEENS0_18inequality_wrapperIZN2at6native12_GLOBAL__N_124unique_dim_cuda_templateIaEESt5tupleIJNSF_6TensorESK_SK_EERKSK_lbbbEUlllE0_EEPmJS9_EEE10hipError_tPvRmT3_T4_T5_T6_T7_T9_mT8_P12ihipStream_tbDpT10_ENKUlT_T0_E_clISt17integral_constantIbLb1EES1A_EEDaS15_S16_EUlS15_E_NS1_11comp_targetILNS1_3genE9ELNS1_11target_archE1100ELNS1_3gpuE3ELNS1_3repE0EEENS1_30default_config_static_selectorELNS0_4arch9wavefront6targetE1EEEvT1_
    .private_segment_fixed_size: 0
    .sgpr_count:     6
    .sgpr_spill_count: 0
    .symbol:         _ZN7rocprim17ROCPRIM_400000_NS6detail17trampoline_kernelINS0_14default_configENS1_25partition_config_selectorILNS1_17partition_subalgoE9EllbEEZZNS1_14partition_implILS5_9ELb0ES3_jPlS8_PNS0_10empty_typeENS0_5tupleIJS8_S9_EEENSB_IJS8_SA_EEENS0_18inequality_wrapperIZN2at6native12_GLOBAL__N_124unique_dim_cuda_templateIaEESt5tupleIJNSF_6TensorESK_SK_EERKSK_lbbbEUlllE0_EEPmJS9_EEE10hipError_tPvRmT3_T4_T5_T6_T7_T9_mT8_P12ihipStream_tbDpT10_ENKUlT_T0_E_clISt17integral_constantIbLb1EES1A_EEDaS15_S16_EUlS15_E_NS1_11comp_targetILNS1_3genE9ELNS1_11target_archE1100ELNS1_3gpuE3ELNS1_3repE0EEENS1_30default_config_static_selectorELNS0_4arch9wavefront6targetE1EEEvT1_.kd
    .uniform_work_group_size: 1
    .uses_dynamic_stack: false
    .vgpr_count:     0
    .vgpr_spill_count: 0
    .wavefront_size: 64
  - .agpr_count:     0
    .args:
      - .offset:         0
        .size:           136
        .value_kind:     by_value
    .group_segment_fixed_size: 0
    .kernarg_segment_align: 8
    .kernarg_segment_size: 136
    .language:       OpenCL C
    .language_version:
      - 2
      - 0
    .max_flat_workgroup_size: 512
    .name:           _ZN7rocprim17ROCPRIM_400000_NS6detail17trampoline_kernelINS0_14default_configENS1_25partition_config_selectorILNS1_17partition_subalgoE9EllbEEZZNS1_14partition_implILS5_9ELb0ES3_jPlS8_PNS0_10empty_typeENS0_5tupleIJS8_S9_EEENSB_IJS8_SA_EEENS0_18inequality_wrapperIZN2at6native12_GLOBAL__N_124unique_dim_cuda_templateIaEESt5tupleIJNSF_6TensorESK_SK_EERKSK_lbbbEUlllE0_EEPmJS9_EEE10hipError_tPvRmT3_T4_T5_T6_T7_T9_mT8_P12ihipStream_tbDpT10_ENKUlT_T0_E_clISt17integral_constantIbLb1EES1A_EEDaS15_S16_EUlS15_E_NS1_11comp_targetILNS1_3genE8ELNS1_11target_archE1030ELNS1_3gpuE2ELNS1_3repE0EEENS1_30default_config_static_selectorELNS0_4arch9wavefront6targetE1EEEvT1_
    .private_segment_fixed_size: 0
    .sgpr_count:     6
    .sgpr_spill_count: 0
    .symbol:         _ZN7rocprim17ROCPRIM_400000_NS6detail17trampoline_kernelINS0_14default_configENS1_25partition_config_selectorILNS1_17partition_subalgoE9EllbEEZZNS1_14partition_implILS5_9ELb0ES3_jPlS8_PNS0_10empty_typeENS0_5tupleIJS8_S9_EEENSB_IJS8_SA_EEENS0_18inequality_wrapperIZN2at6native12_GLOBAL__N_124unique_dim_cuda_templateIaEESt5tupleIJNSF_6TensorESK_SK_EERKSK_lbbbEUlllE0_EEPmJS9_EEE10hipError_tPvRmT3_T4_T5_T6_T7_T9_mT8_P12ihipStream_tbDpT10_ENKUlT_T0_E_clISt17integral_constantIbLb1EES1A_EEDaS15_S16_EUlS15_E_NS1_11comp_targetILNS1_3genE8ELNS1_11target_archE1030ELNS1_3gpuE2ELNS1_3repE0EEENS1_30default_config_static_selectorELNS0_4arch9wavefront6targetE1EEEvT1_.kd
    .uniform_work_group_size: 1
    .uses_dynamic_stack: false
    .vgpr_count:     0
    .vgpr_spill_count: 0
    .wavefront_size: 64
  - .agpr_count:     0
    .args:
      - .offset:         0
        .size:           120
        .value_kind:     by_value
    .group_segment_fixed_size: 0
    .kernarg_segment_align: 8
    .kernarg_segment_size: 120
    .language:       OpenCL C
    .language_version:
      - 2
      - 0
    .max_flat_workgroup_size: 128
    .name:           _ZN7rocprim17ROCPRIM_400000_NS6detail17trampoline_kernelINS0_14default_configENS1_25partition_config_selectorILNS1_17partition_subalgoE9EllbEEZZNS1_14partition_implILS5_9ELb0ES3_jPlS8_PNS0_10empty_typeENS0_5tupleIJS8_S9_EEENSB_IJS8_SA_EEENS0_18inequality_wrapperIZN2at6native12_GLOBAL__N_124unique_dim_cuda_templateIaEESt5tupleIJNSF_6TensorESK_SK_EERKSK_lbbbEUlllE0_EEPmJS9_EEE10hipError_tPvRmT3_T4_T5_T6_T7_T9_mT8_P12ihipStream_tbDpT10_ENKUlT_T0_E_clISt17integral_constantIbLb1EES19_IbLb0EEEEDaS15_S16_EUlS15_E_NS1_11comp_targetILNS1_3genE0ELNS1_11target_archE4294967295ELNS1_3gpuE0ELNS1_3repE0EEENS1_30default_config_static_selectorELNS0_4arch9wavefront6targetE1EEEvT1_
    .private_segment_fixed_size: 0
    .sgpr_count:     6
    .sgpr_spill_count: 0
    .symbol:         _ZN7rocprim17ROCPRIM_400000_NS6detail17trampoline_kernelINS0_14default_configENS1_25partition_config_selectorILNS1_17partition_subalgoE9EllbEEZZNS1_14partition_implILS5_9ELb0ES3_jPlS8_PNS0_10empty_typeENS0_5tupleIJS8_S9_EEENSB_IJS8_SA_EEENS0_18inequality_wrapperIZN2at6native12_GLOBAL__N_124unique_dim_cuda_templateIaEESt5tupleIJNSF_6TensorESK_SK_EERKSK_lbbbEUlllE0_EEPmJS9_EEE10hipError_tPvRmT3_T4_T5_T6_T7_T9_mT8_P12ihipStream_tbDpT10_ENKUlT_T0_E_clISt17integral_constantIbLb1EES19_IbLb0EEEEDaS15_S16_EUlS15_E_NS1_11comp_targetILNS1_3genE0ELNS1_11target_archE4294967295ELNS1_3gpuE0ELNS1_3repE0EEENS1_30default_config_static_selectorELNS0_4arch9wavefront6targetE1EEEvT1_.kd
    .uniform_work_group_size: 1
    .uses_dynamic_stack: false
    .vgpr_count:     0
    .vgpr_spill_count: 0
    .wavefront_size: 64
  - .agpr_count:     0
    .args:
      - .offset:         0
        .size:           120
        .value_kind:     by_value
    .group_segment_fixed_size: 28684
    .kernarg_segment_align: 8
    .kernarg_segment_size: 120
    .language:       OpenCL C
    .language_version:
      - 2
      - 0
    .max_flat_workgroup_size: 512
    .name:           _ZN7rocprim17ROCPRIM_400000_NS6detail17trampoline_kernelINS0_14default_configENS1_25partition_config_selectorILNS1_17partition_subalgoE9EllbEEZZNS1_14partition_implILS5_9ELb0ES3_jPlS8_PNS0_10empty_typeENS0_5tupleIJS8_S9_EEENSB_IJS8_SA_EEENS0_18inequality_wrapperIZN2at6native12_GLOBAL__N_124unique_dim_cuda_templateIaEESt5tupleIJNSF_6TensorESK_SK_EERKSK_lbbbEUlllE0_EEPmJS9_EEE10hipError_tPvRmT3_T4_T5_T6_T7_T9_mT8_P12ihipStream_tbDpT10_ENKUlT_T0_E_clISt17integral_constantIbLb1EES19_IbLb0EEEEDaS15_S16_EUlS15_E_NS1_11comp_targetILNS1_3genE5ELNS1_11target_archE942ELNS1_3gpuE9ELNS1_3repE0EEENS1_30default_config_static_selectorELNS0_4arch9wavefront6targetE1EEEvT1_
    .private_segment_fixed_size: 0
    .sgpr_count:     58
    .sgpr_spill_count: 0
    .symbol:         _ZN7rocprim17ROCPRIM_400000_NS6detail17trampoline_kernelINS0_14default_configENS1_25partition_config_selectorILNS1_17partition_subalgoE9EllbEEZZNS1_14partition_implILS5_9ELb0ES3_jPlS8_PNS0_10empty_typeENS0_5tupleIJS8_S9_EEENSB_IJS8_SA_EEENS0_18inequality_wrapperIZN2at6native12_GLOBAL__N_124unique_dim_cuda_templateIaEESt5tupleIJNSF_6TensorESK_SK_EERKSK_lbbbEUlllE0_EEPmJS9_EEE10hipError_tPvRmT3_T4_T5_T6_T7_T9_mT8_P12ihipStream_tbDpT10_ENKUlT_T0_E_clISt17integral_constantIbLb1EES19_IbLb0EEEEDaS15_S16_EUlS15_E_NS1_11comp_targetILNS1_3genE5ELNS1_11target_archE942ELNS1_3gpuE9ELNS1_3repE0EEENS1_30default_config_static_selectorELNS0_4arch9wavefront6targetE1EEEvT1_.kd
    .uniform_work_group_size: 1
    .uses_dynamic_stack: false
    .vgpr_count:     66
    .vgpr_spill_count: 0
    .wavefront_size: 64
  - .agpr_count:     0
    .args:
      - .offset:         0
        .size:           120
        .value_kind:     by_value
    .group_segment_fixed_size: 0
    .kernarg_segment_align: 8
    .kernarg_segment_size: 120
    .language:       OpenCL C
    .language_version:
      - 2
      - 0
    .max_flat_workgroup_size: 128
    .name:           _ZN7rocprim17ROCPRIM_400000_NS6detail17trampoline_kernelINS0_14default_configENS1_25partition_config_selectorILNS1_17partition_subalgoE9EllbEEZZNS1_14partition_implILS5_9ELb0ES3_jPlS8_PNS0_10empty_typeENS0_5tupleIJS8_S9_EEENSB_IJS8_SA_EEENS0_18inequality_wrapperIZN2at6native12_GLOBAL__N_124unique_dim_cuda_templateIaEESt5tupleIJNSF_6TensorESK_SK_EERKSK_lbbbEUlllE0_EEPmJS9_EEE10hipError_tPvRmT3_T4_T5_T6_T7_T9_mT8_P12ihipStream_tbDpT10_ENKUlT_T0_E_clISt17integral_constantIbLb1EES19_IbLb0EEEEDaS15_S16_EUlS15_E_NS1_11comp_targetILNS1_3genE4ELNS1_11target_archE910ELNS1_3gpuE8ELNS1_3repE0EEENS1_30default_config_static_selectorELNS0_4arch9wavefront6targetE1EEEvT1_
    .private_segment_fixed_size: 0
    .sgpr_count:     6
    .sgpr_spill_count: 0
    .symbol:         _ZN7rocprim17ROCPRIM_400000_NS6detail17trampoline_kernelINS0_14default_configENS1_25partition_config_selectorILNS1_17partition_subalgoE9EllbEEZZNS1_14partition_implILS5_9ELb0ES3_jPlS8_PNS0_10empty_typeENS0_5tupleIJS8_S9_EEENSB_IJS8_SA_EEENS0_18inequality_wrapperIZN2at6native12_GLOBAL__N_124unique_dim_cuda_templateIaEESt5tupleIJNSF_6TensorESK_SK_EERKSK_lbbbEUlllE0_EEPmJS9_EEE10hipError_tPvRmT3_T4_T5_T6_T7_T9_mT8_P12ihipStream_tbDpT10_ENKUlT_T0_E_clISt17integral_constantIbLb1EES19_IbLb0EEEEDaS15_S16_EUlS15_E_NS1_11comp_targetILNS1_3genE4ELNS1_11target_archE910ELNS1_3gpuE8ELNS1_3repE0EEENS1_30default_config_static_selectorELNS0_4arch9wavefront6targetE1EEEvT1_.kd
    .uniform_work_group_size: 1
    .uses_dynamic_stack: false
    .vgpr_count:     0
    .vgpr_spill_count: 0
    .wavefront_size: 64
  - .agpr_count:     0
    .args:
      - .offset:         0
        .size:           120
        .value_kind:     by_value
    .group_segment_fixed_size: 0
    .kernarg_segment_align: 8
    .kernarg_segment_size: 120
    .language:       OpenCL C
    .language_version:
      - 2
      - 0
    .max_flat_workgroup_size: 128
    .name:           _ZN7rocprim17ROCPRIM_400000_NS6detail17trampoline_kernelINS0_14default_configENS1_25partition_config_selectorILNS1_17partition_subalgoE9EllbEEZZNS1_14partition_implILS5_9ELb0ES3_jPlS8_PNS0_10empty_typeENS0_5tupleIJS8_S9_EEENSB_IJS8_SA_EEENS0_18inequality_wrapperIZN2at6native12_GLOBAL__N_124unique_dim_cuda_templateIaEESt5tupleIJNSF_6TensorESK_SK_EERKSK_lbbbEUlllE0_EEPmJS9_EEE10hipError_tPvRmT3_T4_T5_T6_T7_T9_mT8_P12ihipStream_tbDpT10_ENKUlT_T0_E_clISt17integral_constantIbLb1EES19_IbLb0EEEEDaS15_S16_EUlS15_E_NS1_11comp_targetILNS1_3genE3ELNS1_11target_archE908ELNS1_3gpuE7ELNS1_3repE0EEENS1_30default_config_static_selectorELNS0_4arch9wavefront6targetE1EEEvT1_
    .private_segment_fixed_size: 0
    .sgpr_count:     6
    .sgpr_spill_count: 0
    .symbol:         _ZN7rocprim17ROCPRIM_400000_NS6detail17trampoline_kernelINS0_14default_configENS1_25partition_config_selectorILNS1_17partition_subalgoE9EllbEEZZNS1_14partition_implILS5_9ELb0ES3_jPlS8_PNS0_10empty_typeENS0_5tupleIJS8_S9_EEENSB_IJS8_SA_EEENS0_18inequality_wrapperIZN2at6native12_GLOBAL__N_124unique_dim_cuda_templateIaEESt5tupleIJNSF_6TensorESK_SK_EERKSK_lbbbEUlllE0_EEPmJS9_EEE10hipError_tPvRmT3_T4_T5_T6_T7_T9_mT8_P12ihipStream_tbDpT10_ENKUlT_T0_E_clISt17integral_constantIbLb1EES19_IbLb0EEEEDaS15_S16_EUlS15_E_NS1_11comp_targetILNS1_3genE3ELNS1_11target_archE908ELNS1_3gpuE7ELNS1_3repE0EEENS1_30default_config_static_selectorELNS0_4arch9wavefront6targetE1EEEvT1_.kd
    .uniform_work_group_size: 1
    .uses_dynamic_stack: false
    .vgpr_count:     0
    .vgpr_spill_count: 0
    .wavefront_size: 64
  - .agpr_count:     0
    .args:
      - .offset:         0
        .size:           120
        .value_kind:     by_value
    .group_segment_fixed_size: 0
    .kernarg_segment_align: 8
    .kernarg_segment_size: 120
    .language:       OpenCL C
    .language_version:
      - 2
      - 0
    .max_flat_workgroup_size: 192
    .name:           _ZN7rocprim17ROCPRIM_400000_NS6detail17trampoline_kernelINS0_14default_configENS1_25partition_config_selectorILNS1_17partition_subalgoE9EllbEEZZNS1_14partition_implILS5_9ELb0ES3_jPlS8_PNS0_10empty_typeENS0_5tupleIJS8_S9_EEENSB_IJS8_SA_EEENS0_18inequality_wrapperIZN2at6native12_GLOBAL__N_124unique_dim_cuda_templateIaEESt5tupleIJNSF_6TensorESK_SK_EERKSK_lbbbEUlllE0_EEPmJS9_EEE10hipError_tPvRmT3_T4_T5_T6_T7_T9_mT8_P12ihipStream_tbDpT10_ENKUlT_T0_E_clISt17integral_constantIbLb1EES19_IbLb0EEEEDaS15_S16_EUlS15_E_NS1_11comp_targetILNS1_3genE2ELNS1_11target_archE906ELNS1_3gpuE6ELNS1_3repE0EEENS1_30default_config_static_selectorELNS0_4arch9wavefront6targetE1EEEvT1_
    .private_segment_fixed_size: 0
    .sgpr_count:     6
    .sgpr_spill_count: 0
    .symbol:         _ZN7rocprim17ROCPRIM_400000_NS6detail17trampoline_kernelINS0_14default_configENS1_25partition_config_selectorILNS1_17partition_subalgoE9EllbEEZZNS1_14partition_implILS5_9ELb0ES3_jPlS8_PNS0_10empty_typeENS0_5tupleIJS8_S9_EEENSB_IJS8_SA_EEENS0_18inequality_wrapperIZN2at6native12_GLOBAL__N_124unique_dim_cuda_templateIaEESt5tupleIJNSF_6TensorESK_SK_EERKSK_lbbbEUlllE0_EEPmJS9_EEE10hipError_tPvRmT3_T4_T5_T6_T7_T9_mT8_P12ihipStream_tbDpT10_ENKUlT_T0_E_clISt17integral_constantIbLb1EES19_IbLb0EEEEDaS15_S16_EUlS15_E_NS1_11comp_targetILNS1_3genE2ELNS1_11target_archE906ELNS1_3gpuE6ELNS1_3repE0EEENS1_30default_config_static_selectorELNS0_4arch9wavefront6targetE1EEEvT1_.kd
    .uniform_work_group_size: 1
    .uses_dynamic_stack: false
    .vgpr_count:     0
    .vgpr_spill_count: 0
    .wavefront_size: 64
  - .agpr_count:     0
    .args:
      - .offset:         0
        .size:           120
        .value_kind:     by_value
    .group_segment_fixed_size: 0
    .kernarg_segment_align: 8
    .kernarg_segment_size: 120
    .language:       OpenCL C
    .language_version:
      - 2
      - 0
    .max_flat_workgroup_size: 384
    .name:           _ZN7rocprim17ROCPRIM_400000_NS6detail17trampoline_kernelINS0_14default_configENS1_25partition_config_selectorILNS1_17partition_subalgoE9EllbEEZZNS1_14partition_implILS5_9ELb0ES3_jPlS8_PNS0_10empty_typeENS0_5tupleIJS8_S9_EEENSB_IJS8_SA_EEENS0_18inequality_wrapperIZN2at6native12_GLOBAL__N_124unique_dim_cuda_templateIaEESt5tupleIJNSF_6TensorESK_SK_EERKSK_lbbbEUlllE0_EEPmJS9_EEE10hipError_tPvRmT3_T4_T5_T6_T7_T9_mT8_P12ihipStream_tbDpT10_ENKUlT_T0_E_clISt17integral_constantIbLb1EES19_IbLb0EEEEDaS15_S16_EUlS15_E_NS1_11comp_targetILNS1_3genE10ELNS1_11target_archE1200ELNS1_3gpuE4ELNS1_3repE0EEENS1_30default_config_static_selectorELNS0_4arch9wavefront6targetE1EEEvT1_
    .private_segment_fixed_size: 0
    .sgpr_count:     6
    .sgpr_spill_count: 0
    .symbol:         _ZN7rocprim17ROCPRIM_400000_NS6detail17trampoline_kernelINS0_14default_configENS1_25partition_config_selectorILNS1_17partition_subalgoE9EllbEEZZNS1_14partition_implILS5_9ELb0ES3_jPlS8_PNS0_10empty_typeENS0_5tupleIJS8_S9_EEENSB_IJS8_SA_EEENS0_18inequality_wrapperIZN2at6native12_GLOBAL__N_124unique_dim_cuda_templateIaEESt5tupleIJNSF_6TensorESK_SK_EERKSK_lbbbEUlllE0_EEPmJS9_EEE10hipError_tPvRmT3_T4_T5_T6_T7_T9_mT8_P12ihipStream_tbDpT10_ENKUlT_T0_E_clISt17integral_constantIbLb1EES19_IbLb0EEEEDaS15_S16_EUlS15_E_NS1_11comp_targetILNS1_3genE10ELNS1_11target_archE1200ELNS1_3gpuE4ELNS1_3repE0EEENS1_30default_config_static_selectorELNS0_4arch9wavefront6targetE1EEEvT1_.kd
    .uniform_work_group_size: 1
    .uses_dynamic_stack: false
    .vgpr_count:     0
    .vgpr_spill_count: 0
    .wavefront_size: 64
  - .agpr_count:     0
    .args:
      - .offset:         0
        .size:           120
        .value_kind:     by_value
    .group_segment_fixed_size: 0
    .kernarg_segment_align: 8
    .kernarg_segment_size: 120
    .language:       OpenCL C
    .language_version:
      - 2
      - 0
    .max_flat_workgroup_size: 512
    .name:           _ZN7rocprim17ROCPRIM_400000_NS6detail17trampoline_kernelINS0_14default_configENS1_25partition_config_selectorILNS1_17partition_subalgoE9EllbEEZZNS1_14partition_implILS5_9ELb0ES3_jPlS8_PNS0_10empty_typeENS0_5tupleIJS8_S9_EEENSB_IJS8_SA_EEENS0_18inequality_wrapperIZN2at6native12_GLOBAL__N_124unique_dim_cuda_templateIaEESt5tupleIJNSF_6TensorESK_SK_EERKSK_lbbbEUlllE0_EEPmJS9_EEE10hipError_tPvRmT3_T4_T5_T6_T7_T9_mT8_P12ihipStream_tbDpT10_ENKUlT_T0_E_clISt17integral_constantIbLb1EES19_IbLb0EEEEDaS15_S16_EUlS15_E_NS1_11comp_targetILNS1_3genE9ELNS1_11target_archE1100ELNS1_3gpuE3ELNS1_3repE0EEENS1_30default_config_static_selectorELNS0_4arch9wavefront6targetE1EEEvT1_
    .private_segment_fixed_size: 0
    .sgpr_count:     6
    .sgpr_spill_count: 0
    .symbol:         _ZN7rocprim17ROCPRIM_400000_NS6detail17trampoline_kernelINS0_14default_configENS1_25partition_config_selectorILNS1_17partition_subalgoE9EllbEEZZNS1_14partition_implILS5_9ELb0ES3_jPlS8_PNS0_10empty_typeENS0_5tupleIJS8_S9_EEENSB_IJS8_SA_EEENS0_18inequality_wrapperIZN2at6native12_GLOBAL__N_124unique_dim_cuda_templateIaEESt5tupleIJNSF_6TensorESK_SK_EERKSK_lbbbEUlllE0_EEPmJS9_EEE10hipError_tPvRmT3_T4_T5_T6_T7_T9_mT8_P12ihipStream_tbDpT10_ENKUlT_T0_E_clISt17integral_constantIbLb1EES19_IbLb0EEEEDaS15_S16_EUlS15_E_NS1_11comp_targetILNS1_3genE9ELNS1_11target_archE1100ELNS1_3gpuE3ELNS1_3repE0EEENS1_30default_config_static_selectorELNS0_4arch9wavefront6targetE1EEEvT1_.kd
    .uniform_work_group_size: 1
    .uses_dynamic_stack: false
    .vgpr_count:     0
    .vgpr_spill_count: 0
    .wavefront_size: 64
  - .agpr_count:     0
    .args:
      - .offset:         0
        .size:           120
        .value_kind:     by_value
    .group_segment_fixed_size: 0
    .kernarg_segment_align: 8
    .kernarg_segment_size: 120
    .language:       OpenCL C
    .language_version:
      - 2
      - 0
    .max_flat_workgroup_size: 512
    .name:           _ZN7rocprim17ROCPRIM_400000_NS6detail17trampoline_kernelINS0_14default_configENS1_25partition_config_selectorILNS1_17partition_subalgoE9EllbEEZZNS1_14partition_implILS5_9ELb0ES3_jPlS8_PNS0_10empty_typeENS0_5tupleIJS8_S9_EEENSB_IJS8_SA_EEENS0_18inequality_wrapperIZN2at6native12_GLOBAL__N_124unique_dim_cuda_templateIaEESt5tupleIJNSF_6TensorESK_SK_EERKSK_lbbbEUlllE0_EEPmJS9_EEE10hipError_tPvRmT3_T4_T5_T6_T7_T9_mT8_P12ihipStream_tbDpT10_ENKUlT_T0_E_clISt17integral_constantIbLb1EES19_IbLb0EEEEDaS15_S16_EUlS15_E_NS1_11comp_targetILNS1_3genE8ELNS1_11target_archE1030ELNS1_3gpuE2ELNS1_3repE0EEENS1_30default_config_static_selectorELNS0_4arch9wavefront6targetE1EEEvT1_
    .private_segment_fixed_size: 0
    .sgpr_count:     6
    .sgpr_spill_count: 0
    .symbol:         _ZN7rocprim17ROCPRIM_400000_NS6detail17trampoline_kernelINS0_14default_configENS1_25partition_config_selectorILNS1_17partition_subalgoE9EllbEEZZNS1_14partition_implILS5_9ELb0ES3_jPlS8_PNS0_10empty_typeENS0_5tupleIJS8_S9_EEENSB_IJS8_SA_EEENS0_18inequality_wrapperIZN2at6native12_GLOBAL__N_124unique_dim_cuda_templateIaEESt5tupleIJNSF_6TensorESK_SK_EERKSK_lbbbEUlllE0_EEPmJS9_EEE10hipError_tPvRmT3_T4_T5_T6_T7_T9_mT8_P12ihipStream_tbDpT10_ENKUlT_T0_E_clISt17integral_constantIbLb1EES19_IbLb0EEEEDaS15_S16_EUlS15_E_NS1_11comp_targetILNS1_3genE8ELNS1_11target_archE1030ELNS1_3gpuE2ELNS1_3repE0EEENS1_30default_config_static_selectorELNS0_4arch9wavefront6targetE1EEEvT1_.kd
    .uniform_work_group_size: 1
    .uses_dynamic_stack: false
    .vgpr_count:     0
    .vgpr_spill_count: 0
    .wavefront_size: 64
  - .agpr_count:     0
    .args:
      - .offset:         0
        .size:           136
        .value_kind:     by_value
    .group_segment_fixed_size: 0
    .kernarg_segment_align: 8
    .kernarg_segment_size: 136
    .language:       OpenCL C
    .language_version:
      - 2
      - 0
    .max_flat_workgroup_size: 128
    .name:           _ZN7rocprim17ROCPRIM_400000_NS6detail17trampoline_kernelINS0_14default_configENS1_25partition_config_selectorILNS1_17partition_subalgoE9EllbEEZZNS1_14partition_implILS5_9ELb0ES3_jPlS8_PNS0_10empty_typeENS0_5tupleIJS8_S9_EEENSB_IJS8_SA_EEENS0_18inequality_wrapperIZN2at6native12_GLOBAL__N_124unique_dim_cuda_templateIaEESt5tupleIJNSF_6TensorESK_SK_EERKSK_lbbbEUlllE0_EEPmJS9_EEE10hipError_tPvRmT3_T4_T5_T6_T7_T9_mT8_P12ihipStream_tbDpT10_ENKUlT_T0_E_clISt17integral_constantIbLb0EES19_IbLb1EEEEDaS15_S16_EUlS15_E_NS1_11comp_targetILNS1_3genE0ELNS1_11target_archE4294967295ELNS1_3gpuE0ELNS1_3repE0EEENS1_30default_config_static_selectorELNS0_4arch9wavefront6targetE1EEEvT1_
    .private_segment_fixed_size: 0
    .sgpr_count:     6
    .sgpr_spill_count: 0
    .symbol:         _ZN7rocprim17ROCPRIM_400000_NS6detail17trampoline_kernelINS0_14default_configENS1_25partition_config_selectorILNS1_17partition_subalgoE9EllbEEZZNS1_14partition_implILS5_9ELb0ES3_jPlS8_PNS0_10empty_typeENS0_5tupleIJS8_S9_EEENSB_IJS8_SA_EEENS0_18inequality_wrapperIZN2at6native12_GLOBAL__N_124unique_dim_cuda_templateIaEESt5tupleIJNSF_6TensorESK_SK_EERKSK_lbbbEUlllE0_EEPmJS9_EEE10hipError_tPvRmT3_T4_T5_T6_T7_T9_mT8_P12ihipStream_tbDpT10_ENKUlT_T0_E_clISt17integral_constantIbLb0EES19_IbLb1EEEEDaS15_S16_EUlS15_E_NS1_11comp_targetILNS1_3genE0ELNS1_11target_archE4294967295ELNS1_3gpuE0ELNS1_3repE0EEENS1_30default_config_static_selectorELNS0_4arch9wavefront6targetE1EEEvT1_.kd
    .uniform_work_group_size: 1
    .uses_dynamic_stack: false
    .vgpr_count:     0
    .vgpr_spill_count: 0
    .wavefront_size: 64
  - .agpr_count:     0
    .args:
      - .offset:         0
        .size:           136
        .value_kind:     by_value
    .group_segment_fixed_size: 28684
    .kernarg_segment_align: 8
    .kernarg_segment_size: 136
    .language:       OpenCL C
    .language_version:
      - 2
      - 0
    .max_flat_workgroup_size: 512
    .name:           _ZN7rocprim17ROCPRIM_400000_NS6detail17trampoline_kernelINS0_14default_configENS1_25partition_config_selectorILNS1_17partition_subalgoE9EllbEEZZNS1_14partition_implILS5_9ELb0ES3_jPlS8_PNS0_10empty_typeENS0_5tupleIJS8_S9_EEENSB_IJS8_SA_EEENS0_18inequality_wrapperIZN2at6native12_GLOBAL__N_124unique_dim_cuda_templateIaEESt5tupleIJNSF_6TensorESK_SK_EERKSK_lbbbEUlllE0_EEPmJS9_EEE10hipError_tPvRmT3_T4_T5_T6_T7_T9_mT8_P12ihipStream_tbDpT10_ENKUlT_T0_E_clISt17integral_constantIbLb0EES19_IbLb1EEEEDaS15_S16_EUlS15_E_NS1_11comp_targetILNS1_3genE5ELNS1_11target_archE942ELNS1_3gpuE9ELNS1_3repE0EEENS1_30default_config_static_selectorELNS0_4arch9wavefront6targetE1EEEvT1_
    .private_segment_fixed_size: 0
    .sgpr_count:     64
    .sgpr_spill_count: 0
    .symbol:         _ZN7rocprim17ROCPRIM_400000_NS6detail17trampoline_kernelINS0_14default_configENS1_25partition_config_selectorILNS1_17partition_subalgoE9EllbEEZZNS1_14partition_implILS5_9ELb0ES3_jPlS8_PNS0_10empty_typeENS0_5tupleIJS8_S9_EEENSB_IJS8_SA_EEENS0_18inequality_wrapperIZN2at6native12_GLOBAL__N_124unique_dim_cuda_templateIaEESt5tupleIJNSF_6TensorESK_SK_EERKSK_lbbbEUlllE0_EEPmJS9_EEE10hipError_tPvRmT3_T4_T5_T6_T7_T9_mT8_P12ihipStream_tbDpT10_ENKUlT_T0_E_clISt17integral_constantIbLb0EES19_IbLb1EEEEDaS15_S16_EUlS15_E_NS1_11comp_targetILNS1_3genE5ELNS1_11target_archE942ELNS1_3gpuE9ELNS1_3repE0EEENS1_30default_config_static_selectorELNS0_4arch9wavefront6targetE1EEEvT1_.kd
    .uniform_work_group_size: 1
    .uses_dynamic_stack: false
    .vgpr_count:     66
    .vgpr_spill_count: 0
    .wavefront_size: 64
  - .agpr_count:     0
    .args:
      - .offset:         0
        .size:           136
        .value_kind:     by_value
    .group_segment_fixed_size: 0
    .kernarg_segment_align: 8
    .kernarg_segment_size: 136
    .language:       OpenCL C
    .language_version:
      - 2
      - 0
    .max_flat_workgroup_size: 128
    .name:           _ZN7rocprim17ROCPRIM_400000_NS6detail17trampoline_kernelINS0_14default_configENS1_25partition_config_selectorILNS1_17partition_subalgoE9EllbEEZZNS1_14partition_implILS5_9ELb0ES3_jPlS8_PNS0_10empty_typeENS0_5tupleIJS8_S9_EEENSB_IJS8_SA_EEENS0_18inequality_wrapperIZN2at6native12_GLOBAL__N_124unique_dim_cuda_templateIaEESt5tupleIJNSF_6TensorESK_SK_EERKSK_lbbbEUlllE0_EEPmJS9_EEE10hipError_tPvRmT3_T4_T5_T6_T7_T9_mT8_P12ihipStream_tbDpT10_ENKUlT_T0_E_clISt17integral_constantIbLb0EES19_IbLb1EEEEDaS15_S16_EUlS15_E_NS1_11comp_targetILNS1_3genE4ELNS1_11target_archE910ELNS1_3gpuE8ELNS1_3repE0EEENS1_30default_config_static_selectorELNS0_4arch9wavefront6targetE1EEEvT1_
    .private_segment_fixed_size: 0
    .sgpr_count:     6
    .sgpr_spill_count: 0
    .symbol:         _ZN7rocprim17ROCPRIM_400000_NS6detail17trampoline_kernelINS0_14default_configENS1_25partition_config_selectorILNS1_17partition_subalgoE9EllbEEZZNS1_14partition_implILS5_9ELb0ES3_jPlS8_PNS0_10empty_typeENS0_5tupleIJS8_S9_EEENSB_IJS8_SA_EEENS0_18inequality_wrapperIZN2at6native12_GLOBAL__N_124unique_dim_cuda_templateIaEESt5tupleIJNSF_6TensorESK_SK_EERKSK_lbbbEUlllE0_EEPmJS9_EEE10hipError_tPvRmT3_T4_T5_T6_T7_T9_mT8_P12ihipStream_tbDpT10_ENKUlT_T0_E_clISt17integral_constantIbLb0EES19_IbLb1EEEEDaS15_S16_EUlS15_E_NS1_11comp_targetILNS1_3genE4ELNS1_11target_archE910ELNS1_3gpuE8ELNS1_3repE0EEENS1_30default_config_static_selectorELNS0_4arch9wavefront6targetE1EEEvT1_.kd
    .uniform_work_group_size: 1
    .uses_dynamic_stack: false
    .vgpr_count:     0
    .vgpr_spill_count: 0
    .wavefront_size: 64
  - .agpr_count:     0
    .args:
      - .offset:         0
        .size:           136
        .value_kind:     by_value
    .group_segment_fixed_size: 0
    .kernarg_segment_align: 8
    .kernarg_segment_size: 136
    .language:       OpenCL C
    .language_version:
      - 2
      - 0
    .max_flat_workgroup_size: 128
    .name:           _ZN7rocprim17ROCPRIM_400000_NS6detail17trampoline_kernelINS0_14default_configENS1_25partition_config_selectorILNS1_17partition_subalgoE9EllbEEZZNS1_14partition_implILS5_9ELb0ES3_jPlS8_PNS0_10empty_typeENS0_5tupleIJS8_S9_EEENSB_IJS8_SA_EEENS0_18inequality_wrapperIZN2at6native12_GLOBAL__N_124unique_dim_cuda_templateIaEESt5tupleIJNSF_6TensorESK_SK_EERKSK_lbbbEUlllE0_EEPmJS9_EEE10hipError_tPvRmT3_T4_T5_T6_T7_T9_mT8_P12ihipStream_tbDpT10_ENKUlT_T0_E_clISt17integral_constantIbLb0EES19_IbLb1EEEEDaS15_S16_EUlS15_E_NS1_11comp_targetILNS1_3genE3ELNS1_11target_archE908ELNS1_3gpuE7ELNS1_3repE0EEENS1_30default_config_static_selectorELNS0_4arch9wavefront6targetE1EEEvT1_
    .private_segment_fixed_size: 0
    .sgpr_count:     6
    .sgpr_spill_count: 0
    .symbol:         _ZN7rocprim17ROCPRIM_400000_NS6detail17trampoline_kernelINS0_14default_configENS1_25partition_config_selectorILNS1_17partition_subalgoE9EllbEEZZNS1_14partition_implILS5_9ELb0ES3_jPlS8_PNS0_10empty_typeENS0_5tupleIJS8_S9_EEENSB_IJS8_SA_EEENS0_18inequality_wrapperIZN2at6native12_GLOBAL__N_124unique_dim_cuda_templateIaEESt5tupleIJNSF_6TensorESK_SK_EERKSK_lbbbEUlllE0_EEPmJS9_EEE10hipError_tPvRmT3_T4_T5_T6_T7_T9_mT8_P12ihipStream_tbDpT10_ENKUlT_T0_E_clISt17integral_constantIbLb0EES19_IbLb1EEEEDaS15_S16_EUlS15_E_NS1_11comp_targetILNS1_3genE3ELNS1_11target_archE908ELNS1_3gpuE7ELNS1_3repE0EEENS1_30default_config_static_selectorELNS0_4arch9wavefront6targetE1EEEvT1_.kd
    .uniform_work_group_size: 1
    .uses_dynamic_stack: false
    .vgpr_count:     0
    .vgpr_spill_count: 0
    .wavefront_size: 64
  - .agpr_count:     0
    .args:
      - .offset:         0
        .size:           136
        .value_kind:     by_value
    .group_segment_fixed_size: 0
    .kernarg_segment_align: 8
    .kernarg_segment_size: 136
    .language:       OpenCL C
    .language_version:
      - 2
      - 0
    .max_flat_workgroup_size: 192
    .name:           _ZN7rocprim17ROCPRIM_400000_NS6detail17trampoline_kernelINS0_14default_configENS1_25partition_config_selectorILNS1_17partition_subalgoE9EllbEEZZNS1_14partition_implILS5_9ELb0ES3_jPlS8_PNS0_10empty_typeENS0_5tupleIJS8_S9_EEENSB_IJS8_SA_EEENS0_18inequality_wrapperIZN2at6native12_GLOBAL__N_124unique_dim_cuda_templateIaEESt5tupleIJNSF_6TensorESK_SK_EERKSK_lbbbEUlllE0_EEPmJS9_EEE10hipError_tPvRmT3_T4_T5_T6_T7_T9_mT8_P12ihipStream_tbDpT10_ENKUlT_T0_E_clISt17integral_constantIbLb0EES19_IbLb1EEEEDaS15_S16_EUlS15_E_NS1_11comp_targetILNS1_3genE2ELNS1_11target_archE906ELNS1_3gpuE6ELNS1_3repE0EEENS1_30default_config_static_selectorELNS0_4arch9wavefront6targetE1EEEvT1_
    .private_segment_fixed_size: 0
    .sgpr_count:     6
    .sgpr_spill_count: 0
    .symbol:         _ZN7rocprim17ROCPRIM_400000_NS6detail17trampoline_kernelINS0_14default_configENS1_25partition_config_selectorILNS1_17partition_subalgoE9EllbEEZZNS1_14partition_implILS5_9ELb0ES3_jPlS8_PNS0_10empty_typeENS0_5tupleIJS8_S9_EEENSB_IJS8_SA_EEENS0_18inequality_wrapperIZN2at6native12_GLOBAL__N_124unique_dim_cuda_templateIaEESt5tupleIJNSF_6TensorESK_SK_EERKSK_lbbbEUlllE0_EEPmJS9_EEE10hipError_tPvRmT3_T4_T5_T6_T7_T9_mT8_P12ihipStream_tbDpT10_ENKUlT_T0_E_clISt17integral_constantIbLb0EES19_IbLb1EEEEDaS15_S16_EUlS15_E_NS1_11comp_targetILNS1_3genE2ELNS1_11target_archE906ELNS1_3gpuE6ELNS1_3repE0EEENS1_30default_config_static_selectorELNS0_4arch9wavefront6targetE1EEEvT1_.kd
    .uniform_work_group_size: 1
    .uses_dynamic_stack: false
    .vgpr_count:     0
    .vgpr_spill_count: 0
    .wavefront_size: 64
  - .agpr_count:     0
    .args:
      - .offset:         0
        .size:           136
        .value_kind:     by_value
    .group_segment_fixed_size: 0
    .kernarg_segment_align: 8
    .kernarg_segment_size: 136
    .language:       OpenCL C
    .language_version:
      - 2
      - 0
    .max_flat_workgroup_size: 384
    .name:           _ZN7rocprim17ROCPRIM_400000_NS6detail17trampoline_kernelINS0_14default_configENS1_25partition_config_selectorILNS1_17partition_subalgoE9EllbEEZZNS1_14partition_implILS5_9ELb0ES3_jPlS8_PNS0_10empty_typeENS0_5tupleIJS8_S9_EEENSB_IJS8_SA_EEENS0_18inequality_wrapperIZN2at6native12_GLOBAL__N_124unique_dim_cuda_templateIaEESt5tupleIJNSF_6TensorESK_SK_EERKSK_lbbbEUlllE0_EEPmJS9_EEE10hipError_tPvRmT3_T4_T5_T6_T7_T9_mT8_P12ihipStream_tbDpT10_ENKUlT_T0_E_clISt17integral_constantIbLb0EES19_IbLb1EEEEDaS15_S16_EUlS15_E_NS1_11comp_targetILNS1_3genE10ELNS1_11target_archE1200ELNS1_3gpuE4ELNS1_3repE0EEENS1_30default_config_static_selectorELNS0_4arch9wavefront6targetE1EEEvT1_
    .private_segment_fixed_size: 0
    .sgpr_count:     6
    .sgpr_spill_count: 0
    .symbol:         _ZN7rocprim17ROCPRIM_400000_NS6detail17trampoline_kernelINS0_14default_configENS1_25partition_config_selectorILNS1_17partition_subalgoE9EllbEEZZNS1_14partition_implILS5_9ELb0ES3_jPlS8_PNS0_10empty_typeENS0_5tupleIJS8_S9_EEENSB_IJS8_SA_EEENS0_18inequality_wrapperIZN2at6native12_GLOBAL__N_124unique_dim_cuda_templateIaEESt5tupleIJNSF_6TensorESK_SK_EERKSK_lbbbEUlllE0_EEPmJS9_EEE10hipError_tPvRmT3_T4_T5_T6_T7_T9_mT8_P12ihipStream_tbDpT10_ENKUlT_T0_E_clISt17integral_constantIbLb0EES19_IbLb1EEEEDaS15_S16_EUlS15_E_NS1_11comp_targetILNS1_3genE10ELNS1_11target_archE1200ELNS1_3gpuE4ELNS1_3repE0EEENS1_30default_config_static_selectorELNS0_4arch9wavefront6targetE1EEEvT1_.kd
    .uniform_work_group_size: 1
    .uses_dynamic_stack: false
    .vgpr_count:     0
    .vgpr_spill_count: 0
    .wavefront_size: 64
  - .agpr_count:     0
    .args:
      - .offset:         0
        .size:           136
        .value_kind:     by_value
    .group_segment_fixed_size: 0
    .kernarg_segment_align: 8
    .kernarg_segment_size: 136
    .language:       OpenCL C
    .language_version:
      - 2
      - 0
    .max_flat_workgroup_size: 512
    .name:           _ZN7rocprim17ROCPRIM_400000_NS6detail17trampoline_kernelINS0_14default_configENS1_25partition_config_selectorILNS1_17partition_subalgoE9EllbEEZZNS1_14partition_implILS5_9ELb0ES3_jPlS8_PNS0_10empty_typeENS0_5tupleIJS8_S9_EEENSB_IJS8_SA_EEENS0_18inequality_wrapperIZN2at6native12_GLOBAL__N_124unique_dim_cuda_templateIaEESt5tupleIJNSF_6TensorESK_SK_EERKSK_lbbbEUlllE0_EEPmJS9_EEE10hipError_tPvRmT3_T4_T5_T6_T7_T9_mT8_P12ihipStream_tbDpT10_ENKUlT_T0_E_clISt17integral_constantIbLb0EES19_IbLb1EEEEDaS15_S16_EUlS15_E_NS1_11comp_targetILNS1_3genE9ELNS1_11target_archE1100ELNS1_3gpuE3ELNS1_3repE0EEENS1_30default_config_static_selectorELNS0_4arch9wavefront6targetE1EEEvT1_
    .private_segment_fixed_size: 0
    .sgpr_count:     6
    .sgpr_spill_count: 0
    .symbol:         _ZN7rocprim17ROCPRIM_400000_NS6detail17trampoline_kernelINS0_14default_configENS1_25partition_config_selectorILNS1_17partition_subalgoE9EllbEEZZNS1_14partition_implILS5_9ELb0ES3_jPlS8_PNS0_10empty_typeENS0_5tupleIJS8_S9_EEENSB_IJS8_SA_EEENS0_18inequality_wrapperIZN2at6native12_GLOBAL__N_124unique_dim_cuda_templateIaEESt5tupleIJNSF_6TensorESK_SK_EERKSK_lbbbEUlllE0_EEPmJS9_EEE10hipError_tPvRmT3_T4_T5_T6_T7_T9_mT8_P12ihipStream_tbDpT10_ENKUlT_T0_E_clISt17integral_constantIbLb0EES19_IbLb1EEEEDaS15_S16_EUlS15_E_NS1_11comp_targetILNS1_3genE9ELNS1_11target_archE1100ELNS1_3gpuE3ELNS1_3repE0EEENS1_30default_config_static_selectorELNS0_4arch9wavefront6targetE1EEEvT1_.kd
    .uniform_work_group_size: 1
    .uses_dynamic_stack: false
    .vgpr_count:     0
    .vgpr_spill_count: 0
    .wavefront_size: 64
  - .agpr_count:     0
    .args:
      - .offset:         0
        .size:           136
        .value_kind:     by_value
    .group_segment_fixed_size: 0
    .kernarg_segment_align: 8
    .kernarg_segment_size: 136
    .language:       OpenCL C
    .language_version:
      - 2
      - 0
    .max_flat_workgroup_size: 512
    .name:           _ZN7rocprim17ROCPRIM_400000_NS6detail17trampoline_kernelINS0_14default_configENS1_25partition_config_selectorILNS1_17partition_subalgoE9EllbEEZZNS1_14partition_implILS5_9ELb0ES3_jPlS8_PNS0_10empty_typeENS0_5tupleIJS8_S9_EEENSB_IJS8_SA_EEENS0_18inequality_wrapperIZN2at6native12_GLOBAL__N_124unique_dim_cuda_templateIaEESt5tupleIJNSF_6TensorESK_SK_EERKSK_lbbbEUlllE0_EEPmJS9_EEE10hipError_tPvRmT3_T4_T5_T6_T7_T9_mT8_P12ihipStream_tbDpT10_ENKUlT_T0_E_clISt17integral_constantIbLb0EES19_IbLb1EEEEDaS15_S16_EUlS15_E_NS1_11comp_targetILNS1_3genE8ELNS1_11target_archE1030ELNS1_3gpuE2ELNS1_3repE0EEENS1_30default_config_static_selectorELNS0_4arch9wavefront6targetE1EEEvT1_
    .private_segment_fixed_size: 0
    .sgpr_count:     6
    .sgpr_spill_count: 0
    .symbol:         _ZN7rocprim17ROCPRIM_400000_NS6detail17trampoline_kernelINS0_14default_configENS1_25partition_config_selectorILNS1_17partition_subalgoE9EllbEEZZNS1_14partition_implILS5_9ELb0ES3_jPlS8_PNS0_10empty_typeENS0_5tupleIJS8_S9_EEENSB_IJS8_SA_EEENS0_18inequality_wrapperIZN2at6native12_GLOBAL__N_124unique_dim_cuda_templateIaEESt5tupleIJNSF_6TensorESK_SK_EERKSK_lbbbEUlllE0_EEPmJS9_EEE10hipError_tPvRmT3_T4_T5_T6_T7_T9_mT8_P12ihipStream_tbDpT10_ENKUlT_T0_E_clISt17integral_constantIbLb0EES19_IbLb1EEEEDaS15_S16_EUlS15_E_NS1_11comp_targetILNS1_3genE8ELNS1_11target_archE1030ELNS1_3gpuE2ELNS1_3repE0EEENS1_30default_config_static_selectorELNS0_4arch9wavefront6targetE1EEEvT1_.kd
    .uniform_work_group_size: 1
    .uses_dynamic_stack: false
    .vgpr_count:     0
    .vgpr_spill_count: 0
    .wavefront_size: 64
  - .agpr_count:     0
    .args:
      - .offset:         0
        .size:           72
        .value_kind:     by_value
    .group_segment_fixed_size: 0
    .kernarg_segment_align: 8
    .kernarg_segment_size: 72
    .language:       OpenCL C
    .language_version:
      - 2
      - 0
    .max_flat_workgroup_size: 256
    .name:           _ZN7rocprim17ROCPRIM_400000_NS6detail17trampoline_kernelINS0_14default_configENS1_37merge_sort_block_sort_config_selectorIlNS0_10empty_typeEEEZNS1_21merge_sort_block_sortIS3_PlS8_PS5_S9_ZN2at6native12_GLOBAL__N_124unique_dim_cuda_templateIiEESt5tupleIJNSA_6TensorESF_SF_EERKSF_lbbbEUlllE_EE10hipError_tT0_T1_T2_T3_mRjT4_P12ihipStream_tbNS1_7vsmem_tEEUlT_E_NS1_11comp_targetILNS1_3genE0ELNS1_11target_archE4294967295ELNS1_3gpuE0ELNS1_3repE0EEENS1_30default_config_static_selectorELNS0_4arch9wavefront6targetE1EEEvSM_
    .private_segment_fixed_size: 0
    .sgpr_count:     6
    .sgpr_spill_count: 0
    .symbol:         _ZN7rocprim17ROCPRIM_400000_NS6detail17trampoline_kernelINS0_14default_configENS1_37merge_sort_block_sort_config_selectorIlNS0_10empty_typeEEEZNS1_21merge_sort_block_sortIS3_PlS8_PS5_S9_ZN2at6native12_GLOBAL__N_124unique_dim_cuda_templateIiEESt5tupleIJNSA_6TensorESF_SF_EERKSF_lbbbEUlllE_EE10hipError_tT0_T1_T2_T3_mRjT4_P12ihipStream_tbNS1_7vsmem_tEEUlT_E_NS1_11comp_targetILNS1_3genE0ELNS1_11target_archE4294967295ELNS1_3gpuE0ELNS1_3repE0EEENS1_30default_config_static_selectorELNS0_4arch9wavefront6targetE1EEEvSM_.kd
    .uniform_work_group_size: 1
    .uses_dynamic_stack: false
    .vgpr_count:     0
    .vgpr_spill_count: 0
    .wavefront_size: 64
  - .agpr_count:     0
    .args:
      - .offset:         0
        .size:           72
        .value_kind:     by_value
      - .offset:         72
        .size:           4
        .value_kind:     hidden_block_count_x
      - .offset:         76
        .size:           4
        .value_kind:     hidden_block_count_y
      - .offset:         80
        .size:           4
        .value_kind:     hidden_block_count_z
      - .offset:         84
        .size:           2
        .value_kind:     hidden_group_size_x
      - .offset:         86
        .size:           2
        .value_kind:     hidden_group_size_y
      - .offset:         88
        .size:           2
        .value_kind:     hidden_group_size_z
      - .offset:         90
        .size:           2
        .value_kind:     hidden_remainder_x
      - .offset:         92
        .size:           2
        .value_kind:     hidden_remainder_y
      - .offset:         94
        .size:           2
        .value_kind:     hidden_remainder_z
      - .offset:         112
        .size:           8
        .value_kind:     hidden_global_offset_x
      - .offset:         120
        .size:           8
        .value_kind:     hidden_global_offset_y
      - .offset:         128
        .size:           8
        .value_kind:     hidden_global_offset_z
      - .offset:         136
        .size:           2
        .value_kind:     hidden_grid_dims
      - .offset:         152
        .size:           8
        .value_kind:     hidden_hostcall_buffer
      - .offset:         160
        .size:           8
        .value_kind:     hidden_multigrid_sync_arg
      - .offset:         168
        .size:           8
        .value_kind:     hidden_heap_v1
      - .offset:         176
        .size:           8
        .value_kind:     hidden_default_queue
      - .offset:         184
        .size:           8
        .value_kind:     hidden_completion_action
      - .offset:         272
        .size:           8
        .value_kind:     hidden_queue_ptr
    .group_segment_fixed_size: 16896
    .kernarg_segment_align: 8
    .kernarg_segment_size: 328
    .language:       OpenCL C
    .language_version:
      - 2
      - 0
    .max_flat_workgroup_size: 256
    .name:           _ZN7rocprim17ROCPRIM_400000_NS6detail17trampoline_kernelINS0_14default_configENS1_37merge_sort_block_sort_config_selectorIlNS0_10empty_typeEEEZNS1_21merge_sort_block_sortIS3_PlS8_PS5_S9_ZN2at6native12_GLOBAL__N_124unique_dim_cuda_templateIiEESt5tupleIJNSA_6TensorESF_SF_EERKSF_lbbbEUlllE_EE10hipError_tT0_T1_T2_T3_mRjT4_P12ihipStream_tbNS1_7vsmem_tEEUlT_E_NS1_11comp_targetILNS1_3genE5ELNS1_11target_archE942ELNS1_3gpuE9ELNS1_3repE0EEENS1_30default_config_static_selectorELNS0_4arch9wavefront6targetE1EEEvSM_
    .private_segment_fixed_size: 8
    .sgpr_count:     75
    .sgpr_spill_count: 0
    .symbol:         _ZN7rocprim17ROCPRIM_400000_NS6detail17trampoline_kernelINS0_14default_configENS1_37merge_sort_block_sort_config_selectorIlNS0_10empty_typeEEEZNS1_21merge_sort_block_sortIS3_PlS8_PS5_S9_ZN2at6native12_GLOBAL__N_124unique_dim_cuda_templateIiEESt5tupleIJNSA_6TensorESF_SF_EERKSF_lbbbEUlllE_EE10hipError_tT0_T1_T2_T3_mRjT4_P12ihipStream_tbNS1_7vsmem_tEEUlT_E_NS1_11comp_targetILNS1_3genE5ELNS1_11target_archE942ELNS1_3gpuE9ELNS1_3repE0EEENS1_30default_config_static_selectorELNS0_4arch9wavefront6targetE1EEEvSM_.kd
    .uniform_work_group_size: 1
    .uses_dynamic_stack: false
    .vgpr_count:     129
    .vgpr_spill_count: 0
    .wavefront_size: 64
  - .agpr_count:     0
    .args:
      - .offset:         0
        .size:           72
        .value_kind:     by_value
    .group_segment_fixed_size: 0
    .kernarg_segment_align: 8
    .kernarg_segment_size: 72
    .language:       OpenCL C
    .language_version:
      - 2
      - 0
    .max_flat_workgroup_size: 256
    .name:           _ZN7rocprim17ROCPRIM_400000_NS6detail17trampoline_kernelINS0_14default_configENS1_37merge_sort_block_sort_config_selectorIlNS0_10empty_typeEEEZNS1_21merge_sort_block_sortIS3_PlS8_PS5_S9_ZN2at6native12_GLOBAL__N_124unique_dim_cuda_templateIiEESt5tupleIJNSA_6TensorESF_SF_EERKSF_lbbbEUlllE_EE10hipError_tT0_T1_T2_T3_mRjT4_P12ihipStream_tbNS1_7vsmem_tEEUlT_E_NS1_11comp_targetILNS1_3genE4ELNS1_11target_archE910ELNS1_3gpuE8ELNS1_3repE0EEENS1_30default_config_static_selectorELNS0_4arch9wavefront6targetE1EEEvSM_
    .private_segment_fixed_size: 0
    .sgpr_count:     6
    .sgpr_spill_count: 0
    .symbol:         _ZN7rocprim17ROCPRIM_400000_NS6detail17trampoline_kernelINS0_14default_configENS1_37merge_sort_block_sort_config_selectorIlNS0_10empty_typeEEEZNS1_21merge_sort_block_sortIS3_PlS8_PS5_S9_ZN2at6native12_GLOBAL__N_124unique_dim_cuda_templateIiEESt5tupleIJNSA_6TensorESF_SF_EERKSF_lbbbEUlllE_EE10hipError_tT0_T1_T2_T3_mRjT4_P12ihipStream_tbNS1_7vsmem_tEEUlT_E_NS1_11comp_targetILNS1_3genE4ELNS1_11target_archE910ELNS1_3gpuE8ELNS1_3repE0EEENS1_30default_config_static_selectorELNS0_4arch9wavefront6targetE1EEEvSM_.kd
    .uniform_work_group_size: 1
    .uses_dynamic_stack: false
    .vgpr_count:     0
    .vgpr_spill_count: 0
    .wavefront_size: 64
  - .agpr_count:     0
    .args:
      - .offset:         0
        .size:           72
        .value_kind:     by_value
    .group_segment_fixed_size: 0
    .kernarg_segment_align: 8
    .kernarg_segment_size: 72
    .language:       OpenCL C
    .language_version:
      - 2
      - 0
    .max_flat_workgroup_size: 256
    .name:           _ZN7rocprim17ROCPRIM_400000_NS6detail17trampoline_kernelINS0_14default_configENS1_37merge_sort_block_sort_config_selectorIlNS0_10empty_typeEEEZNS1_21merge_sort_block_sortIS3_PlS8_PS5_S9_ZN2at6native12_GLOBAL__N_124unique_dim_cuda_templateIiEESt5tupleIJNSA_6TensorESF_SF_EERKSF_lbbbEUlllE_EE10hipError_tT0_T1_T2_T3_mRjT4_P12ihipStream_tbNS1_7vsmem_tEEUlT_E_NS1_11comp_targetILNS1_3genE3ELNS1_11target_archE908ELNS1_3gpuE7ELNS1_3repE0EEENS1_30default_config_static_selectorELNS0_4arch9wavefront6targetE1EEEvSM_
    .private_segment_fixed_size: 0
    .sgpr_count:     6
    .sgpr_spill_count: 0
    .symbol:         _ZN7rocprim17ROCPRIM_400000_NS6detail17trampoline_kernelINS0_14default_configENS1_37merge_sort_block_sort_config_selectorIlNS0_10empty_typeEEEZNS1_21merge_sort_block_sortIS3_PlS8_PS5_S9_ZN2at6native12_GLOBAL__N_124unique_dim_cuda_templateIiEESt5tupleIJNSA_6TensorESF_SF_EERKSF_lbbbEUlllE_EE10hipError_tT0_T1_T2_T3_mRjT4_P12ihipStream_tbNS1_7vsmem_tEEUlT_E_NS1_11comp_targetILNS1_3genE3ELNS1_11target_archE908ELNS1_3gpuE7ELNS1_3repE0EEENS1_30default_config_static_selectorELNS0_4arch9wavefront6targetE1EEEvSM_.kd
    .uniform_work_group_size: 1
    .uses_dynamic_stack: false
    .vgpr_count:     0
    .vgpr_spill_count: 0
    .wavefront_size: 64
  - .agpr_count:     0
    .args:
      - .offset:         0
        .size:           72
        .value_kind:     by_value
    .group_segment_fixed_size: 0
    .kernarg_segment_align: 8
    .kernarg_segment_size: 72
    .language:       OpenCL C
    .language_version:
      - 2
      - 0
    .max_flat_workgroup_size: 256
    .name:           _ZN7rocprim17ROCPRIM_400000_NS6detail17trampoline_kernelINS0_14default_configENS1_37merge_sort_block_sort_config_selectorIlNS0_10empty_typeEEEZNS1_21merge_sort_block_sortIS3_PlS8_PS5_S9_ZN2at6native12_GLOBAL__N_124unique_dim_cuda_templateIiEESt5tupleIJNSA_6TensorESF_SF_EERKSF_lbbbEUlllE_EE10hipError_tT0_T1_T2_T3_mRjT4_P12ihipStream_tbNS1_7vsmem_tEEUlT_E_NS1_11comp_targetILNS1_3genE2ELNS1_11target_archE906ELNS1_3gpuE6ELNS1_3repE0EEENS1_30default_config_static_selectorELNS0_4arch9wavefront6targetE1EEEvSM_
    .private_segment_fixed_size: 0
    .sgpr_count:     6
    .sgpr_spill_count: 0
    .symbol:         _ZN7rocprim17ROCPRIM_400000_NS6detail17trampoline_kernelINS0_14default_configENS1_37merge_sort_block_sort_config_selectorIlNS0_10empty_typeEEEZNS1_21merge_sort_block_sortIS3_PlS8_PS5_S9_ZN2at6native12_GLOBAL__N_124unique_dim_cuda_templateIiEESt5tupleIJNSA_6TensorESF_SF_EERKSF_lbbbEUlllE_EE10hipError_tT0_T1_T2_T3_mRjT4_P12ihipStream_tbNS1_7vsmem_tEEUlT_E_NS1_11comp_targetILNS1_3genE2ELNS1_11target_archE906ELNS1_3gpuE6ELNS1_3repE0EEENS1_30default_config_static_selectorELNS0_4arch9wavefront6targetE1EEEvSM_.kd
    .uniform_work_group_size: 1
    .uses_dynamic_stack: false
    .vgpr_count:     0
    .vgpr_spill_count: 0
    .wavefront_size: 64
  - .agpr_count:     0
    .args:
      - .offset:         0
        .size:           72
        .value_kind:     by_value
    .group_segment_fixed_size: 0
    .kernarg_segment_align: 8
    .kernarg_segment_size: 72
    .language:       OpenCL C
    .language_version:
      - 2
      - 0
    .max_flat_workgroup_size: 256
    .name:           _ZN7rocprim17ROCPRIM_400000_NS6detail17trampoline_kernelINS0_14default_configENS1_37merge_sort_block_sort_config_selectorIlNS0_10empty_typeEEEZNS1_21merge_sort_block_sortIS3_PlS8_PS5_S9_ZN2at6native12_GLOBAL__N_124unique_dim_cuda_templateIiEESt5tupleIJNSA_6TensorESF_SF_EERKSF_lbbbEUlllE_EE10hipError_tT0_T1_T2_T3_mRjT4_P12ihipStream_tbNS1_7vsmem_tEEUlT_E_NS1_11comp_targetILNS1_3genE10ELNS1_11target_archE1201ELNS1_3gpuE5ELNS1_3repE0EEENS1_30default_config_static_selectorELNS0_4arch9wavefront6targetE1EEEvSM_
    .private_segment_fixed_size: 0
    .sgpr_count:     6
    .sgpr_spill_count: 0
    .symbol:         _ZN7rocprim17ROCPRIM_400000_NS6detail17trampoline_kernelINS0_14default_configENS1_37merge_sort_block_sort_config_selectorIlNS0_10empty_typeEEEZNS1_21merge_sort_block_sortIS3_PlS8_PS5_S9_ZN2at6native12_GLOBAL__N_124unique_dim_cuda_templateIiEESt5tupleIJNSA_6TensorESF_SF_EERKSF_lbbbEUlllE_EE10hipError_tT0_T1_T2_T3_mRjT4_P12ihipStream_tbNS1_7vsmem_tEEUlT_E_NS1_11comp_targetILNS1_3genE10ELNS1_11target_archE1201ELNS1_3gpuE5ELNS1_3repE0EEENS1_30default_config_static_selectorELNS0_4arch9wavefront6targetE1EEEvSM_.kd
    .uniform_work_group_size: 1
    .uses_dynamic_stack: false
    .vgpr_count:     0
    .vgpr_spill_count: 0
    .wavefront_size: 64
  - .agpr_count:     0
    .args:
      - .offset:         0
        .size:           72
        .value_kind:     by_value
    .group_segment_fixed_size: 0
    .kernarg_segment_align: 8
    .kernarg_segment_size: 72
    .language:       OpenCL C
    .language_version:
      - 2
      - 0
    .max_flat_workgroup_size: 512
    .name:           _ZN7rocprim17ROCPRIM_400000_NS6detail17trampoline_kernelINS0_14default_configENS1_37merge_sort_block_sort_config_selectorIlNS0_10empty_typeEEEZNS1_21merge_sort_block_sortIS3_PlS8_PS5_S9_ZN2at6native12_GLOBAL__N_124unique_dim_cuda_templateIiEESt5tupleIJNSA_6TensorESF_SF_EERKSF_lbbbEUlllE_EE10hipError_tT0_T1_T2_T3_mRjT4_P12ihipStream_tbNS1_7vsmem_tEEUlT_E_NS1_11comp_targetILNS1_3genE10ELNS1_11target_archE1200ELNS1_3gpuE4ELNS1_3repE0EEENS1_30default_config_static_selectorELNS0_4arch9wavefront6targetE1EEEvSM_
    .private_segment_fixed_size: 0
    .sgpr_count:     6
    .sgpr_spill_count: 0
    .symbol:         _ZN7rocprim17ROCPRIM_400000_NS6detail17trampoline_kernelINS0_14default_configENS1_37merge_sort_block_sort_config_selectorIlNS0_10empty_typeEEEZNS1_21merge_sort_block_sortIS3_PlS8_PS5_S9_ZN2at6native12_GLOBAL__N_124unique_dim_cuda_templateIiEESt5tupleIJNSA_6TensorESF_SF_EERKSF_lbbbEUlllE_EE10hipError_tT0_T1_T2_T3_mRjT4_P12ihipStream_tbNS1_7vsmem_tEEUlT_E_NS1_11comp_targetILNS1_3genE10ELNS1_11target_archE1200ELNS1_3gpuE4ELNS1_3repE0EEENS1_30default_config_static_selectorELNS0_4arch9wavefront6targetE1EEEvSM_.kd
    .uniform_work_group_size: 1
    .uses_dynamic_stack: false
    .vgpr_count:     0
    .vgpr_spill_count: 0
    .wavefront_size: 64
  - .agpr_count:     0
    .args:
      - .offset:         0
        .size:           72
        .value_kind:     by_value
    .group_segment_fixed_size: 0
    .kernarg_segment_align: 8
    .kernarg_segment_size: 72
    .language:       OpenCL C
    .language_version:
      - 2
      - 0
    .max_flat_workgroup_size: 256
    .name:           _ZN7rocprim17ROCPRIM_400000_NS6detail17trampoline_kernelINS0_14default_configENS1_37merge_sort_block_sort_config_selectorIlNS0_10empty_typeEEEZNS1_21merge_sort_block_sortIS3_PlS8_PS5_S9_ZN2at6native12_GLOBAL__N_124unique_dim_cuda_templateIiEESt5tupleIJNSA_6TensorESF_SF_EERKSF_lbbbEUlllE_EE10hipError_tT0_T1_T2_T3_mRjT4_P12ihipStream_tbNS1_7vsmem_tEEUlT_E_NS1_11comp_targetILNS1_3genE9ELNS1_11target_archE1100ELNS1_3gpuE3ELNS1_3repE0EEENS1_30default_config_static_selectorELNS0_4arch9wavefront6targetE1EEEvSM_
    .private_segment_fixed_size: 0
    .sgpr_count:     6
    .sgpr_spill_count: 0
    .symbol:         _ZN7rocprim17ROCPRIM_400000_NS6detail17trampoline_kernelINS0_14default_configENS1_37merge_sort_block_sort_config_selectorIlNS0_10empty_typeEEEZNS1_21merge_sort_block_sortIS3_PlS8_PS5_S9_ZN2at6native12_GLOBAL__N_124unique_dim_cuda_templateIiEESt5tupleIJNSA_6TensorESF_SF_EERKSF_lbbbEUlllE_EE10hipError_tT0_T1_T2_T3_mRjT4_P12ihipStream_tbNS1_7vsmem_tEEUlT_E_NS1_11comp_targetILNS1_3genE9ELNS1_11target_archE1100ELNS1_3gpuE3ELNS1_3repE0EEENS1_30default_config_static_selectorELNS0_4arch9wavefront6targetE1EEEvSM_.kd
    .uniform_work_group_size: 1
    .uses_dynamic_stack: false
    .vgpr_count:     0
    .vgpr_spill_count: 0
    .wavefront_size: 64
  - .agpr_count:     0
    .args:
      - .offset:         0
        .size:           72
        .value_kind:     by_value
    .group_segment_fixed_size: 0
    .kernarg_segment_align: 8
    .kernarg_segment_size: 72
    .language:       OpenCL C
    .language_version:
      - 2
      - 0
    .max_flat_workgroup_size: 256
    .name:           _ZN7rocprim17ROCPRIM_400000_NS6detail17trampoline_kernelINS0_14default_configENS1_37merge_sort_block_sort_config_selectorIlNS0_10empty_typeEEEZNS1_21merge_sort_block_sortIS3_PlS8_PS5_S9_ZN2at6native12_GLOBAL__N_124unique_dim_cuda_templateIiEESt5tupleIJNSA_6TensorESF_SF_EERKSF_lbbbEUlllE_EE10hipError_tT0_T1_T2_T3_mRjT4_P12ihipStream_tbNS1_7vsmem_tEEUlT_E_NS1_11comp_targetILNS1_3genE8ELNS1_11target_archE1030ELNS1_3gpuE2ELNS1_3repE0EEENS1_30default_config_static_selectorELNS0_4arch9wavefront6targetE1EEEvSM_
    .private_segment_fixed_size: 0
    .sgpr_count:     6
    .sgpr_spill_count: 0
    .symbol:         _ZN7rocprim17ROCPRIM_400000_NS6detail17trampoline_kernelINS0_14default_configENS1_37merge_sort_block_sort_config_selectorIlNS0_10empty_typeEEEZNS1_21merge_sort_block_sortIS3_PlS8_PS5_S9_ZN2at6native12_GLOBAL__N_124unique_dim_cuda_templateIiEESt5tupleIJNSA_6TensorESF_SF_EERKSF_lbbbEUlllE_EE10hipError_tT0_T1_T2_T3_mRjT4_P12ihipStream_tbNS1_7vsmem_tEEUlT_E_NS1_11comp_targetILNS1_3genE8ELNS1_11target_archE1030ELNS1_3gpuE2ELNS1_3repE0EEENS1_30default_config_static_selectorELNS0_4arch9wavefront6targetE1EEEvSM_.kd
    .uniform_work_group_size: 1
    .uses_dynamic_stack: false
    .vgpr_count:     0
    .vgpr_spill_count: 0
    .wavefront_size: 64
  - .agpr_count:     0
    .args:
      - .offset:         0
        .size:           56
        .value_kind:     by_value
    .group_segment_fixed_size: 0
    .kernarg_segment_align: 8
    .kernarg_segment_size: 56
    .language:       OpenCL C
    .language_version:
      - 2
      - 0
    .max_flat_workgroup_size: 128
    .name:           _ZN7rocprim17ROCPRIM_400000_NS6detail17trampoline_kernelINS0_14default_configENS1_38merge_sort_block_merge_config_selectorIlNS0_10empty_typeEEEZZNS1_27merge_sort_block_merge_implIS3_PlPS5_mZN2at6native12_GLOBAL__N_124unique_dim_cuda_templateIiEESt5tupleIJNSA_6TensorESF_SF_EERKSF_lbbbEUlllE_EE10hipError_tT0_T1_T2_jT3_P12ihipStream_tbPNSt15iterator_traitsISL_E10value_typeEPNSR_ISM_E10value_typeEPSN_NS1_7vsmem_tEENKUlT_SL_SM_SN_E_clIS8_S8_S9_S9_EESK_S10_SL_SM_SN_EUlS10_E_NS1_11comp_targetILNS1_3genE0ELNS1_11target_archE4294967295ELNS1_3gpuE0ELNS1_3repE0EEENS1_48merge_mergepath_partition_config_static_selectorELNS0_4arch9wavefront6targetE1EEEvSM_
    .private_segment_fixed_size: 0
    .sgpr_count:     6
    .sgpr_spill_count: 0
    .symbol:         _ZN7rocprim17ROCPRIM_400000_NS6detail17trampoline_kernelINS0_14default_configENS1_38merge_sort_block_merge_config_selectorIlNS0_10empty_typeEEEZZNS1_27merge_sort_block_merge_implIS3_PlPS5_mZN2at6native12_GLOBAL__N_124unique_dim_cuda_templateIiEESt5tupleIJNSA_6TensorESF_SF_EERKSF_lbbbEUlllE_EE10hipError_tT0_T1_T2_jT3_P12ihipStream_tbPNSt15iterator_traitsISL_E10value_typeEPNSR_ISM_E10value_typeEPSN_NS1_7vsmem_tEENKUlT_SL_SM_SN_E_clIS8_S8_S9_S9_EESK_S10_SL_SM_SN_EUlS10_E_NS1_11comp_targetILNS1_3genE0ELNS1_11target_archE4294967295ELNS1_3gpuE0ELNS1_3repE0EEENS1_48merge_mergepath_partition_config_static_selectorELNS0_4arch9wavefront6targetE1EEEvSM_.kd
    .uniform_work_group_size: 1
    .uses_dynamic_stack: false
    .vgpr_count:     0
    .vgpr_spill_count: 0
    .wavefront_size: 64
  - .agpr_count:     0
    .args:
      - .offset:         0
        .size:           56
        .value_kind:     by_value
    .group_segment_fixed_size: 0
    .kernarg_segment_align: 8
    .kernarg_segment_size: 56
    .language:       OpenCL C
    .language_version:
      - 2
      - 0
    .max_flat_workgroup_size: 128
    .name:           _ZN7rocprim17ROCPRIM_400000_NS6detail17trampoline_kernelINS0_14default_configENS1_38merge_sort_block_merge_config_selectorIlNS0_10empty_typeEEEZZNS1_27merge_sort_block_merge_implIS3_PlPS5_mZN2at6native12_GLOBAL__N_124unique_dim_cuda_templateIiEESt5tupleIJNSA_6TensorESF_SF_EERKSF_lbbbEUlllE_EE10hipError_tT0_T1_T2_jT3_P12ihipStream_tbPNSt15iterator_traitsISL_E10value_typeEPNSR_ISM_E10value_typeEPSN_NS1_7vsmem_tEENKUlT_SL_SM_SN_E_clIS8_S8_S9_S9_EESK_S10_SL_SM_SN_EUlS10_E_NS1_11comp_targetILNS1_3genE10ELNS1_11target_archE1201ELNS1_3gpuE5ELNS1_3repE0EEENS1_48merge_mergepath_partition_config_static_selectorELNS0_4arch9wavefront6targetE1EEEvSM_
    .private_segment_fixed_size: 0
    .sgpr_count:     6
    .sgpr_spill_count: 0
    .symbol:         _ZN7rocprim17ROCPRIM_400000_NS6detail17trampoline_kernelINS0_14default_configENS1_38merge_sort_block_merge_config_selectorIlNS0_10empty_typeEEEZZNS1_27merge_sort_block_merge_implIS3_PlPS5_mZN2at6native12_GLOBAL__N_124unique_dim_cuda_templateIiEESt5tupleIJNSA_6TensorESF_SF_EERKSF_lbbbEUlllE_EE10hipError_tT0_T1_T2_jT3_P12ihipStream_tbPNSt15iterator_traitsISL_E10value_typeEPNSR_ISM_E10value_typeEPSN_NS1_7vsmem_tEENKUlT_SL_SM_SN_E_clIS8_S8_S9_S9_EESK_S10_SL_SM_SN_EUlS10_E_NS1_11comp_targetILNS1_3genE10ELNS1_11target_archE1201ELNS1_3gpuE5ELNS1_3repE0EEENS1_48merge_mergepath_partition_config_static_selectorELNS0_4arch9wavefront6targetE1EEEvSM_.kd
    .uniform_work_group_size: 1
    .uses_dynamic_stack: false
    .vgpr_count:     0
    .vgpr_spill_count: 0
    .wavefront_size: 64
  - .agpr_count:     0
    .args:
      - .offset:         0
        .size:           56
        .value_kind:     by_value
    .group_segment_fixed_size: 0
    .kernarg_segment_align: 8
    .kernarg_segment_size: 56
    .language:       OpenCL C
    .language_version:
      - 2
      - 0
    .max_flat_workgroup_size: 128
    .name:           _ZN7rocprim17ROCPRIM_400000_NS6detail17trampoline_kernelINS0_14default_configENS1_38merge_sort_block_merge_config_selectorIlNS0_10empty_typeEEEZZNS1_27merge_sort_block_merge_implIS3_PlPS5_mZN2at6native12_GLOBAL__N_124unique_dim_cuda_templateIiEESt5tupleIJNSA_6TensorESF_SF_EERKSF_lbbbEUlllE_EE10hipError_tT0_T1_T2_jT3_P12ihipStream_tbPNSt15iterator_traitsISL_E10value_typeEPNSR_ISM_E10value_typeEPSN_NS1_7vsmem_tEENKUlT_SL_SM_SN_E_clIS8_S8_S9_S9_EESK_S10_SL_SM_SN_EUlS10_E_NS1_11comp_targetILNS1_3genE5ELNS1_11target_archE942ELNS1_3gpuE9ELNS1_3repE0EEENS1_48merge_mergepath_partition_config_static_selectorELNS0_4arch9wavefront6targetE1EEEvSM_
    .private_segment_fixed_size: 0
    .sgpr_count:     42
    .sgpr_spill_count: 0
    .symbol:         _ZN7rocprim17ROCPRIM_400000_NS6detail17trampoline_kernelINS0_14default_configENS1_38merge_sort_block_merge_config_selectorIlNS0_10empty_typeEEEZZNS1_27merge_sort_block_merge_implIS3_PlPS5_mZN2at6native12_GLOBAL__N_124unique_dim_cuda_templateIiEESt5tupleIJNSA_6TensorESF_SF_EERKSF_lbbbEUlllE_EE10hipError_tT0_T1_T2_jT3_P12ihipStream_tbPNSt15iterator_traitsISL_E10value_typeEPNSR_ISM_E10value_typeEPSN_NS1_7vsmem_tEENKUlT_SL_SM_SN_E_clIS8_S8_S9_S9_EESK_S10_SL_SM_SN_EUlS10_E_NS1_11comp_targetILNS1_3genE5ELNS1_11target_archE942ELNS1_3gpuE9ELNS1_3repE0EEENS1_48merge_mergepath_partition_config_static_selectorELNS0_4arch9wavefront6targetE1EEEvSM_.kd
    .uniform_work_group_size: 1
    .uses_dynamic_stack: false
    .vgpr_count:     23
    .vgpr_spill_count: 0
    .wavefront_size: 64
  - .agpr_count:     0
    .args:
      - .offset:         0
        .size:           56
        .value_kind:     by_value
    .group_segment_fixed_size: 0
    .kernarg_segment_align: 8
    .kernarg_segment_size: 56
    .language:       OpenCL C
    .language_version:
      - 2
      - 0
    .max_flat_workgroup_size: 128
    .name:           _ZN7rocprim17ROCPRIM_400000_NS6detail17trampoline_kernelINS0_14default_configENS1_38merge_sort_block_merge_config_selectorIlNS0_10empty_typeEEEZZNS1_27merge_sort_block_merge_implIS3_PlPS5_mZN2at6native12_GLOBAL__N_124unique_dim_cuda_templateIiEESt5tupleIJNSA_6TensorESF_SF_EERKSF_lbbbEUlllE_EE10hipError_tT0_T1_T2_jT3_P12ihipStream_tbPNSt15iterator_traitsISL_E10value_typeEPNSR_ISM_E10value_typeEPSN_NS1_7vsmem_tEENKUlT_SL_SM_SN_E_clIS8_S8_S9_S9_EESK_S10_SL_SM_SN_EUlS10_E_NS1_11comp_targetILNS1_3genE4ELNS1_11target_archE910ELNS1_3gpuE8ELNS1_3repE0EEENS1_48merge_mergepath_partition_config_static_selectorELNS0_4arch9wavefront6targetE1EEEvSM_
    .private_segment_fixed_size: 0
    .sgpr_count:     6
    .sgpr_spill_count: 0
    .symbol:         _ZN7rocprim17ROCPRIM_400000_NS6detail17trampoline_kernelINS0_14default_configENS1_38merge_sort_block_merge_config_selectorIlNS0_10empty_typeEEEZZNS1_27merge_sort_block_merge_implIS3_PlPS5_mZN2at6native12_GLOBAL__N_124unique_dim_cuda_templateIiEESt5tupleIJNSA_6TensorESF_SF_EERKSF_lbbbEUlllE_EE10hipError_tT0_T1_T2_jT3_P12ihipStream_tbPNSt15iterator_traitsISL_E10value_typeEPNSR_ISM_E10value_typeEPSN_NS1_7vsmem_tEENKUlT_SL_SM_SN_E_clIS8_S8_S9_S9_EESK_S10_SL_SM_SN_EUlS10_E_NS1_11comp_targetILNS1_3genE4ELNS1_11target_archE910ELNS1_3gpuE8ELNS1_3repE0EEENS1_48merge_mergepath_partition_config_static_selectorELNS0_4arch9wavefront6targetE1EEEvSM_.kd
    .uniform_work_group_size: 1
    .uses_dynamic_stack: false
    .vgpr_count:     0
    .vgpr_spill_count: 0
    .wavefront_size: 64
  - .agpr_count:     0
    .args:
      - .offset:         0
        .size:           56
        .value_kind:     by_value
    .group_segment_fixed_size: 0
    .kernarg_segment_align: 8
    .kernarg_segment_size: 56
    .language:       OpenCL C
    .language_version:
      - 2
      - 0
    .max_flat_workgroup_size: 128
    .name:           _ZN7rocprim17ROCPRIM_400000_NS6detail17trampoline_kernelINS0_14default_configENS1_38merge_sort_block_merge_config_selectorIlNS0_10empty_typeEEEZZNS1_27merge_sort_block_merge_implIS3_PlPS5_mZN2at6native12_GLOBAL__N_124unique_dim_cuda_templateIiEESt5tupleIJNSA_6TensorESF_SF_EERKSF_lbbbEUlllE_EE10hipError_tT0_T1_T2_jT3_P12ihipStream_tbPNSt15iterator_traitsISL_E10value_typeEPNSR_ISM_E10value_typeEPSN_NS1_7vsmem_tEENKUlT_SL_SM_SN_E_clIS8_S8_S9_S9_EESK_S10_SL_SM_SN_EUlS10_E_NS1_11comp_targetILNS1_3genE3ELNS1_11target_archE908ELNS1_3gpuE7ELNS1_3repE0EEENS1_48merge_mergepath_partition_config_static_selectorELNS0_4arch9wavefront6targetE1EEEvSM_
    .private_segment_fixed_size: 0
    .sgpr_count:     6
    .sgpr_spill_count: 0
    .symbol:         _ZN7rocprim17ROCPRIM_400000_NS6detail17trampoline_kernelINS0_14default_configENS1_38merge_sort_block_merge_config_selectorIlNS0_10empty_typeEEEZZNS1_27merge_sort_block_merge_implIS3_PlPS5_mZN2at6native12_GLOBAL__N_124unique_dim_cuda_templateIiEESt5tupleIJNSA_6TensorESF_SF_EERKSF_lbbbEUlllE_EE10hipError_tT0_T1_T2_jT3_P12ihipStream_tbPNSt15iterator_traitsISL_E10value_typeEPNSR_ISM_E10value_typeEPSN_NS1_7vsmem_tEENKUlT_SL_SM_SN_E_clIS8_S8_S9_S9_EESK_S10_SL_SM_SN_EUlS10_E_NS1_11comp_targetILNS1_3genE3ELNS1_11target_archE908ELNS1_3gpuE7ELNS1_3repE0EEENS1_48merge_mergepath_partition_config_static_selectorELNS0_4arch9wavefront6targetE1EEEvSM_.kd
    .uniform_work_group_size: 1
    .uses_dynamic_stack: false
    .vgpr_count:     0
    .vgpr_spill_count: 0
    .wavefront_size: 64
  - .agpr_count:     0
    .args:
      - .offset:         0
        .size:           56
        .value_kind:     by_value
    .group_segment_fixed_size: 0
    .kernarg_segment_align: 8
    .kernarg_segment_size: 56
    .language:       OpenCL C
    .language_version:
      - 2
      - 0
    .max_flat_workgroup_size: 128
    .name:           _ZN7rocprim17ROCPRIM_400000_NS6detail17trampoline_kernelINS0_14default_configENS1_38merge_sort_block_merge_config_selectorIlNS0_10empty_typeEEEZZNS1_27merge_sort_block_merge_implIS3_PlPS5_mZN2at6native12_GLOBAL__N_124unique_dim_cuda_templateIiEESt5tupleIJNSA_6TensorESF_SF_EERKSF_lbbbEUlllE_EE10hipError_tT0_T1_T2_jT3_P12ihipStream_tbPNSt15iterator_traitsISL_E10value_typeEPNSR_ISM_E10value_typeEPSN_NS1_7vsmem_tEENKUlT_SL_SM_SN_E_clIS8_S8_S9_S9_EESK_S10_SL_SM_SN_EUlS10_E_NS1_11comp_targetILNS1_3genE2ELNS1_11target_archE906ELNS1_3gpuE6ELNS1_3repE0EEENS1_48merge_mergepath_partition_config_static_selectorELNS0_4arch9wavefront6targetE1EEEvSM_
    .private_segment_fixed_size: 0
    .sgpr_count:     6
    .sgpr_spill_count: 0
    .symbol:         _ZN7rocprim17ROCPRIM_400000_NS6detail17trampoline_kernelINS0_14default_configENS1_38merge_sort_block_merge_config_selectorIlNS0_10empty_typeEEEZZNS1_27merge_sort_block_merge_implIS3_PlPS5_mZN2at6native12_GLOBAL__N_124unique_dim_cuda_templateIiEESt5tupleIJNSA_6TensorESF_SF_EERKSF_lbbbEUlllE_EE10hipError_tT0_T1_T2_jT3_P12ihipStream_tbPNSt15iterator_traitsISL_E10value_typeEPNSR_ISM_E10value_typeEPSN_NS1_7vsmem_tEENKUlT_SL_SM_SN_E_clIS8_S8_S9_S9_EESK_S10_SL_SM_SN_EUlS10_E_NS1_11comp_targetILNS1_3genE2ELNS1_11target_archE906ELNS1_3gpuE6ELNS1_3repE0EEENS1_48merge_mergepath_partition_config_static_selectorELNS0_4arch9wavefront6targetE1EEEvSM_.kd
    .uniform_work_group_size: 1
    .uses_dynamic_stack: false
    .vgpr_count:     0
    .vgpr_spill_count: 0
    .wavefront_size: 64
  - .agpr_count:     0
    .args:
      - .offset:         0
        .size:           56
        .value_kind:     by_value
    .group_segment_fixed_size: 0
    .kernarg_segment_align: 8
    .kernarg_segment_size: 56
    .language:       OpenCL C
    .language_version:
      - 2
      - 0
    .max_flat_workgroup_size: 128
    .name:           _ZN7rocprim17ROCPRIM_400000_NS6detail17trampoline_kernelINS0_14default_configENS1_38merge_sort_block_merge_config_selectorIlNS0_10empty_typeEEEZZNS1_27merge_sort_block_merge_implIS3_PlPS5_mZN2at6native12_GLOBAL__N_124unique_dim_cuda_templateIiEESt5tupleIJNSA_6TensorESF_SF_EERKSF_lbbbEUlllE_EE10hipError_tT0_T1_T2_jT3_P12ihipStream_tbPNSt15iterator_traitsISL_E10value_typeEPNSR_ISM_E10value_typeEPSN_NS1_7vsmem_tEENKUlT_SL_SM_SN_E_clIS8_S8_S9_S9_EESK_S10_SL_SM_SN_EUlS10_E_NS1_11comp_targetILNS1_3genE9ELNS1_11target_archE1100ELNS1_3gpuE3ELNS1_3repE0EEENS1_48merge_mergepath_partition_config_static_selectorELNS0_4arch9wavefront6targetE1EEEvSM_
    .private_segment_fixed_size: 0
    .sgpr_count:     6
    .sgpr_spill_count: 0
    .symbol:         _ZN7rocprim17ROCPRIM_400000_NS6detail17trampoline_kernelINS0_14default_configENS1_38merge_sort_block_merge_config_selectorIlNS0_10empty_typeEEEZZNS1_27merge_sort_block_merge_implIS3_PlPS5_mZN2at6native12_GLOBAL__N_124unique_dim_cuda_templateIiEESt5tupleIJNSA_6TensorESF_SF_EERKSF_lbbbEUlllE_EE10hipError_tT0_T1_T2_jT3_P12ihipStream_tbPNSt15iterator_traitsISL_E10value_typeEPNSR_ISM_E10value_typeEPSN_NS1_7vsmem_tEENKUlT_SL_SM_SN_E_clIS8_S8_S9_S9_EESK_S10_SL_SM_SN_EUlS10_E_NS1_11comp_targetILNS1_3genE9ELNS1_11target_archE1100ELNS1_3gpuE3ELNS1_3repE0EEENS1_48merge_mergepath_partition_config_static_selectorELNS0_4arch9wavefront6targetE1EEEvSM_.kd
    .uniform_work_group_size: 1
    .uses_dynamic_stack: false
    .vgpr_count:     0
    .vgpr_spill_count: 0
    .wavefront_size: 64
  - .agpr_count:     0
    .args:
      - .offset:         0
        .size:           56
        .value_kind:     by_value
    .group_segment_fixed_size: 0
    .kernarg_segment_align: 8
    .kernarg_segment_size: 56
    .language:       OpenCL C
    .language_version:
      - 2
      - 0
    .max_flat_workgroup_size: 128
    .name:           _ZN7rocprim17ROCPRIM_400000_NS6detail17trampoline_kernelINS0_14default_configENS1_38merge_sort_block_merge_config_selectorIlNS0_10empty_typeEEEZZNS1_27merge_sort_block_merge_implIS3_PlPS5_mZN2at6native12_GLOBAL__N_124unique_dim_cuda_templateIiEESt5tupleIJNSA_6TensorESF_SF_EERKSF_lbbbEUlllE_EE10hipError_tT0_T1_T2_jT3_P12ihipStream_tbPNSt15iterator_traitsISL_E10value_typeEPNSR_ISM_E10value_typeEPSN_NS1_7vsmem_tEENKUlT_SL_SM_SN_E_clIS8_S8_S9_S9_EESK_S10_SL_SM_SN_EUlS10_E_NS1_11comp_targetILNS1_3genE8ELNS1_11target_archE1030ELNS1_3gpuE2ELNS1_3repE0EEENS1_48merge_mergepath_partition_config_static_selectorELNS0_4arch9wavefront6targetE1EEEvSM_
    .private_segment_fixed_size: 0
    .sgpr_count:     6
    .sgpr_spill_count: 0
    .symbol:         _ZN7rocprim17ROCPRIM_400000_NS6detail17trampoline_kernelINS0_14default_configENS1_38merge_sort_block_merge_config_selectorIlNS0_10empty_typeEEEZZNS1_27merge_sort_block_merge_implIS3_PlPS5_mZN2at6native12_GLOBAL__N_124unique_dim_cuda_templateIiEESt5tupleIJNSA_6TensorESF_SF_EERKSF_lbbbEUlllE_EE10hipError_tT0_T1_T2_jT3_P12ihipStream_tbPNSt15iterator_traitsISL_E10value_typeEPNSR_ISM_E10value_typeEPSN_NS1_7vsmem_tEENKUlT_SL_SM_SN_E_clIS8_S8_S9_S9_EESK_S10_SL_SM_SN_EUlS10_E_NS1_11comp_targetILNS1_3genE8ELNS1_11target_archE1030ELNS1_3gpuE2ELNS1_3repE0EEENS1_48merge_mergepath_partition_config_static_selectorELNS0_4arch9wavefront6targetE1EEEvSM_.kd
    .uniform_work_group_size: 1
    .uses_dynamic_stack: false
    .vgpr_count:     0
    .vgpr_spill_count: 0
    .wavefront_size: 64
  - .agpr_count:     0
    .args:
      - .offset:         0
        .size:           88
        .value_kind:     by_value
    .group_segment_fixed_size: 0
    .kernarg_segment_align: 8
    .kernarg_segment_size: 88
    .language:       OpenCL C
    .language_version:
      - 2
      - 0
    .max_flat_workgroup_size: 128
    .name:           _ZN7rocprim17ROCPRIM_400000_NS6detail17trampoline_kernelINS0_14default_configENS1_38merge_sort_block_merge_config_selectorIlNS0_10empty_typeEEEZZNS1_27merge_sort_block_merge_implIS3_PlPS5_mZN2at6native12_GLOBAL__N_124unique_dim_cuda_templateIiEESt5tupleIJNSA_6TensorESF_SF_EERKSF_lbbbEUlllE_EE10hipError_tT0_T1_T2_jT3_P12ihipStream_tbPNSt15iterator_traitsISL_E10value_typeEPNSR_ISM_E10value_typeEPSN_NS1_7vsmem_tEENKUlT_SL_SM_SN_E_clIS8_S8_S9_S9_EESK_S10_SL_SM_SN_EUlS10_E0_NS1_11comp_targetILNS1_3genE0ELNS1_11target_archE4294967295ELNS1_3gpuE0ELNS1_3repE0EEENS1_38merge_mergepath_config_static_selectorELNS0_4arch9wavefront6targetE1EEEvSM_
    .private_segment_fixed_size: 0
    .sgpr_count:     6
    .sgpr_spill_count: 0
    .symbol:         _ZN7rocprim17ROCPRIM_400000_NS6detail17trampoline_kernelINS0_14default_configENS1_38merge_sort_block_merge_config_selectorIlNS0_10empty_typeEEEZZNS1_27merge_sort_block_merge_implIS3_PlPS5_mZN2at6native12_GLOBAL__N_124unique_dim_cuda_templateIiEESt5tupleIJNSA_6TensorESF_SF_EERKSF_lbbbEUlllE_EE10hipError_tT0_T1_T2_jT3_P12ihipStream_tbPNSt15iterator_traitsISL_E10value_typeEPNSR_ISM_E10value_typeEPSN_NS1_7vsmem_tEENKUlT_SL_SM_SN_E_clIS8_S8_S9_S9_EESK_S10_SL_SM_SN_EUlS10_E0_NS1_11comp_targetILNS1_3genE0ELNS1_11target_archE4294967295ELNS1_3gpuE0ELNS1_3repE0EEENS1_38merge_mergepath_config_static_selectorELNS0_4arch9wavefront6targetE1EEEvSM_.kd
    .uniform_work_group_size: 1
    .uses_dynamic_stack: false
    .vgpr_count:     0
    .vgpr_spill_count: 0
    .wavefront_size: 64
  - .agpr_count:     0
    .args:
      - .offset:         0
        .size:           88
        .value_kind:     by_value
    .group_segment_fixed_size: 0
    .kernarg_segment_align: 8
    .kernarg_segment_size: 88
    .language:       OpenCL C
    .language_version:
      - 2
      - 0
    .max_flat_workgroup_size: 512
    .name:           _ZN7rocprim17ROCPRIM_400000_NS6detail17trampoline_kernelINS0_14default_configENS1_38merge_sort_block_merge_config_selectorIlNS0_10empty_typeEEEZZNS1_27merge_sort_block_merge_implIS3_PlPS5_mZN2at6native12_GLOBAL__N_124unique_dim_cuda_templateIiEESt5tupleIJNSA_6TensorESF_SF_EERKSF_lbbbEUlllE_EE10hipError_tT0_T1_T2_jT3_P12ihipStream_tbPNSt15iterator_traitsISL_E10value_typeEPNSR_ISM_E10value_typeEPSN_NS1_7vsmem_tEENKUlT_SL_SM_SN_E_clIS8_S8_S9_S9_EESK_S10_SL_SM_SN_EUlS10_E0_NS1_11comp_targetILNS1_3genE10ELNS1_11target_archE1201ELNS1_3gpuE5ELNS1_3repE0EEENS1_38merge_mergepath_config_static_selectorELNS0_4arch9wavefront6targetE1EEEvSM_
    .private_segment_fixed_size: 0
    .sgpr_count:     6
    .sgpr_spill_count: 0
    .symbol:         _ZN7rocprim17ROCPRIM_400000_NS6detail17trampoline_kernelINS0_14default_configENS1_38merge_sort_block_merge_config_selectorIlNS0_10empty_typeEEEZZNS1_27merge_sort_block_merge_implIS3_PlPS5_mZN2at6native12_GLOBAL__N_124unique_dim_cuda_templateIiEESt5tupleIJNSA_6TensorESF_SF_EERKSF_lbbbEUlllE_EE10hipError_tT0_T1_T2_jT3_P12ihipStream_tbPNSt15iterator_traitsISL_E10value_typeEPNSR_ISM_E10value_typeEPSN_NS1_7vsmem_tEENKUlT_SL_SM_SN_E_clIS8_S8_S9_S9_EESK_S10_SL_SM_SN_EUlS10_E0_NS1_11comp_targetILNS1_3genE10ELNS1_11target_archE1201ELNS1_3gpuE5ELNS1_3repE0EEENS1_38merge_mergepath_config_static_selectorELNS0_4arch9wavefront6targetE1EEEvSM_.kd
    .uniform_work_group_size: 1
    .uses_dynamic_stack: false
    .vgpr_count:     0
    .vgpr_spill_count: 0
    .wavefront_size: 64
  - .agpr_count:     0
    .args:
      - .offset:         0
        .size:           88
        .value_kind:     by_value
      - .offset:         88
        .size:           4
        .value_kind:     hidden_block_count_x
      - .offset:         92
        .size:           4
        .value_kind:     hidden_block_count_y
      - .offset:         96
        .size:           4
        .value_kind:     hidden_block_count_z
      - .offset:         100
        .size:           2
        .value_kind:     hidden_group_size_x
      - .offset:         102
        .size:           2
        .value_kind:     hidden_group_size_y
      - .offset:         104
        .size:           2
        .value_kind:     hidden_group_size_z
      - .offset:         106
        .size:           2
        .value_kind:     hidden_remainder_x
      - .offset:         108
        .size:           2
        .value_kind:     hidden_remainder_y
      - .offset:         110
        .size:           2
        .value_kind:     hidden_remainder_z
      - .offset:         128
        .size:           8
        .value_kind:     hidden_global_offset_x
      - .offset:         136
        .size:           8
        .value_kind:     hidden_global_offset_y
      - .offset:         144
        .size:           8
        .value_kind:     hidden_global_offset_z
      - .offset:         152
        .size:           2
        .value_kind:     hidden_grid_dims
    .group_segment_fixed_size: 8448
    .kernarg_segment_align: 8
    .kernarg_segment_size: 344
    .language:       OpenCL C
    .language_version:
      - 2
      - 0
    .max_flat_workgroup_size: 128
    .name:           _ZN7rocprim17ROCPRIM_400000_NS6detail17trampoline_kernelINS0_14default_configENS1_38merge_sort_block_merge_config_selectorIlNS0_10empty_typeEEEZZNS1_27merge_sort_block_merge_implIS3_PlPS5_mZN2at6native12_GLOBAL__N_124unique_dim_cuda_templateIiEESt5tupleIJNSA_6TensorESF_SF_EERKSF_lbbbEUlllE_EE10hipError_tT0_T1_T2_jT3_P12ihipStream_tbPNSt15iterator_traitsISL_E10value_typeEPNSR_ISM_E10value_typeEPSN_NS1_7vsmem_tEENKUlT_SL_SM_SN_E_clIS8_S8_S9_S9_EESK_S10_SL_SM_SN_EUlS10_E0_NS1_11comp_targetILNS1_3genE5ELNS1_11target_archE942ELNS1_3gpuE9ELNS1_3repE0EEENS1_38merge_mergepath_config_static_selectorELNS0_4arch9wavefront6targetE1EEEvSM_
    .private_segment_fixed_size: 0
    .sgpr_count:     60
    .sgpr_spill_count: 0
    .symbol:         _ZN7rocprim17ROCPRIM_400000_NS6detail17trampoline_kernelINS0_14default_configENS1_38merge_sort_block_merge_config_selectorIlNS0_10empty_typeEEEZZNS1_27merge_sort_block_merge_implIS3_PlPS5_mZN2at6native12_GLOBAL__N_124unique_dim_cuda_templateIiEESt5tupleIJNSA_6TensorESF_SF_EERKSF_lbbbEUlllE_EE10hipError_tT0_T1_T2_jT3_P12ihipStream_tbPNSt15iterator_traitsISL_E10value_typeEPNSR_ISM_E10value_typeEPSN_NS1_7vsmem_tEENKUlT_SL_SM_SN_E_clIS8_S8_S9_S9_EESK_S10_SL_SM_SN_EUlS10_E0_NS1_11comp_targetILNS1_3genE5ELNS1_11target_archE942ELNS1_3gpuE9ELNS1_3repE0EEENS1_38merge_mergepath_config_static_selectorELNS0_4arch9wavefront6targetE1EEEvSM_.kd
    .uniform_work_group_size: 1
    .uses_dynamic_stack: false
    .vgpr_count:     40
    .vgpr_spill_count: 0
    .wavefront_size: 64
  - .agpr_count:     0
    .args:
      - .offset:         0
        .size:           88
        .value_kind:     by_value
    .group_segment_fixed_size: 0
    .kernarg_segment_align: 8
    .kernarg_segment_size: 88
    .language:       OpenCL C
    .language_version:
      - 2
      - 0
    .max_flat_workgroup_size: 256
    .name:           _ZN7rocprim17ROCPRIM_400000_NS6detail17trampoline_kernelINS0_14default_configENS1_38merge_sort_block_merge_config_selectorIlNS0_10empty_typeEEEZZNS1_27merge_sort_block_merge_implIS3_PlPS5_mZN2at6native12_GLOBAL__N_124unique_dim_cuda_templateIiEESt5tupleIJNSA_6TensorESF_SF_EERKSF_lbbbEUlllE_EE10hipError_tT0_T1_T2_jT3_P12ihipStream_tbPNSt15iterator_traitsISL_E10value_typeEPNSR_ISM_E10value_typeEPSN_NS1_7vsmem_tEENKUlT_SL_SM_SN_E_clIS8_S8_S9_S9_EESK_S10_SL_SM_SN_EUlS10_E0_NS1_11comp_targetILNS1_3genE4ELNS1_11target_archE910ELNS1_3gpuE8ELNS1_3repE0EEENS1_38merge_mergepath_config_static_selectorELNS0_4arch9wavefront6targetE1EEEvSM_
    .private_segment_fixed_size: 0
    .sgpr_count:     6
    .sgpr_spill_count: 0
    .symbol:         _ZN7rocprim17ROCPRIM_400000_NS6detail17trampoline_kernelINS0_14default_configENS1_38merge_sort_block_merge_config_selectorIlNS0_10empty_typeEEEZZNS1_27merge_sort_block_merge_implIS3_PlPS5_mZN2at6native12_GLOBAL__N_124unique_dim_cuda_templateIiEESt5tupleIJNSA_6TensorESF_SF_EERKSF_lbbbEUlllE_EE10hipError_tT0_T1_T2_jT3_P12ihipStream_tbPNSt15iterator_traitsISL_E10value_typeEPNSR_ISM_E10value_typeEPSN_NS1_7vsmem_tEENKUlT_SL_SM_SN_E_clIS8_S8_S9_S9_EESK_S10_SL_SM_SN_EUlS10_E0_NS1_11comp_targetILNS1_3genE4ELNS1_11target_archE910ELNS1_3gpuE8ELNS1_3repE0EEENS1_38merge_mergepath_config_static_selectorELNS0_4arch9wavefront6targetE1EEEvSM_.kd
    .uniform_work_group_size: 1
    .uses_dynamic_stack: false
    .vgpr_count:     0
    .vgpr_spill_count: 0
    .wavefront_size: 64
  - .agpr_count:     0
    .args:
      - .offset:         0
        .size:           88
        .value_kind:     by_value
    .group_segment_fixed_size: 0
    .kernarg_segment_align: 8
    .kernarg_segment_size: 88
    .language:       OpenCL C
    .language_version:
      - 2
      - 0
    .max_flat_workgroup_size: 128
    .name:           _ZN7rocprim17ROCPRIM_400000_NS6detail17trampoline_kernelINS0_14default_configENS1_38merge_sort_block_merge_config_selectorIlNS0_10empty_typeEEEZZNS1_27merge_sort_block_merge_implIS3_PlPS5_mZN2at6native12_GLOBAL__N_124unique_dim_cuda_templateIiEESt5tupleIJNSA_6TensorESF_SF_EERKSF_lbbbEUlllE_EE10hipError_tT0_T1_T2_jT3_P12ihipStream_tbPNSt15iterator_traitsISL_E10value_typeEPNSR_ISM_E10value_typeEPSN_NS1_7vsmem_tEENKUlT_SL_SM_SN_E_clIS8_S8_S9_S9_EESK_S10_SL_SM_SN_EUlS10_E0_NS1_11comp_targetILNS1_3genE3ELNS1_11target_archE908ELNS1_3gpuE7ELNS1_3repE0EEENS1_38merge_mergepath_config_static_selectorELNS0_4arch9wavefront6targetE1EEEvSM_
    .private_segment_fixed_size: 0
    .sgpr_count:     6
    .sgpr_spill_count: 0
    .symbol:         _ZN7rocprim17ROCPRIM_400000_NS6detail17trampoline_kernelINS0_14default_configENS1_38merge_sort_block_merge_config_selectorIlNS0_10empty_typeEEEZZNS1_27merge_sort_block_merge_implIS3_PlPS5_mZN2at6native12_GLOBAL__N_124unique_dim_cuda_templateIiEESt5tupleIJNSA_6TensorESF_SF_EERKSF_lbbbEUlllE_EE10hipError_tT0_T1_T2_jT3_P12ihipStream_tbPNSt15iterator_traitsISL_E10value_typeEPNSR_ISM_E10value_typeEPSN_NS1_7vsmem_tEENKUlT_SL_SM_SN_E_clIS8_S8_S9_S9_EESK_S10_SL_SM_SN_EUlS10_E0_NS1_11comp_targetILNS1_3genE3ELNS1_11target_archE908ELNS1_3gpuE7ELNS1_3repE0EEENS1_38merge_mergepath_config_static_selectorELNS0_4arch9wavefront6targetE1EEEvSM_.kd
    .uniform_work_group_size: 1
    .uses_dynamic_stack: false
    .vgpr_count:     0
    .vgpr_spill_count: 0
    .wavefront_size: 64
  - .agpr_count:     0
    .args:
      - .offset:         0
        .size:           88
        .value_kind:     by_value
    .group_segment_fixed_size: 0
    .kernarg_segment_align: 8
    .kernarg_segment_size: 88
    .language:       OpenCL C
    .language_version:
      - 2
      - 0
    .max_flat_workgroup_size: 256
    .name:           _ZN7rocprim17ROCPRIM_400000_NS6detail17trampoline_kernelINS0_14default_configENS1_38merge_sort_block_merge_config_selectorIlNS0_10empty_typeEEEZZNS1_27merge_sort_block_merge_implIS3_PlPS5_mZN2at6native12_GLOBAL__N_124unique_dim_cuda_templateIiEESt5tupleIJNSA_6TensorESF_SF_EERKSF_lbbbEUlllE_EE10hipError_tT0_T1_T2_jT3_P12ihipStream_tbPNSt15iterator_traitsISL_E10value_typeEPNSR_ISM_E10value_typeEPSN_NS1_7vsmem_tEENKUlT_SL_SM_SN_E_clIS8_S8_S9_S9_EESK_S10_SL_SM_SN_EUlS10_E0_NS1_11comp_targetILNS1_3genE2ELNS1_11target_archE906ELNS1_3gpuE6ELNS1_3repE0EEENS1_38merge_mergepath_config_static_selectorELNS0_4arch9wavefront6targetE1EEEvSM_
    .private_segment_fixed_size: 0
    .sgpr_count:     6
    .sgpr_spill_count: 0
    .symbol:         _ZN7rocprim17ROCPRIM_400000_NS6detail17trampoline_kernelINS0_14default_configENS1_38merge_sort_block_merge_config_selectorIlNS0_10empty_typeEEEZZNS1_27merge_sort_block_merge_implIS3_PlPS5_mZN2at6native12_GLOBAL__N_124unique_dim_cuda_templateIiEESt5tupleIJNSA_6TensorESF_SF_EERKSF_lbbbEUlllE_EE10hipError_tT0_T1_T2_jT3_P12ihipStream_tbPNSt15iterator_traitsISL_E10value_typeEPNSR_ISM_E10value_typeEPSN_NS1_7vsmem_tEENKUlT_SL_SM_SN_E_clIS8_S8_S9_S9_EESK_S10_SL_SM_SN_EUlS10_E0_NS1_11comp_targetILNS1_3genE2ELNS1_11target_archE906ELNS1_3gpuE6ELNS1_3repE0EEENS1_38merge_mergepath_config_static_selectorELNS0_4arch9wavefront6targetE1EEEvSM_.kd
    .uniform_work_group_size: 1
    .uses_dynamic_stack: false
    .vgpr_count:     0
    .vgpr_spill_count: 0
    .wavefront_size: 64
  - .agpr_count:     0
    .args:
      - .offset:         0
        .size:           88
        .value_kind:     by_value
    .group_segment_fixed_size: 0
    .kernarg_segment_align: 8
    .kernarg_segment_size: 88
    .language:       OpenCL C
    .language_version:
      - 2
      - 0
    .max_flat_workgroup_size: 512
    .name:           _ZN7rocprim17ROCPRIM_400000_NS6detail17trampoline_kernelINS0_14default_configENS1_38merge_sort_block_merge_config_selectorIlNS0_10empty_typeEEEZZNS1_27merge_sort_block_merge_implIS3_PlPS5_mZN2at6native12_GLOBAL__N_124unique_dim_cuda_templateIiEESt5tupleIJNSA_6TensorESF_SF_EERKSF_lbbbEUlllE_EE10hipError_tT0_T1_T2_jT3_P12ihipStream_tbPNSt15iterator_traitsISL_E10value_typeEPNSR_ISM_E10value_typeEPSN_NS1_7vsmem_tEENKUlT_SL_SM_SN_E_clIS8_S8_S9_S9_EESK_S10_SL_SM_SN_EUlS10_E0_NS1_11comp_targetILNS1_3genE9ELNS1_11target_archE1100ELNS1_3gpuE3ELNS1_3repE0EEENS1_38merge_mergepath_config_static_selectorELNS0_4arch9wavefront6targetE1EEEvSM_
    .private_segment_fixed_size: 0
    .sgpr_count:     6
    .sgpr_spill_count: 0
    .symbol:         _ZN7rocprim17ROCPRIM_400000_NS6detail17trampoline_kernelINS0_14default_configENS1_38merge_sort_block_merge_config_selectorIlNS0_10empty_typeEEEZZNS1_27merge_sort_block_merge_implIS3_PlPS5_mZN2at6native12_GLOBAL__N_124unique_dim_cuda_templateIiEESt5tupleIJNSA_6TensorESF_SF_EERKSF_lbbbEUlllE_EE10hipError_tT0_T1_T2_jT3_P12ihipStream_tbPNSt15iterator_traitsISL_E10value_typeEPNSR_ISM_E10value_typeEPSN_NS1_7vsmem_tEENKUlT_SL_SM_SN_E_clIS8_S8_S9_S9_EESK_S10_SL_SM_SN_EUlS10_E0_NS1_11comp_targetILNS1_3genE9ELNS1_11target_archE1100ELNS1_3gpuE3ELNS1_3repE0EEENS1_38merge_mergepath_config_static_selectorELNS0_4arch9wavefront6targetE1EEEvSM_.kd
    .uniform_work_group_size: 1
    .uses_dynamic_stack: false
    .vgpr_count:     0
    .vgpr_spill_count: 0
    .wavefront_size: 64
  - .agpr_count:     0
    .args:
      - .offset:         0
        .size:           88
        .value_kind:     by_value
    .group_segment_fixed_size: 0
    .kernarg_segment_align: 8
    .kernarg_segment_size: 88
    .language:       OpenCL C
    .language_version:
      - 2
      - 0
    .max_flat_workgroup_size: 1024
    .name:           _ZN7rocprim17ROCPRIM_400000_NS6detail17trampoline_kernelINS0_14default_configENS1_38merge_sort_block_merge_config_selectorIlNS0_10empty_typeEEEZZNS1_27merge_sort_block_merge_implIS3_PlPS5_mZN2at6native12_GLOBAL__N_124unique_dim_cuda_templateIiEESt5tupleIJNSA_6TensorESF_SF_EERKSF_lbbbEUlllE_EE10hipError_tT0_T1_T2_jT3_P12ihipStream_tbPNSt15iterator_traitsISL_E10value_typeEPNSR_ISM_E10value_typeEPSN_NS1_7vsmem_tEENKUlT_SL_SM_SN_E_clIS8_S8_S9_S9_EESK_S10_SL_SM_SN_EUlS10_E0_NS1_11comp_targetILNS1_3genE8ELNS1_11target_archE1030ELNS1_3gpuE2ELNS1_3repE0EEENS1_38merge_mergepath_config_static_selectorELNS0_4arch9wavefront6targetE1EEEvSM_
    .private_segment_fixed_size: 0
    .sgpr_count:     6
    .sgpr_spill_count: 0
    .symbol:         _ZN7rocprim17ROCPRIM_400000_NS6detail17trampoline_kernelINS0_14default_configENS1_38merge_sort_block_merge_config_selectorIlNS0_10empty_typeEEEZZNS1_27merge_sort_block_merge_implIS3_PlPS5_mZN2at6native12_GLOBAL__N_124unique_dim_cuda_templateIiEESt5tupleIJNSA_6TensorESF_SF_EERKSF_lbbbEUlllE_EE10hipError_tT0_T1_T2_jT3_P12ihipStream_tbPNSt15iterator_traitsISL_E10value_typeEPNSR_ISM_E10value_typeEPSN_NS1_7vsmem_tEENKUlT_SL_SM_SN_E_clIS8_S8_S9_S9_EESK_S10_SL_SM_SN_EUlS10_E0_NS1_11comp_targetILNS1_3genE8ELNS1_11target_archE1030ELNS1_3gpuE2ELNS1_3repE0EEENS1_38merge_mergepath_config_static_selectorELNS0_4arch9wavefront6targetE1EEEvSM_.kd
    .uniform_work_group_size: 1
    .uses_dynamic_stack: false
    .vgpr_count:     0
    .vgpr_spill_count: 0
    .wavefront_size: 64
  - .agpr_count:     0
    .args:
      - .offset:         0
        .size:           64
        .value_kind:     by_value
    .group_segment_fixed_size: 0
    .kernarg_segment_align: 8
    .kernarg_segment_size: 64
    .language:       OpenCL C
    .language_version:
      - 2
      - 0
    .max_flat_workgroup_size: 256
    .name:           _ZN7rocprim17ROCPRIM_400000_NS6detail17trampoline_kernelINS0_14default_configENS1_38merge_sort_block_merge_config_selectorIlNS0_10empty_typeEEEZZNS1_27merge_sort_block_merge_implIS3_PlPS5_mZN2at6native12_GLOBAL__N_124unique_dim_cuda_templateIiEESt5tupleIJNSA_6TensorESF_SF_EERKSF_lbbbEUlllE_EE10hipError_tT0_T1_T2_jT3_P12ihipStream_tbPNSt15iterator_traitsISL_E10value_typeEPNSR_ISM_E10value_typeEPSN_NS1_7vsmem_tEENKUlT_SL_SM_SN_E_clIS8_S8_S9_S9_EESK_S10_SL_SM_SN_EUlS10_E1_NS1_11comp_targetILNS1_3genE0ELNS1_11target_archE4294967295ELNS1_3gpuE0ELNS1_3repE0EEENS1_36merge_oddeven_config_static_selectorELNS0_4arch9wavefront6targetE1EEEvSM_
    .private_segment_fixed_size: 0
    .sgpr_count:     6
    .sgpr_spill_count: 0
    .symbol:         _ZN7rocprim17ROCPRIM_400000_NS6detail17trampoline_kernelINS0_14default_configENS1_38merge_sort_block_merge_config_selectorIlNS0_10empty_typeEEEZZNS1_27merge_sort_block_merge_implIS3_PlPS5_mZN2at6native12_GLOBAL__N_124unique_dim_cuda_templateIiEESt5tupleIJNSA_6TensorESF_SF_EERKSF_lbbbEUlllE_EE10hipError_tT0_T1_T2_jT3_P12ihipStream_tbPNSt15iterator_traitsISL_E10value_typeEPNSR_ISM_E10value_typeEPSN_NS1_7vsmem_tEENKUlT_SL_SM_SN_E_clIS8_S8_S9_S9_EESK_S10_SL_SM_SN_EUlS10_E1_NS1_11comp_targetILNS1_3genE0ELNS1_11target_archE4294967295ELNS1_3gpuE0ELNS1_3repE0EEENS1_36merge_oddeven_config_static_selectorELNS0_4arch9wavefront6targetE1EEEvSM_.kd
    .uniform_work_group_size: 1
    .uses_dynamic_stack: false
    .vgpr_count:     0
    .vgpr_spill_count: 0
    .wavefront_size: 64
  - .agpr_count:     0
    .args:
      - .offset:         0
        .size:           64
        .value_kind:     by_value
    .group_segment_fixed_size: 0
    .kernarg_segment_align: 8
    .kernarg_segment_size: 64
    .language:       OpenCL C
    .language_version:
      - 2
      - 0
    .max_flat_workgroup_size: 256
    .name:           _ZN7rocprim17ROCPRIM_400000_NS6detail17trampoline_kernelINS0_14default_configENS1_38merge_sort_block_merge_config_selectorIlNS0_10empty_typeEEEZZNS1_27merge_sort_block_merge_implIS3_PlPS5_mZN2at6native12_GLOBAL__N_124unique_dim_cuda_templateIiEESt5tupleIJNSA_6TensorESF_SF_EERKSF_lbbbEUlllE_EE10hipError_tT0_T1_T2_jT3_P12ihipStream_tbPNSt15iterator_traitsISL_E10value_typeEPNSR_ISM_E10value_typeEPSN_NS1_7vsmem_tEENKUlT_SL_SM_SN_E_clIS8_S8_S9_S9_EESK_S10_SL_SM_SN_EUlS10_E1_NS1_11comp_targetILNS1_3genE10ELNS1_11target_archE1201ELNS1_3gpuE5ELNS1_3repE0EEENS1_36merge_oddeven_config_static_selectorELNS0_4arch9wavefront6targetE1EEEvSM_
    .private_segment_fixed_size: 0
    .sgpr_count:     6
    .sgpr_spill_count: 0
    .symbol:         _ZN7rocprim17ROCPRIM_400000_NS6detail17trampoline_kernelINS0_14default_configENS1_38merge_sort_block_merge_config_selectorIlNS0_10empty_typeEEEZZNS1_27merge_sort_block_merge_implIS3_PlPS5_mZN2at6native12_GLOBAL__N_124unique_dim_cuda_templateIiEESt5tupleIJNSA_6TensorESF_SF_EERKSF_lbbbEUlllE_EE10hipError_tT0_T1_T2_jT3_P12ihipStream_tbPNSt15iterator_traitsISL_E10value_typeEPNSR_ISM_E10value_typeEPSN_NS1_7vsmem_tEENKUlT_SL_SM_SN_E_clIS8_S8_S9_S9_EESK_S10_SL_SM_SN_EUlS10_E1_NS1_11comp_targetILNS1_3genE10ELNS1_11target_archE1201ELNS1_3gpuE5ELNS1_3repE0EEENS1_36merge_oddeven_config_static_selectorELNS0_4arch9wavefront6targetE1EEEvSM_.kd
    .uniform_work_group_size: 1
    .uses_dynamic_stack: false
    .vgpr_count:     0
    .vgpr_spill_count: 0
    .wavefront_size: 64
  - .agpr_count:     0
    .args:
      - .offset:         0
        .size:           64
        .value_kind:     by_value
    .group_segment_fixed_size: 0
    .kernarg_segment_align: 8
    .kernarg_segment_size: 64
    .language:       OpenCL C
    .language_version:
      - 2
      - 0
    .max_flat_workgroup_size: 256
    .name:           _ZN7rocprim17ROCPRIM_400000_NS6detail17trampoline_kernelINS0_14default_configENS1_38merge_sort_block_merge_config_selectorIlNS0_10empty_typeEEEZZNS1_27merge_sort_block_merge_implIS3_PlPS5_mZN2at6native12_GLOBAL__N_124unique_dim_cuda_templateIiEESt5tupleIJNSA_6TensorESF_SF_EERKSF_lbbbEUlllE_EE10hipError_tT0_T1_T2_jT3_P12ihipStream_tbPNSt15iterator_traitsISL_E10value_typeEPNSR_ISM_E10value_typeEPSN_NS1_7vsmem_tEENKUlT_SL_SM_SN_E_clIS8_S8_S9_S9_EESK_S10_SL_SM_SN_EUlS10_E1_NS1_11comp_targetILNS1_3genE5ELNS1_11target_archE942ELNS1_3gpuE9ELNS1_3repE0EEENS1_36merge_oddeven_config_static_selectorELNS0_4arch9wavefront6targetE1EEEvSM_
    .private_segment_fixed_size: 0
    .sgpr_count:     52
    .sgpr_spill_count: 0
    .symbol:         _ZN7rocprim17ROCPRIM_400000_NS6detail17trampoline_kernelINS0_14default_configENS1_38merge_sort_block_merge_config_selectorIlNS0_10empty_typeEEEZZNS1_27merge_sort_block_merge_implIS3_PlPS5_mZN2at6native12_GLOBAL__N_124unique_dim_cuda_templateIiEESt5tupleIJNSA_6TensorESF_SF_EERKSF_lbbbEUlllE_EE10hipError_tT0_T1_T2_jT3_P12ihipStream_tbPNSt15iterator_traitsISL_E10value_typeEPNSR_ISM_E10value_typeEPSN_NS1_7vsmem_tEENKUlT_SL_SM_SN_E_clIS8_S8_S9_S9_EESK_S10_SL_SM_SN_EUlS10_E1_NS1_11comp_targetILNS1_3genE5ELNS1_11target_archE942ELNS1_3gpuE9ELNS1_3repE0EEENS1_36merge_oddeven_config_static_selectorELNS0_4arch9wavefront6targetE1EEEvSM_.kd
    .uniform_work_group_size: 1
    .uses_dynamic_stack: false
    .vgpr_count:     19
    .vgpr_spill_count: 0
    .wavefront_size: 64
  - .agpr_count:     0
    .args:
      - .offset:         0
        .size:           64
        .value_kind:     by_value
    .group_segment_fixed_size: 0
    .kernarg_segment_align: 8
    .kernarg_segment_size: 64
    .language:       OpenCL C
    .language_version:
      - 2
      - 0
    .max_flat_workgroup_size: 256
    .name:           _ZN7rocprim17ROCPRIM_400000_NS6detail17trampoline_kernelINS0_14default_configENS1_38merge_sort_block_merge_config_selectorIlNS0_10empty_typeEEEZZNS1_27merge_sort_block_merge_implIS3_PlPS5_mZN2at6native12_GLOBAL__N_124unique_dim_cuda_templateIiEESt5tupleIJNSA_6TensorESF_SF_EERKSF_lbbbEUlllE_EE10hipError_tT0_T1_T2_jT3_P12ihipStream_tbPNSt15iterator_traitsISL_E10value_typeEPNSR_ISM_E10value_typeEPSN_NS1_7vsmem_tEENKUlT_SL_SM_SN_E_clIS8_S8_S9_S9_EESK_S10_SL_SM_SN_EUlS10_E1_NS1_11comp_targetILNS1_3genE4ELNS1_11target_archE910ELNS1_3gpuE8ELNS1_3repE0EEENS1_36merge_oddeven_config_static_selectorELNS0_4arch9wavefront6targetE1EEEvSM_
    .private_segment_fixed_size: 0
    .sgpr_count:     6
    .sgpr_spill_count: 0
    .symbol:         _ZN7rocprim17ROCPRIM_400000_NS6detail17trampoline_kernelINS0_14default_configENS1_38merge_sort_block_merge_config_selectorIlNS0_10empty_typeEEEZZNS1_27merge_sort_block_merge_implIS3_PlPS5_mZN2at6native12_GLOBAL__N_124unique_dim_cuda_templateIiEESt5tupleIJNSA_6TensorESF_SF_EERKSF_lbbbEUlllE_EE10hipError_tT0_T1_T2_jT3_P12ihipStream_tbPNSt15iterator_traitsISL_E10value_typeEPNSR_ISM_E10value_typeEPSN_NS1_7vsmem_tEENKUlT_SL_SM_SN_E_clIS8_S8_S9_S9_EESK_S10_SL_SM_SN_EUlS10_E1_NS1_11comp_targetILNS1_3genE4ELNS1_11target_archE910ELNS1_3gpuE8ELNS1_3repE0EEENS1_36merge_oddeven_config_static_selectorELNS0_4arch9wavefront6targetE1EEEvSM_.kd
    .uniform_work_group_size: 1
    .uses_dynamic_stack: false
    .vgpr_count:     0
    .vgpr_spill_count: 0
    .wavefront_size: 64
  - .agpr_count:     0
    .args:
      - .offset:         0
        .size:           64
        .value_kind:     by_value
    .group_segment_fixed_size: 0
    .kernarg_segment_align: 8
    .kernarg_segment_size: 64
    .language:       OpenCL C
    .language_version:
      - 2
      - 0
    .max_flat_workgroup_size: 256
    .name:           _ZN7rocprim17ROCPRIM_400000_NS6detail17trampoline_kernelINS0_14default_configENS1_38merge_sort_block_merge_config_selectorIlNS0_10empty_typeEEEZZNS1_27merge_sort_block_merge_implIS3_PlPS5_mZN2at6native12_GLOBAL__N_124unique_dim_cuda_templateIiEESt5tupleIJNSA_6TensorESF_SF_EERKSF_lbbbEUlllE_EE10hipError_tT0_T1_T2_jT3_P12ihipStream_tbPNSt15iterator_traitsISL_E10value_typeEPNSR_ISM_E10value_typeEPSN_NS1_7vsmem_tEENKUlT_SL_SM_SN_E_clIS8_S8_S9_S9_EESK_S10_SL_SM_SN_EUlS10_E1_NS1_11comp_targetILNS1_3genE3ELNS1_11target_archE908ELNS1_3gpuE7ELNS1_3repE0EEENS1_36merge_oddeven_config_static_selectorELNS0_4arch9wavefront6targetE1EEEvSM_
    .private_segment_fixed_size: 0
    .sgpr_count:     6
    .sgpr_spill_count: 0
    .symbol:         _ZN7rocprim17ROCPRIM_400000_NS6detail17trampoline_kernelINS0_14default_configENS1_38merge_sort_block_merge_config_selectorIlNS0_10empty_typeEEEZZNS1_27merge_sort_block_merge_implIS3_PlPS5_mZN2at6native12_GLOBAL__N_124unique_dim_cuda_templateIiEESt5tupleIJNSA_6TensorESF_SF_EERKSF_lbbbEUlllE_EE10hipError_tT0_T1_T2_jT3_P12ihipStream_tbPNSt15iterator_traitsISL_E10value_typeEPNSR_ISM_E10value_typeEPSN_NS1_7vsmem_tEENKUlT_SL_SM_SN_E_clIS8_S8_S9_S9_EESK_S10_SL_SM_SN_EUlS10_E1_NS1_11comp_targetILNS1_3genE3ELNS1_11target_archE908ELNS1_3gpuE7ELNS1_3repE0EEENS1_36merge_oddeven_config_static_selectorELNS0_4arch9wavefront6targetE1EEEvSM_.kd
    .uniform_work_group_size: 1
    .uses_dynamic_stack: false
    .vgpr_count:     0
    .vgpr_spill_count: 0
    .wavefront_size: 64
  - .agpr_count:     0
    .args:
      - .offset:         0
        .size:           64
        .value_kind:     by_value
    .group_segment_fixed_size: 0
    .kernarg_segment_align: 8
    .kernarg_segment_size: 64
    .language:       OpenCL C
    .language_version:
      - 2
      - 0
    .max_flat_workgroup_size: 256
    .name:           _ZN7rocprim17ROCPRIM_400000_NS6detail17trampoline_kernelINS0_14default_configENS1_38merge_sort_block_merge_config_selectorIlNS0_10empty_typeEEEZZNS1_27merge_sort_block_merge_implIS3_PlPS5_mZN2at6native12_GLOBAL__N_124unique_dim_cuda_templateIiEESt5tupleIJNSA_6TensorESF_SF_EERKSF_lbbbEUlllE_EE10hipError_tT0_T1_T2_jT3_P12ihipStream_tbPNSt15iterator_traitsISL_E10value_typeEPNSR_ISM_E10value_typeEPSN_NS1_7vsmem_tEENKUlT_SL_SM_SN_E_clIS8_S8_S9_S9_EESK_S10_SL_SM_SN_EUlS10_E1_NS1_11comp_targetILNS1_3genE2ELNS1_11target_archE906ELNS1_3gpuE6ELNS1_3repE0EEENS1_36merge_oddeven_config_static_selectorELNS0_4arch9wavefront6targetE1EEEvSM_
    .private_segment_fixed_size: 0
    .sgpr_count:     6
    .sgpr_spill_count: 0
    .symbol:         _ZN7rocprim17ROCPRIM_400000_NS6detail17trampoline_kernelINS0_14default_configENS1_38merge_sort_block_merge_config_selectorIlNS0_10empty_typeEEEZZNS1_27merge_sort_block_merge_implIS3_PlPS5_mZN2at6native12_GLOBAL__N_124unique_dim_cuda_templateIiEESt5tupleIJNSA_6TensorESF_SF_EERKSF_lbbbEUlllE_EE10hipError_tT0_T1_T2_jT3_P12ihipStream_tbPNSt15iterator_traitsISL_E10value_typeEPNSR_ISM_E10value_typeEPSN_NS1_7vsmem_tEENKUlT_SL_SM_SN_E_clIS8_S8_S9_S9_EESK_S10_SL_SM_SN_EUlS10_E1_NS1_11comp_targetILNS1_3genE2ELNS1_11target_archE906ELNS1_3gpuE6ELNS1_3repE0EEENS1_36merge_oddeven_config_static_selectorELNS0_4arch9wavefront6targetE1EEEvSM_.kd
    .uniform_work_group_size: 1
    .uses_dynamic_stack: false
    .vgpr_count:     0
    .vgpr_spill_count: 0
    .wavefront_size: 64
  - .agpr_count:     0
    .args:
      - .offset:         0
        .size:           64
        .value_kind:     by_value
    .group_segment_fixed_size: 0
    .kernarg_segment_align: 8
    .kernarg_segment_size: 64
    .language:       OpenCL C
    .language_version:
      - 2
      - 0
    .max_flat_workgroup_size: 256
    .name:           _ZN7rocprim17ROCPRIM_400000_NS6detail17trampoline_kernelINS0_14default_configENS1_38merge_sort_block_merge_config_selectorIlNS0_10empty_typeEEEZZNS1_27merge_sort_block_merge_implIS3_PlPS5_mZN2at6native12_GLOBAL__N_124unique_dim_cuda_templateIiEESt5tupleIJNSA_6TensorESF_SF_EERKSF_lbbbEUlllE_EE10hipError_tT0_T1_T2_jT3_P12ihipStream_tbPNSt15iterator_traitsISL_E10value_typeEPNSR_ISM_E10value_typeEPSN_NS1_7vsmem_tEENKUlT_SL_SM_SN_E_clIS8_S8_S9_S9_EESK_S10_SL_SM_SN_EUlS10_E1_NS1_11comp_targetILNS1_3genE9ELNS1_11target_archE1100ELNS1_3gpuE3ELNS1_3repE0EEENS1_36merge_oddeven_config_static_selectorELNS0_4arch9wavefront6targetE1EEEvSM_
    .private_segment_fixed_size: 0
    .sgpr_count:     6
    .sgpr_spill_count: 0
    .symbol:         _ZN7rocprim17ROCPRIM_400000_NS6detail17trampoline_kernelINS0_14default_configENS1_38merge_sort_block_merge_config_selectorIlNS0_10empty_typeEEEZZNS1_27merge_sort_block_merge_implIS3_PlPS5_mZN2at6native12_GLOBAL__N_124unique_dim_cuda_templateIiEESt5tupleIJNSA_6TensorESF_SF_EERKSF_lbbbEUlllE_EE10hipError_tT0_T1_T2_jT3_P12ihipStream_tbPNSt15iterator_traitsISL_E10value_typeEPNSR_ISM_E10value_typeEPSN_NS1_7vsmem_tEENKUlT_SL_SM_SN_E_clIS8_S8_S9_S9_EESK_S10_SL_SM_SN_EUlS10_E1_NS1_11comp_targetILNS1_3genE9ELNS1_11target_archE1100ELNS1_3gpuE3ELNS1_3repE0EEENS1_36merge_oddeven_config_static_selectorELNS0_4arch9wavefront6targetE1EEEvSM_.kd
    .uniform_work_group_size: 1
    .uses_dynamic_stack: false
    .vgpr_count:     0
    .vgpr_spill_count: 0
    .wavefront_size: 64
  - .agpr_count:     0
    .args:
      - .offset:         0
        .size:           64
        .value_kind:     by_value
    .group_segment_fixed_size: 0
    .kernarg_segment_align: 8
    .kernarg_segment_size: 64
    .language:       OpenCL C
    .language_version:
      - 2
      - 0
    .max_flat_workgroup_size: 256
    .name:           _ZN7rocprim17ROCPRIM_400000_NS6detail17trampoline_kernelINS0_14default_configENS1_38merge_sort_block_merge_config_selectorIlNS0_10empty_typeEEEZZNS1_27merge_sort_block_merge_implIS3_PlPS5_mZN2at6native12_GLOBAL__N_124unique_dim_cuda_templateIiEESt5tupleIJNSA_6TensorESF_SF_EERKSF_lbbbEUlllE_EE10hipError_tT0_T1_T2_jT3_P12ihipStream_tbPNSt15iterator_traitsISL_E10value_typeEPNSR_ISM_E10value_typeEPSN_NS1_7vsmem_tEENKUlT_SL_SM_SN_E_clIS8_S8_S9_S9_EESK_S10_SL_SM_SN_EUlS10_E1_NS1_11comp_targetILNS1_3genE8ELNS1_11target_archE1030ELNS1_3gpuE2ELNS1_3repE0EEENS1_36merge_oddeven_config_static_selectorELNS0_4arch9wavefront6targetE1EEEvSM_
    .private_segment_fixed_size: 0
    .sgpr_count:     6
    .sgpr_spill_count: 0
    .symbol:         _ZN7rocprim17ROCPRIM_400000_NS6detail17trampoline_kernelINS0_14default_configENS1_38merge_sort_block_merge_config_selectorIlNS0_10empty_typeEEEZZNS1_27merge_sort_block_merge_implIS3_PlPS5_mZN2at6native12_GLOBAL__N_124unique_dim_cuda_templateIiEESt5tupleIJNSA_6TensorESF_SF_EERKSF_lbbbEUlllE_EE10hipError_tT0_T1_T2_jT3_P12ihipStream_tbPNSt15iterator_traitsISL_E10value_typeEPNSR_ISM_E10value_typeEPSN_NS1_7vsmem_tEENKUlT_SL_SM_SN_E_clIS8_S8_S9_S9_EESK_S10_SL_SM_SN_EUlS10_E1_NS1_11comp_targetILNS1_3genE8ELNS1_11target_archE1030ELNS1_3gpuE2ELNS1_3repE0EEENS1_36merge_oddeven_config_static_selectorELNS0_4arch9wavefront6targetE1EEEvSM_.kd
    .uniform_work_group_size: 1
    .uses_dynamic_stack: false
    .vgpr_count:     0
    .vgpr_spill_count: 0
    .wavefront_size: 64
  - .agpr_count:     0
    .args:
      - .offset:         0
        .size:           64
        .value_kind:     by_value
    .group_segment_fixed_size: 0
    .kernarg_segment_align: 8
    .kernarg_segment_size: 64
    .language:       OpenCL C
    .language_version:
      - 2
      - 0
    .max_flat_workgroup_size: 128
    .name:           _ZN7rocprim17ROCPRIM_400000_NS6detail17trampoline_kernelINS0_14default_configENS1_35adjacent_difference_config_selectorILb0ElEEZNS1_24adjacent_difference_implIS3_Lb0ELb0EPlS7_ZN2at6native12_GLOBAL__N_124unique_dim_cuda_templateIiEESt5tupleIJNS8_6TensorESD_SD_EERKSD_lbbbEUlllE1_EE10hipError_tPvRmT2_T3_mT4_P12ihipStream_tbEUlT_E_NS1_11comp_targetILNS1_3genE0ELNS1_11target_archE4294967295ELNS1_3gpuE0ELNS1_3repE0EEENS1_30default_config_static_selectorELNS0_4arch9wavefront6targetE1EEEvT1_
    .private_segment_fixed_size: 0
    .sgpr_count:     6
    .sgpr_spill_count: 0
    .symbol:         _ZN7rocprim17ROCPRIM_400000_NS6detail17trampoline_kernelINS0_14default_configENS1_35adjacent_difference_config_selectorILb0ElEEZNS1_24adjacent_difference_implIS3_Lb0ELb0EPlS7_ZN2at6native12_GLOBAL__N_124unique_dim_cuda_templateIiEESt5tupleIJNS8_6TensorESD_SD_EERKSD_lbbbEUlllE1_EE10hipError_tPvRmT2_T3_mT4_P12ihipStream_tbEUlT_E_NS1_11comp_targetILNS1_3genE0ELNS1_11target_archE4294967295ELNS1_3gpuE0ELNS1_3repE0EEENS1_30default_config_static_selectorELNS0_4arch9wavefront6targetE1EEEvT1_.kd
    .uniform_work_group_size: 1
    .uses_dynamic_stack: false
    .vgpr_count:     0
    .vgpr_spill_count: 0
    .wavefront_size: 64
  - .agpr_count:     0
    .args:
      - .offset:         0
        .size:           64
        .value_kind:     by_value
    .group_segment_fixed_size: 0
    .kernarg_segment_align: 8
    .kernarg_segment_size: 64
    .language:       OpenCL C
    .language_version:
      - 2
      - 0
    .max_flat_workgroup_size: 128
    .name:           _ZN7rocprim17ROCPRIM_400000_NS6detail17trampoline_kernelINS0_14default_configENS1_35adjacent_difference_config_selectorILb0ElEEZNS1_24adjacent_difference_implIS3_Lb0ELb0EPlS7_ZN2at6native12_GLOBAL__N_124unique_dim_cuda_templateIiEESt5tupleIJNS8_6TensorESD_SD_EERKSD_lbbbEUlllE1_EE10hipError_tPvRmT2_T3_mT4_P12ihipStream_tbEUlT_E_NS1_11comp_targetILNS1_3genE10ELNS1_11target_archE1201ELNS1_3gpuE5ELNS1_3repE0EEENS1_30default_config_static_selectorELNS0_4arch9wavefront6targetE1EEEvT1_
    .private_segment_fixed_size: 0
    .sgpr_count:     6
    .sgpr_spill_count: 0
    .symbol:         _ZN7rocprim17ROCPRIM_400000_NS6detail17trampoline_kernelINS0_14default_configENS1_35adjacent_difference_config_selectorILb0ElEEZNS1_24adjacent_difference_implIS3_Lb0ELb0EPlS7_ZN2at6native12_GLOBAL__N_124unique_dim_cuda_templateIiEESt5tupleIJNS8_6TensorESD_SD_EERKSD_lbbbEUlllE1_EE10hipError_tPvRmT2_T3_mT4_P12ihipStream_tbEUlT_E_NS1_11comp_targetILNS1_3genE10ELNS1_11target_archE1201ELNS1_3gpuE5ELNS1_3repE0EEENS1_30default_config_static_selectorELNS0_4arch9wavefront6targetE1EEEvT1_.kd
    .uniform_work_group_size: 1
    .uses_dynamic_stack: false
    .vgpr_count:     0
    .vgpr_spill_count: 0
    .wavefront_size: 64
  - .agpr_count:     0
    .args:
      - .offset:         0
        .size:           64
        .value_kind:     by_value
    .group_segment_fixed_size: 6656
    .kernarg_segment_align: 8
    .kernarg_segment_size: 64
    .language:       OpenCL C
    .language_version:
      - 2
      - 0
    .max_flat_workgroup_size: 64
    .name:           _ZN7rocprim17ROCPRIM_400000_NS6detail17trampoline_kernelINS0_14default_configENS1_35adjacent_difference_config_selectorILb0ElEEZNS1_24adjacent_difference_implIS3_Lb0ELb0EPlS7_ZN2at6native12_GLOBAL__N_124unique_dim_cuda_templateIiEESt5tupleIJNS8_6TensorESD_SD_EERKSD_lbbbEUlllE1_EE10hipError_tPvRmT2_T3_mT4_P12ihipStream_tbEUlT_E_NS1_11comp_targetILNS1_3genE5ELNS1_11target_archE942ELNS1_3gpuE9ELNS1_3repE0EEENS1_30default_config_static_selectorELNS0_4arch9wavefront6targetE1EEEvT1_
    .private_segment_fixed_size: 0
    .sgpr_count:     44
    .sgpr_spill_count: 0
    .symbol:         _ZN7rocprim17ROCPRIM_400000_NS6detail17trampoline_kernelINS0_14default_configENS1_35adjacent_difference_config_selectorILb0ElEEZNS1_24adjacent_difference_implIS3_Lb0ELb0EPlS7_ZN2at6native12_GLOBAL__N_124unique_dim_cuda_templateIiEESt5tupleIJNS8_6TensorESD_SD_EERKSD_lbbbEUlllE1_EE10hipError_tPvRmT2_T3_mT4_P12ihipStream_tbEUlT_E_NS1_11comp_targetILNS1_3genE5ELNS1_11target_archE942ELNS1_3gpuE9ELNS1_3repE0EEENS1_30default_config_static_selectorELNS0_4arch9wavefront6targetE1EEEvT1_.kd
    .uniform_work_group_size: 1
    .uses_dynamic_stack: false
    .vgpr_count:     84
    .vgpr_spill_count: 0
    .wavefront_size: 64
  - .agpr_count:     0
    .args:
      - .offset:         0
        .size:           64
        .value_kind:     by_value
    .group_segment_fixed_size: 0
    .kernarg_segment_align: 8
    .kernarg_segment_size: 64
    .language:       OpenCL C
    .language_version:
      - 2
      - 0
    .max_flat_workgroup_size: 256
    .name:           _ZN7rocprim17ROCPRIM_400000_NS6detail17trampoline_kernelINS0_14default_configENS1_35adjacent_difference_config_selectorILb0ElEEZNS1_24adjacent_difference_implIS3_Lb0ELb0EPlS7_ZN2at6native12_GLOBAL__N_124unique_dim_cuda_templateIiEESt5tupleIJNS8_6TensorESD_SD_EERKSD_lbbbEUlllE1_EE10hipError_tPvRmT2_T3_mT4_P12ihipStream_tbEUlT_E_NS1_11comp_targetILNS1_3genE4ELNS1_11target_archE910ELNS1_3gpuE8ELNS1_3repE0EEENS1_30default_config_static_selectorELNS0_4arch9wavefront6targetE1EEEvT1_
    .private_segment_fixed_size: 0
    .sgpr_count:     6
    .sgpr_spill_count: 0
    .symbol:         _ZN7rocprim17ROCPRIM_400000_NS6detail17trampoline_kernelINS0_14default_configENS1_35adjacent_difference_config_selectorILb0ElEEZNS1_24adjacent_difference_implIS3_Lb0ELb0EPlS7_ZN2at6native12_GLOBAL__N_124unique_dim_cuda_templateIiEESt5tupleIJNS8_6TensorESD_SD_EERKSD_lbbbEUlllE1_EE10hipError_tPvRmT2_T3_mT4_P12ihipStream_tbEUlT_E_NS1_11comp_targetILNS1_3genE4ELNS1_11target_archE910ELNS1_3gpuE8ELNS1_3repE0EEENS1_30default_config_static_selectorELNS0_4arch9wavefront6targetE1EEEvT1_.kd
    .uniform_work_group_size: 1
    .uses_dynamic_stack: false
    .vgpr_count:     0
    .vgpr_spill_count: 0
    .wavefront_size: 64
  - .agpr_count:     0
    .args:
      - .offset:         0
        .size:           64
        .value_kind:     by_value
    .group_segment_fixed_size: 0
    .kernarg_segment_align: 8
    .kernarg_segment_size: 64
    .language:       OpenCL C
    .language_version:
      - 2
      - 0
    .max_flat_workgroup_size: 128
    .name:           _ZN7rocprim17ROCPRIM_400000_NS6detail17trampoline_kernelINS0_14default_configENS1_35adjacent_difference_config_selectorILb0ElEEZNS1_24adjacent_difference_implIS3_Lb0ELb0EPlS7_ZN2at6native12_GLOBAL__N_124unique_dim_cuda_templateIiEESt5tupleIJNS8_6TensorESD_SD_EERKSD_lbbbEUlllE1_EE10hipError_tPvRmT2_T3_mT4_P12ihipStream_tbEUlT_E_NS1_11comp_targetILNS1_3genE3ELNS1_11target_archE908ELNS1_3gpuE7ELNS1_3repE0EEENS1_30default_config_static_selectorELNS0_4arch9wavefront6targetE1EEEvT1_
    .private_segment_fixed_size: 0
    .sgpr_count:     6
    .sgpr_spill_count: 0
    .symbol:         _ZN7rocprim17ROCPRIM_400000_NS6detail17trampoline_kernelINS0_14default_configENS1_35adjacent_difference_config_selectorILb0ElEEZNS1_24adjacent_difference_implIS3_Lb0ELb0EPlS7_ZN2at6native12_GLOBAL__N_124unique_dim_cuda_templateIiEESt5tupleIJNS8_6TensorESD_SD_EERKSD_lbbbEUlllE1_EE10hipError_tPvRmT2_T3_mT4_P12ihipStream_tbEUlT_E_NS1_11comp_targetILNS1_3genE3ELNS1_11target_archE908ELNS1_3gpuE7ELNS1_3repE0EEENS1_30default_config_static_selectorELNS0_4arch9wavefront6targetE1EEEvT1_.kd
    .uniform_work_group_size: 1
    .uses_dynamic_stack: false
    .vgpr_count:     0
    .vgpr_spill_count: 0
    .wavefront_size: 64
  - .agpr_count:     0
    .args:
      - .offset:         0
        .size:           64
        .value_kind:     by_value
    .group_segment_fixed_size: 0
    .kernarg_segment_align: 8
    .kernarg_segment_size: 64
    .language:       OpenCL C
    .language_version:
      - 2
      - 0
    .max_flat_workgroup_size: 128
    .name:           _ZN7rocprim17ROCPRIM_400000_NS6detail17trampoline_kernelINS0_14default_configENS1_35adjacent_difference_config_selectorILb0ElEEZNS1_24adjacent_difference_implIS3_Lb0ELb0EPlS7_ZN2at6native12_GLOBAL__N_124unique_dim_cuda_templateIiEESt5tupleIJNS8_6TensorESD_SD_EERKSD_lbbbEUlllE1_EE10hipError_tPvRmT2_T3_mT4_P12ihipStream_tbEUlT_E_NS1_11comp_targetILNS1_3genE2ELNS1_11target_archE906ELNS1_3gpuE6ELNS1_3repE0EEENS1_30default_config_static_selectorELNS0_4arch9wavefront6targetE1EEEvT1_
    .private_segment_fixed_size: 0
    .sgpr_count:     6
    .sgpr_spill_count: 0
    .symbol:         _ZN7rocprim17ROCPRIM_400000_NS6detail17trampoline_kernelINS0_14default_configENS1_35adjacent_difference_config_selectorILb0ElEEZNS1_24adjacent_difference_implIS3_Lb0ELb0EPlS7_ZN2at6native12_GLOBAL__N_124unique_dim_cuda_templateIiEESt5tupleIJNS8_6TensorESD_SD_EERKSD_lbbbEUlllE1_EE10hipError_tPvRmT2_T3_mT4_P12ihipStream_tbEUlT_E_NS1_11comp_targetILNS1_3genE2ELNS1_11target_archE906ELNS1_3gpuE6ELNS1_3repE0EEENS1_30default_config_static_selectorELNS0_4arch9wavefront6targetE1EEEvT1_.kd
    .uniform_work_group_size: 1
    .uses_dynamic_stack: false
    .vgpr_count:     0
    .vgpr_spill_count: 0
    .wavefront_size: 64
  - .agpr_count:     0
    .args:
      - .offset:         0
        .size:           64
        .value_kind:     by_value
    .group_segment_fixed_size: 0
    .kernarg_segment_align: 8
    .kernarg_segment_size: 64
    .language:       OpenCL C
    .language_version:
      - 2
      - 0
    .max_flat_workgroup_size: 512
    .name:           _ZN7rocprim17ROCPRIM_400000_NS6detail17trampoline_kernelINS0_14default_configENS1_35adjacent_difference_config_selectorILb0ElEEZNS1_24adjacent_difference_implIS3_Lb0ELb0EPlS7_ZN2at6native12_GLOBAL__N_124unique_dim_cuda_templateIiEESt5tupleIJNS8_6TensorESD_SD_EERKSD_lbbbEUlllE1_EE10hipError_tPvRmT2_T3_mT4_P12ihipStream_tbEUlT_E_NS1_11comp_targetILNS1_3genE9ELNS1_11target_archE1100ELNS1_3gpuE3ELNS1_3repE0EEENS1_30default_config_static_selectorELNS0_4arch9wavefront6targetE1EEEvT1_
    .private_segment_fixed_size: 0
    .sgpr_count:     6
    .sgpr_spill_count: 0
    .symbol:         _ZN7rocprim17ROCPRIM_400000_NS6detail17trampoline_kernelINS0_14default_configENS1_35adjacent_difference_config_selectorILb0ElEEZNS1_24adjacent_difference_implIS3_Lb0ELb0EPlS7_ZN2at6native12_GLOBAL__N_124unique_dim_cuda_templateIiEESt5tupleIJNS8_6TensorESD_SD_EERKSD_lbbbEUlllE1_EE10hipError_tPvRmT2_T3_mT4_P12ihipStream_tbEUlT_E_NS1_11comp_targetILNS1_3genE9ELNS1_11target_archE1100ELNS1_3gpuE3ELNS1_3repE0EEENS1_30default_config_static_selectorELNS0_4arch9wavefront6targetE1EEEvT1_.kd
    .uniform_work_group_size: 1
    .uses_dynamic_stack: false
    .vgpr_count:     0
    .vgpr_spill_count: 0
    .wavefront_size: 64
  - .agpr_count:     0
    .args:
      - .offset:         0
        .size:           64
        .value_kind:     by_value
    .group_segment_fixed_size: 0
    .kernarg_segment_align: 8
    .kernarg_segment_size: 64
    .language:       OpenCL C
    .language_version:
      - 2
      - 0
    .max_flat_workgroup_size: 1024
    .name:           _ZN7rocprim17ROCPRIM_400000_NS6detail17trampoline_kernelINS0_14default_configENS1_35adjacent_difference_config_selectorILb0ElEEZNS1_24adjacent_difference_implIS3_Lb0ELb0EPlS7_ZN2at6native12_GLOBAL__N_124unique_dim_cuda_templateIiEESt5tupleIJNS8_6TensorESD_SD_EERKSD_lbbbEUlllE1_EE10hipError_tPvRmT2_T3_mT4_P12ihipStream_tbEUlT_E_NS1_11comp_targetILNS1_3genE8ELNS1_11target_archE1030ELNS1_3gpuE2ELNS1_3repE0EEENS1_30default_config_static_selectorELNS0_4arch9wavefront6targetE1EEEvT1_
    .private_segment_fixed_size: 0
    .sgpr_count:     6
    .sgpr_spill_count: 0
    .symbol:         _ZN7rocprim17ROCPRIM_400000_NS6detail17trampoline_kernelINS0_14default_configENS1_35adjacent_difference_config_selectorILb0ElEEZNS1_24adjacent_difference_implIS3_Lb0ELb0EPlS7_ZN2at6native12_GLOBAL__N_124unique_dim_cuda_templateIiEESt5tupleIJNS8_6TensorESD_SD_EERKSD_lbbbEUlllE1_EE10hipError_tPvRmT2_T3_mT4_P12ihipStream_tbEUlT_E_NS1_11comp_targetILNS1_3genE8ELNS1_11target_archE1030ELNS1_3gpuE2ELNS1_3repE0EEENS1_30default_config_static_selectorELNS0_4arch9wavefront6targetE1EEEvT1_.kd
    .uniform_work_group_size: 1
    .uses_dynamic_stack: false
    .vgpr_count:     0
    .vgpr_spill_count: 0
    .wavefront_size: 64
  - .agpr_count:     0
    .args:
      - .offset:         0
        .size:           56
        .value_kind:     by_value
    .group_segment_fixed_size: 0
    .kernarg_segment_align: 8
    .kernarg_segment_size: 56
    .language:       OpenCL C
    .language_version:
      - 2
      - 0
    .max_flat_workgroup_size: 128
    .name:           _ZN7rocprim17ROCPRIM_400000_NS6detail17trampoline_kernelINS0_14default_configENS1_25transform_config_selectorIlLb0EEEZNS1_14transform_implILb0ES3_S5_NS0_18transform_iteratorINS0_17counting_iteratorImlEEZNS1_24adjacent_difference_implIS3_Lb1ELb0EPlSB_ZN2at6native12_GLOBAL__N_124unique_dim_cuda_templateIiEESt5tupleIJNSC_6TensorESH_SH_EERKSH_lbbbEUlllE1_EE10hipError_tPvRmT2_T3_mT4_P12ihipStream_tbEUlmE_lEESB_NS0_8identityIvEEEESM_SP_SQ_mSR_ST_bEUlT_E_NS1_11comp_targetILNS1_3genE0ELNS1_11target_archE4294967295ELNS1_3gpuE0ELNS1_3repE0EEENS1_30default_config_static_selectorELNS0_4arch9wavefront6targetE1EEEvT1_
    .private_segment_fixed_size: 0
    .sgpr_count:     6
    .sgpr_spill_count: 0
    .symbol:         _ZN7rocprim17ROCPRIM_400000_NS6detail17trampoline_kernelINS0_14default_configENS1_25transform_config_selectorIlLb0EEEZNS1_14transform_implILb0ES3_S5_NS0_18transform_iteratorINS0_17counting_iteratorImlEEZNS1_24adjacent_difference_implIS3_Lb1ELb0EPlSB_ZN2at6native12_GLOBAL__N_124unique_dim_cuda_templateIiEESt5tupleIJNSC_6TensorESH_SH_EERKSH_lbbbEUlllE1_EE10hipError_tPvRmT2_T3_mT4_P12ihipStream_tbEUlmE_lEESB_NS0_8identityIvEEEESM_SP_SQ_mSR_ST_bEUlT_E_NS1_11comp_targetILNS1_3genE0ELNS1_11target_archE4294967295ELNS1_3gpuE0ELNS1_3repE0EEENS1_30default_config_static_selectorELNS0_4arch9wavefront6targetE1EEEvT1_.kd
    .uniform_work_group_size: 1
    .uses_dynamic_stack: false
    .vgpr_count:     0
    .vgpr_spill_count: 0
    .wavefront_size: 64
  - .agpr_count:     0
    .args:
      - .offset:         0
        .size:           56
        .value_kind:     by_value
      - .offset:         56
        .size:           4
        .value_kind:     hidden_block_count_x
      - .offset:         60
        .size:           4
        .value_kind:     hidden_block_count_y
      - .offset:         64
        .size:           4
        .value_kind:     hidden_block_count_z
      - .offset:         68
        .size:           2
        .value_kind:     hidden_group_size_x
      - .offset:         70
        .size:           2
        .value_kind:     hidden_group_size_y
      - .offset:         72
        .size:           2
        .value_kind:     hidden_group_size_z
      - .offset:         74
        .size:           2
        .value_kind:     hidden_remainder_x
      - .offset:         76
        .size:           2
        .value_kind:     hidden_remainder_y
      - .offset:         78
        .size:           2
        .value_kind:     hidden_remainder_z
      - .offset:         96
        .size:           8
        .value_kind:     hidden_global_offset_x
      - .offset:         104
        .size:           8
        .value_kind:     hidden_global_offset_y
      - .offset:         112
        .size:           8
        .value_kind:     hidden_global_offset_z
      - .offset:         120
        .size:           2
        .value_kind:     hidden_grid_dims
    .group_segment_fixed_size: 0
    .kernarg_segment_align: 8
    .kernarg_segment_size: 312
    .language:       OpenCL C
    .language_version:
      - 2
      - 0
    .max_flat_workgroup_size: 512
    .name:           _ZN7rocprim17ROCPRIM_400000_NS6detail17trampoline_kernelINS0_14default_configENS1_25transform_config_selectorIlLb0EEEZNS1_14transform_implILb0ES3_S5_NS0_18transform_iteratorINS0_17counting_iteratorImlEEZNS1_24adjacent_difference_implIS3_Lb1ELb0EPlSB_ZN2at6native12_GLOBAL__N_124unique_dim_cuda_templateIiEESt5tupleIJNSC_6TensorESH_SH_EERKSH_lbbbEUlllE1_EE10hipError_tPvRmT2_T3_mT4_P12ihipStream_tbEUlmE_lEESB_NS0_8identityIvEEEESM_SP_SQ_mSR_ST_bEUlT_E_NS1_11comp_targetILNS1_3genE5ELNS1_11target_archE942ELNS1_3gpuE9ELNS1_3repE0EEENS1_30default_config_static_selectorELNS0_4arch9wavefront6targetE1EEEvT1_
    .private_segment_fixed_size: 0
    .sgpr_count:     26
    .sgpr_spill_count: 0
    .symbol:         _ZN7rocprim17ROCPRIM_400000_NS6detail17trampoline_kernelINS0_14default_configENS1_25transform_config_selectorIlLb0EEEZNS1_14transform_implILb0ES3_S5_NS0_18transform_iteratorINS0_17counting_iteratorImlEEZNS1_24adjacent_difference_implIS3_Lb1ELb0EPlSB_ZN2at6native12_GLOBAL__N_124unique_dim_cuda_templateIiEESt5tupleIJNSC_6TensorESH_SH_EERKSH_lbbbEUlllE1_EE10hipError_tPvRmT2_T3_mT4_P12ihipStream_tbEUlmE_lEESB_NS0_8identityIvEEEESM_SP_SQ_mSR_ST_bEUlT_E_NS1_11comp_targetILNS1_3genE5ELNS1_11target_archE942ELNS1_3gpuE9ELNS1_3repE0EEENS1_30default_config_static_selectorELNS0_4arch9wavefront6targetE1EEEvT1_.kd
    .uniform_work_group_size: 1
    .uses_dynamic_stack: false
    .vgpr_count:     12
    .vgpr_spill_count: 0
    .wavefront_size: 64
  - .agpr_count:     0
    .args:
      - .offset:         0
        .size:           56
        .value_kind:     by_value
    .group_segment_fixed_size: 0
    .kernarg_segment_align: 8
    .kernarg_segment_size: 56
    .language:       OpenCL C
    .language_version:
      - 2
      - 0
    .max_flat_workgroup_size: 256
    .name:           _ZN7rocprim17ROCPRIM_400000_NS6detail17trampoline_kernelINS0_14default_configENS1_25transform_config_selectorIlLb0EEEZNS1_14transform_implILb0ES3_S5_NS0_18transform_iteratorINS0_17counting_iteratorImlEEZNS1_24adjacent_difference_implIS3_Lb1ELb0EPlSB_ZN2at6native12_GLOBAL__N_124unique_dim_cuda_templateIiEESt5tupleIJNSC_6TensorESH_SH_EERKSH_lbbbEUlllE1_EE10hipError_tPvRmT2_T3_mT4_P12ihipStream_tbEUlmE_lEESB_NS0_8identityIvEEEESM_SP_SQ_mSR_ST_bEUlT_E_NS1_11comp_targetILNS1_3genE4ELNS1_11target_archE910ELNS1_3gpuE8ELNS1_3repE0EEENS1_30default_config_static_selectorELNS0_4arch9wavefront6targetE1EEEvT1_
    .private_segment_fixed_size: 0
    .sgpr_count:     6
    .sgpr_spill_count: 0
    .symbol:         _ZN7rocprim17ROCPRIM_400000_NS6detail17trampoline_kernelINS0_14default_configENS1_25transform_config_selectorIlLb0EEEZNS1_14transform_implILb0ES3_S5_NS0_18transform_iteratorINS0_17counting_iteratorImlEEZNS1_24adjacent_difference_implIS3_Lb1ELb0EPlSB_ZN2at6native12_GLOBAL__N_124unique_dim_cuda_templateIiEESt5tupleIJNSC_6TensorESH_SH_EERKSH_lbbbEUlllE1_EE10hipError_tPvRmT2_T3_mT4_P12ihipStream_tbEUlmE_lEESB_NS0_8identityIvEEEESM_SP_SQ_mSR_ST_bEUlT_E_NS1_11comp_targetILNS1_3genE4ELNS1_11target_archE910ELNS1_3gpuE8ELNS1_3repE0EEENS1_30default_config_static_selectorELNS0_4arch9wavefront6targetE1EEEvT1_.kd
    .uniform_work_group_size: 1
    .uses_dynamic_stack: false
    .vgpr_count:     0
    .vgpr_spill_count: 0
    .wavefront_size: 64
  - .agpr_count:     0
    .args:
      - .offset:         0
        .size:           56
        .value_kind:     by_value
    .group_segment_fixed_size: 0
    .kernarg_segment_align: 8
    .kernarg_segment_size: 56
    .language:       OpenCL C
    .language_version:
      - 2
      - 0
    .max_flat_workgroup_size: 128
    .name:           _ZN7rocprim17ROCPRIM_400000_NS6detail17trampoline_kernelINS0_14default_configENS1_25transform_config_selectorIlLb0EEEZNS1_14transform_implILb0ES3_S5_NS0_18transform_iteratorINS0_17counting_iteratorImlEEZNS1_24adjacent_difference_implIS3_Lb1ELb0EPlSB_ZN2at6native12_GLOBAL__N_124unique_dim_cuda_templateIiEESt5tupleIJNSC_6TensorESH_SH_EERKSH_lbbbEUlllE1_EE10hipError_tPvRmT2_T3_mT4_P12ihipStream_tbEUlmE_lEESB_NS0_8identityIvEEEESM_SP_SQ_mSR_ST_bEUlT_E_NS1_11comp_targetILNS1_3genE3ELNS1_11target_archE908ELNS1_3gpuE7ELNS1_3repE0EEENS1_30default_config_static_selectorELNS0_4arch9wavefront6targetE1EEEvT1_
    .private_segment_fixed_size: 0
    .sgpr_count:     6
    .sgpr_spill_count: 0
    .symbol:         _ZN7rocprim17ROCPRIM_400000_NS6detail17trampoline_kernelINS0_14default_configENS1_25transform_config_selectorIlLb0EEEZNS1_14transform_implILb0ES3_S5_NS0_18transform_iteratorINS0_17counting_iteratorImlEEZNS1_24adjacent_difference_implIS3_Lb1ELb0EPlSB_ZN2at6native12_GLOBAL__N_124unique_dim_cuda_templateIiEESt5tupleIJNSC_6TensorESH_SH_EERKSH_lbbbEUlllE1_EE10hipError_tPvRmT2_T3_mT4_P12ihipStream_tbEUlmE_lEESB_NS0_8identityIvEEEESM_SP_SQ_mSR_ST_bEUlT_E_NS1_11comp_targetILNS1_3genE3ELNS1_11target_archE908ELNS1_3gpuE7ELNS1_3repE0EEENS1_30default_config_static_selectorELNS0_4arch9wavefront6targetE1EEEvT1_.kd
    .uniform_work_group_size: 1
    .uses_dynamic_stack: false
    .vgpr_count:     0
    .vgpr_spill_count: 0
    .wavefront_size: 64
  - .agpr_count:     0
    .args:
      - .offset:         0
        .size:           56
        .value_kind:     by_value
    .group_segment_fixed_size: 0
    .kernarg_segment_align: 8
    .kernarg_segment_size: 56
    .language:       OpenCL C
    .language_version:
      - 2
      - 0
    .max_flat_workgroup_size: 512
    .name:           _ZN7rocprim17ROCPRIM_400000_NS6detail17trampoline_kernelINS0_14default_configENS1_25transform_config_selectorIlLb0EEEZNS1_14transform_implILb0ES3_S5_NS0_18transform_iteratorINS0_17counting_iteratorImlEEZNS1_24adjacent_difference_implIS3_Lb1ELb0EPlSB_ZN2at6native12_GLOBAL__N_124unique_dim_cuda_templateIiEESt5tupleIJNSC_6TensorESH_SH_EERKSH_lbbbEUlllE1_EE10hipError_tPvRmT2_T3_mT4_P12ihipStream_tbEUlmE_lEESB_NS0_8identityIvEEEESM_SP_SQ_mSR_ST_bEUlT_E_NS1_11comp_targetILNS1_3genE2ELNS1_11target_archE906ELNS1_3gpuE6ELNS1_3repE0EEENS1_30default_config_static_selectorELNS0_4arch9wavefront6targetE1EEEvT1_
    .private_segment_fixed_size: 0
    .sgpr_count:     6
    .sgpr_spill_count: 0
    .symbol:         _ZN7rocprim17ROCPRIM_400000_NS6detail17trampoline_kernelINS0_14default_configENS1_25transform_config_selectorIlLb0EEEZNS1_14transform_implILb0ES3_S5_NS0_18transform_iteratorINS0_17counting_iteratorImlEEZNS1_24adjacent_difference_implIS3_Lb1ELb0EPlSB_ZN2at6native12_GLOBAL__N_124unique_dim_cuda_templateIiEESt5tupleIJNSC_6TensorESH_SH_EERKSH_lbbbEUlllE1_EE10hipError_tPvRmT2_T3_mT4_P12ihipStream_tbEUlmE_lEESB_NS0_8identityIvEEEESM_SP_SQ_mSR_ST_bEUlT_E_NS1_11comp_targetILNS1_3genE2ELNS1_11target_archE906ELNS1_3gpuE6ELNS1_3repE0EEENS1_30default_config_static_selectorELNS0_4arch9wavefront6targetE1EEEvT1_.kd
    .uniform_work_group_size: 1
    .uses_dynamic_stack: false
    .vgpr_count:     0
    .vgpr_spill_count: 0
    .wavefront_size: 64
  - .agpr_count:     0
    .args:
      - .offset:         0
        .size:           56
        .value_kind:     by_value
    .group_segment_fixed_size: 0
    .kernarg_segment_align: 8
    .kernarg_segment_size: 56
    .language:       OpenCL C
    .language_version:
      - 2
      - 0
    .max_flat_workgroup_size: 1024
    .name:           _ZN7rocprim17ROCPRIM_400000_NS6detail17trampoline_kernelINS0_14default_configENS1_25transform_config_selectorIlLb0EEEZNS1_14transform_implILb0ES3_S5_NS0_18transform_iteratorINS0_17counting_iteratorImlEEZNS1_24adjacent_difference_implIS3_Lb1ELb0EPlSB_ZN2at6native12_GLOBAL__N_124unique_dim_cuda_templateIiEESt5tupleIJNSC_6TensorESH_SH_EERKSH_lbbbEUlllE1_EE10hipError_tPvRmT2_T3_mT4_P12ihipStream_tbEUlmE_lEESB_NS0_8identityIvEEEESM_SP_SQ_mSR_ST_bEUlT_E_NS1_11comp_targetILNS1_3genE10ELNS1_11target_archE1201ELNS1_3gpuE5ELNS1_3repE0EEENS1_30default_config_static_selectorELNS0_4arch9wavefront6targetE1EEEvT1_
    .private_segment_fixed_size: 0
    .sgpr_count:     6
    .sgpr_spill_count: 0
    .symbol:         _ZN7rocprim17ROCPRIM_400000_NS6detail17trampoline_kernelINS0_14default_configENS1_25transform_config_selectorIlLb0EEEZNS1_14transform_implILb0ES3_S5_NS0_18transform_iteratorINS0_17counting_iteratorImlEEZNS1_24adjacent_difference_implIS3_Lb1ELb0EPlSB_ZN2at6native12_GLOBAL__N_124unique_dim_cuda_templateIiEESt5tupleIJNSC_6TensorESH_SH_EERKSH_lbbbEUlllE1_EE10hipError_tPvRmT2_T3_mT4_P12ihipStream_tbEUlmE_lEESB_NS0_8identityIvEEEESM_SP_SQ_mSR_ST_bEUlT_E_NS1_11comp_targetILNS1_3genE10ELNS1_11target_archE1201ELNS1_3gpuE5ELNS1_3repE0EEENS1_30default_config_static_selectorELNS0_4arch9wavefront6targetE1EEEvT1_.kd
    .uniform_work_group_size: 1
    .uses_dynamic_stack: false
    .vgpr_count:     0
    .vgpr_spill_count: 0
    .wavefront_size: 64
  - .agpr_count:     0
    .args:
      - .offset:         0
        .size:           56
        .value_kind:     by_value
    .group_segment_fixed_size: 0
    .kernarg_segment_align: 8
    .kernarg_segment_size: 56
    .language:       OpenCL C
    .language_version:
      - 2
      - 0
    .max_flat_workgroup_size: 512
    .name:           _ZN7rocprim17ROCPRIM_400000_NS6detail17trampoline_kernelINS0_14default_configENS1_25transform_config_selectorIlLb0EEEZNS1_14transform_implILb0ES3_S5_NS0_18transform_iteratorINS0_17counting_iteratorImlEEZNS1_24adjacent_difference_implIS3_Lb1ELb0EPlSB_ZN2at6native12_GLOBAL__N_124unique_dim_cuda_templateIiEESt5tupleIJNSC_6TensorESH_SH_EERKSH_lbbbEUlllE1_EE10hipError_tPvRmT2_T3_mT4_P12ihipStream_tbEUlmE_lEESB_NS0_8identityIvEEEESM_SP_SQ_mSR_ST_bEUlT_E_NS1_11comp_targetILNS1_3genE10ELNS1_11target_archE1200ELNS1_3gpuE4ELNS1_3repE0EEENS1_30default_config_static_selectorELNS0_4arch9wavefront6targetE1EEEvT1_
    .private_segment_fixed_size: 0
    .sgpr_count:     6
    .sgpr_spill_count: 0
    .symbol:         _ZN7rocprim17ROCPRIM_400000_NS6detail17trampoline_kernelINS0_14default_configENS1_25transform_config_selectorIlLb0EEEZNS1_14transform_implILb0ES3_S5_NS0_18transform_iteratorINS0_17counting_iteratorImlEEZNS1_24adjacent_difference_implIS3_Lb1ELb0EPlSB_ZN2at6native12_GLOBAL__N_124unique_dim_cuda_templateIiEESt5tupleIJNSC_6TensorESH_SH_EERKSH_lbbbEUlllE1_EE10hipError_tPvRmT2_T3_mT4_P12ihipStream_tbEUlmE_lEESB_NS0_8identityIvEEEESM_SP_SQ_mSR_ST_bEUlT_E_NS1_11comp_targetILNS1_3genE10ELNS1_11target_archE1200ELNS1_3gpuE4ELNS1_3repE0EEENS1_30default_config_static_selectorELNS0_4arch9wavefront6targetE1EEEvT1_.kd
    .uniform_work_group_size: 1
    .uses_dynamic_stack: false
    .vgpr_count:     0
    .vgpr_spill_count: 0
    .wavefront_size: 64
  - .agpr_count:     0
    .args:
      - .offset:         0
        .size:           56
        .value_kind:     by_value
    .group_segment_fixed_size: 0
    .kernarg_segment_align: 8
    .kernarg_segment_size: 56
    .language:       OpenCL C
    .language_version:
      - 2
      - 0
    .max_flat_workgroup_size: 512
    .name:           _ZN7rocprim17ROCPRIM_400000_NS6detail17trampoline_kernelINS0_14default_configENS1_25transform_config_selectorIlLb0EEEZNS1_14transform_implILb0ES3_S5_NS0_18transform_iteratorINS0_17counting_iteratorImlEEZNS1_24adjacent_difference_implIS3_Lb1ELb0EPlSB_ZN2at6native12_GLOBAL__N_124unique_dim_cuda_templateIiEESt5tupleIJNSC_6TensorESH_SH_EERKSH_lbbbEUlllE1_EE10hipError_tPvRmT2_T3_mT4_P12ihipStream_tbEUlmE_lEESB_NS0_8identityIvEEEESM_SP_SQ_mSR_ST_bEUlT_E_NS1_11comp_targetILNS1_3genE9ELNS1_11target_archE1100ELNS1_3gpuE3ELNS1_3repE0EEENS1_30default_config_static_selectorELNS0_4arch9wavefront6targetE1EEEvT1_
    .private_segment_fixed_size: 0
    .sgpr_count:     6
    .sgpr_spill_count: 0
    .symbol:         _ZN7rocprim17ROCPRIM_400000_NS6detail17trampoline_kernelINS0_14default_configENS1_25transform_config_selectorIlLb0EEEZNS1_14transform_implILb0ES3_S5_NS0_18transform_iteratorINS0_17counting_iteratorImlEEZNS1_24adjacent_difference_implIS3_Lb1ELb0EPlSB_ZN2at6native12_GLOBAL__N_124unique_dim_cuda_templateIiEESt5tupleIJNSC_6TensorESH_SH_EERKSH_lbbbEUlllE1_EE10hipError_tPvRmT2_T3_mT4_P12ihipStream_tbEUlmE_lEESB_NS0_8identityIvEEEESM_SP_SQ_mSR_ST_bEUlT_E_NS1_11comp_targetILNS1_3genE9ELNS1_11target_archE1100ELNS1_3gpuE3ELNS1_3repE0EEENS1_30default_config_static_selectorELNS0_4arch9wavefront6targetE1EEEvT1_.kd
    .uniform_work_group_size: 1
    .uses_dynamic_stack: false
    .vgpr_count:     0
    .vgpr_spill_count: 0
    .wavefront_size: 64
  - .agpr_count:     0
    .args:
      - .offset:         0
        .size:           56
        .value_kind:     by_value
    .group_segment_fixed_size: 0
    .kernarg_segment_align: 8
    .kernarg_segment_size: 56
    .language:       OpenCL C
    .language_version:
      - 2
      - 0
    .max_flat_workgroup_size: 512
    .name:           _ZN7rocprim17ROCPRIM_400000_NS6detail17trampoline_kernelINS0_14default_configENS1_25transform_config_selectorIlLb0EEEZNS1_14transform_implILb0ES3_S5_NS0_18transform_iteratorINS0_17counting_iteratorImlEEZNS1_24adjacent_difference_implIS3_Lb1ELb0EPlSB_ZN2at6native12_GLOBAL__N_124unique_dim_cuda_templateIiEESt5tupleIJNSC_6TensorESH_SH_EERKSH_lbbbEUlllE1_EE10hipError_tPvRmT2_T3_mT4_P12ihipStream_tbEUlmE_lEESB_NS0_8identityIvEEEESM_SP_SQ_mSR_ST_bEUlT_E_NS1_11comp_targetILNS1_3genE8ELNS1_11target_archE1030ELNS1_3gpuE2ELNS1_3repE0EEENS1_30default_config_static_selectorELNS0_4arch9wavefront6targetE1EEEvT1_
    .private_segment_fixed_size: 0
    .sgpr_count:     6
    .sgpr_spill_count: 0
    .symbol:         _ZN7rocprim17ROCPRIM_400000_NS6detail17trampoline_kernelINS0_14default_configENS1_25transform_config_selectorIlLb0EEEZNS1_14transform_implILb0ES3_S5_NS0_18transform_iteratorINS0_17counting_iteratorImlEEZNS1_24adjacent_difference_implIS3_Lb1ELb0EPlSB_ZN2at6native12_GLOBAL__N_124unique_dim_cuda_templateIiEESt5tupleIJNSC_6TensorESH_SH_EERKSH_lbbbEUlllE1_EE10hipError_tPvRmT2_T3_mT4_P12ihipStream_tbEUlmE_lEESB_NS0_8identityIvEEEESM_SP_SQ_mSR_ST_bEUlT_E_NS1_11comp_targetILNS1_3genE8ELNS1_11target_archE1030ELNS1_3gpuE2ELNS1_3repE0EEENS1_30default_config_static_selectorELNS0_4arch9wavefront6targetE1EEEvT1_.kd
    .uniform_work_group_size: 1
    .uses_dynamic_stack: false
    .vgpr_count:     0
    .vgpr_spill_count: 0
    .wavefront_size: 64
  - .agpr_count:     0
    .args:
      - .offset:         0
        .size:           64
        .value_kind:     by_value
    .group_segment_fixed_size: 0
    .kernarg_segment_align: 8
    .kernarg_segment_size: 64
    .language:       OpenCL C
    .language_version:
      - 2
      - 0
    .max_flat_workgroup_size: 512
    .name:           _ZN7rocprim17ROCPRIM_400000_NS6detail17trampoline_kernelINS0_14default_configENS1_35adjacent_difference_config_selectorILb1ElEEZNS1_24adjacent_difference_implIS3_Lb1ELb0EPlS7_ZN2at6native12_GLOBAL__N_124unique_dim_cuda_templateIiEESt5tupleIJNS8_6TensorESD_SD_EERKSD_lbbbEUlllE1_EE10hipError_tPvRmT2_T3_mT4_P12ihipStream_tbEUlT_E_NS1_11comp_targetILNS1_3genE0ELNS1_11target_archE4294967295ELNS1_3gpuE0ELNS1_3repE0EEENS1_30default_config_static_selectorELNS0_4arch9wavefront6targetE1EEEvT1_
    .private_segment_fixed_size: 0
    .sgpr_count:     6
    .sgpr_spill_count: 0
    .symbol:         _ZN7rocprim17ROCPRIM_400000_NS6detail17trampoline_kernelINS0_14default_configENS1_35adjacent_difference_config_selectorILb1ElEEZNS1_24adjacent_difference_implIS3_Lb1ELb0EPlS7_ZN2at6native12_GLOBAL__N_124unique_dim_cuda_templateIiEESt5tupleIJNS8_6TensorESD_SD_EERKSD_lbbbEUlllE1_EE10hipError_tPvRmT2_T3_mT4_P12ihipStream_tbEUlT_E_NS1_11comp_targetILNS1_3genE0ELNS1_11target_archE4294967295ELNS1_3gpuE0ELNS1_3repE0EEENS1_30default_config_static_selectorELNS0_4arch9wavefront6targetE1EEEvT1_.kd
    .uniform_work_group_size: 1
    .uses_dynamic_stack: false
    .vgpr_count:     0
    .vgpr_spill_count: 0
    .wavefront_size: 64
  - .agpr_count:     0
    .args:
      - .offset:         0
        .size:           64
        .value_kind:     by_value
    .group_segment_fixed_size: 0
    .kernarg_segment_align: 8
    .kernarg_segment_size: 64
    .language:       OpenCL C
    .language_version:
      - 2
      - 0
    .max_flat_workgroup_size: 32
    .name:           _ZN7rocprim17ROCPRIM_400000_NS6detail17trampoline_kernelINS0_14default_configENS1_35adjacent_difference_config_selectorILb1ElEEZNS1_24adjacent_difference_implIS3_Lb1ELb0EPlS7_ZN2at6native12_GLOBAL__N_124unique_dim_cuda_templateIiEESt5tupleIJNS8_6TensorESD_SD_EERKSD_lbbbEUlllE1_EE10hipError_tPvRmT2_T3_mT4_P12ihipStream_tbEUlT_E_NS1_11comp_targetILNS1_3genE10ELNS1_11target_archE1201ELNS1_3gpuE5ELNS1_3repE0EEENS1_30default_config_static_selectorELNS0_4arch9wavefront6targetE1EEEvT1_
    .private_segment_fixed_size: 0
    .sgpr_count:     6
    .sgpr_spill_count: 0
    .symbol:         _ZN7rocprim17ROCPRIM_400000_NS6detail17trampoline_kernelINS0_14default_configENS1_35adjacent_difference_config_selectorILb1ElEEZNS1_24adjacent_difference_implIS3_Lb1ELb0EPlS7_ZN2at6native12_GLOBAL__N_124unique_dim_cuda_templateIiEESt5tupleIJNS8_6TensorESD_SD_EERKSD_lbbbEUlllE1_EE10hipError_tPvRmT2_T3_mT4_P12ihipStream_tbEUlT_E_NS1_11comp_targetILNS1_3genE10ELNS1_11target_archE1201ELNS1_3gpuE5ELNS1_3repE0EEENS1_30default_config_static_selectorELNS0_4arch9wavefront6targetE1EEEvT1_.kd
    .uniform_work_group_size: 1
    .uses_dynamic_stack: false
    .vgpr_count:     0
    .vgpr_spill_count: 0
    .wavefront_size: 64
  - .agpr_count:     0
    .args:
      - .offset:         0
        .size:           64
        .value_kind:     by_value
    .group_segment_fixed_size: 22528
    .kernarg_segment_align: 8
    .kernarg_segment_size: 64
    .language:       OpenCL C
    .language_version:
      - 2
      - 0
    .max_flat_workgroup_size: 256
    .name:           _ZN7rocprim17ROCPRIM_400000_NS6detail17trampoline_kernelINS0_14default_configENS1_35adjacent_difference_config_selectorILb1ElEEZNS1_24adjacent_difference_implIS3_Lb1ELb0EPlS7_ZN2at6native12_GLOBAL__N_124unique_dim_cuda_templateIiEESt5tupleIJNS8_6TensorESD_SD_EERKSD_lbbbEUlllE1_EE10hipError_tPvRmT2_T3_mT4_P12ihipStream_tbEUlT_E_NS1_11comp_targetILNS1_3genE5ELNS1_11target_archE942ELNS1_3gpuE9ELNS1_3repE0EEENS1_30default_config_static_selectorELNS0_4arch9wavefront6targetE1EEEvT1_
    .private_segment_fixed_size: 0
    .sgpr_count:     44
    .sgpr_spill_count: 0
    .symbol:         _ZN7rocprim17ROCPRIM_400000_NS6detail17trampoline_kernelINS0_14default_configENS1_35adjacent_difference_config_selectorILb1ElEEZNS1_24adjacent_difference_implIS3_Lb1ELb0EPlS7_ZN2at6native12_GLOBAL__N_124unique_dim_cuda_templateIiEESt5tupleIJNS8_6TensorESD_SD_EERKSD_lbbbEUlllE1_EE10hipError_tPvRmT2_T3_mT4_P12ihipStream_tbEUlT_E_NS1_11comp_targetILNS1_3genE5ELNS1_11target_archE942ELNS1_3gpuE9ELNS1_3repE0EEENS1_30default_config_static_selectorELNS0_4arch9wavefront6targetE1EEEvT1_.kd
    .uniform_work_group_size: 1
    .uses_dynamic_stack: false
    .vgpr_count:     70
    .vgpr_spill_count: 0
    .wavefront_size: 64
  - .agpr_count:     0
    .args:
      - .offset:         0
        .size:           64
        .value_kind:     by_value
    .group_segment_fixed_size: 0
    .kernarg_segment_align: 8
    .kernarg_segment_size: 64
    .language:       OpenCL C
    .language_version:
      - 2
      - 0
    .max_flat_workgroup_size: 512
    .name:           _ZN7rocprim17ROCPRIM_400000_NS6detail17trampoline_kernelINS0_14default_configENS1_35adjacent_difference_config_selectorILb1ElEEZNS1_24adjacent_difference_implIS3_Lb1ELb0EPlS7_ZN2at6native12_GLOBAL__N_124unique_dim_cuda_templateIiEESt5tupleIJNS8_6TensorESD_SD_EERKSD_lbbbEUlllE1_EE10hipError_tPvRmT2_T3_mT4_P12ihipStream_tbEUlT_E_NS1_11comp_targetILNS1_3genE4ELNS1_11target_archE910ELNS1_3gpuE8ELNS1_3repE0EEENS1_30default_config_static_selectorELNS0_4arch9wavefront6targetE1EEEvT1_
    .private_segment_fixed_size: 0
    .sgpr_count:     6
    .sgpr_spill_count: 0
    .symbol:         _ZN7rocprim17ROCPRIM_400000_NS6detail17trampoline_kernelINS0_14default_configENS1_35adjacent_difference_config_selectorILb1ElEEZNS1_24adjacent_difference_implIS3_Lb1ELb0EPlS7_ZN2at6native12_GLOBAL__N_124unique_dim_cuda_templateIiEESt5tupleIJNS8_6TensorESD_SD_EERKSD_lbbbEUlllE1_EE10hipError_tPvRmT2_T3_mT4_P12ihipStream_tbEUlT_E_NS1_11comp_targetILNS1_3genE4ELNS1_11target_archE910ELNS1_3gpuE8ELNS1_3repE0EEENS1_30default_config_static_selectorELNS0_4arch9wavefront6targetE1EEEvT1_.kd
    .uniform_work_group_size: 1
    .uses_dynamic_stack: false
    .vgpr_count:     0
    .vgpr_spill_count: 0
    .wavefront_size: 64
  - .agpr_count:     0
    .args:
      - .offset:         0
        .size:           64
        .value_kind:     by_value
    .group_segment_fixed_size: 0
    .kernarg_segment_align: 8
    .kernarg_segment_size: 64
    .language:       OpenCL C
    .language_version:
      - 2
      - 0
    .max_flat_workgroup_size: 512
    .name:           _ZN7rocprim17ROCPRIM_400000_NS6detail17trampoline_kernelINS0_14default_configENS1_35adjacent_difference_config_selectorILb1ElEEZNS1_24adjacent_difference_implIS3_Lb1ELb0EPlS7_ZN2at6native12_GLOBAL__N_124unique_dim_cuda_templateIiEESt5tupleIJNS8_6TensorESD_SD_EERKSD_lbbbEUlllE1_EE10hipError_tPvRmT2_T3_mT4_P12ihipStream_tbEUlT_E_NS1_11comp_targetILNS1_3genE3ELNS1_11target_archE908ELNS1_3gpuE7ELNS1_3repE0EEENS1_30default_config_static_selectorELNS0_4arch9wavefront6targetE1EEEvT1_
    .private_segment_fixed_size: 0
    .sgpr_count:     6
    .sgpr_spill_count: 0
    .symbol:         _ZN7rocprim17ROCPRIM_400000_NS6detail17trampoline_kernelINS0_14default_configENS1_35adjacent_difference_config_selectorILb1ElEEZNS1_24adjacent_difference_implIS3_Lb1ELb0EPlS7_ZN2at6native12_GLOBAL__N_124unique_dim_cuda_templateIiEESt5tupleIJNS8_6TensorESD_SD_EERKSD_lbbbEUlllE1_EE10hipError_tPvRmT2_T3_mT4_P12ihipStream_tbEUlT_E_NS1_11comp_targetILNS1_3genE3ELNS1_11target_archE908ELNS1_3gpuE7ELNS1_3repE0EEENS1_30default_config_static_selectorELNS0_4arch9wavefront6targetE1EEEvT1_.kd
    .uniform_work_group_size: 1
    .uses_dynamic_stack: false
    .vgpr_count:     0
    .vgpr_spill_count: 0
    .wavefront_size: 64
  - .agpr_count:     0
    .args:
      - .offset:         0
        .size:           64
        .value_kind:     by_value
    .group_segment_fixed_size: 0
    .kernarg_segment_align: 8
    .kernarg_segment_size: 64
    .language:       OpenCL C
    .language_version:
      - 2
      - 0
    .max_flat_workgroup_size: 128
    .name:           _ZN7rocprim17ROCPRIM_400000_NS6detail17trampoline_kernelINS0_14default_configENS1_35adjacent_difference_config_selectorILb1ElEEZNS1_24adjacent_difference_implIS3_Lb1ELb0EPlS7_ZN2at6native12_GLOBAL__N_124unique_dim_cuda_templateIiEESt5tupleIJNS8_6TensorESD_SD_EERKSD_lbbbEUlllE1_EE10hipError_tPvRmT2_T3_mT4_P12ihipStream_tbEUlT_E_NS1_11comp_targetILNS1_3genE2ELNS1_11target_archE906ELNS1_3gpuE6ELNS1_3repE0EEENS1_30default_config_static_selectorELNS0_4arch9wavefront6targetE1EEEvT1_
    .private_segment_fixed_size: 0
    .sgpr_count:     6
    .sgpr_spill_count: 0
    .symbol:         _ZN7rocprim17ROCPRIM_400000_NS6detail17trampoline_kernelINS0_14default_configENS1_35adjacent_difference_config_selectorILb1ElEEZNS1_24adjacent_difference_implIS3_Lb1ELb0EPlS7_ZN2at6native12_GLOBAL__N_124unique_dim_cuda_templateIiEESt5tupleIJNS8_6TensorESD_SD_EERKSD_lbbbEUlllE1_EE10hipError_tPvRmT2_T3_mT4_P12ihipStream_tbEUlT_E_NS1_11comp_targetILNS1_3genE2ELNS1_11target_archE906ELNS1_3gpuE6ELNS1_3repE0EEENS1_30default_config_static_selectorELNS0_4arch9wavefront6targetE1EEEvT1_.kd
    .uniform_work_group_size: 1
    .uses_dynamic_stack: false
    .vgpr_count:     0
    .vgpr_spill_count: 0
    .wavefront_size: 64
  - .agpr_count:     0
    .args:
      - .offset:         0
        .size:           64
        .value_kind:     by_value
    .group_segment_fixed_size: 0
    .kernarg_segment_align: 8
    .kernarg_segment_size: 64
    .language:       OpenCL C
    .language_version:
      - 2
      - 0
    .max_flat_workgroup_size: 128
    .name:           _ZN7rocprim17ROCPRIM_400000_NS6detail17trampoline_kernelINS0_14default_configENS1_35adjacent_difference_config_selectorILb1ElEEZNS1_24adjacent_difference_implIS3_Lb1ELb0EPlS7_ZN2at6native12_GLOBAL__N_124unique_dim_cuda_templateIiEESt5tupleIJNS8_6TensorESD_SD_EERKSD_lbbbEUlllE1_EE10hipError_tPvRmT2_T3_mT4_P12ihipStream_tbEUlT_E_NS1_11comp_targetILNS1_3genE9ELNS1_11target_archE1100ELNS1_3gpuE3ELNS1_3repE0EEENS1_30default_config_static_selectorELNS0_4arch9wavefront6targetE1EEEvT1_
    .private_segment_fixed_size: 0
    .sgpr_count:     6
    .sgpr_spill_count: 0
    .symbol:         _ZN7rocprim17ROCPRIM_400000_NS6detail17trampoline_kernelINS0_14default_configENS1_35adjacent_difference_config_selectorILb1ElEEZNS1_24adjacent_difference_implIS3_Lb1ELb0EPlS7_ZN2at6native12_GLOBAL__N_124unique_dim_cuda_templateIiEESt5tupleIJNS8_6TensorESD_SD_EERKSD_lbbbEUlllE1_EE10hipError_tPvRmT2_T3_mT4_P12ihipStream_tbEUlT_E_NS1_11comp_targetILNS1_3genE9ELNS1_11target_archE1100ELNS1_3gpuE3ELNS1_3repE0EEENS1_30default_config_static_selectorELNS0_4arch9wavefront6targetE1EEEvT1_.kd
    .uniform_work_group_size: 1
    .uses_dynamic_stack: false
    .vgpr_count:     0
    .vgpr_spill_count: 0
    .wavefront_size: 64
  - .agpr_count:     0
    .args:
      - .offset:         0
        .size:           64
        .value_kind:     by_value
    .group_segment_fixed_size: 0
    .kernarg_segment_align: 8
    .kernarg_segment_size: 64
    .language:       OpenCL C
    .language_version:
      - 2
      - 0
    .max_flat_workgroup_size: 32
    .name:           _ZN7rocprim17ROCPRIM_400000_NS6detail17trampoline_kernelINS0_14default_configENS1_35adjacent_difference_config_selectorILb1ElEEZNS1_24adjacent_difference_implIS3_Lb1ELb0EPlS7_ZN2at6native12_GLOBAL__N_124unique_dim_cuda_templateIiEESt5tupleIJNS8_6TensorESD_SD_EERKSD_lbbbEUlllE1_EE10hipError_tPvRmT2_T3_mT4_P12ihipStream_tbEUlT_E_NS1_11comp_targetILNS1_3genE8ELNS1_11target_archE1030ELNS1_3gpuE2ELNS1_3repE0EEENS1_30default_config_static_selectorELNS0_4arch9wavefront6targetE1EEEvT1_
    .private_segment_fixed_size: 0
    .sgpr_count:     6
    .sgpr_spill_count: 0
    .symbol:         _ZN7rocprim17ROCPRIM_400000_NS6detail17trampoline_kernelINS0_14default_configENS1_35adjacent_difference_config_selectorILb1ElEEZNS1_24adjacent_difference_implIS3_Lb1ELb0EPlS7_ZN2at6native12_GLOBAL__N_124unique_dim_cuda_templateIiEESt5tupleIJNS8_6TensorESD_SD_EERKSD_lbbbEUlllE1_EE10hipError_tPvRmT2_T3_mT4_P12ihipStream_tbEUlT_E_NS1_11comp_targetILNS1_3genE8ELNS1_11target_archE1030ELNS1_3gpuE2ELNS1_3repE0EEENS1_30default_config_static_selectorELNS0_4arch9wavefront6targetE1EEEvT1_.kd
    .uniform_work_group_size: 1
    .uses_dynamic_stack: false
    .vgpr_count:     0
    .vgpr_spill_count: 0
    .wavefront_size: 64
  - .agpr_count:     0
    .args:
      - .offset:         0
        .size:           120
        .value_kind:     by_value
    .group_segment_fixed_size: 0
    .kernarg_segment_align: 8
    .kernarg_segment_size: 120
    .language:       OpenCL C
    .language_version:
      - 2
      - 0
    .max_flat_workgroup_size: 512
    .name:           _ZN7rocprim17ROCPRIM_400000_NS6detail17trampoline_kernelINS0_14default_configENS1_25partition_config_selectorILNS1_17partition_subalgoE8ElNS0_10empty_typeEbEEZZNS1_14partition_implILS5_8ELb0ES3_jPlPS6_PKS6_NS0_5tupleIJS9_S6_EEENSD_IJSA_SA_EEENS0_18inequality_wrapperIZN2at6native12_GLOBAL__N_124unique_dim_cuda_templateIiEESt5tupleIJNSH_6TensorESM_SM_EERKSM_lbbbEUlllE0_EEPmJS6_EEE10hipError_tPvRmT3_T4_T5_T6_T7_T9_mT8_P12ihipStream_tbDpT10_ENKUlT_T0_E_clISt17integral_constantIbLb0EES1C_EEDaS17_S18_EUlS17_E_NS1_11comp_targetILNS1_3genE0ELNS1_11target_archE4294967295ELNS1_3gpuE0ELNS1_3repE0EEENS1_30default_config_static_selectorELNS0_4arch9wavefront6targetE1EEEvT1_
    .private_segment_fixed_size: 0
    .sgpr_count:     6
    .sgpr_spill_count: 0
    .symbol:         _ZN7rocprim17ROCPRIM_400000_NS6detail17trampoline_kernelINS0_14default_configENS1_25partition_config_selectorILNS1_17partition_subalgoE8ElNS0_10empty_typeEbEEZZNS1_14partition_implILS5_8ELb0ES3_jPlPS6_PKS6_NS0_5tupleIJS9_S6_EEENSD_IJSA_SA_EEENS0_18inequality_wrapperIZN2at6native12_GLOBAL__N_124unique_dim_cuda_templateIiEESt5tupleIJNSH_6TensorESM_SM_EERKSM_lbbbEUlllE0_EEPmJS6_EEE10hipError_tPvRmT3_T4_T5_T6_T7_T9_mT8_P12ihipStream_tbDpT10_ENKUlT_T0_E_clISt17integral_constantIbLb0EES1C_EEDaS17_S18_EUlS17_E_NS1_11comp_targetILNS1_3genE0ELNS1_11target_archE4294967295ELNS1_3gpuE0ELNS1_3repE0EEENS1_30default_config_static_selectorELNS0_4arch9wavefront6targetE1EEEvT1_.kd
    .uniform_work_group_size: 1
    .uses_dynamic_stack: false
    .vgpr_count:     0
    .vgpr_spill_count: 0
    .wavefront_size: 64
  - .agpr_count:     0
    .args:
      - .offset:         0
        .size:           120
        .value_kind:     by_value
    .group_segment_fixed_size: 28684
    .kernarg_segment_align: 8
    .kernarg_segment_size: 120
    .language:       OpenCL C
    .language_version:
      - 2
      - 0
    .max_flat_workgroup_size: 512
    .name:           _ZN7rocprim17ROCPRIM_400000_NS6detail17trampoline_kernelINS0_14default_configENS1_25partition_config_selectorILNS1_17partition_subalgoE8ElNS0_10empty_typeEbEEZZNS1_14partition_implILS5_8ELb0ES3_jPlPS6_PKS6_NS0_5tupleIJS9_S6_EEENSD_IJSA_SA_EEENS0_18inequality_wrapperIZN2at6native12_GLOBAL__N_124unique_dim_cuda_templateIiEESt5tupleIJNSH_6TensorESM_SM_EERKSM_lbbbEUlllE0_EEPmJS6_EEE10hipError_tPvRmT3_T4_T5_T6_T7_T9_mT8_P12ihipStream_tbDpT10_ENKUlT_T0_E_clISt17integral_constantIbLb0EES1C_EEDaS17_S18_EUlS17_E_NS1_11comp_targetILNS1_3genE5ELNS1_11target_archE942ELNS1_3gpuE9ELNS1_3repE0EEENS1_30default_config_static_selectorELNS0_4arch9wavefront6targetE1EEEvT1_
    .private_segment_fixed_size: 0
    .sgpr_count:     58
    .sgpr_spill_count: 0
    .symbol:         _ZN7rocprim17ROCPRIM_400000_NS6detail17trampoline_kernelINS0_14default_configENS1_25partition_config_selectorILNS1_17partition_subalgoE8ElNS0_10empty_typeEbEEZZNS1_14partition_implILS5_8ELb0ES3_jPlPS6_PKS6_NS0_5tupleIJS9_S6_EEENSD_IJSA_SA_EEENS0_18inequality_wrapperIZN2at6native12_GLOBAL__N_124unique_dim_cuda_templateIiEESt5tupleIJNSH_6TensorESM_SM_EERKSM_lbbbEUlllE0_EEPmJS6_EEE10hipError_tPvRmT3_T4_T5_T6_T7_T9_mT8_P12ihipStream_tbDpT10_ENKUlT_T0_E_clISt17integral_constantIbLb0EES1C_EEDaS17_S18_EUlS17_E_NS1_11comp_targetILNS1_3genE5ELNS1_11target_archE942ELNS1_3gpuE9ELNS1_3repE0EEENS1_30default_config_static_selectorELNS0_4arch9wavefront6targetE1EEEvT1_.kd
    .uniform_work_group_size: 1
    .uses_dynamic_stack: false
    .vgpr_count:     52
    .vgpr_spill_count: 0
    .wavefront_size: 64
  - .agpr_count:     0
    .args:
      - .offset:         0
        .size:           120
        .value_kind:     by_value
    .group_segment_fixed_size: 0
    .kernarg_segment_align: 8
    .kernarg_segment_size: 120
    .language:       OpenCL C
    .language_version:
      - 2
      - 0
    .max_flat_workgroup_size: 256
    .name:           _ZN7rocprim17ROCPRIM_400000_NS6detail17trampoline_kernelINS0_14default_configENS1_25partition_config_selectorILNS1_17partition_subalgoE8ElNS0_10empty_typeEbEEZZNS1_14partition_implILS5_8ELb0ES3_jPlPS6_PKS6_NS0_5tupleIJS9_S6_EEENSD_IJSA_SA_EEENS0_18inequality_wrapperIZN2at6native12_GLOBAL__N_124unique_dim_cuda_templateIiEESt5tupleIJNSH_6TensorESM_SM_EERKSM_lbbbEUlllE0_EEPmJS6_EEE10hipError_tPvRmT3_T4_T5_T6_T7_T9_mT8_P12ihipStream_tbDpT10_ENKUlT_T0_E_clISt17integral_constantIbLb0EES1C_EEDaS17_S18_EUlS17_E_NS1_11comp_targetILNS1_3genE4ELNS1_11target_archE910ELNS1_3gpuE8ELNS1_3repE0EEENS1_30default_config_static_selectorELNS0_4arch9wavefront6targetE1EEEvT1_
    .private_segment_fixed_size: 0
    .sgpr_count:     6
    .sgpr_spill_count: 0
    .symbol:         _ZN7rocprim17ROCPRIM_400000_NS6detail17trampoline_kernelINS0_14default_configENS1_25partition_config_selectorILNS1_17partition_subalgoE8ElNS0_10empty_typeEbEEZZNS1_14partition_implILS5_8ELb0ES3_jPlPS6_PKS6_NS0_5tupleIJS9_S6_EEENSD_IJSA_SA_EEENS0_18inequality_wrapperIZN2at6native12_GLOBAL__N_124unique_dim_cuda_templateIiEESt5tupleIJNSH_6TensorESM_SM_EERKSM_lbbbEUlllE0_EEPmJS6_EEE10hipError_tPvRmT3_T4_T5_T6_T7_T9_mT8_P12ihipStream_tbDpT10_ENKUlT_T0_E_clISt17integral_constantIbLb0EES1C_EEDaS17_S18_EUlS17_E_NS1_11comp_targetILNS1_3genE4ELNS1_11target_archE910ELNS1_3gpuE8ELNS1_3repE0EEENS1_30default_config_static_selectorELNS0_4arch9wavefront6targetE1EEEvT1_.kd
    .uniform_work_group_size: 1
    .uses_dynamic_stack: false
    .vgpr_count:     0
    .vgpr_spill_count: 0
    .wavefront_size: 64
  - .agpr_count:     0
    .args:
      - .offset:         0
        .size:           120
        .value_kind:     by_value
    .group_segment_fixed_size: 0
    .kernarg_segment_align: 8
    .kernarg_segment_size: 120
    .language:       OpenCL C
    .language_version:
      - 2
      - 0
    .max_flat_workgroup_size: 512
    .name:           _ZN7rocprim17ROCPRIM_400000_NS6detail17trampoline_kernelINS0_14default_configENS1_25partition_config_selectorILNS1_17partition_subalgoE8ElNS0_10empty_typeEbEEZZNS1_14partition_implILS5_8ELb0ES3_jPlPS6_PKS6_NS0_5tupleIJS9_S6_EEENSD_IJSA_SA_EEENS0_18inequality_wrapperIZN2at6native12_GLOBAL__N_124unique_dim_cuda_templateIiEESt5tupleIJNSH_6TensorESM_SM_EERKSM_lbbbEUlllE0_EEPmJS6_EEE10hipError_tPvRmT3_T4_T5_T6_T7_T9_mT8_P12ihipStream_tbDpT10_ENKUlT_T0_E_clISt17integral_constantIbLb0EES1C_EEDaS17_S18_EUlS17_E_NS1_11comp_targetILNS1_3genE3ELNS1_11target_archE908ELNS1_3gpuE7ELNS1_3repE0EEENS1_30default_config_static_selectorELNS0_4arch9wavefront6targetE1EEEvT1_
    .private_segment_fixed_size: 0
    .sgpr_count:     6
    .sgpr_spill_count: 0
    .symbol:         _ZN7rocprim17ROCPRIM_400000_NS6detail17trampoline_kernelINS0_14default_configENS1_25partition_config_selectorILNS1_17partition_subalgoE8ElNS0_10empty_typeEbEEZZNS1_14partition_implILS5_8ELb0ES3_jPlPS6_PKS6_NS0_5tupleIJS9_S6_EEENSD_IJSA_SA_EEENS0_18inequality_wrapperIZN2at6native12_GLOBAL__N_124unique_dim_cuda_templateIiEESt5tupleIJNSH_6TensorESM_SM_EERKSM_lbbbEUlllE0_EEPmJS6_EEE10hipError_tPvRmT3_T4_T5_T6_T7_T9_mT8_P12ihipStream_tbDpT10_ENKUlT_T0_E_clISt17integral_constantIbLb0EES1C_EEDaS17_S18_EUlS17_E_NS1_11comp_targetILNS1_3genE3ELNS1_11target_archE908ELNS1_3gpuE7ELNS1_3repE0EEENS1_30default_config_static_selectorELNS0_4arch9wavefront6targetE1EEEvT1_.kd
    .uniform_work_group_size: 1
    .uses_dynamic_stack: false
    .vgpr_count:     0
    .vgpr_spill_count: 0
    .wavefront_size: 64
  - .agpr_count:     0
    .args:
      - .offset:         0
        .size:           120
        .value_kind:     by_value
    .group_segment_fixed_size: 0
    .kernarg_segment_align: 8
    .kernarg_segment_size: 120
    .language:       OpenCL C
    .language_version:
      - 2
      - 0
    .max_flat_workgroup_size: 256
    .name:           _ZN7rocprim17ROCPRIM_400000_NS6detail17trampoline_kernelINS0_14default_configENS1_25partition_config_selectorILNS1_17partition_subalgoE8ElNS0_10empty_typeEbEEZZNS1_14partition_implILS5_8ELb0ES3_jPlPS6_PKS6_NS0_5tupleIJS9_S6_EEENSD_IJSA_SA_EEENS0_18inequality_wrapperIZN2at6native12_GLOBAL__N_124unique_dim_cuda_templateIiEESt5tupleIJNSH_6TensorESM_SM_EERKSM_lbbbEUlllE0_EEPmJS6_EEE10hipError_tPvRmT3_T4_T5_T6_T7_T9_mT8_P12ihipStream_tbDpT10_ENKUlT_T0_E_clISt17integral_constantIbLb0EES1C_EEDaS17_S18_EUlS17_E_NS1_11comp_targetILNS1_3genE2ELNS1_11target_archE906ELNS1_3gpuE6ELNS1_3repE0EEENS1_30default_config_static_selectorELNS0_4arch9wavefront6targetE1EEEvT1_
    .private_segment_fixed_size: 0
    .sgpr_count:     6
    .sgpr_spill_count: 0
    .symbol:         _ZN7rocprim17ROCPRIM_400000_NS6detail17trampoline_kernelINS0_14default_configENS1_25partition_config_selectorILNS1_17partition_subalgoE8ElNS0_10empty_typeEbEEZZNS1_14partition_implILS5_8ELb0ES3_jPlPS6_PKS6_NS0_5tupleIJS9_S6_EEENSD_IJSA_SA_EEENS0_18inequality_wrapperIZN2at6native12_GLOBAL__N_124unique_dim_cuda_templateIiEESt5tupleIJNSH_6TensorESM_SM_EERKSM_lbbbEUlllE0_EEPmJS6_EEE10hipError_tPvRmT3_T4_T5_T6_T7_T9_mT8_P12ihipStream_tbDpT10_ENKUlT_T0_E_clISt17integral_constantIbLb0EES1C_EEDaS17_S18_EUlS17_E_NS1_11comp_targetILNS1_3genE2ELNS1_11target_archE906ELNS1_3gpuE6ELNS1_3repE0EEENS1_30default_config_static_selectorELNS0_4arch9wavefront6targetE1EEEvT1_.kd
    .uniform_work_group_size: 1
    .uses_dynamic_stack: false
    .vgpr_count:     0
    .vgpr_spill_count: 0
    .wavefront_size: 64
  - .agpr_count:     0
    .args:
      - .offset:         0
        .size:           120
        .value_kind:     by_value
    .group_segment_fixed_size: 0
    .kernarg_segment_align: 8
    .kernarg_segment_size: 120
    .language:       OpenCL C
    .language_version:
      - 2
      - 0
    .max_flat_workgroup_size: 384
    .name:           _ZN7rocprim17ROCPRIM_400000_NS6detail17trampoline_kernelINS0_14default_configENS1_25partition_config_selectorILNS1_17partition_subalgoE8ElNS0_10empty_typeEbEEZZNS1_14partition_implILS5_8ELb0ES3_jPlPS6_PKS6_NS0_5tupleIJS9_S6_EEENSD_IJSA_SA_EEENS0_18inequality_wrapperIZN2at6native12_GLOBAL__N_124unique_dim_cuda_templateIiEESt5tupleIJNSH_6TensorESM_SM_EERKSM_lbbbEUlllE0_EEPmJS6_EEE10hipError_tPvRmT3_T4_T5_T6_T7_T9_mT8_P12ihipStream_tbDpT10_ENKUlT_T0_E_clISt17integral_constantIbLb0EES1C_EEDaS17_S18_EUlS17_E_NS1_11comp_targetILNS1_3genE10ELNS1_11target_archE1200ELNS1_3gpuE4ELNS1_3repE0EEENS1_30default_config_static_selectorELNS0_4arch9wavefront6targetE1EEEvT1_
    .private_segment_fixed_size: 0
    .sgpr_count:     6
    .sgpr_spill_count: 0
    .symbol:         _ZN7rocprim17ROCPRIM_400000_NS6detail17trampoline_kernelINS0_14default_configENS1_25partition_config_selectorILNS1_17partition_subalgoE8ElNS0_10empty_typeEbEEZZNS1_14partition_implILS5_8ELb0ES3_jPlPS6_PKS6_NS0_5tupleIJS9_S6_EEENSD_IJSA_SA_EEENS0_18inequality_wrapperIZN2at6native12_GLOBAL__N_124unique_dim_cuda_templateIiEESt5tupleIJNSH_6TensorESM_SM_EERKSM_lbbbEUlllE0_EEPmJS6_EEE10hipError_tPvRmT3_T4_T5_T6_T7_T9_mT8_P12ihipStream_tbDpT10_ENKUlT_T0_E_clISt17integral_constantIbLb0EES1C_EEDaS17_S18_EUlS17_E_NS1_11comp_targetILNS1_3genE10ELNS1_11target_archE1200ELNS1_3gpuE4ELNS1_3repE0EEENS1_30default_config_static_selectorELNS0_4arch9wavefront6targetE1EEEvT1_.kd
    .uniform_work_group_size: 1
    .uses_dynamic_stack: false
    .vgpr_count:     0
    .vgpr_spill_count: 0
    .wavefront_size: 64
  - .agpr_count:     0
    .args:
      - .offset:         0
        .size:           120
        .value_kind:     by_value
    .group_segment_fixed_size: 0
    .kernarg_segment_align: 8
    .kernarg_segment_size: 120
    .language:       OpenCL C
    .language_version:
      - 2
      - 0
    .max_flat_workgroup_size: 512
    .name:           _ZN7rocprim17ROCPRIM_400000_NS6detail17trampoline_kernelINS0_14default_configENS1_25partition_config_selectorILNS1_17partition_subalgoE8ElNS0_10empty_typeEbEEZZNS1_14partition_implILS5_8ELb0ES3_jPlPS6_PKS6_NS0_5tupleIJS9_S6_EEENSD_IJSA_SA_EEENS0_18inequality_wrapperIZN2at6native12_GLOBAL__N_124unique_dim_cuda_templateIiEESt5tupleIJNSH_6TensorESM_SM_EERKSM_lbbbEUlllE0_EEPmJS6_EEE10hipError_tPvRmT3_T4_T5_T6_T7_T9_mT8_P12ihipStream_tbDpT10_ENKUlT_T0_E_clISt17integral_constantIbLb0EES1C_EEDaS17_S18_EUlS17_E_NS1_11comp_targetILNS1_3genE9ELNS1_11target_archE1100ELNS1_3gpuE3ELNS1_3repE0EEENS1_30default_config_static_selectorELNS0_4arch9wavefront6targetE1EEEvT1_
    .private_segment_fixed_size: 0
    .sgpr_count:     6
    .sgpr_spill_count: 0
    .symbol:         _ZN7rocprim17ROCPRIM_400000_NS6detail17trampoline_kernelINS0_14default_configENS1_25partition_config_selectorILNS1_17partition_subalgoE8ElNS0_10empty_typeEbEEZZNS1_14partition_implILS5_8ELb0ES3_jPlPS6_PKS6_NS0_5tupleIJS9_S6_EEENSD_IJSA_SA_EEENS0_18inequality_wrapperIZN2at6native12_GLOBAL__N_124unique_dim_cuda_templateIiEESt5tupleIJNSH_6TensorESM_SM_EERKSM_lbbbEUlllE0_EEPmJS6_EEE10hipError_tPvRmT3_T4_T5_T6_T7_T9_mT8_P12ihipStream_tbDpT10_ENKUlT_T0_E_clISt17integral_constantIbLb0EES1C_EEDaS17_S18_EUlS17_E_NS1_11comp_targetILNS1_3genE9ELNS1_11target_archE1100ELNS1_3gpuE3ELNS1_3repE0EEENS1_30default_config_static_selectorELNS0_4arch9wavefront6targetE1EEEvT1_.kd
    .uniform_work_group_size: 1
    .uses_dynamic_stack: false
    .vgpr_count:     0
    .vgpr_spill_count: 0
    .wavefront_size: 64
  - .agpr_count:     0
    .args:
      - .offset:         0
        .size:           120
        .value_kind:     by_value
    .group_segment_fixed_size: 0
    .kernarg_segment_align: 8
    .kernarg_segment_size: 120
    .language:       OpenCL C
    .language_version:
      - 2
      - 0
    .max_flat_workgroup_size: 512
    .name:           _ZN7rocprim17ROCPRIM_400000_NS6detail17trampoline_kernelINS0_14default_configENS1_25partition_config_selectorILNS1_17partition_subalgoE8ElNS0_10empty_typeEbEEZZNS1_14partition_implILS5_8ELb0ES3_jPlPS6_PKS6_NS0_5tupleIJS9_S6_EEENSD_IJSA_SA_EEENS0_18inequality_wrapperIZN2at6native12_GLOBAL__N_124unique_dim_cuda_templateIiEESt5tupleIJNSH_6TensorESM_SM_EERKSM_lbbbEUlllE0_EEPmJS6_EEE10hipError_tPvRmT3_T4_T5_T6_T7_T9_mT8_P12ihipStream_tbDpT10_ENKUlT_T0_E_clISt17integral_constantIbLb0EES1C_EEDaS17_S18_EUlS17_E_NS1_11comp_targetILNS1_3genE8ELNS1_11target_archE1030ELNS1_3gpuE2ELNS1_3repE0EEENS1_30default_config_static_selectorELNS0_4arch9wavefront6targetE1EEEvT1_
    .private_segment_fixed_size: 0
    .sgpr_count:     6
    .sgpr_spill_count: 0
    .symbol:         _ZN7rocprim17ROCPRIM_400000_NS6detail17trampoline_kernelINS0_14default_configENS1_25partition_config_selectorILNS1_17partition_subalgoE8ElNS0_10empty_typeEbEEZZNS1_14partition_implILS5_8ELb0ES3_jPlPS6_PKS6_NS0_5tupleIJS9_S6_EEENSD_IJSA_SA_EEENS0_18inequality_wrapperIZN2at6native12_GLOBAL__N_124unique_dim_cuda_templateIiEESt5tupleIJNSH_6TensorESM_SM_EERKSM_lbbbEUlllE0_EEPmJS6_EEE10hipError_tPvRmT3_T4_T5_T6_T7_T9_mT8_P12ihipStream_tbDpT10_ENKUlT_T0_E_clISt17integral_constantIbLb0EES1C_EEDaS17_S18_EUlS17_E_NS1_11comp_targetILNS1_3genE8ELNS1_11target_archE1030ELNS1_3gpuE2ELNS1_3repE0EEENS1_30default_config_static_selectorELNS0_4arch9wavefront6targetE1EEEvT1_.kd
    .uniform_work_group_size: 1
    .uses_dynamic_stack: false
    .vgpr_count:     0
    .vgpr_spill_count: 0
    .wavefront_size: 64
  - .agpr_count:     0
    .args:
      - .offset:         0
        .size:           136
        .value_kind:     by_value
    .group_segment_fixed_size: 0
    .kernarg_segment_align: 8
    .kernarg_segment_size: 136
    .language:       OpenCL C
    .language_version:
      - 2
      - 0
    .max_flat_workgroup_size: 512
    .name:           _ZN7rocprim17ROCPRIM_400000_NS6detail17trampoline_kernelINS0_14default_configENS1_25partition_config_selectorILNS1_17partition_subalgoE8ElNS0_10empty_typeEbEEZZNS1_14partition_implILS5_8ELb0ES3_jPlPS6_PKS6_NS0_5tupleIJS9_S6_EEENSD_IJSA_SA_EEENS0_18inequality_wrapperIZN2at6native12_GLOBAL__N_124unique_dim_cuda_templateIiEESt5tupleIJNSH_6TensorESM_SM_EERKSM_lbbbEUlllE0_EEPmJS6_EEE10hipError_tPvRmT3_T4_T5_T6_T7_T9_mT8_P12ihipStream_tbDpT10_ENKUlT_T0_E_clISt17integral_constantIbLb1EES1C_EEDaS17_S18_EUlS17_E_NS1_11comp_targetILNS1_3genE0ELNS1_11target_archE4294967295ELNS1_3gpuE0ELNS1_3repE0EEENS1_30default_config_static_selectorELNS0_4arch9wavefront6targetE1EEEvT1_
    .private_segment_fixed_size: 0
    .sgpr_count:     6
    .sgpr_spill_count: 0
    .symbol:         _ZN7rocprim17ROCPRIM_400000_NS6detail17trampoline_kernelINS0_14default_configENS1_25partition_config_selectorILNS1_17partition_subalgoE8ElNS0_10empty_typeEbEEZZNS1_14partition_implILS5_8ELb0ES3_jPlPS6_PKS6_NS0_5tupleIJS9_S6_EEENSD_IJSA_SA_EEENS0_18inequality_wrapperIZN2at6native12_GLOBAL__N_124unique_dim_cuda_templateIiEESt5tupleIJNSH_6TensorESM_SM_EERKSM_lbbbEUlllE0_EEPmJS6_EEE10hipError_tPvRmT3_T4_T5_T6_T7_T9_mT8_P12ihipStream_tbDpT10_ENKUlT_T0_E_clISt17integral_constantIbLb1EES1C_EEDaS17_S18_EUlS17_E_NS1_11comp_targetILNS1_3genE0ELNS1_11target_archE4294967295ELNS1_3gpuE0ELNS1_3repE0EEENS1_30default_config_static_selectorELNS0_4arch9wavefront6targetE1EEEvT1_.kd
    .uniform_work_group_size: 1
    .uses_dynamic_stack: false
    .vgpr_count:     0
    .vgpr_spill_count: 0
    .wavefront_size: 64
  - .agpr_count:     0
    .args:
      - .offset:         0
        .size:           136
        .value_kind:     by_value
    .group_segment_fixed_size: 28684
    .kernarg_segment_align: 8
    .kernarg_segment_size: 136
    .language:       OpenCL C
    .language_version:
      - 2
      - 0
    .max_flat_workgroup_size: 512
    .name:           _ZN7rocprim17ROCPRIM_400000_NS6detail17trampoline_kernelINS0_14default_configENS1_25partition_config_selectorILNS1_17partition_subalgoE8ElNS0_10empty_typeEbEEZZNS1_14partition_implILS5_8ELb0ES3_jPlPS6_PKS6_NS0_5tupleIJS9_S6_EEENSD_IJSA_SA_EEENS0_18inequality_wrapperIZN2at6native12_GLOBAL__N_124unique_dim_cuda_templateIiEESt5tupleIJNSH_6TensorESM_SM_EERKSM_lbbbEUlllE0_EEPmJS6_EEE10hipError_tPvRmT3_T4_T5_T6_T7_T9_mT8_P12ihipStream_tbDpT10_ENKUlT_T0_E_clISt17integral_constantIbLb1EES1C_EEDaS17_S18_EUlS17_E_NS1_11comp_targetILNS1_3genE5ELNS1_11target_archE942ELNS1_3gpuE9ELNS1_3repE0EEENS1_30default_config_static_selectorELNS0_4arch9wavefront6targetE1EEEvT1_
    .private_segment_fixed_size: 0
    .sgpr_count:     62
    .sgpr_spill_count: 0
    .symbol:         _ZN7rocprim17ROCPRIM_400000_NS6detail17trampoline_kernelINS0_14default_configENS1_25partition_config_selectorILNS1_17partition_subalgoE8ElNS0_10empty_typeEbEEZZNS1_14partition_implILS5_8ELb0ES3_jPlPS6_PKS6_NS0_5tupleIJS9_S6_EEENSD_IJSA_SA_EEENS0_18inequality_wrapperIZN2at6native12_GLOBAL__N_124unique_dim_cuda_templateIiEESt5tupleIJNSH_6TensorESM_SM_EERKSM_lbbbEUlllE0_EEPmJS6_EEE10hipError_tPvRmT3_T4_T5_T6_T7_T9_mT8_P12ihipStream_tbDpT10_ENKUlT_T0_E_clISt17integral_constantIbLb1EES1C_EEDaS17_S18_EUlS17_E_NS1_11comp_targetILNS1_3genE5ELNS1_11target_archE942ELNS1_3gpuE9ELNS1_3repE0EEENS1_30default_config_static_selectorELNS0_4arch9wavefront6targetE1EEEvT1_.kd
    .uniform_work_group_size: 1
    .uses_dynamic_stack: false
    .vgpr_count:     52
    .vgpr_spill_count: 0
    .wavefront_size: 64
  - .agpr_count:     0
    .args:
      - .offset:         0
        .size:           136
        .value_kind:     by_value
    .group_segment_fixed_size: 0
    .kernarg_segment_align: 8
    .kernarg_segment_size: 136
    .language:       OpenCL C
    .language_version:
      - 2
      - 0
    .max_flat_workgroup_size: 256
    .name:           _ZN7rocprim17ROCPRIM_400000_NS6detail17trampoline_kernelINS0_14default_configENS1_25partition_config_selectorILNS1_17partition_subalgoE8ElNS0_10empty_typeEbEEZZNS1_14partition_implILS5_8ELb0ES3_jPlPS6_PKS6_NS0_5tupleIJS9_S6_EEENSD_IJSA_SA_EEENS0_18inequality_wrapperIZN2at6native12_GLOBAL__N_124unique_dim_cuda_templateIiEESt5tupleIJNSH_6TensorESM_SM_EERKSM_lbbbEUlllE0_EEPmJS6_EEE10hipError_tPvRmT3_T4_T5_T6_T7_T9_mT8_P12ihipStream_tbDpT10_ENKUlT_T0_E_clISt17integral_constantIbLb1EES1C_EEDaS17_S18_EUlS17_E_NS1_11comp_targetILNS1_3genE4ELNS1_11target_archE910ELNS1_3gpuE8ELNS1_3repE0EEENS1_30default_config_static_selectorELNS0_4arch9wavefront6targetE1EEEvT1_
    .private_segment_fixed_size: 0
    .sgpr_count:     6
    .sgpr_spill_count: 0
    .symbol:         _ZN7rocprim17ROCPRIM_400000_NS6detail17trampoline_kernelINS0_14default_configENS1_25partition_config_selectorILNS1_17partition_subalgoE8ElNS0_10empty_typeEbEEZZNS1_14partition_implILS5_8ELb0ES3_jPlPS6_PKS6_NS0_5tupleIJS9_S6_EEENSD_IJSA_SA_EEENS0_18inequality_wrapperIZN2at6native12_GLOBAL__N_124unique_dim_cuda_templateIiEESt5tupleIJNSH_6TensorESM_SM_EERKSM_lbbbEUlllE0_EEPmJS6_EEE10hipError_tPvRmT3_T4_T5_T6_T7_T9_mT8_P12ihipStream_tbDpT10_ENKUlT_T0_E_clISt17integral_constantIbLb1EES1C_EEDaS17_S18_EUlS17_E_NS1_11comp_targetILNS1_3genE4ELNS1_11target_archE910ELNS1_3gpuE8ELNS1_3repE0EEENS1_30default_config_static_selectorELNS0_4arch9wavefront6targetE1EEEvT1_.kd
    .uniform_work_group_size: 1
    .uses_dynamic_stack: false
    .vgpr_count:     0
    .vgpr_spill_count: 0
    .wavefront_size: 64
  - .agpr_count:     0
    .args:
      - .offset:         0
        .size:           136
        .value_kind:     by_value
    .group_segment_fixed_size: 0
    .kernarg_segment_align: 8
    .kernarg_segment_size: 136
    .language:       OpenCL C
    .language_version:
      - 2
      - 0
    .max_flat_workgroup_size: 512
    .name:           _ZN7rocprim17ROCPRIM_400000_NS6detail17trampoline_kernelINS0_14default_configENS1_25partition_config_selectorILNS1_17partition_subalgoE8ElNS0_10empty_typeEbEEZZNS1_14partition_implILS5_8ELb0ES3_jPlPS6_PKS6_NS0_5tupleIJS9_S6_EEENSD_IJSA_SA_EEENS0_18inequality_wrapperIZN2at6native12_GLOBAL__N_124unique_dim_cuda_templateIiEESt5tupleIJNSH_6TensorESM_SM_EERKSM_lbbbEUlllE0_EEPmJS6_EEE10hipError_tPvRmT3_T4_T5_T6_T7_T9_mT8_P12ihipStream_tbDpT10_ENKUlT_T0_E_clISt17integral_constantIbLb1EES1C_EEDaS17_S18_EUlS17_E_NS1_11comp_targetILNS1_3genE3ELNS1_11target_archE908ELNS1_3gpuE7ELNS1_3repE0EEENS1_30default_config_static_selectorELNS0_4arch9wavefront6targetE1EEEvT1_
    .private_segment_fixed_size: 0
    .sgpr_count:     6
    .sgpr_spill_count: 0
    .symbol:         _ZN7rocprim17ROCPRIM_400000_NS6detail17trampoline_kernelINS0_14default_configENS1_25partition_config_selectorILNS1_17partition_subalgoE8ElNS0_10empty_typeEbEEZZNS1_14partition_implILS5_8ELb0ES3_jPlPS6_PKS6_NS0_5tupleIJS9_S6_EEENSD_IJSA_SA_EEENS0_18inequality_wrapperIZN2at6native12_GLOBAL__N_124unique_dim_cuda_templateIiEESt5tupleIJNSH_6TensorESM_SM_EERKSM_lbbbEUlllE0_EEPmJS6_EEE10hipError_tPvRmT3_T4_T5_T6_T7_T9_mT8_P12ihipStream_tbDpT10_ENKUlT_T0_E_clISt17integral_constantIbLb1EES1C_EEDaS17_S18_EUlS17_E_NS1_11comp_targetILNS1_3genE3ELNS1_11target_archE908ELNS1_3gpuE7ELNS1_3repE0EEENS1_30default_config_static_selectorELNS0_4arch9wavefront6targetE1EEEvT1_.kd
    .uniform_work_group_size: 1
    .uses_dynamic_stack: false
    .vgpr_count:     0
    .vgpr_spill_count: 0
    .wavefront_size: 64
  - .agpr_count:     0
    .args:
      - .offset:         0
        .size:           136
        .value_kind:     by_value
    .group_segment_fixed_size: 0
    .kernarg_segment_align: 8
    .kernarg_segment_size: 136
    .language:       OpenCL C
    .language_version:
      - 2
      - 0
    .max_flat_workgroup_size: 256
    .name:           _ZN7rocprim17ROCPRIM_400000_NS6detail17trampoline_kernelINS0_14default_configENS1_25partition_config_selectorILNS1_17partition_subalgoE8ElNS0_10empty_typeEbEEZZNS1_14partition_implILS5_8ELb0ES3_jPlPS6_PKS6_NS0_5tupleIJS9_S6_EEENSD_IJSA_SA_EEENS0_18inequality_wrapperIZN2at6native12_GLOBAL__N_124unique_dim_cuda_templateIiEESt5tupleIJNSH_6TensorESM_SM_EERKSM_lbbbEUlllE0_EEPmJS6_EEE10hipError_tPvRmT3_T4_T5_T6_T7_T9_mT8_P12ihipStream_tbDpT10_ENKUlT_T0_E_clISt17integral_constantIbLb1EES1C_EEDaS17_S18_EUlS17_E_NS1_11comp_targetILNS1_3genE2ELNS1_11target_archE906ELNS1_3gpuE6ELNS1_3repE0EEENS1_30default_config_static_selectorELNS0_4arch9wavefront6targetE1EEEvT1_
    .private_segment_fixed_size: 0
    .sgpr_count:     6
    .sgpr_spill_count: 0
    .symbol:         _ZN7rocprim17ROCPRIM_400000_NS6detail17trampoline_kernelINS0_14default_configENS1_25partition_config_selectorILNS1_17partition_subalgoE8ElNS0_10empty_typeEbEEZZNS1_14partition_implILS5_8ELb0ES3_jPlPS6_PKS6_NS0_5tupleIJS9_S6_EEENSD_IJSA_SA_EEENS0_18inequality_wrapperIZN2at6native12_GLOBAL__N_124unique_dim_cuda_templateIiEESt5tupleIJNSH_6TensorESM_SM_EERKSM_lbbbEUlllE0_EEPmJS6_EEE10hipError_tPvRmT3_T4_T5_T6_T7_T9_mT8_P12ihipStream_tbDpT10_ENKUlT_T0_E_clISt17integral_constantIbLb1EES1C_EEDaS17_S18_EUlS17_E_NS1_11comp_targetILNS1_3genE2ELNS1_11target_archE906ELNS1_3gpuE6ELNS1_3repE0EEENS1_30default_config_static_selectorELNS0_4arch9wavefront6targetE1EEEvT1_.kd
    .uniform_work_group_size: 1
    .uses_dynamic_stack: false
    .vgpr_count:     0
    .vgpr_spill_count: 0
    .wavefront_size: 64
  - .agpr_count:     0
    .args:
      - .offset:         0
        .size:           136
        .value_kind:     by_value
    .group_segment_fixed_size: 0
    .kernarg_segment_align: 8
    .kernarg_segment_size: 136
    .language:       OpenCL C
    .language_version:
      - 2
      - 0
    .max_flat_workgroup_size: 384
    .name:           _ZN7rocprim17ROCPRIM_400000_NS6detail17trampoline_kernelINS0_14default_configENS1_25partition_config_selectorILNS1_17partition_subalgoE8ElNS0_10empty_typeEbEEZZNS1_14partition_implILS5_8ELb0ES3_jPlPS6_PKS6_NS0_5tupleIJS9_S6_EEENSD_IJSA_SA_EEENS0_18inequality_wrapperIZN2at6native12_GLOBAL__N_124unique_dim_cuda_templateIiEESt5tupleIJNSH_6TensorESM_SM_EERKSM_lbbbEUlllE0_EEPmJS6_EEE10hipError_tPvRmT3_T4_T5_T6_T7_T9_mT8_P12ihipStream_tbDpT10_ENKUlT_T0_E_clISt17integral_constantIbLb1EES1C_EEDaS17_S18_EUlS17_E_NS1_11comp_targetILNS1_3genE10ELNS1_11target_archE1200ELNS1_3gpuE4ELNS1_3repE0EEENS1_30default_config_static_selectorELNS0_4arch9wavefront6targetE1EEEvT1_
    .private_segment_fixed_size: 0
    .sgpr_count:     6
    .sgpr_spill_count: 0
    .symbol:         _ZN7rocprim17ROCPRIM_400000_NS6detail17trampoline_kernelINS0_14default_configENS1_25partition_config_selectorILNS1_17partition_subalgoE8ElNS0_10empty_typeEbEEZZNS1_14partition_implILS5_8ELb0ES3_jPlPS6_PKS6_NS0_5tupleIJS9_S6_EEENSD_IJSA_SA_EEENS0_18inequality_wrapperIZN2at6native12_GLOBAL__N_124unique_dim_cuda_templateIiEESt5tupleIJNSH_6TensorESM_SM_EERKSM_lbbbEUlllE0_EEPmJS6_EEE10hipError_tPvRmT3_T4_T5_T6_T7_T9_mT8_P12ihipStream_tbDpT10_ENKUlT_T0_E_clISt17integral_constantIbLb1EES1C_EEDaS17_S18_EUlS17_E_NS1_11comp_targetILNS1_3genE10ELNS1_11target_archE1200ELNS1_3gpuE4ELNS1_3repE0EEENS1_30default_config_static_selectorELNS0_4arch9wavefront6targetE1EEEvT1_.kd
    .uniform_work_group_size: 1
    .uses_dynamic_stack: false
    .vgpr_count:     0
    .vgpr_spill_count: 0
    .wavefront_size: 64
  - .agpr_count:     0
    .args:
      - .offset:         0
        .size:           136
        .value_kind:     by_value
    .group_segment_fixed_size: 0
    .kernarg_segment_align: 8
    .kernarg_segment_size: 136
    .language:       OpenCL C
    .language_version:
      - 2
      - 0
    .max_flat_workgroup_size: 512
    .name:           _ZN7rocprim17ROCPRIM_400000_NS6detail17trampoline_kernelINS0_14default_configENS1_25partition_config_selectorILNS1_17partition_subalgoE8ElNS0_10empty_typeEbEEZZNS1_14partition_implILS5_8ELb0ES3_jPlPS6_PKS6_NS0_5tupleIJS9_S6_EEENSD_IJSA_SA_EEENS0_18inequality_wrapperIZN2at6native12_GLOBAL__N_124unique_dim_cuda_templateIiEESt5tupleIJNSH_6TensorESM_SM_EERKSM_lbbbEUlllE0_EEPmJS6_EEE10hipError_tPvRmT3_T4_T5_T6_T7_T9_mT8_P12ihipStream_tbDpT10_ENKUlT_T0_E_clISt17integral_constantIbLb1EES1C_EEDaS17_S18_EUlS17_E_NS1_11comp_targetILNS1_3genE9ELNS1_11target_archE1100ELNS1_3gpuE3ELNS1_3repE0EEENS1_30default_config_static_selectorELNS0_4arch9wavefront6targetE1EEEvT1_
    .private_segment_fixed_size: 0
    .sgpr_count:     6
    .sgpr_spill_count: 0
    .symbol:         _ZN7rocprim17ROCPRIM_400000_NS6detail17trampoline_kernelINS0_14default_configENS1_25partition_config_selectorILNS1_17partition_subalgoE8ElNS0_10empty_typeEbEEZZNS1_14partition_implILS5_8ELb0ES3_jPlPS6_PKS6_NS0_5tupleIJS9_S6_EEENSD_IJSA_SA_EEENS0_18inequality_wrapperIZN2at6native12_GLOBAL__N_124unique_dim_cuda_templateIiEESt5tupleIJNSH_6TensorESM_SM_EERKSM_lbbbEUlllE0_EEPmJS6_EEE10hipError_tPvRmT3_T4_T5_T6_T7_T9_mT8_P12ihipStream_tbDpT10_ENKUlT_T0_E_clISt17integral_constantIbLb1EES1C_EEDaS17_S18_EUlS17_E_NS1_11comp_targetILNS1_3genE9ELNS1_11target_archE1100ELNS1_3gpuE3ELNS1_3repE0EEENS1_30default_config_static_selectorELNS0_4arch9wavefront6targetE1EEEvT1_.kd
    .uniform_work_group_size: 1
    .uses_dynamic_stack: false
    .vgpr_count:     0
    .vgpr_spill_count: 0
    .wavefront_size: 64
  - .agpr_count:     0
    .args:
      - .offset:         0
        .size:           136
        .value_kind:     by_value
    .group_segment_fixed_size: 0
    .kernarg_segment_align: 8
    .kernarg_segment_size: 136
    .language:       OpenCL C
    .language_version:
      - 2
      - 0
    .max_flat_workgroup_size: 512
    .name:           _ZN7rocprim17ROCPRIM_400000_NS6detail17trampoline_kernelINS0_14default_configENS1_25partition_config_selectorILNS1_17partition_subalgoE8ElNS0_10empty_typeEbEEZZNS1_14partition_implILS5_8ELb0ES3_jPlPS6_PKS6_NS0_5tupleIJS9_S6_EEENSD_IJSA_SA_EEENS0_18inequality_wrapperIZN2at6native12_GLOBAL__N_124unique_dim_cuda_templateIiEESt5tupleIJNSH_6TensorESM_SM_EERKSM_lbbbEUlllE0_EEPmJS6_EEE10hipError_tPvRmT3_T4_T5_T6_T7_T9_mT8_P12ihipStream_tbDpT10_ENKUlT_T0_E_clISt17integral_constantIbLb1EES1C_EEDaS17_S18_EUlS17_E_NS1_11comp_targetILNS1_3genE8ELNS1_11target_archE1030ELNS1_3gpuE2ELNS1_3repE0EEENS1_30default_config_static_selectorELNS0_4arch9wavefront6targetE1EEEvT1_
    .private_segment_fixed_size: 0
    .sgpr_count:     6
    .sgpr_spill_count: 0
    .symbol:         _ZN7rocprim17ROCPRIM_400000_NS6detail17trampoline_kernelINS0_14default_configENS1_25partition_config_selectorILNS1_17partition_subalgoE8ElNS0_10empty_typeEbEEZZNS1_14partition_implILS5_8ELb0ES3_jPlPS6_PKS6_NS0_5tupleIJS9_S6_EEENSD_IJSA_SA_EEENS0_18inequality_wrapperIZN2at6native12_GLOBAL__N_124unique_dim_cuda_templateIiEESt5tupleIJNSH_6TensorESM_SM_EERKSM_lbbbEUlllE0_EEPmJS6_EEE10hipError_tPvRmT3_T4_T5_T6_T7_T9_mT8_P12ihipStream_tbDpT10_ENKUlT_T0_E_clISt17integral_constantIbLb1EES1C_EEDaS17_S18_EUlS17_E_NS1_11comp_targetILNS1_3genE8ELNS1_11target_archE1030ELNS1_3gpuE2ELNS1_3repE0EEENS1_30default_config_static_selectorELNS0_4arch9wavefront6targetE1EEEvT1_.kd
    .uniform_work_group_size: 1
    .uses_dynamic_stack: false
    .vgpr_count:     0
    .vgpr_spill_count: 0
    .wavefront_size: 64
  - .agpr_count:     0
    .args:
      - .offset:         0
        .size:           120
        .value_kind:     by_value
    .group_segment_fixed_size: 0
    .kernarg_segment_align: 8
    .kernarg_segment_size: 120
    .language:       OpenCL C
    .language_version:
      - 2
      - 0
    .max_flat_workgroup_size: 512
    .name:           _ZN7rocprim17ROCPRIM_400000_NS6detail17trampoline_kernelINS0_14default_configENS1_25partition_config_selectorILNS1_17partition_subalgoE8ElNS0_10empty_typeEbEEZZNS1_14partition_implILS5_8ELb0ES3_jPlPS6_PKS6_NS0_5tupleIJS9_S6_EEENSD_IJSA_SA_EEENS0_18inequality_wrapperIZN2at6native12_GLOBAL__N_124unique_dim_cuda_templateIiEESt5tupleIJNSH_6TensorESM_SM_EERKSM_lbbbEUlllE0_EEPmJS6_EEE10hipError_tPvRmT3_T4_T5_T6_T7_T9_mT8_P12ihipStream_tbDpT10_ENKUlT_T0_E_clISt17integral_constantIbLb1EES1B_IbLb0EEEEDaS17_S18_EUlS17_E_NS1_11comp_targetILNS1_3genE0ELNS1_11target_archE4294967295ELNS1_3gpuE0ELNS1_3repE0EEENS1_30default_config_static_selectorELNS0_4arch9wavefront6targetE1EEEvT1_
    .private_segment_fixed_size: 0
    .sgpr_count:     6
    .sgpr_spill_count: 0
    .symbol:         _ZN7rocprim17ROCPRIM_400000_NS6detail17trampoline_kernelINS0_14default_configENS1_25partition_config_selectorILNS1_17partition_subalgoE8ElNS0_10empty_typeEbEEZZNS1_14partition_implILS5_8ELb0ES3_jPlPS6_PKS6_NS0_5tupleIJS9_S6_EEENSD_IJSA_SA_EEENS0_18inequality_wrapperIZN2at6native12_GLOBAL__N_124unique_dim_cuda_templateIiEESt5tupleIJNSH_6TensorESM_SM_EERKSM_lbbbEUlllE0_EEPmJS6_EEE10hipError_tPvRmT3_T4_T5_T6_T7_T9_mT8_P12ihipStream_tbDpT10_ENKUlT_T0_E_clISt17integral_constantIbLb1EES1B_IbLb0EEEEDaS17_S18_EUlS17_E_NS1_11comp_targetILNS1_3genE0ELNS1_11target_archE4294967295ELNS1_3gpuE0ELNS1_3repE0EEENS1_30default_config_static_selectorELNS0_4arch9wavefront6targetE1EEEvT1_.kd
    .uniform_work_group_size: 1
    .uses_dynamic_stack: false
    .vgpr_count:     0
    .vgpr_spill_count: 0
    .wavefront_size: 64
  - .agpr_count:     0
    .args:
      - .offset:         0
        .size:           120
        .value_kind:     by_value
    .group_segment_fixed_size: 28684
    .kernarg_segment_align: 8
    .kernarg_segment_size: 120
    .language:       OpenCL C
    .language_version:
      - 2
      - 0
    .max_flat_workgroup_size: 512
    .name:           _ZN7rocprim17ROCPRIM_400000_NS6detail17trampoline_kernelINS0_14default_configENS1_25partition_config_selectorILNS1_17partition_subalgoE8ElNS0_10empty_typeEbEEZZNS1_14partition_implILS5_8ELb0ES3_jPlPS6_PKS6_NS0_5tupleIJS9_S6_EEENSD_IJSA_SA_EEENS0_18inequality_wrapperIZN2at6native12_GLOBAL__N_124unique_dim_cuda_templateIiEESt5tupleIJNSH_6TensorESM_SM_EERKSM_lbbbEUlllE0_EEPmJS6_EEE10hipError_tPvRmT3_T4_T5_T6_T7_T9_mT8_P12ihipStream_tbDpT10_ENKUlT_T0_E_clISt17integral_constantIbLb1EES1B_IbLb0EEEEDaS17_S18_EUlS17_E_NS1_11comp_targetILNS1_3genE5ELNS1_11target_archE942ELNS1_3gpuE9ELNS1_3repE0EEENS1_30default_config_static_selectorELNS0_4arch9wavefront6targetE1EEEvT1_
    .private_segment_fixed_size: 0
    .sgpr_count:     58
    .sgpr_spill_count: 0
    .symbol:         _ZN7rocprim17ROCPRIM_400000_NS6detail17trampoline_kernelINS0_14default_configENS1_25partition_config_selectorILNS1_17partition_subalgoE8ElNS0_10empty_typeEbEEZZNS1_14partition_implILS5_8ELb0ES3_jPlPS6_PKS6_NS0_5tupleIJS9_S6_EEENSD_IJSA_SA_EEENS0_18inequality_wrapperIZN2at6native12_GLOBAL__N_124unique_dim_cuda_templateIiEESt5tupleIJNSH_6TensorESM_SM_EERKSM_lbbbEUlllE0_EEPmJS6_EEE10hipError_tPvRmT3_T4_T5_T6_T7_T9_mT8_P12ihipStream_tbDpT10_ENKUlT_T0_E_clISt17integral_constantIbLb1EES1B_IbLb0EEEEDaS17_S18_EUlS17_E_NS1_11comp_targetILNS1_3genE5ELNS1_11target_archE942ELNS1_3gpuE9ELNS1_3repE0EEENS1_30default_config_static_selectorELNS0_4arch9wavefront6targetE1EEEvT1_.kd
    .uniform_work_group_size: 1
    .uses_dynamic_stack: false
    .vgpr_count:     52
    .vgpr_spill_count: 0
    .wavefront_size: 64
  - .agpr_count:     0
    .args:
      - .offset:         0
        .size:           120
        .value_kind:     by_value
    .group_segment_fixed_size: 0
    .kernarg_segment_align: 8
    .kernarg_segment_size: 120
    .language:       OpenCL C
    .language_version:
      - 2
      - 0
    .max_flat_workgroup_size: 256
    .name:           _ZN7rocprim17ROCPRIM_400000_NS6detail17trampoline_kernelINS0_14default_configENS1_25partition_config_selectorILNS1_17partition_subalgoE8ElNS0_10empty_typeEbEEZZNS1_14partition_implILS5_8ELb0ES3_jPlPS6_PKS6_NS0_5tupleIJS9_S6_EEENSD_IJSA_SA_EEENS0_18inequality_wrapperIZN2at6native12_GLOBAL__N_124unique_dim_cuda_templateIiEESt5tupleIJNSH_6TensorESM_SM_EERKSM_lbbbEUlllE0_EEPmJS6_EEE10hipError_tPvRmT3_T4_T5_T6_T7_T9_mT8_P12ihipStream_tbDpT10_ENKUlT_T0_E_clISt17integral_constantIbLb1EES1B_IbLb0EEEEDaS17_S18_EUlS17_E_NS1_11comp_targetILNS1_3genE4ELNS1_11target_archE910ELNS1_3gpuE8ELNS1_3repE0EEENS1_30default_config_static_selectorELNS0_4arch9wavefront6targetE1EEEvT1_
    .private_segment_fixed_size: 0
    .sgpr_count:     6
    .sgpr_spill_count: 0
    .symbol:         _ZN7rocprim17ROCPRIM_400000_NS6detail17trampoline_kernelINS0_14default_configENS1_25partition_config_selectorILNS1_17partition_subalgoE8ElNS0_10empty_typeEbEEZZNS1_14partition_implILS5_8ELb0ES3_jPlPS6_PKS6_NS0_5tupleIJS9_S6_EEENSD_IJSA_SA_EEENS0_18inequality_wrapperIZN2at6native12_GLOBAL__N_124unique_dim_cuda_templateIiEESt5tupleIJNSH_6TensorESM_SM_EERKSM_lbbbEUlllE0_EEPmJS6_EEE10hipError_tPvRmT3_T4_T5_T6_T7_T9_mT8_P12ihipStream_tbDpT10_ENKUlT_T0_E_clISt17integral_constantIbLb1EES1B_IbLb0EEEEDaS17_S18_EUlS17_E_NS1_11comp_targetILNS1_3genE4ELNS1_11target_archE910ELNS1_3gpuE8ELNS1_3repE0EEENS1_30default_config_static_selectorELNS0_4arch9wavefront6targetE1EEEvT1_.kd
    .uniform_work_group_size: 1
    .uses_dynamic_stack: false
    .vgpr_count:     0
    .vgpr_spill_count: 0
    .wavefront_size: 64
  - .agpr_count:     0
    .args:
      - .offset:         0
        .size:           120
        .value_kind:     by_value
    .group_segment_fixed_size: 0
    .kernarg_segment_align: 8
    .kernarg_segment_size: 120
    .language:       OpenCL C
    .language_version:
      - 2
      - 0
    .max_flat_workgroup_size: 512
    .name:           _ZN7rocprim17ROCPRIM_400000_NS6detail17trampoline_kernelINS0_14default_configENS1_25partition_config_selectorILNS1_17partition_subalgoE8ElNS0_10empty_typeEbEEZZNS1_14partition_implILS5_8ELb0ES3_jPlPS6_PKS6_NS0_5tupleIJS9_S6_EEENSD_IJSA_SA_EEENS0_18inequality_wrapperIZN2at6native12_GLOBAL__N_124unique_dim_cuda_templateIiEESt5tupleIJNSH_6TensorESM_SM_EERKSM_lbbbEUlllE0_EEPmJS6_EEE10hipError_tPvRmT3_T4_T5_T6_T7_T9_mT8_P12ihipStream_tbDpT10_ENKUlT_T0_E_clISt17integral_constantIbLb1EES1B_IbLb0EEEEDaS17_S18_EUlS17_E_NS1_11comp_targetILNS1_3genE3ELNS1_11target_archE908ELNS1_3gpuE7ELNS1_3repE0EEENS1_30default_config_static_selectorELNS0_4arch9wavefront6targetE1EEEvT1_
    .private_segment_fixed_size: 0
    .sgpr_count:     6
    .sgpr_spill_count: 0
    .symbol:         _ZN7rocprim17ROCPRIM_400000_NS6detail17trampoline_kernelINS0_14default_configENS1_25partition_config_selectorILNS1_17partition_subalgoE8ElNS0_10empty_typeEbEEZZNS1_14partition_implILS5_8ELb0ES3_jPlPS6_PKS6_NS0_5tupleIJS9_S6_EEENSD_IJSA_SA_EEENS0_18inequality_wrapperIZN2at6native12_GLOBAL__N_124unique_dim_cuda_templateIiEESt5tupleIJNSH_6TensorESM_SM_EERKSM_lbbbEUlllE0_EEPmJS6_EEE10hipError_tPvRmT3_T4_T5_T6_T7_T9_mT8_P12ihipStream_tbDpT10_ENKUlT_T0_E_clISt17integral_constantIbLb1EES1B_IbLb0EEEEDaS17_S18_EUlS17_E_NS1_11comp_targetILNS1_3genE3ELNS1_11target_archE908ELNS1_3gpuE7ELNS1_3repE0EEENS1_30default_config_static_selectorELNS0_4arch9wavefront6targetE1EEEvT1_.kd
    .uniform_work_group_size: 1
    .uses_dynamic_stack: false
    .vgpr_count:     0
    .vgpr_spill_count: 0
    .wavefront_size: 64
  - .agpr_count:     0
    .args:
      - .offset:         0
        .size:           120
        .value_kind:     by_value
    .group_segment_fixed_size: 0
    .kernarg_segment_align: 8
    .kernarg_segment_size: 120
    .language:       OpenCL C
    .language_version:
      - 2
      - 0
    .max_flat_workgroup_size: 256
    .name:           _ZN7rocprim17ROCPRIM_400000_NS6detail17trampoline_kernelINS0_14default_configENS1_25partition_config_selectorILNS1_17partition_subalgoE8ElNS0_10empty_typeEbEEZZNS1_14partition_implILS5_8ELb0ES3_jPlPS6_PKS6_NS0_5tupleIJS9_S6_EEENSD_IJSA_SA_EEENS0_18inequality_wrapperIZN2at6native12_GLOBAL__N_124unique_dim_cuda_templateIiEESt5tupleIJNSH_6TensorESM_SM_EERKSM_lbbbEUlllE0_EEPmJS6_EEE10hipError_tPvRmT3_T4_T5_T6_T7_T9_mT8_P12ihipStream_tbDpT10_ENKUlT_T0_E_clISt17integral_constantIbLb1EES1B_IbLb0EEEEDaS17_S18_EUlS17_E_NS1_11comp_targetILNS1_3genE2ELNS1_11target_archE906ELNS1_3gpuE6ELNS1_3repE0EEENS1_30default_config_static_selectorELNS0_4arch9wavefront6targetE1EEEvT1_
    .private_segment_fixed_size: 0
    .sgpr_count:     6
    .sgpr_spill_count: 0
    .symbol:         _ZN7rocprim17ROCPRIM_400000_NS6detail17trampoline_kernelINS0_14default_configENS1_25partition_config_selectorILNS1_17partition_subalgoE8ElNS0_10empty_typeEbEEZZNS1_14partition_implILS5_8ELb0ES3_jPlPS6_PKS6_NS0_5tupleIJS9_S6_EEENSD_IJSA_SA_EEENS0_18inequality_wrapperIZN2at6native12_GLOBAL__N_124unique_dim_cuda_templateIiEESt5tupleIJNSH_6TensorESM_SM_EERKSM_lbbbEUlllE0_EEPmJS6_EEE10hipError_tPvRmT3_T4_T5_T6_T7_T9_mT8_P12ihipStream_tbDpT10_ENKUlT_T0_E_clISt17integral_constantIbLb1EES1B_IbLb0EEEEDaS17_S18_EUlS17_E_NS1_11comp_targetILNS1_3genE2ELNS1_11target_archE906ELNS1_3gpuE6ELNS1_3repE0EEENS1_30default_config_static_selectorELNS0_4arch9wavefront6targetE1EEEvT1_.kd
    .uniform_work_group_size: 1
    .uses_dynamic_stack: false
    .vgpr_count:     0
    .vgpr_spill_count: 0
    .wavefront_size: 64
  - .agpr_count:     0
    .args:
      - .offset:         0
        .size:           120
        .value_kind:     by_value
    .group_segment_fixed_size: 0
    .kernarg_segment_align: 8
    .kernarg_segment_size: 120
    .language:       OpenCL C
    .language_version:
      - 2
      - 0
    .max_flat_workgroup_size: 384
    .name:           _ZN7rocprim17ROCPRIM_400000_NS6detail17trampoline_kernelINS0_14default_configENS1_25partition_config_selectorILNS1_17partition_subalgoE8ElNS0_10empty_typeEbEEZZNS1_14partition_implILS5_8ELb0ES3_jPlPS6_PKS6_NS0_5tupleIJS9_S6_EEENSD_IJSA_SA_EEENS0_18inequality_wrapperIZN2at6native12_GLOBAL__N_124unique_dim_cuda_templateIiEESt5tupleIJNSH_6TensorESM_SM_EERKSM_lbbbEUlllE0_EEPmJS6_EEE10hipError_tPvRmT3_T4_T5_T6_T7_T9_mT8_P12ihipStream_tbDpT10_ENKUlT_T0_E_clISt17integral_constantIbLb1EES1B_IbLb0EEEEDaS17_S18_EUlS17_E_NS1_11comp_targetILNS1_3genE10ELNS1_11target_archE1200ELNS1_3gpuE4ELNS1_3repE0EEENS1_30default_config_static_selectorELNS0_4arch9wavefront6targetE1EEEvT1_
    .private_segment_fixed_size: 0
    .sgpr_count:     6
    .sgpr_spill_count: 0
    .symbol:         _ZN7rocprim17ROCPRIM_400000_NS6detail17trampoline_kernelINS0_14default_configENS1_25partition_config_selectorILNS1_17partition_subalgoE8ElNS0_10empty_typeEbEEZZNS1_14partition_implILS5_8ELb0ES3_jPlPS6_PKS6_NS0_5tupleIJS9_S6_EEENSD_IJSA_SA_EEENS0_18inequality_wrapperIZN2at6native12_GLOBAL__N_124unique_dim_cuda_templateIiEESt5tupleIJNSH_6TensorESM_SM_EERKSM_lbbbEUlllE0_EEPmJS6_EEE10hipError_tPvRmT3_T4_T5_T6_T7_T9_mT8_P12ihipStream_tbDpT10_ENKUlT_T0_E_clISt17integral_constantIbLb1EES1B_IbLb0EEEEDaS17_S18_EUlS17_E_NS1_11comp_targetILNS1_3genE10ELNS1_11target_archE1200ELNS1_3gpuE4ELNS1_3repE0EEENS1_30default_config_static_selectorELNS0_4arch9wavefront6targetE1EEEvT1_.kd
    .uniform_work_group_size: 1
    .uses_dynamic_stack: false
    .vgpr_count:     0
    .vgpr_spill_count: 0
    .wavefront_size: 64
  - .agpr_count:     0
    .args:
      - .offset:         0
        .size:           120
        .value_kind:     by_value
    .group_segment_fixed_size: 0
    .kernarg_segment_align: 8
    .kernarg_segment_size: 120
    .language:       OpenCL C
    .language_version:
      - 2
      - 0
    .max_flat_workgroup_size: 512
    .name:           _ZN7rocprim17ROCPRIM_400000_NS6detail17trampoline_kernelINS0_14default_configENS1_25partition_config_selectorILNS1_17partition_subalgoE8ElNS0_10empty_typeEbEEZZNS1_14partition_implILS5_8ELb0ES3_jPlPS6_PKS6_NS0_5tupleIJS9_S6_EEENSD_IJSA_SA_EEENS0_18inequality_wrapperIZN2at6native12_GLOBAL__N_124unique_dim_cuda_templateIiEESt5tupleIJNSH_6TensorESM_SM_EERKSM_lbbbEUlllE0_EEPmJS6_EEE10hipError_tPvRmT3_T4_T5_T6_T7_T9_mT8_P12ihipStream_tbDpT10_ENKUlT_T0_E_clISt17integral_constantIbLb1EES1B_IbLb0EEEEDaS17_S18_EUlS17_E_NS1_11comp_targetILNS1_3genE9ELNS1_11target_archE1100ELNS1_3gpuE3ELNS1_3repE0EEENS1_30default_config_static_selectorELNS0_4arch9wavefront6targetE1EEEvT1_
    .private_segment_fixed_size: 0
    .sgpr_count:     6
    .sgpr_spill_count: 0
    .symbol:         _ZN7rocprim17ROCPRIM_400000_NS6detail17trampoline_kernelINS0_14default_configENS1_25partition_config_selectorILNS1_17partition_subalgoE8ElNS0_10empty_typeEbEEZZNS1_14partition_implILS5_8ELb0ES3_jPlPS6_PKS6_NS0_5tupleIJS9_S6_EEENSD_IJSA_SA_EEENS0_18inequality_wrapperIZN2at6native12_GLOBAL__N_124unique_dim_cuda_templateIiEESt5tupleIJNSH_6TensorESM_SM_EERKSM_lbbbEUlllE0_EEPmJS6_EEE10hipError_tPvRmT3_T4_T5_T6_T7_T9_mT8_P12ihipStream_tbDpT10_ENKUlT_T0_E_clISt17integral_constantIbLb1EES1B_IbLb0EEEEDaS17_S18_EUlS17_E_NS1_11comp_targetILNS1_3genE9ELNS1_11target_archE1100ELNS1_3gpuE3ELNS1_3repE0EEENS1_30default_config_static_selectorELNS0_4arch9wavefront6targetE1EEEvT1_.kd
    .uniform_work_group_size: 1
    .uses_dynamic_stack: false
    .vgpr_count:     0
    .vgpr_spill_count: 0
    .wavefront_size: 64
  - .agpr_count:     0
    .args:
      - .offset:         0
        .size:           120
        .value_kind:     by_value
    .group_segment_fixed_size: 0
    .kernarg_segment_align: 8
    .kernarg_segment_size: 120
    .language:       OpenCL C
    .language_version:
      - 2
      - 0
    .max_flat_workgroup_size: 512
    .name:           _ZN7rocprim17ROCPRIM_400000_NS6detail17trampoline_kernelINS0_14default_configENS1_25partition_config_selectorILNS1_17partition_subalgoE8ElNS0_10empty_typeEbEEZZNS1_14partition_implILS5_8ELb0ES3_jPlPS6_PKS6_NS0_5tupleIJS9_S6_EEENSD_IJSA_SA_EEENS0_18inequality_wrapperIZN2at6native12_GLOBAL__N_124unique_dim_cuda_templateIiEESt5tupleIJNSH_6TensorESM_SM_EERKSM_lbbbEUlllE0_EEPmJS6_EEE10hipError_tPvRmT3_T4_T5_T6_T7_T9_mT8_P12ihipStream_tbDpT10_ENKUlT_T0_E_clISt17integral_constantIbLb1EES1B_IbLb0EEEEDaS17_S18_EUlS17_E_NS1_11comp_targetILNS1_3genE8ELNS1_11target_archE1030ELNS1_3gpuE2ELNS1_3repE0EEENS1_30default_config_static_selectorELNS0_4arch9wavefront6targetE1EEEvT1_
    .private_segment_fixed_size: 0
    .sgpr_count:     6
    .sgpr_spill_count: 0
    .symbol:         _ZN7rocprim17ROCPRIM_400000_NS6detail17trampoline_kernelINS0_14default_configENS1_25partition_config_selectorILNS1_17partition_subalgoE8ElNS0_10empty_typeEbEEZZNS1_14partition_implILS5_8ELb0ES3_jPlPS6_PKS6_NS0_5tupleIJS9_S6_EEENSD_IJSA_SA_EEENS0_18inequality_wrapperIZN2at6native12_GLOBAL__N_124unique_dim_cuda_templateIiEESt5tupleIJNSH_6TensorESM_SM_EERKSM_lbbbEUlllE0_EEPmJS6_EEE10hipError_tPvRmT3_T4_T5_T6_T7_T9_mT8_P12ihipStream_tbDpT10_ENKUlT_T0_E_clISt17integral_constantIbLb1EES1B_IbLb0EEEEDaS17_S18_EUlS17_E_NS1_11comp_targetILNS1_3genE8ELNS1_11target_archE1030ELNS1_3gpuE2ELNS1_3repE0EEENS1_30default_config_static_selectorELNS0_4arch9wavefront6targetE1EEEvT1_.kd
    .uniform_work_group_size: 1
    .uses_dynamic_stack: false
    .vgpr_count:     0
    .vgpr_spill_count: 0
    .wavefront_size: 64
  - .agpr_count:     0
    .args:
      - .offset:         0
        .size:           136
        .value_kind:     by_value
    .group_segment_fixed_size: 0
    .kernarg_segment_align: 8
    .kernarg_segment_size: 136
    .language:       OpenCL C
    .language_version:
      - 2
      - 0
    .max_flat_workgroup_size: 512
    .name:           _ZN7rocprim17ROCPRIM_400000_NS6detail17trampoline_kernelINS0_14default_configENS1_25partition_config_selectorILNS1_17partition_subalgoE8ElNS0_10empty_typeEbEEZZNS1_14partition_implILS5_8ELb0ES3_jPlPS6_PKS6_NS0_5tupleIJS9_S6_EEENSD_IJSA_SA_EEENS0_18inequality_wrapperIZN2at6native12_GLOBAL__N_124unique_dim_cuda_templateIiEESt5tupleIJNSH_6TensorESM_SM_EERKSM_lbbbEUlllE0_EEPmJS6_EEE10hipError_tPvRmT3_T4_T5_T6_T7_T9_mT8_P12ihipStream_tbDpT10_ENKUlT_T0_E_clISt17integral_constantIbLb0EES1B_IbLb1EEEEDaS17_S18_EUlS17_E_NS1_11comp_targetILNS1_3genE0ELNS1_11target_archE4294967295ELNS1_3gpuE0ELNS1_3repE0EEENS1_30default_config_static_selectorELNS0_4arch9wavefront6targetE1EEEvT1_
    .private_segment_fixed_size: 0
    .sgpr_count:     6
    .sgpr_spill_count: 0
    .symbol:         _ZN7rocprim17ROCPRIM_400000_NS6detail17trampoline_kernelINS0_14default_configENS1_25partition_config_selectorILNS1_17partition_subalgoE8ElNS0_10empty_typeEbEEZZNS1_14partition_implILS5_8ELb0ES3_jPlPS6_PKS6_NS0_5tupleIJS9_S6_EEENSD_IJSA_SA_EEENS0_18inequality_wrapperIZN2at6native12_GLOBAL__N_124unique_dim_cuda_templateIiEESt5tupleIJNSH_6TensorESM_SM_EERKSM_lbbbEUlllE0_EEPmJS6_EEE10hipError_tPvRmT3_T4_T5_T6_T7_T9_mT8_P12ihipStream_tbDpT10_ENKUlT_T0_E_clISt17integral_constantIbLb0EES1B_IbLb1EEEEDaS17_S18_EUlS17_E_NS1_11comp_targetILNS1_3genE0ELNS1_11target_archE4294967295ELNS1_3gpuE0ELNS1_3repE0EEENS1_30default_config_static_selectorELNS0_4arch9wavefront6targetE1EEEvT1_.kd
    .uniform_work_group_size: 1
    .uses_dynamic_stack: false
    .vgpr_count:     0
    .vgpr_spill_count: 0
    .wavefront_size: 64
  - .agpr_count:     0
    .args:
      - .offset:         0
        .size:           136
        .value_kind:     by_value
    .group_segment_fixed_size: 28684
    .kernarg_segment_align: 8
    .kernarg_segment_size: 136
    .language:       OpenCL C
    .language_version:
      - 2
      - 0
    .max_flat_workgroup_size: 512
    .name:           _ZN7rocprim17ROCPRIM_400000_NS6detail17trampoline_kernelINS0_14default_configENS1_25partition_config_selectorILNS1_17partition_subalgoE8ElNS0_10empty_typeEbEEZZNS1_14partition_implILS5_8ELb0ES3_jPlPS6_PKS6_NS0_5tupleIJS9_S6_EEENSD_IJSA_SA_EEENS0_18inequality_wrapperIZN2at6native12_GLOBAL__N_124unique_dim_cuda_templateIiEESt5tupleIJNSH_6TensorESM_SM_EERKSM_lbbbEUlllE0_EEPmJS6_EEE10hipError_tPvRmT3_T4_T5_T6_T7_T9_mT8_P12ihipStream_tbDpT10_ENKUlT_T0_E_clISt17integral_constantIbLb0EES1B_IbLb1EEEEDaS17_S18_EUlS17_E_NS1_11comp_targetILNS1_3genE5ELNS1_11target_archE942ELNS1_3gpuE9ELNS1_3repE0EEENS1_30default_config_static_selectorELNS0_4arch9wavefront6targetE1EEEvT1_
    .private_segment_fixed_size: 0
    .sgpr_count:     62
    .sgpr_spill_count: 0
    .symbol:         _ZN7rocprim17ROCPRIM_400000_NS6detail17trampoline_kernelINS0_14default_configENS1_25partition_config_selectorILNS1_17partition_subalgoE8ElNS0_10empty_typeEbEEZZNS1_14partition_implILS5_8ELb0ES3_jPlPS6_PKS6_NS0_5tupleIJS9_S6_EEENSD_IJSA_SA_EEENS0_18inequality_wrapperIZN2at6native12_GLOBAL__N_124unique_dim_cuda_templateIiEESt5tupleIJNSH_6TensorESM_SM_EERKSM_lbbbEUlllE0_EEPmJS6_EEE10hipError_tPvRmT3_T4_T5_T6_T7_T9_mT8_P12ihipStream_tbDpT10_ENKUlT_T0_E_clISt17integral_constantIbLb0EES1B_IbLb1EEEEDaS17_S18_EUlS17_E_NS1_11comp_targetILNS1_3genE5ELNS1_11target_archE942ELNS1_3gpuE9ELNS1_3repE0EEENS1_30default_config_static_selectorELNS0_4arch9wavefront6targetE1EEEvT1_.kd
    .uniform_work_group_size: 1
    .uses_dynamic_stack: false
    .vgpr_count:     52
    .vgpr_spill_count: 0
    .wavefront_size: 64
  - .agpr_count:     0
    .args:
      - .offset:         0
        .size:           136
        .value_kind:     by_value
    .group_segment_fixed_size: 0
    .kernarg_segment_align: 8
    .kernarg_segment_size: 136
    .language:       OpenCL C
    .language_version:
      - 2
      - 0
    .max_flat_workgroup_size: 256
    .name:           _ZN7rocprim17ROCPRIM_400000_NS6detail17trampoline_kernelINS0_14default_configENS1_25partition_config_selectorILNS1_17partition_subalgoE8ElNS0_10empty_typeEbEEZZNS1_14partition_implILS5_8ELb0ES3_jPlPS6_PKS6_NS0_5tupleIJS9_S6_EEENSD_IJSA_SA_EEENS0_18inequality_wrapperIZN2at6native12_GLOBAL__N_124unique_dim_cuda_templateIiEESt5tupleIJNSH_6TensorESM_SM_EERKSM_lbbbEUlllE0_EEPmJS6_EEE10hipError_tPvRmT3_T4_T5_T6_T7_T9_mT8_P12ihipStream_tbDpT10_ENKUlT_T0_E_clISt17integral_constantIbLb0EES1B_IbLb1EEEEDaS17_S18_EUlS17_E_NS1_11comp_targetILNS1_3genE4ELNS1_11target_archE910ELNS1_3gpuE8ELNS1_3repE0EEENS1_30default_config_static_selectorELNS0_4arch9wavefront6targetE1EEEvT1_
    .private_segment_fixed_size: 0
    .sgpr_count:     6
    .sgpr_spill_count: 0
    .symbol:         _ZN7rocprim17ROCPRIM_400000_NS6detail17trampoline_kernelINS0_14default_configENS1_25partition_config_selectorILNS1_17partition_subalgoE8ElNS0_10empty_typeEbEEZZNS1_14partition_implILS5_8ELb0ES3_jPlPS6_PKS6_NS0_5tupleIJS9_S6_EEENSD_IJSA_SA_EEENS0_18inequality_wrapperIZN2at6native12_GLOBAL__N_124unique_dim_cuda_templateIiEESt5tupleIJNSH_6TensorESM_SM_EERKSM_lbbbEUlllE0_EEPmJS6_EEE10hipError_tPvRmT3_T4_T5_T6_T7_T9_mT8_P12ihipStream_tbDpT10_ENKUlT_T0_E_clISt17integral_constantIbLb0EES1B_IbLb1EEEEDaS17_S18_EUlS17_E_NS1_11comp_targetILNS1_3genE4ELNS1_11target_archE910ELNS1_3gpuE8ELNS1_3repE0EEENS1_30default_config_static_selectorELNS0_4arch9wavefront6targetE1EEEvT1_.kd
    .uniform_work_group_size: 1
    .uses_dynamic_stack: false
    .vgpr_count:     0
    .vgpr_spill_count: 0
    .wavefront_size: 64
  - .agpr_count:     0
    .args:
      - .offset:         0
        .size:           136
        .value_kind:     by_value
    .group_segment_fixed_size: 0
    .kernarg_segment_align: 8
    .kernarg_segment_size: 136
    .language:       OpenCL C
    .language_version:
      - 2
      - 0
    .max_flat_workgroup_size: 512
    .name:           _ZN7rocprim17ROCPRIM_400000_NS6detail17trampoline_kernelINS0_14default_configENS1_25partition_config_selectorILNS1_17partition_subalgoE8ElNS0_10empty_typeEbEEZZNS1_14partition_implILS5_8ELb0ES3_jPlPS6_PKS6_NS0_5tupleIJS9_S6_EEENSD_IJSA_SA_EEENS0_18inequality_wrapperIZN2at6native12_GLOBAL__N_124unique_dim_cuda_templateIiEESt5tupleIJNSH_6TensorESM_SM_EERKSM_lbbbEUlllE0_EEPmJS6_EEE10hipError_tPvRmT3_T4_T5_T6_T7_T9_mT8_P12ihipStream_tbDpT10_ENKUlT_T0_E_clISt17integral_constantIbLb0EES1B_IbLb1EEEEDaS17_S18_EUlS17_E_NS1_11comp_targetILNS1_3genE3ELNS1_11target_archE908ELNS1_3gpuE7ELNS1_3repE0EEENS1_30default_config_static_selectorELNS0_4arch9wavefront6targetE1EEEvT1_
    .private_segment_fixed_size: 0
    .sgpr_count:     6
    .sgpr_spill_count: 0
    .symbol:         _ZN7rocprim17ROCPRIM_400000_NS6detail17trampoline_kernelINS0_14default_configENS1_25partition_config_selectorILNS1_17partition_subalgoE8ElNS0_10empty_typeEbEEZZNS1_14partition_implILS5_8ELb0ES3_jPlPS6_PKS6_NS0_5tupleIJS9_S6_EEENSD_IJSA_SA_EEENS0_18inequality_wrapperIZN2at6native12_GLOBAL__N_124unique_dim_cuda_templateIiEESt5tupleIJNSH_6TensorESM_SM_EERKSM_lbbbEUlllE0_EEPmJS6_EEE10hipError_tPvRmT3_T4_T5_T6_T7_T9_mT8_P12ihipStream_tbDpT10_ENKUlT_T0_E_clISt17integral_constantIbLb0EES1B_IbLb1EEEEDaS17_S18_EUlS17_E_NS1_11comp_targetILNS1_3genE3ELNS1_11target_archE908ELNS1_3gpuE7ELNS1_3repE0EEENS1_30default_config_static_selectorELNS0_4arch9wavefront6targetE1EEEvT1_.kd
    .uniform_work_group_size: 1
    .uses_dynamic_stack: false
    .vgpr_count:     0
    .vgpr_spill_count: 0
    .wavefront_size: 64
  - .agpr_count:     0
    .args:
      - .offset:         0
        .size:           136
        .value_kind:     by_value
    .group_segment_fixed_size: 0
    .kernarg_segment_align: 8
    .kernarg_segment_size: 136
    .language:       OpenCL C
    .language_version:
      - 2
      - 0
    .max_flat_workgroup_size: 256
    .name:           _ZN7rocprim17ROCPRIM_400000_NS6detail17trampoline_kernelINS0_14default_configENS1_25partition_config_selectorILNS1_17partition_subalgoE8ElNS0_10empty_typeEbEEZZNS1_14partition_implILS5_8ELb0ES3_jPlPS6_PKS6_NS0_5tupleIJS9_S6_EEENSD_IJSA_SA_EEENS0_18inequality_wrapperIZN2at6native12_GLOBAL__N_124unique_dim_cuda_templateIiEESt5tupleIJNSH_6TensorESM_SM_EERKSM_lbbbEUlllE0_EEPmJS6_EEE10hipError_tPvRmT3_T4_T5_T6_T7_T9_mT8_P12ihipStream_tbDpT10_ENKUlT_T0_E_clISt17integral_constantIbLb0EES1B_IbLb1EEEEDaS17_S18_EUlS17_E_NS1_11comp_targetILNS1_3genE2ELNS1_11target_archE906ELNS1_3gpuE6ELNS1_3repE0EEENS1_30default_config_static_selectorELNS0_4arch9wavefront6targetE1EEEvT1_
    .private_segment_fixed_size: 0
    .sgpr_count:     6
    .sgpr_spill_count: 0
    .symbol:         _ZN7rocprim17ROCPRIM_400000_NS6detail17trampoline_kernelINS0_14default_configENS1_25partition_config_selectorILNS1_17partition_subalgoE8ElNS0_10empty_typeEbEEZZNS1_14partition_implILS5_8ELb0ES3_jPlPS6_PKS6_NS0_5tupleIJS9_S6_EEENSD_IJSA_SA_EEENS0_18inequality_wrapperIZN2at6native12_GLOBAL__N_124unique_dim_cuda_templateIiEESt5tupleIJNSH_6TensorESM_SM_EERKSM_lbbbEUlllE0_EEPmJS6_EEE10hipError_tPvRmT3_T4_T5_T6_T7_T9_mT8_P12ihipStream_tbDpT10_ENKUlT_T0_E_clISt17integral_constantIbLb0EES1B_IbLb1EEEEDaS17_S18_EUlS17_E_NS1_11comp_targetILNS1_3genE2ELNS1_11target_archE906ELNS1_3gpuE6ELNS1_3repE0EEENS1_30default_config_static_selectorELNS0_4arch9wavefront6targetE1EEEvT1_.kd
    .uniform_work_group_size: 1
    .uses_dynamic_stack: false
    .vgpr_count:     0
    .vgpr_spill_count: 0
    .wavefront_size: 64
  - .agpr_count:     0
    .args:
      - .offset:         0
        .size:           136
        .value_kind:     by_value
    .group_segment_fixed_size: 0
    .kernarg_segment_align: 8
    .kernarg_segment_size: 136
    .language:       OpenCL C
    .language_version:
      - 2
      - 0
    .max_flat_workgroup_size: 384
    .name:           _ZN7rocprim17ROCPRIM_400000_NS6detail17trampoline_kernelINS0_14default_configENS1_25partition_config_selectorILNS1_17partition_subalgoE8ElNS0_10empty_typeEbEEZZNS1_14partition_implILS5_8ELb0ES3_jPlPS6_PKS6_NS0_5tupleIJS9_S6_EEENSD_IJSA_SA_EEENS0_18inequality_wrapperIZN2at6native12_GLOBAL__N_124unique_dim_cuda_templateIiEESt5tupleIJNSH_6TensorESM_SM_EERKSM_lbbbEUlllE0_EEPmJS6_EEE10hipError_tPvRmT3_T4_T5_T6_T7_T9_mT8_P12ihipStream_tbDpT10_ENKUlT_T0_E_clISt17integral_constantIbLb0EES1B_IbLb1EEEEDaS17_S18_EUlS17_E_NS1_11comp_targetILNS1_3genE10ELNS1_11target_archE1200ELNS1_3gpuE4ELNS1_3repE0EEENS1_30default_config_static_selectorELNS0_4arch9wavefront6targetE1EEEvT1_
    .private_segment_fixed_size: 0
    .sgpr_count:     6
    .sgpr_spill_count: 0
    .symbol:         _ZN7rocprim17ROCPRIM_400000_NS6detail17trampoline_kernelINS0_14default_configENS1_25partition_config_selectorILNS1_17partition_subalgoE8ElNS0_10empty_typeEbEEZZNS1_14partition_implILS5_8ELb0ES3_jPlPS6_PKS6_NS0_5tupleIJS9_S6_EEENSD_IJSA_SA_EEENS0_18inequality_wrapperIZN2at6native12_GLOBAL__N_124unique_dim_cuda_templateIiEESt5tupleIJNSH_6TensorESM_SM_EERKSM_lbbbEUlllE0_EEPmJS6_EEE10hipError_tPvRmT3_T4_T5_T6_T7_T9_mT8_P12ihipStream_tbDpT10_ENKUlT_T0_E_clISt17integral_constantIbLb0EES1B_IbLb1EEEEDaS17_S18_EUlS17_E_NS1_11comp_targetILNS1_3genE10ELNS1_11target_archE1200ELNS1_3gpuE4ELNS1_3repE0EEENS1_30default_config_static_selectorELNS0_4arch9wavefront6targetE1EEEvT1_.kd
    .uniform_work_group_size: 1
    .uses_dynamic_stack: false
    .vgpr_count:     0
    .vgpr_spill_count: 0
    .wavefront_size: 64
  - .agpr_count:     0
    .args:
      - .offset:         0
        .size:           136
        .value_kind:     by_value
    .group_segment_fixed_size: 0
    .kernarg_segment_align: 8
    .kernarg_segment_size: 136
    .language:       OpenCL C
    .language_version:
      - 2
      - 0
    .max_flat_workgroup_size: 512
    .name:           _ZN7rocprim17ROCPRIM_400000_NS6detail17trampoline_kernelINS0_14default_configENS1_25partition_config_selectorILNS1_17partition_subalgoE8ElNS0_10empty_typeEbEEZZNS1_14partition_implILS5_8ELb0ES3_jPlPS6_PKS6_NS0_5tupleIJS9_S6_EEENSD_IJSA_SA_EEENS0_18inequality_wrapperIZN2at6native12_GLOBAL__N_124unique_dim_cuda_templateIiEESt5tupleIJNSH_6TensorESM_SM_EERKSM_lbbbEUlllE0_EEPmJS6_EEE10hipError_tPvRmT3_T4_T5_T6_T7_T9_mT8_P12ihipStream_tbDpT10_ENKUlT_T0_E_clISt17integral_constantIbLb0EES1B_IbLb1EEEEDaS17_S18_EUlS17_E_NS1_11comp_targetILNS1_3genE9ELNS1_11target_archE1100ELNS1_3gpuE3ELNS1_3repE0EEENS1_30default_config_static_selectorELNS0_4arch9wavefront6targetE1EEEvT1_
    .private_segment_fixed_size: 0
    .sgpr_count:     6
    .sgpr_spill_count: 0
    .symbol:         _ZN7rocprim17ROCPRIM_400000_NS6detail17trampoline_kernelINS0_14default_configENS1_25partition_config_selectorILNS1_17partition_subalgoE8ElNS0_10empty_typeEbEEZZNS1_14partition_implILS5_8ELb0ES3_jPlPS6_PKS6_NS0_5tupleIJS9_S6_EEENSD_IJSA_SA_EEENS0_18inequality_wrapperIZN2at6native12_GLOBAL__N_124unique_dim_cuda_templateIiEESt5tupleIJNSH_6TensorESM_SM_EERKSM_lbbbEUlllE0_EEPmJS6_EEE10hipError_tPvRmT3_T4_T5_T6_T7_T9_mT8_P12ihipStream_tbDpT10_ENKUlT_T0_E_clISt17integral_constantIbLb0EES1B_IbLb1EEEEDaS17_S18_EUlS17_E_NS1_11comp_targetILNS1_3genE9ELNS1_11target_archE1100ELNS1_3gpuE3ELNS1_3repE0EEENS1_30default_config_static_selectorELNS0_4arch9wavefront6targetE1EEEvT1_.kd
    .uniform_work_group_size: 1
    .uses_dynamic_stack: false
    .vgpr_count:     0
    .vgpr_spill_count: 0
    .wavefront_size: 64
  - .agpr_count:     0
    .args:
      - .offset:         0
        .size:           136
        .value_kind:     by_value
    .group_segment_fixed_size: 0
    .kernarg_segment_align: 8
    .kernarg_segment_size: 136
    .language:       OpenCL C
    .language_version:
      - 2
      - 0
    .max_flat_workgroup_size: 512
    .name:           _ZN7rocprim17ROCPRIM_400000_NS6detail17trampoline_kernelINS0_14default_configENS1_25partition_config_selectorILNS1_17partition_subalgoE8ElNS0_10empty_typeEbEEZZNS1_14partition_implILS5_8ELb0ES3_jPlPS6_PKS6_NS0_5tupleIJS9_S6_EEENSD_IJSA_SA_EEENS0_18inequality_wrapperIZN2at6native12_GLOBAL__N_124unique_dim_cuda_templateIiEESt5tupleIJNSH_6TensorESM_SM_EERKSM_lbbbEUlllE0_EEPmJS6_EEE10hipError_tPvRmT3_T4_T5_T6_T7_T9_mT8_P12ihipStream_tbDpT10_ENKUlT_T0_E_clISt17integral_constantIbLb0EES1B_IbLb1EEEEDaS17_S18_EUlS17_E_NS1_11comp_targetILNS1_3genE8ELNS1_11target_archE1030ELNS1_3gpuE2ELNS1_3repE0EEENS1_30default_config_static_selectorELNS0_4arch9wavefront6targetE1EEEvT1_
    .private_segment_fixed_size: 0
    .sgpr_count:     6
    .sgpr_spill_count: 0
    .symbol:         _ZN7rocprim17ROCPRIM_400000_NS6detail17trampoline_kernelINS0_14default_configENS1_25partition_config_selectorILNS1_17partition_subalgoE8ElNS0_10empty_typeEbEEZZNS1_14partition_implILS5_8ELb0ES3_jPlPS6_PKS6_NS0_5tupleIJS9_S6_EEENSD_IJSA_SA_EEENS0_18inequality_wrapperIZN2at6native12_GLOBAL__N_124unique_dim_cuda_templateIiEESt5tupleIJNSH_6TensorESM_SM_EERKSM_lbbbEUlllE0_EEPmJS6_EEE10hipError_tPvRmT3_T4_T5_T6_T7_T9_mT8_P12ihipStream_tbDpT10_ENKUlT_T0_E_clISt17integral_constantIbLb0EES1B_IbLb1EEEEDaS17_S18_EUlS17_E_NS1_11comp_targetILNS1_3genE8ELNS1_11target_archE1030ELNS1_3gpuE2ELNS1_3repE0EEENS1_30default_config_static_selectorELNS0_4arch9wavefront6targetE1EEEvT1_.kd
    .uniform_work_group_size: 1
    .uses_dynamic_stack: false
    .vgpr_count:     0
    .vgpr_spill_count: 0
    .wavefront_size: 64
  - .agpr_count:     0
    .args:
      - .offset:         0
        .size:           120
        .value_kind:     by_value
    .group_segment_fixed_size: 0
    .kernarg_segment_align: 8
    .kernarg_segment_size: 120
    .language:       OpenCL C
    .language_version:
      - 2
      - 0
    .max_flat_workgroup_size: 128
    .name:           _ZN7rocprim17ROCPRIM_400000_NS6detail17trampoline_kernelINS0_14default_configENS1_25partition_config_selectorILNS1_17partition_subalgoE9EllbEEZZNS1_14partition_implILS5_9ELb0ES3_jPlS8_PNS0_10empty_typeENS0_5tupleIJS8_S9_EEENSB_IJS8_SA_EEENS0_18inequality_wrapperIZN2at6native12_GLOBAL__N_124unique_dim_cuda_templateIiEESt5tupleIJNSF_6TensorESK_SK_EERKSK_lbbbEUlllE0_EEPmJS9_EEE10hipError_tPvRmT3_T4_T5_T6_T7_T9_mT8_P12ihipStream_tbDpT10_ENKUlT_T0_E_clISt17integral_constantIbLb0EES1A_EEDaS15_S16_EUlS15_E_NS1_11comp_targetILNS1_3genE0ELNS1_11target_archE4294967295ELNS1_3gpuE0ELNS1_3repE0EEENS1_30default_config_static_selectorELNS0_4arch9wavefront6targetE1EEEvT1_
    .private_segment_fixed_size: 0
    .sgpr_count:     6
    .sgpr_spill_count: 0
    .symbol:         _ZN7rocprim17ROCPRIM_400000_NS6detail17trampoline_kernelINS0_14default_configENS1_25partition_config_selectorILNS1_17partition_subalgoE9EllbEEZZNS1_14partition_implILS5_9ELb0ES3_jPlS8_PNS0_10empty_typeENS0_5tupleIJS8_S9_EEENSB_IJS8_SA_EEENS0_18inequality_wrapperIZN2at6native12_GLOBAL__N_124unique_dim_cuda_templateIiEESt5tupleIJNSF_6TensorESK_SK_EERKSK_lbbbEUlllE0_EEPmJS9_EEE10hipError_tPvRmT3_T4_T5_T6_T7_T9_mT8_P12ihipStream_tbDpT10_ENKUlT_T0_E_clISt17integral_constantIbLb0EES1A_EEDaS15_S16_EUlS15_E_NS1_11comp_targetILNS1_3genE0ELNS1_11target_archE4294967295ELNS1_3gpuE0ELNS1_3repE0EEENS1_30default_config_static_selectorELNS0_4arch9wavefront6targetE1EEEvT1_.kd
    .uniform_work_group_size: 1
    .uses_dynamic_stack: false
    .vgpr_count:     0
    .vgpr_spill_count: 0
    .wavefront_size: 64
  - .agpr_count:     0
    .args:
      - .offset:         0
        .size:           120
        .value_kind:     by_value
    .group_segment_fixed_size: 28684
    .kernarg_segment_align: 8
    .kernarg_segment_size: 120
    .language:       OpenCL C
    .language_version:
      - 2
      - 0
    .max_flat_workgroup_size: 512
    .name:           _ZN7rocprim17ROCPRIM_400000_NS6detail17trampoline_kernelINS0_14default_configENS1_25partition_config_selectorILNS1_17partition_subalgoE9EllbEEZZNS1_14partition_implILS5_9ELb0ES3_jPlS8_PNS0_10empty_typeENS0_5tupleIJS8_S9_EEENSB_IJS8_SA_EEENS0_18inequality_wrapperIZN2at6native12_GLOBAL__N_124unique_dim_cuda_templateIiEESt5tupleIJNSF_6TensorESK_SK_EERKSK_lbbbEUlllE0_EEPmJS9_EEE10hipError_tPvRmT3_T4_T5_T6_T7_T9_mT8_P12ihipStream_tbDpT10_ENKUlT_T0_E_clISt17integral_constantIbLb0EES1A_EEDaS15_S16_EUlS15_E_NS1_11comp_targetILNS1_3genE5ELNS1_11target_archE942ELNS1_3gpuE9ELNS1_3repE0EEENS1_30default_config_static_selectorELNS0_4arch9wavefront6targetE1EEEvT1_
    .private_segment_fixed_size: 0
    .sgpr_count:     58
    .sgpr_spill_count: 0
    .symbol:         _ZN7rocprim17ROCPRIM_400000_NS6detail17trampoline_kernelINS0_14default_configENS1_25partition_config_selectorILNS1_17partition_subalgoE9EllbEEZZNS1_14partition_implILS5_9ELb0ES3_jPlS8_PNS0_10empty_typeENS0_5tupleIJS8_S9_EEENSB_IJS8_SA_EEENS0_18inequality_wrapperIZN2at6native12_GLOBAL__N_124unique_dim_cuda_templateIiEESt5tupleIJNSF_6TensorESK_SK_EERKSK_lbbbEUlllE0_EEPmJS9_EEE10hipError_tPvRmT3_T4_T5_T6_T7_T9_mT8_P12ihipStream_tbDpT10_ENKUlT_T0_E_clISt17integral_constantIbLb0EES1A_EEDaS15_S16_EUlS15_E_NS1_11comp_targetILNS1_3genE5ELNS1_11target_archE942ELNS1_3gpuE9ELNS1_3repE0EEENS1_30default_config_static_selectorELNS0_4arch9wavefront6targetE1EEEvT1_.kd
    .uniform_work_group_size: 1
    .uses_dynamic_stack: false
    .vgpr_count:     66
    .vgpr_spill_count: 0
    .wavefront_size: 64
  - .agpr_count:     0
    .args:
      - .offset:         0
        .size:           120
        .value_kind:     by_value
    .group_segment_fixed_size: 0
    .kernarg_segment_align: 8
    .kernarg_segment_size: 120
    .language:       OpenCL C
    .language_version:
      - 2
      - 0
    .max_flat_workgroup_size: 128
    .name:           _ZN7rocprim17ROCPRIM_400000_NS6detail17trampoline_kernelINS0_14default_configENS1_25partition_config_selectorILNS1_17partition_subalgoE9EllbEEZZNS1_14partition_implILS5_9ELb0ES3_jPlS8_PNS0_10empty_typeENS0_5tupleIJS8_S9_EEENSB_IJS8_SA_EEENS0_18inequality_wrapperIZN2at6native12_GLOBAL__N_124unique_dim_cuda_templateIiEESt5tupleIJNSF_6TensorESK_SK_EERKSK_lbbbEUlllE0_EEPmJS9_EEE10hipError_tPvRmT3_T4_T5_T6_T7_T9_mT8_P12ihipStream_tbDpT10_ENKUlT_T0_E_clISt17integral_constantIbLb0EES1A_EEDaS15_S16_EUlS15_E_NS1_11comp_targetILNS1_3genE4ELNS1_11target_archE910ELNS1_3gpuE8ELNS1_3repE0EEENS1_30default_config_static_selectorELNS0_4arch9wavefront6targetE1EEEvT1_
    .private_segment_fixed_size: 0
    .sgpr_count:     6
    .sgpr_spill_count: 0
    .symbol:         _ZN7rocprim17ROCPRIM_400000_NS6detail17trampoline_kernelINS0_14default_configENS1_25partition_config_selectorILNS1_17partition_subalgoE9EllbEEZZNS1_14partition_implILS5_9ELb0ES3_jPlS8_PNS0_10empty_typeENS0_5tupleIJS8_S9_EEENSB_IJS8_SA_EEENS0_18inequality_wrapperIZN2at6native12_GLOBAL__N_124unique_dim_cuda_templateIiEESt5tupleIJNSF_6TensorESK_SK_EERKSK_lbbbEUlllE0_EEPmJS9_EEE10hipError_tPvRmT3_T4_T5_T6_T7_T9_mT8_P12ihipStream_tbDpT10_ENKUlT_T0_E_clISt17integral_constantIbLb0EES1A_EEDaS15_S16_EUlS15_E_NS1_11comp_targetILNS1_3genE4ELNS1_11target_archE910ELNS1_3gpuE8ELNS1_3repE0EEENS1_30default_config_static_selectorELNS0_4arch9wavefront6targetE1EEEvT1_.kd
    .uniform_work_group_size: 1
    .uses_dynamic_stack: false
    .vgpr_count:     0
    .vgpr_spill_count: 0
    .wavefront_size: 64
  - .agpr_count:     0
    .args:
      - .offset:         0
        .size:           120
        .value_kind:     by_value
    .group_segment_fixed_size: 0
    .kernarg_segment_align: 8
    .kernarg_segment_size: 120
    .language:       OpenCL C
    .language_version:
      - 2
      - 0
    .max_flat_workgroup_size: 128
    .name:           _ZN7rocprim17ROCPRIM_400000_NS6detail17trampoline_kernelINS0_14default_configENS1_25partition_config_selectorILNS1_17partition_subalgoE9EllbEEZZNS1_14partition_implILS5_9ELb0ES3_jPlS8_PNS0_10empty_typeENS0_5tupleIJS8_S9_EEENSB_IJS8_SA_EEENS0_18inequality_wrapperIZN2at6native12_GLOBAL__N_124unique_dim_cuda_templateIiEESt5tupleIJNSF_6TensorESK_SK_EERKSK_lbbbEUlllE0_EEPmJS9_EEE10hipError_tPvRmT3_T4_T5_T6_T7_T9_mT8_P12ihipStream_tbDpT10_ENKUlT_T0_E_clISt17integral_constantIbLb0EES1A_EEDaS15_S16_EUlS15_E_NS1_11comp_targetILNS1_3genE3ELNS1_11target_archE908ELNS1_3gpuE7ELNS1_3repE0EEENS1_30default_config_static_selectorELNS0_4arch9wavefront6targetE1EEEvT1_
    .private_segment_fixed_size: 0
    .sgpr_count:     6
    .sgpr_spill_count: 0
    .symbol:         _ZN7rocprim17ROCPRIM_400000_NS6detail17trampoline_kernelINS0_14default_configENS1_25partition_config_selectorILNS1_17partition_subalgoE9EllbEEZZNS1_14partition_implILS5_9ELb0ES3_jPlS8_PNS0_10empty_typeENS0_5tupleIJS8_S9_EEENSB_IJS8_SA_EEENS0_18inequality_wrapperIZN2at6native12_GLOBAL__N_124unique_dim_cuda_templateIiEESt5tupleIJNSF_6TensorESK_SK_EERKSK_lbbbEUlllE0_EEPmJS9_EEE10hipError_tPvRmT3_T4_T5_T6_T7_T9_mT8_P12ihipStream_tbDpT10_ENKUlT_T0_E_clISt17integral_constantIbLb0EES1A_EEDaS15_S16_EUlS15_E_NS1_11comp_targetILNS1_3genE3ELNS1_11target_archE908ELNS1_3gpuE7ELNS1_3repE0EEENS1_30default_config_static_selectorELNS0_4arch9wavefront6targetE1EEEvT1_.kd
    .uniform_work_group_size: 1
    .uses_dynamic_stack: false
    .vgpr_count:     0
    .vgpr_spill_count: 0
    .wavefront_size: 64
  - .agpr_count:     0
    .args:
      - .offset:         0
        .size:           120
        .value_kind:     by_value
    .group_segment_fixed_size: 0
    .kernarg_segment_align: 8
    .kernarg_segment_size: 120
    .language:       OpenCL C
    .language_version:
      - 2
      - 0
    .max_flat_workgroup_size: 192
    .name:           _ZN7rocprim17ROCPRIM_400000_NS6detail17trampoline_kernelINS0_14default_configENS1_25partition_config_selectorILNS1_17partition_subalgoE9EllbEEZZNS1_14partition_implILS5_9ELb0ES3_jPlS8_PNS0_10empty_typeENS0_5tupleIJS8_S9_EEENSB_IJS8_SA_EEENS0_18inequality_wrapperIZN2at6native12_GLOBAL__N_124unique_dim_cuda_templateIiEESt5tupleIJNSF_6TensorESK_SK_EERKSK_lbbbEUlllE0_EEPmJS9_EEE10hipError_tPvRmT3_T4_T5_T6_T7_T9_mT8_P12ihipStream_tbDpT10_ENKUlT_T0_E_clISt17integral_constantIbLb0EES1A_EEDaS15_S16_EUlS15_E_NS1_11comp_targetILNS1_3genE2ELNS1_11target_archE906ELNS1_3gpuE6ELNS1_3repE0EEENS1_30default_config_static_selectorELNS0_4arch9wavefront6targetE1EEEvT1_
    .private_segment_fixed_size: 0
    .sgpr_count:     6
    .sgpr_spill_count: 0
    .symbol:         _ZN7rocprim17ROCPRIM_400000_NS6detail17trampoline_kernelINS0_14default_configENS1_25partition_config_selectorILNS1_17partition_subalgoE9EllbEEZZNS1_14partition_implILS5_9ELb0ES3_jPlS8_PNS0_10empty_typeENS0_5tupleIJS8_S9_EEENSB_IJS8_SA_EEENS0_18inequality_wrapperIZN2at6native12_GLOBAL__N_124unique_dim_cuda_templateIiEESt5tupleIJNSF_6TensorESK_SK_EERKSK_lbbbEUlllE0_EEPmJS9_EEE10hipError_tPvRmT3_T4_T5_T6_T7_T9_mT8_P12ihipStream_tbDpT10_ENKUlT_T0_E_clISt17integral_constantIbLb0EES1A_EEDaS15_S16_EUlS15_E_NS1_11comp_targetILNS1_3genE2ELNS1_11target_archE906ELNS1_3gpuE6ELNS1_3repE0EEENS1_30default_config_static_selectorELNS0_4arch9wavefront6targetE1EEEvT1_.kd
    .uniform_work_group_size: 1
    .uses_dynamic_stack: false
    .vgpr_count:     0
    .vgpr_spill_count: 0
    .wavefront_size: 64
  - .agpr_count:     0
    .args:
      - .offset:         0
        .size:           120
        .value_kind:     by_value
    .group_segment_fixed_size: 0
    .kernarg_segment_align: 8
    .kernarg_segment_size: 120
    .language:       OpenCL C
    .language_version:
      - 2
      - 0
    .max_flat_workgroup_size: 384
    .name:           _ZN7rocprim17ROCPRIM_400000_NS6detail17trampoline_kernelINS0_14default_configENS1_25partition_config_selectorILNS1_17partition_subalgoE9EllbEEZZNS1_14partition_implILS5_9ELb0ES3_jPlS8_PNS0_10empty_typeENS0_5tupleIJS8_S9_EEENSB_IJS8_SA_EEENS0_18inequality_wrapperIZN2at6native12_GLOBAL__N_124unique_dim_cuda_templateIiEESt5tupleIJNSF_6TensorESK_SK_EERKSK_lbbbEUlllE0_EEPmJS9_EEE10hipError_tPvRmT3_T4_T5_T6_T7_T9_mT8_P12ihipStream_tbDpT10_ENKUlT_T0_E_clISt17integral_constantIbLb0EES1A_EEDaS15_S16_EUlS15_E_NS1_11comp_targetILNS1_3genE10ELNS1_11target_archE1200ELNS1_3gpuE4ELNS1_3repE0EEENS1_30default_config_static_selectorELNS0_4arch9wavefront6targetE1EEEvT1_
    .private_segment_fixed_size: 0
    .sgpr_count:     6
    .sgpr_spill_count: 0
    .symbol:         _ZN7rocprim17ROCPRIM_400000_NS6detail17trampoline_kernelINS0_14default_configENS1_25partition_config_selectorILNS1_17partition_subalgoE9EllbEEZZNS1_14partition_implILS5_9ELb0ES3_jPlS8_PNS0_10empty_typeENS0_5tupleIJS8_S9_EEENSB_IJS8_SA_EEENS0_18inequality_wrapperIZN2at6native12_GLOBAL__N_124unique_dim_cuda_templateIiEESt5tupleIJNSF_6TensorESK_SK_EERKSK_lbbbEUlllE0_EEPmJS9_EEE10hipError_tPvRmT3_T4_T5_T6_T7_T9_mT8_P12ihipStream_tbDpT10_ENKUlT_T0_E_clISt17integral_constantIbLb0EES1A_EEDaS15_S16_EUlS15_E_NS1_11comp_targetILNS1_3genE10ELNS1_11target_archE1200ELNS1_3gpuE4ELNS1_3repE0EEENS1_30default_config_static_selectorELNS0_4arch9wavefront6targetE1EEEvT1_.kd
    .uniform_work_group_size: 1
    .uses_dynamic_stack: false
    .vgpr_count:     0
    .vgpr_spill_count: 0
    .wavefront_size: 64
  - .agpr_count:     0
    .args:
      - .offset:         0
        .size:           120
        .value_kind:     by_value
    .group_segment_fixed_size: 0
    .kernarg_segment_align: 8
    .kernarg_segment_size: 120
    .language:       OpenCL C
    .language_version:
      - 2
      - 0
    .max_flat_workgroup_size: 512
    .name:           _ZN7rocprim17ROCPRIM_400000_NS6detail17trampoline_kernelINS0_14default_configENS1_25partition_config_selectorILNS1_17partition_subalgoE9EllbEEZZNS1_14partition_implILS5_9ELb0ES3_jPlS8_PNS0_10empty_typeENS0_5tupleIJS8_S9_EEENSB_IJS8_SA_EEENS0_18inequality_wrapperIZN2at6native12_GLOBAL__N_124unique_dim_cuda_templateIiEESt5tupleIJNSF_6TensorESK_SK_EERKSK_lbbbEUlllE0_EEPmJS9_EEE10hipError_tPvRmT3_T4_T5_T6_T7_T9_mT8_P12ihipStream_tbDpT10_ENKUlT_T0_E_clISt17integral_constantIbLb0EES1A_EEDaS15_S16_EUlS15_E_NS1_11comp_targetILNS1_3genE9ELNS1_11target_archE1100ELNS1_3gpuE3ELNS1_3repE0EEENS1_30default_config_static_selectorELNS0_4arch9wavefront6targetE1EEEvT1_
    .private_segment_fixed_size: 0
    .sgpr_count:     6
    .sgpr_spill_count: 0
    .symbol:         _ZN7rocprim17ROCPRIM_400000_NS6detail17trampoline_kernelINS0_14default_configENS1_25partition_config_selectorILNS1_17partition_subalgoE9EllbEEZZNS1_14partition_implILS5_9ELb0ES3_jPlS8_PNS0_10empty_typeENS0_5tupleIJS8_S9_EEENSB_IJS8_SA_EEENS0_18inequality_wrapperIZN2at6native12_GLOBAL__N_124unique_dim_cuda_templateIiEESt5tupleIJNSF_6TensorESK_SK_EERKSK_lbbbEUlllE0_EEPmJS9_EEE10hipError_tPvRmT3_T4_T5_T6_T7_T9_mT8_P12ihipStream_tbDpT10_ENKUlT_T0_E_clISt17integral_constantIbLb0EES1A_EEDaS15_S16_EUlS15_E_NS1_11comp_targetILNS1_3genE9ELNS1_11target_archE1100ELNS1_3gpuE3ELNS1_3repE0EEENS1_30default_config_static_selectorELNS0_4arch9wavefront6targetE1EEEvT1_.kd
    .uniform_work_group_size: 1
    .uses_dynamic_stack: false
    .vgpr_count:     0
    .vgpr_spill_count: 0
    .wavefront_size: 64
  - .agpr_count:     0
    .args:
      - .offset:         0
        .size:           120
        .value_kind:     by_value
    .group_segment_fixed_size: 0
    .kernarg_segment_align: 8
    .kernarg_segment_size: 120
    .language:       OpenCL C
    .language_version:
      - 2
      - 0
    .max_flat_workgroup_size: 512
    .name:           _ZN7rocprim17ROCPRIM_400000_NS6detail17trampoline_kernelINS0_14default_configENS1_25partition_config_selectorILNS1_17partition_subalgoE9EllbEEZZNS1_14partition_implILS5_9ELb0ES3_jPlS8_PNS0_10empty_typeENS0_5tupleIJS8_S9_EEENSB_IJS8_SA_EEENS0_18inequality_wrapperIZN2at6native12_GLOBAL__N_124unique_dim_cuda_templateIiEESt5tupleIJNSF_6TensorESK_SK_EERKSK_lbbbEUlllE0_EEPmJS9_EEE10hipError_tPvRmT3_T4_T5_T6_T7_T9_mT8_P12ihipStream_tbDpT10_ENKUlT_T0_E_clISt17integral_constantIbLb0EES1A_EEDaS15_S16_EUlS15_E_NS1_11comp_targetILNS1_3genE8ELNS1_11target_archE1030ELNS1_3gpuE2ELNS1_3repE0EEENS1_30default_config_static_selectorELNS0_4arch9wavefront6targetE1EEEvT1_
    .private_segment_fixed_size: 0
    .sgpr_count:     6
    .sgpr_spill_count: 0
    .symbol:         _ZN7rocprim17ROCPRIM_400000_NS6detail17trampoline_kernelINS0_14default_configENS1_25partition_config_selectorILNS1_17partition_subalgoE9EllbEEZZNS1_14partition_implILS5_9ELb0ES3_jPlS8_PNS0_10empty_typeENS0_5tupleIJS8_S9_EEENSB_IJS8_SA_EEENS0_18inequality_wrapperIZN2at6native12_GLOBAL__N_124unique_dim_cuda_templateIiEESt5tupleIJNSF_6TensorESK_SK_EERKSK_lbbbEUlllE0_EEPmJS9_EEE10hipError_tPvRmT3_T4_T5_T6_T7_T9_mT8_P12ihipStream_tbDpT10_ENKUlT_T0_E_clISt17integral_constantIbLb0EES1A_EEDaS15_S16_EUlS15_E_NS1_11comp_targetILNS1_3genE8ELNS1_11target_archE1030ELNS1_3gpuE2ELNS1_3repE0EEENS1_30default_config_static_selectorELNS0_4arch9wavefront6targetE1EEEvT1_.kd
    .uniform_work_group_size: 1
    .uses_dynamic_stack: false
    .vgpr_count:     0
    .vgpr_spill_count: 0
    .wavefront_size: 64
  - .agpr_count:     0
    .args:
      - .offset:         0
        .size:           136
        .value_kind:     by_value
    .group_segment_fixed_size: 0
    .kernarg_segment_align: 8
    .kernarg_segment_size: 136
    .language:       OpenCL C
    .language_version:
      - 2
      - 0
    .max_flat_workgroup_size: 128
    .name:           _ZN7rocprim17ROCPRIM_400000_NS6detail17trampoline_kernelINS0_14default_configENS1_25partition_config_selectorILNS1_17partition_subalgoE9EllbEEZZNS1_14partition_implILS5_9ELb0ES3_jPlS8_PNS0_10empty_typeENS0_5tupleIJS8_S9_EEENSB_IJS8_SA_EEENS0_18inequality_wrapperIZN2at6native12_GLOBAL__N_124unique_dim_cuda_templateIiEESt5tupleIJNSF_6TensorESK_SK_EERKSK_lbbbEUlllE0_EEPmJS9_EEE10hipError_tPvRmT3_T4_T5_T6_T7_T9_mT8_P12ihipStream_tbDpT10_ENKUlT_T0_E_clISt17integral_constantIbLb1EES1A_EEDaS15_S16_EUlS15_E_NS1_11comp_targetILNS1_3genE0ELNS1_11target_archE4294967295ELNS1_3gpuE0ELNS1_3repE0EEENS1_30default_config_static_selectorELNS0_4arch9wavefront6targetE1EEEvT1_
    .private_segment_fixed_size: 0
    .sgpr_count:     6
    .sgpr_spill_count: 0
    .symbol:         _ZN7rocprim17ROCPRIM_400000_NS6detail17trampoline_kernelINS0_14default_configENS1_25partition_config_selectorILNS1_17partition_subalgoE9EllbEEZZNS1_14partition_implILS5_9ELb0ES3_jPlS8_PNS0_10empty_typeENS0_5tupleIJS8_S9_EEENSB_IJS8_SA_EEENS0_18inequality_wrapperIZN2at6native12_GLOBAL__N_124unique_dim_cuda_templateIiEESt5tupleIJNSF_6TensorESK_SK_EERKSK_lbbbEUlllE0_EEPmJS9_EEE10hipError_tPvRmT3_T4_T5_T6_T7_T9_mT8_P12ihipStream_tbDpT10_ENKUlT_T0_E_clISt17integral_constantIbLb1EES1A_EEDaS15_S16_EUlS15_E_NS1_11comp_targetILNS1_3genE0ELNS1_11target_archE4294967295ELNS1_3gpuE0ELNS1_3repE0EEENS1_30default_config_static_selectorELNS0_4arch9wavefront6targetE1EEEvT1_.kd
    .uniform_work_group_size: 1
    .uses_dynamic_stack: false
    .vgpr_count:     0
    .vgpr_spill_count: 0
    .wavefront_size: 64
  - .agpr_count:     0
    .args:
      - .offset:         0
        .size:           136
        .value_kind:     by_value
    .group_segment_fixed_size: 28684
    .kernarg_segment_align: 8
    .kernarg_segment_size: 136
    .language:       OpenCL C
    .language_version:
      - 2
      - 0
    .max_flat_workgroup_size: 512
    .name:           _ZN7rocprim17ROCPRIM_400000_NS6detail17trampoline_kernelINS0_14default_configENS1_25partition_config_selectorILNS1_17partition_subalgoE9EllbEEZZNS1_14partition_implILS5_9ELb0ES3_jPlS8_PNS0_10empty_typeENS0_5tupleIJS8_S9_EEENSB_IJS8_SA_EEENS0_18inequality_wrapperIZN2at6native12_GLOBAL__N_124unique_dim_cuda_templateIiEESt5tupleIJNSF_6TensorESK_SK_EERKSK_lbbbEUlllE0_EEPmJS9_EEE10hipError_tPvRmT3_T4_T5_T6_T7_T9_mT8_P12ihipStream_tbDpT10_ENKUlT_T0_E_clISt17integral_constantIbLb1EES1A_EEDaS15_S16_EUlS15_E_NS1_11comp_targetILNS1_3genE5ELNS1_11target_archE942ELNS1_3gpuE9ELNS1_3repE0EEENS1_30default_config_static_selectorELNS0_4arch9wavefront6targetE1EEEvT1_
    .private_segment_fixed_size: 0
    .sgpr_count:     64
    .sgpr_spill_count: 0
    .symbol:         _ZN7rocprim17ROCPRIM_400000_NS6detail17trampoline_kernelINS0_14default_configENS1_25partition_config_selectorILNS1_17partition_subalgoE9EllbEEZZNS1_14partition_implILS5_9ELb0ES3_jPlS8_PNS0_10empty_typeENS0_5tupleIJS8_S9_EEENSB_IJS8_SA_EEENS0_18inequality_wrapperIZN2at6native12_GLOBAL__N_124unique_dim_cuda_templateIiEESt5tupleIJNSF_6TensorESK_SK_EERKSK_lbbbEUlllE0_EEPmJS9_EEE10hipError_tPvRmT3_T4_T5_T6_T7_T9_mT8_P12ihipStream_tbDpT10_ENKUlT_T0_E_clISt17integral_constantIbLb1EES1A_EEDaS15_S16_EUlS15_E_NS1_11comp_targetILNS1_3genE5ELNS1_11target_archE942ELNS1_3gpuE9ELNS1_3repE0EEENS1_30default_config_static_selectorELNS0_4arch9wavefront6targetE1EEEvT1_.kd
    .uniform_work_group_size: 1
    .uses_dynamic_stack: false
    .vgpr_count:     66
    .vgpr_spill_count: 0
    .wavefront_size: 64
  - .agpr_count:     0
    .args:
      - .offset:         0
        .size:           136
        .value_kind:     by_value
    .group_segment_fixed_size: 0
    .kernarg_segment_align: 8
    .kernarg_segment_size: 136
    .language:       OpenCL C
    .language_version:
      - 2
      - 0
    .max_flat_workgroup_size: 128
    .name:           _ZN7rocprim17ROCPRIM_400000_NS6detail17trampoline_kernelINS0_14default_configENS1_25partition_config_selectorILNS1_17partition_subalgoE9EllbEEZZNS1_14partition_implILS5_9ELb0ES3_jPlS8_PNS0_10empty_typeENS0_5tupleIJS8_S9_EEENSB_IJS8_SA_EEENS0_18inequality_wrapperIZN2at6native12_GLOBAL__N_124unique_dim_cuda_templateIiEESt5tupleIJNSF_6TensorESK_SK_EERKSK_lbbbEUlllE0_EEPmJS9_EEE10hipError_tPvRmT3_T4_T5_T6_T7_T9_mT8_P12ihipStream_tbDpT10_ENKUlT_T0_E_clISt17integral_constantIbLb1EES1A_EEDaS15_S16_EUlS15_E_NS1_11comp_targetILNS1_3genE4ELNS1_11target_archE910ELNS1_3gpuE8ELNS1_3repE0EEENS1_30default_config_static_selectorELNS0_4arch9wavefront6targetE1EEEvT1_
    .private_segment_fixed_size: 0
    .sgpr_count:     6
    .sgpr_spill_count: 0
    .symbol:         _ZN7rocprim17ROCPRIM_400000_NS6detail17trampoline_kernelINS0_14default_configENS1_25partition_config_selectorILNS1_17partition_subalgoE9EllbEEZZNS1_14partition_implILS5_9ELb0ES3_jPlS8_PNS0_10empty_typeENS0_5tupleIJS8_S9_EEENSB_IJS8_SA_EEENS0_18inequality_wrapperIZN2at6native12_GLOBAL__N_124unique_dim_cuda_templateIiEESt5tupleIJNSF_6TensorESK_SK_EERKSK_lbbbEUlllE0_EEPmJS9_EEE10hipError_tPvRmT3_T4_T5_T6_T7_T9_mT8_P12ihipStream_tbDpT10_ENKUlT_T0_E_clISt17integral_constantIbLb1EES1A_EEDaS15_S16_EUlS15_E_NS1_11comp_targetILNS1_3genE4ELNS1_11target_archE910ELNS1_3gpuE8ELNS1_3repE0EEENS1_30default_config_static_selectorELNS0_4arch9wavefront6targetE1EEEvT1_.kd
    .uniform_work_group_size: 1
    .uses_dynamic_stack: false
    .vgpr_count:     0
    .vgpr_spill_count: 0
    .wavefront_size: 64
  - .agpr_count:     0
    .args:
      - .offset:         0
        .size:           136
        .value_kind:     by_value
    .group_segment_fixed_size: 0
    .kernarg_segment_align: 8
    .kernarg_segment_size: 136
    .language:       OpenCL C
    .language_version:
      - 2
      - 0
    .max_flat_workgroup_size: 128
    .name:           _ZN7rocprim17ROCPRIM_400000_NS6detail17trampoline_kernelINS0_14default_configENS1_25partition_config_selectorILNS1_17partition_subalgoE9EllbEEZZNS1_14partition_implILS5_9ELb0ES3_jPlS8_PNS0_10empty_typeENS0_5tupleIJS8_S9_EEENSB_IJS8_SA_EEENS0_18inequality_wrapperIZN2at6native12_GLOBAL__N_124unique_dim_cuda_templateIiEESt5tupleIJNSF_6TensorESK_SK_EERKSK_lbbbEUlllE0_EEPmJS9_EEE10hipError_tPvRmT3_T4_T5_T6_T7_T9_mT8_P12ihipStream_tbDpT10_ENKUlT_T0_E_clISt17integral_constantIbLb1EES1A_EEDaS15_S16_EUlS15_E_NS1_11comp_targetILNS1_3genE3ELNS1_11target_archE908ELNS1_3gpuE7ELNS1_3repE0EEENS1_30default_config_static_selectorELNS0_4arch9wavefront6targetE1EEEvT1_
    .private_segment_fixed_size: 0
    .sgpr_count:     6
    .sgpr_spill_count: 0
    .symbol:         _ZN7rocprim17ROCPRIM_400000_NS6detail17trampoline_kernelINS0_14default_configENS1_25partition_config_selectorILNS1_17partition_subalgoE9EllbEEZZNS1_14partition_implILS5_9ELb0ES3_jPlS8_PNS0_10empty_typeENS0_5tupleIJS8_S9_EEENSB_IJS8_SA_EEENS0_18inequality_wrapperIZN2at6native12_GLOBAL__N_124unique_dim_cuda_templateIiEESt5tupleIJNSF_6TensorESK_SK_EERKSK_lbbbEUlllE0_EEPmJS9_EEE10hipError_tPvRmT3_T4_T5_T6_T7_T9_mT8_P12ihipStream_tbDpT10_ENKUlT_T0_E_clISt17integral_constantIbLb1EES1A_EEDaS15_S16_EUlS15_E_NS1_11comp_targetILNS1_3genE3ELNS1_11target_archE908ELNS1_3gpuE7ELNS1_3repE0EEENS1_30default_config_static_selectorELNS0_4arch9wavefront6targetE1EEEvT1_.kd
    .uniform_work_group_size: 1
    .uses_dynamic_stack: false
    .vgpr_count:     0
    .vgpr_spill_count: 0
    .wavefront_size: 64
  - .agpr_count:     0
    .args:
      - .offset:         0
        .size:           136
        .value_kind:     by_value
    .group_segment_fixed_size: 0
    .kernarg_segment_align: 8
    .kernarg_segment_size: 136
    .language:       OpenCL C
    .language_version:
      - 2
      - 0
    .max_flat_workgroup_size: 192
    .name:           _ZN7rocprim17ROCPRIM_400000_NS6detail17trampoline_kernelINS0_14default_configENS1_25partition_config_selectorILNS1_17partition_subalgoE9EllbEEZZNS1_14partition_implILS5_9ELb0ES3_jPlS8_PNS0_10empty_typeENS0_5tupleIJS8_S9_EEENSB_IJS8_SA_EEENS0_18inequality_wrapperIZN2at6native12_GLOBAL__N_124unique_dim_cuda_templateIiEESt5tupleIJNSF_6TensorESK_SK_EERKSK_lbbbEUlllE0_EEPmJS9_EEE10hipError_tPvRmT3_T4_T5_T6_T7_T9_mT8_P12ihipStream_tbDpT10_ENKUlT_T0_E_clISt17integral_constantIbLb1EES1A_EEDaS15_S16_EUlS15_E_NS1_11comp_targetILNS1_3genE2ELNS1_11target_archE906ELNS1_3gpuE6ELNS1_3repE0EEENS1_30default_config_static_selectorELNS0_4arch9wavefront6targetE1EEEvT1_
    .private_segment_fixed_size: 0
    .sgpr_count:     6
    .sgpr_spill_count: 0
    .symbol:         _ZN7rocprim17ROCPRIM_400000_NS6detail17trampoline_kernelINS0_14default_configENS1_25partition_config_selectorILNS1_17partition_subalgoE9EllbEEZZNS1_14partition_implILS5_9ELb0ES3_jPlS8_PNS0_10empty_typeENS0_5tupleIJS8_S9_EEENSB_IJS8_SA_EEENS0_18inequality_wrapperIZN2at6native12_GLOBAL__N_124unique_dim_cuda_templateIiEESt5tupleIJNSF_6TensorESK_SK_EERKSK_lbbbEUlllE0_EEPmJS9_EEE10hipError_tPvRmT3_T4_T5_T6_T7_T9_mT8_P12ihipStream_tbDpT10_ENKUlT_T0_E_clISt17integral_constantIbLb1EES1A_EEDaS15_S16_EUlS15_E_NS1_11comp_targetILNS1_3genE2ELNS1_11target_archE906ELNS1_3gpuE6ELNS1_3repE0EEENS1_30default_config_static_selectorELNS0_4arch9wavefront6targetE1EEEvT1_.kd
    .uniform_work_group_size: 1
    .uses_dynamic_stack: false
    .vgpr_count:     0
    .vgpr_spill_count: 0
    .wavefront_size: 64
  - .agpr_count:     0
    .args:
      - .offset:         0
        .size:           136
        .value_kind:     by_value
    .group_segment_fixed_size: 0
    .kernarg_segment_align: 8
    .kernarg_segment_size: 136
    .language:       OpenCL C
    .language_version:
      - 2
      - 0
    .max_flat_workgroup_size: 384
    .name:           _ZN7rocprim17ROCPRIM_400000_NS6detail17trampoline_kernelINS0_14default_configENS1_25partition_config_selectorILNS1_17partition_subalgoE9EllbEEZZNS1_14partition_implILS5_9ELb0ES3_jPlS8_PNS0_10empty_typeENS0_5tupleIJS8_S9_EEENSB_IJS8_SA_EEENS0_18inequality_wrapperIZN2at6native12_GLOBAL__N_124unique_dim_cuda_templateIiEESt5tupleIJNSF_6TensorESK_SK_EERKSK_lbbbEUlllE0_EEPmJS9_EEE10hipError_tPvRmT3_T4_T5_T6_T7_T9_mT8_P12ihipStream_tbDpT10_ENKUlT_T0_E_clISt17integral_constantIbLb1EES1A_EEDaS15_S16_EUlS15_E_NS1_11comp_targetILNS1_3genE10ELNS1_11target_archE1200ELNS1_3gpuE4ELNS1_3repE0EEENS1_30default_config_static_selectorELNS0_4arch9wavefront6targetE1EEEvT1_
    .private_segment_fixed_size: 0
    .sgpr_count:     6
    .sgpr_spill_count: 0
    .symbol:         _ZN7rocprim17ROCPRIM_400000_NS6detail17trampoline_kernelINS0_14default_configENS1_25partition_config_selectorILNS1_17partition_subalgoE9EllbEEZZNS1_14partition_implILS5_9ELb0ES3_jPlS8_PNS0_10empty_typeENS0_5tupleIJS8_S9_EEENSB_IJS8_SA_EEENS0_18inequality_wrapperIZN2at6native12_GLOBAL__N_124unique_dim_cuda_templateIiEESt5tupleIJNSF_6TensorESK_SK_EERKSK_lbbbEUlllE0_EEPmJS9_EEE10hipError_tPvRmT3_T4_T5_T6_T7_T9_mT8_P12ihipStream_tbDpT10_ENKUlT_T0_E_clISt17integral_constantIbLb1EES1A_EEDaS15_S16_EUlS15_E_NS1_11comp_targetILNS1_3genE10ELNS1_11target_archE1200ELNS1_3gpuE4ELNS1_3repE0EEENS1_30default_config_static_selectorELNS0_4arch9wavefront6targetE1EEEvT1_.kd
    .uniform_work_group_size: 1
    .uses_dynamic_stack: false
    .vgpr_count:     0
    .vgpr_spill_count: 0
    .wavefront_size: 64
  - .agpr_count:     0
    .args:
      - .offset:         0
        .size:           136
        .value_kind:     by_value
    .group_segment_fixed_size: 0
    .kernarg_segment_align: 8
    .kernarg_segment_size: 136
    .language:       OpenCL C
    .language_version:
      - 2
      - 0
    .max_flat_workgroup_size: 512
    .name:           _ZN7rocprim17ROCPRIM_400000_NS6detail17trampoline_kernelINS0_14default_configENS1_25partition_config_selectorILNS1_17partition_subalgoE9EllbEEZZNS1_14partition_implILS5_9ELb0ES3_jPlS8_PNS0_10empty_typeENS0_5tupleIJS8_S9_EEENSB_IJS8_SA_EEENS0_18inequality_wrapperIZN2at6native12_GLOBAL__N_124unique_dim_cuda_templateIiEESt5tupleIJNSF_6TensorESK_SK_EERKSK_lbbbEUlllE0_EEPmJS9_EEE10hipError_tPvRmT3_T4_T5_T6_T7_T9_mT8_P12ihipStream_tbDpT10_ENKUlT_T0_E_clISt17integral_constantIbLb1EES1A_EEDaS15_S16_EUlS15_E_NS1_11comp_targetILNS1_3genE9ELNS1_11target_archE1100ELNS1_3gpuE3ELNS1_3repE0EEENS1_30default_config_static_selectorELNS0_4arch9wavefront6targetE1EEEvT1_
    .private_segment_fixed_size: 0
    .sgpr_count:     6
    .sgpr_spill_count: 0
    .symbol:         _ZN7rocprim17ROCPRIM_400000_NS6detail17trampoline_kernelINS0_14default_configENS1_25partition_config_selectorILNS1_17partition_subalgoE9EllbEEZZNS1_14partition_implILS5_9ELb0ES3_jPlS8_PNS0_10empty_typeENS0_5tupleIJS8_S9_EEENSB_IJS8_SA_EEENS0_18inequality_wrapperIZN2at6native12_GLOBAL__N_124unique_dim_cuda_templateIiEESt5tupleIJNSF_6TensorESK_SK_EERKSK_lbbbEUlllE0_EEPmJS9_EEE10hipError_tPvRmT3_T4_T5_T6_T7_T9_mT8_P12ihipStream_tbDpT10_ENKUlT_T0_E_clISt17integral_constantIbLb1EES1A_EEDaS15_S16_EUlS15_E_NS1_11comp_targetILNS1_3genE9ELNS1_11target_archE1100ELNS1_3gpuE3ELNS1_3repE0EEENS1_30default_config_static_selectorELNS0_4arch9wavefront6targetE1EEEvT1_.kd
    .uniform_work_group_size: 1
    .uses_dynamic_stack: false
    .vgpr_count:     0
    .vgpr_spill_count: 0
    .wavefront_size: 64
  - .agpr_count:     0
    .args:
      - .offset:         0
        .size:           136
        .value_kind:     by_value
    .group_segment_fixed_size: 0
    .kernarg_segment_align: 8
    .kernarg_segment_size: 136
    .language:       OpenCL C
    .language_version:
      - 2
      - 0
    .max_flat_workgroup_size: 512
    .name:           _ZN7rocprim17ROCPRIM_400000_NS6detail17trampoline_kernelINS0_14default_configENS1_25partition_config_selectorILNS1_17partition_subalgoE9EllbEEZZNS1_14partition_implILS5_9ELb0ES3_jPlS8_PNS0_10empty_typeENS0_5tupleIJS8_S9_EEENSB_IJS8_SA_EEENS0_18inequality_wrapperIZN2at6native12_GLOBAL__N_124unique_dim_cuda_templateIiEESt5tupleIJNSF_6TensorESK_SK_EERKSK_lbbbEUlllE0_EEPmJS9_EEE10hipError_tPvRmT3_T4_T5_T6_T7_T9_mT8_P12ihipStream_tbDpT10_ENKUlT_T0_E_clISt17integral_constantIbLb1EES1A_EEDaS15_S16_EUlS15_E_NS1_11comp_targetILNS1_3genE8ELNS1_11target_archE1030ELNS1_3gpuE2ELNS1_3repE0EEENS1_30default_config_static_selectorELNS0_4arch9wavefront6targetE1EEEvT1_
    .private_segment_fixed_size: 0
    .sgpr_count:     6
    .sgpr_spill_count: 0
    .symbol:         _ZN7rocprim17ROCPRIM_400000_NS6detail17trampoline_kernelINS0_14default_configENS1_25partition_config_selectorILNS1_17partition_subalgoE9EllbEEZZNS1_14partition_implILS5_9ELb0ES3_jPlS8_PNS0_10empty_typeENS0_5tupleIJS8_S9_EEENSB_IJS8_SA_EEENS0_18inequality_wrapperIZN2at6native12_GLOBAL__N_124unique_dim_cuda_templateIiEESt5tupleIJNSF_6TensorESK_SK_EERKSK_lbbbEUlllE0_EEPmJS9_EEE10hipError_tPvRmT3_T4_T5_T6_T7_T9_mT8_P12ihipStream_tbDpT10_ENKUlT_T0_E_clISt17integral_constantIbLb1EES1A_EEDaS15_S16_EUlS15_E_NS1_11comp_targetILNS1_3genE8ELNS1_11target_archE1030ELNS1_3gpuE2ELNS1_3repE0EEENS1_30default_config_static_selectorELNS0_4arch9wavefront6targetE1EEEvT1_.kd
    .uniform_work_group_size: 1
    .uses_dynamic_stack: false
    .vgpr_count:     0
    .vgpr_spill_count: 0
    .wavefront_size: 64
  - .agpr_count:     0
    .args:
      - .offset:         0
        .size:           120
        .value_kind:     by_value
    .group_segment_fixed_size: 0
    .kernarg_segment_align: 8
    .kernarg_segment_size: 120
    .language:       OpenCL C
    .language_version:
      - 2
      - 0
    .max_flat_workgroup_size: 128
    .name:           _ZN7rocprim17ROCPRIM_400000_NS6detail17trampoline_kernelINS0_14default_configENS1_25partition_config_selectorILNS1_17partition_subalgoE9EllbEEZZNS1_14partition_implILS5_9ELb0ES3_jPlS8_PNS0_10empty_typeENS0_5tupleIJS8_S9_EEENSB_IJS8_SA_EEENS0_18inequality_wrapperIZN2at6native12_GLOBAL__N_124unique_dim_cuda_templateIiEESt5tupleIJNSF_6TensorESK_SK_EERKSK_lbbbEUlllE0_EEPmJS9_EEE10hipError_tPvRmT3_T4_T5_T6_T7_T9_mT8_P12ihipStream_tbDpT10_ENKUlT_T0_E_clISt17integral_constantIbLb1EES19_IbLb0EEEEDaS15_S16_EUlS15_E_NS1_11comp_targetILNS1_3genE0ELNS1_11target_archE4294967295ELNS1_3gpuE0ELNS1_3repE0EEENS1_30default_config_static_selectorELNS0_4arch9wavefront6targetE1EEEvT1_
    .private_segment_fixed_size: 0
    .sgpr_count:     6
    .sgpr_spill_count: 0
    .symbol:         _ZN7rocprim17ROCPRIM_400000_NS6detail17trampoline_kernelINS0_14default_configENS1_25partition_config_selectorILNS1_17partition_subalgoE9EllbEEZZNS1_14partition_implILS5_9ELb0ES3_jPlS8_PNS0_10empty_typeENS0_5tupleIJS8_S9_EEENSB_IJS8_SA_EEENS0_18inequality_wrapperIZN2at6native12_GLOBAL__N_124unique_dim_cuda_templateIiEESt5tupleIJNSF_6TensorESK_SK_EERKSK_lbbbEUlllE0_EEPmJS9_EEE10hipError_tPvRmT3_T4_T5_T6_T7_T9_mT8_P12ihipStream_tbDpT10_ENKUlT_T0_E_clISt17integral_constantIbLb1EES19_IbLb0EEEEDaS15_S16_EUlS15_E_NS1_11comp_targetILNS1_3genE0ELNS1_11target_archE4294967295ELNS1_3gpuE0ELNS1_3repE0EEENS1_30default_config_static_selectorELNS0_4arch9wavefront6targetE1EEEvT1_.kd
    .uniform_work_group_size: 1
    .uses_dynamic_stack: false
    .vgpr_count:     0
    .vgpr_spill_count: 0
    .wavefront_size: 64
  - .agpr_count:     0
    .args:
      - .offset:         0
        .size:           120
        .value_kind:     by_value
    .group_segment_fixed_size: 28684
    .kernarg_segment_align: 8
    .kernarg_segment_size: 120
    .language:       OpenCL C
    .language_version:
      - 2
      - 0
    .max_flat_workgroup_size: 512
    .name:           _ZN7rocprim17ROCPRIM_400000_NS6detail17trampoline_kernelINS0_14default_configENS1_25partition_config_selectorILNS1_17partition_subalgoE9EllbEEZZNS1_14partition_implILS5_9ELb0ES3_jPlS8_PNS0_10empty_typeENS0_5tupleIJS8_S9_EEENSB_IJS8_SA_EEENS0_18inequality_wrapperIZN2at6native12_GLOBAL__N_124unique_dim_cuda_templateIiEESt5tupleIJNSF_6TensorESK_SK_EERKSK_lbbbEUlllE0_EEPmJS9_EEE10hipError_tPvRmT3_T4_T5_T6_T7_T9_mT8_P12ihipStream_tbDpT10_ENKUlT_T0_E_clISt17integral_constantIbLb1EES19_IbLb0EEEEDaS15_S16_EUlS15_E_NS1_11comp_targetILNS1_3genE5ELNS1_11target_archE942ELNS1_3gpuE9ELNS1_3repE0EEENS1_30default_config_static_selectorELNS0_4arch9wavefront6targetE1EEEvT1_
    .private_segment_fixed_size: 0
    .sgpr_count:     58
    .sgpr_spill_count: 0
    .symbol:         _ZN7rocprim17ROCPRIM_400000_NS6detail17trampoline_kernelINS0_14default_configENS1_25partition_config_selectorILNS1_17partition_subalgoE9EllbEEZZNS1_14partition_implILS5_9ELb0ES3_jPlS8_PNS0_10empty_typeENS0_5tupleIJS8_S9_EEENSB_IJS8_SA_EEENS0_18inequality_wrapperIZN2at6native12_GLOBAL__N_124unique_dim_cuda_templateIiEESt5tupleIJNSF_6TensorESK_SK_EERKSK_lbbbEUlllE0_EEPmJS9_EEE10hipError_tPvRmT3_T4_T5_T6_T7_T9_mT8_P12ihipStream_tbDpT10_ENKUlT_T0_E_clISt17integral_constantIbLb1EES19_IbLb0EEEEDaS15_S16_EUlS15_E_NS1_11comp_targetILNS1_3genE5ELNS1_11target_archE942ELNS1_3gpuE9ELNS1_3repE0EEENS1_30default_config_static_selectorELNS0_4arch9wavefront6targetE1EEEvT1_.kd
    .uniform_work_group_size: 1
    .uses_dynamic_stack: false
    .vgpr_count:     66
    .vgpr_spill_count: 0
    .wavefront_size: 64
  - .agpr_count:     0
    .args:
      - .offset:         0
        .size:           120
        .value_kind:     by_value
    .group_segment_fixed_size: 0
    .kernarg_segment_align: 8
    .kernarg_segment_size: 120
    .language:       OpenCL C
    .language_version:
      - 2
      - 0
    .max_flat_workgroup_size: 128
    .name:           _ZN7rocprim17ROCPRIM_400000_NS6detail17trampoline_kernelINS0_14default_configENS1_25partition_config_selectorILNS1_17partition_subalgoE9EllbEEZZNS1_14partition_implILS5_9ELb0ES3_jPlS8_PNS0_10empty_typeENS0_5tupleIJS8_S9_EEENSB_IJS8_SA_EEENS0_18inequality_wrapperIZN2at6native12_GLOBAL__N_124unique_dim_cuda_templateIiEESt5tupleIJNSF_6TensorESK_SK_EERKSK_lbbbEUlllE0_EEPmJS9_EEE10hipError_tPvRmT3_T4_T5_T6_T7_T9_mT8_P12ihipStream_tbDpT10_ENKUlT_T0_E_clISt17integral_constantIbLb1EES19_IbLb0EEEEDaS15_S16_EUlS15_E_NS1_11comp_targetILNS1_3genE4ELNS1_11target_archE910ELNS1_3gpuE8ELNS1_3repE0EEENS1_30default_config_static_selectorELNS0_4arch9wavefront6targetE1EEEvT1_
    .private_segment_fixed_size: 0
    .sgpr_count:     6
    .sgpr_spill_count: 0
    .symbol:         _ZN7rocprim17ROCPRIM_400000_NS6detail17trampoline_kernelINS0_14default_configENS1_25partition_config_selectorILNS1_17partition_subalgoE9EllbEEZZNS1_14partition_implILS5_9ELb0ES3_jPlS8_PNS0_10empty_typeENS0_5tupleIJS8_S9_EEENSB_IJS8_SA_EEENS0_18inequality_wrapperIZN2at6native12_GLOBAL__N_124unique_dim_cuda_templateIiEESt5tupleIJNSF_6TensorESK_SK_EERKSK_lbbbEUlllE0_EEPmJS9_EEE10hipError_tPvRmT3_T4_T5_T6_T7_T9_mT8_P12ihipStream_tbDpT10_ENKUlT_T0_E_clISt17integral_constantIbLb1EES19_IbLb0EEEEDaS15_S16_EUlS15_E_NS1_11comp_targetILNS1_3genE4ELNS1_11target_archE910ELNS1_3gpuE8ELNS1_3repE0EEENS1_30default_config_static_selectorELNS0_4arch9wavefront6targetE1EEEvT1_.kd
    .uniform_work_group_size: 1
    .uses_dynamic_stack: false
    .vgpr_count:     0
    .vgpr_spill_count: 0
    .wavefront_size: 64
  - .agpr_count:     0
    .args:
      - .offset:         0
        .size:           120
        .value_kind:     by_value
    .group_segment_fixed_size: 0
    .kernarg_segment_align: 8
    .kernarg_segment_size: 120
    .language:       OpenCL C
    .language_version:
      - 2
      - 0
    .max_flat_workgroup_size: 128
    .name:           _ZN7rocprim17ROCPRIM_400000_NS6detail17trampoline_kernelINS0_14default_configENS1_25partition_config_selectorILNS1_17partition_subalgoE9EllbEEZZNS1_14partition_implILS5_9ELb0ES3_jPlS8_PNS0_10empty_typeENS0_5tupleIJS8_S9_EEENSB_IJS8_SA_EEENS0_18inequality_wrapperIZN2at6native12_GLOBAL__N_124unique_dim_cuda_templateIiEESt5tupleIJNSF_6TensorESK_SK_EERKSK_lbbbEUlllE0_EEPmJS9_EEE10hipError_tPvRmT3_T4_T5_T6_T7_T9_mT8_P12ihipStream_tbDpT10_ENKUlT_T0_E_clISt17integral_constantIbLb1EES19_IbLb0EEEEDaS15_S16_EUlS15_E_NS1_11comp_targetILNS1_3genE3ELNS1_11target_archE908ELNS1_3gpuE7ELNS1_3repE0EEENS1_30default_config_static_selectorELNS0_4arch9wavefront6targetE1EEEvT1_
    .private_segment_fixed_size: 0
    .sgpr_count:     6
    .sgpr_spill_count: 0
    .symbol:         _ZN7rocprim17ROCPRIM_400000_NS6detail17trampoline_kernelINS0_14default_configENS1_25partition_config_selectorILNS1_17partition_subalgoE9EllbEEZZNS1_14partition_implILS5_9ELb0ES3_jPlS8_PNS0_10empty_typeENS0_5tupleIJS8_S9_EEENSB_IJS8_SA_EEENS0_18inequality_wrapperIZN2at6native12_GLOBAL__N_124unique_dim_cuda_templateIiEESt5tupleIJNSF_6TensorESK_SK_EERKSK_lbbbEUlllE0_EEPmJS9_EEE10hipError_tPvRmT3_T4_T5_T6_T7_T9_mT8_P12ihipStream_tbDpT10_ENKUlT_T0_E_clISt17integral_constantIbLb1EES19_IbLb0EEEEDaS15_S16_EUlS15_E_NS1_11comp_targetILNS1_3genE3ELNS1_11target_archE908ELNS1_3gpuE7ELNS1_3repE0EEENS1_30default_config_static_selectorELNS0_4arch9wavefront6targetE1EEEvT1_.kd
    .uniform_work_group_size: 1
    .uses_dynamic_stack: false
    .vgpr_count:     0
    .vgpr_spill_count: 0
    .wavefront_size: 64
  - .agpr_count:     0
    .args:
      - .offset:         0
        .size:           120
        .value_kind:     by_value
    .group_segment_fixed_size: 0
    .kernarg_segment_align: 8
    .kernarg_segment_size: 120
    .language:       OpenCL C
    .language_version:
      - 2
      - 0
    .max_flat_workgroup_size: 192
    .name:           _ZN7rocprim17ROCPRIM_400000_NS6detail17trampoline_kernelINS0_14default_configENS1_25partition_config_selectorILNS1_17partition_subalgoE9EllbEEZZNS1_14partition_implILS5_9ELb0ES3_jPlS8_PNS0_10empty_typeENS0_5tupleIJS8_S9_EEENSB_IJS8_SA_EEENS0_18inequality_wrapperIZN2at6native12_GLOBAL__N_124unique_dim_cuda_templateIiEESt5tupleIJNSF_6TensorESK_SK_EERKSK_lbbbEUlllE0_EEPmJS9_EEE10hipError_tPvRmT3_T4_T5_T6_T7_T9_mT8_P12ihipStream_tbDpT10_ENKUlT_T0_E_clISt17integral_constantIbLb1EES19_IbLb0EEEEDaS15_S16_EUlS15_E_NS1_11comp_targetILNS1_3genE2ELNS1_11target_archE906ELNS1_3gpuE6ELNS1_3repE0EEENS1_30default_config_static_selectorELNS0_4arch9wavefront6targetE1EEEvT1_
    .private_segment_fixed_size: 0
    .sgpr_count:     6
    .sgpr_spill_count: 0
    .symbol:         _ZN7rocprim17ROCPRIM_400000_NS6detail17trampoline_kernelINS0_14default_configENS1_25partition_config_selectorILNS1_17partition_subalgoE9EllbEEZZNS1_14partition_implILS5_9ELb0ES3_jPlS8_PNS0_10empty_typeENS0_5tupleIJS8_S9_EEENSB_IJS8_SA_EEENS0_18inequality_wrapperIZN2at6native12_GLOBAL__N_124unique_dim_cuda_templateIiEESt5tupleIJNSF_6TensorESK_SK_EERKSK_lbbbEUlllE0_EEPmJS9_EEE10hipError_tPvRmT3_T4_T5_T6_T7_T9_mT8_P12ihipStream_tbDpT10_ENKUlT_T0_E_clISt17integral_constantIbLb1EES19_IbLb0EEEEDaS15_S16_EUlS15_E_NS1_11comp_targetILNS1_3genE2ELNS1_11target_archE906ELNS1_3gpuE6ELNS1_3repE0EEENS1_30default_config_static_selectorELNS0_4arch9wavefront6targetE1EEEvT1_.kd
    .uniform_work_group_size: 1
    .uses_dynamic_stack: false
    .vgpr_count:     0
    .vgpr_spill_count: 0
    .wavefront_size: 64
  - .agpr_count:     0
    .args:
      - .offset:         0
        .size:           120
        .value_kind:     by_value
    .group_segment_fixed_size: 0
    .kernarg_segment_align: 8
    .kernarg_segment_size: 120
    .language:       OpenCL C
    .language_version:
      - 2
      - 0
    .max_flat_workgroup_size: 384
    .name:           _ZN7rocprim17ROCPRIM_400000_NS6detail17trampoline_kernelINS0_14default_configENS1_25partition_config_selectorILNS1_17partition_subalgoE9EllbEEZZNS1_14partition_implILS5_9ELb0ES3_jPlS8_PNS0_10empty_typeENS0_5tupleIJS8_S9_EEENSB_IJS8_SA_EEENS0_18inequality_wrapperIZN2at6native12_GLOBAL__N_124unique_dim_cuda_templateIiEESt5tupleIJNSF_6TensorESK_SK_EERKSK_lbbbEUlllE0_EEPmJS9_EEE10hipError_tPvRmT3_T4_T5_T6_T7_T9_mT8_P12ihipStream_tbDpT10_ENKUlT_T0_E_clISt17integral_constantIbLb1EES19_IbLb0EEEEDaS15_S16_EUlS15_E_NS1_11comp_targetILNS1_3genE10ELNS1_11target_archE1200ELNS1_3gpuE4ELNS1_3repE0EEENS1_30default_config_static_selectorELNS0_4arch9wavefront6targetE1EEEvT1_
    .private_segment_fixed_size: 0
    .sgpr_count:     6
    .sgpr_spill_count: 0
    .symbol:         _ZN7rocprim17ROCPRIM_400000_NS6detail17trampoline_kernelINS0_14default_configENS1_25partition_config_selectorILNS1_17partition_subalgoE9EllbEEZZNS1_14partition_implILS5_9ELb0ES3_jPlS8_PNS0_10empty_typeENS0_5tupleIJS8_S9_EEENSB_IJS8_SA_EEENS0_18inequality_wrapperIZN2at6native12_GLOBAL__N_124unique_dim_cuda_templateIiEESt5tupleIJNSF_6TensorESK_SK_EERKSK_lbbbEUlllE0_EEPmJS9_EEE10hipError_tPvRmT3_T4_T5_T6_T7_T9_mT8_P12ihipStream_tbDpT10_ENKUlT_T0_E_clISt17integral_constantIbLb1EES19_IbLb0EEEEDaS15_S16_EUlS15_E_NS1_11comp_targetILNS1_3genE10ELNS1_11target_archE1200ELNS1_3gpuE4ELNS1_3repE0EEENS1_30default_config_static_selectorELNS0_4arch9wavefront6targetE1EEEvT1_.kd
    .uniform_work_group_size: 1
    .uses_dynamic_stack: false
    .vgpr_count:     0
    .vgpr_spill_count: 0
    .wavefront_size: 64
  - .agpr_count:     0
    .args:
      - .offset:         0
        .size:           120
        .value_kind:     by_value
    .group_segment_fixed_size: 0
    .kernarg_segment_align: 8
    .kernarg_segment_size: 120
    .language:       OpenCL C
    .language_version:
      - 2
      - 0
    .max_flat_workgroup_size: 512
    .name:           _ZN7rocprim17ROCPRIM_400000_NS6detail17trampoline_kernelINS0_14default_configENS1_25partition_config_selectorILNS1_17partition_subalgoE9EllbEEZZNS1_14partition_implILS5_9ELb0ES3_jPlS8_PNS0_10empty_typeENS0_5tupleIJS8_S9_EEENSB_IJS8_SA_EEENS0_18inequality_wrapperIZN2at6native12_GLOBAL__N_124unique_dim_cuda_templateIiEESt5tupleIJNSF_6TensorESK_SK_EERKSK_lbbbEUlllE0_EEPmJS9_EEE10hipError_tPvRmT3_T4_T5_T6_T7_T9_mT8_P12ihipStream_tbDpT10_ENKUlT_T0_E_clISt17integral_constantIbLb1EES19_IbLb0EEEEDaS15_S16_EUlS15_E_NS1_11comp_targetILNS1_3genE9ELNS1_11target_archE1100ELNS1_3gpuE3ELNS1_3repE0EEENS1_30default_config_static_selectorELNS0_4arch9wavefront6targetE1EEEvT1_
    .private_segment_fixed_size: 0
    .sgpr_count:     6
    .sgpr_spill_count: 0
    .symbol:         _ZN7rocprim17ROCPRIM_400000_NS6detail17trampoline_kernelINS0_14default_configENS1_25partition_config_selectorILNS1_17partition_subalgoE9EllbEEZZNS1_14partition_implILS5_9ELb0ES3_jPlS8_PNS0_10empty_typeENS0_5tupleIJS8_S9_EEENSB_IJS8_SA_EEENS0_18inequality_wrapperIZN2at6native12_GLOBAL__N_124unique_dim_cuda_templateIiEESt5tupleIJNSF_6TensorESK_SK_EERKSK_lbbbEUlllE0_EEPmJS9_EEE10hipError_tPvRmT3_T4_T5_T6_T7_T9_mT8_P12ihipStream_tbDpT10_ENKUlT_T0_E_clISt17integral_constantIbLb1EES19_IbLb0EEEEDaS15_S16_EUlS15_E_NS1_11comp_targetILNS1_3genE9ELNS1_11target_archE1100ELNS1_3gpuE3ELNS1_3repE0EEENS1_30default_config_static_selectorELNS0_4arch9wavefront6targetE1EEEvT1_.kd
    .uniform_work_group_size: 1
    .uses_dynamic_stack: false
    .vgpr_count:     0
    .vgpr_spill_count: 0
    .wavefront_size: 64
  - .agpr_count:     0
    .args:
      - .offset:         0
        .size:           120
        .value_kind:     by_value
    .group_segment_fixed_size: 0
    .kernarg_segment_align: 8
    .kernarg_segment_size: 120
    .language:       OpenCL C
    .language_version:
      - 2
      - 0
    .max_flat_workgroup_size: 512
    .name:           _ZN7rocprim17ROCPRIM_400000_NS6detail17trampoline_kernelINS0_14default_configENS1_25partition_config_selectorILNS1_17partition_subalgoE9EllbEEZZNS1_14partition_implILS5_9ELb0ES3_jPlS8_PNS0_10empty_typeENS0_5tupleIJS8_S9_EEENSB_IJS8_SA_EEENS0_18inequality_wrapperIZN2at6native12_GLOBAL__N_124unique_dim_cuda_templateIiEESt5tupleIJNSF_6TensorESK_SK_EERKSK_lbbbEUlllE0_EEPmJS9_EEE10hipError_tPvRmT3_T4_T5_T6_T7_T9_mT8_P12ihipStream_tbDpT10_ENKUlT_T0_E_clISt17integral_constantIbLb1EES19_IbLb0EEEEDaS15_S16_EUlS15_E_NS1_11comp_targetILNS1_3genE8ELNS1_11target_archE1030ELNS1_3gpuE2ELNS1_3repE0EEENS1_30default_config_static_selectorELNS0_4arch9wavefront6targetE1EEEvT1_
    .private_segment_fixed_size: 0
    .sgpr_count:     6
    .sgpr_spill_count: 0
    .symbol:         _ZN7rocprim17ROCPRIM_400000_NS6detail17trampoline_kernelINS0_14default_configENS1_25partition_config_selectorILNS1_17partition_subalgoE9EllbEEZZNS1_14partition_implILS5_9ELb0ES3_jPlS8_PNS0_10empty_typeENS0_5tupleIJS8_S9_EEENSB_IJS8_SA_EEENS0_18inequality_wrapperIZN2at6native12_GLOBAL__N_124unique_dim_cuda_templateIiEESt5tupleIJNSF_6TensorESK_SK_EERKSK_lbbbEUlllE0_EEPmJS9_EEE10hipError_tPvRmT3_T4_T5_T6_T7_T9_mT8_P12ihipStream_tbDpT10_ENKUlT_T0_E_clISt17integral_constantIbLb1EES19_IbLb0EEEEDaS15_S16_EUlS15_E_NS1_11comp_targetILNS1_3genE8ELNS1_11target_archE1030ELNS1_3gpuE2ELNS1_3repE0EEENS1_30default_config_static_selectorELNS0_4arch9wavefront6targetE1EEEvT1_.kd
    .uniform_work_group_size: 1
    .uses_dynamic_stack: false
    .vgpr_count:     0
    .vgpr_spill_count: 0
    .wavefront_size: 64
  - .agpr_count:     0
    .args:
      - .offset:         0
        .size:           136
        .value_kind:     by_value
    .group_segment_fixed_size: 0
    .kernarg_segment_align: 8
    .kernarg_segment_size: 136
    .language:       OpenCL C
    .language_version:
      - 2
      - 0
    .max_flat_workgroup_size: 128
    .name:           _ZN7rocprim17ROCPRIM_400000_NS6detail17trampoline_kernelINS0_14default_configENS1_25partition_config_selectorILNS1_17partition_subalgoE9EllbEEZZNS1_14partition_implILS5_9ELb0ES3_jPlS8_PNS0_10empty_typeENS0_5tupleIJS8_S9_EEENSB_IJS8_SA_EEENS0_18inequality_wrapperIZN2at6native12_GLOBAL__N_124unique_dim_cuda_templateIiEESt5tupleIJNSF_6TensorESK_SK_EERKSK_lbbbEUlllE0_EEPmJS9_EEE10hipError_tPvRmT3_T4_T5_T6_T7_T9_mT8_P12ihipStream_tbDpT10_ENKUlT_T0_E_clISt17integral_constantIbLb0EES19_IbLb1EEEEDaS15_S16_EUlS15_E_NS1_11comp_targetILNS1_3genE0ELNS1_11target_archE4294967295ELNS1_3gpuE0ELNS1_3repE0EEENS1_30default_config_static_selectorELNS0_4arch9wavefront6targetE1EEEvT1_
    .private_segment_fixed_size: 0
    .sgpr_count:     6
    .sgpr_spill_count: 0
    .symbol:         _ZN7rocprim17ROCPRIM_400000_NS6detail17trampoline_kernelINS0_14default_configENS1_25partition_config_selectorILNS1_17partition_subalgoE9EllbEEZZNS1_14partition_implILS5_9ELb0ES3_jPlS8_PNS0_10empty_typeENS0_5tupleIJS8_S9_EEENSB_IJS8_SA_EEENS0_18inequality_wrapperIZN2at6native12_GLOBAL__N_124unique_dim_cuda_templateIiEESt5tupleIJNSF_6TensorESK_SK_EERKSK_lbbbEUlllE0_EEPmJS9_EEE10hipError_tPvRmT3_T4_T5_T6_T7_T9_mT8_P12ihipStream_tbDpT10_ENKUlT_T0_E_clISt17integral_constantIbLb0EES19_IbLb1EEEEDaS15_S16_EUlS15_E_NS1_11comp_targetILNS1_3genE0ELNS1_11target_archE4294967295ELNS1_3gpuE0ELNS1_3repE0EEENS1_30default_config_static_selectorELNS0_4arch9wavefront6targetE1EEEvT1_.kd
    .uniform_work_group_size: 1
    .uses_dynamic_stack: false
    .vgpr_count:     0
    .vgpr_spill_count: 0
    .wavefront_size: 64
  - .agpr_count:     0
    .args:
      - .offset:         0
        .size:           136
        .value_kind:     by_value
    .group_segment_fixed_size: 28684
    .kernarg_segment_align: 8
    .kernarg_segment_size: 136
    .language:       OpenCL C
    .language_version:
      - 2
      - 0
    .max_flat_workgroup_size: 512
    .name:           _ZN7rocprim17ROCPRIM_400000_NS6detail17trampoline_kernelINS0_14default_configENS1_25partition_config_selectorILNS1_17partition_subalgoE9EllbEEZZNS1_14partition_implILS5_9ELb0ES3_jPlS8_PNS0_10empty_typeENS0_5tupleIJS8_S9_EEENSB_IJS8_SA_EEENS0_18inequality_wrapperIZN2at6native12_GLOBAL__N_124unique_dim_cuda_templateIiEESt5tupleIJNSF_6TensorESK_SK_EERKSK_lbbbEUlllE0_EEPmJS9_EEE10hipError_tPvRmT3_T4_T5_T6_T7_T9_mT8_P12ihipStream_tbDpT10_ENKUlT_T0_E_clISt17integral_constantIbLb0EES19_IbLb1EEEEDaS15_S16_EUlS15_E_NS1_11comp_targetILNS1_3genE5ELNS1_11target_archE942ELNS1_3gpuE9ELNS1_3repE0EEENS1_30default_config_static_selectorELNS0_4arch9wavefront6targetE1EEEvT1_
    .private_segment_fixed_size: 0
    .sgpr_count:     64
    .sgpr_spill_count: 0
    .symbol:         _ZN7rocprim17ROCPRIM_400000_NS6detail17trampoline_kernelINS0_14default_configENS1_25partition_config_selectorILNS1_17partition_subalgoE9EllbEEZZNS1_14partition_implILS5_9ELb0ES3_jPlS8_PNS0_10empty_typeENS0_5tupleIJS8_S9_EEENSB_IJS8_SA_EEENS0_18inequality_wrapperIZN2at6native12_GLOBAL__N_124unique_dim_cuda_templateIiEESt5tupleIJNSF_6TensorESK_SK_EERKSK_lbbbEUlllE0_EEPmJS9_EEE10hipError_tPvRmT3_T4_T5_T6_T7_T9_mT8_P12ihipStream_tbDpT10_ENKUlT_T0_E_clISt17integral_constantIbLb0EES19_IbLb1EEEEDaS15_S16_EUlS15_E_NS1_11comp_targetILNS1_3genE5ELNS1_11target_archE942ELNS1_3gpuE9ELNS1_3repE0EEENS1_30default_config_static_selectorELNS0_4arch9wavefront6targetE1EEEvT1_.kd
    .uniform_work_group_size: 1
    .uses_dynamic_stack: false
    .vgpr_count:     66
    .vgpr_spill_count: 0
    .wavefront_size: 64
  - .agpr_count:     0
    .args:
      - .offset:         0
        .size:           136
        .value_kind:     by_value
    .group_segment_fixed_size: 0
    .kernarg_segment_align: 8
    .kernarg_segment_size: 136
    .language:       OpenCL C
    .language_version:
      - 2
      - 0
    .max_flat_workgroup_size: 128
    .name:           _ZN7rocprim17ROCPRIM_400000_NS6detail17trampoline_kernelINS0_14default_configENS1_25partition_config_selectorILNS1_17partition_subalgoE9EllbEEZZNS1_14partition_implILS5_9ELb0ES3_jPlS8_PNS0_10empty_typeENS0_5tupleIJS8_S9_EEENSB_IJS8_SA_EEENS0_18inequality_wrapperIZN2at6native12_GLOBAL__N_124unique_dim_cuda_templateIiEESt5tupleIJNSF_6TensorESK_SK_EERKSK_lbbbEUlllE0_EEPmJS9_EEE10hipError_tPvRmT3_T4_T5_T6_T7_T9_mT8_P12ihipStream_tbDpT10_ENKUlT_T0_E_clISt17integral_constantIbLb0EES19_IbLb1EEEEDaS15_S16_EUlS15_E_NS1_11comp_targetILNS1_3genE4ELNS1_11target_archE910ELNS1_3gpuE8ELNS1_3repE0EEENS1_30default_config_static_selectorELNS0_4arch9wavefront6targetE1EEEvT1_
    .private_segment_fixed_size: 0
    .sgpr_count:     6
    .sgpr_spill_count: 0
    .symbol:         _ZN7rocprim17ROCPRIM_400000_NS6detail17trampoline_kernelINS0_14default_configENS1_25partition_config_selectorILNS1_17partition_subalgoE9EllbEEZZNS1_14partition_implILS5_9ELb0ES3_jPlS8_PNS0_10empty_typeENS0_5tupleIJS8_S9_EEENSB_IJS8_SA_EEENS0_18inequality_wrapperIZN2at6native12_GLOBAL__N_124unique_dim_cuda_templateIiEESt5tupleIJNSF_6TensorESK_SK_EERKSK_lbbbEUlllE0_EEPmJS9_EEE10hipError_tPvRmT3_T4_T5_T6_T7_T9_mT8_P12ihipStream_tbDpT10_ENKUlT_T0_E_clISt17integral_constantIbLb0EES19_IbLb1EEEEDaS15_S16_EUlS15_E_NS1_11comp_targetILNS1_3genE4ELNS1_11target_archE910ELNS1_3gpuE8ELNS1_3repE0EEENS1_30default_config_static_selectorELNS0_4arch9wavefront6targetE1EEEvT1_.kd
    .uniform_work_group_size: 1
    .uses_dynamic_stack: false
    .vgpr_count:     0
    .vgpr_spill_count: 0
    .wavefront_size: 64
  - .agpr_count:     0
    .args:
      - .offset:         0
        .size:           136
        .value_kind:     by_value
    .group_segment_fixed_size: 0
    .kernarg_segment_align: 8
    .kernarg_segment_size: 136
    .language:       OpenCL C
    .language_version:
      - 2
      - 0
    .max_flat_workgroup_size: 128
    .name:           _ZN7rocprim17ROCPRIM_400000_NS6detail17trampoline_kernelINS0_14default_configENS1_25partition_config_selectorILNS1_17partition_subalgoE9EllbEEZZNS1_14partition_implILS5_9ELb0ES3_jPlS8_PNS0_10empty_typeENS0_5tupleIJS8_S9_EEENSB_IJS8_SA_EEENS0_18inequality_wrapperIZN2at6native12_GLOBAL__N_124unique_dim_cuda_templateIiEESt5tupleIJNSF_6TensorESK_SK_EERKSK_lbbbEUlllE0_EEPmJS9_EEE10hipError_tPvRmT3_T4_T5_T6_T7_T9_mT8_P12ihipStream_tbDpT10_ENKUlT_T0_E_clISt17integral_constantIbLb0EES19_IbLb1EEEEDaS15_S16_EUlS15_E_NS1_11comp_targetILNS1_3genE3ELNS1_11target_archE908ELNS1_3gpuE7ELNS1_3repE0EEENS1_30default_config_static_selectorELNS0_4arch9wavefront6targetE1EEEvT1_
    .private_segment_fixed_size: 0
    .sgpr_count:     6
    .sgpr_spill_count: 0
    .symbol:         _ZN7rocprim17ROCPRIM_400000_NS6detail17trampoline_kernelINS0_14default_configENS1_25partition_config_selectorILNS1_17partition_subalgoE9EllbEEZZNS1_14partition_implILS5_9ELb0ES3_jPlS8_PNS0_10empty_typeENS0_5tupleIJS8_S9_EEENSB_IJS8_SA_EEENS0_18inequality_wrapperIZN2at6native12_GLOBAL__N_124unique_dim_cuda_templateIiEESt5tupleIJNSF_6TensorESK_SK_EERKSK_lbbbEUlllE0_EEPmJS9_EEE10hipError_tPvRmT3_T4_T5_T6_T7_T9_mT8_P12ihipStream_tbDpT10_ENKUlT_T0_E_clISt17integral_constantIbLb0EES19_IbLb1EEEEDaS15_S16_EUlS15_E_NS1_11comp_targetILNS1_3genE3ELNS1_11target_archE908ELNS1_3gpuE7ELNS1_3repE0EEENS1_30default_config_static_selectorELNS0_4arch9wavefront6targetE1EEEvT1_.kd
    .uniform_work_group_size: 1
    .uses_dynamic_stack: false
    .vgpr_count:     0
    .vgpr_spill_count: 0
    .wavefront_size: 64
  - .agpr_count:     0
    .args:
      - .offset:         0
        .size:           136
        .value_kind:     by_value
    .group_segment_fixed_size: 0
    .kernarg_segment_align: 8
    .kernarg_segment_size: 136
    .language:       OpenCL C
    .language_version:
      - 2
      - 0
    .max_flat_workgroup_size: 192
    .name:           _ZN7rocprim17ROCPRIM_400000_NS6detail17trampoline_kernelINS0_14default_configENS1_25partition_config_selectorILNS1_17partition_subalgoE9EllbEEZZNS1_14partition_implILS5_9ELb0ES3_jPlS8_PNS0_10empty_typeENS0_5tupleIJS8_S9_EEENSB_IJS8_SA_EEENS0_18inequality_wrapperIZN2at6native12_GLOBAL__N_124unique_dim_cuda_templateIiEESt5tupleIJNSF_6TensorESK_SK_EERKSK_lbbbEUlllE0_EEPmJS9_EEE10hipError_tPvRmT3_T4_T5_T6_T7_T9_mT8_P12ihipStream_tbDpT10_ENKUlT_T0_E_clISt17integral_constantIbLb0EES19_IbLb1EEEEDaS15_S16_EUlS15_E_NS1_11comp_targetILNS1_3genE2ELNS1_11target_archE906ELNS1_3gpuE6ELNS1_3repE0EEENS1_30default_config_static_selectorELNS0_4arch9wavefront6targetE1EEEvT1_
    .private_segment_fixed_size: 0
    .sgpr_count:     6
    .sgpr_spill_count: 0
    .symbol:         _ZN7rocprim17ROCPRIM_400000_NS6detail17trampoline_kernelINS0_14default_configENS1_25partition_config_selectorILNS1_17partition_subalgoE9EllbEEZZNS1_14partition_implILS5_9ELb0ES3_jPlS8_PNS0_10empty_typeENS0_5tupleIJS8_S9_EEENSB_IJS8_SA_EEENS0_18inequality_wrapperIZN2at6native12_GLOBAL__N_124unique_dim_cuda_templateIiEESt5tupleIJNSF_6TensorESK_SK_EERKSK_lbbbEUlllE0_EEPmJS9_EEE10hipError_tPvRmT3_T4_T5_T6_T7_T9_mT8_P12ihipStream_tbDpT10_ENKUlT_T0_E_clISt17integral_constantIbLb0EES19_IbLb1EEEEDaS15_S16_EUlS15_E_NS1_11comp_targetILNS1_3genE2ELNS1_11target_archE906ELNS1_3gpuE6ELNS1_3repE0EEENS1_30default_config_static_selectorELNS0_4arch9wavefront6targetE1EEEvT1_.kd
    .uniform_work_group_size: 1
    .uses_dynamic_stack: false
    .vgpr_count:     0
    .vgpr_spill_count: 0
    .wavefront_size: 64
  - .agpr_count:     0
    .args:
      - .offset:         0
        .size:           136
        .value_kind:     by_value
    .group_segment_fixed_size: 0
    .kernarg_segment_align: 8
    .kernarg_segment_size: 136
    .language:       OpenCL C
    .language_version:
      - 2
      - 0
    .max_flat_workgroup_size: 384
    .name:           _ZN7rocprim17ROCPRIM_400000_NS6detail17trampoline_kernelINS0_14default_configENS1_25partition_config_selectorILNS1_17partition_subalgoE9EllbEEZZNS1_14partition_implILS5_9ELb0ES3_jPlS8_PNS0_10empty_typeENS0_5tupleIJS8_S9_EEENSB_IJS8_SA_EEENS0_18inequality_wrapperIZN2at6native12_GLOBAL__N_124unique_dim_cuda_templateIiEESt5tupleIJNSF_6TensorESK_SK_EERKSK_lbbbEUlllE0_EEPmJS9_EEE10hipError_tPvRmT3_T4_T5_T6_T7_T9_mT8_P12ihipStream_tbDpT10_ENKUlT_T0_E_clISt17integral_constantIbLb0EES19_IbLb1EEEEDaS15_S16_EUlS15_E_NS1_11comp_targetILNS1_3genE10ELNS1_11target_archE1200ELNS1_3gpuE4ELNS1_3repE0EEENS1_30default_config_static_selectorELNS0_4arch9wavefront6targetE1EEEvT1_
    .private_segment_fixed_size: 0
    .sgpr_count:     6
    .sgpr_spill_count: 0
    .symbol:         _ZN7rocprim17ROCPRIM_400000_NS6detail17trampoline_kernelINS0_14default_configENS1_25partition_config_selectorILNS1_17partition_subalgoE9EllbEEZZNS1_14partition_implILS5_9ELb0ES3_jPlS8_PNS0_10empty_typeENS0_5tupleIJS8_S9_EEENSB_IJS8_SA_EEENS0_18inequality_wrapperIZN2at6native12_GLOBAL__N_124unique_dim_cuda_templateIiEESt5tupleIJNSF_6TensorESK_SK_EERKSK_lbbbEUlllE0_EEPmJS9_EEE10hipError_tPvRmT3_T4_T5_T6_T7_T9_mT8_P12ihipStream_tbDpT10_ENKUlT_T0_E_clISt17integral_constantIbLb0EES19_IbLb1EEEEDaS15_S16_EUlS15_E_NS1_11comp_targetILNS1_3genE10ELNS1_11target_archE1200ELNS1_3gpuE4ELNS1_3repE0EEENS1_30default_config_static_selectorELNS0_4arch9wavefront6targetE1EEEvT1_.kd
    .uniform_work_group_size: 1
    .uses_dynamic_stack: false
    .vgpr_count:     0
    .vgpr_spill_count: 0
    .wavefront_size: 64
  - .agpr_count:     0
    .args:
      - .offset:         0
        .size:           136
        .value_kind:     by_value
    .group_segment_fixed_size: 0
    .kernarg_segment_align: 8
    .kernarg_segment_size: 136
    .language:       OpenCL C
    .language_version:
      - 2
      - 0
    .max_flat_workgroup_size: 512
    .name:           _ZN7rocprim17ROCPRIM_400000_NS6detail17trampoline_kernelINS0_14default_configENS1_25partition_config_selectorILNS1_17partition_subalgoE9EllbEEZZNS1_14partition_implILS5_9ELb0ES3_jPlS8_PNS0_10empty_typeENS0_5tupleIJS8_S9_EEENSB_IJS8_SA_EEENS0_18inequality_wrapperIZN2at6native12_GLOBAL__N_124unique_dim_cuda_templateIiEESt5tupleIJNSF_6TensorESK_SK_EERKSK_lbbbEUlllE0_EEPmJS9_EEE10hipError_tPvRmT3_T4_T5_T6_T7_T9_mT8_P12ihipStream_tbDpT10_ENKUlT_T0_E_clISt17integral_constantIbLb0EES19_IbLb1EEEEDaS15_S16_EUlS15_E_NS1_11comp_targetILNS1_3genE9ELNS1_11target_archE1100ELNS1_3gpuE3ELNS1_3repE0EEENS1_30default_config_static_selectorELNS0_4arch9wavefront6targetE1EEEvT1_
    .private_segment_fixed_size: 0
    .sgpr_count:     6
    .sgpr_spill_count: 0
    .symbol:         _ZN7rocprim17ROCPRIM_400000_NS6detail17trampoline_kernelINS0_14default_configENS1_25partition_config_selectorILNS1_17partition_subalgoE9EllbEEZZNS1_14partition_implILS5_9ELb0ES3_jPlS8_PNS0_10empty_typeENS0_5tupleIJS8_S9_EEENSB_IJS8_SA_EEENS0_18inequality_wrapperIZN2at6native12_GLOBAL__N_124unique_dim_cuda_templateIiEESt5tupleIJNSF_6TensorESK_SK_EERKSK_lbbbEUlllE0_EEPmJS9_EEE10hipError_tPvRmT3_T4_T5_T6_T7_T9_mT8_P12ihipStream_tbDpT10_ENKUlT_T0_E_clISt17integral_constantIbLb0EES19_IbLb1EEEEDaS15_S16_EUlS15_E_NS1_11comp_targetILNS1_3genE9ELNS1_11target_archE1100ELNS1_3gpuE3ELNS1_3repE0EEENS1_30default_config_static_selectorELNS0_4arch9wavefront6targetE1EEEvT1_.kd
    .uniform_work_group_size: 1
    .uses_dynamic_stack: false
    .vgpr_count:     0
    .vgpr_spill_count: 0
    .wavefront_size: 64
  - .agpr_count:     0
    .args:
      - .offset:         0
        .size:           136
        .value_kind:     by_value
    .group_segment_fixed_size: 0
    .kernarg_segment_align: 8
    .kernarg_segment_size: 136
    .language:       OpenCL C
    .language_version:
      - 2
      - 0
    .max_flat_workgroup_size: 512
    .name:           _ZN7rocprim17ROCPRIM_400000_NS6detail17trampoline_kernelINS0_14default_configENS1_25partition_config_selectorILNS1_17partition_subalgoE9EllbEEZZNS1_14partition_implILS5_9ELb0ES3_jPlS8_PNS0_10empty_typeENS0_5tupleIJS8_S9_EEENSB_IJS8_SA_EEENS0_18inequality_wrapperIZN2at6native12_GLOBAL__N_124unique_dim_cuda_templateIiEESt5tupleIJNSF_6TensorESK_SK_EERKSK_lbbbEUlllE0_EEPmJS9_EEE10hipError_tPvRmT3_T4_T5_T6_T7_T9_mT8_P12ihipStream_tbDpT10_ENKUlT_T0_E_clISt17integral_constantIbLb0EES19_IbLb1EEEEDaS15_S16_EUlS15_E_NS1_11comp_targetILNS1_3genE8ELNS1_11target_archE1030ELNS1_3gpuE2ELNS1_3repE0EEENS1_30default_config_static_selectorELNS0_4arch9wavefront6targetE1EEEvT1_
    .private_segment_fixed_size: 0
    .sgpr_count:     6
    .sgpr_spill_count: 0
    .symbol:         _ZN7rocprim17ROCPRIM_400000_NS6detail17trampoline_kernelINS0_14default_configENS1_25partition_config_selectorILNS1_17partition_subalgoE9EllbEEZZNS1_14partition_implILS5_9ELb0ES3_jPlS8_PNS0_10empty_typeENS0_5tupleIJS8_S9_EEENSB_IJS8_SA_EEENS0_18inequality_wrapperIZN2at6native12_GLOBAL__N_124unique_dim_cuda_templateIiEESt5tupleIJNSF_6TensorESK_SK_EERKSK_lbbbEUlllE0_EEPmJS9_EEE10hipError_tPvRmT3_T4_T5_T6_T7_T9_mT8_P12ihipStream_tbDpT10_ENKUlT_T0_E_clISt17integral_constantIbLb0EES19_IbLb1EEEEDaS15_S16_EUlS15_E_NS1_11comp_targetILNS1_3genE8ELNS1_11target_archE1030ELNS1_3gpuE2ELNS1_3repE0EEENS1_30default_config_static_selectorELNS0_4arch9wavefront6targetE1EEEvT1_.kd
    .uniform_work_group_size: 1
    .uses_dynamic_stack: false
    .vgpr_count:     0
    .vgpr_spill_count: 0
    .wavefront_size: 64
  - .agpr_count:     0
    .args:
      - .offset:         0
        .size:           72
        .value_kind:     by_value
    .group_segment_fixed_size: 0
    .kernarg_segment_align: 8
    .kernarg_segment_size: 72
    .language:       OpenCL C
    .language_version:
      - 2
      - 0
    .max_flat_workgroup_size: 256
    .name:           _ZN7rocprim17ROCPRIM_400000_NS6detail17trampoline_kernelINS0_14default_configENS1_37merge_sort_block_sort_config_selectorIlNS0_10empty_typeEEEZNS1_21merge_sort_block_sortIS3_PlS8_PS5_S9_ZN2at6native12_GLOBAL__N_124unique_dim_cuda_templateIlEESt5tupleIJNSA_6TensorESF_SF_EERKSF_lbbbEUlllE_EE10hipError_tT0_T1_T2_T3_mRjT4_P12ihipStream_tbNS1_7vsmem_tEEUlT_E_NS1_11comp_targetILNS1_3genE0ELNS1_11target_archE4294967295ELNS1_3gpuE0ELNS1_3repE0EEENS1_30default_config_static_selectorELNS0_4arch9wavefront6targetE1EEEvSM_
    .private_segment_fixed_size: 0
    .sgpr_count:     6
    .sgpr_spill_count: 0
    .symbol:         _ZN7rocprim17ROCPRIM_400000_NS6detail17trampoline_kernelINS0_14default_configENS1_37merge_sort_block_sort_config_selectorIlNS0_10empty_typeEEEZNS1_21merge_sort_block_sortIS3_PlS8_PS5_S9_ZN2at6native12_GLOBAL__N_124unique_dim_cuda_templateIlEESt5tupleIJNSA_6TensorESF_SF_EERKSF_lbbbEUlllE_EE10hipError_tT0_T1_T2_T3_mRjT4_P12ihipStream_tbNS1_7vsmem_tEEUlT_E_NS1_11comp_targetILNS1_3genE0ELNS1_11target_archE4294967295ELNS1_3gpuE0ELNS1_3repE0EEENS1_30default_config_static_selectorELNS0_4arch9wavefront6targetE1EEEvSM_.kd
    .uniform_work_group_size: 1
    .uses_dynamic_stack: false
    .vgpr_count:     0
    .vgpr_spill_count: 0
    .wavefront_size: 64
  - .agpr_count:     0
    .args:
      - .offset:         0
        .size:           72
        .value_kind:     by_value
      - .offset:         72
        .size:           4
        .value_kind:     hidden_block_count_x
      - .offset:         76
        .size:           4
        .value_kind:     hidden_block_count_y
      - .offset:         80
        .size:           4
        .value_kind:     hidden_block_count_z
      - .offset:         84
        .size:           2
        .value_kind:     hidden_group_size_x
      - .offset:         86
        .size:           2
        .value_kind:     hidden_group_size_y
      - .offset:         88
        .size:           2
        .value_kind:     hidden_group_size_z
      - .offset:         90
        .size:           2
        .value_kind:     hidden_remainder_x
      - .offset:         92
        .size:           2
        .value_kind:     hidden_remainder_y
      - .offset:         94
        .size:           2
        .value_kind:     hidden_remainder_z
      - .offset:         112
        .size:           8
        .value_kind:     hidden_global_offset_x
      - .offset:         120
        .size:           8
        .value_kind:     hidden_global_offset_y
      - .offset:         128
        .size:           8
        .value_kind:     hidden_global_offset_z
      - .offset:         136
        .size:           2
        .value_kind:     hidden_grid_dims
      - .offset:         152
        .size:           8
        .value_kind:     hidden_hostcall_buffer
      - .offset:         160
        .size:           8
        .value_kind:     hidden_multigrid_sync_arg
      - .offset:         168
        .size:           8
        .value_kind:     hidden_heap_v1
      - .offset:         176
        .size:           8
        .value_kind:     hidden_default_queue
      - .offset:         184
        .size:           8
        .value_kind:     hidden_completion_action
      - .offset:         272
        .size:           8
        .value_kind:     hidden_queue_ptr
    .group_segment_fixed_size: 16896
    .kernarg_segment_align: 8
    .kernarg_segment_size: 328
    .language:       OpenCL C
    .language_version:
      - 2
      - 0
    .max_flat_workgroup_size: 256
    .name:           _ZN7rocprim17ROCPRIM_400000_NS6detail17trampoline_kernelINS0_14default_configENS1_37merge_sort_block_sort_config_selectorIlNS0_10empty_typeEEEZNS1_21merge_sort_block_sortIS3_PlS8_PS5_S9_ZN2at6native12_GLOBAL__N_124unique_dim_cuda_templateIlEESt5tupleIJNSA_6TensorESF_SF_EERKSF_lbbbEUlllE_EE10hipError_tT0_T1_T2_T3_mRjT4_P12ihipStream_tbNS1_7vsmem_tEEUlT_E_NS1_11comp_targetILNS1_3genE5ELNS1_11target_archE942ELNS1_3gpuE9ELNS1_3repE0EEENS1_30default_config_static_selectorELNS0_4arch9wavefront6targetE1EEEvSM_
    .private_segment_fixed_size: 8
    .sgpr_count:     75
    .sgpr_spill_count: 0
    .symbol:         _ZN7rocprim17ROCPRIM_400000_NS6detail17trampoline_kernelINS0_14default_configENS1_37merge_sort_block_sort_config_selectorIlNS0_10empty_typeEEEZNS1_21merge_sort_block_sortIS3_PlS8_PS5_S9_ZN2at6native12_GLOBAL__N_124unique_dim_cuda_templateIlEESt5tupleIJNSA_6TensorESF_SF_EERKSF_lbbbEUlllE_EE10hipError_tT0_T1_T2_T3_mRjT4_P12ihipStream_tbNS1_7vsmem_tEEUlT_E_NS1_11comp_targetILNS1_3genE5ELNS1_11target_archE942ELNS1_3gpuE9ELNS1_3repE0EEENS1_30default_config_static_selectorELNS0_4arch9wavefront6targetE1EEEvSM_.kd
    .uniform_work_group_size: 1
    .uses_dynamic_stack: false
    .vgpr_count:     129
    .vgpr_spill_count: 0
    .wavefront_size: 64
  - .agpr_count:     0
    .args:
      - .offset:         0
        .size:           72
        .value_kind:     by_value
    .group_segment_fixed_size: 0
    .kernarg_segment_align: 8
    .kernarg_segment_size: 72
    .language:       OpenCL C
    .language_version:
      - 2
      - 0
    .max_flat_workgroup_size: 256
    .name:           _ZN7rocprim17ROCPRIM_400000_NS6detail17trampoline_kernelINS0_14default_configENS1_37merge_sort_block_sort_config_selectorIlNS0_10empty_typeEEEZNS1_21merge_sort_block_sortIS3_PlS8_PS5_S9_ZN2at6native12_GLOBAL__N_124unique_dim_cuda_templateIlEESt5tupleIJNSA_6TensorESF_SF_EERKSF_lbbbEUlllE_EE10hipError_tT0_T1_T2_T3_mRjT4_P12ihipStream_tbNS1_7vsmem_tEEUlT_E_NS1_11comp_targetILNS1_3genE4ELNS1_11target_archE910ELNS1_3gpuE8ELNS1_3repE0EEENS1_30default_config_static_selectorELNS0_4arch9wavefront6targetE1EEEvSM_
    .private_segment_fixed_size: 0
    .sgpr_count:     6
    .sgpr_spill_count: 0
    .symbol:         _ZN7rocprim17ROCPRIM_400000_NS6detail17trampoline_kernelINS0_14default_configENS1_37merge_sort_block_sort_config_selectorIlNS0_10empty_typeEEEZNS1_21merge_sort_block_sortIS3_PlS8_PS5_S9_ZN2at6native12_GLOBAL__N_124unique_dim_cuda_templateIlEESt5tupleIJNSA_6TensorESF_SF_EERKSF_lbbbEUlllE_EE10hipError_tT0_T1_T2_T3_mRjT4_P12ihipStream_tbNS1_7vsmem_tEEUlT_E_NS1_11comp_targetILNS1_3genE4ELNS1_11target_archE910ELNS1_3gpuE8ELNS1_3repE0EEENS1_30default_config_static_selectorELNS0_4arch9wavefront6targetE1EEEvSM_.kd
    .uniform_work_group_size: 1
    .uses_dynamic_stack: false
    .vgpr_count:     0
    .vgpr_spill_count: 0
    .wavefront_size: 64
  - .agpr_count:     0
    .args:
      - .offset:         0
        .size:           72
        .value_kind:     by_value
    .group_segment_fixed_size: 0
    .kernarg_segment_align: 8
    .kernarg_segment_size: 72
    .language:       OpenCL C
    .language_version:
      - 2
      - 0
    .max_flat_workgroup_size: 256
    .name:           _ZN7rocprim17ROCPRIM_400000_NS6detail17trampoline_kernelINS0_14default_configENS1_37merge_sort_block_sort_config_selectorIlNS0_10empty_typeEEEZNS1_21merge_sort_block_sortIS3_PlS8_PS5_S9_ZN2at6native12_GLOBAL__N_124unique_dim_cuda_templateIlEESt5tupleIJNSA_6TensorESF_SF_EERKSF_lbbbEUlllE_EE10hipError_tT0_T1_T2_T3_mRjT4_P12ihipStream_tbNS1_7vsmem_tEEUlT_E_NS1_11comp_targetILNS1_3genE3ELNS1_11target_archE908ELNS1_3gpuE7ELNS1_3repE0EEENS1_30default_config_static_selectorELNS0_4arch9wavefront6targetE1EEEvSM_
    .private_segment_fixed_size: 0
    .sgpr_count:     6
    .sgpr_spill_count: 0
    .symbol:         _ZN7rocprim17ROCPRIM_400000_NS6detail17trampoline_kernelINS0_14default_configENS1_37merge_sort_block_sort_config_selectorIlNS0_10empty_typeEEEZNS1_21merge_sort_block_sortIS3_PlS8_PS5_S9_ZN2at6native12_GLOBAL__N_124unique_dim_cuda_templateIlEESt5tupleIJNSA_6TensorESF_SF_EERKSF_lbbbEUlllE_EE10hipError_tT0_T1_T2_T3_mRjT4_P12ihipStream_tbNS1_7vsmem_tEEUlT_E_NS1_11comp_targetILNS1_3genE3ELNS1_11target_archE908ELNS1_3gpuE7ELNS1_3repE0EEENS1_30default_config_static_selectorELNS0_4arch9wavefront6targetE1EEEvSM_.kd
    .uniform_work_group_size: 1
    .uses_dynamic_stack: false
    .vgpr_count:     0
    .vgpr_spill_count: 0
    .wavefront_size: 64
  - .agpr_count:     0
    .args:
      - .offset:         0
        .size:           72
        .value_kind:     by_value
    .group_segment_fixed_size: 0
    .kernarg_segment_align: 8
    .kernarg_segment_size: 72
    .language:       OpenCL C
    .language_version:
      - 2
      - 0
    .max_flat_workgroup_size: 256
    .name:           _ZN7rocprim17ROCPRIM_400000_NS6detail17trampoline_kernelINS0_14default_configENS1_37merge_sort_block_sort_config_selectorIlNS0_10empty_typeEEEZNS1_21merge_sort_block_sortIS3_PlS8_PS5_S9_ZN2at6native12_GLOBAL__N_124unique_dim_cuda_templateIlEESt5tupleIJNSA_6TensorESF_SF_EERKSF_lbbbEUlllE_EE10hipError_tT0_T1_T2_T3_mRjT4_P12ihipStream_tbNS1_7vsmem_tEEUlT_E_NS1_11comp_targetILNS1_3genE2ELNS1_11target_archE906ELNS1_3gpuE6ELNS1_3repE0EEENS1_30default_config_static_selectorELNS0_4arch9wavefront6targetE1EEEvSM_
    .private_segment_fixed_size: 0
    .sgpr_count:     6
    .sgpr_spill_count: 0
    .symbol:         _ZN7rocprim17ROCPRIM_400000_NS6detail17trampoline_kernelINS0_14default_configENS1_37merge_sort_block_sort_config_selectorIlNS0_10empty_typeEEEZNS1_21merge_sort_block_sortIS3_PlS8_PS5_S9_ZN2at6native12_GLOBAL__N_124unique_dim_cuda_templateIlEESt5tupleIJNSA_6TensorESF_SF_EERKSF_lbbbEUlllE_EE10hipError_tT0_T1_T2_T3_mRjT4_P12ihipStream_tbNS1_7vsmem_tEEUlT_E_NS1_11comp_targetILNS1_3genE2ELNS1_11target_archE906ELNS1_3gpuE6ELNS1_3repE0EEENS1_30default_config_static_selectorELNS0_4arch9wavefront6targetE1EEEvSM_.kd
    .uniform_work_group_size: 1
    .uses_dynamic_stack: false
    .vgpr_count:     0
    .vgpr_spill_count: 0
    .wavefront_size: 64
  - .agpr_count:     0
    .args:
      - .offset:         0
        .size:           72
        .value_kind:     by_value
    .group_segment_fixed_size: 0
    .kernarg_segment_align: 8
    .kernarg_segment_size: 72
    .language:       OpenCL C
    .language_version:
      - 2
      - 0
    .max_flat_workgroup_size: 256
    .name:           _ZN7rocprim17ROCPRIM_400000_NS6detail17trampoline_kernelINS0_14default_configENS1_37merge_sort_block_sort_config_selectorIlNS0_10empty_typeEEEZNS1_21merge_sort_block_sortIS3_PlS8_PS5_S9_ZN2at6native12_GLOBAL__N_124unique_dim_cuda_templateIlEESt5tupleIJNSA_6TensorESF_SF_EERKSF_lbbbEUlllE_EE10hipError_tT0_T1_T2_T3_mRjT4_P12ihipStream_tbNS1_7vsmem_tEEUlT_E_NS1_11comp_targetILNS1_3genE10ELNS1_11target_archE1201ELNS1_3gpuE5ELNS1_3repE0EEENS1_30default_config_static_selectorELNS0_4arch9wavefront6targetE1EEEvSM_
    .private_segment_fixed_size: 0
    .sgpr_count:     6
    .sgpr_spill_count: 0
    .symbol:         _ZN7rocprim17ROCPRIM_400000_NS6detail17trampoline_kernelINS0_14default_configENS1_37merge_sort_block_sort_config_selectorIlNS0_10empty_typeEEEZNS1_21merge_sort_block_sortIS3_PlS8_PS5_S9_ZN2at6native12_GLOBAL__N_124unique_dim_cuda_templateIlEESt5tupleIJNSA_6TensorESF_SF_EERKSF_lbbbEUlllE_EE10hipError_tT0_T1_T2_T3_mRjT4_P12ihipStream_tbNS1_7vsmem_tEEUlT_E_NS1_11comp_targetILNS1_3genE10ELNS1_11target_archE1201ELNS1_3gpuE5ELNS1_3repE0EEENS1_30default_config_static_selectorELNS0_4arch9wavefront6targetE1EEEvSM_.kd
    .uniform_work_group_size: 1
    .uses_dynamic_stack: false
    .vgpr_count:     0
    .vgpr_spill_count: 0
    .wavefront_size: 64
  - .agpr_count:     0
    .args:
      - .offset:         0
        .size:           72
        .value_kind:     by_value
    .group_segment_fixed_size: 0
    .kernarg_segment_align: 8
    .kernarg_segment_size: 72
    .language:       OpenCL C
    .language_version:
      - 2
      - 0
    .max_flat_workgroup_size: 512
    .name:           _ZN7rocprim17ROCPRIM_400000_NS6detail17trampoline_kernelINS0_14default_configENS1_37merge_sort_block_sort_config_selectorIlNS0_10empty_typeEEEZNS1_21merge_sort_block_sortIS3_PlS8_PS5_S9_ZN2at6native12_GLOBAL__N_124unique_dim_cuda_templateIlEESt5tupleIJNSA_6TensorESF_SF_EERKSF_lbbbEUlllE_EE10hipError_tT0_T1_T2_T3_mRjT4_P12ihipStream_tbNS1_7vsmem_tEEUlT_E_NS1_11comp_targetILNS1_3genE10ELNS1_11target_archE1200ELNS1_3gpuE4ELNS1_3repE0EEENS1_30default_config_static_selectorELNS0_4arch9wavefront6targetE1EEEvSM_
    .private_segment_fixed_size: 0
    .sgpr_count:     6
    .sgpr_spill_count: 0
    .symbol:         _ZN7rocprim17ROCPRIM_400000_NS6detail17trampoline_kernelINS0_14default_configENS1_37merge_sort_block_sort_config_selectorIlNS0_10empty_typeEEEZNS1_21merge_sort_block_sortIS3_PlS8_PS5_S9_ZN2at6native12_GLOBAL__N_124unique_dim_cuda_templateIlEESt5tupleIJNSA_6TensorESF_SF_EERKSF_lbbbEUlllE_EE10hipError_tT0_T1_T2_T3_mRjT4_P12ihipStream_tbNS1_7vsmem_tEEUlT_E_NS1_11comp_targetILNS1_3genE10ELNS1_11target_archE1200ELNS1_3gpuE4ELNS1_3repE0EEENS1_30default_config_static_selectorELNS0_4arch9wavefront6targetE1EEEvSM_.kd
    .uniform_work_group_size: 1
    .uses_dynamic_stack: false
    .vgpr_count:     0
    .vgpr_spill_count: 0
    .wavefront_size: 64
  - .agpr_count:     0
    .args:
      - .offset:         0
        .size:           72
        .value_kind:     by_value
    .group_segment_fixed_size: 0
    .kernarg_segment_align: 8
    .kernarg_segment_size: 72
    .language:       OpenCL C
    .language_version:
      - 2
      - 0
    .max_flat_workgroup_size: 256
    .name:           _ZN7rocprim17ROCPRIM_400000_NS6detail17trampoline_kernelINS0_14default_configENS1_37merge_sort_block_sort_config_selectorIlNS0_10empty_typeEEEZNS1_21merge_sort_block_sortIS3_PlS8_PS5_S9_ZN2at6native12_GLOBAL__N_124unique_dim_cuda_templateIlEESt5tupleIJNSA_6TensorESF_SF_EERKSF_lbbbEUlllE_EE10hipError_tT0_T1_T2_T3_mRjT4_P12ihipStream_tbNS1_7vsmem_tEEUlT_E_NS1_11comp_targetILNS1_3genE9ELNS1_11target_archE1100ELNS1_3gpuE3ELNS1_3repE0EEENS1_30default_config_static_selectorELNS0_4arch9wavefront6targetE1EEEvSM_
    .private_segment_fixed_size: 0
    .sgpr_count:     6
    .sgpr_spill_count: 0
    .symbol:         _ZN7rocprim17ROCPRIM_400000_NS6detail17trampoline_kernelINS0_14default_configENS1_37merge_sort_block_sort_config_selectorIlNS0_10empty_typeEEEZNS1_21merge_sort_block_sortIS3_PlS8_PS5_S9_ZN2at6native12_GLOBAL__N_124unique_dim_cuda_templateIlEESt5tupleIJNSA_6TensorESF_SF_EERKSF_lbbbEUlllE_EE10hipError_tT0_T1_T2_T3_mRjT4_P12ihipStream_tbNS1_7vsmem_tEEUlT_E_NS1_11comp_targetILNS1_3genE9ELNS1_11target_archE1100ELNS1_3gpuE3ELNS1_3repE0EEENS1_30default_config_static_selectorELNS0_4arch9wavefront6targetE1EEEvSM_.kd
    .uniform_work_group_size: 1
    .uses_dynamic_stack: false
    .vgpr_count:     0
    .vgpr_spill_count: 0
    .wavefront_size: 64
  - .agpr_count:     0
    .args:
      - .offset:         0
        .size:           72
        .value_kind:     by_value
    .group_segment_fixed_size: 0
    .kernarg_segment_align: 8
    .kernarg_segment_size: 72
    .language:       OpenCL C
    .language_version:
      - 2
      - 0
    .max_flat_workgroup_size: 256
    .name:           _ZN7rocprim17ROCPRIM_400000_NS6detail17trampoline_kernelINS0_14default_configENS1_37merge_sort_block_sort_config_selectorIlNS0_10empty_typeEEEZNS1_21merge_sort_block_sortIS3_PlS8_PS5_S9_ZN2at6native12_GLOBAL__N_124unique_dim_cuda_templateIlEESt5tupleIJNSA_6TensorESF_SF_EERKSF_lbbbEUlllE_EE10hipError_tT0_T1_T2_T3_mRjT4_P12ihipStream_tbNS1_7vsmem_tEEUlT_E_NS1_11comp_targetILNS1_3genE8ELNS1_11target_archE1030ELNS1_3gpuE2ELNS1_3repE0EEENS1_30default_config_static_selectorELNS0_4arch9wavefront6targetE1EEEvSM_
    .private_segment_fixed_size: 0
    .sgpr_count:     6
    .sgpr_spill_count: 0
    .symbol:         _ZN7rocprim17ROCPRIM_400000_NS6detail17trampoline_kernelINS0_14default_configENS1_37merge_sort_block_sort_config_selectorIlNS0_10empty_typeEEEZNS1_21merge_sort_block_sortIS3_PlS8_PS5_S9_ZN2at6native12_GLOBAL__N_124unique_dim_cuda_templateIlEESt5tupleIJNSA_6TensorESF_SF_EERKSF_lbbbEUlllE_EE10hipError_tT0_T1_T2_T3_mRjT4_P12ihipStream_tbNS1_7vsmem_tEEUlT_E_NS1_11comp_targetILNS1_3genE8ELNS1_11target_archE1030ELNS1_3gpuE2ELNS1_3repE0EEENS1_30default_config_static_selectorELNS0_4arch9wavefront6targetE1EEEvSM_.kd
    .uniform_work_group_size: 1
    .uses_dynamic_stack: false
    .vgpr_count:     0
    .vgpr_spill_count: 0
    .wavefront_size: 64
  - .agpr_count:     0
    .args:
      - .offset:         0
        .size:           56
        .value_kind:     by_value
    .group_segment_fixed_size: 0
    .kernarg_segment_align: 8
    .kernarg_segment_size: 56
    .language:       OpenCL C
    .language_version:
      - 2
      - 0
    .max_flat_workgroup_size: 128
    .name:           _ZN7rocprim17ROCPRIM_400000_NS6detail17trampoline_kernelINS0_14default_configENS1_38merge_sort_block_merge_config_selectorIlNS0_10empty_typeEEEZZNS1_27merge_sort_block_merge_implIS3_PlPS5_mZN2at6native12_GLOBAL__N_124unique_dim_cuda_templateIlEESt5tupleIJNSA_6TensorESF_SF_EERKSF_lbbbEUlllE_EE10hipError_tT0_T1_T2_jT3_P12ihipStream_tbPNSt15iterator_traitsISL_E10value_typeEPNSR_ISM_E10value_typeEPSN_NS1_7vsmem_tEENKUlT_SL_SM_SN_E_clIS8_S8_S9_S9_EESK_S10_SL_SM_SN_EUlS10_E_NS1_11comp_targetILNS1_3genE0ELNS1_11target_archE4294967295ELNS1_3gpuE0ELNS1_3repE0EEENS1_48merge_mergepath_partition_config_static_selectorELNS0_4arch9wavefront6targetE1EEEvSM_
    .private_segment_fixed_size: 0
    .sgpr_count:     6
    .sgpr_spill_count: 0
    .symbol:         _ZN7rocprim17ROCPRIM_400000_NS6detail17trampoline_kernelINS0_14default_configENS1_38merge_sort_block_merge_config_selectorIlNS0_10empty_typeEEEZZNS1_27merge_sort_block_merge_implIS3_PlPS5_mZN2at6native12_GLOBAL__N_124unique_dim_cuda_templateIlEESt5tupleIJNSA_6TensorESF_SF_EERKSF_lbbbEUlllE_EE10hipError_tT0_T1_T2_jT3_P12ihipStream_tbPNSt15iterator_traitsISL_E10value_typeEPNSR_ISM_E10value_typeEPSN_NS1_7vsmem_tEENKUlT_SL_SM_SN_E_clIS8_S8_S9_S9_EESK_S10_SL_SM_SN_EUlS10_E_NS1_11comp_targetILNS1_3genE0ELNS1_11target_archE4294967295ELNS1_3gpuE0ELNS1_3repE0EEENS1_48merge_mergepath_partition_config_static_selectorELNS0_4arch9wavefront6targetE1EEEvSM_.kd
    .uniform_work_group_size: 1
    .uses_dynamic_stack: false
    .vgpr_count:     0
    .vgpr_spill_count: 0
    .wavefront_size: 64
  - .agpr_count:     0
    .args:
      - .offset:         0
        .size:           56
        .value_kind:     by_value
    .group_segment_fixed_size: 0
    .kernarg_segment_align: 8
    .kernarg_segment_size: 56
    .language:       OpenCL C
    .language_version:
      - 2
      - 0
    .max_flat_workgroup_size: 128
    .name:           _ZN7rocprim17ROCPRIM_400000_NS6detail17trampoline_kernelINS0_14default_configENS1_38merge_sort_block_merge_config_selectorIlNS0_10empty_typeEEEZZNS1_27merge_sort_block_merge_implIS3_PlPS5_mZN2at6native12_GLOBAL__N_124unique_dim_cuda_templateIlEESt5tupleIJNSA_6TensorESF_SF_EERKSF_lbbbEUlllE_EE10hipError_tT0_T1_T2_jT3_P12ihipStream_tbPNSt15iterator_traitsISL_E10value_typeEPNSR_ISM_E10value_typeEPSN_NS1_7vsmem_tEENKUlT_SL_SM_SN_E_clIS8_S8_S9_S9_EESK_S10_SL_SM_SN_EUlS10_E_NS1_11comp_targetILNS1_3genE10ELNS1_11target_archE1201ELNS1_3gpuE5ELNS1_3repE0EEENS1_48merge_mergepath_partition_config_static_selectorELNS0_4arch9wavefront6targetE1EEEvSM_
    .private_segment_fixed_size: 0
    .sgpr_count:     6
    .sgpr_spill_count: 0
    .symbol:         _ZN7rocprim17ROCPRIM_400000_NS6detail17trampoline_kernelINS0_14default_configENS1_38merge_sort_block_merge_config_selectorIlNS0_10empty_typeEEEZZNS1_27merge_sort_block_merge_implIS3_PlPS5_mZN2at6native12_GLOBAL__N_124unique_dim_cuda_templateIlEESt5tupleIJNSA_6TensorESF_SF_EERKSF_lbbbEUlllE_EE10hipError_tT0_T1_T2_jT3_P12ihipStream_tbPNSt15iterator_traitsISL_E10value_typeEPNSR_ISM_E10value_typeEPSN_NS1_7vsmem_tEENKUlT_SL_SM_SN_E_clIS8_S8_S9_S9_EESK_S10_SL_SM_SN_EUlS10_E_NS1_11comp_targetILNS1_3genE10ELNS1_11target_archE1201ELNS1_3gpuE5ELNS1_3repE0EEENS1_48merge_mergepath_partition_config_static_selectorELNS0_4arch9wavefront6targetE1EEEvSM_.kd
    .uniform_work_group_size: 1
    .uses_dynamic_stack: false
    .vgpr_count:     0
    .vgpr_spill_count: 0
    .wavefront_size: 64
  - .agpr_count:     0
    .args:
      - .offset:         0
        .size:           56
        .value_kind:     by_value
    .group_segment_fixed_size: 0
    .kernarg_segment_align: 8
    .kernarg_segment_size: 56
    .language:       OpenCL C
    .language_version:
      - 2
      - 0
    .max_flat_workgroup_size: 128
    .name:           _ZN7rocprim17ROCPRIM_400000_NS6detail17trampoline_kernelINS0_14default_configENS1_38merge_sort_block_merge_config_selectorIlNS0_10empty_typeEEEZZNS1_27merge_sort_block_merge_implIS3_PlPS5_mZN2at6native12_GLOBAL__N_124unique_dim_cuda_templateIlEESt5tupleIJNSA_6TensorESF_SF_EERKSF_lbbbEUlllE_EE10hipError_tT0_T1_T2_jT3_P12ihipStream_tbPNSt15iterator_traitsISL_E10value_typeEPNSR_ISM_E10value_typeEPSN_NS1_7vsmem_tEENKUlT_SL_SM_SN_E_clIS8_S8_S9_S9_EESK_S10_SL_SM_SN_EUlS10_E_NS1_11comp_targetILNS1_3genE5ELNS1_11target_archE942ELNS1_3gpuE9ELNS1_3repE0EEENS1_48merge_mergepath_partition_config_static_selectorELNS0_4arch9wavefront6targetE1EEEvSM_
    .private_segment_fixed_size: 0
    .sgpr_count:     42
    .sgpr_spill_count: 0
    .symbol:         _ZN7rocprim17ROCPRIM_400000_NS6detail17trampoline_kernelINS0_14default_configENS1_38merge_sort_block_merge_config_selectorIlNS0_10empty_typeEEEZZNS1_27merge_sort_block_merge_implIS3_PlPS5_mZN2at6native12_GLOBAL__N_124unique_dim_cuda_templateIlEESt5tupleIJNSA_6TensorESF_SF_EERKSF_lbbbEUlllE_EE10hipError_tT0_T1_T2_jT3_P12ihipStream_tbPNSt15iterator_traitsISL_E10value_typeEPNSR_ISM_E10value_typeEPSN_NS1_7vsmem_tEENKUlT_SL_SM_SN_E_clIS8_S8_S9_S9_EESK_S10_SL_SM_SN_EUlS10_E_NS1_11comp_targetILNS1_3genE5ELNS1_11target_archE942ELNS1_3gpuE9ELNS1_3repE0EEENS1_48merge_mergepath_partition_config_static_selectorELNS0_4arch9wavefront6targetE1EEEvSM_.kd
    .uniform_work_group_size: 1
    .uses_dynamic_stack: false
    .vgpr_count:     23
    .vgpr_spill_count: 0
    .wavefront_size: 64
  - .agpr_count:     0
    .args:
      - .offset:         0
        .size:           56
        .value_kind:     by_value
    .group_segment_fixed_size: 0
    .kernarg_segment_align: 8
    .kernarg_segment_size: 56
    .language:       OpenCL C
    .language_version:
      - 2
      - 0
    .max_flat_workgroup_size: 128
    .name:           _ZN7rocprim17ROCPRIM_400000_NS6detail17trampoline_kernelINS0_14default_configENS1_38merge_sort_block_merge_config_selectorIlNS0_10empty_typeEEEZZNS1_27merge_sort_block_merge_implIS3_PlPS5_mZN2at6native12_GLOBAL__N_124unique_dim_cuda_templateIlEESt5tupleIJNSA_6TensorESF_SF_EERKSF_lbbbEUlllE_EE10hipError_tT0_T1_T2_jT3_P12ihipStream_tbPNSt15iterator_traitsISL_E10value_typeEPNSR_ISM_E10value_typeEPSN_NS1_7vsmem_tEENKUlT_SL_SM_SN_E_clIS8_S8_S9_S9_EESK_S10_SL_SM_SN_EUlS10_E_NS1_11comp_targetILNS1_3genE4ELNS1_11target_archE910ELNS1_3gpuE8ELNS1_3repE0EEENS1_48merge_mergepath_partition_config_static_selectorELNS0_4arch9wavefront6targetE1EEEvSM_
    .private_segment_fixed_size: 0
    .sgpr_count:     6
    .sgpr_spill_count: 0
    .symbol:         _ZN7rocprim17ROCPRIM_400000_NS6detail17trampoline_kernelINS0_14default_configENS1_38merge_sort_block_merge_config_selectorIlNS0_10empty_typeEEEZZNS1_27merge_sort_block_merge_implIS3_PlPS5_mZN2at6native12_GLOBAL__N_124unique_dim_cuda_templateIlEESt5tupleIJNSA_6TensorESF_SF_EERKSF_lbbbEUlllE_EE10hipError_tT0_T1_T2_jT3_P12ihipStream_tbPNSt15iterator_traitsISL_E10value_typeEPNSR_ISM_E10value_typeEPSN_NS1_7vsmem_tEENKUlT_SL_SM_SN_E_clIS8_S8_S9_S9_EESK_S10_SL_SM_SN_EUlS10_E_NS1_11comp_targetILNS1_3genE4ELNS1_11target_archE910ELNS1_3gpuE8ELNS1_3repE0EEENS1_48merge_mergepath_partition_config_static_selectorELNS0_4arch9wavefront6targetE1EEEvSM_.kd
    .uniform_work_group_size: 1
    .uses_dynamic_stack: false
    .vgpr_count:     0
    .vgpr_spill_count: 0
    .wavefront_size: 64
  - .agpr_count:     0
    .args:
      - .offset:         0
        .size:           56
        .value_kind:     by_value
    .group_segment_fixed_size: 0
    .kernarg_segment_align: 8
    .kernarg_segment_size: 56
    .language:       OpenCL C
    .language_version:
      - 2
      - 0
    .max_flat_workgroup_size: 128
    .name:           _ZN7rocprim17ROCPRIM_400000_NS6detail17trampoline_kernelINS0_14default_configENS1_38merge_sort_block_merge_config_selectorIlNS0_10empty_typeEEEZZNS1_27merge_sort_block_merge_implIS3_PlPS5_mZN2at6native12_GLOBAL__N_124unique_dim_cuda_templateIlEESt5tupleIJNSA_6TensorESF_SF_EERKSF_lbbbEUlllE_EE10hipError_tT0_T1_T2_jT3_P12ihipStream_tbPNSt15iterator_traitsISL_E10value_typeEPNSR_ISM_E10value_typeEPSN_NS1_7vsmem_tEENKUlT_SL_SM_SN_E_clIS8_S8_S9_S9_EESK_S10_SL_SM_SN_EUlS10_E_NS1_11comp_targetILNS1_3genE3ELNS1_11target_archE908ELNS1_3gpuE7ELNS1_3repE0EEENS1_48merge_mergepath_partition_config_static_selectorELNS0_4arch9wavefront6targetE1EEEvSM_
    .private_segment_fixed_size: 0
    .sgpr_count:     6
    .sgpr_spill_count: 0
    .symbol:         _ZN7rocprim17ROCPRIM_400000_NS6detail17trampoline_kernelINS0_14default_configENS1_38merge_sort_block_merge_config_selectorIlNS0_10empty_typeEEEZZNS1_27merge_sort_block_merge_implIS3_PlPS5_mZN2at6native12_GLOBAL__N_124unique_dim_cuda_templateIlEESt5tupleIJNSA_6TensorESF_SF_EERKSF_lbbbEUlllE_EE10hipError_tT0_T1_T2_jT3_P12ihipStream_tbPNSt15iterator_traitsISL_E10value_typeEPNSR_ISM_E10value_typeEPSN_NS1_7vsmem_tEENKUlT_SL_SM_SN_E_clIS8_S8_S9_S9_EESK_S10_SL_SM_SN_EUlS10_E_NS1_11comp_targetILNS1_3genE3ELNS1_11target_archE908ELNS1_3gpuE7ELNS1_3repE0EEENS1_48merge_mergepath_partition_config_static_selectorELNS0_4arch9wavefront6targetE1EEEvSM_.kd
    .uniform_work_group_size: 1
    .uses_dynamic_stack: false
    .vgpr_count:     0
    .vgpr_spill_count: 0
    .wavefront_size: 64
  - .agpr_count:     0
    .args:
      - .offset:         0
        .size:           56
        .value_kind:     by_value
    .group_segment_fixed_size: 0
    .kernarg_segment_align: 8
    .kernarg_segment_size: 56
    .language:       OpenCL C
    .language_version:
      - 2
      - 0
    .max_flat_workgroup_size: 128
    .name:           _ZN7rocprim17ROCPRIM_400000_NS6detail17trampoline_kernelINS0_14default_configENS1_38merge_sort_block_merge_config_selectorIlNS0_10empty_typeEEEZZNS1_27merge_sort_block_merge_implIS3_PlPS5_mZN2at6native12_GLOBAL__N_124unique_dim_cuda_templateIlEESt5tupleIJNSA_6TensorESF_SF_EERKSF_lbbbEUlllE_EE10hipError_tT0_T1_T2_jT3_P12ihipStream_tbPNSt15iterator_traitsISL_E10value_typeEPNSR_ISM_E10value_typeEPSN_NS1_7vsmem_tEENKUlT_SL_SM_SN_E_clIS8_S8_S9_S9_EESK_S10_SL_SM_SN_EUlS10_E_NS1_11comp_targetILNS1_3genE2ELNS1_11target_archE906ELNS1_3gpuE6ELNS1_3repE0EEENS1_48merge_mergepath_partition_config_static_selectorELNS0_4arch9wavefront6targetE1EEEvSM_
    .private_segment_fixed_size: 0
    .sgpr_count:     6
    .sgpr_spill_count: 0
    .symbol:         _ZN7rocprim17ROCPRIM_400000_NS6detail17trampoline_kernelINS0_14default_configENS1_38merge_sort_block_merge_config_selectorIlNS0_10empty_typeEEEZZNS1_27merge_sort_block_merge_implIS3_PlPS5_mZN2at6native12_GLOBAL__N_124unique_dim_cuda_templateIlEESt5tupleIJNSA_6TensorESF_SF_EERKSF_lbbbEUlllE_EE10hipError_tT0_T1_T2_jT3_P12ihipStream_tbPNSt15iterator_traitsISL_E10value_typeEPNSR_ISM_E10value_typeEPSN_NS1_7vsmem_tEENKUlT_SL_SM_SN_E_clIS8_S8_S9_S9_EESK_S10_SL_SM_SN_EUlS10_E_NS1_11comp_targetILNS1_3genE2ELNS1_11target_archE906ELNS1_3gpuE6ELNS1_3repE0EEENS1_48merge_mergepath_partition_config_static_selectorELNS0_4arch9wavefront6targetE1EEEvSM_.kd
    .uniform_work_group_size: 1
    .uses_dynamic_stack: false
    .vgpr_count:     0
    .vgpr_spill_count: 0
    .wavefront_size: 64
  - .agpr_count:     0
    .args:
      - .offset:         0
        .size:           56
        .value_kind:     by_value
    .group_segment_fixed_size: 0
    .kernarg_segment_align: 8
    .kernarg_segment_size: 56
    .language:       OpenCL C
    .language_version:
      - 2
      - 0
    .max_flat_workgroup_size: 128
    .name:           _ZN7rocprim17ROCPRIM_400000_NS6detail17trampoline_kernelINS0_14default_configENS1_38merge_sort_block_merge_config_selectorIlNS0_10empty_typeEEEZZNS1_27merge_sort_block_merge_implIS3_PlPS5_mZN2at6native12_GLOBAL__N_124unique_dim_cuda_templateIlEESt5tupleIJNSA_6TensorESF_SF_EERKSF_lbbbEUlllE_EE10hipError_tT0_T1_T2_jT3_P12ihipStream_tbPNSt15iterator_traitsISL_E10value_typeEPNSR_ISM_E10value_typeEPSN_NS1_7vsmem_tEENKUlT_SL_SM_SN_E_clIS8_S8_S9_S9_EESK_S10_SL_SM_SN_EUlS10_E_NS1_11comp_targetILNS1_3genE9ELNS1_11target_archE1100ELNS1_3gpuE3ELNS1_3repE0EEENS1_48merge_mergepath_partition_config_static_selectorELNS0_4arch9wavefront6targetE1EEEvSM_
    .private_segment_fixed_size: 0
    .sgpr_count:     6
    .sgpr_spill_count: 0
    .symbol:         _ZN7rocprim17ROCPRIM_400000_NS6detail17trampoline_kernelINS0_14default_configENS1_38merge_sort_block_merge_config_selectorIlNS0_10empty_typeEEEZZNS1_27merge_sort_block_merge_implIS3_PlPS5_mZN2at6native12_GLOBAL__N_124unique_dim_cuda_templateIlEESt5tupleIJNSA_6TensorESF_SF_EERKSF_lbbbEUlllE_EE10hipError_tT0_T1_T2_jT3_P12ihipStream_tbPNSt15iterator_traitsISL_E10value_typeEPNSR_ISM_E10value_typeEPSN_NS1_7vsmem_tEENKUlT_SL_SM_SN_E_clIS8_S8_S9_S9_EESK_S10_SL_SM_SN_EUlS10_E_NS1_11comp_targetILNS1_3genE9ELNS1_11target_archE1100ELNS1_3gpuE3ELNS1_3repE0EEENS1_48merge_mergepath_partition_config_static_selectorELNS0_4arch9wavefront6targetE1EEEvSM_.kd
    .uniform_work_group_size: 1
    .uses_dynamic_stack: false
    .vgpr_count:     0
    .vgpr_spill_count: 0
    .wavefront_size: 64
  - .agpr_count:     0
    .args:
      - .offset:         0
        .size:           56
        .value_kind:     by_value
    .group_segment_fixed_size: 0
    .kernarg_segment_align: 8
    .kernarg_segment_size: 56
    .language:       OpenCL C
    .language_version:
      - 2
      - 0
    .max_flat_workgroup_size: 128
    .name:           _ZN7rocprim17ROCPRIM_400000_NS6detail17trampoline_kernelINS0_14default_configENS1_38merge_sort_block_merge_config_selectorIlNS0_10empty_typeEEEZZNS1_27merge_sort_block_merge_implIS3_PlPS5_mZN2at6native12_GLOBAL__N_124unique_dim_cuda_templateIlEESt5tupleIJNSA_6TensorESF_SF_EERKSF_lbbbEUlllE_EE10hipError_tT0_T1_T2_jT3_P12ihipStream_tbPNSt15iterator_traitsISL_E10value_typeEPNSR_ISM_E10value_typeEPSN_NS1_7vsmem_tEENKUlT_SL_SM_SN_E_clIS8_S8_S9_S9_EESK_S10_SL_SM_SN_EUlS10_E_NS1_11comp_targetILNS1_3genE8ELNS1_11target_archE1030ELNS1_3gpuE2ELNS1_3repE0EEENS1_48merge_mergepath_partition_config_static_selectorELNS0_4arch9wavefront6targetE1EEEvSM_
    .private_segment_fixed_size: 0
    .sgpr_count:     6
    .sgpr_spill_count: 0
    .symbol:         _ZN7rocprim17ROCPRIM_400000_NS6detail17trampoline_kernelINS0_14default_configENS1_38merge_sort_block_merge_config_selectorIlNS0_10empty_typeEEEZZNS1_27merge_sort_block_merge_implIS3_PlPS5_mZN2at6native12_GLOBAL__N_124unique_dim_cuda_templateIlEESt5tupleIJNSA_6TensorESF_SF_EERKSF_lbbbEUlllE_EE10hipError_tT0_T1_T2_jT3_P12ihipStream_tbPNSt15iterator_traitsISL_E10value_typeEPNSR_ISM_E10value_typeEPSN_NS1_7vsmem_tEENKUlT_SL_SM_SN_E_clIS8_S8_S9_S9_EESK_S10_SL_SM_SN_EUlS10_E_NS1_11comp_targetILNS1_3genE8ELNS1_11target_archE1030ELNS1_3gpuE2ELNS1_3repE0EEENS1_48merge_mergepath_partition_config_static_selectorELNS0_4arch9wavefront6targetE1EEEvSM_.kd
    .uniform_work_group_size: 1
    .uses_dynamic_stack: false
    .vgpr_count:     0
    .vgpr_spill_count: 0
    .wavefront_size: 64
  - .agpr_count:     0
    .args:
      - .offset:         0
        .size:           88
        .value_kind:     by_value
    .group_segment_fixed_size: 0
    .kernarg_segment_align: 8
    .kernarg_segment_size: 88
    .language:       OpenCL C
    .language_version:
      - 2
      - 0
    .max_flat_workgroup_size: 128
    .name:           _ZN7rocprim17ROCPRIM_400000_NS6detail17trampoline_kernelINS0_14default_configENS1_38merge_sort_block_merge_config_selectorIlNS0_10empty_typeEEEZZNS1_27merge_sort_block_merge_implIS3_PlPS5_mZN2at6native12_GLOBAL__N_124unique_dim_cuda_templateIlEESt5tupleIJNSA_6TensorESF_SF_EERKSF_lbbbEUlllE_EE10hipError_tT0_T1_T2_jT3_P12ihipStream_tbPNSt15iterator_traitsISL_E10value_typeEPNSR_ISM_E10value_typeEPSN_NS1_7vsmem_tEENKUlT_SL_SM_SN_E_clIS8_S8_S9_S9_EESK_S10_SL_SM_SN_EUlS10_E0_NS1_11comp_targetILNS1_3genE0ELNS1_11target_archE4294967295ELNS1_3gpuE0ELNS1_3repE0EEENS1_38merge_mergepath_config_static_selectorELNS0_4arch9wavefront6targetE1EEEvSM_
    .private_segment_fixed_size: 0
    .sgpr_count:     6
    .sgpr_spill_count: 0
    .symbol:         _ZN7rocprim17ROCPRIM_400000_NS6detail17trampoline_kernelINS0_14default_configENS1_38merge_sort_block_merge_config_selectorIlNS0_10empty_typeEEEZZNS1_27merge_sort_block_merge_implIS3_PlPS5_mZN2at6native12_GLOBAL__N_124unique_dim_cuda_templateIlEESt5tupleIJNSA_6TensorESF_SF_EERKSF_lbbbEUlllE_EE10hipError_tT0_T1_T2_jT3_P12ihipStream_tbPNSt15iterator_traitsISL_E10value_typeEPNSR_ISM_E10value_typeEPSN_NS1_7vsmem_tEENKUlT_SL_SM_SN_E_clIS8_S8_S9_S9_EESK_S10_SL_SM_SN_EUlS10_E0_NS1_11comp_targetILNS1_3genE0ELNS1_11target_archE4294967295ELNS1_3gpuE0ELNS1_3repE0EEENS1_38merge_mergepath_config_static_selectorELNS0_4arch9wavefront6targetE1EEEvSM_.kd
    .uniform_work_group_size: 1
    .uses_dynamic_stack: false
    .vgpr_count:     0
    .vgpr_spill_count: 0
    .wavefront_size: 64
  - .agpr_count:     0
    .args:
      - .offset:         0
        .size:           88
        .value_kind:     by_value
    .group_segment_fixed_size: 0
    .kernarg_segment_align: 8
    .kernarg_segment_size: 88
    .language:       OpenCL C
    .language_version:
      - 2
      - 0
    .max_flat_workgroup_size: 512
    .name:           _ZN7rocprim17ROCPRIM_400000_NS6detail17trampoline_kernelINS0_14default_configENS1_38merge_sort_block_merge_config_selectorIlNS0_10empty_typeEEEZZNS1_27merge_sort_block_merge_implIS3_PlPS5_mZN2at6native12_GLOBAL__N_124unique_dim_cuda_templateIlEESt5tupleIJNSA_6TensorESF_SF_EERKSF_lbbbEUlllE_EE10hipError_tT0_T1_T2_jT3_P12ihipStream_tbPNSt15iterator_traitsISL_E10value_typeEPNSR_ISM_E10value_typeEPSN_NS1_7vsmem_tEENKUlT_SL_SM_SN_E_clIS8_S8_S9_S9_EESK_S10_SL_SM_SN_EUlS10_E0_NS1_11comp_targetILNS1_3genE10ELNS1_11target_archE1201ELNS1_3gpuE5ELNS1_3repE0EEENS1_38merge_mergepath_config_static_selectorELNS0_4arch9wavefront6targetE1EEEvSM_
    .private_segment_fixed_size: 0
    .sgpr_count:     6
    .sgpr_spill_count: 0
    .symbol:         _ZN7rocprim17ROCPRIM_400000_NS6detail17trampoline_kernelINS0_14default_configENS1_38merge_sort_block_merge_config_selectorIlNS0_10empty_typeEEEZZNS1_27merge_sort_block_merge_implIS3_PlPS5_mZN2at6native12_GLOBAL__N_124unique_dim_cuda_templateIlEESt5tupleIJNSA_6TensorESF_SF_EERKSF_lbbbEUlllE_EE10hipError_tT0_T1_T2_jT3_P12ihipStream_tbPNSt15iterator_traitsISL_E10value_typeEPNSR_ISM_E10value_typeEPSN_NS1_7vsmem_tEENKUlT_SL_SM_SN_E_clIS8_S8_S9_S9_EESK_S10_SL_SM_SN_EUlS10_E0_NS1_11comp_targetILNS1_3genE10ELNS1_11target_archE1201ELNS1_3gpuE5ELNS1_3repE0EEENS1_38merge_mergepath_config_static_selectorELNS0_4arch9wavefront6targetE1EEEvSM_.kd
    .uniform_work_group_size: 1
    .uses_dynamic_stack: false
    .vgpr_count:     0
    .vgpr_spill_count: 0
    .wavefront_size: 64
  - .agpr_count:     0
    .args:
      - .offset:         0
        .size:           88
        .value_kind:     by_value
      - .offset:         88
        .size:           4
        .value_kind:     hidden_block_count_x
      - .offset:         92
        .size:           4
        .value_kind:     hidden_block_count_y
      - .offset:         96
        .size:           4
        .value_kind:     hidden_block_count_z
      - .offset:         100
        .size:           2
        .value_kind:     hidden_group_size_x
      - .offset:         102
        .size:           2
        .value_kind:     hidden_group_size_y
      - .offset:         104
        .size:           2
        .value_kind:     hidden_group_size_z
      - .offset:         106
        .size:           2
        .value_kind:     hidden_remainder_x
      - .offset:         108
        .size:           2
        .value_kind:     hidden_remainder_y
      - .offset:         110
        .size:           2
        .value_kind:     hidden_remainder_z
      - .offset:         128
        .size:           8
        .value_kind:     hidden_global_offset_x
      - .offset:         136
        .size:           8
        .value_kind:     hidden_global_offset_y
      - .offset:         144
        .size:           8
        .value_kind:     hidden_global_offset_z
      - .offset:         152
        .size:           2
        .value_kind:     hidden_grid_dims
    .group_segment_fixed_size: 8448
    .kernarg_segment_align: 8
    .kernarg_segment_size: 344
    .language:       OpenCL C
    .language_version:
      - 2
      - 0
    .max_flat_workgroup_size: 128
    .name:           _ZN7rocprim17ROCPRIM_400000_NS6detail17trampoline_kernelINS0_14default_configENS1_38merge_sort_block_merge_config_selectorIlNS0_10empty_typeEEEZZNS1_27merge_sort_block_merge_implIS3_PlPS5_mZN2at6native12_GLOBAL__N_124unique_dim_cuda_templateIlEESt5tupleIJNSA_6TensorESF_SF_EERKSF_lbbbEUlllE_EE10hipError_tT0_T1_T2_jT3_P12ihipStream_tbPNSt15iterator_traitsISL_E10value_typeEPNSR_ISM_E10value_typeEPSN_NS1_7vsmem_tEENKUlT_SL_SM_SN_E_clIS8_S8_S9_S9_EESK_S10_SL_SM_SN_EUlS10_E0_NS1_11comp_targetILNS1_3genE5ELNS1_11target_archE942ELNS1_3gpuE9ELNS1_3repE0EEENS1_38merge_mergepath_config_static_selectorELNS0_4arch9wavefront6targetE1EEEvSM_
    .private_segment_fixed_size: 0
    .sgpr_count:     60
    .sgpr_spill_count: 0
    .symbol:         _ZN7rocprim17ROCPRIM_400000_NS6detail17trampoline_kernelINS0_14default_configENS1_38merge_sort_block_merge_config_selectorIlNS0_10empty_typeEEEZZNS1_27merge_sort_block_merge_implIS3_PlPS5_mZN2at6native12_GLOBAL__N_124unique_dim_cuda_templateIlEESt5tupleIJNSA_6TensorESF_SF_EERKSF_lbbbEUlllE_EE10hipError_tT0_T1_T2_jT3_P12ihipStream_tbPNSt15iterator_traitsISL_E10value_typeEPNSR_ISM_E10value_typeEPSN_NS1_7vsmem_tEENKUlT_SL_SM_SN_E_clIS8_S8_S9_S9_EESK_S10_SL_SM_SN_EUlS10_E0_NS1_11comp_targetILNS1_3genE5ELNS1_11target_archE942ELNS1_3gpuE9ELNS1_3repE0EEENS1_38merge_mergepath_config_static_selectorELNS0_4arch9wavefront6targetE1EEEvSM_.kd
    .uniform_work_group_size: 1
    .uses_dynamic_stack: false
    .vgpr_count:     42
    .vgpr_spill_count: 0
    .wavefront_size: 64
  - .agpr_count:     0
    .args:
      - .offset:         0
        .size:           88
        .value_kind:     by_value
    .group_segment_fixed_size: 0
    .kernarg_segment_align: 8
    .kernarg_segment_size: 88
    .language:       OpenCL C
    .language_version:
      - 2
      - 0
    .max_flat_workgroup_size: 256
    .name:           _ZN7rocprim17ROCPRIM_400000_NS6detail17trampoline_kernelINS0_14default_configENS1_38merge_sort_block_merge_config_selectorIlNS0_10empty_typeEEEZZNS1_27merge_sort_block_merge_implIS3_PlPS5_mZN2at6native12_GLOBAL__N_124unique_dim_cuda_templateIlEESt5tupleIJNSA_6TensorESF_SF_EERKSF_lbbbEUlllE_EE10hipError_tT0_T1_T2_jT3_P12ihipStream_tbPNSt15iterator_traitsISL_E10value_typeEPNSR_ISM_E10value_typeEPSN_NS1_7vsmem_tEENKUlT_SL_SM_SN_E_clIS8_S8_S9_S9_EESK_S10_SL_SM_SN_EUlS10_E0_NS1_11comp_targetILNS1_3genE4ELNS1_11target_archE910ELNS1_3gpuE8ELNS1_3repE0EEENS1_38merge_mergepath_config_static_selectorELNS0_4arch9wavefront6targetE1EEEvSM_
    .private_segment_fixed_size: 0
    .sgpr_count:     6
    .sgpr_spill_count: 0
    .symbol:         _ZN7rocprim17ROCPRIM_400000_NS6detail17trampoline_kernelINS0_14default_configENS1_38merge_sort_block_merge_config_selectorIlNS0_10empty_typeEEEZZNS1_27merge_sort_block_merge_implIS3_PlPS5_mZN2at6native12_GLOBAL__N_124unique_dim_cuda_templateIlEESt5tupleIJNSA_6TensorESF_SF_EERKSF_lbbbEUlllE_EE10hipError_tT0_T1_T2_jT3_P12ihipStream_tbPNSt15iterator_traitsISL_E10value_typeEPNSR_ISM_E10value_typeEPSN_NS1_7vsmem_tEENKUlT_SL_SM_SN_E_clIS8_S8_S9_S9_EESK_S10_SL_SM_SN_EUlS10_E0_NS1_11comp_targetILNS1_3genE4ELNS1_11target_archE910ELNS1_3gpuE8ELNS1_3repE0EEENS1_38merge_mergepath_config_static_selectorELNS0_4arch9wavefront6targetE1EEEvSM_.kd
    .uniform_work_group_size: 1
    .uses_dynamic_stack: false
    .vgpr_count:     0
    .vgpr_spill_count: 0
    .wavefront_size: 64
  - .agpr_count:     0
    .args:
      - .offset:         0
        .size:           88
        .value_kind:     by_value
    .group_segment_fixed_size: 0
    .kernarg_segment_align: 8
    .kernarg_segment_size: 88
    .language:       OpenCL C
    .language_version:
      - 2
      - 0
    .max_flat_workgroup_size: 128
    .name:           _ZN7rocprim17ROCPRIM_400000_NS6detail17trampoline_kernelINS0_14default_configENS1_38merge_sort_block_merge_config_selectorIlNS0_10empty_typeEEEZZNS1_27merge_sort_block_merge_implIS3_PlPS5_mZN2at6native12_GLOBAL__N_124unique_dim_cuda_templateIlEESt5tupleIJNSA_6TensorESF_SF_EERKSF_lbbbEUlllE_EE10hipError_tT0_T1_T2_jT3_P12ihipStream_tbPNSt15iterator_traitsISL_E10value_typeEPNSR_ISM_E10value_typeEPSN_NS1_7vsmem_tEENKUlT_SL_SM_SN_E_clIS8_S8_S9_S9_EESK_S10_SL_SM_SN_EUlS10_E0_NS1_11comp_targetILNS1_3genE3ELNS1_11target_archE908ELNS1_3gpuE7ELNS1_3repE0EEENS1_38merge_mergepath_config_static_selectorELNS0_4arch9wavefront6targetE1EEEvSM_
    .private_segment_fixed_size: 0
    .sgpr_count:     6
    .sgpr_spill_count: 0
    .symbol:         _ZN7rocprim17ROCPRIM_400000_NS6detail17trampoline_kernelINS0_14default_configENS1_38merge_sort_block_merge_config_selectorIlNS0_10empty_typeEEEZZNS1_27merge_sort_block_merge_implIS3_PlPS5_mZN2at6native12_GLOBAL__N_124unique_dim_cuda_templateIlEESt5tupleIJNSA_6TensorESF_SF_EERKSF_lbbbEUlllE_EE10hipError_tT0_T1_T2_jT3_P12ihipStream_tbPNSt15iterator_traitsISL_E10value_typeEPNSR_ISM_E10value_typeEPSN_NS1_7vsmem_tEENKUlT_SL_SM_SN_E_clIS8_S8_S9_S9_EESK_S10_SL_SM_SN_EUlS10_E0_NS1_11comp_targetILNS1_3genE3ELNS1_11target_archE908ELNS1_3gpuE7ELNS1_3repE0EEENS1_38merge_mergepath_config_static_selectorELNS0_4arch9wavefront6targetE1EEEvSM_.kd
    .uniform_work_group_size: 1
    .uses_dynamic_stack: false
    .vgpr_count:     0
    .vgpr_spill_count: 0
    .wavefront_size: 64
  - .agpr_count:     0
    .args:
      - .offset:         0
        .size:           88
        .value_kind:     by_value
    .group_segment_fixed_size: 0
    .kernarg_segment_align: 8
    .kernarg_segment_size: 88
    .language:       OpenCL C
    .language_version:
      - 2
      - 0
    .max_flat_workgroup_size: 256
    .name:           _ZN7rocprim17ROCPRIM_400000_NS6detail17trampoline_kernelINS0_14default_configENS1_38merge_sort_block_merge_config_selectorIlNS0_10empty_typeEEEZZNS1_27merge_sort_block_merge_implIS3_PlPS5_mZN2at6native12_GLOBAL__N_124unique_dim_cuda_templateIlEESt5tupleIJNSA_6TensorESF_SF_EERKSF_lbbbEUlllE_EE10hipError_tT0_T1_T2_jT3_P12ihipStream_tbPNSt15iterator_traitsISL_E10value_typeEPNSR_ISM_E10value_typeEPSN_NS1_7vsmem_tEENKUlT_SL_SM_SN_E_clIS8_S8_S9_S9_EESK_S10_SL_SM_SN_EUlS10_E0_NS1_11comp_targetILNS1_3genE2ELNS1_11target_archE906ELNS1_3gpuE6ELNS1_3repE0EEENS1_38merge_mergepath_config_static_selectorELNS0_4arch9wavefront6targetE1EEEvSM_
    .private_segment_fixed_size: 0
    .sgpr_count:     6
    .sgpr_spill_count: 0
    .symbol:         _ZN7rocprim17ROCPRIM_400000_NS6detail17trampoline_kernelINS0_14default_configENS1_38merge_sort_block_merge_config_selectorIlNS0_10empty_typeEEEZZNS1_27merge_sort_block_merge_implIS3_PlPS5_mZN2at6native12_GLOBAL__N_124unique_dim_cuda_templateIlEESt5tupleIJNSA_6TensorESF_SF_EERKSF_lbbbEUlllE_EE10hipError_tT0_T1_T2_jT3_P12ihipStream_tbPNSt15iterator_traitsISL_E10value_typeEPNSR_ISM_E10value_typeEPSN_NS1_7vsmem_tEENKUlT_SL_SM_SN_E_clIS8_S8_S9_S9_EESK_S10_SL_SM_SN_EUlS10_E0_NS1_11comp_targetILNS1_3genE2ELNS1_11target_archE906ELNS1_3gpuE6ELNS1_3repE0EEENS1_38merge_mergepath_config_static_selectorELNS0_4arch9wavefront6targetE1EEEvSM_.kd
    .uniform_work_group_size: 1
    .uses_dynamic_stack: false
    .vgpr_count:     0
    .vgpr_spill_count: 0
    .wavefront_size: 64
  - .agpr_count:     0
    .args:
      - .offset:         0
        .size:           88
        .value_kind:     by_value
    .group_segment_fixed_size: 0
    .kernarg_segment_align: 8
    .kernarg_segment_size: 88
    .language:       OpenCL C
    .language_version:
      - 2
      - 0
    .max_flat_workgroup_size: 512
    .name:           _ZN7rocprim17ROCPRIM_400000_NS6detail17trampoline_kernelINS0_14default_configENS1_38merge_sort_block_merge_config_selectorIlNS0_10empty_typeEEEZZNS1_27merge_sort_block_merge_implIS3_PlPS5_mZN2at6native12_GLOBAL__N_124unique_dim_cuda_templateIlEESt5tupleIJNSA_6TensorESF_SF_EERKSF_lbbbEUlllE_EE10hipError_tT0_T1_T2_jT3_P12ihipStream_tbPNSt15iterator_traitsISL_E10value_typeEPNSR_ISM_E10value_typeEPSN_NS1_7vsmem_tEENKUlT_SL_SM_SN_E_clIS8_S8_S9_S9_EESK_S10_SL_SM_SN_EUlS10_E0_NS1_11comp_targetILNS1_3genE9ELNS1_11target_archE1100ELNS1_3gpuE3ELNS1_3repE0EEENS1_38merge_mergepath_config_static_selectorELNS0_4arch9wavefront6targetE1EEEvSM_
    .private_segment_fixed_size: 0
    .sgpr_count:     6
    .sgpr_spill_count: 0
    .symbol:         _ZN7rocprim17ROCPRIM_400000_NS6detail17trampoline_kernelINS0_14default_configENS1_38merge_sort_block_merge_config_selectorIlNS0_10empty_typeEEEZZNS1_27merge_sort_block_merge_implIS3_PlPS5_mZN2at6native12_GLOBAL__N_124unique_dim_cuda_templateIlEESt5tupleIJNSA_6TensorESF_SF_EERKSF_lbbbEUlllE_EE10hipError_tT0_T1_T2_jT3_P12ihipStream_tbPNSt15iterator_traitsISL_E10value_typeEPNSR_ISM_E10value_typeEPSN_NS1_7vsmem_tEENKUlT_SL_SM_SN_E_clIS8_S8_S9_S9_EESK_S10_SL_SM_SN_EUlS10_E0_NS1_11comp_targetILNS1_3genE9ELNS1_11target_archE1100ELNS1_3gpuE3ELNS1_3repE0EEENS1_38merge_mergepath_config_static_selectorELNS0_4arch9wavefront6targetE1EEEvSM_.kd
    .uniform_work_group_size: 1
    .uses_dynamic_stack: false
    .vgpr_count:     0
    .vgpr_spill_count: 0
    .wavefront_size: 64
  - .agpr_count:     0
    .args:
      - .offset:         0
        .size:           88
        .value_kind:     by_value
    .group_segment_fixed_size: 0
    .kernarg_segment_align: 8
    .kernarg_segment_size: 88
    .language:       OpenCL C
    .language_version:
      - 2
      - 0
    .max_flat_workgroup_size: 1024
    .name:           _ZN7rocprim17ROCPRIM_400000_NS6detail17trampoline_kernelINS0_14default_configENS1_38merge_sort_block_merge_config_selectorIlNS0_10empty_typeEEEZZNS1_27merge_sort_block_merge_implIS3_PlPS5_mZN2at6native12_GLOBAL__N_124unique_dim_cuda_templateIlEESt5tupleIJNSA_6TensorESF_SF_EERKSF_lbbbEUlllE_EE10hipError_tT0_T1_T2_jT3_P12ihipStream_tbPNSt15iterator_traitsISL_E10value_typeEPNSR_ISM_E10value_typeEPSN_NS1_7vsmem_tEENKUlT_SL_SM_SN_E_clIS8_S8_S9_S9_EESK_S10_SL_SM_SN_EUlS10_E0_NS1_11comp_targetILNS1_3genE8ELNS1_11target_archE1030ELNS1_3gpuE2ELNS1_3repE0EEENS1_38merge_mergepath_config_static_selectorELNS0_4arch9wavefront6targetE1EEEvSM_
    .private_segment_fixed_size: 0
    .sgpr_count:     6
    .sgpr_spill_count: 0
    .symbol:         _ZN7rocprim17ROCPRIM_400000_NS6detail17trampoline_kernelINS0_14default_configENS1_38merge_sort_block_merge_config_selectorIlNS0_10empty_typeEEEZZNS1_27merge_sort_block_merge_implIS3_PlPS5_mZN2at6native12_GLOBAL__N_124unique_dim_cuda_templateIlEESt5tupleIJNSA_6TensorESF_SF_EERKSF_lbbbEUlllE_EE10hipError_tT0_T1_T2_jT3_P12ihipStream_tbPNSt15iterator_traitsISL_E10value_typeEPNSR_ISM_E10value_typeEPSN_NS1_7vsmem_tEENKUlT_SL_SM_SN_E_clIS8_S8_S9_S9_EESK_S10_SL_SM_SN_EUlS10_E0_NS1_11comp_targetILNS1_3genE8ELNS1_11target_archE1030ELNS1_3gpuE2ELNS1_3repE0EEENS1_38merge_mergepath_config_static_selectorELNS0_4arch9wavefront6targetE1EEEvSM_.kd
    .uniform_work_group_size: 1
    .uses_dynamic_stack: false
    .vgpr_count:     0
    .vgpr_spill_count: 0
    .wavefront_size: 64
  - .agpr_count:     0
    .args:
      - .offset:         0
        .size:           64
        .value_kind:     by_value
    .group_segment_fixed_size: 0
    .kernarg_segment_align: 8
    .kernarg_segment_size: 64
    .language:       OpenCL C
    .language_version:
      - 2
      - 0
    .max_flat_workgroup_size: 256
    .name:           _ZN7rocprim17ROCPRIM_400000_NS6detail17trampoline_kernelINS0_14default_configENS1_38merge_sort_block_merge_config_selectorIlNS0_10empty_typeEEEZZNS1_27merge_sort_block_merge_implIS3_PlPS5_mZN2at6native12_GLOBAL__N_124unique_dim_cuda_templateIlEESt5tupleIJNSA_6TensorESF_SF_EERKSF_lbbbEUlllE_EE10hipError_tT0_T1_T2_jT3_P12ihipStream_tbPNSt15iterator_traitsISL_E10value_typeEPNSR_ISM_E10value_typeEPSN_NS1_7vsmem_tEENKUlT_SL_SM_SN_E_clIS8_S8_S9_S9_EESK_S10_SL_SM_SN_EUlS10_E1_NS1_11comp_targetILNS1_3genE0ELNS1_11target_archE4294967295ELNS1_3gpuE0ELNS1_3repE0EEENS1_36merge_oddeven_config_static_selectorELNS0_4arch9wavefront6targetE1EEEvSM_
    .private_segment_fixed_size: 0
    .sgpr_count:     6
    .sgpr_spill_count: 0
    .symbol:         _ZN7rocprim17ROCPRIM_400000_NS6detail17trampoline_kernelINS0_14default_configENS1_38merge_sort_block_merge_config_selectorIlNS0_10empty_typeEEEZZNS1_27merge_sort_block_merge_implIS3_PlPS5_mZN2at6native12_GLOBAL__N_124unique_dim_cuda_templateIlEESt5tupleIJNSA_6TensorESF_SF_EERKSF_lbbbEUlllE_EE10hipError_tT0_T1_T2_jT3_P12ihipStream_tbPNSt15iterator_traitsISL_E10value_typeEPNSR_ISM_E10value_typeEPSN_NS1_7vsmem_tEENKUlT_SL_SM_SN_E_clIS8_S8_S9_S9_EESK_S10_SL_SM_SN_EUlS10_E1_NS1_11comp_targetILNS1_3genE0ELNS1_11target_archE4294967295ELNS1_3gpuE0ELNS1_3repE0EEENS1_36merge_oddeven_config_static_selectorELNS0_4arch9wavefront6targetE1EEEvSM_.kd
    .uniform_work_group_size: 1
    .uses_dynamic_stack: false
    .vgpr_count:     0
    .vgpr_spill_count: 0
    .wavefront_size: 64
  - .agpr_count:     0
    .args:
      - .offset:         0
        .size:           64
        .value_kind:     by_value
    .group_segment_fixed_size: 0
    .kernarg_segment_align: 8
    .kernarg_segment_size: 64
    .language:       OpenCL C
    .language_version:
      - 2
      - 0
    .max_flat_workgroup_size: 256
    .name:           _ZN7rocprim17ROCPRIM_400000_NS6detail17trampoline_kernelINS0_14default_configENS1_38merge_sort_block_merge_config_selectorIlNS0_10empty_typeEEEZZNS1_27merge_sort_block_merge_implIS3_PlPS5_mZN2at6native12_GLOBAL__N_124unique_dim_cuda_templateIlEESt5tupleIJNSA_6TensorESF_SF_EERKSF_lbbbEUlllE_EE10hipError_tT0_T1_T2_jT3_P12ihipStream_tbPNSt15iterator_traitsISL_E10value_typeEPNSR_ISM_E10value_typeEPSN_NS1_7vsmem_tEENKUlT_SL_SM_SN_E_clIS8_S8_S9_S9_EESK_S10_SL_SM_SN_EUlS10_E1_NS1_11comp_targetILNS1_3genE10ELNS1_11target_archE1201ELNS1_3gpuE5ELNS1_3repE0EEENS1_36merge_oddeven_config_static_selectorELNS0_4arch9wavefront6targetE1EEEvSM_
    .private_segment_fixed_size: 0
    .sgpr_count:     6
    .sgpr_spill_count: 0
    .symbol:         _ZN7rocprim17ROCPRIM_400000_NS6detail17trampoline_kernelINS0_14default_configENS1_38merge_sort_block_merge_config_selectorIlNS0_10empty_typeEEEZZNS1_27merge_sort_block_merge_implIS3_PlPS5_mZN2at6native12_GLOBAL__N_124unique_dim_cuda_templateIlEESt5tupleIJNSA_6TensorESF_SF_EERKSF_lbbbEUlllE_EE10hipError_tT0_T1_T2_jT3_P12ihipStream_tbPNSt15iterator_traitsISL_E10value_typeEPNSR_ISM_E10value_typeEPSN_NS1_7vsmem_tEENKUlT_SL_SM_SN_E_clIS8_S8_S9_S9_EESK_S10_SL_SM_SN_EUlS10_E1_NS1_11comp_targetILNS1_3genE10ELNS1_11target_archE1201ELNS1_3gpuE5ELNS1_3repE0EEENS1_36merge_oddeven_config_static_selectorELNS0_4arch9wavefront6targetE1EEEvSM_.kd
    .uniform_work_group_size: 1
    .uses_dynamic_stack: false
    .vgpr_count:     0
    .vgpr_spill_count: 0
    .wavefront_size: 64
  - .agpr_count:     0
    .args:
      - .offset:         0
        .size:           64
        .value_kind:     by_value
    .group_segment_fixed_size: 0
    .kernarg_segment_align: 8
    .kernarg_segment_size: 64
    .language:       OpenCL C
    .language_version:
      - 2
      - 0
    .max_flat_workgroup_size: 256
    .name:           _ZN7rocprim17ROCPRIM_400000_NS6detail17trampoline_kernelINS0_14default_configENS1_38merge_sort_block_merge_config_selectorIlNS0_10empty_typeEEEZZNS1_27merge_sort_block_merge_implIS3_PlPS5_mZN2at6native12_GLOBAL__N_124unique_dim_cuda_templateIlEESt5tupleIJNSA_6TensorESF_SF_EERKSF_lbbbEUlllE_EE10hipError_tT0_T1_T2_jT3_P12ihipStream_tbPNSt15iterator_traitsISL_E10value_typeEPNSR_ISM_E10value_typeEPSN_NS1_7vsmem_tEENKUlT_SL_SM_SN_E_clIS8_S8_S9_S9_EESK_S10_SL_SM_SN_EUlS10_E1_NS1_11comp_targetILNS1_3genE5ELNS1_11target_archE942ELNS1_3gpuE9ELNS1_3repE0EEENS1_36merge_oddeven_config_static_selectorELNS0_4arch9wavefront6targetE1EEEvSM_
    .private_segment_fixed_size: 0
    .sgpr_count:     52
    .sgpr_spill_count: 0
    .symbol:         _ZN7rocprim17ROCPRIM_400000_NS6detail17trampoline_kernelINS0_14default_configENS1_38merge_sort_block_merge_config_selectorIlNS0_10empty_typeEEEZZNS1_27merge_sort_block_merge_implIS3_PlPS5_mZN2at6native12_GLOBAL__N_124unique_dim_cuda_templateIlEESt5tupleIJNSA_6TensorESF_SF_EERKSF_lbbbEUlllE_EE10hipError_tT0_T1_T2_jT3_P12ihipStream_tbPNSt15iterator_traitsISL_E10value_typeEPNSR_ISM_E10value_typeEPSN_NS1_7vsmem_tEENKUlT_SL_SM_SN_E_clIS8_S8_S9_S9_EESK_S10_SL_SM_SN_EUlS10_E1_NS1_11comp_targetILNS1_3genE5ELNS1_11target_archE942ELNS1_3gpuE9ELNS1_3repE0EEENS1_36merge_oddeven_config_static_selectorELNS0_4arch9wavefront6targetE1EEEvSM_.kd
    .uniform_work_group_size: 1
    .uses_dynamic_stack: false
    .vgpr_count:     22
    .vgpr_spill_count: 0
    .wavefront_size: 64
  - .agpr_count:     0
    .args:
      - .offset:         0
        .size:           64
        .value_kind:     by_value
    .group_segment_fixed_size: 0
    .kernarg_segment_align: 8
    .kernarg_segment_size: 64
    .language:       OpenCL C
    .language_version:
      - 2
      - 0
    .max_flat_workgroup_size: 256
    .name:           _ZN7rocprim17ROCPRIM_400000_NS6detail17trampoline_kernelINS0_14default_configENS1_38merge_sort_block_merge_config_selectorIlNS0_10empty_typeEEEZZNS1_27merge_sort_block_merge_implIS3_PlPS5_mZN2at6native12_GLOBAL__N_124unique_dim_cuda_templateIlEESt5tupleIJNSA_6TensorESF_SF_EERKSF_lbbbEUlllE_EE10hipError_tT0_T1_T2_jT3_P12ihipStream_tbPNSt15iterator_traitsISL_E10value_typeEPNSR_ISM_E10value_typeEPSN_NS1_7vsmem_tEENKUlT_SL_SM_SN_E_clIS8_S8_S9_S9_EESK_S10_SL_SM_SN_EUlS10_E1_NS1_11comp_targetILNS1_3genE4ELNS1_11target_archE910ELNS1_3gpuE8ELNS1_3repE0EEENS1_36merge_oddeven_config_static_selectorELNS0_4arch9wavefront6targetE1EEEvSM_
    .private_segment_fixed_size: 0
    .sgpr_count:     6
    .sgpr_spill_count: 0
    .symbol:         _ZN7rocprim17ROCPRIM_400000_NS6detail17trampoline_kernelINS0_14default_configENS1_38merge_sort_block_merge_config_selectorIlNS0_10empty_typeEEEZZNS1_27merge_sort_block_merge_implIS3_PlPS5_mZN2at6native12_GLOBAL__N_124unique_dim_cuda_templateIlEESt5tupleIJNSA_6TensorESF_SF_EERKSF_lbbbEUlllE_EE10hipError_tT0_T1_T2_jT3_P12ihipStream_tbPNSt15iterator_traitsISL_E10value_typeEPNSR_ISM_E10value_typeEPSN_NS1_7vsmem_tEENKUlT_SL_SM_SN_E_clIS8_S8_S9_S9_EESK_S10_SL_SM_SN_EUlS10_E1_NS1_11comp_targetILNS1_3genE4ELNS1_11target_archE910ELNS1_3gpuE8ELNS1_3repE0EEENS1_36merge_oddeven_config_static_selectorELNS0_4arch9wavefront6targetE1EEEvSM_.kd
    .uniform_work_group_size: 1
    .uses_dynamic_stack: false
    .vgpr_count:     0
    .vgpr_spill_count: 0
    .wavefront_size: 64
  - .agpr_count:     0
    .args:
      - .offset:         0
        .size:           64
        .value_kind:     by_value
    .group_segment_fixed_size: 0
    .kernarg_segment_align: 8
    .kernarg_segment_size: 64
    .language:       OpenCL C
    .language_version:
      - 2
      - 0
    .max_flat_workgroup_size: 256
    .name:           _ZN7rocprim17ROCPRIM_400000_NS6detail17trampoline_kernelINS0_14default_configENS1_38merge_sort_block_merge_config_selectorIlNS0_10empty_typeEEEZZNS1_27merge_sort_block_merge_implIS3_PlPS5_mZN2at6native12_GLOBAL__N_124unique_dim_cuda_templateIlEESt5tupleIJNSA_6TensorESF_SF_EERKSF_lbbbEUlllE_EE10hipError_tT0_T1_T2_jT3_P12ihipStream_tbPNSt15iterator_traitsISL_E10value_typeEPNSR_ISM_E10value_typeEPSN_NS1_7vsmem_tEENKUlT_SL_SM_SN_E_clIS8_S8_S9_S9_EESK_S10_SL_SM_SN_EUlS10_E1_NS1_11comp_targetILNS1_3genE3ELNS1_11target_archE908ELNS1_3gpuE7ELNS1_3repE0EEENS1_36merge_oddeven_config_static_selectorELNS0_4arch9wavefront6targetE1EEEvSM_
    .private_segment_fixed_size: 0
    .sgpr_count:     6
    .sgpr_spill_count: 0
    .symbol:         _ZN7rocprim17ROCPRIM_400000_NS6detail17trampoline_kernelINS0_14default_configENS1_38merge_sort_block_merge_config_selectorIlNS0_10empty_typeEEEZZNS1_27merge_sort_block_merge_implIS3_PlPS5_mZN2at6native12_GLOBAL__N_124unique_dim_cuda_templateIlEESt5tupleIJNSA_6TensorESF_SF_EERKSF_lbbbEUlllE_EE10hipError_tT0_T1_T2_jT3_P12ihipStream_tbPNSt15iterator_traitsISL_E10value_typeEPNSR_ISM_E10value_typeEPSN_NS1_7vsmem_tEENKUlT_SL_SM_SN_E_clIS8_S8_S9_S9_EESK_S10_SL_SM_SN_EUlS10_E1_NS1_11comp_targetILNS1_3genE3ELNS1_11target_archE908ELNS1_3gpuE7ELNS1_3repE0EEENS1_36merge_oddeven_config_static_selectorELNS0_4arch9wavefront6targetE1EEEvSM_.kd
    .uniform_work_group_size: 1
    .uses_dynamic_stack: false
    .vgpr_count:     0
    .vgpr_spill_count: 0
    .wavefront_size: 64
  - .agpr_count:     0
    .args:
      - .offset:         0
        .size:           64
        .value_kind:     by_value
    .group_segment_fixed_size: 0
    .kernarg_segment_align: 8
    .kernarg_segment_size: 64
    .language:       OpenCL C
    .language_version:
      - 2
      - 0
    .max_flat_workgroup_size: 256
    .name:           _ZN7rocprim17ROCPRIM_400000_NS6detail17trampoline_kernelINS0_14default_configENS1_38merge_sort_block_merge_config_selectorIlNS0_10empty_typeEEEZZNS1_27merge_sort_block_merge_implIS3_PlPS5_mZN2at6native12_GLOBAL__N_124unique_dim_cuda_templateIlEESt5tupleIJNSA_6TensorESF_SF_EERKSF_lbbbEUlllE_EE10hipError_tT0_T1_T2_jT3_P12ihipStream_tbPNSt15iterator_traitsISL_E10value_typeEPNSR_ISM_E10value_typeEPSN_NS1_7vsmem_tEENKUlT_SL_SM_SN_E_clIS8_S8_S9_S9_EESK_S10_SL_SM_SN_EUlS10_E1_NS1_11comp_targetILNS1_3genE2ELNS1_11target_archE906ELNS1_3gpuE6ELNS1_3repE0EEENS1_36merge_oddeven_config_static_selectorELNS0_4arch9wavefront6targetE1EEEvSM_
    .private_segment_fixed_size: 0
    .sgpr_count:     6
    .sgpr_spill_count: 0
    .symbol:         _ZN7rocprim17ROCPRIM_400000_NS6detail17trampoline_kernelINS0_14default_configENS1_38merge_sort_block_merge_config_selectorIlNS0_10empty_typeEEEZZNS1_27merge_sort_block_merge_implIS3_PlPS5_mZN2at6native12_GLOBAL__N_124unique_dim_cuda_templateIlEESt5tupleIJNSA_6TensorESF_SF_EERKSF_lbbbEUlllE_EE10hipError_tT0_T1_T2_jT3_P12ihipStream_tbPNSt15iterator_traitsISL_E10value_typeEPNSR_ISM_E10value_typeEPSN_NS1_7vsmem_tEENKUlT_SL_SM_SN_E_clIS8_S8_S9_S9_EESK_S10_SL_SM_SN_EUlS10_E1_NS1_11comp_targetILNS1_3genE2ELNS1_11target_archE906ELNS1_3gpuE6ELNS1_3repE0EEENS1_36merge_oddeven_config_static_selectorELNS0_4arch9wavefront6targetE1EEEvSM_.kd
    .uniform_work_group_size: 1
    .uses_dynamic_stack: false
    .vgpr_count:     0
    .vgpr_spill_count: 0
    .wavefront_size: 64
  - .agpr_count:     0
    .args:
      - .offset:         0
        .size:           64
        .value_kind:     by_value
    .group_segment_fixed_size: 0
    .kernarg_segment_align: 8
    .kernarg_segment_size: 64
    .language:       OpenCL C
    .language_version:
      - 2
      - 0
    .max_flat_workgroup_size: 256
    .name:           _ZN7rocprim17ROCPRIM_400000_NS6detail17trampoline_kernelINS0_14default_configENS1_38merge_sort_block_merge_config_selectorIlNS0_10empty_typeEEEZZNS1_27merge_sort_block_merge_implIS3_PlPS5_mZN2at6native12_GLOBAL__N_124unique_dim_cuda_templateIlEESt5tupleIJNSA_6TensorESF_SF_EERKSF_lbbbEUlllE_EE10hipError_tT0_T1_T2_jT3_P12ihipStream_tbPNSt15iterator_traitsISL_E10value_typeEPNSR_ISM_E10value_typeEPSN_NS1_7vsmem_tEENKUlT_SL_SM_SN_E_clIS8_S8_S9_S9_EESK_S10_SL_SM_SN_EUlS10_E1_NS1_11comp_targetILNS1_3genE9ELNS1_11target_archE1100ELNS1_3gpuE3ELNS1_3repE0EEENS1_36merge_oddeven_config_static_selectorELNS0_4arch9wavefront6targetE1EEEvSM_
    .private_segment_fixed_size: 0
    .sgpr_count:     6
    .sgpr_spill_count: 0
    .symbol:         _ZN7rocprim17ROCPRIM_400000_NS6detail17trampoline_kernelINS0_14default_configENS1_38merge_sort_block_merge_config_selectorIlNS0_10empty_typeEEEZZNS1_27merge_sort_block_merge_implIS3_PlPS5_mZN2at6native12_GLOBAL__N_124unique_dim_cuda_templateIlEESt5tupleIJNSA_6TensorESF_SF_EERKSF_lbbbEUlllE_EE10hipError_tT0_T1_T2_jT3_P12ihipStream_tbPNSt15iterator_traitsISL_E10value_typeEPNSR_ISM_E10value_typeEPSN_NS1_7vsmem_tEENKUlT_SL_SM_SN_E_clIS8_S8_S9_S9_EESK_S10_SL_SM_SN_EUlS10_E1_NS1_11comp_targetILNS1_3genE9ELNS1_11target_archE1100ELNS1_3gpuE3ELNS1_3repE0EEENS1_36merge_oddeven_config_static_selectorELNS0_4arch9wavefront6targetE1EEEvSM_.kd
    .uniform_work_group_size: 1
    .uses_dynamic_stack: false
    .vgpr_count:     0
    .vgpr_spill_count: 0
    .wavefront_size: 64
  - .agpr_count:     0
    .args:
      - .offset:         0
        .size:           64
        .value_kind:     by_value
    .group_segment_fixed_size: 0
    .kernarg_segment_align: 8
    .kernarg_segment_size: 64
    .language:       OpenCL C
    .language_version:
      - 2
      - 0
    .max_flat_workgroup_size: 256
    .name:           _ZN7rocprim17ROCPRIM_400000_NS6detail17trampoline_kernelINS0_14default_configENS1_38merge_sort_block_merge_config_selectorIlNS0_10empty_typeEEEZZNS1_27merge_sort_block_merge_implIS3_PlPS5_mZN2at6native12_GLOBAL__N_124unique_dim_cuda_templateIlEESt5tupleIJNSA_6TensorESF_SF_EERKSF_lbbbEUlllE_EE10hipError_tT0_T1_T2_jT3_P12ihipStream_tbPNSt15iterator_traitsISL_E10value_typeEPNSR_ISM_E10value_typeEPSN_NS1_7vsmem_tEENKUlT_SL_SM_SN_E_clIS8_S8_S9_S9_EESK_S10_SL_SM_SN_EUlS10_E1_NS1_11comp_targetILNS1_3genE8ELNS1_11target_archE1030ELNS1_3gpuE2ELNS1_3repE0EEENS1_36merge_oddeven_config_static_selectorELNS0_4arch9wavefront6targetE1EEEvSM_
    .private_segment_fixed_size: 0
    .sgpr_count:     6
    .sgpr_spill_count: 0
    .symbol:         _ZN7rocprim17ROCPRIM_400000_NS6detail17trampoline_kernelINS0_14default_configENS1_38merge_sort_block_merge_config_selectorIlNS0_10empty_typeEEEZZNS1_27merge_sort_block_merge_implIS3_PlPS5_mZN2at6native12_GLOBAL__N_124unique_dim_cuda_templateIlEESt5tupleIJNSA_6TensorESF_SF_EERKSF_lbbbEUlllE_EE10hipError_tT0_T1_T2_jT3_P12ihipStream_tbPNSt15iterator_traitsISL_E10value_typeEPNSR_ISM_E10value_typeEPSN_NS1_7vsmem_tEENKUlT_SL_SM_SN_E_clIS8_S8_S9_S9_EESK_S10_SL_SM_SN_EUlS10_E1_NS1_11comp_targetILNS1_3genE8ELNS1_11target_archE1030ELNS1_3gpuE2ELNS1_3repE0EEENS1_36merge_oddeven_config_static_selectorELNS0_4arch9wavefront6targetE1EEEvSM_.kd
    .uniform_work_group_size: 1
    .uses_dynamic_stack: false
    .vgpr_count:     0
    .vgpr_spill_count: 0
    .wavefront_size: 64
  - .agpr_count:     0
    .args:
      - .offset:         0
        .size:           64
        .value_kind:     by_value
    .group_segment_fixed_size: 0
    .kernarg_segment_align: 8
    .kernarg_segment_size: 64
    .language:       OpenCL C
    .language_version:
      - 2
      - 0
    .max_flat_workgroup_size: 128
    .name:           _ZN7rocprim17ROCPRIM_400000_NS6detail17trampoline_kernelINS0_14default_configENS1_35adjacent_difference_config_selectorILb0ElEEZNS1_24adjacent_difference_implIS3_Lb0ELb0EPlS7_ZN2at6native12_GLOBAL__N_124unique_dim_cuda_templateIlEESt5tupleIJNS8_6TensorESD_SD_EERKSD_lbbbEUlllE1_EE10hipError_tPvRmT2_T3_mT4_P12ihipStream_tbEUlT_E_NS1_11comp_targetILNS1_3genE0ELNS1_11target_archE4294967295ELNS1_3gpuE0ELNS1_3repE0EEENS1_30default_config_static_selectorELNS0_4arch9wavefront6targetE1EEEvT1_
    .private_segment_fixed_size: 0
    .sgpr_count:     6
    .sgpr_spill_count: 0
    .symbol:         _ZN7rocprim17ROCPRIM_400000_NS6detail17trampoline_kernelINS0_14default_configENS1_35adjacent_difference_config_selectorILb0ElEEZNS1_24adjacent_difference_implIS3_Lb0ELb0EPlS7_ZN2at6native12_GLOBAL__N_124unique_dim_cuda_templateIlEESt5tupleIJNS8_6TensorESD_SD_EERKSD_lbbbEUlllE1_EE10hipError_tPvRmT2_T3_mT4_P12ihipStream_tbEUlT_E_NS1_11comp_targetILNS1_3genE0ELNS1_11target_archE4294967295ELNS1_3gpuE0ELNS1_3repE0EEENS1_30default_config_static_selectorELNS0_4arch9wavefront6targetE1EEEvT1_.kd
    .uniform_work_group_size: 1
    .uses_dynamic_stack: false
    .vgpr_count:     0
    .vgpr_spill_count: 0
    .wavefront_size: 64
  - .agpr_count:     0
    .args:
      - .offset:         0
        .size:           64
        .value_kind:     by_value
    .group_segment_fixed_size: 0
    .kernarg_segment_align: 8
    .kernarg_segment_size: 64
    .language:       OpenCL C
    .language_version:
      - 2
      - 0
    .max_flat_workgroup_size: 128
    .name:           _ZN7rocprim17ROCPRIM_400000_NS6detail17trampoline_kernelINS0_14default_configENS1_35adjacent_difference_config_selectorILb0ElEEZNS1_24adjacent_difference_implIS3_Lb0ELb0EPlS7_ZN2at6native12_GLOBAL__N_124unique_dim_cuda_templateIlEESt5tupleIJNS8_6TensorESD_SD_EERKSD_lbbbEUlllE1_EE10hipError_tPvRmT2_T3_mT4_P12ihipStream_tbEUlT_E_NS1_11comp_targetILNS1_3genE10ELNS1_11target_archE1201ELNS1_3gpuE5ELNS1_3repE0EEENS1_30default_config_static_selectorELNS0_4arch9wavefront6targetE1EEEvT1_
    .private_segment_fixed_size: 0
    .sgpr_count:     6
    .sgpr_spill_count: 0
    .symbol:         _ZN7rocprim17ROCPRIM_400000_NS6detail17trampoline_kernelINS0_14default_configENS1_35adjacent_difference_config_selectorILb0ElEEZNS1_24adjacent_difference_implIS3_Lb0ELb0EPlS7_ZN2at6native12_GLOBAL__N_124unique_dim_cuda_templateIlEESt5tupleIJNS8_6TensorESD_SD_EERKSD_lbbbEUlllE1_EE10hipError_tPvRmT2_T3_mT4_P12ihipStream_tbEUlT_E_NS1_11comp_targetILNS1_3genE10ELNS1_11target_archE1201ELNS1_3gpuE5ELNS1_3repE0EEENS1_30default_config_static_selectorELNS0_4arch9wavefront6targetE1EEEvT1_.kd
    .uniform_work_group_size: 1
    .uses_dynamic_stack: false
    .vgpr_count:     0
    .vgpr_spill_count: 0
    .wavefront_size: 64
  - .agpr_count:     0
    .args:
      - .offset:         0
        .size:           64
        .value_kind:     by_value
    .group_segment_fixed_size: 6656
    .kernarg_segment_align: 8
    .kernarg_segment_size: 64
    .language:       OpenCL C
    .language_version:
      - 2
      - 0
    .max_flat_workgroup_size: 64
    .name:           _ZN7rocprim17ROCPRIM_400000_NS6detail17trampoline_kernelINS0_14default_configENS1_35adjacent_difference_config_selectorILb0ElEEZNS1_24adjacent_difference_implIS3_Lb0ELb0EPlS7_ZN2at6native12_GLOBAL__N_124unique_dim_cuda_templateIlEESt5tupleIJNS8_6TensorESD_SD_EERKSD_lbbbEUlllE1_EE10hipError_tPvRmT2_T3_mT4_P12ihipStream_tbEUlT_E_NS1_11comp_targetILNS1_3genE5ELNS1_11target_archE942ELNS1_3gpuE9ELNS1_3repE0EEENS1_30default_config_static_selectorELNS0_4arch9wavefront6targetE1EEEvT1_
    .private_segment_fixed_size: 0
    .sgpr_count:     44
    .sgpr_spill_count: 0
    .symbol:         _ZN7rocprim17ROCPRIM_400000_NS6detail17trampoline_kernelINS0_14default_configENS1_35adjacent_difference_config_selectorILb0ElEEZNS1_24adjacent_difference_implIS3_Lb0ELb0EPlS7_ZN2at6native12_GLOBAL__N_124unique_dim_cuda_templateIlEESt5tupleIJNS8_6TensorESD_SD_EERKSD_lbbbEUlllE1_EE10hipError_tPvRmT2_T3_mT4_P12ihipStream_tbEUlT_E_NS1_11comp_targetILNS1_3genE5ELNS1_11target_archE942ELNS1_3gpuE9ELNS1_3repE0EEENS1_30default_config_static_selectorELNS0_4arch9wavefront6targetE1EEEvT1_.kd
    .uniform_work_group_size: 1
    .uses_dynamic_stack: false
    .vgpr_count:     84
    .vgpr_spill_count: 0
    .wavefront_size: 64
  - .agpr_count:     0
    .args:
      - .offset:         0
        .size:           64
        .value_kind:     by_value
    .group_segment_fixed_size: 0
    .kernarg_segment_align: 8
    .kernarg_segment_size: 64
    .language:       OpenCL C
    .language_version:
      - 2
      - 0
    .max_flat_workgroup_size: 256
    .name:           _ZN7rocprim17ROCPRIM_400000_NS6detail17trampoline_kernelINS0_14default_configENS1_35adjacent_difference_config_selectorILb0ElEEZNS1_24adjacent_difference_implIS3_Lb0ELb0EPlS7_ZN2at6native12_GLOBAL__N_124unique_dim_cuda_templateIlEESt5tupleIJNS8_6TensorESD_SD_EERKSD_lbbbEUlllE1_EE10hipError_tPvRmT2_T3_mT4_P12ihipStream_tbEUlT_E_NS1_11comp_targetILNS1_3genE4ELNS1_11target_archE910ELNS1_3gpuE8ELNS1_3repE0EEENS1_30default_config_static_selectorELNS0_4arch9wavefront6targetE1EEEvT1_
    .private_segment_fixed_size: 0
    .sgpr_count:     6
    .sgpr_spill_count: 0
    .symbol:         _ZN7rocprim17ROCPRIM_400000_NS6detail17trampoline_kernelINS0_14default_configENS1_35adjacent_difference_config_selectorILb0ElEEZNS1_24adjacent_difference_implIS3_Lb0ELb0EPlS7_ZN2at6native12_GLOBAL__N_124unique_dim_cuda_templateIlEESt5tupleIJNS8_6TensorESD_SD_EERKSD_lbbbEUlllE1_EE10hipError_tPvRmT2_T3_mT4_P12ihipStream_tbEUlT_E_NS1_11comp_targetILNS1_3genE4ELNS1_11target_archE910ELNS1_3gpuE8ELNS1_3repE0EEENS1_30default_config_static_selectorELNS0_4arch9wavefront6targetE1EEEvT1_.kd
    .uniform_work_group_size: 1
    .uses_dynamic_stack: false
    .vgpr_count:     0
    .vgpr_spill_count: 0
    .wavefront_size: 64
  - .agpr_count:     0
    .args:
      - .offset:         0
        .size:           64
        .value_kind:     by_value
    .group_segment_fixed_size: 0
    .kernarg_segment_align: 8
    .kernarg_segment_size: 64
    .language:       OpenCL C
    .language_version:
      - 2
      - 0
    .max_flat_workgroup_size: 128
    .name:           _ZN7rocprim17ROCPRIM_400000_NS6detail17trampoline_kernelINS0_14default_configENS1_35adjacent_difference_config_selectorILb0ElEEZNS1_24adjacent_difference_implIS3_Lb0ELb0EPlS7_ZN2at6native12_GLOBAL__N_124unique_dim_cuda_templateIlEESt5tupleIJNS8_6TensorESD_SD_EERKSD_lbbbEUlllE1_EE10hipError_tPvRmT2_T3_mT4_P12ihipStream_tbEUlT_E_NS1_11comp_targetILNS1_3genE3ELNS1_11target_archE908ELNS1_3gpuE7ELNS1_3repE0EEENS1_30default_config_static_selectorELNS0_4arch9wavefront6targetE1EEEvT1_
    .private_segment_fixed_size: 0
    .sgpr_count:     6
    .sgpr_spill_count: 0
    .symbol:         _ZN7rocprim17ROCPRIM_400000_NS6detail17trampoline_kernelINS0_14default_configENS1_35adjacent_difference_config_selectorILb0ElEEZNS1_24adjacent_difference_implIS3_Lb0ELb0EPlS7_ZN2at6native12_GLOBAL__N_124unique_dim_cuda_templateIlEESt5tupleIJNS8_6TensorESD_SD_EERKSD_lbbbEUlllE1_EE10hipError_tPvRmT2_T3_mT4_P12ihipStream_tbEUlT_E_NS1_11comp_targetILNS1_3genE3ELNS1_11target_archE908ELNS1_3gpuE7ELNS1_3repE0EEENS1_30default_config_static_selectorELNS0_4arch9wavefront6targetE1EEEvT1_.kd
    .uniform_work_group_size: 1
    .uses_dynamic_stack: false
    .vgpr_count:     0
    .vgpr_spill_count: 0
    .wavefront_size: 64
  - .agpr_count:     0
    .args:
      - .offset:         0
        .size:           64
        .value_kind:     by_value
    .group_segment_fixed_size: 0
    .kernarg_segment_align: 8
    .kernarg_segment_size: 64
    .language:       OpenCL C
    .language_version:
      - 2
      - 0
    .max_flat_workgroup_size: 128
    .name:           _ZN7rocprim17ROCPRIM_400000_NS6detail17trampoline_kernelINS0_14default_configENS1_35adjacent_difference_config_selectorILb0ElEEZNS1_24adjacent_difference_implIS3_Lb0ELb0EPlS7_ZN2at6native12_GLOBAL__N_124unique_dim_cuda_templateIlEESt5tupleIJNS8_6TensorESD_SD_EERKSD_lbbbEUlllE1_EE10hipError_tPvRmT2_T3_mT4_P12ihipStream_tbEUlT_E_NS1_11comp_targetILNS1_3genE2ELNS1_11target_archE906ELNS1_3gpuE6ELNS1_3repE0EEENS1_30default_config_static_selectorELNS0_4arch9wavefront6targetE1EEEvT1_
    .private_segment_fixed_size: 0
    .sgpr_count:     6
    .sgpr_spill_count: 0
    .symbol:         _ZN7rocprim17ROCPRIM_400000_NS6detail17trampoline_kernelINS0_14default_configENS1_35adjacent_difference_config_selectorILb0ElEEZNS1_24adjacent_difference_implIS3_Lb0ELb0EPlS7_ZN2at6native12_GLOBAL__N_124unique_dim_cuda_templateIlEESt5tupleIJNS8_6TensorESD_SD_EERKSD_lbbbEUlllE1_EE10hipError_tPvRmT2_T3_mT4_P12ihipStream_tbEUlT_E_NS1_11comp_targetILNS1_3genE2ELNS1_11target_archE906ELNS1_3gpuE6ELNS1_3repE0EEENS1_30default_config_static_selectorELNS0_4arch9wavefront6targetE1EEEvT1_.kd
    .uniform_work_group_size: 1
    .uses_dynamic_stack: false
    .vgpr_count:     0
    .vgpr_spill_count: 0
    .wavefront_size: 64
  - .agpr_count:     0
    .args:
      - .offset:         0
        .size:           64
        .value_kind:     by_value
    .group_segment_fixed_size: 0
    .kernarg_segment_align: 8
    .kernarg_segment_size: 64
    .language:       OpenCL C
    .language_version:
      - 2
      - 0
    .max_flat_workgroup_size: 512
    .name:           _ZN7rocprim17ROCPRIM_400000_NS6detail17trampoline_kernelINS0_14default_configENS1_35adjacent_difference_config_selectorILb0ElEEZNS1_24adjacent_difference_implIS3_Lb0ELb0EPlS7_ZN2at6native12_GLOBAL__N_124unique_dim_cuda_templateIlEESt5tupleIJNS8_6TensorESD_SD_EERKSD_lbbbEUlllE1_EE10hipError_tPvRmT2_T3_mT4_P12ihipStream_tbEUlT_E_NS1_11comp_targetILNS1_3genE9ELNS1_11target_archE1100ELNS1_3gpuE3ELNS1_3repE0EEENS1_30default_config_static_selectorELNS0_4arch9wavefront6targetE1EEEvT1_
    .private_segment_fixed_size: 0
    .sgpr_count:     6
    .sgpr_spill_count: 0
    .symbol:         _ZN7rocprim17ROCPRIM_400000_NS6detail17trampoline_kernelINS0_14default_configENS1_35adjacent_difference_config_selectorILb0ElEEZNS1_24adjacent_difference_implIS3_Lb0ELb0EPlS7_ZN2at6native12_GLOBAL__N_124unique_dim_cuda_templateIlEESt5tupleIJNS8_6TensorESD_SD_EERKSD_lbbbEUlllE1_EE10hipError_tPvRmT2_T3_mT4_P12ihipStream_tbEUlT_E_NS1_11comp_targetILNS1_3genE9ELNS1_11target_archE1100ELNS1_3gpuE3ELNS1_3repE0EEENS1_30default_config_static_selectorELNS0_4arch9wavefront6targetE1EEEvT1_.kd
    .uniform_work_group_size: 1
    .uses_dynamic_stack: false
    .vgpr_count:     0
    .vgpr_spill_count: 0
    .wavefront_size: 64
  - .agpr_count:     0
    .args:
      - .offset:         0
        .size:           64
        .value_kind:     by_value
    .group_segment_fixed_size: 0
    .kernarg_segment_align: 8
    .kernarg_segment_size: 64
    .language:       OpenCL C
    .language_version:
      - 2
      - 0
    .max_flat_workgroup_size: 1024
    .name:           _ZN7rocprim17ROCPRIM_400000_NS6detail17trampoline_kernelINS0_14default_configENS1_35adjacent_difference_config_selectorILb0ElEEZNS1_24adjacent_difference_implIS3_Lb0ELb0EPlS7_ZN2at6native12_GLOBAL__N_124unique_dim_cuda_templateIlEESt5tupleIJNS8_6TensorESD_SD_EERKSD_lbbbEUlllE1_EE10hipError_tPvRmT2_T3_mT4_P12ihipStream_tbEUlT_E_NS1_11comp_targetILNS1_3genE8ELNS1_11target_archE1030ELNS1_3gpuE2ELNS1_3repE0EEENS1_30default_config_static_selectorELNS0_4arch9wavefront6targetE1EEEvT1_
    .private_segment_fixed_size: 0
    .sgpr_count:     6
    .sgpr_spill_count: 0
    .symbol:         _ZN7rocprim17ROCPRIM_400000_NS6detail17trampoline_kernelINS0_14default_configENS1_35adjacent_difference_config_selectorILb0ElEEZNS1_24adjacent_difference_implIS3_Lb0ELb0EPlS7_ZN2at6native12_GLOBAL__N_124unique_dim_cuda_templateIlEESt5tupleIJNS8_6TensorESD_SD_EERKSD_lbbbEUlllE1_EE10hipError_tPvRmT2_T3_mT4_P12ihipStream_tbEUlT_E_NS1_11comp_targetILNS1_3genE8ELNS1_11target_archE1030ELNS1_3gpuE2ELNS1_3repE0EEENS1_30default_config_static_selectorELNS0_4arch9wavefront6targetE1EEEvT1_.kd
    .uniform_work_group_size: 1
    .uses_dynamic_stack: false
    .vgpr_count:     0
    .vgpr_spill_count: 0
    .wavefront_size: 64
  - .agpr_count:     0
    .args:
      - .offset:         0
        .size:           56
        .value_kind:     by_value
    .group_segment_fixed_size: 0
    .kernarg_segment_align: 8
    .kernarg_segment_size: 56
    .language:       OpenCL C
    .language_version:
      - 2
      - 0
    .max_flat_workgroup_size: 128
    .name:           _ZN7rocprim17ROCPRIM_400000_NS6detail17trampoline_kernelINS0_14default_configENS1_25transform_config_selectorIlLb0EEEZNS1_14transform_implILb0ES3_S5_NS0_18transform_iteratorINS0_17counting_iteratorImlEEZNS1_24adjacent_difference_implIS3_Lb1ELb0EPlSB_ZN2at6native12_GLOBAL__N_124unique_dim_cuda_templateIlEESt5tupleIJNSC_6TensorESH_SH_EERKSH_lbbbEUlllE1_EE10hipError_tPvRmT2_T3_mT4_P12ihipStream_tbEUlmE_lEESB_NS0_8identityIvEEEESM_SP_SQ_mSR_ST_bEUlT_E_NS1_11comp_targetILNS1_3genE0ELNS1_11target_archE4294967295ELNS1_3gpuE0ELNS1_3repE0EEENS1_30default_config_static_selectorELNS0_4arch9wavefront6targetE1EEEvT1_
    .private_segment_fixed_size: 0
    .sgpr_count:     6
    .sgpr_spill_count: 0
    .symbol:         _ZN7rocprim17ROCPRIM_400000_NS6detail17trampoline_kernelINS0_14default_configENS1_25transform_config_selectorIlLb0EEEZNS1_14transform_implILb0ES3_S5_NS0_18transform_iteratorINS0_17counting_iteratorImlEEZNS1_24adjacent_difference_implIS3_Lb1ELb0EPlSB_ZN2at6native12_GLOBAL__N_124unique_dim_cuda_templateIlEESt5tupleIJNSC_6TensorESH_SH_EERKSH_lbbbEUlllE1_EE10hipError_tPvRmT2_T3_mT4_P12ihipStream_tbEUlmE_lEESB_NS0_8identityIvEEEESM_SP_SQ_mSR_ST_bEUlT_E_NS1_11comp_targetILNS1_3genE0ELNS1_11target_archE4294967295ELNS1_3gpuE0ELNS1_3repE0EEENS1_30default_config_static_selectorELNS0_4arch9wavefront6targetE1EEEvT1_.kd
    .uniform_work_group_size: 1
    .uses_dynamic_stack: false
    .vgpr_count:     0
    .vgpr_spill_count: 0
    .wavefront_size: 64
  - .agpr_count:     0
    .args:
      - .offset:         0
        .size:           56
        .value_kind:     by_value
      - .offset:         56
        .size:           4
        .value_kind:     hidden_block_count_x
      - .offset:         60
        .size:           4
        .value_kind:     hidden_block_count_y
      - .offset:         64
        .size:           4
        .value_kind:     hidden_block_count_z
      - .offset:         68
        .size:           2
        .value_kind:     hidden_group_size_x
      - .offset:         70
        .size:           2
        .value_kind:     hidden_group_size_y
      - .offset:         72
        .size:           2
        .value_kind:     hidden_group_size_z
      - .offset:         74
        .size:           2
        .value_kind:     hidden_remainder_x
      - .offset:         76
        .size:           2
        .value_kind:     hidden_remainder_y
      - .offset:         78
        .size:           2
        .value_kind:     hidden_remainder_z
      - .offset:         96
        .size:           8
        .value_kind:     hidden_global_offset_x
      - .offset:         104
        .size:           8
        .value_kind:     hidden_global_offset_y
      - .offset:         112
        .size:           8
        .value_kind:     hidden_global_offset_z
      - .offset:         120
        .size:           2
        .value_kind:     hidden_grid_dims
    .group_segment_fixed_size: 0
    .kernarg_segment_align: 8
    .kernarg_segment_size: 312
    .language:       OpenCL C
    .language_version:
      - 2
      - 0
    .max_flat_workgroup_size: 512
    .name:           _ZN7rocprim17ROCPRIM_400000_NS6detail17trampoline_kernelINS0_14default_configENS1_25transform_config_selectorIlLb0EEEZNS1_14transform_implILb0ES3_S5_NS0_18transform_iteratorINS0_17counting_iteratorImlEEZNS1_24adjacent_difference_implIS3_Lb1ELb0EPlSB_ZN2at6native12_GLOBAL__N_124unique_dim_cuda_templateIlEESt5tupleIJNSC_6TensorESH_SH_EERKSH_lbbbEUlllE1_EE10hipError_tPvRmT2_T3_mT4_P12ihipStream_tbEUlmE_lEESB_NS0_8identityIvEEEESM_SP_SQ_mSR_ST_bEUlT_E_NS1_11comp_targetILNS1_3genE5ELNS1_11target_archE942ELNS1_3gpuE9ELNS1_3repE0EEENS1_30default_config_static_selectorELNS0_4arch9wavefront6targetE1EEEvT1_
    .private_segment_fixed_size: 0
    .sgpr_count:     26
    .sgpr_spill_count: 0
    .symbol:         _ZN7rocprim17ROCPRIM_400000_NS6detail17trampoline_kernelINS0_14default_configENS1_25transform_config_selectorIlLb0EEEZNS1_14transform_implILb0ES3_S5_NS0_18transform_iteratorINS0_17counting_iteratorImlEEZNS1_24adjacent_difference_implIS3_Lb1ELb0EPlSB_ZN2at6native12_GLOBAL__N_124unique_dim_cuda_templateIlEESt5tupleIJNSC_6TensorESH_SH_EERKSH_lbbbEUlllE1_EE10hipError_tPvRmT2_T3_mT4_P12ihipStream_tbEUlmE_lEESB_NS0_8identityIvEEEESM_SP_SQ_mSR_ST_bEUlT_E_NS1_11comp_targetILNS1_3genE5ELNS1_11target_archE942ELNS1_3gpuE9ELNS1_3repE0EEENS1_30default_config_static_selectorELNS0_4arch9wavefront6targetE1EEEvT1_.kd
    .uniform_work_group_size: 1
    .uses_dynamic_stack: false
    .vgpr_count:     12
    .vgpr_spill_count: 0
    .wavefront_size: 64
  - .agpr_count:     0
    .args:
      - .offset:         0
        .size:           56
        .value_kind:     by_value
    .group_segment_fixed_size: 0
    .kernarg_segment_align: 8
    .kernarg_segment_size: 56
    .language:       OpenCL C
    .language_version:
      - 2
      - 0
    .max_flat_workgroup_size: 256
    .name:           _ZN7rocprim17ROCPRIM_400000_NS6detail17trampoline_kernelINS0_14default_configENS1_25transform_config_selectorIlLb0EEEZNS1_14transform_implILb0ES3_S5_NS0_18transform_iteratorINS0_17counting_iteratorImlEEZNS1_24adjacent_difference_implIS3_Lb1ELb0EPlSB_ZN2at6native12_GLOBAL__N_124unique_dim_cuda_templateIlEESt5tupleIJNSC_6TensorESH_SH_EERKSH_lbbbEUlllE1_EE10hipError_tPvRmT2_T3_mT4_P12ihipStream_tbEUlmE_lEESB_NS0_8identityIvEEEESM_SP_SQ_mSR_ST_bEUlT_E_NS1_11comp_targetILNS1_3genE4ELNS1_11target_archE910ELNS1_3gpuE8ELNS1_3repE0EEENS1_30default_config_static_selectorELNS0_4arch9wavefront6targetE1EEEvT1_
    .private_segment_fixed_size: 0
    .sgpr_count:     6
    .sgpr_spill_count: 0
    .symbol:         _ZN7rocprim17ROCPRIM_400000_NS6detail17trampoline_kernelINS0_14default_configENS1_25transform_config_selectorIlLb0EEEZNS1_14transform_implILb0ES3_S5_NS0_18transform_iteratorINS0_17counting_iteratorImlEEZNS1_24adjacent_difference_implIS3_Lb1ELb0EPlSB_ZN2at6native12_GLOBAL__N_124unique_dim_cuda_templateIlEESt5tupleIJNSC_6TensorESH_SH_EERKSH_lbbbEUlllE1_EE10hipError_tPvRmT2_T3_mT4_P12ihipStream_tbEUlmE_lEESB_NS0_8identityIvEEEESM_SP_SQ_mSR_ST_bEUlT_E_NS1_11comp_targetILNS1_3genE4ELNS1_11target_archE910ELNS1_3gpuE8ELNS1_3repE0EEENS1_30default_config_static_selectorELNS0_4arch9wavefront6targetE1EEEvT1_.kd
    .uniform_work_group_size: 1
    .uses_dynamic_stack: false
    .vgpr_count:     0
    .vgpr_spill_count: 0
    .wavefront_size: 64
  - .agpr_count:     0
    .args:
      - .offset:         0
        .size:           56
        .value_kind:     by_value
    .group_segment_fixed_size: 0
    .kernarg_segment_align: 8
    .kernarg_segment_size: 56
    .language:       OpenCL C
    .language_version:
      - 2
      - 0
    .max_flat_workgroup_size: 128
    .name:           _ZN7rocprim17ROCPRIM_400000_NS6detail17trampoline_kernelINS0_14default_configENS1_25transform_config_selectorIlLb0EEEZNS1_14transform_implILb0ES3_S5_NS0_18transform_iteratorINS0_17counting_iteratorImlEEZNS1_24adjacent_difference_implIS3_Lb1ELb0EPlSB_ZN2at6native12_GLOBAL__N_124unique_dim_cuda_templateIlEESt5tupleIJNSC_6TensorESH_SH_EERKSH_lbbbEUlllE1_EE10hipError_tPvRmT2_T3_mT4_P12ihipStream_tbEUlmE_lEESB_NS0_8identityIvEEEESM_SP_SQ_mSR_ST_bEUlT_E_NS1_11comp_targetILNS1_3genE3ELNS1_11target_archE908ELNS1_3gpuE7ELNS1_3repE0EEENS1_30default_config_static_selectorELNS0_4arch9wavefront6targetE1EEEvT1_
    .private_segment_fixed_size: 0
    .sgpr_count:     6
    .sgpr_spill_count: 0
    .symbol:         _ZN7rocprim17ROCPRIM_400000_NS6detail17trampoline_kernelINS0_14default_configENS1_25transform_config_selectorIlLb0EEEZNS1_14transform_implILb0ES3_S5_NS0_18transform_iteratorINS0_17counting_iteratorImlEEZNS1_24adjacent_difference_implIS3_Lb1ELb0EPlSB_ZN2at6native12_GLOBAL__N_124unique_dim_cuda_templateIlEESt5tupleIJNSC_6TensorESH_SH_EERKSH_lbbbEUlllE1_EE10hipError_tPvRmT2_T3_mT4_P12ihipStream_tbEUlmE_lEESB_NS0_8identityIvEEEESM_SP_SQ_mSR_ST_bEUlT_E_NS1_11comp_targetILNS1_3genE3ELNS1_11target_archE908ELNS1_3gpuE7ELNS1_3repE0EEENS1_30default_config_static_selectorELNS0_4arch9wavefront6targetE1EEEvT1_.kd
    .uniform_work_group_size: 1
    .uses_dynamic_stack: false
    .vgpr_count:     0
    .vgpr_spill_count: 0
    .wavefront_size: 64
  - .agpr_count:     0
    .args:
      - .offset:         0
        .size:           56
        .value_kind:     by_value
    .group_segment_fixed_size: 0
    .kernarg_segment_align: 8
    .kernarg_segment_size: 56
    .language:       OpenCL C
    .language_version:
      - 2
      - 0
    .max_flat_workgroup_size: 512
    .name:           _ZN7rocprim17ROCPRIM_400000_NS6detail17trampoline_kernelINS0_14default_configENS1_25transform_config_selectorIlLb0EEEZNS1_14transform_implILb0ES3_S5_NS0_18transform_iteratorINS0_17counting_iteratorImlEEZNS1_24adjacent_difference_implIS3_Lb1ELb0EPlSB_ZN2at6native12_GLOBAL__N_124unique_dim_cuda_templateIlEESt5tupleIJNSC_6TensorESH_SH_EERKSH_lbbbEUlllE1_EE10hipError_tPvRmT2_T3_mT4_P12ihipStream_tbEUlmE_lEESB_NS0_8identityIvEEEESM_SP_SQ_mSR_ST_bEUlT_E_NS1_11comp_targetILNS1_3genE2ELNS1_11target_archE906ELNS1_3gpuE6ELNS1_3repE0EEENS1_30default_config_static_selectorELNS0_4arch9wavefront6targetE1EEEvT1_
    .private_segment_fixed_size: 0
    .sgpr_count:     6
    .sgpr_spill_count: 0
    .symbol:         _ZN7rocprim17ROCPRIM_400000_NS6detail17trampoline_kernelINS0_14default_configENS1_25transform_config_selectorIlLb0EEEZNS1_14transform_implILb0ES3_S5_NS0_18transform_iteratorINS0_17counting_iteratorImlEEZNS1_24adjacent_difference_implIS3_Lb1ELb0EPlSB_ZN2at6native12_GLOBAL__N_124unique_dim_cuda_templateIlEESt5tupleIJNSC_6TensorESH_SH_EERKSH_lbbbEUlllE1_EE10hipError_tPvRmT2_T3_mT4_P12ihipStream_tbEUlmE_lEESB_NS0_8identityIvEEEESM_SP_SQ_mSR_ST_bEUlT_E_NS1_11comp_targetILNS1_3genE2ELNS1_11target_archE906ELNS1_3gpuE6ELNS1_3repE0EEENS1_30default_config_static_selectorELNS0_4arch9wavefront6targetE1EEEvT1_.kd
    .uniform_work_group_size: 1
    .uses_dynamic_stack: false
    .vgpr_count:     0
    .vgpr_spill_count: 0
    .wavefront_size: 64
  - .agpr_count:     0
    .args:
      - .offset:         0
        .size:           56
        .value_kind:     by_value
    .group_segment_fixed_size: 0
    .kernarg_segment_align: 8
    .kernarg_segment_size: 56
    .language:       OpenCL C
    .language_version:
      - 2
      - 0
    .max_flat_workgroup_size: 1024
    .name:           _ZN7rocprim17ROCPRIM_400000_NS6detail17trampoline_kernelINS0_14default_configENS1_25transform_config_selectorIlLb0EEEZNS1_14transform_implILb0ES3_S5_NS0_18transform_iteratorINS0_17counting_iteratorImlEEZNS1_24adjacent_difference_implIS3_Lb1ELb0EPlSB_ZN2at6native12_GLOBAL__N_124unique_dim_cuda_templateIlEESt5tupleIJNSC_6TensorESH_SH_EERKSH_lbbbEUlllE1_EE10hipError_tPvRmT2_T3_mT4_P12ihipStream_tbEUlmE_lEESB_NS0_8identityIvEEEESM_SP_SQ_mSR_ST_bEUlT_E_NS1_11comp_targetILNS1_3genE10ELNS1_11target_archE1201ELNS1_3gpuE5ELNS1_3repE0EEENS1_30default_config_static_selectorELNS0_4arch9wavefront6targetE1EEEvT1_
    .private_segment_fixed_size: 0
    .sgpr_count:     6
    .sgpr_spill_count: 0
    .symbol:         _ZN7rocprim17ROCPRIM_400000_NS6detail17trampoline_kernelINS0_14default_configENS1_25transform_config_selectorIlLb0EEEZNS1_14transform_implILb0ES3_S5_NS0_18transform_iteratorINS0_17counting_iteratorImlEEZNS1_24adjacent_difference_implIS3_Lb1ELb0EPlSB_ZN2at6native12_GLOBAL__N_124unique_dim_cuda_templateIlEESt5tupleIJNSC_6TensorESH_SH_EERKSH_lbbbEUlllE1_EE10hipError_tPvRmT2_T3_mT4_P12ihipStream_tbEUlmE_lEESB_NS0_8identityIvEEEESM_SP_SQ_mSR_ST_bEUlT_E_NS1_11comp_targetILNS1_3genE10ELNS1_11target_archE1201ELNS1_3gpuE5ELNS1_3repE0EEENS1_30default_config_static_selectorELNS0_4arch9wavefront6targetE1EEEvT1_.kd
    .uniform_work_group_size: 1
    .uses_dynamic_stack: false
    .vgpr_count:     0
    .vgpr_spill_count: 0
    .wavefront_size: 64
  - .agpr_count:     0
    .args:
      - .offset:         0
        .size:           56
        .value_kind:     by_value
    .group_segment_fixed_size: 0
    .kernarg_segment_align: 8
    .kernarg_segment_size: 56
    .language:       OpenCL C
    .language_version:
      - 2
      - 0
    .max_flat_workgroup_size: 512
    .name:           _ZN7rocprim17ROCPRIM_400000_NS6detail17trampoline_kernelINS0_14default_configENS1_25transform_config_selectorIlLb0EEEZNS1_14transform_implILb0ES3_S5_NS0_18transform_iteratorINS0_17counting_iteratorImlEEZNS1_24adjacent_difference_implIS3_Lb1ELb0EPlSB_ZN2at6native12_GLOBAL__N_124unique_dim_cuda_templateIlEESt5tupleIJNSC_6TensorESH_SH_EERKSH_lbbbEUlllE1_EE10hipError_tPvRmT2_T3_mT4_P12ihipStream_tbEUlmE_lEESB_NS0_8identityIvEEEESM_SP_SQ_mSR_ST_bEUlT_E_NS1_11comp_targetILNS1_3genE10ELNS1_11target_archE1200ELNS1_3gpuE4ELNS1_3repE0EEENS1_30default_config_static_selectorELNS0_4arch9wavefront6targetE1EEEvT1_
    .private_segment_fixed_size: 0
    .sgpr_count:     6
    .sgpr_spill_count: 0
    .symbol:         _ZN7rocprim17ROCPRIM_400000_NS6detail17trampoline_kernelINS0_14default_configENS1_25transform_config_selectorIlLb0EEEZNS1_14transform_implILb0ES3_S5_NS0_18transform_iteratorINS0_17counting_iteratorImlEEZNS1_24adjacent_difference_implIS3_Lb1ELb0EPlSB_ZN2at6native12_GLOBAL__N_124unique_dim_cuda_templateIlEESt5tupleIJNSC_6TensorESH_SH_EERKSH_lbbbEUlllE1_EE10hipError_tPvRmT2_T3_mT4_P12ihipStream_tbEUlmE_lEESB_NS0_8identityIvEEEESM_SP_SQ_mSR_ST_bEUlT_E_NS1_11comp_targetILNS1_3genE10ELNS1_11target_archE1200ELNS1_3gpuE4ELNS1_3repE0EEENS1_30default_config_static_selectorELNS0_4arch9wavefront6targetE1EEEvT1_.kd
    .uniform_work_group_size: 1
    .uses_dynamic_stack: false
    .vgpr_count:     0
    .vgpr_spill_count: 0
    .wavefront_size: 64
  - .agpr_count:     0
    .args:
      - .offset:         0
        .size:           56
        .value_kind:     by_value
    .group_segment_fixed_size: 0
    .kernarg_segment_align: 8
    .kernarg_segment_size: 56
    .language:       OpenCL C
    .language_version:
      - 2
      - 0
    .max_flat_workgroup_size: 512
    .name:           _ZN7rocprim17ROCPRIM_400000_NS6detail17trampoline_kernelINS0_14default_configENS1_25transform_config_selectorIlLb0EEEZNS1_14transform_implILb0ES3_S5_NS0_18transform_iteratorINS0_17counting_iteratorImlEEZNS1_24adjacent_difference_implIS3_Lb1ELb0EPlSB_ZN2at6native12_GLOBAL__N_124unique_dim_cuda_templateIlEESt5tupleIJNSC_6TensorESH_SH_EERKSH_lbbbEUlllE1_EE10hipError_tPvRmT2_T3_mT4_P12ihipStream_tbEUlmE_lEESB_NS0_8identityIvEEEESM_SP_SQ_mSR_ST_bEUlT_E_NS1_11comp_targetILNS1_3genE9ELNS1_11target_archE1100ELNS1_3gpuE3ELNS1_3repE0EEENS1_30default_config_static_selectorELNS0_4arch9wavefront6targetE1EEEvT1_
    .private_segment_fixed_size: 0
    .sgpr_count:     6
    .sgpr_spill_count: 0
    .symbol:         _ZN7rocprim17ROCPRIM_400000_NS6detail17trampoline_kernelINS0_14default_configENS1_25transform_config_selectorIlLb0EEEZNS1_14transform_implILb0ES3_S5_NS0_18transform_iteratorINS0_17counting_iteratorImlEEZNS1_24adjacent_difference_implIS3_Lb1ELb0EPlSB_ZN2at6native12_GLOBAL__N_124unique_dim_cuda_templateIlEESt5tupleIJNSC_6TensorESH_SH_EERKSH_lbbbEUlllE1_EE10hipError_tPvRmT2_T3_mT4_P12ihipStream_tbEUlmE_lEESB_NS0_8identityIvEEEESM_SP_SQ_mSR_ST_bEUlT_E_NS1_11comp_targetILNS1_3genE9ELNS1_11target_archE1100ELNS1_3gpuE3ELNS1_3repE0EEENS1_30default_config_static_selectorELNS0_4arch9wavefront6targetE1EEEvT1_.kd
    .uniform_work_group_size: 1
    .uses_dynamic_stack: false
    .vgpr_count:     0
    .vgpr_spill_count: 0
    .wavefront_size: 64
  - .agpr_count:     0
    .args:
      - .offset:         0
        .size:           56
        .value_kind:     by_value
    .group_segment_fixed_size: 0
    .kernarg_segment_align: 8
    .kernarg_segment_size: 56
    .language:       OpenCL C
    .language_version:
      - 2
      - 0
    .max_flat_workgroup_size: 512
    .name:           _ZN7rocprim17ROCPRIM_400000_NS6detail17trampoline_kernelINS0_14default_configENS1_25transform_config_selectorIlLb0EEEZNS1_14transform_implILb0ES3_S5_NS0_18transform_iteratorINS0_17counting_iteratorImlEEZNS1_24adjacent_difference_implIS3_Lb1ELb0EPlSB_ZN2at6native12_GLOBAL__N_124unique_dim_cuda_templateIlEESt5tupleIJNSC_6TensorESH_SH_EERKSH_lbbbEUlllE1_EE10hipError_tPvRmT2_T3_mT4_P12ihipStream_tbEUlmE_lEESB_NS0_8identityIvEEEESM_SP_SQ_mSR_ST_bEUlT_E_NS1_11comp_targetILNS1_3genE8ELNS1_11target_archE1030ELNS1_3gpuE2ELNS1_3repE0EEENS1_30default_config_static_selectorELNS0_4arch9wavefront6targetE1EEEvT1_
    .private_segment_fixed_size: 0
    .sgpr_count:     6
    .sgpr_spill_count: 0
    .symbol:         _ZN7rocprim17ROCPRIM_400000_NS6detail17trampoline_kernelINS0_14default_configENS1_25transform_config_selectorIlLb0EEEZNS1_14transform_implILb0ES3_S5_NS0_18transform_iteratorINS0_17counting_iteratorImlEEZNS1_24adjacent_difference_implIS3_Lb1ELb0EPlSB_ZN2at6native12_GLOBAL__N_124unique_dim_cuda_templateIlEESt5tupleIJNSC_6TensorESH_SH_EERKSH_lbbbEUlllE1_EE10hipError_tPvRmT2_T3_mT4_P12ihipStream_tbEUlmE_lEESB_NS0_8identityIvEEEESM_SP_SQ_mSR_ST_bEUlT_E_NS1_11comp_targetILNS1_3genE8ELNS1_11target_archE1030ELNS1_3gpuE2ELNS1_3repE0EEENS1_30default_config_static_selectorELNS0_4arch9wavefront6targetE1EEEvT1_.kd
    .uniform_work_group_size: 1
    .uses_dynamic_stack: false
    .vgpr_count:     0
    .vgpr_spill_count: 0
    .wavefront_size: 64
  - .agpr_count:     0
    .args:
      - .offset:         0
        .size:           64
        .value_kind:     by_value
    .group_segment_fixed_size: 0
    .kernarg_segment_align: 8
    .kernarg_segment_size: 64
    .language:       OpenCL C
    .language_version:
      - 2
      - 0
    .max_flat_workgroup_size: 512
    .name:           _ZN7rocprim17ROCPRIM_400000_NS6detail17trampoline_kernelINS0_14default_configENS1_35adjacent_difference_config_selectorILb1ElEEZNS1_24adjacent_difference_implIS3_Lb1ELb0EPlS7_ZN2at6native12_GLOBAL__N_124unique_dim_cuda_templateIlEESt5tupleIJNS8_6TensorESD_SD_EERKSD_lbbbEUlllE1_EE10hipError_tPvRmT2_T3_mT4_P12ihipStream_tbEUlT_E_NS1_11comp_targetILNS1_3genE0ELNS1_11target_archE4294967295ELNS1_3gpuE0ELNS1_3repE0EEENS1_30default_config_static_selectorELNS0_4arch9wavefront6targetE1EEEvT1_
    .private_segment_fixed_size: 0
    .sgpr_count:     6
    .sgpr_spill_count: 0
    .symbol:         _ZN7rocprim17ROCPRIM_400000_NS6detail17trampoline_kernelINS0_14default_configENS1_35adjacent_difference_config_selectorILb1ElEEZNS1_24adjacent_difference_implIS3_Lb1ELb0EPlS7_ZN2at6native12_GLOBAL__N_124unique_dim_cuda_templateIlEESt5tupleIJNS8_6TensorESD_SD_EERKSD_lbbbEUlllE1_EE10hipError_tPvRmT2_T3_mT4_P12ihipStream_tbEUlT_E_NS1_11comp_targetILNS1_3genE0ELNS1_11target_archE4294967295ELNS1_3gpuE0ELNS1_3repE0EEENS1_30default_config_static_selectorELNS0_4arch9wavefront6targetE1EEEvT1_.kd
    .uniform_work_group_size: 1
    .uses_dynamic_stack: false
    .vgpr_count:     0
    .vgpr_spill_count: 0
    .wavefront_size: 64
  - .agpr_count:     0
    .args:
      - .offset:         0
        .size:           64
        .value_kind:     by_value
    .group_segment_fixed_size: 0
    .kernarg_segment_align: 8
    .kernarg_segment_size: 64
    .language:       OpenCL C
    .language_version:
      - 2
      - 0
    .max_flat_workgroup_size: 32
    .name:           _ZN7rocprim17ROCPRIM_400000_NS6detail17trampoline_kernelINS0_14default_configENS1_35adjacent_difference_config_selectorILb1ElEEZNS1_24adjacent_difference_implIS3_Lb1ELb0EPlS7_ZN2at6native12_GLOBAL__N_124unique_dim_cuda_templateIlEESt5tupleIJNS8_6TensorESD_SD_EERKSD_lbbbEUlllE1_EE10hipError_tPvRmT2_T3_mT4_P12ihipStream_tbEUlT_E_NS1_11comp_targetILNS1_3genE10ELNS1_11target_archE1201ELNS1_3gpuE5ELNS1_3repE0EEENS1_30default_config_static_selectorELNS0_4arch9wavefront6targetE1EEEvT1_
    .private_segment_fixed_size: 0
    .sgpr_count:     6
    .sgpr_spill_count: 0
    .symbol:         _ZN7rocprim17ROCPRIM_400000_NS6detail17trampoline_kernelINS0_14default_configENS1_35adjacent_difference_config_selectorILb1ElEEZNS1_24adjacent_difference_implIS3_Lb1ELb0EPlS7_ZN2at6native12_GLOBAL__N_124unique_dim_cuda_templateIlEESt5tupleIJNS8_6TensorESD_SD_EERKSD_lbbbEUlllE1_EE10hipError_tPvRmT2_T3_mT4_P12ihipStream_tbEUlT_E_NS1_11comp_targetILNS1_3genE10ELNS1_11target_archE1201ELNS1_3gpuE5ELNS1_3repE0EEENS1_30default_config_static_selectorELNS0_4arch9wavefront6targetE1EEEvT1_.kd
    .uniform_work_group_size: 1
    .uses_dynamic_stack: false
    .vgpr_count:     0
    .vgpr_spill_count: 0
    .wavefront_size: 64
  - .agpr_count:     0
    .args:
      - .offset:         0
        .size:           64
        .value_kind:     by_value
    .group_segment_fixed_size: 22528
    .kernarg_segment_align: 8
    .kernarg_segment_size: 64
    .language:       OpenCL C
    .language_version:
      - 2
      - 0
    .max_flat_workgroup_size: 256
    .name:           _ZN7rocprim17ROCPRIM_400000_NS6detail17trampoline_kernelINS0_14default_configENS1_35adjacent_difference_config_selectorILb1ElEEZNS1_24adjacent_difference_implIS3_Lb1ELb0EPlS7_ZN2at6native12_GLOBAL__N_124unique_dim_cuda_templateIlEESt5tupleIJNS8_6TensorESD_SD_EERKSD_lbbbEUlllE1_EE10hipError_tPvRmT2_T3_mT4_P12ihipStream_tbEUlT_E_NS1_11comp_targetILNS1_3genE5ELNS1_11target_archE942ELNS1_3gpuE9ELNS1_3repE0EEENS1_30default_config_static_selectorELNS0_4arch9wavefront6targetE1EEEvT1_
    .private_segment_fixed_size: 0
    .sgpr_count:     44
    .sgpr_spill_count: 0
    .symbol:         _ZN7rocprim17ROCPRIM_400000_NS6detail17trampoline_kernelINS0_14default_configENS1_35adjacent_difference_config_selectorILb1ElEEZNS1_24adjacent_difference_implIS3_Lb1ELb0EPlS7_ZN2at6native12_GLOBAL__N_124unique_dim_cuda_templateIlEESt5tupleIJNS8_6TensorESD_SD_EERKSD_lbbbEUlllE1_EE10hipError_tPvRmT2_T3_mT4_P12ihipStream_tbEUlT_E_NS1_11comp_targetILNS1_3genE5ELNS1_11target_archE942ELNS1_3gpuE9ELNS1_3repE0EEENS1_30default_config_static_selectorELNS0_4arch9wavefront6targetE1EEEvT1_.kd
    .uniform_work_group_size: 1
    .uses_dynamic_stack: false
    .vgpr_count:     70
    .vgpr_spill_count: 0
    .wavefront_size: 64
  - .agpr_count:     0
    .args:
      - .offset:         0
        .size:           64
        .value_kind:     by_value
    .group_segment_fixed_size: 0
    .kernarg_segment_align: 8
    .kernarg_segment_size: 64
    .language:       OpenCL C
    .language_version:
      - 2
      - 0
    .max_flat_workgroup_size: 512
    .name:           _ZN7rocprim17ROCPRIM_400000_NS6detail17trampoline_kernelINS0_14default_configENS1_35adjacent_difference_config_selectorILb1ElEEZNS1_24adjacent_difference_implIS3_Lb1ELb0EPlS7_ZN2at6native12_GLOBAL__N_124unique_dim_cuda_templateIlEESt5tupleIJNS8_6TensorESD_SD_EERKSD_lbbbEUlllE1_EE10hipError_tPvRmT2_T3_mT4_P12ihipStream_tbEUlT_E_NS1_11comp_targetILNS1_3genE4ELNS1_11target_archE910ELNS1_3gpuE8ELNS1_3repE0EEENS1_30default_config_static_selectorELNS0_4arch9wavefront6targetE1EEEvT1_
    .private_segment_fixed_size: 0
    .sgpr_count:     6
    .sgpr_spill_count: 0
    .symbol:         _ZN7rocprim17ROCPRIM_400000_NS6detail17trampoline_kernelINS0_14default_configENS1_35adjacent_difference_config_selectorILb1ElEEZNS1_24adjacent_difference_implIS3_Lb1ELb0EPlS7_ZN2at6native12_GLOBAL__N_124unique_dim_cuda_templateIlEESt5tupleIJNS8_6TensorESD_SD_EERKSD_lbbbEUlllE1_EE10hipError_tPvRmT2_T3_mT4_P12ihipStream_tbEUlT_E_NS1_11comp_targetILNS1_3genE4ELNS1_11target_archE910ELNS1_3gpuE8ELNS1_3repE0EEENS1_30default_config_static_selectorELNS0_4arch9wavefront6targetE1EEEvT1_.kd
    .uniform_work_group_size: 1
    .uses_dynamic_stack: false
    .vgpr_count:     0
    .vgpr_spill_count: 0
    .wavefront_size: 64
  - .agpr_count:     0
    .args:
      - .offset:         0
        .size:           64
        .value_kind:     by_value
    .group_segment_fixed_size: 0
    .kernarg_segment_align: 8
    .kernarg_segment_size: 64
    .language:       OpenCL C
    .language_version:
      - 2
      - 0
    .max_flat_workgroup_size: 512
    .name:           _ZN7rocprim17ROCPRIM_400000_NS6detail17trampoline_kernelINS0_14default_configENS1_35adjacent_difference_config_selectorILb1ElEEZNS1_24adjacent_difference_implIS3_Lb1ELb0EPlS7_ZN2at6native12_GLOBAL__N_124unique_dim_cuda_templateIlEESt5tupleIJNS8_6TensorESD_SD_EERKSD_lbbbEUlllE1_EE10hipError_tPvRmT2_T3_mT4_P12ihipStream_tbEUlT_E_NS1_11comp_targetILNS1_3genE3ELNS1_11target_archE908ELNS1_3gpuE7ELNS1_3repE0EEENS1_30default_config_static_selectorELNS0_4arch9wavefront6targetE1EEEvT1_
    .private_segment_fixed_size: 0
    .sgpr_count:     6
    .sgpr_spill_count: 0
    .symbol:         _ZN7rocprim17ROCPRIM_400000_NS6detail17trampoline_kernelINS0_14default_configENS1_35adjacent_difference_config_selectorILb1ElEEZNS1_24adjacent_difference_implIS3_Lb1ELb0EPlS7_ZN2at6native12_GLOBAL__N_124unique_dim_cuda_templateIlEESt5tupleIJNS8_6TensorESD_SD_EERKSD_lbbbEUlllE1_EE10hipError_tPvRmT2_T3_mT4_P12ihipStream_tbEUlT_E_NS1_11comp_targetILNS1_3genE3ELNS1_11target_archE908ELNS1_3gpuE7ELNS1_3repE0EEENS1_30default_config_static_selectorELNS0_4arch9wavefront6targetE1EEEvT1_.kd
    .uniform_work_group_size: 1
    .uses_dynamic_stack: false
    .vgpr_count:     0
    .vgpr_spill_count: 0
    .wavefront_size: 64
  - .agpr_count:     0
    .args:
      - .offset:         0
        .size:           64
        .value_kind:     by_value
    .group_segment_fixed_size: 0
    .kernarg_segment_align: 8
    .kernarg_segment_size: 64
    .language:       OpenCL C
    .language_version:
      - 2
      - 0
    .max_flat_workgroup_size: 128
    .name:           _ZN7rocprim17ROCPRIM_400000_NS6detail17trampoline_kernelINS0_14default_configENS1_35adjacent_difference_config_selectorILb1ElEEZNS1_24adjacent_difference_implIS3_Lb1ELb0EPlS7_ZN2at6native12_GLOBAL__N_124unique_dim_cuda_templateIlEESt5tupleIJNS8_6TensorESD_SD_EERKSD_lbbbEUlllE1_EE10hipError_tPvRmT2_T3_mT4_P12ihipStream_tbEUlT_E_NS1_11comp_targetILNS1_3genE2ELNS1_11target_archE906ELNS1_3gpuE6ELNS1_3repE0EEENS1_30default_config_static_selectorELNS0_4arch9wavefront6targetE1EEEvT1_
    .private_segment_fixed_size: 0
    .sgpr_count:     6
    .sgpr_spill_count: 0
    .symbol:         _ZN7rocprim17ROCPRIM_400000_NS6detail17trampoline_kernelINS0_14default_configENS1_35adjacent_difference_config_selectorILb1ElEEZNS1_24adjacent_difference_implIS3_Lb1ELb0EPlS7_ZN2at6native12_GLOBAL__N_124unique_dim_cuda_templateIlEESt5tupleIJNS8_6TensorESD_SD_EERKSD_lbbbEUlllE1_EE10hipError_tPvRmT2_T3_mT4_P12ihipStream_tbEUlT_E_NS1_11comp_targetILNS1_3genE2ELNS1_11target_archE906ELNS1_3gpuE6ELNS1_3repE0EEENS1_30default_config_static_selectorELNS0_4arch9wavefront6targetE1EEEvT1_.kd
    .uniform_work_group_size: 1
    .uses_dynamic_stack: false
    .vgpr_count:     0
    .vgpr_spill_count: 0
    .wavefront_size: 64
  - .agpr_count:     0
    .args:
      - .offset:         0
        .size:           64
        .value_kind:     by_value
    .group_segment_fixed_size: 0
    .kernarg_segment_align: 8
    .kernarg_segment_size: 64
    .language:       OpenCL C
    .language_version:
      - 2
      - 0
    .max_flat_workgroup_size: 128
    .name:           _ZN7rocprim17ROCPRIM_400000_NS6detail17trampoline_kernelINS0_14default_configENS1_35adjacent_difference_config_selectorILb1ElEEZNS1_24adjacent_difference_implIS3_Lb1ELb0EPlS7_ZN2at6native12_GLOBAL__N_124unique_dim_cuda_templateIlEESt5tupleIJNS8_6TensorESD_SD_EERKSD_lbbbEUlllE1_EE10hipError_tPvRmT2_T3_mT4_P12ihipStream_tbEUlT_E_NS1_11comp_targetILNS1_3genE9ELNS1_11target_archE1100ELNS1_3gpuE3ELNS1_3repE0EEENS1_30default_config_static_selectorELNS0_4arch9wavefront6targetE1EEEvT1_
    .private_segment_fixed_size: 0
    .sgpr_count:     6
    .sgpr_spill_count: 0
    .symbol:         _ZN7rocprim17ROCPRIM_400000_NS6detail17trampoline_kernelINS0_14default_configENS1_35adjacent_difference_config_selectorILb1ElEEZNS1_24adjacent_difference_implIS3_Lb1ELb0EPlS7_ZN2at6native12_GLOBAL__N_124unique_dim_cuda_templateIlEESt5tupleIJNS8_6TensorESD_SD_EERKSD_lbbbEUlllE1_EE10hipError_tPvRmT2_T3_mT4_P12ihipStream_tbEUlT_E_NS1_11comp_targetILNS1_3genE9ELNS1_11target_archE1100ELNS1_3gpuE3ELNS1_3repE0EEENS1_30default_config_static_selectorELNS0_4arch9wavefront6targetE1EEEvT1_.kd
    .uniform_work_group_size: 1
    .uses_dynamic_stack: false
    .vgpr_count:     0
    .vgpr_spill_count: 0
    .wavefront_size: 64
  - .agpr_count:     0
    .args:
      - .offset:         0
        .size:           64
        .value_kind:     by_value
    .group_segment_fixed_size: 0
    .kernarg_segment_align: 8
    .kernarg_segment_size: 64
    .language:       OpenCL C
    .language_version:
      - 2
      - 0
    .max_flat_workgroup_size: 32
    .name:           _ZN7rocprim17ROCPRIM_400000_NS6detail17trampoline_kernelINS0_14default_configENS1_35adjacent_difference_config_selectorILb1ElEEZNS1_24adjacent_difference_implIS3_Lb1ELb0EPlS7_ZN2at6native12_GLOBAL__N_124unique_dim_cuda_templateIlEESt5tupleIJNS8_6TensorESD_SD_EERKSD_lbbbEUlllE1_EE10hipError_tPvRmT2_T3_mT4_P12ihipStream_tbEUlT_E_NS1_11comp_targetILNS1_3genE8ELNS1_11target_archE1030ELNS1_3gpuE2ELNS1_3repE0EEENS1_30default_config_static_selectorELNS0_4arch9wavefront6targetE1EEEvT1_
    .private_segment_fixed_size: 0
    .sgpr_count:     6
    .sgpr_spill_count: 0
    .symbol:         _ZN7rocprim17ROCPRIM_400000_NS6detail17trampoline_kernelINS0_14default_configENS1_35adjacent_difference_config_selectorILb1ElEEZNS1_24adjacent_difference_implIS3_Lb1ELb0EPlS7_ZN2at6native12_GLOBAL__N_124unique_dim_cuda_templateIlEESt5tupleIJNS8_6TensorESD_SD_EERKSD_lbbbEUlllE1_EE10hipError_tPvRmT2_T3_mT4_P12ihipStream_tbEUlT_E_NS1_11comp_targetILNS1_3genE8ELNS1_11target_archE1030ELNS1_3gpuE2ELNS1_3repE0EEENS1_30default_config_static_selectorELNS0_4arch9wavefront6targetE1EEEvT1_.kd
    .uniform_work_group_size: 1
    .uses_dynamic_stack: false
    .vgpr_count:     0
    .vgpr_spill_count: 0
    .wavefront_size: 64
  - .agpr_count:     0
    .args:
      - .offset:         0
        .size:           120
        .value_kind:     by_value
    .group_segment_fixed_size: 0
    .kernarg_segment_align: 8
    .kernarg_segment_size: 120
    .language:       OpenCL C
    .language_version:
      - 2
      - 0
    .max_flat_workgroup_size: 512
    .name:           _ZN7rocprim17ROCPRIM_400000_NS6detail17trampoline_kernelINS0_14default_configENS1_25partition_config_selectorILNS1_17partition_subalgoE8ElNS0_10empty_typeEbEEZZNS1_14partition_implILS5_8ELb0ES3_jPlPS6_PKS6_NS0_5tupleIJS9_S6_EEENSD_IJSA_SA_EEENS0_18inequality_wrapperIZN2at6native12_GLOBAL__N_124unique_dim_cuda_templateIlEESt5tupleIJNSH_6TensorESM_SM_EERKSM_lbbbEUlllE0_EEPmJS6_EEE10hipError_tPvRmT3_T4_T5_T6_T7_T9_mT8_P12ihipStream_tbDpT10_ENKUlT_T0_E_clISt17integral_constantIbLb0EES1C_EEDaS17_S18_EUlS17_E_NS1_11comp_targetILNS1_3genE0ELNS1_11target_archE4294967295ELNS1_3gpuE0ELNS1_3repE0EEENS1_30default_config_static_selectorELNS0_4arch9wavefront6targetE1EEEvT1_
    .private_segment_fixed_size: 0
    .sgpr_count:     6
    .sgpr_spill_count: 0
    .symbol:         _ZN7rocprim17ROCPRIM_400000_NS6detail17trampoline_kernelINS0_14default_configENS1_25partition_config_selectorILNS1_17partition_subalgoE8ElNS0_10empty_typeEbEEZZNS1_14partition_implILS5_8ELb0ES3_jPlPS6_PKS6_NS0_5tupleIJS9_S6_EEENSD_IJSA_SA_EEENS0_18inequality_wrapperIZN2at6native12_GLOBAL__N_124unique_dim_cuda_templateIlEESt5tupleIJNSH_6TensorESM_SM_EERKSM_lbbbEUlllE0_EEPmJS6_EEE10hipError_tPvRmT3_T4_T5_T6_T7_T9_mT8_P12ihipStream_tbDpT10_ENKUlT_T0_E_clISt17integral_constantIbLb0EES1C_EEDaS17_S18_EUlS17_E_NS1_11comp_targetILNS1_3genE0ELNS1_11target_archE4294967295ELNS1_3gpuE0ELNS1_3repE0EEENS1_30default_config_static_selectorELNS0_4arch9wavefront6targetE1EEEvT1_.kd
    .uniform_work_group_size: 1
    .uses_dynamic_stack: false
    .vgpr_count:     0
    .vgpr_spill_count: 0
    .wavefront_size: 64
  - .agpr_count:     0
    .args:
      - .offset:         0
        .size:           120
        .value_kind:     by_value
    .group_segment_fixed_size: 28684
    .kernarg_segment_align: 8
    .kernarg_segment_size: 120
    .language:       OpenCL C
    .language_version:
      - 2
      - 0
    .max_flat_workgroup_size: 512
    .name:           _ZN7rocprim17ROCPRIM_400000_NS6detail17trampoline_kernelINS0_14default_configENS1_25partition_config_selectorILNS1_17partition_subalgoE8ElNS0_10empty_typeEbEEZZNS1_14partition_implILS5_8ELb0ES3_jPlPS6_PKS6_NS0_5tupleIJS9_S6_EEENSD_IJSA_SA_EEENS0_18inequality_wrapperIZN2at6native12_GLOBAL__N_124unique_dim_cuda_templateIlEESt5tupleIJNSH_6TensorESM_SM_EERKSM_lbbbEUlllE0_EEPmJS6_EEE10hipError_tPvRmT3_T4_T5_T6_T7_T9_mT8_P12ihipStream_tbDpT10_ENKUlT_T0_E_clISt17integral_constantIbLb0EES1C_EEDaS17_S18_EUlS17_E_NS1_11comp_targetILNS1_3genE5ELNS1_11target_archE942ELNS1_3gpuE9ELNS1_3repE0EEENS1_30default_config_static_selectorELNS0_4arch9wavefront6targetE1EEEvT1_
    .private_segment_fixed_size: 0
    .sgpr_count:     58
    .sgpr_spill_count: 0
    .symbol:         _ZN7rocprim17ROCPRIM_400000_NS6detail17trampoline_kernelINS0_14default_configENS1_25partition_config_selectorILNS1_17partition_subalgoE8ElNS0_10empty_typeEbEEZZNS1_14partition_implILS5_8ELb0ES3_jPlPS6_PKS6_NS0_5tupleIJS9_S6_EEENSD_IJSA_SA_EEENS0_18inequality_wrapperIZN2at6native12_GLOBAL__N_124unique_dim_cuda_templateIlEESt5tupleIJNSH_6TensorESM_SM_EERKSM_lbbbEUlllE0_EEPmJS6_EEE10hipError_tPvRmT3_T4_T5_T6_T7_T9_mT8_P12ihipStream_tbDpT10_ENKUlT_T0_E_clISt17integral_constantIbLb0EES1C_EEDaS17_S18_EUlS17_E_NS1_11comp_targetILNS1_3genE5ELNS1_11target_archE942ELNS1_3gpuE9ELNS1_3repE0EEENS1_30default_config_static_selectorELNS0_4arch9wavefront6targetE1EEEvT1_.kd
    .uniform_work_group_size: 1
    .uses_dynamic_stack: false
    .vgpr_count:     52
    .vgpr_spill_count: 0
    .wavefront_size: 64
  - .agpr_count:     0
    .args:
      - .offset:         0
        .size:           120
        .value_kind:     by_value
    .group_segment_fixed_size: 0
    .kernarg_segment_align: 8
    .kernarg_segment_size: 120
    .language:       OpenCL C
    .language_version:
      - 2
      - 0
    .max_flat_workgroup_size: 256
    .name:           _ZN7rocprim17ROCPRIM_400000_NS6detail17trampoline_kernelINS0_14default_configENS1_25partition_config_selectorILNS1_17partition_subalgoE8ElNS0_10empty_typeEbEEZZNS1_14partition_implILS5_8ELb0ES3_jPlPS6_PKS6_NS0_5tupleIJS9_S6_EEENSD_IJSA_SA_EEENS0_18inequality_wrapperIZN2at6native12_GLOBAL__N_124unique_dim_cuda_templateIlEESt5tupleIJNSH_6TensorESM_SM_EERKSM_lbbbEUlllE0_EEPmJS6_EEE10hipError_tPvRmT3_T4_T5_T6_T7_T9_mT8_P12ihipStream_tbDpT10_ENKUlT_T0_E_clISt17integral_constantIbLb0EES1C_EEDaS17_S18_EUlS17_E_NS1_11comp_targetILNS1_3genE4ELNS1_11target_archE910ELNS1_3gpuE8ELNS1_3repE0EEENS1_30default_config_static_selectorELNS0_4arch9wavefront6targetE1EEEvT1_
    .private_segment_fixed_size: 0
    .sgpr_count:     6
    .sgpr_spill_count: 0
    .symbol:         _ZN7rocprim17ROCPRIM_400000_NS6detail17trampoline_kernelINS0_14default_configENS1_25partition_config_selectorILNS1_17partition_subalgoE8ElNS0_10empty_typeEbEEZZNS1_14partition_implILS5_8ELb0ES3_jPlPS6_PKS6_NS0_5tupleIJS9_S6_EEENSD_IJSA_SA_EEENS0_18inequality_wrapperIZN2at6native12_GLOBAL__N_124unique_dim_cuda_templateIlEESt5tupleIJNSH_6TensorESM_SM_EERKSM_lbbbEUlllE0_EEPmJS6_EEE10hipError_tPvRmT3_T4_T5_T6_T7_T9_mT8_P12ihipStream_tbDpT10_ENKUlT_T0_E_clISt17integral_constantIbLb0EES1C_EEDaS17_S18_EUlS17_E_NS1_11comp_targetILNS1_3genE4ELNS1_11target_archE910ELNS1_3gpuE8ELNS1_3repE0EEENS1_30default_config_static_selectorELNS0_4arch9wavefront6targetE1EEEvT1_.kd
    .uniform_work_group_size: 1
    .uses_dynamic_stack: false
    .vgpr_count:     0
    .vgpr_spill_count: 0
    .wavefront_size: 64
  - .agpr_count:     0
    .args:
      - .offset:         0
        .size:           120
        .value_kind:     by_value
    .group_segment_fixed_size: 0
    .kernarg_segment_align: 8
    .kernarg_segment_size: 120
    .language:       OpenCL C
    .language_version:
      - 2
      - 0
    .max_flat_workgroup_size: 512
    .name:           _ZN7rocprim17ROCPRIM_400000_NS6detail17trampoline_kernelINS0_14default_configENS1_25partition_config_selectorILNS1_17partition_subalgoE8ElNS0_10empty_typeEbEEZZNS1_14partition_implILS5_8ELb0ES3_jPlPS6_PKS6_NS0_5tupleIJS9_S6_EEENSD_IJSA_SA_EEENS0_18inequality_wrapperIZN2at6native12_GLOBAL__N_124unique_dim_cuda_templateIlEESt5tupleIJNSH_6TensorESM_SM_EERKSM_lbbbEUlllE0_EEPmJS6_EEE10hipError_tPvRmT3_T4_T5_T6_T7_T9_mT8_P12ihipStream_tbDpT10_ENKUlT_T0_E_clISt17integral_constantIbLb0EES1C_EEDaS17_S18_EUlS17_E_NS1_11comp_targetILNS1_3genE3ELNS1_11target_archE908ELNS1_3gpuE7ELNS1_3repE0EEENS1_30default_config_static_selectorELNS0_4arch9wavefront6targetE1EEEvT1_
    .private_segment_fixed_size: 0
    .sgpr_count:     6
    .sgpr_spill_count: 0
    .symbol:         _ZN7rocprim17ROCPRIM_400000_NS6detail17trampoline_kernelINS0_14default_configENS1_25partition_config_selectorILNS1_17partition_subalgoE8ElNS0_10empty_typeEbEEZZNS1_14partition_implILS5_8ELb0ES3_jPlPS6_PKS6_NS0_5tupleIJS9_S6_EEENSD_IJSA_SA_EEENS0_18inequality_wrapperIZN2at6native12_GLOBAL__N_124unique_dim_cuda_templateIlEESt5tupleIJNSH_6TensorESM_SM_EERKSM_lbbbEUlllE0_EEPmJS6_EEE10hipError_tPvRmT3_T4_T5_T6_T7_T9_mT8_P12ihipStream_tbDpT10_ENKUlT_T0_E_clISt17integral_constantIbLb0EES1C_EEDaS17_S18_EUlS17_E_NS1_11comp_targetILNS1_3genE3ELNS1_11target_archE908ELNS1_3gpuE7ELNS1_3repE0EEENS1_30default_config_static_selectorELNS0_4arch9wavefront6targetE1EEEvT1_.kd
    .uniform_work_group_size: 1
    .uses_dynamic_stack: false
    .vgpr_count:     0
    .vgpr_spill_count: 0
    .wavefront_size: 64
  - .agpr_count:     0
    .args:
      - .offset:         0
        .size:           120
        .value_kind:     by_value
    .group_segment_fixed_size: 0
    .kernarg_segment_align: 8
    .kernarg_segment_size: 120
    .language:       OpenCL C
    .language_version:
      - 2
      - 0
    .max_flat_workgroup_size: 256
    .name:           _ZN7rocprim17ROCPRIM_400000_NS6detail17trampoline_kernelINS0_14default_configENS1_25partition_config_selectorILNS1_17partition_subalgoE8ElNS0_10empty_typeEbEEZZNS1_14partition_implILS5_8ELb0ES3_jPlPS6_PKS6_NS0_5tupleIJS9_S6_EEENSD_IJSA_SA_EEENS0_18inequality_wrapperIZN2at6native12_GLOBAL__N_124unique_dim_cuda_templateIlEESt5tupleIJNSH_6TensorESM_SM_EERKSM_lbbbEUlllE0_EEPmJS6_EEE10hipError_tPvRmT3_T4_T5_T6_T7_T9_mT8_P12ihipStream_tbDpT10_ENKUlT_T0_E_clISt17integral_constantIbLb0EES1C_EEDaS17_S18_EUlS17_E_NS1_11comp_targetILNS1_3genE2ELNS1_11target_archE906ELNS1_3gpuE6ELNS1_3repE0EEENS1_30default_config_static_selectorELNS0_4arch9wavefront6targetE1EEEvT1_
    .private_segment_fixed_size: 0
    .sgpr_count:     6
    .sgpr_spill_count: 0
    .symbol:         _ZN7rocprim17ROCPRIM_400000_NS6detail17trampoline_kernelINS0_14default_configENS1_25partition_config_selectorILNS1_17partition_subalgoE8ElNS0_10empty_typeEbEEZZNS1_14partition_implILS5_8ELb0ES3_jPlPS6_PKS6_NS0_5tupleIJS9_S6_EEENSD_IJSA_SA_EEENS0_18inequality_wrapperIZN2at6native12_GLOBAL__N_124unique_dim_cuda_templateIlEESt5tupleIJNSH_6TensorESM_SM_EERKSM_lbbbEUlllE0_EEPmJS6_EEE10hipError_tPvRmT3_T4_T5_T6_T7_T9_mT8_P12ihipStream_tbDpT10_ENKUlT_T0_E_clISt17integral_constantIbLb0EES1C_EEDaS17_S18_EUlS17_E_NS1_11comp_targetILNS1_3genE2ELNS1_11target_archE906ELNS1_3gpuE6ELNS1_3repE0EEENS1_30default_config_static_selectorELNS0_4arch9wavefront6targetE1EEEvT1_.kd
    .uniform_work_group_size: 1
    .uses_dynamic_stack: false
    .vgpr_count:     0
    .vgpr_spill_count: 0
    .wavefront_size: 64
  - .agpr_count:     0
    .args:
      - .offset:         0
        .size:           120
        .value_kind:     by_value
    .group_segment_fixed_size: 0
    .kernarg_segment_align: 8
    .kernarg_segment_size: 120
    .language:       OpenCL C
    .language_version:
      - 2
      - 0
    .max_flat_workgroup_size: 384
    .name:           _ZN7rocprim17ROCPRIM_400000_NS6detail17trampoline_kernelINS0_14default_configENS1_25partition_config_selectorILNS1_17partition_subalgoE8ElNS0_10empty_typeEbEEZZNS1_14partition_implILS5_8ELb0ES3_jPlPS6_PKS6_NS0_5tupleIJS9_S6_EEENSD_IJSA_SA_EEENS0_18inequality_wrapperIZN2at6native12_GLOBAL__N_124unique_dim_cuda_templateIlEESt5tupleIJNSH_6TensorESM_SM_EERKSM_lbbbEUlllE0_EEPmJS6_EEE10hipError_tPvRmT3_T4_T5_T6_T7_T9_mT8_P12ihipStream_tbDpT10_ENKUlT_T0_E_clISt17integral_constantIbLb0EES1C_EEDaS17_S18_EUlS17_E_NS1_11comp_targetILNS1_3genE10ELNS1_11target_archE1200ELNS1_3gpuE4ELNS1_3repE0EEENS1_30default_config_static_selectorELNS0_4arch9wavefront6targetE1EEEvT1_
    .private_segment_fixed_size: 0
    .sgpr_count:     6
    .sgpr_spill_count: 0
    .symbol:         _ZN7rocprim17ROCPRIM_400000_NS6detail17trampoline_kernelINS0_14default_configENS1_25partition_config_selectorILNS1_17partition_subalgoE8ElNS0_10empty_typeEbEEZZNS1_14partition_implILS5_8ELb0ES3_jPlPS6_PKS6_NS0_5tupleIJS9_S6_EEENSD_IJSA_SA_EEENS0_18inequality_wrapperIZN2at6native12_GLOBAL__N_124unique_dim_cuda_templateIlEESt5tupleIJNSH_6TensorESM_SM_EERKSM_lbbbEUlllE0_EEPmJS6_EEE10hipError_tPvRmT3_T4_T5_T6_T7_T9_mT8_P12ihipStream_tbDpT10_ENKUlT_T0_E_clISt17integral_constantIbLb0EES1C_EEDaS17_S18_EUlS17_E_NS1_11comp_targetILNS1_3genE10ELNS1_11target_archE1200ELNS1_3gpuE4ELNS1_3repE0EEENS1_30default_config_static_selectorELNS0_4arch9wavefront6targetE1EEEvT1_.kd
    .uniform_work_group_size: 1
    .uses_dynamic_stack: false
    .vgpr_count:     0
    .vgpr_spill_count: 0
    .wavefront_size: 64
  - .agpr_count:     0
    .args:
      - .offset:         0
        .size:           120
        .value_kind:     by_value
    .group_segment_fixed_size: 0
    .kernarg_segment_align: 8
    .kernarg_segment_size: 120
    .language:       OpenCL C
    .language_version:
      - 2
      - 0
    .max_flat_workgroup_size: 512
    .name:           _ZN7rocprim17ROCPRIM_400000_NS6detail17trampoline_kernelINS0_14default_configENS1_25partition_config_selectorILNS1_17partition_subalgoE8ElNS0_10empty_typeEbEEZZNS1_14partition_implILS5_8ELb0ES3_jPlPS6_PKS6_NS0_5tupleIJS9_S6_EEENSD_IJSA_SA_EEENS0_18inequality_wrapperIZN2at6native12_GLOBAL__N_124unique_dim_cuda_templateIlEESt5tupleIJNSH_6TensorESM_SM_EERKSM_lbbbEUlllE0_EEPmJS6_EEE10hipError_tPvRmT3_T4_T5_T6_T7_T9_mT8_P12ihipStream_tbDpT10_ENKUlT_T0_E_clISt17integral_constantIbLb0EES1C_EEDaS17_S18_EUlS17_E_NS1_11comp_targetILNS1_3genE9ELNS1_11target_archE1100ELNS1_3gpuE3ELNS1_3repE0EEENS1_30default_config_static_selectorELNS0_4arch9wavefront6targetE1EEEvT1_
    .private_segment_fixed_size: 0
    .sgpr_count:     6
    .sgpr_spill_count: 0
    .symbol:         _ZN7rocprim17ROCPRIM_400000_NS6detail17trampoline_kernelINS0_14default_configENS1_25partition_config_selectorILNS1_17partition_subalgoE8ElNS0_10empty_typeEbEEZZNS1_14partition_implILS5_8ELb0ES3_jPlPS6_PKS6_NS0_5tupleIJS9_S6_EEENSD_IJSA_SA_EEENS0_18inequality_wrapperIZN2at6native12_GLOBAL__N_124unique_dim_cuda_templateIlEESt5tupleIJNSH_6TensorESM_SM_EERKSM_lbbbEUlllE0_EEPmJS6_EEE10hipError_tPvRmT3_T4_T5_T6_T7_T9_mT8_P12ihipStream_tbDpT10_ENKUlT_T0_E_clISt17integral_constantIbLb0EES1C_EEDaS17_S18_EUlS17_E_NS1_11comp_targetILNS1_3genE9ELNS1_11target_archE1100ELNS1_3gpuE3ELNS1_3repE0EEENS1_30default_config_static_selectorELNS0_4arch9wavefront6targetE1EEEvT1_.kd
    .uniform_work_group_size: 1
    .uses_dynamic_stack: false
    .vgpr_count:     0
    .vgpr_spill_count: 0
    .wavefront_size: 64
  - .agpr_count:     0
    .args:
      - .offset:         0
        .size:           120
        .value_kind:     by_value
    .group_segment_fixed_size: 0
    .kernarg_segment_align: 8
    .kernarg_segment_size: 120
    .language:       OpenCL C
    .language_version:
      - 2
      - 0
    .max_flat_workgroup_size: 512
    .name:           _ZN7rocprim17ROCPRIM_400000_NS6detail17trampoline_kernelINS0_14default_configENS1_25partition_config_selectorILNS1_17partition_subalgoE8ElNS0_10empty_typeEbEEZZNS1_14partition_implILS5_8ELb0ES3_jPlPS6_PKS6_NS0_5tupleIJS9_S6_EEENSD_IJSA_SA_EEENS0_18inequality_wrapperIZN2at6native12_GLOBAL__N_124unique_dim_cuda_templateIlEESt5tupleIJNSH_6TensorESM_SM_EERKSM_lbbbEUlllE0_EEPmJS6_EEE10hipError_tPvRmT3_T4_T5_T6_T7_T9_mT8_P12ihipStream_tbDpT10_ENKUlT_T0_E_clISt17integral_constantIbLb0EES1C_EEDaS17_S18_EUlS17_E_NS1_11comp_targetILNS1_3genE8ELNS1_11target_archE1030ELNS1_3gpuE2ELNS1_3repE0EEENS1_30default_config_static_selectorELNS0_4arch9wavefront6targetE1EEEvT1_
    .private_segment_fixed_size: 0
    .sgpr_count:     6
    .sgpr_spill_count: 0
    .symbol:         _ZN7rocprim17ROCPRIM_400000_NS6detail17trampoline_kernelINS0_14default_configENS1_25partition_config_selectorILNS1_17partition_subalgoE8ElNS0_10empty_typeEbEEZZNS1_14partition_implILS5_8ELb0ES3_jPlPS6_PKS6_NS0_5tupleIJS9_S6_EEENSD_IJSA_SA_EEENS0_18inequality_wrapperIZN2at6native12_GLOBAL__N_124unique_dim_cuda_templateIlEESt5tupleIJNSH_6TensorESM_SM_EERKSM_lbbbEUlllE0_EEPmJS6_EEE10hipError_tPvRmT3_T4_T5_T6_T7_T9_mT8_P12ihipStream_tbDpT10_ENKUlT_T0_E_clISt17integral_constantIbLb0EES1C_EEDaS17_S18_EUlS17_E_NS1_11comp_targetILNS1_3genE8ELNS1_11target_archE1030ELNS1_3gpuE2ELNS1_3repE0EEENS1_30default_config_static_selectorELNS0_4arch9wavefront6targetE1EEEvT1_.kd
    .uniform_work_group_size: 1
    .uses_dynamic_stack: false
    .vgpr_count:     0
    .vgpr_spill_count: 0
    .wavefront_size: 64
  - .agpr_count:     0
    .args:
      - .offset:         0
        .size:           136
        .value_kind:     by_value
    .group_segment_fixed_size: 0
    .kernarg_segment_align: 8
    .kernarg_segment_size: 136
    .language:       OpenCL C
    .language_version:
      - 2
      - 0
    .max_flat_workgroup_size: 512
    .name:           _ZN7rocprim17ROCPRIM_400000_NS6detail17trampoline_kernelINS0_14default_configENS1_25partition_config_selectorILNS1_17partition_subalgoE8ElNS0_10empty_typeEbEEZZNS1_14partition_implILS5_8ELb0ES3_jPlPS6_PKS6_NS0_5tupleIJS9_S6_EEENSD_IJSA_SA_EEENS0_18inequality_wrapperIZN2at6native12_GLOBAL__N_124unique_dim_cuda_templateIlEESt5tupleIJNSH_6TensorESM_SM_EERKSM_lbbbEUlllE0_EEPmJS6_EEE10hipError_tPvRmT3_T4_T5_T6_T7_T9_mT8_P12ihipStream_tbDpT10_ENKUlT_T0_E_clISt17integral_constantIbLb1EES1C_EEDaS17_S18_EUlS17_E_NS1_11comp_targetILNS1_3genE0ELNS1_11target_archE4294967295ELNS1_3gpuE0ELNS1_3repE0EEENS1_30default_config_static_selectorELNS0_4arch9wavefront6targetE1EEEvT1_
    .private_segment_fixed_size: 0
    .sgpr_count:     6
    .sgpr_spill_count: 0
    .symbol:         _ZN7rocprim17ROCPRIM_400000_NS6detail17trampoline_kernelINS0_14default_configENS1_25partition_config_selectorILNS1_17partition_subalgoE8ElNS0_10empty_typeEbEEZZNS1_14partition_implILS5_8ELb0ES3_jPlPS6_PKS6_NS0_5tupleIJS9_S6_EEENSD_IJSA_SA_EEENS0_18inequality_wrapperIZN2at6native12_GLOBAL__N_124unique_dim_cuda_templateIlEESt5tupleIJNSH_6TensorESM_SM_EERKSM_lbbbEUlllE0_EEPmJS6_EEE10hipError_tPvRmT3_T4_T5_T6_T7_T9_mT8_P12ihipStream_tbDpT10_ENKUlT_T0_E_clISt17integral_constantIbLb1EES1C_EEDaS17_S18_EUlS17_E_NS1_11comp_targetILNS1_3genE0ELNS1_11target_archE4294967295ELNS1_3gpuE0ELNS1_3repE0EEENS1_30default_config_static_selectorELNS0_4arch9wavefront6targetE1EEEvT1_.kd
    .uniform_work_group_size: 1
    .uses_dynamic_stack: false
    .vgpr_count:     0
    .vgpr_spill_count: 0
    .wavefront_size: 64
  - .agpr_count:     0
    .args:
      - .offset:         0
        .size:           136
        .value_kind:     by_value
    .group_segment_fixed_size: 28684
    .kernarg_segment_align: 8
    .kernarg_segment_size: 136
    .language:       OpenCL C
    .language_version:
      - 2
      - 0
    .max_flat_workgroup_size: 512
    .name:           _ZN7rocprim17ROCPRIM_400000_NS6detail17trampoline_kernelINS0_14default_configENS1_25partition_config_selectorILNS1_17partition_subalgoE8ElNS0_10empty_typeEbEEZZNS1_14partition_implILS5_8ELb0ES3_jPlPS6_PKS6_NS0_5tupleIJS9_S6_EEENSD_IJSA_SA_EEENS0_18inequality_wrapperIZN2at6native12_GLOBAL__N_124unique_dim_cuda_templateIlEESt5tupleIJNSH_6TensorESM_SM_EERKSM_lbbbEUlllE0_EEPmJS6_EEE10hipError_tPvRmT3_T4_T5_T6_T7_T9_mT8_P12ihipStream_tbDpT10_ENKUlT_T0_E_clISt17integral_constantIbLb1EES1C_EEDaS17_S18_EUlS17_E_NS1_11comp_targetILNS1_3genE5ELNS1_11target_archE942ELNS1_3gpuE9ELNS1_3repE0EEENS1_30default_config_static_selectorELNS0_4arch9wavefront6targetE1EEEvT1_
    .private_segment_fixed_size: 0
    .sgpr_count:     62
    .sgpr_spill_count: 0
    .symbol:         _ZN7rocprim17ROCPRIM_400000_NS6detail17trampoline_kernelINS0_14default_configENS1_25partition_config_selectorILNS1_17partition_subalgoE8ElNS0_10empty_typeEbEEZZNS1_14partition_implILS5_8ELb0ES3_jPlPS6_PKS6_NS0_5tupleIJS9_S6_EEENSD_IJSA_SA_EEENS0_18inequality_wrapperIZN2at6native12_GLOBAL__N_124unique_dim_cuda_templateIlEESt5tupleIJNSH_6TensorESM_SM_EERKSM_lbbbEUlllE0_EEPmJS6_EEE10hipError_tPvRmT3_T4_T5_T6_T7_T9_mT8_P12ihipStream_tbDpT10_ENKUlT_T0_E_clISt17integral_constantIbLb1EES1C_EEDaS17_S18_EUlS17_E_NS1_11comp_targetILNS1_3genE5ELNS1_11target_archE942ELNS1_3gpuE9ELNS1_3repE0EEENS1_30default_config_static_selectorELNS0_4arch9wavefront6targetE1EEEvT1_.kd
    .uniform_work_group_size: 1
    .uses_dynamic_stack: false
    .vgpr_count:     52
    .vgpr_spill_count: 0
    .wavefront_size: 64
  - .agpr_count:     0
    .args:
      - .offset:         0
        .size:           136
        .value_kind:     by_value
    .group_segment_fixed_size: 0
    .kernarg_segment_align: 8
    .kernarg_segment_size: 136
    .language:       OpenCL C
    .language_version:
      - 2
      - 0
    .max_flat_workgroup_size: 256
    .name:           _ZN7rocprim17ROCPRIM_400000_NS6detail17trampoline_kernelINS0_14default_configENS1_25partition_config_selectorILNS1_17partition_subalgoE8ElNS0_10empty_typeEbEEZZNS1_14partition_implILS5_8ELb0ES3_jPlPS6_PKS6_NS0_5tupleIJS9_S6_EEENSD_IJSA_SA_EEENS0_18inequality_wrapperIZN2at6native12_GLOBAL__N_124unique_dim_cuda_templateIlEESt5tupleIJNSH_6TensorESM_SM_EERKSM_lbbbEUlllE0_EEPmJS6_EEE10hipError_tPvRmT3_T4_T5_T6_T7_T9_mT8_P12ihipStream_tbDpT10_ENKUlT_T0_E_clISt17integral_constantIbLb1EES1C_EEDaS17_S18_EUlS17_E_NS1_11comp_targetILNS1_3genE4ELNS1_11target_archE910ELNS1_3gpuE8ELNS1_3repE0EEENS1_30default_config_static_selectorELNS0_4arch9wavefront6targetE1EEEvT1_
    .private_segment_fixed_size: 0
    .sgpr_count:     6
    .sgpr_spill_count: 0
    .symbol:         _ZN7rocprim17ROCPRIM_400000_NS6detail17trampoline_kernelINS0_14default_configENS1_25partition_config_selectorILNS1_17partition_subalgoE8ElNS0_10empty_typeEbEEZZNS1_14partition_implILS5_8ELb0ES3_jPlPS6_PKS6_NS0_5tupleIJS9_S6_EEENSD_IJSA_SA_EEENS0_18inequality_wrapperIZN2at6native12_GLOBAL__N_124unique_dim_cuda_templateIlEESt5tupleIJNSH_6TensorESM_SM_EERKSM_lbbbEUlllE0_EEPmJS6_EEE10hipError_tPvRmT3_T4_T5_T6_T7_T9_mT8_P12ihipStream_tbDpT10_ENKUlT_T0_E_clISt17integral_constantIbLb1EES1C_EEDaS17_S18_EUlS17_E_NS1_11comp_targetILNS1_3genE4ELNS1_11target_archE910ELNS1_3gpuE8ELNS1_3repE0EEENS1_30default_config_static_selectorELNS0_4arch9wavefront6targetE1EEEvT1_.kd
    .uniform_work_group_size: 1
    .uses_dynamic_stack: false
    .vgpr_count:     0
    .vgpr_spill_count: 0
    .wavefront_size: 64
  - .agpr_count:     0
    .args:
      - .offset:         0
        .size:           136
        .value_kind:     by_value
    .group_segment_fixed_size: 0
    .kernarg_segment_align: 8
    .kernarg_segment_size: 136
    .language:       OpenCL C
    .language_version:
      - 2
      - 0
    .max_flat_workgroup_size: 512
    .name:           _ZN7rocprim17ROCPRIM_400000_NS6detail17trampoline_kernelINS0_14default_configENS1_25partition_config_selectorILNS1_17partition_subalgoE8ElNS0_10empty_typeEbEEZZNS1_14partition_implILS5_8ELb0ES3_jPlPS6_PKS6_NS0_5tupleIJS9_S6_EEENSD_IJSA_SA_EEENS0_18inequality_wrapperIZN2at6native12_GLOBAL__N_124unique_dim_cuda_templateIlEESt5tupleIJNSH_6TensorESM_SM_EERKSM_lbbbEUlllE0_EEPmJS6_EEE10hipError_tPvRmT3_T4_T5_T6_T7_T9_mT8_P12ihipStream_tbDpT10_ENKUlT_T0_E_clISt17integral_constantIbLb1EES1C_EEDaS17_S18_EUlS17_E_NS1_11comp_targetILNS1_3genE3ELNS1_11target_archE908ELNS1_3gpuE7ELNS1_3repE0EEENS1_30default_config_static_selectorELNS0_4arch9wavefront6targetE1EEEvT1_
    .private_segment_fixed_size: 0
    .sgpr_count:     6
    .sgpr_spill_count: 0
    .symbol:         _ZN7rocprim17ROCPRIM_400000_NS6detail17trampoline_kernelINS0_14default_configENS1_25partition_config_selectorILNS1_17partition_subalgoE8ElNS0_10empty_typeEbEEZZNS1_14partition_implILS5_8ELb0ES3_jPlPS6_PKS6_NS0_5tupleIJS9_S6_EEENSD_IJSA_SA_EEENS0_18inequality_wrapperIZN2at6native12_GLOBAL__N_124unique_dim_cuda_templateIlEESt5tupleIJNSH_6TensorESM_SM_EERKSM_lbbbEUlllE0_EEPmJS6_EEE10hipError_tPvRmT3_T4_T5_T6_T7_T9_mT8_P12ihipStream_tbDpT10_ENKUlT_T0_E_clISt17integral_constantIbLb1EES1C_EEDaS17_S18_EUlS17_E_NS1_11comp_targetILNS1_3genE3ELNS1_11target_archE908ELNS1_3gpuE7ELNS1_3repE0EEENS1_30default_config_static_selectorELNS0_4arch9wavefront6targetE1EEEvT1_.kd
    .uniform_work_group_size: 1
    .uses_dynamic_stack: false
    .vgpr_count:     0
    .vgpr_spill_count: 0
    .wavefront_size: 64
  - .agpr_count:     0
    .args:
      - .offset:         0
        .size:           136
        .value_kind:     by_value
    .group_segment_fixed_size: 0
    .kernarg_segment_align: 8
    .kernarg_segment_size: 136
    .language:       OpenCL C
    .language_version:
      - 2
      - 0
    .max_flat_workgroup_size: 256
    .name:           _ZN7rocprim17ROCPRIM_400000_NS6detail17trampoline_kernelINS0_14default_configENS1_25partition_config_selectorILNS1_17partition_subalgoE8ElNS0_10empty_typeEbEEZZNS1_14partition_implILS5_8ELb0ES3_jPlPS6_PKS6_NS0_5tupleIJS9_S6_EEENSD_IJSA_SA_EEENS0_18inequality_wrapperIZN2at6native12_GLOBAL__N_124unique_dim_cuda_templateIlEESt5tupleIJNSH_6TensorESM_SM_EERKSM_lbbbEUlllE0_EEPmJS6_EEE10hipError_tPvRmT3_T4_T5_T6_T7_T9_mT8_P12ihipStream_tbDpT10_ENKUlT_T0_E_clISt17integral_constantIbLb1EES1C_EEDaS17_S18_EUlS17_E_NS1_11comp_targetILNS1_3genE2ELNS1_11target_archE906ELNS1_3gpuE6ELNS1_3repE0EEENS1_30default_config_static_selectorELNS0_4arch9wavefront6targetE1EEEvT1_
    .private_segment_fixed_size: 0
    .sgpr_count:     6
    .sgpr_spill_count: 0
    .symbol:         _ZN7rocprim17ROCPRIM_400000_NS6detail17trampoline_kernelINS0_14default_configENS1_25partition_config_selectorILNS1_17partition_subalgoE8ElNS0_10empty_typeEbEEZZNS1_14partition_implILS5_8ELb0ES3_jPlPS6_PKS6_NS0_5tupleIJS9_S6_EEENSD_IJSA_SA_EEENS0_18inequality_wrapperIZN2at6native12_GLOBAL__N_124unique_dim_cuda_templateIlEESt5tupleIJNSH_6TensorESM_SM_EERKSM_lbbbEUlllE0_EEPmJS6_EEE10hipError_tPvRmT3_T4_T5_T6_T7_T9_mT8_P12ihipStream_tbDpT10_ENKUlT_T0_E_clISt17integral_constantIbLb1EES1C_EEDaS17_S18_EUlS17_E_NS1_11comp_targetILNS1_3genE2ELNS1_11target_archE906ELNS1_3gpuE6ELNS1_3repE0EEENS1_30default_config_static_selectorELNS0_4arch9wavefront6targetE1EEEvT1_.kd
    .uniform_work_group_size: 1
    .uses_dynamic_stack: false
    .vgpr_count:     0
    .vgpr_spill_count: 0
    .wavefront_size: 64
  - .agpr_count:     0
    .args:
      - .offset:         0
        .size:           136
        .value_kind:     by_value
    .group_segment_fixed_size: 0
    .kernarg_segment_align: 8
    .kernarg_segment_size: 136
    .language:       OpenCL C
    .language_version:
      - 2
      - 0
    .max_flat_workgroup_size: 384
    .name:           _ZN7rocprim17ROCPRIM_400000_NS6detail17trampoline_kernelINS0_14default_configENS1_25partition_config_selectorILNS1_17partition_subalgoE8ElNS0_10empty_typeEbEEZZNS1_14partition_implILS5_8ELb0ES3_jPlPS6_PKS6_NS0_5tupleIJS9_S6_EEENSD_IJSA_SA_EEENS0_18inequality_wrapperIZN2at6native12_GLOBAL__N_124unique_dim_cuda_templateIlEESt5tupleIJNSH_6TensorESM_SM_EERKSM_lbbbEUlllE0_EEPmJS6_EEE10hipError_tPvRmT3_T4_T5_T6_T7_T9_mT8_P12ihipStream_tbDpT10_ENKUlT_T0_E_clISt17integral_constantIbLb1EES1C_EEDaS17_S18_EUlS17_E_NS1_11comp_targetILNS1_3genE10ELNS1_11target_archE1200ELNS1_3gpuE4ELNS1_3repE0EEENS1_30default_config_static_selectorELNS0_4arch9wavefront6targetE1EEEvT1_
    .private_segment_fixed_size: 0
    .sgpr_count:     6
    .sgpr_spill_count: 0
    .symbol:         _ZN7rocprim17ROCPRIM_400000_NS6detail17trampoline_kernelINS0_14default_configENS1_25partition_config_selectorILNS1_17partition_subalgoE8ElNS0_10empty_typeEbEEZZNS1_14partition_implILS5_8ELb0ES3_jPlPS6_PKS6_NS0_5tupleIJS9_S6_EEENSD_IJSA_SA_EEENS0_18inequality_wrapperIZN2at6native12_GLOBAL__N_124unique_dim_cuda_templateIlEESt5tupleIJNSH_6TensorESM_SM_EERKSM_lbbbEUlllE0_EEPmJS6_EEE10hipError_tPvRmT3_T4_T5_T6_T7_T9_mT8_P12ihipStream_tbDpT10_ENKUlT_T0_E_clISt17integral_constantIbLb1EES1C_EEDaS17_S18_EUlS17_E_NS1_11comp_targetILNS1_3genE10ELNS1_11target_archE1200ELNS1_3gpuE4ELNS1_3repE0EEENS1_30default_config_static_selectorELNS0_4arch9wavefront6targetE1EEEvT1_.kd
    .uniform_work_group_size: 1
    .uses_dynamic_stack: false
    .vgpr_count:     0
    .vgpr_spill_count: 0
    .wavefront_size: 64
  - .agpr_count:     0
    .args:
      - .offset:         0
        .size:           136
        .value_kind:     by_value
    .group_segment_fixed_size: 0
    .kernarg_segment_align: 8
    .kernarg_segment_size: 136
    .language:       OpenCL C
    .language_version:
      - 2
      - 0
    .max_flat_workgroup_size: 512
    .name:           _ZN7rocprim17ROCPRIM_400000_NS6detail17trampoline_kernelINS0_14default_configENS1_25partition_config_selectorILNS1_17partition_subalgoE8ElNS0_10empty_typeEbEEZZNS1_14partition_implILS5_8ELb0ES3_jPlPS6_PKS6_NS0_5tupleIJS9_S6_EEENSD_IJSA_SA_EEENS0_18inequality_wrapperIZN2at6native12_GLOBAL__N_124unique_dim_cuda_templateIlEESt5tupleIJNSH_6TensorESM_SM_EERKSM_lbbbEUlllE0_EEPmJS6_EEE10hipError_tPvRmT3_T4_T5_T6_T7_T9_mT8_P12ihipStream_tbDpT10_ENKUlT_T0_E_clISt17integral_constantIbLb1EES1C_EEDaS17_S18_EUlS17_E_NS1_11comp_targetILNS1_3genE9ELNS1_11target_archE1100ELNS1_3gpuE3ELNS1_3repE0EEENS1_30default_config_static_selectorELNS0_4arch9wavefront6targetE1EEEvT1_
    .private_segment_fixed_size: 0
    .sgpr_count:     6
    .sgpr_spill_count: 0
    .symbol:         _ZN7rocprim17ROCPRIM_400000_NS6detail17trampoline_kernelINS0_14default_configENS1_25partition_config_selectorILNS1_17partition_subalgoE8ElNS0_10empty_typeEbEEZZNS1_14partition_implILS5_8ELb0ES3_jPlPS6_PKS6_NS0_5tupleIJS9_S6_EEENSD_IJSA_SA_EEENS0_18inequality_wrapperIZN2at6native12_GLOBAL__N_124unique_dim_cuda_templateIlEESt5tupleIJNSH_6TensorESM_SM_EERKSM_lbbbEUlllE0_EEPmJS6_EEE10hipError_tPvRmT3_T4_T5_T6_T7_T9_mT8_P12ihipStream_tbDpT10_ENKUlT_T0_E_clISt17integral_constantIbLb1EES1C_EEDaS17_S18_EUlS17_E_NS1_11comp_targetILNS1_3genE9ELNS1_11target_archE1100ELNS1_3gpuE3ELNS1_3repE0EEENS1_30default_config_static_selectorELNS0_4arch9wavefront6targetE1EEEvT1_.kd
    .uniform_work_group_size: 1
    .uses_dynamic_stack: false
    .vgpr_count:     0
    .vgpr_spill_count: 0
    .wavefront_size: 64
  - .agpr_count:     0
    .args:
      - .offset:         0
        .size:           136
        .value_kind:     by_value
    .group_segment_fixed_size: 0
    .kernarg_segment_align: 8
    .kernarg_segment_size: 136
    .language:       OpenCL C
    .language_version:
      - 2
      - 0
    .max_flat_workgroup_size: 512
    .name:           _ZN7rocprim17ROCPRIM_400000_NS6detail17trampoline_kernelINS0_14default_configENS1_25partition_config_selectorILNS1_17partition_subalgoE8ElNS0_10empty_typeEbEEZZNS1_14partition_implILS5_8ELb0ES3_jPlPS6_PKS6_NS0_5tupleIJS9_S6_EEENSD_IJSA_SA_EEENS0_18inequality_wrapperIZN2at6native12_GLOBAL__N_124unique_dim_cuda_templateIlEESt5tupleIJNSH_6TensorESM_SM_EERKSM_lbbbEUlllE0_EEPmJS6_EEE10hipError_tPvRmT3_T4_T5_T6_T7_T9_mT8_P12ihipStream_tbDpT10_ENKUlT_T0_E_clISt17integral_constantIbLb1EES1C_EEDaS17_S18_EUlS17_E_NS1_11comp_targetILNS1_3genE8ELNS1_11target_archE1030ELNS1_3gpuE2ELNS1_3repE0EEENS1_30default_config_static_selectorELNS0_4arch9wavefront6targetE1EEEvT1_
    .private_segment_fixed_size: 0
    .sgpr_count:     6
    .sgpr_spill_count: 0
    .symbol:         _ZN7rocprim17ROCPRIM_400000_NS6detail17trampoline_kernelINS0_14default_configENS1_25partition_config_selectorILNS1_17partition_subalgoE8ElNS0_10empty_typeEbEEZZNS1_14partition_implILS5_8ELb0ES3_jPlPS6_PKS6_NS0_5tupleIJS9_S6_EEENSD_IJSA_SA_EEENS0_18inequality_wrapperIZN2at6native12_GLOBAL__N_124unique_dim_cuda_templateIlEESt5tupleIJNSH_6TensorESM_SM_EERKSM_lbbbEUlllE0_EEPmJS6_EEE10hipError_tPvRmT3_T4_T5_T6_T7_T9_mT8_P12ihipStream_tbDpT10_ENKUlT_T0_E_clISt17integral_constantIbLb1EES1C_EEDaS17_S18_EUlS17_E_NS1_11comp_targetILNS1_3genE8ELNS1_11target_archE1030ELNS1_3gpuE2ELNS1_3repE0EEENS1_30default_config_static_selectorELNS0_4arch9wavefront6targetE1EEEvT1_.kd
    .uniform_work_group_size: 1
    .uses_dynamic_stack: false
    .vgpr_count:     0
    .vgpr_spill_count: 0
    .wavefront_size: 64
  - .agpr_count:     0
    .args:
      - .offset:         0
        .size:           120
        .value_kind:     by_value
    .group_segment_fixed_size: 0
    .kernarg_segment_align: 8
    .kernarg_segment_size: 120
    .language:       OpenCL C
    .language_version:
      - 2
      - 0
    .max_flat_workgroup_size: 512
    .name:           _ZN7rocprim17ROCPRIM_400000_NS6detail17trampoline_kernelINS0_14default_configENS1_25partition_config_selectorILNS1_17partition_subalgoE8ElNS0_10empty_typeEbEEZZNS1_14partition_implILS5_8ELb0ES3_jPlPS6_PKS6_NS0_5tupleIJS9_S6_EEENSD_IJSA_SA_EEENS0_18inequality_wrapperIZN2at6native12_GLOBAL__N_124unique_dim_cuda_templateIlEESt5tupleIJNSH_6TensorESM_SM_EERKSM_lbbbEUlllE0_EEPmJS6_EEE10hipError_tPvRmT3_T4_T5_T6_T7_T9_mT8_P12ihipStream_tbDpT10_ENKUlT_T0_E_clISt17integral_constantIbLb1EES1B_IbLb0EEEEDaS17_S18_EUlS17_E_NS1_11comp_targetILNS1_3genE0ELNS1_11target_archE4294967295ELNS1_3gpuE0ELNS1_3repE0EEENS1_30default_config_static_selectorELNS0_4arch9wavefront6targetE1EEEvT1_
    .private_segment_fixed_size: 0
    .sgpr_count:     6
    .sgpr_spill_count: 0
    .symbol:         _ZN7rocprim17ROCPRIM_400000_NS6detail17trampoline_kernelINS0_14default_configENS1_25partition_config_selectorILNS1_17partition_subalgoE8ElNS0_10empty_typeEbEEZZNS1_14partition_implILS5_8ELb0ES3_jPlPS6_PKS6_NS0_5tupleIJS9_S6_EEENSD_IJSA_SA_EEENS0_18inequality_wrapperIZN2at6native12_GLOBAL__N_124unique_dim_cuda_templateIlEESt5tupleIJNSH_6TensorESM_SM_EERKSM_lbbbEUlllE0_EEPmJS6_EEE10hipError_tPvRmT3_T4_T5_T6_T7_T9_mT8_P12ihipStream_tbDpT10_ENKUlT_T0_E_clISt17integral_constantIbLb1EES1B_IbLb0EEEEDaS17_S18_EUlS17_E_NS1_11comp_targetILNS1_3genE0ELNS1_11target_archE4294967295ELNS1_3gpuE0ELNS1_3repE0EEENS1_30default_config_static_selectorELNS0_4arch9wavefront6targetE1EEEvT1_.kd
    .uniform_work_group_size: 1
    .uses_dynamic_stack: false
    .vgpr_count:     0
    .vgpr_spill_count: 0
    .wavefront_size: 64
  - .agpr_count:     0
    .args:
      - .offset:         0
        .size:           120
        .value_kind:     by_value
    .group_segment_fixed_size: 28684
    .kernarg_segment_align: 8
    .kernarg_segment_size: 120
    .language:       OpenCL C
    .language_version:
      - 2
      - 0
    .max_flat_workgroup_size: 512
    .name:           _ZN7rocprim17ROCPRIM_400000_NS6detail17trampoline_kernelINS0_14default_configENS1_25partition_config_selectorILNS1_17partition_subalgoE8ElNS0_10empty_typeEbEEZZNS1_14partition_implILS5_8ELb0ES3_jPlPS6_PKS6_NS0_5tupleIJS9_S6_EEENSD_IJSA_SA_EEENS0_18inequality_wrapperIZN2at6native12_GLOBAL__N_124unique_dim_cuda_templateIlEESt5tupleIJNSH_6TensorESM_SM_EERKSM_lbbbEUlllE0_EEPmJS6_EEE10hipError_tPvRmT3_T4_T5_T6_T7_T9_mT8_P12ihipStream_tbDpT10_ENKUlT_T0_E_clISt17integral_constantIbLb1EES1B_IbLb0EEEEDaS17_S18_EUlS17_E_NS1_11comp_targetILNS1_3genE5ELNS1_11target_archE942ELNS1_3gpuE9ELNS1_3repE0EEENS1_30default_config_static_selectorELNS0_4arch9wavefront6targetE1EEEvT1_
    .private_segment_fixed_size: 0
    .sgpr_count:     58
    .sgpr_spill_count: 0
    .symbol:         _ZN7rocprim17ROCPRIM_400000_NS6detail17trampoline_kernelINS0_14default_configENS1_25partition_config_selectorILNS1_17partition_subalgoE8ElNS0_10empty_typeEbEEZZNS1_14partition_implILS5_8ELb0ES3_jPlPS6_PKS6_NS0_5tupleIJS9_S6_EEENSD_IJSA_SA_EEENS0_18inequality_wrapperIZN2at6native12_GLOBAL__N_124unique_dim_cuda_templateIlEESt5tupleIJNSH_6TensorESM_SM_EERKSM_lbbbEUlllE0_EEPmJS6_EEE10hipError_tPvRmT3_T4_T5_T6_T7_T9_mT8_P12ihipStream_tbDpT10_ENKUlT_T0_E_clISt17integral_constantIbLb1EES1B_IbLb0EEEEDaS17_S18_EUlS17_E_NS1_11comp_targetILNS1_3genE5ELNS1_11target_archE942ELNS1_3gpuE9ELNS1_3repE0EEENS1_30default_config_static_selectorELNS0_4arch9wavefront6targetE1EEEvT1_.kd
    .uniform_work_group_size: 1
    .uses_dynamic_stack: false
    .vgpr_count:     52
    .vgpr_spill_count: 0
    .wavefront_size: 64
  - .agpr_count:     0
    .args:
      - .offset:         0
        .size:           120
        .value_kind:     by_value
    .group_segment_fixed_size: 0
    .kernarg_segment_align: 8
    .kernarg_segment_size: 120
    .language:       OpenCL C
    .language_version:
      - 2
      - 0
    .max_flat_workgroup_size: 256
    .name:           _ZN7rocprim17ROCPRIM_400000_NS6detail17trampoline_kernelINS0_14default_configENS1_25partition_config_selectorILNS1_17partition_subalgoE8ElNS0_10empty_typeEbEEZZNS1_14partition_implILS5_8ELb0ES3_jPlPS6_PKS6_NS0_5tupleIJS9_S6_EEENSD_IJSA_SA_EEENS0_18inequality_wrapperIZN2at6native12_GLOBAL__N_124unique_dim_cuda_templateIlEESt5tupleIJNSH_6TensorESM_SM_EERKSM_lbbbEUlllE0_EEPmJS6_EEE10hipError_tPvRmT3_T4_T5_T6_T7_T9_mT8_P12ihipStream_tbDpT10_ENKUlT_T0_E_clISt17integral_constantIbLb1EES1B_IbLb0EEEEDaS17_S18_EUlS17_E_NS1_11comp_targetILNS1_3genE4ELNS1_11target_archE910ELNS1_3gpuE8ELNS1_3repE0EEENS1_30default_config_static_selectorELNS0_4arch9wavefront6targetE1EEEvT1_
    .private_segment_fixed_size: 0
    .sgpr_count:     6
    .sgpr_spill_count: 0
    .symbol:         _ZN7rocprim17ROCPRIM_400000_NS6detail17trampoline_kernelINS0_14default_configENS1_25partition_config_selectorILNS1_17partition_subalgoE8ElNS0_10empty_typeEbEEZZNS1_14partition_implILS5_8ELb0ES3_jPlPS6_PKS6_NS0_5tupleIJS9_S6_EEENSD_IJSA_SA_EEENS0_18inequality_wrapperIZN2at6native12_GLOBAL__N_124unique_dim_cuda_templateIlEESt5tupleIJNSH_6TensorESM_SM_EERKSM_lbbbEUlllE0_EEPmJS6_EEE10hipError_tPvRmT3_T4_T5_T6_T7_T9_mT8_P12ihipStream_tbDpT10_ENKUlT_T0_E_clISt17integral_constantIbLb1EES1B_IbLb0EEEEDaS17_S18_EUlS17_E_NS1_11comp_targetILNS1_3genE4ELNS1_11target_archE910ELNS1_3gpuE8ELNS1_3repE0EEENS1_30default_config_static_selectorELNS0_4arch9wavefront6targetE1EEEvT1_.kd
    .uniform_work_group_size: 1
    .uses_dynamic_stack: false
    .vgpr_count:     0
    .vgpr_spill_count: 0
    .wavefront_size: 64
  - .agpr_count:     0
    .args:
      - .offset:         0
        .size:           120
        .value_kind:     by_value
    .group_segment_fixed_size: 0
    .kernarg_segment_align: 8
    .kernarg_segment_size: 120
    .language:       OpenCL C
    .language_version:
      - 2
      - 0
    .max_flat_workgroup_size: 512
    .name:           _ZN7rocprim17ROCPRIM_400000_NS6detail17trampoline_kernelINS0_14default_configENS1_25partition_config_selectorILNS1_17partition_subalgoE8ElNS0_10empty_typeEbEEZZNS1_14partition_implILS5_8ELb0ES3_jPlPS6_PKS6_NS0_5tupleIJS9_S6_EEENSD_IJSA_SA_EEENS0_18inequality_wrapperIZN2at6native12_GLOBAL__N_124unique_dim_cuda_templateIlEESt5tupleIJNSH_6TensorESM_SM_EERKSM_lbbbEUlllE0_EEPmJS6_EEE10hipError_tPvRmT3_T4_T5_T6_T7_T9_mT8_P12ihipStream_tbDpT10_ENKUlT_T0_E_clISt17integral_constantIbLb1EES1B_IbLb0EEEEDaS17_S18_EUlS17_E_NS1_11comp_targetILNS1_3genE3ELNS1_11target_archE908ELNS1_3gpuE7ELNS1_3repE0EEENS1_30default_config_static_selectorELNS0_4arch9wavefront6targetE1EEEvT1_
    .private_segment_fixed_size: 0
    .sgpr_count:     6
    .sgpr_spill_count: 0
    .symbol:         _ZN7rocprim17ROCPRIM_400000_NS6detail17trampoline_kernelINS0_14default_configENS1_25partition_config_selectorILNS1_17partition_subalgoE8ElNS0_10empty_typeEbEEZZNS1_14partition_implILS5_8ELb0ES3_jPlPS6_PKS6_NS0_5tupleIJS9_S6_EEENSD_IJSA_SA_EEENS0_18inequality_wrapperIZN2at6native12_GLOBAL__N_124unique_dim_cuda_templateIlEESt5tupleIJNSH_6TensorESM_SM_EERKSM_lbbbEUlllE0_EEPmJS6_EEE10hipError_tPvRmT3_T4_T5_T6_T7_T9_mT8_P12ihipStream_tbDpT10_ENKUlT_T0_E_clISt17integral_constantIbLb1EES1B_IbLb0EEEEDaS17_S18_EUlS17_E_NS1_11comp_targetILNS1_3genE3ELNS1_11target_archE908ELNS1_3gpuE7ELNS1_3repE0EEENS1_30default_config_static_selectorELNS0_4arch9wavefront6targetE1EEEvT1_.kd
    .uniform_work_group_size: 1
    .uses_dynamic_stack: false
    .vgpr_count:     0
    .vgpr_spill_count: 0
    .wavefront_size: 64
  - .agpr_count:     0
    .args:
      - .offset:         0
        .size:           120
        .value_kind:     by_value
    .group_segment_fixed_size: 0
    .kernarg_segment_align: 8
    .kernarg_segment_size: 120
    .language:       OpenCL C
    .language_version:
      - 2
      - 0
    .max_flat_workgroup_size: 256
    .name:           _ZN7rocprim17ROCPRIM_400000_NS6detail17trampoline_kernelINS0_14default_configENS1_25partition_config_selectorILNS1_17partition_subalgoE8ElNS0_10empty_typeEbEEZZNS1_14partition_implILS5_8ELb0ES3_jPlPS6_PKS6_NS0_5tupleIJS9_S6_EEENSD_IJSA_SA_EEENS0_18inequality_wrapperIZN2at6native12_GLOBAL__N_124unique_dim_cuda_templateIlEESt5tupleIJNSH_6TensorESM_SM_EERKSM_lbbbEUlllE0_EEPmJS6_EEE10hipError_tPvRmT3_T4_T5_T6_T7_T9_mT8_P12ihipStream_tbDpT10_ENKUlT_T0_E_clISt17integral_constantIbLb1EES1B_IbLb0EEEEDaS17_S18_EUlS17_E_NS1_11comp_targetILNS1_3genE2ELNS1_11target_archE906ELNS1_3gpuE6ELNS1_3repE0EEENS1_30default_config_static_selectorELNS0_4arch9wavefront6targetE1EEEvT1_
    .private_segment_fixed_size: 0
    .sgpr_count:     6
    .sgpr_spill_count: 0
    .symbol:         _ZN7rocprim17ROCPRIM_400000_NS6detail17trampoline_kernelINS0_14default_configENS1_25partition_config_selectorILNS1_17partition_subalgoE8ElNS0_10empty_typeEbEEZZNS1_14partition_implILS5_8ELb0ES3_jPlPS6_PKS6_NS0_5tupleIJS9_S6_EEENSD_IJSA_SA_EEENS0_18inequality_wrapperIZN2at6native12_GLOBAL__N_124unique_dim_cuda_templateIlEESt5tupleIJNSH_6TensorESM_SM_EERKSM_lbbbEUlllE0_EEPmJS6_EEE10hipError_tPvRmT3_T4_T5_T6_T7_T9_mT8_P12ihipStream_tbDpT10_ENKUlT_T0_E_clISt17integral_constantIbLb1EES1B_IbLb0EEEEDaS17_S18_EUlS17_E_NS1_11comp_targetILNS1_3genE2ELNS1_11target_archE906ELNS1_3gpuE6ELNS1_3repE0EEENS1_30default_config_static_selectorELNS0_4arch9wavefront6targetE1EEEvT1_.kd
    .uniform_work_group_size: 1
    .uses_dynamic_stack: false
    .vgpr_count:     0
    .vgpr_spill_count: 0
    .wavefront_size: 64
  - .agpr_count:     0
    .args:
      - .offset:         0
        .size:           120
        .value_kind:     by_value
    .group_segment_fixed_size: 0
    .kernarg_segment_align: 8
    .kernarg_segment_size: 120
    .language:       OpenCL C
    .language_version:
      - 2
      - 0
    .max_flat_workgroup_size: 384
    .name:           _ZN7rocprim17ROCPRIM_400000_NS6detail17trampoline_kernelINS0_14default_configENS1_25partition_config_selectorILNS1_17partition_subalgoE8ElNS0_10empty_typeEbEEZZNS1_14partition_implILS5_8ELb0ES3_jPlPS6_PKS6_NS0_5tupleIJS9_S6_EEENSD_IJSA_SA_EEENS0_18inequality_wrapperIZN2at6native12_GLOBAL__N_124unique_dim_cuda_templateIlEESt5tupleIJNSH_6TensorESM_SM_EERKSM_lbbbEUlllE0_EEPmJS6_EEE10hipError_tPvRmT3_T4_T5_T6_T7_T9_mT8_P12ihipStream_tbDpT10_ENKUlT_T0_E_clISt17integral_constantIbLb1EES1B_IbLb0EEEEDaS17_S18_EUlS17_E_NS1_11comp_targetILNS1_3genE10ELNS1_11target_archE1200ELNS1_3gpuE4ELNS1_3repE0EEENS1_30default_config_static_selectorELNS0_4arch9wavefront6targetE1EEEvT1_
    .private_segment_fixed_size: 0
    .sgpr_count:     6
    .sgpr_spill_count: 0
    .symbol:         _ZN7rocprim17ROCPRIM_400000_NS6detail17trampoline_kernelINS0_14default_configENS1_25partition_config_selectorILNS1_17partition_subalgoE8ElNS0_10empty_typeEbEEZZNS1_14partition_implILS5_8ELb0ES3_jPlPS6_PKS6_NS0_5tupleIJS9_S6_EEENSD_IJSA_SA_EEENS0_18inequality_wrapperIZN2at6native12_GLOBAL__N_124unique_dim_cuda_templateIlEESt5tupleIJNSH_6TensorESM_SM_EERKSM_lbbbEUlllE0_EEPmJS6_EEE10hipError_tPvRmT3_T4_T5_T6_T7_T9_mT8_P12ihipStream_tbDpT10_ENKUlT_T0_E_clISt17integral_constantIbLb1EES1B_IbLb0EEEEDaS17_S18_EUlS17_E_NS1_11comp_targetILNS1_3genE10ELNS1_11target_archE1200ELNS1_3gpuE4ELNS1_3repE0EEENS1_30default_config_static_selectorELNS0_4arch9wavefront6targetE1EEEvT1_.kd
    .uniform_work_group_size: 1
    .uses_dynamic_stack: false
    .vgpr_count:     0
    .vgpr_spill_count: 0
    .wavefront_size: 64
  - .agpr_count:     0
    .args:
      - .offset:         0
        .size:           120
        .value_kind:     by_value
    .group_segment_fixed_size: 0
    .kernarg_segment_align: 8
    .kernarg_segment_size: 120
    .language:       OpenCL C
    .language_version:
      - 2
      - 0
    .max_flat_workgroup_size: 512
    .name:           _ZN7rocprim17ROCPRIM_400000_NS6detail17trampoline_kernelINS0_14default_configENS1_25partition_config_selectorILNS1_17partition_subalgoE8ElNS0_10empty_typeEbEEZZNS1_14partition_implILS5_8ELb0ES3_jPlPS6_PKS6_NS0_5tupleIJS9_S6_EEENSD_IJSA_SA_EEENS0_18inequality_wrapperIZN2at6native12_GLOBAL__N_124unique_dim_cuda_templateIlEESt5tupleIJNSH_6TensorESM_SM_EERKSM_lbbbEUlllE0_EEPmJS6_EEE10hipError_tPvRmT3_T4_T5_T6_T7_T9_mT8_P12ihipStream_tbDpT10_ENKUlT_T0_E_clISt17integral_constantIbLb1EES1B_IbLb0EEEEDaS17_S18_EUlS17_E_NS1_11comp_targetILNS1_3genE9ELNS1_11target_archE1100ELNS1_3gpuE3ELNS1_3repE0EEENS1_30default_config_static_selectorELNS0_4arch9wavefront6targetE1EEEvT1_
    .private_segment_fixed_size: 0
    .sgpr_count:     6
    .sgpr_spill_count: 0
    .symbol:         _ZN7rocprim17ROCPRIM_400000_NS6detail17trampoline_kernelINS0_14default_configENS1_25partition_config_selectorILNS1_17partition_subalgoE8ElNS0_10empty_typeEbEEZZNS1_14partition_implILS5_8ELb0ES3_jPlPS6_PKS6_NS0_5tupleIJS9_S6_EEENSD_IJSA_SA_EEENS0_18inequality_wrapperIZN2at6native12_GLOBAL__N_124unique_dim_cuda_templateIlEESt5tupleIJNSH_6TensorESM_SM_EERKSM_lbbbEUlllE0_EEPmJS6_EEE10hipError_tPvRmT3_T4_T5_T6_T7_T9_mT8_P12ihipStream_tbDpT10_ENKUlT_T0_E_clISt17integral_constantIbLb1EES1B_IbLb0EEEEDaS17_S18_EUlS17_E_NS1_11comp_targetILNS1_3genE9ELNS1_11target_archE1100ELNS1_3gpuE3ELNS1_3repE0EEENS1_30default_config_static_selectorELNS0_4arch9wavefront6targetE1EEEvT1_.kd
    .uniform_work_group_size: 1
    .uses_dynamic_stack: false
    .vgpr_count:     0
    .vgpr_spill_count: 0
    .wavefront_size: 64
  - .agpr_count:     0
    .args:
      - .offset:         0
        .size:           120
        .value_kind:     by_value
    .group_segment_fixed_size: 0
    .kernarg_segment_align: 8
    .kernarg_segment_size: 120
    .language:       OpenCL C
    .language_version:
      - 2
      - 0
    .max_flat_workgroup_size: 512
    .name:           _ZN7rocprim17ROCPRIM_400000_NS6detail17trampoline_kernelINS0_14default_configENS1_25partition_config_selectorILNS1_17partition_subalgoE8ElNS0_10empty_typeEbEEZZNS1_14partition_implILS5_8ELb0ES3_jPlPS6_PKS6_NS0_5tupleIJS9_S6_EEENSD_IJSA_SA_EEENS0_18inequality_wrapperIZN2at6native12_GLOBAL__N_124unique_dim_cuda_templateIlEESt5tupleIJNSH_6TensorESM_SM_EERKSM_lbbbEUlllE0_EEPmJS6_EEE10hipError_tPvRmT3_T4_T5_T6_T7_T9_mT8_P12ihipStream_tbDpT10_ENKUlT_T0_E_clISt17integral_constantIbLb1EES1B_IbLb0EEEEDaS17_S18_EUlS17_E_NS1_11comp_targetILNS1_3genE8ELNS1_11target_archE1030ELNS1_3gpuE2ELNS1_3repE0EEENS1_30default_config_static_selectorELNS0_4arch9wavefront6targetE1EEEvT1_
    .private_segment_fixed_size: 0
    .sgpr_count:     6
    .sgpr_spill_count: 0
    .symbol:         _ZN7rocprim17ROCPRIM_400000_NS6detail17trampoline_kernelINS0_14default_configENS1_25partition_config_selectorILNS1_17partition_subalgoE8ElNS0_10empty_typeEbEEZZNS1_14partition_implILS5_8ELb0ES3_jPlPS6_PKS6_NS0_5tupleIJS9_S6_EEENSD_IJSA_SA_EEENS0_18inequality_wrapperIZN2at6native12_GLOBAL__N_124unique_dim_cuda_templateIlEESt5tupleIJNSH_6TensorESM_SM_EERKSM_lbbbEUlllE0_EEPmJS6_EEE10hipError_tPvRmT3_T4_T5_T6_T7_T9_mT8_P12ihipStream_tbDpT10_ENKUlT_T0_E_clISt17integral_constantIbLb1EES1B_IbLb0EEEEDaS17_S18_EUlS17_E_NS1_11comp_targetILNS1_3genE8ELNS1_11target_archE1030ELNS1_3gpuE2ELNS1_3repE0EEENS1_30default_config_static_selectorELNS0_4arch9wavefront6targetE1EEEvT1_.kd
    .uniform_work_group_size: 1
    .uses_dynamic_stack: false
    .vgpr_count:     0
    .vgpr_spill_count: 0
    .wavefront_size: 64
  - .agpr_count:     0
    .args:
      - .offset:         0
        .size:           136
        .value_kind:     by_value
    .group_segment_fixed_size: 0
    .kernarg_segment_align: 8
    .kernarg_segment_size: 136
    .language:       OpenCL C
    .language_version:
      - 2
      - 0
    .max_flat_workgroup_size: 512
    .name:           _ZN7rocprim17ROCPRIM_400000_NS6detail17trampoline_kernelINS0_14default_configENS1_25partition_config_selectorILNS1_17partition_subalgoE8ElNS0_10empty_typeEbEEZZNS1_14partition_implILS5_8ELb0ES3_jPlPS6_PKS6_NS0_5tupleIJS9_S6_EEENSD_IJSA_SA_EEENS0_18inequality_wrapperIZN2at6native12_GLOBAL__N_124unique_dim_cuda_templateIlEESt5tupleIJNSH_6TensorESM_SM_EERKSM_lbbbEUlllE0_EEPmJS6_EEE10hipError_tPvRmT3_T4_T5_T6_T7_T9_mT8_P12ihipStream_tbDpT10_ENKUlT_T0_E_clISt17integral_constantIbLb0EES1B_IbLb1EEEEDaS17_S18_EUlS17_E_NS1_11comp_targetILNS1_3genE0ELNS1_11target_archE4294967295ELNS1_3gpuE0ELNS1_3repE0EEENS1_30default_config_static_selectorELNS0_4arch9wavefront6targetE1EEEvT1_
    .private_segment_fixed_size: 0
    .sgpr_count:     6
    .sgpr_spill_count: 0
    .symbol:         _ZN7rocprim17ROCPRIM_400000_NS6detail17trampoline_kernelINS0_14default_configENS1_25partition_config_selectorILNS1_17partition_subalgoE8ElNS0_10empty_typeEbEEZZNS1_14partition_implILS5_8ELb0ES3_jPlPS6_PKS6_NS0_5tupleIJS9_S6_EEENSD_IJSA_SA_EEENS0_18inequality_wrapperIZN2at6native12_GLOBAL__N_124unique_dim_cuda_templateIlEESt5tupleIJNSH_6TensorESM_SM_EERKSM_lbbbEUlllE0_EEPmJS6_EEE10hipError_tPvRmT3_T4_T5_T6_T7_T9_mT8_P12ihipStream_tbDpT10_ENKUlT_T0_E_clISt17integral_constantIbLb0EES1B_IbLb1EEEEDaS17_S18_EUlS17_E_NS1_11comp_targetILNS1_3genE0ELNS1_11target_archE4294967295ELNS1_3gpuE0ELNS1_3repE0EEENS1_30default_config_static_selectorELNS0_4arch9wavefront6targetE1EEEvT1_.kd
    .uniform_work_group_size: 1
    .uses_dynamic_stack: false
    .vgpr_count:     0
    .vgpr_spill_count: 0
    .wavefront_size: 64
  - .agpr_count:     0
    .args:
      - .offset:         0
        .size:           136
        .value_kind:     by_value
    .group_segment_fixed_size: 28684
    .kernarg_segment_align: 8
    .kernarg_segment_size: 136
    .language:       OpenCL C
    .language_version:
      - 2
      - 0
    .max_flat_workgroup_size: 512
    .name:           _ZN7rocprim17ROCPRIM_400000_NS6detail17trampoline_kernelINS0_14default_configENS1_25partition_config_selectorILNS1_17partition_subalgoE8ElNS0_10empty_typeEbEEZZNS1_14partition_implILS5_8ELb0ES3_jPlPS6_PKS6_NS0_5tupleIJS9_S6_EEENSD_IJSA_SA_EEENS0_18inequality_wrapperIZN2at6native12_GLOBAL__N_124unique_dim_cuda_templateIlEESt5tupleIJNSH_6TensorESM_SM_EERKSM_lbbbEUlllE0_EEPmJS6_EEE10hipError_tPvRmT3_T4_T5_T6_T7_T9_mT8_P12ihipStream_tbDpT10_ENKUlT_T0_E_clISt17integral_constantIbLb0EES1B_IbLb1EEEEDaS17_S18_EUlS17_E_NS1_11comp_targetILNS1_3genE5ELNS1_11target_archE942ELNS1_3gpuE9ELNS1_3repE0EEENS1_30default_config_static_selectorELNS0_4arch9wavefront6targetE1EEEvT1_
    .private_segment_fixed_size: 0
    .sgpr_count:     62
    .sgpr_spill_count: 0
    .symbol:         _ZN7rocprim17ROCPRIM_400000_NS6detail17trampoline_kernelINS0_14default_configENS1_25partition_config_selectorILNS1_17partition_subalgoE8ElNS0_10empty_typeEbEEZZNS1_14partition_implILS5_8ELb0ES3_jPlPS6_PKS6_NS0_5tupleIJS9_S6_EEENSD_IJSA_SA_EEENS0_18inequality_wrapperIZN2at6native12_GLOBAL__N_124unique_dim_cuda_templateIlEESt5tupleIJNSH_6TensorESM_SM_EERKSM_lbbbEUlllE0_EEPmJS6_EEE10hipError_tPvRmT3_T4_T5_T6_T7_T9_mT8_P12ihipStream_tbDpT10_ENKUlT_T0_E_clISt17integral_constantIbLb0EES1B_IbLb1EEEEDaS17_S18_EUlS17_E_NS1_11comp_targetILNS1_3genE5ELNS1_11target_archE942ELNS1_3gpuE9ELNS1_3repE0EEENS1_30default_config_static_selectorELNS0_4arch9wavefront6targetE1EEEvT1_.kd
    .uniform_work_group_size: 1
    .uses_dynamic_stack: false
    .vgpr_count:     52
    .vgpr_spill_count: 0
    .wavefront_size: 64
  - .agpr_count:     0
    .args:
      - .offset:         0
        .size:           136
        .value_kind:     by_value
    .group_segment_fixed_size: 0
    .kernarg_segment_align: 8
    .kernarg_segment_size: 136
    .language:       OpenCL C
    .language_version:
      - 2
      - 0
    .max_flat_workgroup_size: 256
    .name:           _ZN7rocprim17ROCPRIM_400000_NS6detail17trampoline_kernelINS0_14default_configENS1_25partition_config_selectorILNS1_17partition_subalgoE8ElNS0_10empty_typeEbEEZZNS1_14partition_implILS5_8ELb0ES3_jPlPS6_PKS6_NS0_5tupleIJS9_S6_EEENSD_IJSA_SA_EEENS0_18inequality_wrapperIZN2at6native12_GLOBAL__N_124unique_dim_cuda_templateIlEESt5tupleIJNSH_6TensorESM_SM_EERKSM_lbbbEUlllE0_EEPmJS6_EEE10hipError_tPvRmT3_T4_T5_T6_T7_T9_mT8_P12ihipStream_tbDpT10_ENKUlT_T0_E_clISt17integral_constantIbLb0EES1B_IbLb1EEEEDaS17_S18_EUlS17_E_NS1_11comp_targetILNS1_3genE4ELNS1_11target_archE910ELNS1_3gpuE8ELNS1_3repE0EEENS1_30default_config_static_selectorELNS0_4arch9wavefront6targetE1EEEvT1_
    .private_segment_fixed_size: 0
    .sgpr_count:     6
    .sgpr_spill_count: 0
    .symbol:         _ZN7rocprim17ROCPRIM_400000_NS6detail17trampoline_kernelINS0_14default_configENS1_25partition_config_selectorILNS1_17partition_subalgoE8ElNS0_10empty_typeEbEEZZNS1_14partition_implILS5_8ELb0ES3_jPlPS6_PKS6_NS0_5tupleIJS9_S6_EEENSD_IJSA_SA_EEENS0_18inequality_wrapperIZN2at6native12_GLOBAL__N_124unique_dim_cuda_templateIlEESt5tupleIJNSH_6TensorESM_SM_EERKSM_lbbbEUlllE0_EEPmJS6_EEE10hipError_tPvRmT3_T4_T5_T6_T7_T9_mT8_P12ihipStream_tbDpT10_ENKUlT_T0_E_clISt17integral_constantIbLb0EES1B_IbLb1EEEEDaS17_S18_EUlS17_E_NS1_11comp_targetILNS1_3genE4ELNS1_11target_archE910ELNS1_3gpuE8ELNS1_3repE0EEENS1_30default_config_static_selectorELNS0_4arch9wavefront6targetE1EEEvT1_.kd
    .uniform_work_group_size: 1
    .uses_dynamic_stack: false
    .vgpr_count:     0
    .vgpr_spill_count: 0
    .wavefront_size: 64
  - .agpr_count:     0
    .args:
      - .offset:         0
        .size:           136
        .value_kind:     by_value
    .group_segment_fixed_size: 0
    .kernarg_segment_align: 8
    .kernarg_segment_size: 136
    .language:       OpenCL C
    .language_version:
      - 2
      - 0
    .max_flat_workgroup_size: 512
    .name:           _ZN7rocprim17ROCPRIM_400000_NS6detail17trampoline_kernelINS0_14default_configENS1_25partition_config_selectorILNS1_17partition_subalgoE8ElNS0_10empty_typeEbEEZZNS1_14partition_implILS5_8ELb0ES3_jPlPS6_PKS6_NS0_5tupleIJS9_S6_EEENSD_IJSA_SA_EEENS0_18inequality_wrapperIZN2at6native12_GLOBAL__N_124unique_dim_cuda_templateIlEESt5tupleIJNSH_6TensorESM_SM_EERKSM_lbbbEUlllE0_EEPmJS6_EEE10hipError_tPvRmT3_T4_T5_T6_T7_T9_mT8_P12ihipStream_tbDpT10_ENKUlT_T0_E_clISt17integral_constantIbLb0EES1B_IbLb1EEEEDaS17_S18_EUlS17_E_NS1_11comp_targetILNS1_3genE3ELNS1_11target_archE908ELNS1_3gpuE7ELNS1_3repE0EEENS1_30default_config_static_selectorELNS0_4arch9wavefront6targetE1EEEvT1_
    .private_segment_fixed_size: 0
    .sgpr_count:     6
    .sgpr_spill_count: 0
    .symbol:         _ZN7rocprim17ROCPRIM_400000_NS6detail17trampoline_kernelINS0_14default_configENS1_25partition_config_selectorILNS1_17partition_subalgoE8ElNS0_10empty_typeEbEEZZNS1_14partition_implILS5_8ELb0ES3_jPlPS6_PKS6_NS0_5tupleIJS9_S6_EEENSD_IJSA_SA_EEENS0_18inequality_wrapperIZN2at6native12_GLOBAL__N_124unique_dim_cuda_templateIlEESt5tupleIJNSH_6TensorESM_SM_EERKSM_lbbbEUlllE0_EEPmJS6_EEE10hipError_tPvRmT3_T4_T5_T6_T7_T9_mT8_P12ihipStream_tbDpT10_ENKUlT_T0_E_clISt17integral_constantIbLb0EES1B_IbLb1EEEEDaS17_S18_EUlS17_E_NS1_11comp_targetILNS1_3genE3ELNS1_11target_archE908ELNS1_3gpuE7ELNS1_3repE0EEENS1_30default_config_static_selectorELNS0_4arch9wavefront6targetE1EEEvT1_.kd
    .uniform_work_group_size: 1
    .uses_dynamic_stack: false
    .vgpr_count:     0
    .vgpr_spill_count: 0
    .wavefront_size: 64
  - .agpr_count:     0
    .args:
      - .offset:         0
        .size:           136
        .value_kind:     by_value
    .group_segment_fixed_size: 0
    .kernarg_segment_align: 8
    .kernarg_segment_size: 136
    .language:       OpenCL C
    .language_version:
      - 2
      - 0
    .max_flat_workgroup_size: 256
    .name:           _ZN7rocprim17ROCPRIM_400000_NS6detail17trampoline_kernelINS0_14default_configENS1_25partition_config_selectorILNS1_17partition_subalgoE8ElNS0_10empty_typeEbEEZZNS1_14partition_implILS5_8ELb0ES3_jPlPS6_PKS6_NS0_5tupleIJS9_S6_EEENSD_IJSA_SA_EEENS0_18inequality_wrapperIZN2at6native12_GLOBAL__N_124unique_dim_cuda_templateIlEESt5tupleIJNSH_6TensorESM_SM_EERKSM_lbbbEUlllE0_EEPmJS6_EEE10hipError_tPvRmT3_T4_T5_T6_T7_T9_mT8_P12ihipStream_tbDpT10_ENKUlT_T0_E_clISt17integral_constantIbLb0EES1B_IbLb1EEEEDaS17_S18_EUlS17_E_NS1_11comp_targetILNS1_3genE2ELNS1_11target_archE906ELNS1_3gpuE6ELNS1_3repE0EEENS1_30default_config_static_selectorELNS0_4arch9wavefront6targetE1EEEvT1_
    .private_segment_fixed_size: 0
    .sgpr_count:     6
    .sgpr_spill_count: 0
    .symbol:         _ZN7rocprim17ROCPRIM_400000_NS6detail17trampoline_kernelINS0_14default_configENS1_25partition_config_selectorILNS1_17partition_subalgoE8ElNS0_10empty_typeEbEEZZNS1_14partition_implILS5_8ELb0ES3_jPlPS6_PKS6_NS0_5tupleIJS9_S6_EEENSD_IJSA_SA_EEENS0_18inequality_wrapperIZN2at6native12_GLOBAL__N_124unique_dim_cuda_templateIlEESt5tupleIJNSH_6TensorESM_SM_EERKSM_lbbbEUlllE0_EEPmJS6_EEE10hipError_tPvRmT3_T4_T5_T6_T7_T9_mT8_P12ihipStream_tbDpT10_ENKUlT_T0_E_clISt17integral_constantIbLb0EES1B_IbLb1EEEEDaS17_S18_EUlS17_E_NS1_11comp_targetILNS1_3genE2ELNS1_11target_archE906ELNS1_3gpuE6ELNS1_3repE0EEENS1_30default_config_static_selectorELNS0_4arch9wavefront6targetE1EEEvT1_.kd
    .uniform_work_group_size: 1
    .uses_dynamic_stack: false
    .vgpr_count:     0
    .vgpr_spill_count: 0
    .wavefront_size: 64
  - .agpr_count:     0
    .args:
      - .offset:         0
        .size:           136
        .value_kind:     by_value
    .group_segment_fixed_size: 0
    .kernarg_segment_align: 8
    .kernarg_segment_size: 136
    .language:       OpenCL C
    .language_version:
      - 2
      - 0
    .max_flat_workgroup_size: 384
    .name:           _ZN7rocprim17ROCPRIM_400000_NS6detail17trampoline_kernelINS0_14default_configENS1_25partition_config_selectorILNS1_17partition_subalgoE8ElNS0_10empty_typeEbEEZZNS1_14partition_implILS5_8ELb0ES3_jPlPS6_PKS6_NS0_5tupleIJS9_S6_EEENSD_IJSA_SA_EEENS0_18inequality_wrapperIZN2at6native12_GLOBAL__N_124unique_dim_cuda_templateIlEESt5tupleIJNSH_6TensorESM_SM_EERKSM_lbbbEUlllE0_EEPmJS6_EEE10hipError_tPvRmT3_T4_T5_T6_T7_T9_mT8_P12ihipStream_tbDpT10_ENKUlT_T0_E_clISt17integral_constantIbLb0EES1B_IbLb1EEEEDaS17_S18_EUlS17_E_NS1_11comp_targetILNS1_3genE10ELNS1_11target_archE1200ELNS1_3gpuE4ELNS1_3repE0EEENS1_30default_config_static_selectorELNS0_4arch9wavefront6targetE1EEEvT1_
    .private_segment_fixed_size: 0
    .sgpr_count:     6
    .sgpr_spill_count: 0
    .symbol:         _ZN7rocprim17ROCPRIM_400000_NS6detail17trampoline_kernelINS0_14default_configENS1_25partition_config_selectorILNS1_17partition_subalgoE8ElNS0_10empty_typeEbEEZZNS1_14partition_implILS5_8ELb0ES3_jPlPS6_PKS6_NS0_5tupleIJS9_S6_EEENSD_IJSA_SA_EEENS0_18inequality_wrapperIZN2at6native12_GLOBAL__N_124unique_dim_cuda_templateIlEESt5tupleIJNSH_6TensorESM_SM_EERKSM_lbbbEUlllE0_EEPmJS6_EEE10hipError_tPvRmT3_T4_T5_T6_T7_T9_mT8_P12ihipStream_tbDpT10_ENKUlT_T0_E_clISt17integral_constantIbLb0EES1B_IbLb1EEEEDaS17_S18_EUlS17_E_NS1_11comp_targetILNS1_3genE10ELNS1_11target_archE1200ELNS1_3gpuE4ELNS1_3repE0EEENS1_30default_config_static_selectorELNS0_4arch9wavefront6targetE1EEEvT1_.kd
    .uniform_work_group_size: 1
    .uses_dynamic_stack: false
    .vgpr_count:     0
    .vgpr_spill_count: 0
    .wavefront_size: 64
  - .agpr_count:     0
    .args:
      - .offset:         0
        .size:           136
        .value_kind:     by_value
    .group_segment_fixed_size: 0
    .kernarg_segment_align: 8
    .kernarg_segment_size: 136
    .language:       OpenCL C
    .language_version:
      - 2
      - 0
    .max_flat_workgroup_size: 512
    .name:           _ZN7rocprim17ROCPRIM_400000_NS6detail17trampoline_kernelINS0_14default_configENS1_25partition_config_selectorILNS1_17partition_subalgoE8ElNS0_10empty_typeEbEEZZNS1_14partition_implILS5_8ELb0ES3_jPlPS6_PKS6_NS0_5tupleIJS9_S6_EEENSD_IJSA_SA_EEENS0_18inequality_wrapperIZN2at6native12_GLOBAL__N_124unique_dim_cuda_templateIlEESt5tupleIJNSH_6TensorESM_SM_EERKSM_lbbbEUlllE0_EEPmJS6_EEE10hipError_tPvRmT3_T4_T5_T6_T7_T9_mT8_P12ihipStream_tbDpT10_ENKUlT_T0_E_clISt17integral_constantIbLb0EES1B_IbLb1EEEEDaS17_S18_EUlS17_E_NS1_11comp_targetILNS1_3genE9ELNS1_11target_archE1100ELNS1_3gpuE3ELNS1_3repE0EEENS1_30default_config_static_selectorELNS0_4arch9wavefront6targetE1EEEvT1_
    .private_segment_fixed_size: 0
    .sgpr_count:     6
    .sgpr_spill_count: 0
    .symbol:         _ZN7rocprim17ROCPRIM_400000_NS6detail17trampoline_kernelINS0_14default_configENS1_25partition_config_selectorILNS1_17partition_subalgoE8ElNS0_10empty_typeEbEEZZNS1_14partition_implILS5_8ELb0ES3_jPlPS6_PKS6_NS0_5tupleIJS9_S6_EEENSD_IJSA_SA_EEENS0_18inequality_wrapperIZN2at6native12_GLOBAL__N_124unique_dim_cuda_templateIlEESt5tupleIJNSH_6TensorESM_SM_EERKSM_lbbbEUlllE0_EEPmJS6_EEE10hipError_tPvRmT3_T4_T5_T6_T7_T9_mT8_P12ihipStream_tbDpT10_ENKUlT_T0_E_clISt17integral_constantIbLb0EES1B_IbLb1EEEEDaS17_S18_EUlS17_E_NS1_11comp_targetILNS1_3genE9ELNS1_11target_archE1100ELNS1_3gpuE3ELNS1_3repE0EEENS1_30default_config_static_selectorELNS0_4arch9wavefront6targetE1EEEvT1_.kd
    .uniform_work_group_size: 1
    .uses_dynamic_stack: false
    .vgpr_count:     0
    .vgpr_spill_count: 0
    .wavefront_size: 64
  - .agpr_count:     0
    .args:
      - .offset:         0
        .size:           136
        .value_kind:     by_value
    .group_segment_fixed_size: 0
    .kernarg_segment_align: 8
    .kernarg_segment_size: 136
    .language:       OpenCL C
    .language_version:
      - 2
      - 0
    .max_flat_workgroup_size: 512
    .name:           _ZN7rocprim17ROCPRIM_400000_NS6detail17trampoline_kernelINS0_14default_configENS1_25partition_config_selectorILNS1_17partition_subalgoE8ElNS0_10empty_typeEbEEZZNS1_14partition_implILS5_8ELb0ES3_jPlPS6_PKS6_NS0_5tupleIJS9_S6_EEENSD_IJSA_SA_EEENS0_18inequality_wrapperIZN2at6native12_GLOBAL__N_124unique_dim_cuda_templateIlEESt5tupleIJNSH_6TensorESM_SM_EERKSM_lbbbEUlllE0_EEPmJS6_EEE10hipError_tPvRmT3_T4_T5_T6_T7_T9_mT8_P12ihipStream_tbDpT10_ENKUlT_T0_E_clISt17integral_constantIbLb0EES1B_IbLb1EEEEDaS17_S18_EUlS17_E_NS1_11comp_targetILNS1_3genE8ELNS1_11target_archE1030ELNS1_3gpuE2ELNS1_3repE0EEENS1_30default_config_static_selectorELNS0_4arch9wavefront6targetE1EEEvT1_
    .private_segment_fixed_size: 0
    .sgpr_count:     6
    .sgpr_spill_count: 0
    .symbol:         _ZN7rocprim17ROCPRIM_400000_NS6detail17trampoline_kernelINS0_14default_configENS1_25partition_config_selectorILNS1_17partition_subalgoE8ElNS0_10empty_typeEbEEZZNS1_14partition_implILS5_8ELb0ES3_jPlPS6_PKS6_NS0_5tupleIJS9_S6_EEENSD_IJSA_SA_EEENS0_18inequality_wrapperIZN2at6native12_GLOBAL__N_124unique_dim_cuda_templateIlEESt5tupleIJNSH_6TensorESM_SM_EERKSM_lbbbEUlllE0_EEPmJS6_EEE10hipError_tPvRmT3_T4_T5_T6_T7_T9_mT8_P12ihipStream_tbDpT10_ENKUlT_T0_E_clISt17integral_constantIbLb0EES1B_IbLb1EEEEDaS17_S18_EUlS17_E_NS1_11comp_targetILNS1_3genE8ELNS1_11target_archE1030ELNS1_3gpuE2ELNS1_3repE0EEENS1_30default_config_static_selectorELNS0_4arch9wavefront6targetE1EEEvT1_.kd
    .uniform_work_group_size: 1
    .uses_dynamic_stack: false
    .vgpr_count:     0
    .vgpr_spill_count: 0
    .wavefront_size: 64
  - .agpr_count:     0
    .args:
      - .offset:         0
        .size:           120
        .value_kind:     by_value
    .group_segment_fixed_size: 0
    .kernarg_segment_align: 8
    .kernarg_segment_size: 120
    .language:       OpenCL C
    .language_version:
      - 2
      - 0
    .max_flat_workgroup_size: 128
    .name:           _ZN7rocprim17ROCPRIM_400000_NS6detail17trampoline_kernelINS0_14default_configENS1_25partition_config_selectorILNS1_17partition_subalgoE9EllbEEZZNS1_14partition_implILS5_9ELb0ES3_jPlS8_PNS0_10empty_typeENS0_5tupleIJS8_S9_EEENSB_IJS8_SA_EEENS0_18inequality_wrapperIZN2at6native12_GLOBAL__N_124unique_dim_cuda_templateIlEESt5tupleIJNSF_6TensorESK_SK_EERKSK_lbbbEUlllE0_EEPmJS9_EEE10hipError_tPvRmT3_T4_T5_T6_T7_T9_mT8_P12ihipStream_tbDpT10_ENKUlT_T0_E_clISt17integral_constantIbLb0EES1A_EEDaS15_S16_EUlS15_E_NS1_11comp_targetILNS1_3genE0ELNS1_11target_archE4294967295ELNS1_3gpuE0ELNS1_3repE0EEENS1_30default_config_static_selectorELNS0_4arch9wavefront6targetE1EEEvT1_
    .private_segment_fixed_size: 0
    .sgpr_count:     6
    .sgpr_spill_count: 0
    .symbol:         _ZN7rocprim17ROCPRIM_400000_NS6detail17trampoline_kernelINS0_14default_configENS1_25partition_config_selectorILNS1_17partition_subalgoE9EllbEEZZNS1_14partition_implILS5_9ELb0ES3_jPlS8_PNS0_10empty_typeENS0_5tupleIJS8_S9_EEENSB_IJS8_SA_EEENS0_18inequality_wrapperIZN2at6native12_GLOBAL__N_124unique_dim_cuda_templateIlEESt5tupleIJNSF_6TensorESK_SK_EERKSK_lbbbEUlllE0_EEPmJS9_EEE10hipError_tPvRmT3_T4_T5_T6_T7_T9_mT8_P12ihipStream_tbDpT10_ENKUlT_T0_E_clISt17integral_constantIbLb0EES1A_EEDaS15_S16_EUlS15_E_NS1_11comp_targetILNS1_3genE0ELNS1_11target_archE4294967295ELNS1_3gpuE0ELNS1_3repE0EEENS1_30default_config_static_selectorELNS0_4arch9wavefront6targetE1EEEvT1_.kd
    .uniform_work_group_size: 1
    .uses_dynamic_stack: false
    .vgpr_count:     0
    .vgpr_spill_count: 0
    .wavefront_size: 64
  - .agpr_count:     0
    .args:
      - .offset:         0
        .size:           120
        .value_kind:     by_value
    .group_segment_fixed_size: 28684
    .kernarg_segment_align: 8
    .kernarg_segment_size: 120
    .language:       OpenCL C
    .language_version:
      - 2
      - 0
    .max_flat_workgroup_size: 512
    .name:           _ZN7rocprim17ROCPRIM_400000_NS6detail17trampoline_kernelINS0_14default_configENS1_25partition_config_selectorILNS1_17partition_subalgoE9EllbEEZZNS1_14partition_implILS5_9ELb0ES3_jPlS8_PNS0_10empty_typeENS0_5tupleIJS8_S9_EEENSB_IJS8_SA_EEENS0_18inequality_wrapperIZN2at6native12_GLOBAL__N_124unique_dim_cuda_templateIlEESt5tupleIJNSF_6TensorESK_SK_EERKSK_lbbbEUlllE0_EEPmJS9_EEE10hipError_tPvRmT3_T4_T5_T6_T7_T9_mT8_P12ihipStream_tbDpT10_ENKUlT_T0_E_clISt17integral_constantIbLb0EES1A_EEDaS15_S16_EUlS15_E_NS1_11comp_targetILNS1_3genE5ELNS1_11target_archE942ELNS1_3gpuE9ELNS1_3repE0EEENS1_30default_config_static_selectorELNS0_4arch9wavefront6targetE1EEEvT1_
    .private_segment_fixed_size: 0
    .sgpr_count:     58
    .sgpr_spill_count: 0
    .symbol:         _ZN7rocprim17ROCPRIM_400000_NS6detail17trampoline_kernelINS0_14default_configENS1_25partition_config_selectorILNS1_17partition_subalgoE9EllbEEZZNS1_14partition_implILS5_9ELb0ES3_jPlS8_PNS0_10empty_typeENS0_5tupleIJS8_S9_EEENSB_IJS8_SA_EEENS0_18inequality_wrapperIZN2at6native12_GLOBAL__N_124unique_dim_cuda_templateIlEESt5tupleIJNSF_6TensorESK_SK_EERKSK_lbbbEUlllE0_EEPmJS9_EEE10hipError_tPvRmT3_T4_T5_T6_T7_T9_mT8_P12ihipStream_tbDpT10_ENKUlT_T0_E_clISt17integral_constantIbLb0EES1A_EEDaS15_S16_EUlS15_E_NS1_11comp_targetILNS1_3genE5ELNS1_11target_archE942ELNS1_3gpuE9ELNS1_3repE0EEENS1_30default_config_static_selectorELNS0_4arch9wavefront6targetE1EEEvT1_.kd
    .uniform_work_group_size: 1
    .uses_dynamic_stack: false
    .vgpr_count:     66
    .vgpr_spill_count: 0
    .wavefront_size: 64
  - .agpr_count:     0
    .args:
      - .offset:         0
        .size:           120
        .value_kind:     by_value
    .group_segment_fixed_size: 0
    .kernarg_segment_align: 8
    .kernarg_segment_size: 120
    .language:       OpenCL C
    .language_version:
      - 2
      - 0
    .max_flat_workgroup_size: 128
    .name:           _ZN7rocprim17ROCPRIM_400000_NS6detail17trampoline_kernelINS0_14default_configENS1_25partition_config_selectorILNS1_17partition_subalgoE9EllbEEZZNS1_14partition_implILS5_9ELb0ES3_jPlS8_PNS0_10empty_typeENS0_5tupleIJS8_S9_EEENSB_IJS8_SA_EEENS0_18inequality_wrapperIZN2at6native12_GLOBAL__N_124unique_dim_cuda_templateIlEESt5tupleIJNSF_6TensorESK_SK_EERKSK_lbbbEUlllE0_EEPmJS9_EEE10hipError_tPvRmT3_T4_T5_T6_T7_T9_mT8_P12ihipStream_tbDpT10_ENKUlT_T0_E_clISt17integral_constantIbLb0EES1A_EEDaS15_S16_EUlS15_E_NS1_11comp_targetILNS1_3genE4ELNS1_11target_archE910ELNS1_3gpuE8ELNS1_3repE0EEENS1_30default_config_static_selectorELNS0_4arch9wavefront6targetE1EEEvT1_
    .private_segment_fixed_size: 0
    .sgpr_count:     6
    .sgpr_spill_count: 0
    .symbol:         _ZN7rocprim17ROCPRIM_400000_NS6detail17trampoline_kernelINS0_14default_configENS1_25partition_config_selectorILNS1_17partition_subalgoE9EllbEEZZNS1_14partition_implILS5_9ELb0ES3_jPlS8_PNS0_10empty_typeENS0_5tupleIJS8_S9_EEENSB_IJS8_SA_EEENS0_18inequality_wrapperIZN2at6native12_GLOBAL__N_124unique_dim_cuda_templateIlEESt5tupleIJNSF_6TensorESK_SK_EERKSK_lbbbEUlllE0_EEPmJS9_EEE10hipError_tPvRmT3_T4_T5_T6_T7_T9_mT8_P12ihipStream_tbDpT10_ENKUlT_T0_E_clISt17integral_constantIbLb0EES1A_EEDaS15_S16_EUlS15_E_NS1_11comp_targetILNS1_3genE4ELNS1_11target_archE910ELNS1_3gpuE8ELNS1_3repE0EEENS1_30default_config_static_selectorELNS0_4arch9wavefront6targetE1EEEvT1_.kd
    .uniform_work_group_size: 1
    .uses_dynamic_stack: false
    .vgpr_count:     0
    .vgpr_spill_count: 0
    .wavefront_size: 64
  - .agpr_count:     0
    .args:
      - .offset:         0
        .size:           120
        .value_kind:     by_value
    .group_segment_fixed_size: 0
    .kernarg_segment_align: 8
    .kernarg_segment_size: 120
    .language:       OpenCL C
    .language_version:
      - 2
      - 0
    .max_flat_workgroup_size: 128
    .name:           _ZN7rocprim17ROCPRIM_400000_NS6detail17trampoline_kernelINS0_14default_configENS1_25partition_config_selectorILNS1_17partition_subalgoE9EllbEEZZNS1_14partition_implILS5_9ELb0ES3_jPlS8_PNS0_10empty_typeENS0_5tupleIJS8_S9_EEENSB_IJS8_SA_EEENS0_18inequality_wrapperIZN2at6native12_GLOBAL__N_124unique_dim_cuda_templateIlEESt5tupleIJNSF_6TensorESK_SK_EERKSK_lbbbEUlllE0_EEPmJS9_EEE10hipError_tPvRmT3_T4_T5_T6_T7_T9_mT8_P12ihipStream_tbDpT10_ENKUlT_T0_E_clISt17integral_constantIbLb0EES1A_EEDaS15_S16_EUlS15_E_NS1_11comp_targetILNS1_3genE3ELNS1_11target_archE908ELNS1_3gpuE7ELNS1_3repE0EEENS1_30default_config_static_selectorELNS0_4arch9wavefront6targetE1EEEvT1_
    .private_segment_fixed_size: 0
    .sgpr_count:     6
    .sgpr_spill_count: 0
    .symbol:         _ZN7rocprim17ROCPRIM_400000_NS6detail17trampoline_kernelINS0_14default_configENS1_25partition_config_selectorILNS1_17partition_subalgoE9EllbEEZZNS1_14partition_implILS5_9ELb0ES3_jPlS8_PNS0_10empty_typeENS0_5tupleIJS8_S9_EEENSB_IJS8_SA_EEENS0_18inequality_wrapperIZN2at6native12_GLOBAL__N_124unique_dim_cuda_templateIlEESt5tupleIJNSF_6TensorESK_SK_EERKSK_lbbbEUlllE0_EEPmJS9_EEE10hipError_tPvRmT3_T4_T5_T6_T7_T9_mT8_P12ihipStream_tbDpT10_ENKUlT_T0_E_clISt17integral_constantIbLb0EES1A_EEDaS15_S16_EUlS15_E_NS1_11comp_targetILNS1_3genE3ELNS1_11target_archE908ELNS1_3gpuE7ELNS1_3repE0EEENS1_30default_config_static_selectorELNS0_4arch9wavefront6targetE1EEEvT1_.kd
    .uniform_work_group_size: 1
    .uses_dynamic_stack: false
    .vgpr_count:     0
    .vgpr_spill_count: 0
    .wavefront_size: 64
  - .agpr_count:     0
    .args:
      - .offset:         0
        .size:           120
        .value_kind:     by_value
    .group_segment_fixed_size: 0
    .kernarg_segment_align: 8
    .kernarg_segment_size: 120
    .language:       OpenCL C
    .language_version:
      - 2
      - 0
    .max_flat_workgroup_size: 192
    .name:           _ZN7rocprim17ROCPRIM_400000_NS6detail17trampoline_kernelINS0_14default_configENS1_25partition_config_selectorILNS1_17partition_subalgoE9EllbEEZZNS1_14partition_implILS5_9ELb0ES3_jPlS8_PNS0_10empty_typeENS0_5tupleIJS8_S9_EEENSB_IJS8_SA_EEENS0_18inequality_wrapperIZN2at6native12_GLOBAL__N_124unique_dim_cuda_templateIlEESt5tupleIJNSF_6TensorESK_SK_EERKSK_lbbbEUlllE0_EEPmJS9_EEE10hipError_tPvRmT3_T4_T5_T6_T7_T9_mT8_P12ihipStream_tbDpT10_ENKUlT_T0_E_clISt17integral_constantIbLb0EES1A_EEDaS15_S16_EUlS15_E_NS1_11comp_targetILNS1_3genE2ELNS1_11target_archE906ELNS1_3gpuE6ELNS1_3repE0EEENS1_30default_config_static_selectorELNS0_4arch9wavefront6targetE1EEEvT1_
    .private_segment_fixed_size: 0
    .sgpr_count:     6
    .sgpr_spill_count: 0
    .symbol:         _ZN7rocprim17ROCPRIM_400000_NS6detail17trampoline_kernelINS0_14default_configENS1_25partition_config_selectorILNS1_17partition_subalgoE9EllbEEZZNS1_14partition_implILS5_9ELb0ES3_jPlS8_PNS0_10empty_typeENS0_5tupleIJS8_S9_EEENSB_IJS8_SA_EEENS0_18inequality_wrapperIZN2at6native12_GLOBAL__N_124unique_dim_cuda_templateIlEESt5tupleIJNSF_6TensorESK_SK_EERKSK_lbbbEUlllE0_EEPmJS9_EEE10hipError_tPvRmT3_T4_T5_T6_T7_T9_mT8_P12ihipStream_tbDpT10_ENKUlT_T0_E_clISt17integral_constantIbLb0EES1A_EEDaS15_S16_EUlS15_E_NS1_11comp_targetILNS1_3genE2ELNS1_11target_archE906ELNS1_3gpuE6ELNS1_3repE0EEENS1_30default_config_static_selectorELNS0_4arch9wavefront6targetE1EEEvT1_.kd
    .uniform_work_group_size: 1
    .uses_dynamic_stack: false
    .vgpr_count:     0
    .vgpr_spill_count: 0
    .wavefront_size: 64
  - .agpr_count:     0
    .args:
      - .offset:         0
        .size:           120
        .value_kind:     by_value
    .group_segment_fixed_size: 0
    .kernarg_segment_align: 8
    .kernarg_segment_size: 120
    .language:       OpenCL C
    .language_version:
      - 2
      - 0
    .max_flat_workgroup_size: 384
    .name:           _ZN7rocprim17ROCPRIM_400000_NS6detail17trampoline_kernelINS0_14default_configENS1_25partition_config_selectorILNS1_17partition_subalgoE9EllbEEZZNS1_14partition_implILS5_9ELb0ES3_jPlS8_PNS0_10empty_typeENS0_5tupleIJS8_S9_EEENSB_IJS8_SA_EEENS0_18inequality_wrapperIZN2at6native12_GLOBAL__N_124unique_dim_cuda_templateIlEESt5tupleIJNSF_6TensorESK_SK_EERKSK_lbbbEUlllE0_EEPmJS9_EEE10hipError_tPvRmT3_T4_T5_T6_T7_T9_mT8_P12ihipStream_tbDpT10_ENKUlT_T0_E_clISt17integral_constantIbLb0EES1A_EEDaS15_S16_EUlS15_E_NS1_11comp_targetILNS1_3genE10ELNS1_11target_archE1200ELNS1_3gpuE4ELNS1_3repE0EEENS1_30default_config_static_selectorELNS0_4arch9wavefront6targetE1EEEvT1_
    .private_segment_fixed_size: 0
    .sgpr_count:     6
    .sgpr_spill_count: 0
    .symbol:         _ZN7rocprim17ROCPRIM_400000_NS6detail17trampoline_kernelINS0_14default_configENS1_25partition_config_selectorILNS1_17partition_subalgoE9EllbEEZZNS1_14partition_implILS5_9ELb0ES3_jPlS8_PNS0_10empty_typeENS0_5tupleIJS8_S9_EEENSB_IJS8_SA_EEENS0_18inequality_wrapperIZN2at6native12_GLOBAL__N_124unique_dim_cuda_templateIlEESt5tupleIJNSF_6TensorESK_SK_EERKSK_lbbbEUlllE0_EEPmJS9_EEE10hipError_tPvRmT3_T4_T5_T6_T7_T9_mT8_P12ihipStream_tbDpT10_ENKUlT_T0_E_clISt17integral_constantIbLb0EES1A_EEDaS15_S16_EUlS15_E_NS1_11comp_targetILNS1_3genE10ELNS1_11target_archE1200ELNS1_3gpuE4ELNS1_3repE0EEENS1_30default_config_static_selectorELNS0_4arch9wavefront6targetE1EEEvT1_.kd
    .uniform_work_group_size: 1
    .uses_dynamic_stack: false
    .vgpr_count:     0
    .vgpr_spill_count: 0
    .wavefront_size: 64
  - .agpr_count:     0
    .args:
      - .offset:         0
        .size:           120
        .value_kind:     by_value
    .group_segment_fixed_size: 0
    .kernarg_segment_align: 8
    .kernarg_segment_size: 120
    .language:       OpenCL C
    .language_version:
      - 2
      - 0
    .max_flat_workgroup_size: 512
    .name:           _ZN7rocprim17ROCPRIM_400000_NS6detail17trampoline_kernelINS0_14default_configENS1_25partition_config_selectorILNS1_17partition_subalgoE9EllbEEZZNS1_14partition_implILS5_9ELb0ES3_jPlS8_PNS0_10empty_typeENS0_5tupleIJS8_S9_EEENSB_IJS8_SA_EEENS0_18inequality_wrapperIZN2at6native12_GLOBAL__N_124unique_dim_cuda_templateIlEESt5tupleIJNSF_6TensorESK_SK_EERKSK_lbbbEUlllE0_EEPmJS9_EEE10hipError_tPvRmT3_T4_T5_T6_T7_T9_mT8_P12ihipStream_tbDpT10_ENKUlT_T0_E_clISt17integral_constantIbLb0EES1A_EEDaS15_S16_EUlS15_E_NS1_11comp_targetILNS1_3genE9ELNS1_11target_archE1100ELNS1_3gpuE3ELNS1_3repE0EEENS1_30default_config_static_selectorELNS0_4arch9wavefront6targetE1EEEvT1_
    .private_segment_fixed_size: 0
    .sgpr_count:     6
    .sgpr_spill_count: 0
    .symbol:         _ZN7rocprim17ROCPRIM_400000_NS6detail17trampoline_kernelINS0_14default_configENS1_25partition_config_selectorILNS1_17partition_subalgoE9EllbEEZZNS1_14partition_implILS5_9ELb0ES3_jPlS8_PNS0_10empty_typeENS0_5tupleIJS8_S9_EEENSB_IJS8_SA_EEENS0_18inequality_wrapperIZN2at6native12_GLOBAL__N_124unique_dim_cuda_templateIlEESt5tupleIJNSF_6TensorESK_SK_EERKSK_lbbbEUlllE0_EEPmJS9_EEE10hipError_tPvRmT3_T4_T5_T6_T7_T9_mT8_P12ihipStream_tbDpT10_ENKUlT_T0_E_clISt17integral_constantIbLb0EES1A_EEDaS15_S16_EUlS15_E_NS1_11comp_targetILNS1_3genE9ELNS1_11target_archE1100ELNS1_3gpuE3ELNS1_3repE0EEENS1_30default_config_static_selectorELNS0_4arch9wavefront6targetE1EEEvT1_.kd
    .uniform_work_group_size: 1
    .uses_dynamic_stack: false
    .vgpr_count:     0
    .vgpr_spill_count: 0
    .wavefront_size: 64
  - .agpr_count:     0
    .args:
      - .offset:         0
        .size:           120
        .value_kind:     by_value
    .group_segment_fixed_size: 0
    .kernarg_segment_align: 8
    .kernarg_segment_size: 120
    .language:       OpenCL C
    .language_version:
      - 2
      - 0
    .max_flat_workgroup_size: 512
    .name:           _ZN7rocprim17ROCPRIM_400000_NS6detail17trampoline_kernelINS0_14default_configENS1_25partition_config_selectorILNS1_17partition_subalgoE9EllbEEZZNS1_14partition_implILS5_9ELb0ES3_jPlS8_PNS0_10empty_typeENS0_5tupleIJS8_S9_EEENSB_IJS8_SA_EEENS0_18inequality_wrapperIZN2at6native12_GLOBAL__N_124unique_dim_cuda_templateIlEESt5tupleIJNSF_6TensorESK_SK_EERKSK_lbbbEUlllE0_EEPmJS9_EEE10hipError_tPvRmT3_T4_T5_T6_T7_T9_mT8_P12ihipStream_tbDpT10_ENKUlT_T0_E_clISt17integral_constantIbLb0EES1A_EEDaS15_S16_EUlS15_E_NS1_11comp_targetILNS1_3genE8ELNS1_11target_archE1030ELNS1_3gpuE2ELNS1_3repE0EEENS1_30default_config_static_selectorELNS0_4arch9wavefront6targetE1EEEvT1_
    .private_segment_fixed_size: 0
    .sgpr_count:     6
    .sgpr_spill_count: 0
    .symbol:         _ZN7rocprim17ROCPRIM_400000_NS6detail17trampoline_kernelINS0_14default_configENS1_25partition_config_selectorILNS1_17partition_subalgoE9EllbEEZZNS1_14partition_implILS5_9ELb0ES3_jPlS8_PNS0_10empty_typeENS0_5tupleIJS8_S9_EEENSB_IJS8_SA_EEENS0_18inequality_wrapperIZN2at6native12_GLOBAL__N_124unique_dim_cuda_templateIlEESt5tupleIJNSF_6TensorESK_SK_EERKSK_lbbbEUlllE0_EEPmJS9_EEE10hipError_tPvRmT3_T4_T5_T6_T7_T9_mT8_P12ihipStream_tbDpT10_ENKUlT_T0_E_clISt17integral_constantIbLb0EES1A_EEDaS15_S16_EUlS15_E_NS1_11comp_targetILNS1_3genE8ELNS1_11target_archE1030ELNS1_3gpuE2ELNS1_3repE0EEENS1_30default_config_static_selectorELNS0_4arch9wavefront6targetE1EEEvT1_.kd
    .uniform_work_group_size: 1
    .uses_dynamic_stack: false
    .vgpr_count:     0
    .vgpr_spill_count: 0
    .wavefront_size: 64
  - .agpr_count:     0
    .args:
      - .offset:         0
        .size:           136
        .value_kind:     by_value
    .group_segment_fixed_size: 0
    .kernarg_segment_align: 8
    .kernarg_segment_size: 136
    .language:       OpenCL C
    .language_version:
      - 2
      - 0
    .max_flat_workgroup_size: 128
    .name:           _ZN7rocprim17ROCPRIM_400000_NS6detail17trampoline_kernelINS0_14default_configENS1_25partition_config_selectorILNS1_17partition_subalgoE9EllbEEZZNS1_14partition_implILS5_9ELb0ES3_jPlS8_PNS0_10empty_typeENS0_5tupleIJS8_S9_EEENSB_IJS8_SA_EEENS0_18inequality_wrapperIZN2at6native12_GLOBAL__N_124unique_dim_cuda_templateIlEESt5tupleIJNSF_6TensorESK_SK_EERKSK_lbbbEUlllE0_EEPmJS9_EEE10hipError_tPvRmT3_T4_T5_T6_T7_T9_mT8_P12ihipStream_tbDpT10_ENKUlT_T0_E_clISt17integral_constantIbLb1EES1A_EEDaS15_S16_EUlS15_E_NS1_11comp_targetILNS1_3genE0ELNS1_11target_archE4294967295ELNS1_3gpuE0ELNS1_3repE0EEENS1_30default_config_static_selectorELNS0_4arch9wavefront6targetE1EEEvT1_
    .private_segment_fixed_size: 0
    .sgpr_count:     6
    .sgpr_spill_count: 0
    .symbol:         _ZN7rocprim17ROCPRIM_400000_NS6detail17trampoline_kernelINS0_14default_configENS1_25partition_config_selectorILNS1_17partition_subalgoE9EllbEEZZNS1_14partition_implILS5_9ELb0ES3_jPlS8_PNS0_10empty_typeENS0_5tupleIJS8_S9_EEENSB_IJS8_SA_EEENS0_18inequality_wrapperIZN2at6native12_GLOBAL__N_124unique_dim_cuda_templateIlEESt5tupleIJNSF_6TensorESK_SK_EERKSK_lbbbEUlllE0_EEPmJS9_EEE10hipError_tPvRmT3_T4_T5_T6_T7_T9_mT8_P12ihipStream_tbDpT10_ENKUlT_T0_E_clISt17integral_constantIbLb1EES1A_EEDaS15_S16_EUlS15_E_NS1_11comp_targetILNS1_3genE0ELNS1_11target_archE4294967295ELNS1_3gpuE0ELNS1_3repE0EEENS1_30default_config_static_selectorELNS0_4arch9wavefront6targetE1EEEvT1_.kd
    .uniform_work_group_size: 1
    .uses_dynamic_stack: false
    .vgpr_count:     0
    .vgpr_spill_count: 0
    .wavefront_size: 64
  - .agpr_count:     0
    .args:
      - .offset:         0
        .size:           136
        .value_kind:     by_value
    .group_segment_fixed_size: 28684
    .kernarg_segment_align: 8
    .kernarg_segment_size: 136
    .language:       OpenCL C
    .language_version:
      - 2
      - 0
    .max_flat_workgroup_size: 512
    .name:           _ZN7rocprim17ROCPRIM_400000_NS6detail17trampoline_kernelINS0_14default_configENS1_25partition_config_selectorILNS1_17partition_subalgoE9EllbEEZZNS1_14partition_implILS5_9ELb0ES3_jPlS8_PNS0_10empty_typeENS0_5tupleIJS8_S9_EEENSB_IJS8_SA_EEENS0_18inequality_wrapperIZN2at6native12_GLOBAL__N_124unique_dim_cuda_templateIlEESt5tupleIJNSF_6TensorESK_SK_EERKSK_lbbbEUlllE0_EEPmJS9_EEE10hipError_tPvRmT3_T4_T5_T6_T7_T9_mT8_P12ihipStream_tbDpT10_ENKUlT_T0_E_clISt17integral_constantIbLb1EES1A_EEDaS15_S16_EUlS15_E_NS1_11comp_targetILNS1_3genE5ELNS1_11target_archE942ELNS1_3gpuE9ELNS1_3repE0EEENS1_30default_config_static_selectorELNS0_4arch9wavefront6targetE1EEEvT1_
    .private_segment_fixed_size: 0
    .sgpr_count:     64
    .sgpr_spill_count: 0
    .symbol:         _ZN7rocprim17ROCPRIM_400000_NS6detail17trampoline_kernelINS0_14default_configENS1_25partition_config_selectorILNS1_17partition_subalgoE9EllbEEZZNS1_14partition_implILS5_9ELb0ES3_jPlS8_PNS0_10empty_typeENS0_5tupleIJS8_S9_EEENSB_IJS8_SA_EEENS0_18inequality_wrapperIZN2at6native12_GLOBAL__N_124unique_dim_cuda_templateIlEESt5tupleIJNSF_6TensorESK_SK_EERKSK_lbbbEUlllE0_EEPmJS9_EEE10hipError_tPvRmT3_T4_T5_T6_T7_T9_mT8_P12ihipStream_tbDpT10_ENKUlT_T0_E_clISt17integral_constantIbLb1EES1A_EEDaS15_S16_EUlS15_E_NS1_11comp_targetILNS1_3genE5ELNS1_11target_archE942ELNS1_3gpuE9ELNS1_3repE0EEENS1_30default_config_static_selectorELNS0_4arch9wavefront6targetE1EEEvT1_.kd
    .uniform_work_group_size: 1
    .uses_dynamic_stack: false
    .vgpr_count:     66
    .vgpr_spill_count: 0
    .wavefront_size: 64
  - .agpr_count:     0
    .args:
      - .offset:         0
        .size:           136
        .value_kind:     by_value
    .group_segment_fixed_size: 0
    .kernarg_segment_align: 8
    .kernarg_segment_size: 136
    .language:       OpenCL C
    .language_version:
      - 2
      - 0
    .max_flat_workgroup_size: 128
    .name:           _ZN7rocprim17ROCPRIM_400000_NS6detail17trampoline_kernelINS0_14default_configENS1_25partition_config_selectorILNS1_17partition_subalgoE9EllbEEZZNS1_14partition_implILS5_9ELb0ES3_jPlS8_PNS0_10empty_typeENS0_5tupleIJS8_S9_EEENSB_IJS8_SA_EEENS0_18inequality_wrapperIZN2at6native12_GLOBAL__N_124unique_dim_cuda_templateIlEESt5tupleIJNSF_6TensorESK_SK_EERKSK_lbbbEUlllE0_EEPmJS9_EEE10hipError_tPvRmT3_T4_T5_T6_T7_T9_mT8_P12ihipStream_tbDpT10_ENKUlT_T0_E_clISt17integral_constantIbLb1EES1A_EEDaS15_S16_EUlS15_E_NS1_11comp_targetILNS1_3genE4ELNS1_11target_archE910ELNS1_3gpuE8ELNS1_3repE0EEENS1_30default_config_static_selectorELNS0_4arch9wavefront6targetE1EEEvT1_
    .private_segment_fixed_size: 0
    .sgpr_count:     6
    .sgpr_spill_count: 0
    .symbol:         _ZN7rocprim17ROCPRIM_400000_NS6detail17trampoline_kernelINS0_14default_configENS1_25partition_config_selectorILNS1_17partition_subalgoE9EllbEEZZNS1_14partition_implILS5_9ELb0ES3_jPlS8_PNS0_10empty_typeENS0_5tupleIJS8_S9_EEENSB_IJS8_SA_EEENS0_18inequality_wrapperIZN2at6native12_GLOBAL__N_124unique_dim_cuda_templateIlEESt5tupleIJNSF_6TensorESK_SK_EERKSK_lbbbEUlllE0_EEPmJS9_EEE10hipError_tPvRmT3_T4_T5_T6_T7_T9_mT8_P12ihipStream_tbDpT10_ENKUlT_T0_E_clISt17integral_constantIbLb1EES1A_EEDaS15_S16_EUlS15_E_NS1_11comp_targetILNS1_3genE4ELNS1_11target_archE910ELNS1_3gpuE8ELNS1_3repE0EEENS1_30default_config_static_selectorELNS0_4arch9wavefront6targetE1EEEvT1_.kd
    .uniform_work_group_size: 1
    .uses_dynamic_stack: false
    .vgpr_count:     0
    .vgpr_spill_count: 0
    .wavefront_size: 64
  - .agpr_count:     0
    .args:
      - .offset:         0
        .size:           136
        .value_kind:     by_value
    .group_segment_fixed_size: 0
    .kernarg_segment_align: 8
    .kernarg_segment_size: 136
    .language:       OpenCL C
    .language_version:
      - 2
      - 0
    .max_flat_workgroup_size: 128
    .name:           _ZN7rocprim17ROCPRIM_400000_NS6detail17trampoline_kernelINS0_14default_configENS1_25partition_config_selectorILNS1_17partition_subalgoE9EllbEEZZNS1_14partition_implILS5_9ELb0ES3_jPlS8_PNS0_10empty_typeENS0_5tupleIJS8_S9_EEENSB_IJS8_SA_EEENS0_18inequality_wrapperIZN2at6native12_GLOBAL__N_124unique_dim_cuda_templateIlEESt5tupleIJNSF_6TensorESK_SK_EERKSK_lbbbEUlllE0_EEPmJS9_EEE10hipError_tPvRmT3_T4_T5_T6_T7_T9_mT8_P12ihipStream_tbDpT10_ENKUlT_T0_E_clISt17integral_constantIbLb1EES1A_EEDaS15_S16_EUlS15_E_NS1_11comp_targetILNS1_3genE3ELNS1_11target_archE908ELNS1_3gpuE7ELNS1_3repE0EEENS1_30default_config_static_selectorELNS0_4arch9wavefront6targetE1EEEvT1_
    .private_segment_fixed_size: 0
    .sgpr_count:     6
    .sgpr_spill_count: 0
    .symbol:         _ZN7rocprim17ROCPRIM_400000_NS6detail17trampoline_kernelINS0_14default_configENS1_25partition_config_selectorILNS1_17partition_subalgoE9EllbEEZZNS1_14partition_implILS5_9ELb0ES3_jPlS8_PNS0_10empty_typeENS0_5tupleIJS8_S9_EEENSB_IJS8_SA_EEENS0_18inequality_wrapperIZN2at6native12_GLOBAL__N_124unique_dim_cuda_templateIlEESt5tupleIJNSF_6TensorESK_SK_EERKSK_lbbbEUlllE0_EEPmJS9_EEE10hipError_tPvRmT3_T4_T5_T6_T7_T9_mT8_P12ihipStream_tbDpT10_ENKUlT_T0_E_clISt17integral_constantIbLb1EES1A_EEDaS15_S16_EUlS15_E_NS1_11comp_targetILNS1_3genE3ELNS1_11target_archE908ELNS1_3gpuE7ELNS1_3repE0EEENS1_30default_config_static_selectorELNS0_4arch9wavefront6targetE1EEEvT1_.kd
    .uniform_work_group_size: 1
    .uses_dynamic_stack: false
    .vgpr_count:     0
    .vgpr_spill_count: 0
    .wavefront_size: 64
  - .agpr_count:     0
    .args:
      - .offset:         0
        .size:           136
        .value_kind:     by_value
    .group_segment_fixed_size: 0
    .kernarg_segment_align: 8
    .kernarg_segment_size: 136
    .language:       OpenCL C
    .language_version:
      - 2
      - 0
    .max_flat_workgroup_size: 192
    .name:           _ZN7rocprim17ROCPRIM_400000_NS6detail17trampoline_kernelINS0_14default_configENS1_25partition_config_selectorILNS1_17partition_subalgoE9EllbEEZZNS1_14partition_implILS5_9ELb0ES3_jPlS8_PNS0_10empty_typeENS0_5tupleIJS8_S9_EEENSB_IJS8_SA_EEENS0_18inequality_wrapperIZN2at6native12_GLOBAL__N_124unique_dim_cuda_templateIlEESt5tupleIJNSF_6TensorESK_SK_EERKSK_lbbbEUlllE0_EEPmJS9_EEE10hipError_tPvRmT3_T4_T5_T6_T7_T9_mT8_P12ihipStream_tbDpT10_ENKUlT_T0_E_clISt17integral_constantIbLb1EES1A_EEDaS15_S16_EUlS15_E_NS1_11comp_targetILNS1_3genE2ELNS1_11target_archE906ELNS1_3gpuE6ELNS1_3repE0EEENS1_30default_config_static_selectorELNS0_4arch9wavefront6targetE1EEEvT1_
    .private_segment_fixed_size: 0
    .sgpr_count:     6
    .sgpr_spill_count: 0
    .symbol:         _ZN7rocprim17ROCPRIM_400000_NS6detail17trampoline_kernelINS0_14default_configENS1_25partition_config_selectorILNS1_17partition_subalgoE9EllbEEZZNS1_14partition_implILS5_9ELb0ES3_jPlS8_PNS0_10empty_typeENS0_5tupleIJS8_S9_EEENSB_IJS8_SA_EEENS0_18inequality_wrapperIZN2at6native12_GLOBAL__N_124unique_dim_cuda_templateIlEESt5tupleIJNSF_6TensorESK_SK_EERKSK_lbbbEUlllE0_EEPmJS9_EEE10hipError_tPvRmT3_T4_T5_T6_T7_T9_mT8_P12ihipStream_tbDpT10_ENKUlT_T0_E_clISt17integral_constantIbLb1EES1A_EEDaS15_S16_EUlS15_E_NS1_11comp_targetILNS1_3genE2ELNS1_11target_archE906ELNS1_3gpuE6ELNS1_3repE0EEENS1_30default_config_static_selectorELNS0_4arch9wavefront6targetE1EEEvT1_.kd
    .uniform_work_group_size: 1
    .uses_dynamic_stack: false
    .vgpr_count:     0
    .vgpr_spill_count: 0
    .wavefront_size: 64
  - .agpr_count:     0
    .args:
      - .offset:         0
        .size:           136
        .value_kind:     by_value
    .group_segment_fixed_size: 0
    .kernarg_segment_align: 8
    .kernarg_segment_size: 136
    .language:       OpenCL C
    .language_version:
      - 2
      - 0
    .max_flat_workgroup_size: 384
    .name:           _ZN7rocprim17ROCPRIM_400000_NS6detail17trampoline_kernelINS0_14default_configENS1_25partition_config_selectorILNS1_17partition_subalgoE9EllbEEZZNS1_14partition_implILS5_9ELb0ES3_jPlS8_PNS0_10empty_typeENS0_5tupleIJS8_S9_EEENSB_IJS8_SA_EEENS0_18inequality_wrapperIZN2at6native12_GLOBAL__N_124unique_dim_cuda_templateIlEESt5tupleIJNSF_6TensorESK_SK_EERKSK_lbbbEUlllE0_EEPmJS9_EEE10hipError_tPvRmT3_T4_T5_T6_T7_T9_mT8_P12ihipStream_tbDpT10_ENKUlT_T0_E_clISt17integral_constantIbLb1EES1A_EEDaS15_S16_EUlS15_E_NS1_11comp_targetILNS1_3genE10ELNS1_11target_archE1200ELNS1_3gpuE4ELNS1_3repE0EEENS1_30default_config_static_selectorELNS0_4arch9wavefront6targetE1EEEvT1_
    .private_segment_fixed_size: 0
    .sgpr_count:     6
    .sgpr_spill_count: 0
    .symbol:         _ZN7rocprim17ROCPRIM_400000_NS6detail17trampoline_kernelINS0_14default_configENS1_25partition_config_selectorILNS1_17partition_subalgoE9EllbEEZZNS1_14partition_implILS5_9ELb0ES3_jPlS8_PNS0_10empty_typeENS0_5tupleIJS8_S9_EEENSB_IJS8_SA_EEENS0_18inequality_wrapperIZN2at6native12_GLOBAL__N_124unique_dim_cuda_templateIlEESt5tupleIJNSF_6TensorESK_SK_EERKSK_lbbbEUlllE0_EEPmJS9_EEE10hipError_tPvRmT3_T4_T5_T6_T7_T9_mT8_P12ihipStream_tbDpT10_ENKUlT_T0_E_clISt17integral_constantIbLb1EES1A_EEDaS15_S16_EUlS15_E_NS1_11comp_targetILNS1_3genE10ELNS1_11target_archE1200ELNS1_3gpuE4ELNS1_3repE0EEENS1_30default_config_static_selectorELNS0_4arch9wavefront6targetE1EEEvT1_.kd
    .uniform_work_group_size: 1
    .uses_dynamic_stack: false
    .vgpr_count:     0
    .vgpr_spill_count: 0
    .wavefront_size: 64
  - .agpr_count:     0
    .args:
      - .offset:         0
        .size:           136
        .value_kind:     by_value
    .group_segment_fixed_size: 0
    .kernarg_segment_align: 8
    .kernarg_segment_size: 136
    .language:       OpenCL C
    .language_version:
      - 2
      - 0
    .max_flat_workgroup_size: 512
    .name:           _ZN7rocprim17ROCPRIM_400000_NS6detail17trampoline_kernelINS0_14default_configENS1_25partition_config_selectorILNS1_17partition_subalgoE9EllbEEZZNS1_14partition_implILS5_9ELb0ES3_jPlS8_PNS0_10empty_typeENS0_5tupleIJS8_S9_EEENSB_IJS8_SA_EEENS0_18inequality_wrapperIZN2at6native12_GLOBAL__N_124unique_dim_cuda_templateIlEESt5tupleIJNSF_6TensorESK_SK_EERKSK_lbbbEUlllE0_EEPmJS9_EEE10hipError_tPvRmT3_T4_T5_T6_T7_T9_mT8_P12ihipStream_tbDpT10_ENKUlT_T0_E_clISt17integral_constantIbLb1EES1A_EEDaS15_S16_EUlS15_E_NS1_11comp_targetILNS1_3genE9ELNS1_11target_archE1100ELNS1_3gpuE3ELNS1_3repE0EEENS1_30default_config_static_selectorELNS0_4arch9wavefront6targetE1EEEvT1_
    .private_segment_fixed_size: 0
    .sgpr_count:     6
    .sgpr_spill_count: 0
    .symbol:         _ZN7rocprim17ROCPRIM_400000_NS6detail17trampoline_kernelINS0_14default_configENS1_25partition_config_selectorILNS1_17partition_subalgoE9EllbEEZZNS1_14partition_implILS5_9ELb0ES3_jPlS8_PNS0_10empty_typeENS0_5tupleIJS8_S9_EEENSB_IJS8_SA_EEENS0_18inequality_wrapperIZN2at6native12_GLOBAL__N_124unique_dim_cuda_templateIlEESt5tupleIJNSF_6TensorESK_SK_EERKSK_lbbbEUlllE0_EEPmJS9_EEE10hipError_tPvRmT3_T4_T5_T6_T7_T9_mT8_P12ihipStream_tbDpT10_ENKUlT_T0_E_clISt17integral_constantIbLb1EES1A_EEDaS15_S16_EUlS15_E_NS1_11comp_targetILNS1_3genE9ELNS1_11target_archE1100ELNS1_3gpuE3ELNS1_3repE0EEENS1_30default_config_static_selectorELNS0_4arch9wavefront6targetE1EEEvT1_.kd
    .uniform_work_group_size: 1
    .uses_dynamic_stack: false
    .vgpr_count:     0
    .vgpr_spill_count: 0
    .wavefront_size: 64
  - .agpr_count:     0
    .args:
      - .offset:         0
        .size:           136
        .value_kind:     by_value
    .group_segment_fixed_size: 0
    .kernarg_segment_align: 8
    .kernarg_segment_size: 136
    .language:       OpenCL C
    .language_version:
      - 2
      - 0
    .max_flat_workgroup_size: 512
    .name:           _ZN7rocprim17ROCPRIM_400000_NS6detail17trampoline_kernelINS0_14default_configENS1_25partition_config_selectorILNS1_17partition_subalgoE9EllbEEZZNS1_14partition_implILS5_9ELb0ES3_jPlS8_PNS0_10empty_typeENS0_5tupleIJS8_S9_EEENSB_IJS8_SA_EEENS0_18inequality_wrapperIZN2at6native12_GLOBAL__N_124unique_dim_cuda_templateIlEESt5tupleIJNSF_6TensorESK_SK_EERKSK_lbbbEUlllE0_EEPmJS9_EEE10hipError_tPvRmT3_T4_T5_T6_T7_T9_mT8_P12ihipStream_tbDpT10_ENKUlT_T0_E_clISt17integral_constantIbLb1EES1A_EEDaS15_S16_EUlS15_E_NS1_11comp_targetILNS1_3genE8ELNS1_11target_archE1030ELNS1_3gpuE2ELNS1_3repE0EEENS1_30default_config_static_selectorELNS0_4arch9wavefront6targetE1EEEvT1_
    .private_segment_fixed_size: 0
    .sgpr_count:     6
    .sgpr_spill_count: 0
    .symbol:         _ZN7rocprim17ROCPRIM_400000_NS6detail17trampoline_kernelINS0_14default_configENS1_25partition_config_selectorILNS1_17partition_subalgoE9EllbEEZZNS1_14partition_implILS5_9ELb0ES3_jPlS8_PNS0_10empty_typeENS0_5tupleIJS8_S9_EEENSB_IJS8_SA_EEENS0_18inequality_wrapperIZN2at6native12_GLOBAL__N_124unique_dim_cuda_templateIlEESt5tupleIJNSF_6TensorESK_SK_EERKSK_lbbbEUlllE0_EEPmJS9_EEE10hipError_tPvRmT3_T4_T5_T6_T7_T9_mT8_P12ihipStream_tbDpT10_ENKUlT_T0_E_clISt17integral_constantIbLb1EES1A_EEDaS15_S16_EUlS15_E_NS1_11comp_targetILNS1_3genE8ELNS1_11target_archE1030ELNS1_3gpuE2ELNS1_3repE0EEENS1_30default_config_static_selectorELNS0_4arch9wavefront6targetE1EEEvT1_.kd
    .uniform_work_group_size: 1
    .uses_dynamic_stack: false
    .vgpr_count:     0
    .vgpr_spill_count: 0
    .wavefront_size: 64
  - .agpr_count:     0
    .args:
      - .offset:         0
        .size:           120
        .value_kind:     by_value
    .group_segment_fixed_size: 0
    .kernarg_segment_align: 8
    .kernarg_segment_size: 120
    .language:       OpenCL C
    .language_version:
      - 2
      - 0
    .max_flat_workgroup_size: 128
    .name:           _ZN7rocprim17ROCPRIM_400000_NS6detail17trampoline_kernelINS0_14default_configENS1_25partition_config_selectorILNS1_17partition_subalgoE9EllbEEZZNS1_14partition_implILS5_9ELb0ES3_jPlS8_PNS0_10empty_typeENS0_5tupleIJS8_S9_EEENSB_IJS8_SA_EEENS0_18inequality_wrapperIZN2at6native12_GLOBAL__N_124unique_dim_cuda_templateIlEESt5tupleIJNSF_6TensorESK_SK_EERKSK_lbbbEUlllE0_EEPmJS9_EEE10hipError_tPvRmT3_T4_T5_T6_T7_T9_mT8_P12ihipStream_tbDpT10_ENKUlT_T0_E_clISt17integral_constantIbLb1EES19_IbLb0EEEEDaS15_S16_EUlS15_E_NS1_11comp_targetILNS1_3genE0ELNS1_11target_archE4294967295ELNS1_3gpuE0ELNS1_3repE0EEENS1_30default_config_static_selectorELNS0_4arch9wavefront6targetE1EEEvT1_
    .private_segment_fixed_size: 0
    .sgpr_count:     6
    .sgpr_spill_count: 0
    .symbol:         _ZN7rocprim17ROCPRIM_400000_NS6detail17trampoline_kernelINS0_14default_configENS1_25partition_config_selectorILNS1_17partition_subalgoE9EllbEEZZNS1_14partition_implILS5_9ELb0ES3_jPlS8_PNS0_10empty_typeENS0_5tupleIJS8_S9_EEENSB_IJS8_SA_EEENS0_18inequality_wrapperIZN2at6native12_GLOBAL__N_124unique_dim_cuda_templateIlEESt5tupleIJNSF_6TensorESK_SK_EERKSK_lbbbEUlllE0_EEPmJS9_EEE10hipError_tPvRmT3_T4_T5_T6_T7_T9_mT8_P12ihipStream_tbDpT10_ENKUlT_T0_E_clISt17integral_constantIbLb1EES19_IbLb0EEEEDaS15_S16_EUlS15_E_NS1_11comp_targetILNS1_3genE0ELNS1_11target_archE4294967295ELNS1_3gpuE0ELNS1_3repE0EEENS1_30default_config_static_selectorELNS0_4arch9wavefront6targetE1EEEvT1_.kd
    .uniform_work_group_size: 1
    .uses_dynamic_stack: false
    .vgpr_count:     0
    .vgpr_spill_count: 0
    .wavefront_size: 64
  - .agpr_count:     0
    .args:
      - .offset:         0
        .size:           120
        .value_kind:     by_value
    .group_segment_fixed_size: 28684
    .kernarg_segment_align: 8
    .kernarg_segment_size: 120
    .language:       OpenCL C
    .language_version:
      - 2
      - 0
    .max_flat_workgroup_size: 512
    .name:           _ZN7rocprim17ROCPRIM_400000_NS6detail17trampoline_kernelINS0_14default_configENS1_25partition_config_selectorILNS1_17partition_subalgoE9EllbEEZZNS1_14partition_implILS5_9ELb0ES3_jPlS8_PNS0_10empty_typeENS0_5tupleIJS8_S9_EEENSB_IJS8_SA_EEENS0_18inequality_wrapperIZN2at6native12_GLOBAL__N_124unique_dim_cuda_templateIlEESt5tupleIJNSF_6TensorESK_SK_EERKSK_lbbbEUlllE0_EEPmJS9_EEE10hipError_tPvRmT3_T4_T5_T6_T7_T9_mT8_P12ihipStream_tbDpT10_ENKUlT_T0_E_clISt17integral_constantIbLb1EES19_IbLb0EEEEDaS15_S16_EUlS15_E_NS1_11comp_targetILNS1_3genE5ELNS1_11target_archE942ELNS1_3gpuE9ELNS1_3repE0EEENS1_30default_config_static_selectorELNS0_4arch9wavefront6targetE1EEEvT1_
    .private_segment_fixed_size: 0
    .sgpr_count:     58
    .sgpr_spill_count: 0
    .symbol:         _ZN7rocprim17ROCPRIM_400000_NS6detail17trampoline_kernelINS0_14default_configENS1_25partition_config_selectorILNS1_17partition_subalgoE9EllbEEZZNS1_14partition_implILS5_9ELb0ES3_jPlS8_PNS0_10empty_typeENS0_5tupleIJS8_S9_EEENSB_IJS8_SA_EEENS0_18inequality_wrapperIZN2at6native12_GLOBAL__N_124unique_dim_cuda_templateIlEESt5tupleIJNSF_6TensorESK_SK_EERKSK_lbbbEUlllE0_EEPmJS9_EEE10hipError_tPvRmT3_T4_T5_T6_T7_T9_mT8_P12ihipStream_tbDpT10_ENKUlT_T0_E_clISt17integral_constantIbLb1EES19_IbLb0EEEEDaS15_S16_EUlS15_E_NS1_11comp_targetILNS1_3genE5ELNS1_11target_archE942ELNS1_3gpuE9ELNS1_3repE0EEENS1_30default_config_static_selectorELNS0_4arch9wavefront6targetE1EEEvT1_.kd
    .uniform_work_group_size: 1
    .uses_dynamic_stack: false
    .vgpr_count:     66
    .vgpr_spill_count: 0
    .wavefront_size: 64
  - .agpr_count:     0
    .args:
      - .offset:         0
        .size:           120
        .value_kind:     by_value
    .group_segment_fixed_size: 0
    .kernarg_segment_align: 8
    .kernarg_segment_size: 120
    .language:       OpenCL C
    .language_version:
      - 2
      - 0
    .max_flat_workgroup_size: 128
    .name:           _ZN7rocprim17ROCPRIM_400000_NS6detail17trampoline_kernelINS0_14default_configENS1_25partition_config_selectorILNS1_17partition_subalgoE9EllbEEZZNS1_14partition_implILS5_9ELb0ES3_jPlS8_PNS0_10empty_typeENS0_5tupleIJS8_S9_EEENSB_IJS8_SA_EEENS0_18inequality_wrapperIZN2at6native12_GLOBAL__N_124unique_dim_cuda_templateIlEESt5tupleIJNSF_6TensorESK_SK_EERKSK_lbbbEUlllE0_EEPmJS9_EEE10hipError_tPvRmT3_T4_T5_T6_T7_T9_mT8_P12ihipStream_tbDpT10_ENKUlT_T0_E_clISt17integral_constantIbLb1EES19_IbLb0EEEEDaS15_S16_EUlS15_E_NS1_11comp_targetILNS1_3genE4ELNS1_11target_archE910ELNS1_3gpuE8ELNS1_3repE0EEENS1_30default_config_static_selectorELNS0_4arch9wavefront6targetE1EEEvT1_
    .private_segment_fixed_size: 0
    .sgpr_count:     6
    .sgpr_spill_count: 0
    .symbol:         _ZN7rocprim17ROCPRIM_400000_NS6detail17trampoline_kernelINS0_14default_configENS1_25partition_config_selectorILNS1_17partition_subalgoE9EllbEEZZNS1_14partition_implILS5_9ELb0ES3_jPlS8_PNS0_10empty_typeENS0_5tupleIJS8_S9_EEENSB_IJS8_SA_EEENS0_18inequality_wrapperIZN2at6native12_GLOBAL__N_124unique_dim_cuda_templateIlEESt5tupleIJNSF_6TensorESK_SK_EERKSK_lbbbEUlllE0_EEPmJS9_EEE10hipError_tPvRmT3_T4_T5_T6_T7_T9_mT8_P12ihipStream_tbDpT10_ENKUlT_T0_E_clISt17integral_constantIbLb1EES19_IbLb0EEEEDaS15_S16_EUlS15_E_NS1_11comp_targetILNS1_3genE4ELNS1_11target_archE910ELNS1_3gpuE8ELNS1_3repE0EEENS1_30default_config_static_selectorELNS0_4arch9wavefront6targetE1EEEvT1_.kd
    .uniform_work_group_size: 1
    .uses_dynamic_stack: false
    .vgpr_count:     0
    .vgpr_spill_count: 0
    .wavefront_size: 64
  - .agpr_count:     0
    .args:
      - .offset:         0
        .size:           120
        .value_kind:     by_value
    .group_segment_fixed_size: 0
    .kernarg_segment_align: 8
    .kernarg_segment_size: 120
    .language:       OpenCL C
    .language_version:
      - 2
      - 0
    .max_flat_workgroup_size: 128
    .name:           _ZN7rocprim17ROCPRIM_400000_NS6detail17trampoline_kernelINS0_14default_configENS1_25partition_config_selectorILNS1_17partition_subalgoE9EllbEEZZNS1_14partition_implILS5_9ELb0ES3_jPlS8_PNS0_10empty_typeENS0_5tupleIJS8_S9_EEENSB_IJS8_SA_EEENS0_18inequality_wrapperIZN2at6native12_GLOBAL__N_124unique_dim_cuda_templateIlEESt5tupleIJNSF_6TensorESK_SK_EERKSK_lbbbEUlllE0_EEPmJS9_EEE10hipError_tPvRmT3_T4_T5_T6_T7_T9_mT8_P12ihipStream_tbDpT10_ENKUlT_T0_E_clISt17integral_constantIbLb1EES19_IbLb0EEEEDaS15_S16_EUlS15_E_NS1_11comp_targetILNS1_3genE3ELNS1_11target_archE908ELNS1_3gpuE7ELNS1_3repE0EEENS1_30default_config_static_selectorELNS0_4arch9wavefront6targetE1EEEvT1_
    .private_segment_fixed_size: 0
    .sgpr_count:     6
    .sgpr_spill_count: 0
    .symbol:         _ZN7rocprim17ROCPRIM_400000_NS6detail17trampoline_kernelINS0_14default_configENS1_25partition_config_selectorILNS1_17partition_subalgoE9EllbEEZZNS1_14partition_implILS5_9ELb0ES3_jPlS8_PNS0_10empty_typeENS0_5tupleIJS8_S9_EEENSB_IJS8_SA_EEENS0_18inequality_wrapperIZN2at6native12_GLOBAL__N_124unique_dim_cuda_templateIlEESt5tupleIJNSF_6TensorESK_SK_EERKSK_lbbbEUlllE0_EEPmJS9_EEE10hipError_tPvRmT3_T4_T5_T6_T7_T9_mT8_P12ihipStream_tbDpT10_ENKUlT_T0_E_clISt17integral_constantIbLb1EES19_IbLb0EEEEDaS15_S16_EUlS15_E_NS1_11comp_targetILNS1_3genE3ELNS1_11target_archE908ELNS1_3gpuE7ELNS1_3repE0EEENS1_30default_config_static_selectorELNS0_4arch9wavefront6targetE1EEEvT1_.kd
    .uniform_work_group_size: 1
    .uses_dynamic_stack: false
    .vgpr_count:     0
    .vgpr_spill_count: 0
    .wavefront_size: 64
  - .agpr_count:     0
    .args:
      - .offset:         0
        .size:           120
        .value_kind:     by_value
    .group_segment_fixed_size: 0
    .kernarg_segment_align: 8
    .kernarg_segment_size: 120
    .language:       OpenCL C
    .language_version:
      - 2
      - 0
    .max_flat_workgroup_size: 192
    .name:           _ZN7rocprim17ROCPRIM_400000_NS6detail17trampoline_kernelINS0_14default_configENS1_25partition_config_selectorILNS1_17partition_subalgoE9EllbEEZZNS1_14partition_implILS5_9ELb0ES3_jPlS8_PNS0_10empty_typeENS0_5tupleIJS8_S9_EEENSB_IJS8_SA_EEENS0_18inequality_wrapperIZN2at6native12_GLOBAL__N_124unique_dim_cuda_templateIlEESt5tupleIJNSF_6TensorESK_SK_EERKSK_lbbbEUlllE0_EEPmJS9_EEE10hipError_tPvRmT3_T4_T5_T6_T7_T9_mT8_P12ihipStream_tbDpT10_ENKUlT_T0_E_clISt17integral_constantIbLb1EES19_IbLb0EEEEDaS15_S16_EUlS15_E_NS1_11comp_targetILNS1_3genE2ELNS1_11target_archE906ELNS1_3gpuE6ELNS1_3repE0EEENS1_30default_config_static_selectorELNS0_4arch9wavefront6targetE1EEEvT1_
    .private_segment_fixed_size: 0
    .sgpr_count:     6
    .sgpr_spill_count: 0
    .symbol:         _ZN7rocprim17ROCPRIM_400000_NS6detail17trampoline_kernelINS0_14default_configENS1_25partition_config_selectorILNS1_17partition_subalgoE9EllbEEZZNS1_14partition_implILS5_9ELb0ES3_jPlS8_PNS0_10empty_typeENS0_5tupleIJS8_S9_EEENSB_IJS8_SA_EEENS0_18inequality_wrapperIZN2at6native12_GLOBAL__N_124unique_dim_cuda_templateIlEESt5tupleIJNSF_6TensorESK_SK_EERKSK_lbbbEUlllE0_EEPmJS9_EEE10hipError_tPvRmT3_T4_T5_T6_T7_T9_mT8_P12ihipStream_tbDpT10_ENKUlT_T0_E_clISt17integral_constantIbLb1EES19_IbLb0EEEEDaS15_S16_EUlS15_E_NS1_11comp_targetILNS1_3genE2ELNS1_11target_archE906ELNS1_3gpuE6ELNS1_3repE0EEENS1_30default_config_static_selectorELNS0_4arch9wavefront6targetE1EEEvT1_.kd
    .uniform_work_group_size: 1
    .uses_dynamic_stack: false
    .vgpr_count:     0
    .vgpr_spill_count: 0
    .wavefront_size: 64
  - .agpr_count:     0
    .args:
      - .offset:         0
        .size:           120
        .value_kind:     by_value
    .group_segment_fixed_size: 0
    .kernarg_segment_align: 8
    .kernarg_segment_size: 120
    .language:       OpenCL C
    .language_version:
      - 2
      - 0
    .max_flat_workgroup_size: 384
    .name:           _ZN7rocprim17ROCPRIM_400000_NS6detail17trampoline_kernelINS0_14default_configENS1_25partition_config_selectorILNS1_17partition_subalgoE9EllbEEZZNS1_14partition_implILS5_9ELb0ES3_jPlS8_PNS0_10empty_typeENS0_5tupleIJS8_S9_EEENSB_IJS8_SA_EEENS0_18inequality_wrapperIZN2at6native12_GLOBAL__N_124unique_dim_cuda_templateIlEESt5tupleIJNSF_6TensorESK_SK_EERKSK_lbbbEUlllE0_EEPmJS9_EEE10hipError_tPvRmT3_T4_T5_T6_T7_T9_mT8_P12ihipStream_tbDpT10_ENKUlT_T0_E_clISt17integral_constantIbLb1EES19_IbLb0EEEEDaS15_S16_EUlS15_E_NS1_11comp_targetILNS1_3genE10ELNS1_11target_archE1200ELNS1_3gpuE4ELNS1_3repE0EEENS1_30default_config_static_selectorELNS0_4arch9wavefront6targetE1EEEvT1_
    .private_segment_fixed_size: 0
    .sgpr_count:     6
    .sgpr_spill_count: 0
    .symbol:         _ZN7rocprim17ROCPRIM_400000_NS6detail17trampoline_kernelINS0_14default_configENS1_25partition_config_selectorILNS1_17partition_subalgoE9EllbEEZZNS1_14partition_implILS5_9ELb0ES3_jPlS8_PNS0_10empty_typeENS0_5tupleIJS8_S9_EEENSB_IJS8_SA_EEENS0_18inequality_wrapperIZN2at6native12_GLOBAL__N_124unique_dim_cuda_templateIlEESt5tupleIJNSF_6TensorESK_SK_EERKSK_lbbbEUlllE0_EEPmJS9_EEE10hipError_tPvRmT3_T4_T5_T6_T7_T9_mT8_P12ihipStream_tbDpT10_ENKUlT_T0_E_clISt17integral_constantIbLb1EES19_IbLb0EEEEDaS15_S16_EUlS15_E_NS1_11comp_targetILNS1_3genE10ELNS1_11target_archE1200ELNS1_3gpuE4ELNS1_3repE0EEENS1_30default_config_static_selectorELNS0_4arch9wavefront6targetE1EEEvT1_.kd
    .uniform_work_group_size: 1
    .uses_dynamic_stack: false
    .vgpr_count:     0
    .vgpr_spill_count: 0
    .wavefront_size: 64
  - .agpr_count:     0
    .args:
      - .offset:         0
        .size:           120
        .value_kind:     by_value
    .group_segment_fixed_size: 0
    .kernarg_segment_align: 8
    .kernarg_segment_size: 120
    .language:       OpenCL C
    .language_version:
      - 2
      - 0
    .max_flat_workgroup_size: 512
    .name:           _ZN7rocprim17ROCPRIM_400000_NS6detail17trampoline_kernelINS0_14default_configENS1_25partition_config_selectorILNS1_17partition_subalgoE9EllbEEZZNS1_14partition_implILS5_9ELb0ES3_jPlS8_PNS0_10empty_typeENS0_5tupleIJS8_S9_EEENSB_IJS8_SA_EEENS0_18inequality_wrapperIZN2at6native12_GLOBAL__N_124unique_dim_cuda_templateIlEESt5tupleIJNSF_6TensorESK_SK_EERKSK_lbbbEUlllE0_EEPmJS9_EEE10hipError_tPvRmT3_T4_T5_T6_T7_T9_mT8_P12ihipStream_tbDpT10_ENKUlT_T0_E_clISt17integral_constantIbLb1EES19_IbLb0EEEEDaS15_S16_EUlS15_E_NS1_11comp_targetILNS1_3genE9ELNS1_11target_archE1100ELNS1_3gpuE3ELNS1_3repE0EEENS1_30default_config_static_selectorELNS0_4arch9wavefront6targetE1EEEvT1_
    .private_segment_fixed_size: 0
    .sgpr_count:     6
    .sgpr_spill_count: 0
    .symbol:         _ZN7rocprim17ROCPRIM_400000_NS6detail17trampoline_kernelINS0_14default_configENS1_25partition_config_selectorILNS1_17partition_subalgoE9EllbEEZZNS1_14partition_implILS5_9ELb0ES3_jPlS8_PNS0_10empty_typeENS0_5tupleIJS8_S9_EEENSB_IJS8_SA_EEENS0_18inequality_wrapperIZN2at6native12_GLOBAL__N_124unique_dim_cuda_templateIlEESt5tupleIJNSF_6TensorESK_SK_EERKSK_lbbbEUlllE0_EEPmJS9_EEE10hipError_tPvRmT3_T4_T5_T6_T7_T9_mT8_P12ihipStream_tbDpT10_ENKUlT_T0_E_clISt17integral_constantIbLb1EES19_IbLb0EEEEDaS15_S16_EUlS15_E_NS1_11comp_targetILNS1_3genE9ELNS1_11target_archE1100ELNS1_3gpuE3ELNS1_3repE0EEENS1_30default_config_static_selectorELNS0_4arch9wavefront6targetE1EEEvT1_.kd
    .uniform_work_group_size: 1
    .uses_dynamic_stack: false
    .vgpr_count:     0
    .vgpr_spill_count: 0
    .wavefront_size: 64
  - .agpr_count:     0
    .args:
      - .offset:         0
        .size:           120
        .value_kind:     by_value
    .group_segment_fixed_size: 0
    .kernarg_segment_align: 8
    .kernarg_segment_size: 120
    .language:       OpenCL C
    .language_version:
      - 2
      - 0
    .max_flat_workgroup_size: 512
    .name:           _ZN7rocprim17ROCPRIM_400000_NS6detail17trampoline_kernelINS0_14default_configENS1_25partition_config_selectorILNS1_17partition_subalgoE9EllbEEZZNS1_14partition_implILS5_9ELb0ES3_jPlS8_PNS0_10empty_typeENS0_5tupleIJS8_S9_EEENSB_IJS8_SA_EEENS0_18inequality_wrapperIZN2at6native12_GLOBAL__N_124unique_dim_cuda_templateIlEESt5tupleIJNSF_6TensorESK_SK_EERKSK_lbbbEUlllE0_EEPmJS9_EEE10hipError_tPvRmT3_T4_T5_T6_T7_T9_mT8_P12ihipStream_tbDpT10_ENKUlT_T0_E_clISt17integral_constantIbLb1EES19_IbLb0EEEEDaS15_S16_EUlS15_E_NS1_11comp_targetILNS1_3genE8ELNS1_11target_archE1030ELNS1_3gpuE2ELNS1_3repE0EEENS1_30default_config_static_selectorELNS0_4arch9wavefront6targetE1EEEvT1_
    .private_segment_fixed_size: 0
    .sgpr_count:     6
    .sgpr_spill_count: 0
    .symbol:         _ZN7rocprim17ROCPRIM_400000_NS6detail17trampoline_kernelINS0_14default_configENS1_25partition_config_selectorILNS1_17partition_subalgoE9EllbEEZZNS1_14partition_implILS5_9ELb0ES3_jPlS8_PNS0_10empty_typeENS0_5tupleIJS8_S9_EEENSB_IJS8_SA_EEENS0_18inequality_wrapperIZN2at6native12_GLOBAL__N_124unique_dim_cuda_templateIlEESt5tupleIJNSF_6TensorESK_SK_EERKSK_lbbbEUlllE0_EEPmJS9_EEE10hipError_tPvRmT3_T4_T5_T6_T7_T9_mT8_P12ihipStream_tbDpT10_ENKUlT_T0_E_clISt17integral_constantIbLb1EES19_IbLb0EEEEDaS15_S16_EUlS15_E_NS1_11comp_targetILNS1_3genE8ELNS1_11target_archE1030ELNS1_3gpuE2ELNS1_3repE0EEENS1_30default_config_static_selectorELNS0_4arch9wavefront6targetE1EEEvT1_.kd
    .uniform_work_group_size: 1
    .uses_dynamic_stack: false
    .vgpr_count:     0
    .vgpr_spill_count: 0
    .wavefront_size: 64
  - .agpr_count:     0
    .args:
      - .offset:         0
        .size:           136
        .value_kind:     by_value
    .group_segment_fixed_size: 0
    .kernarg_segment_align: 8
    .kernarg_segment_size: 136
    .language:       OpenCL C
    .language_version:
      - 2
      - 0
    .max_flat_workgroup_size: 128
    .name:           _ZN7rocprim17ROCPRIM_400000_NS6detail17trampoline_kernelINS0_14default_configENS1_25partition_config_selectorILNS1_17partition_subalgoE9EllbEEZZNS1_14partition_implILS5_9ELb0ES3_jPlS8_PNS0_10empty_typeENS0_5tupleIJS8_S9_EEENSB_IJS8_SA_EEENS0_18inequality_wrapperIZN2at6native12_GLOBAL__N_124unique_dim_cuda_templateIlEESt5tupleIJNSF_6TensorESK_SK_EERKSK_lbbbEUlllE0_EEPmJS9_EEE10hipError_tPvRmT3_T4_T5_T6_T7_T9_mT8_P12ihipStream_tbDpT10_ENKUlT_T0_E_clISt17integral_constantIbLb0EES19_IbLb1EEEEDaS15_S16_EUlS15_E_NS1_11comp_targetILNS1_3genE0ELNS1_11target_archE4294967295ELNS1_3gpuE0ELNS1_3repE0EEENS1_30default_config_static_selectorELNS0_4arch9wavefront6targetE1EEEvT1_
    .private_segment_fixed_size: 0
    .sgpr_count:     6
    .sgpr_spill_count: 0
    .symbol:         _ZN7rocprim17ROCPRIM_400000_NS6detail17trampoline_kernelINS0_14default_configENS1_25partition_config_selectorILNS1_17partition_subalgoE9EllbEEZZNS1_14partition_implILS5_9ELb0ES3_jPlS8_PNS0_10empty_typeENS0_5tupleIJS8_S9_EEENSB_IJS8_SA_EEENS0_18inequality_wrapperIZN2at6native12_GLOBAL__N_124unique_dim_cuda_templateIlEESt5tupleIJNSF_6TensorESK_SK_EERKSK_lbbbEUlllE0_EEPmJS9_EEE10hipError_tPvRmT3_T4_T5_T6_T7_T9_mT8_P12ihipStream_tbDpT10_ENKUlT_T0_E_clISt17integral_constantIbLb0EES19_IbLb1EEEEDaS15_S16_EUlS15_E_NS1_11comp_targetILNS1_3genE0ELNS1_11target_archE4294967295ELNS1_3gpuE0ELNS1_3repE0EEENS1_30default_config_static_selectorELNS0_4arch9wavefront6targetE1EEEvT1_.kd
    .uniform_work_group_size: 1
    .uses_dynamic_stack: false
    .vgpr_count:     0
    .vgpr_spill_count: 0
    .wavefront_size: 64
  - .agpr_count:     0
    .args:
      - .offset:         0
        .size:           136
        .value_kind:     by_value
    .group_segment_fixed_size: 28684
    .kernarg_segment_align: 8
    .kernarg_segment_size: 136
    .language:       OpenCL C
    .language_version:
      - 2
      - 0
    .max_flat_workgroup_size: 512
    .name:           _ZN7rocprim17ROCPRIM_400000_NS6detail17trampoline_kernelINS0_14default_configENS1_25partition_config_selectorILNS1_17partition_subalgoE9EllbEEZZNS1_14partition_implILS5_9ELb0ES3_jPlS8_PNS0_10empty_typeENS0_5tupleIJS8_S9_EEENSB_IJS8_SA_EEENS0_18inequality_wrapperIZN2at6native12_GLOBAL__N_124unique_dim_cuda_templateIlEESt5tupleIJNSF_6TensorESK_SK_EERKSK_lbbbEUlllE0_EEPmJS9_EEE10hipError_tPvRmT3_T4_T5_T6_T7_T9_mT8_P12ihipStream_tbDpT10_ENKUlT_T0_E_clISt17integral_constantIbLb0EES19_IbLb1EEEEDaS15_S16_EUlS15_E_NS1_11comp_targetILNS1_3genE5ELNS1_11target_archE942ELNS1_3gpuE9ELNS1_3repE0EEENS1_30default_config_static_selectorELNS0_4arch9wavefront6targetE1EEEvT1_
    .private_segment_fixed_size: 0
    .sgpr_count:     64
    .sgpr_spill_count: 0
    .symbol:         _ZN7rocprim17ROCPRIM_400000_NS6detail17trampoline_kernelINS0_14default_configENS1_25partition_config_selectorILNS1_17partition_subalgoE9EllbEEZZNS1_14partition_implILS5_9ELb0ES3_jPlS8_PNS0_10empty_typeENS0_5tupleIJS8_S9_EEENSB_IJS8_SA_EEENS0_18inequality_wrapperIZN2at6native12_GLOBAL__N_124unique_dim_cuda_templateIlEESt5tupleIJNSF_6TensorESK_SK_EERKSK_lbbbEUlllE0_EEPmJS9_EEE10hipError_tPvRmT3_T4_T5_T6_T7_T9_mT8_P12ihipStream_tbDpT10_ENKUlT_T0_E_clISt17integral_constantIbLb0EES19_IbLb1EEEEDaS15_S16_EUlS15_E_NS1_11comp_targetILNS1_3genE5ELNS1_11target_archE942ELNS1_3gpuE9ELNS1_3repE0EEENS1_30default_config_static_selectorELNS0_4arch9wavefront6targetE1EEEvT1_.kd
    .uniform_work_group_size: 1
    .uses_dynamic_stack: false
    .vgpr_count:     66
    .vgpr_spill_count: 0
    .wavefront_size: 64
  - .agpr_count:     0
    .args:
      - .offset:         0
        .size:           136
        .value_kind:     by_value
    .group_segment_fixed_size: 0
    .kernarg_segment_align: 8
    .kernarg_segment_size: 136
    .language:       OpenCL C
    .language_version:
      - 2
      - 0
    .max_flat_workgroup_size: 128
    .name:           _ZN7rocprim17ROCPRIM_400000_NS6detail17trampoline_kernelINS0_14default_configENS1_25partition_config_selectorILNS1_17partition_subalgoE9EllbEEZZNS1_14partition_implILS5_9ELb0ES3_jPlS8_PNS0_10empty_typeENS0_5tupleIJS8_S9_EEENSB_IJS8_SA_EEENS0_18inequality_wrapperIZN2at6native12_GLOBAL__N_124unique_dim_cuda_templateIlEESt5tupleIJNSF_6TensorESK_SK_EERKSK_lbbbEUlllE0_EEPmJS9_EEE10hipError_tPvRmT3_T4_T5_T6_T7_T9_mT8_P12ihipStream_tbDpT10_ENKUlT_T0_E_clISt17integral_constantIbLb0EES19_IbLb1EEEEDaS15_S16_EUlS15_E_NS1_11comp_targetILNS1_3genE4ELNS1_11target_archE910ELNS1_3gpuE8ELNS1_3repE0EEENS1_30default_config_static_selectorELNS0_4arch9wavefront6targetE1EEEvT1_
    .private_segment_fixed_size: 0
    .sgpr_count:     6
    .sgpr_spill_count: 0
    .symbol:         _ZN7rocprim17ROCPRIM_400000_NS6detail17trampoline_kernelINS0_14default_configENS1_25partition_config_selectorILNS1_17partition_subalgoE9EllbEEZZNS1_14partition_implILS5_9ELb0ES3_jPlS8_PNS0_10empty_typeENS0_5tupleIJS8_S9_EEENSB_IJS8_SA_EEENS0_18inequality_wrapperIZN2at6native12_GLOBAL__N_124unique_dim_cuda_templateIlEESt5tupleIJNSF_6TensorESK_SK_EERKSK_lbbbEUlllE0_EEPmJS9_EEE10hipError_tPvRmT3_T4_T5_T6_T7_T9_mT8_P12ihipStream_tbDpT10_ENKUlT_T0_E_clISt17integral_constantIbLb0EES19_IbLb1EEEEDaS15_S16_EUlS15_E_NS1_11comp_targetILNS1_3genE4ELNS1_11target_archE910ELNS1_3gpuE8ELNS1_3repE0EEENS1_30default_config_static_selectorELNS0_4arch9wavefront6targetE1EEEvT1_.kd
    .uniform_work_group_size: 1
    .uses_dynamic_stack: false
    .vgpr_count:     0
    .vgpr_spill_count: 0
    .wavefront_size: 64
  - .agpr_count:     0
    .args:
      - .offset:         0
        .size:           136
        .value_kind:     by_value
    .group_segment_fixed_size: 0
    .kernarg_segment_align: 8
    .kernarg_segment_size: 136
    .language:       OpenCL C
    .language_version:
      - 2
      - 0
    .max_flat_workgroup_size: 128
    .name:           _ZN7rocprim17ROCPRIM_400000_NS6detail17trampoline_kernelINS0_14default_configENS1_25partition_config_selectorILNS1_17partition_subalgoE9EllbEEZZNS1_14partition_implILS5_9ELb0ES3_jPlS8_PNS0_10empty_typeENS0_5tupleIJS8_S9_EEENSB_IJS8_SA_EEENS0_18inequality_wrapperIZN2at6native12_GLOBAL__N_124unique_dim_cuda_templateIlEESt5tupleIJNSF_6TensorESK_SK_EERKSK_lbbbEUlllE0_EEPmJS9_EEE10hipError_tPvRmT3_T4_T5_T6_T7_T9_mT8_P12ihipStream_tbDpT10_ENKUlT_T0_E_clISt17integral_constantIbLb0EES19_IbLb1EEEEDaS15_S16_EUlS15_E_NS1_11comp_targetILNS1_3genE3ELNS1_11target_archE908ELNS1_3gpuE7ELNS1_3repE0EEENS1_30default_config_static_selectorELNS0_4arch9wavefront6targetE1EEEvT1_
    .private_segment_fixed_size: 0
    .sgpr_count:     6
    .sgpr_spill_count: 0
    .symbol:         _ZN7rocprim17ROCPRIM_400000_NS6detail17trampoline_kernelINS0_14default_configENS1_25partition_config_selectorILNS1_17partition_subalgoE9EllbEEZZNS1_14partition_implILS5_9ELb0ES3_jPlS8_PNS0_10empty_typeENS0_5tupleIJS8_S9_EEENSB_IJS8_SA_EEENS0_18inequality_wrapperIZN2at6native12_GLOBAL__N_124unique_dim_cuda_templateIlEESt5tupleIJNSF_6TensorESK_SK_EERKSK_lbbbEUlllE0_EEPmJS9_EEE10hipError_tPvRmT3_T4_T5_T6_T7_T9_mT8_P12ihipStream_tbDpT10_ENKUlT_T0_E_clISt17integral_constantIbLb0EES19_IbLb1EEEEDaS15_S16_EUlS15_E_NS1_11comp_targetILNS1_3genE3ELNS1_11target_archE908ELNS1_3gpuE7ELNS1_3repE0EEENS1_30default_config_static_selectorELNS0_4arch9wavefront6targetE1EEEvT1_.kd
    .uniform_work_group_size: 1
    .uses_dynamic_stack: false
    .vgpr_count:     0
    .vgpr_spill_count: 0
    .wavefront_size: 64
  - .agpr_count:     0
    .args:
      - .offset:         0
        .size:           136
        .value_kind:     by_value
    .group_segment_fixed_size: 0
    .kernarg_segment_align: 8
    .kernarg_segment_size: 136
    .language:       OpenCL C
    .language_version:
      - 2
      - 0
    .max_flat_workgroup_size: 192
    .name:           _ZN7rocprim17ROCPRIM_400000_NS6detail17trampoline_kernelINS0_14default_configENS1_25partition_config_selectorILNS1_17partition_subalgoE9EllbEEZZNS1_14partition_implILS5_9ELb0ES3_jPlS8_PNS0_10empty_typeENS0_5tupleIJS8_S9_EEENSB_IJS8_SA_EEENS0_18inequality_wrapperIZN2at6native12_GLOBAL__N_124unique_dim_cuda_templateIlEESt5tupleIJNSF_6TensorESK_SK_EERKSK_lbbbEUlllE0_EEPmJS9_EEE10hipError_tPvRmT3_T4_T5_T6_T7_T9_mT8_P12ihipStream_tbDpT10_ENKUlT_T0_E_clISt17integral_constantIbLb0EES19_IbLb1EEEEDaS15_S16_EUlS15_E_NS1_11comp_targetILNS1_3genE2ELNS1_11target_archE906ELNS1_3gpuE6ELNS1_3repE0EEENS1_30default_config_static_selectorELNS0_4arch9wavefront6targetE1EEEvT1_
    .private_segment_fixed_size: 0
    .sgpr_count:     6
    .sgpr_spill_count: 0
    .symbol:         _ZN7rocprim17ROCPRIM_400000_NS6detail17trampoline_kernelINS0_14default_configENS1_25partition_config_selectorILNS1_17partition_subalgoE9EllbEEZZNS1_14partition_implILS5_9ELb0ES3_jPlS8_PNS0_10empty_typeENS0_5tupleIJS8_S9_EEENSB_IJS8_SA_EEENS0_18inequality_wrapperIZN2at6native12_GLOBAL__N_124unique_dim_cuda_templateIlEESt5tupleIJNSF_6TensorESK_SK_EERKSK_lbbbEUlllE0_EEPmJS9_EEE10hipError_tPvRmT3_T4_T5_T6_T7_T9_mT8_P12ihipStream_tbDpT10_ENKUlT_T0_E_clISt17integral_constantIbLb0EES19_IbLb1EEEEDaS15_S16_EUlS15_E_NS1_11comp_targetILNS1_3genE2ELNS1_11target_archE906ELNS1_3gpuE6ELNS1_3repE0EEENS1_30default_config_static_selectorELNS0_4arch9wavefront6targetE1EEEvT1_.kd
    .uniform_work_group_size: 1
    .uses_dynamic_stack: false
    .vgpr_count:     0
    .vgpr_spill_count: 0
    .wavefront_size: 64
  - .agpr_count:     0
    .args:
      - .offset:         0
        .size:           136
        .value_kind:     by_value
    .group_segment_fixed_size: 0
    .kernarg_segment_align: 8
    .kernarg_segment_size: 136
    .language:       OpenCL C
    .language_version:
      - 2
      - 0
    .max_flat_workgroup_size: 384
    .name:           _ZN7rocprim17ROCPRIM_400000_NS6detail17trampoline_kernelINS0_14default_configENS1_25partition_config_selectorILNS1_17partition_subalgoE9EllbEEZZNS1_14partition_implILS5_9ELb0ES3_jPlS8_PNS0_10empty_typeENS0_5tupleIJS8_S9_EEENSB_IJS8_SA_EEENS0_18inequality_wrapperIZN2at6native12_GLOBAL__N_124unique_dim_cuda_templateIlEESt5tupleIJNSF_6TensorESK_SK_EERKSK_lbbbEUlllE0_EEPmJS9_EEE10hipError_tPvRmT3_T4_T5_T6_T7_T9_mT8_P12ihipStream_tbDpT10_ENKUlT_T0_E_clISt17integral_constantIbLb0EES19_IbLb1EEEEDaS15_S16_EUlS15_E_NS1_11comp_targetILNS1_3genE10ELNS1_11target_archE1200ELNS1_3gpuE4ELNS1_3repE0EEENS1_30default_config_static_selectorELNS0_4arch9wavefront6targetE1EEEvT1_
    .private_segment_fixed_size: 0
    .sgpr_count:     6
    .sgpr_spill_count: 0
    .symbol:         _ZN7rocprim17ROCPRIM_400000_NS6detail17trampoline_kernelINS0_14default_configENS1_25partition_config_selectorILNS1_17partition_subalgoE9EllbEEZZNS1_14partition_implILS5_9ELb0ES3_jPlS8_PNS0_10empty_typeENS0_5tupleIJS8_S9_EEENSB_IJS8_SA_EEENS0_18inequality_wrapperIZN2at6native12_GLOBAL__N_124unique_dim_cuda_templateIlEESt5tupleIJNSF_6TensorESK_SK_EERKSK_lbbbEUlllE0_EEPmJS9_EEE10hipError_tPvRmT3_T4_T5_T6_T7_T9_mT8_P12ihipStream_tbDpT10_ENKUlT_T0_E_clISt17integral_constantIbLb0EES19_IbLb1EEEEDaS15_S16_EUlS15_E_NS1_11comp_targetILNS1_3genE10ELNS1_11target_archE1200ELNS1_3gpuE4ELNS1_3repE0EEENS1_30default_config_static_selectorELNS0_4arch9wavefront6targetE1EEEvT1_.kd
    .uniform_work_group_size: 1
    .uses_dynamic_stack: false
    .vgpr_count:     0
    .vgpr_spill_count: 0
    .wavefront_size: 64
  - .agpr_count:     0
    .args:
      - .offset:         0
        .size:           136
        .value_kind:     by_value
    .group_segment_fixed_size: 0
    .kernarg_segment_align: 8
    .kernarg_segment_size: 136
    .language:       OpenCL C
    .language_version:
      - 2
      - 0
    .max_flat_workgroup_size: 512
    .name:           _ZN7rocprim17ROCPRIM_400000_NS6detail17trampoline_kernelINS0_14default_configENS1_25partition_config_selectorILNS1_17partition_subalgoE9EllbEEZZNS1_14partition_implILS5_9ELb0ES3_jPlS8_PNS0_10empty_typeENS0_5tupleIJS8_S9_EEENSB_IJS8_SA_EEENS0_18inequality_wrapperIZN2at6native12_GLOBAL__N_124unique_dim_cuda_templateIlEESt5tupleIJNSF_6TensorESK_SK_EERKSK_lbbbEUlllE0_EEPmJS9_EEE10hipError_tPvRmT3_T4_T5_T6_T7_T9_mT8_P12ihipStream_tbDpT10_ENKUlT_T0_E_clISt17integral_constantIbLb0EES19_IbLb1EEEEDaS15_S16_EUlS15_E_NS1_11comp_targetILNS1_3genE9ELNS1_11target_archE1100ELNS1_3gpuE3ELNS1_3repE0EEENS1_30default_config_static_selectorELNS0_4arch9wavefront6targetE1EEEvT1_
    .private_segment_fixed_size: 0
    .sgpr_count:     6
    .sgpr_spill_count: 0
    .symbol:         _ZN7rocprim17ROCPRIM_400000_NS6detail17trampoline_kernelINS0_14default_configENS1_25partition_config_selectorILNS1_17partition_subalgoE9EllbEEZZNS1_14partition_implILS5_9ELb0ES3_jPlS8_PNS0_10empty_typeENS0_5tupleIJS8_S9_EEENSB_IJS8_SA_EEENS0_18inequality_wrapperIZN2at6native12_GLOBAL__N_124unique_dim_cuda_templateIlEESt5tupleIJNSF_6TensorESK_SK_EERKSK_lbbbEUlllE0_EEPmJS9_EEE10hipError_tPvRmT3_T4_T5_T6_T7_T9_mT8_P12ihipStream_tbDpT10_ENKUlT_T0_E_clISt17integral_constantIbLb0EES19_IbLb1EEEEDaS15_S16_EUlS15_E_NS1_11comp_targetILNS1_3genE9ELNS1_11target_archE1100ELNS1_3gpuE3ELNS1_3repE0EEENS1_30default_config_static_selectorELNS0_4arch9wavefront6targetE1EEEvT1_.kd
    .uniform_work_group_size: 1
    .uses_dynamic_stack: false
    .vgpr_count:     0
    .vgpr_spill_count: 0
    .wavefront_size: 64
  - .agpr_count:     0
    .args:
      - .offset:         0
        .size:           136
        .value_kind:     by_value
    .group_segment_fixed_size: 0
    .kernarg_segment_align: 8
    .kernarg_segment_size: 136
    .language:       OpenCL C
    .language_version:
      - 2
      - 0
    .max_flat_workgroup_size: 512
    .name:           _ZN7rocprim17ROCPRIM_400000_NS6detail17trampoline_kernelINS0_14default_configENS1_25partition_config_selectorILNS1_17partition_subalgoE9EllbEEZZNS1_14partition_implILS5_9ELb0ES3_jPlS8_PNS0_10empty_typeENS0_5tupleIJS8_S9_EEENSB_IJS8_SA_EEENS0_18inequality_wrapperIZN2at6native12_GLOBAL__N_124unique_dim_cuda_templateIlEESt5tupleIJNSF_6TensorESK_SK_EERKSK_lbbbEUlllE0_EEPmJS9_EEE10hipError_tPvRmT3_T4_T5_T6_T7_T9_mT8_P12ihipStream_tbDpT10_ENKUlT_T0_E_clISt17integral_constantIbLb0EES19_IbLb1EEEEDaS15_S16_EUlS15_E_NS1_11comp_targetILNS1_3genE8ELNS1_11target_archE1030ELNS1_3gpuE2ELNS1_3repE0EEENS1_30default_config_static_selectorELNS0_4arch9wavefront6targetE1EEEvT1_
    .private_segment_fixed_size: 0
    .sgpr_count:     6
    .sgpr_spill_count: 0
    .symbol:         _ZN7rocprim17ROCPRIM_400000_NS6detail17trampoline_kernelINS0_14default_configENS1_25partition_config_selectorILNS1_17partition_subalgoE9EllbEEZZNS1_14partition_implILS5_9ELb0ES3_jPlS8_PNS0_10empty_typeENS0_5tupleIJS8_S9_EEENSB_IJS8_SA_EEENS0_18inequality_wrapperIZN2at6native12_GLOBAL__N_124unique_dim_cuda_templateIlEESt5tupleIJNSF_6TensorESK_SK_EERKSK_lbbbEUlllE0_EEPmJS9_EEE10hipError_tPvRmT3_T4_T5_T6_T7_T9_mT8_P12ihipStream_tbDpT10_ENKUlT_T0_E_clISt17integral_constantIbLb0EES19_IbLb1EEEEDaS15_S16_EUlS15_E_NS1_11comp_targetILNS1_3genE8ELNS1_11target_archE1030ELNS1_3gpuE2ELNS1_3repE0EEENS1_30default_config_static_selectorELNS0_4arch9wavefront6targetE1EEEvT1_.kd
    .uniform_work_group_size: 1
    .uses_dynamic_stack: false
    .vgpr_count:     0
    .vgpr_spill_count: 0
    .wavefront_size: 64
  - .agpr_count:     0
    .args:
      - .offset:         0
        .size:           72
        .value_kind:     by_value
    .group_segment_fixed_size: 0
    .kernarg_segment_align: 8
    .kernarg_segment_size: 72
    .language:       OpenCL C
    .language_version:
      - 2
      - 0
    .max_flat_workgroup_size: 256
    .name:           _ZN7rocprim17ROCPRIM_400000_NS6detail17trampoline_kernelINS0_14default_configENS1_37merge_sort_block_sort_config_selectorIlNS0_10empty_typeEEEZNS1_21merge_sort_block_sortIS3_PlS8_PS5_S9_ZN2at6native12_GLOBAL__N_124unique_dim_cuda_templateIsEESt5tupleIJNSA_6TensorESF_SF_EERKSF_lbbbEUlllE_EE10hipError_tT0_T1_T2_T3_mRjT4_P12ihipStream_tbNS1_7vsmem_tEEUlT_E_NS1_11comp_targetILNS1_3genE0ELNS1_11target_archE4294967295ELNS1_3gpuE0ELNS1_3repE0EEENS1_30default_config_static_selectorELNS0_4arch9wavefront6targetE1EEEvSM_
    .private_segment_fixed_size: 0
    .sgpr_count:     6
    .sgpr_spill_count: 0
    .symbol:         _ZN7rocprim17ROCPRIM_400000_NS6detail17trampoline_kernelINS0_14default_configENS1_37merge_sort_block_sort_config_selectorIlNS0_10empty_typeEEEZNS1_21merge_sort_block_sortIS3_PlS8_PS5_S9_ZN2at6native12_GLOBAL__N_124unique_dim_cuda_templateIsEESt5tupleIJNSA_6TensorESF_SF_EERKSF_lbbbEUlllE_EE10hipError_tT0_T1_T2_T3_mRjT4_P12ihipStream_tbNS1_7vsmem_tEEUlT_E_NS1_11comp_targetILNS1_3genE0ELNS1_11target_archE4294967295ELNS1_3gpuE0ELNS1_3repE0EEENS1_30default_config_static_selectorELNS0_4arch9wavefront6targetE1EEEvSM_.kd
    .uniform_work_group_size: 1
    .uses_dynamic_stack: false
    .vgpr_count:     0
    .vgpr_spill_count: 0
    .wavefront_size: 64
  - .agpr_count:     0
    .args:
      - .offset:         0
        .size:           72
        .value_kind:     by_value
      - .offset:         72
        .size:           4
        .value_kind:     hidden_block_count_x
      - .offset:         76
        .size:           4
        .value_kind:     hidden_block_count_y
      - .offset:         80
        .size:           4
        .value_kind:     hidden_block_count_z
      - .offset:         84
        .size:           2
        .value_kind:     hidden_group_size_x
      - .offset:         86
        .size:           2
        .value_kind:     hidden_group_size_y
      - .offset:         88
        .size:           2
        .value_kind:     hidden_group_size_z
      - .offset:         90
        .size:           2
        .value_kind:     hidden_remainder_x
      - .offset:         92
        .size:           2
        .value_kind:     hidden_remainder_y
      - .offset:         94
        .size:           2
        .value_kind:     hidden_remainder_z
      - .offset:         112
        .size:           8
        .value_kind:     hidden_global_offset_x
      - .offset:         120
        .size:           8
        .value_kind:     hidden_global_offset_y
      - .offset:         128
        .size:           8
        .value_kind:     hidden_global_offset_z
      - .offset:         136
        .size:           2
        .value_kind:     hidden_grid_dims
      - .offset:         152
        .size:           8
        .value_kind:     hidden_hostcall_buffer
      - .offset:         160
        .size:           8
        .value_kind:     hidden_multigrid_sync_arg
      - .offset:         168
        .size:           8
        .value_kind:     hidden_heap_v1
      - .offset:         176
        .size:           8
        .value_kind:     hidden_default_queue
      - .offset:         184
        .size:           8
        .value_kind:     hidden_completion_action
      - .offset:         272
        .size:           8
        .value_kind:     hidden_queue_ptr
    .group_segment_fixed_size: 16896
    .kernarg_segment_align: 8
    .kernarg_segment_size: 328
    .language:       OpenCL C
    .language_version:
      - 2
      - 0
    .max_flat_workgroup_size: 256
    .name:           _ZN7rocprim17ROCPRIM_400000_NS6detail17trampoline_kernelINS0_14default_configENS1_37merge_sort_block_sort_config_selectorIlNS0_10empty_typeEEEZNS1_21merge_sort_block_sortIS3_PlS8_PS5_S9_ZN2at6native12_GLOBAL__N_124unique_dim_cuda_templateIsEESt5tupleIJNSA_6TensorESF_SF_EERKSF_lbbbEUlllE_EE10hipError_tT0_T1_T2_T3_mRjT4_P12ihipStream_tbNS1_7vsmem_tEEUlT_E_NS1_11comp_targetILNS1_3genE5ELNS1_11target_archE942ELNS1_3gpuE9ELNS1_3repE0EEENS1_30default_config_static_selectorELNS0_4arch9wavefront6targetE1EEEvSM_
    .private_segment_fixed_size: 8
    .sgpr_count:     75
    .sgpr_spill_count: 0
    .symbol:         _ZN7rocprim17ROCPRIM_400000_NS6detail17trampoline_kernelINS0_14default_configENS1_37merge_sort_block_sort_config_selectorIlNS0_10empty_typeEEEZNS1_21merge_sort_block_sortIS3_PlS8_PS5_S9_ZN2at6native12_GLOBAL__N_124unique_dim_cuda_templateIsEESt5tupleIJNSA_6TensorESF_SF_EERKSF_lbbbEUlllE_EE10hipError_tT0_T1_T2_T3_mRjT4_P12ihipStream_tbNS1_7vsmem_tEEUlT_E_NS1_11comp_targetILNS1_3genE5ELNS1_11target_archE942ELNS1_3gpuE9ELNS1_3repE0EEENS1_30default_config_static_selectorELNS0_4arch9wavefront6targetE1EEEvSM_.kd
    .uniform_work_group_size: 1
    .uses_dynamic_stack: false
    .vgpr_count:     129
    .vgpr_spill_count: 0
    .wavefront_size: 64
  - .agpr_count:     0
    .args:
      - .offset:         0
        .size:           72
        .value_kind:     by_value
    .group_segment_fixed_size: 0
    .kernarg_segment_align: 8
    .kernarg_segment_size: 72
    .language:       OpenCL C
    .language_version:
      - 2
      - 0
    .max_flat_workgroup_size: 256
    .name:           _ZN7rocprim17ROCPRIM_400000_NS6detail17trampoline_kernelINS0_14default_configENS1_37merge_sort_block_sort_config_selectorIlNS0_10empty_typeEEEZNS1_21merge_sort_block_sortIS3_PlS8_PS5_S9_ZN2at6native12_GLOBAL__N_124unique_dim_cuda_templateIsEESt5tupleIJNSA_6TensorESF_SF_EERKSF_lbbbEUlllE_EE10hipError_tT0_T1_T2_T3_mRjT4_P12ihipStream_tbNS1_7vsmem_tEEUlT_E_NS1_11comp_targetILNS1_3genE4ELNS1_11target_archE910ELNS1_3gpuE8ELNS1_3repE0EEENS1_30default_config_static_selectorELNS0_4arch9wavefront6targetE1EEEvSM_
    .private_segment_fixed_size: 0
    .sgpr_count:     6
    .sgpr_spill_count: 0
    .symbol:         _ZN7rocprim17ROCPRIM_400000_NS6detail17trampoline_kernelINS0_14default_configENS1_37merge_sort_block_sort_config_selectorIlNS0_10empty_typeEEEZNS1_21merge_sort_block_sortIS3_PlS8_PS5_S9_ZN2at6native12_GLOBAL__N_124unique_dim_cuda_templateIsEESt5tupleIJNSA_6TensorESF_SF_EERKSF_lbbbEUlllE_EE10hipError_tT0_T1_T2_T3_mRjT4_P12ihipStream_tbNS1_7vsmem_tEEUlT_E_NS1_11comp_targetILNS1_3genE4ELNS1_11target_archE910ELNS1_3gpuE8ELNS1_3repE0EEENS1_30default_config_static_selectorELNS0_4arch9wavefront6targetE1EEEvSM_.kd
    .uniform_work_group_size: 1
    .uses_dynamic_stack: false
    .vgpr_count:     0
    .vgpr_spill_count: 0
    .wavefront_size: 64
  - .agpr_count:     0
    .args:
      - .offset:         0
        .size:           72
        .value_kind:     by_value
    .group_segment_fixed_size: 0
    .kernarg_segment_align: 8
    .kernarg_segment_size: 72
    .language:       OpenCL C
    .language_version:
      - 2
      - 0
    .max_flat_workgroup_size: 256
    .name:           _ZN7rocprim17ROCPRIM_400000_NS6detail17trampoline_kernelINS0_14default_configENS1_37merge_sort_block_sort_config_selectorIlNS0_10empty_typeEEEZNS1_21merge_sort_block_sortIS3_PlS8_PS5_S9_ZN2at6native12_GLOBAL__N_124unique_dim_cuda_templateIsEESt5tupleIJNSA_6TensorESF_SF_EERKSF_lbbbEUlllE_EE10hipError_tT0_T1_T2_T3_mRjT4_P12ihipStream_tbNS1_7vsmem_tEEUlT_E_NS1_11comp_targetILNS1_3genE3ELNS1_11target_archE908ELNS1_3gpuE7ELNS1_3repE0EEENS1_30default_config_static_selectorELNS0_4arch9wavefront6targetE1EEEvSM_
    .private_segment_fixed_size: 0
    .sgpr_count:     6
    .sgpr_spill_count: 0
    .symbol:         _ZN7rocprim17ROCPRIM_400000_NS6detail17trampoline_kernelINS0_14default_configENS1_37merge_sort_block_sort_config_selectorIlNS0_10empty_typeEEEZNS1_21merge_sort_block_sortIS3_PlS8_PS5_S9_ZN2at6native12_GLOBAL__N_124unique_dim_cuda_templateIsEESt5tupleIJNSA_6TensorESF_SF_EERKSF_lbbbEUlllE_EE10hipError_tT0_T1_T2_T3_mRjT4_P12ihipStream_tbNS1_7vsmem_tEEUlT_E_NS1_11comp_targetILNS1_3genE3ELNS1_11target_archE908ELNS1_3gpuE7ELNS1_3repE0EEENS1_30default_config_static_selectorELNS0_4arch9wavefront6targetE1EEEvSM_.kd
    .uniform_work_group_size: 1
    .uses_dynamic_stack: false
    .vgpr_count:     0
    .vgpr_spill_count: 0
    .wavefront_size: 64
  - .agpr_count:     0
    .args:
      - .offset:         0
        .size:           72
        .value_kind:     by_value
    .group_segment_fixed_size: 0
    .kernarg_segment_align: 8
    .kernarg_segment_size: 72
    .language:       OpenCL C
    .language_version:
      - 2
      - 0
    .max_flat_workgroup_size: 256
    .name:           _ZN7rocprim17ROCPRIM_400000_NS6detail17trampoline_kernelINS0_14default_configENS1_37merge_sort_block_sort_config_selectorIlNS0_10empty_typeEEEZNS1_21merge_sort_block_sortIS3_PlS8_PS5_S9_ZN2at6native12_GLOBAL__N_124unique_dim_cuda_templateIsEESt5tupleIJNSA_6TensorESF_SF_EERKSF_lbbbEUlllE_EE10hipError_tT0_T1_T2_T3_mRjT4_P12ihipStream_tbNS1_7vsmem_tEEUlT_E_NS1_11comp_targetILNS1_3genE2ELNS1_11target_archE906ELNS1_3gpuE6ELNS1_3repE0EEENS1_30default_config_static_selectorELNS0_4arch9wavefront6targetE1EEEvSM_
    .private_segment_fixed_size: 0
    .sgpr_count:     6
    .sgpr_spill_count: 0
    .symbol:         _ZN7rocprim17ROCPRIM_400000_NS6detail17trampoline_kernelINS0_14default_configENS1_37merge_sort_block_sort_config_selectorIlNS0_10empty_typeEEEZNS1_21merge_sort_block_sortIS3_PlS8_PS5_S9_ZN2at6native12_GLOBAL__N_124unique_dim_cuda_templateIsEESt5tupleIJNSA_6TensorESF_SF_EERKSF_lbbbEUlllE_EE10hipError_tT0_T1_T2_T3_mRjT4_P12ihipStream_tbNS1_7vsmem_tEEUlT_E_NS1_11comp_targetILNS1_3genE2ELNS1_11target_archE906ELNS1_3gpuE6ELNS1_3repE0EEENS1_30default_config_static_selectorELNS0_4arch9wavefront6targetE1EEEvSM_.kd
    .uniform_work_group_size: 1
    .uses_dynamic_stack: false
    .vgpr_count:     0
    .vgpr_spill_count: 0
    .wavefront_size: 64
  - .agpr_count:     0
    .args:
      - .offset:         0
        .size:           72
        .value_kind:     by_value
    .group_segment_fixed_size: 0
    .kernarg_segment_align: 8
    .kernarg_segment_size: 72
    .language:       OpenCL C
    .language_version:
      - 2
      - 0
    .max_flat_workgroup_size: 256
    .name:           _ZN7rocprim17ROCPRIM_400000_NS6detail17trampoline_kernelINS0_14default_configENS1_37merge_sort_block_sort_config_selectorIlNS0_10empty_typeEEEZNS1_21merge_sort_block_sortIS3_PlS8_PS5_S9_ZN2at6native12_GLOBAL__N_124unique_dim_cuda_templateIsEESt5tupleIJNSA_6TensorESF_SF_EERKSF_lbbbEUlllE_EE10hipError_tT0_T1_T2_T3_mRjT4_P12ihipStream_tbNS1_7vsmem_tEEUlT_E_NS1_11comp_targetILNS1_3genE10ELNS1_11target_archE1201ELNS1_3gpuE5ELNS1_3repE0EEENS1_30default_config_static_selectorELNS0_4arch9wavefront6targetE1EEEvSM_
    .private_segment_fixed_size: 0
    .sgpr_count:     6
    .sgpr_spill_count: 0
    .symbol:         _ZN7rocprim17ROCPRIM_400000_NS6detail17trampoline_kernelINS0_14default_configENS1_37merge_sort_block_sort_config_selectorIlNS0_10empty_typeEEEZNS1_21merge_sort_block_sortIS3_PlS8_PS5_S9_ZN2at6native12_GLOBAL__N_124unique_dim_cuda_templateIsEESt5tupleIJNSA_6TensorESF_SF_EERKSF_lbbbEUlllE_EE10hipError_tT0_T1_T2_T3_mRjT4_P12ihipStream_tbNS1_7vsmem_tEEUlT_E_NS1_11comp_targetILNS1_3genE10ELNS1_11target_archE1201ELNS1_3gpuE5ELNS1_3repE0EEENS1_30default_config_static_selectorELNS0_4arch9wavefront6targetE1EEEvSM_.kd
    .uniform_work_group_size: 1
    .uses_dynamic_stack: false
    .vgpr_count:     0
    .vgpr_spill_count: 0
    .wavefront_size: 64
  - .agpr_count:     0
    .args:
      - .offset:         0
        .size:           72
        .value_kind:     by_value
    .group_segment_fixed_size: 0
    .kernarg_segment_align: 8
    .kernarg_segment_size: 72
    .language:       OpenCL C
    .language_version:
      - 2
      - 0
    .max_flat_workgroup_size: 512
    .name:           _ZN7rocprim17ROCPRIM_400000_NS6detail17trampoline_kernelINS0_14default_configENS1_37merge_sort_block_sort_config_selectorIlNS0_10empty_typeEEEZNS1_21merge_sort_block_sortIS3_PlS8_PS5_S9_ZN2at6native12_GLOBAL__N_124unique_dim_cuda_templateIsEESt5tupleIJNSA_6TensorESF_SF_EERKSF_lbbbEUlllE_EE10hipError_tT0_T1_T2_T3_mRjT4_P12ihipStream_tbNS1_7vsmem_tEEUlT_E_NS1_11comp_targetILNS1_3genE10ELNS1_11target_archE1200ELNS1_3gpuE4ELNS1_3repE0EEENS1_30default_config_static_selectorELNS0_4arch9wavefront6targetE1EEEvSM_
    .private_segment_fixed_size: 0
    .sgpr_count:     6
    .sgpr_spill_count: 0
    .symbol:         _ZN7rocprim17ROCPRIM_400000_NS6detail17trampoline_kernelINS0_14default_configENS1_37merge_sort_block_sort_config_selectorIlNS0_10empty_typeEEEZNS1_21merge_sort_block_sortIS3_PlS8_PS5_S9_ZN2at6native12_GLOBAL__N_124unique_dim_cuda_templateIsEESt5tupleIJNSA_6TensorESF_SF_EERKSF_lbbbEUlllE_EE10hipError_tT0_T1_T2_T3_mRjT4_P12ihipStream_tbNS1_7vsmem_tEEUlT_E_NS1_11comp_targetILNS1_3genE10ELNS1_11target_archE1200ELNS1_3gpuE4ELNS1_3repE0EEENS1_30default_config_static_selectorELNS0_4arch9wavefront6targetE1EEEvSM_.kd
    .uniform_work_group_size: 1
    .uses_dynamic_stack: false
    .vgpr_count:     0
    .vgpr_spill_count: 0
    .wavefront_size: 64
  - .agpr_count:     0
    .args:
      - .offset:         0
        .size:           72
        .value_kind:     by_value
    .group_segment_fixed_size: 0
    .kernarg_segment_align: 8
    .kernarg_segment_size: 72
    .language:       OpenCL C
    .language_version:
      - 2
      - 0
    .max_flat_workgroup_size: 256
    .name:           _ZN7rocprim17ROCPRIM_400000_NS6detail17trampoline_kernelINS0_14default_configENS1_37merge_sort_block_sort_config_selectorIlNS0_10empty_typeEEEZNS1_21merge_sort_block_sortIS3_PlS8_PS5_S9_ZN2at6native12_GLOBAL__N_124unique_dim_cuda_templateIsEESt5tupleIJNSA_6TensorESF_SF_EERKSF_lbbbEUlllE_EE10hipError_tT0_T1_T2_T3_mRjT4_P12ihipStream_tbNS1_7vsmem_tEEUlT_E_NS1_11comp_targetILNS1_3genE9ELNS1_11target_archE1100ELNS1_3gpuE3ELNS1_3repE0EEENS1_30default_config_static_selectorELNS0_4arch9wavefront6targetE1EEEvSM_
    .private_segment_fixed_size: 0
    .sgpr_count:     6
    .sgpr_spill_count: 0
    .symbol:         _ZN7rocprim17ROCPRIM_400000_NS6detail17trampoline_kernelINS0_14default_configENS1_37merge_sort_block_sort_config_selectorIlNS0_10empty_typeEEEZNS1_21merge_sort_block_sortIS3_PlS8_PS5_S9_ZN2at6native12_GLOBAL__N_124unique_dim_cuda_templateIsEESt5tupleIJNSA_6TensorESF_SF_EERKSF_lbbbEUlllE_EE10hipError_tT0_T1_T2_T3_mRjT4_P12ihipStream_tbNS1_7vsmem_tEEUlT_E_NS1_11comp_targetILNS1_3genE9ELNS1_11target_archE1100ELNS1_3gpuE3ELNS1_3repE0EEENS1_30default_config_static_selectorELNS0_4arch9wavefront6targetE1EEEvSM_.kd
    .uniform_work_group_size: 1
    .uses_dynamic_stack: false
    .vgpr_count:     0
    .vgpr_spill_count: 0
    .wavefront_size: 64
  - .agpr_count:     0
    .args:
      - .offset:         0
        .size:           72
        .value_kind:     by_value
    .group_segment_fixed_size: 0
    .kernarg_segment_align: 8
    .kernarg_segment_size: 72
    .language:       OpenCL C
    .language_version:
      - 2
      - 0
    .max_flat_workgroup_size: 256
    .name:           _ZN7rocprim17ROCPRIM_400000_NS6detail17trampoline_kernelINS0_14default_configENS1_37merge_sort_block_sort_config_selectorIlNS0_10empty_typeEEEZNS1_21merge_sort_block_sortIS3_PlS8_PS5_S9_ZN2at6native12_GLOBAL__N_124unique_dim_cuda_templateIsEESt5tupleIJNSA_6TensorESF_SF_EERKSF_lbbbEUlllE_EE10hipError_tT0_T1_T2_T3_mRjT4_P12ihipStream_tbNS1_7vsmem_tEEUlT_E_NS1_11comp_targetILNS1_3genE8ELNS1_11target_archE1030ELNS1_3gpuE2ELNS1_3repE0EEENS1_30default_config_static_selectorELNS0_4arch9wavefront6targetE1EEEvSM_
    .private_segment_fixed_size: 0
    .sgpr_count:     6
    .sgpr_spill_count: 0
    .symbol:         _ZN7rocprim17ROCPRIM_400000_NS6detail17trampoline_kernelINS0_14default_configENS1_37merge_sort_block_sort_config_selectorIlNS0_10empty_typeEEEZNS1_21merge_sort_block_sortIS3_PlS8_PS5_S9_ZN2at6native12_GLOBAL__N_124unique_dim_cuda_templateIsEESt5tupleIJNSA_6TensorESF_SF_EERKSF_lbbbEUlllE_EE10hipError_tT0_T1_T2_T3_mRjT4_P12ihipStream_tbNS1_7vsmem_tEEUlT_E_NS1_11comp_targetILNS1_3genE8ELNS1_11target_archE1030ELNS1_3gpuE2ELNS1_3repE0EEENS1_30default_config_static_selectorELNS0_4arch9wavefront6targetE1EEEvSM_.kd
    .uniform_work_group_size: 1
    .uses_dynamic_stack: false
    .vgpr_count:     0
    .vgpr_spill_count: 0
    .wavefront_size: 64
  - .agpr_count:     0
    .args:
      - .offset:         0
        .size:           56
        .value_kind:     by_value
    .group_segment_fixed_size: 0
    .kernarg_segment_align: 8
    .kernarg_segment_size: 56
    .language:       OpenCL C
    .language_version:
      - 2
      - 0
    .max_flat_workgroup_size: 128
    .name:           _ZN7rocprim17ROCPRIM_400000_NS6detail17trampoline_kernelINS0_14default_configENS1_38merge_sort_block_merge_config_selectorIlNS0_10empty_typeEEEZZNS1_27merge_sort_block_merge_implIS3_PlPS5_mZN2at6native12_GLOBAL__N_124unique_dim_cuda_templateIsEESt5tupleIJNSA_6TensorESF_SF_EERKSF_lbbbEUlllE_EE10hipError_tT0_T1_T2_jT3_P12ihipStream_tbPNSt15iterator_traitsISL_E10value_typeEPNSR_ISM_E10value_typeEPSN_NS1_7vsmem_tEENKUlT_SL_SM_SN_E_clIS8_S8_S9_S9_EESK_S10_SL_SM_SN_EUlS10_E_NS1_11comp_targetILNS1_3genE0ELNS1_11target_archE4294967295ELNS1_3gpuE0ELNS1_3repE0EEENS1_48merge_mergepath_partition_config_static_selectorELNS0_4arch9wavefront6targetE1EEEvSM_
    .private_segment_fixed_size: 0
    .sgpr_count:     6
    .sgpr_spill_count: 0
    .symbol:         _ZN7rocprim17ROCPRIM_400000_NS6detail17trampoline_kernelINS0_14default_configENS1_38merge_sort_block_merge_config_selectorIlNS0_10empty_typeEEEZZNS1_27merge_sort_block_merge_implIS3_PlPS5_mZN2at6native12_GLOBAL__N_124unique_dim_cuda_templateIsEESt5tupleIJNSA_6TensorESF_SF_EERKSF_lbbbEUlllE_EE10hipError_tT0_T1_T2_jT3_P12ihipStream_tbPNSt15iterator_traitsISL_E10value_typeEPNSR_ISM_E10value_typeEPSN_NS1_7vsmem_tEENKUlT_SL_SM_SN_E_clIS8_S8_S9_S9_EESK_S10_SL_SM_SN_EUlS10_E_NS1_11comp_targetILNS1_3genE0ELNS1_11target_archE4294967295ELNS1_3gpuE0ELNS1_3repE0EEENS1_48merge_mergepath_partition_config_static_selectorELNS0_4arch9wavefront6targetE1EEEvSM_.kd
    .uniform_work_group_size: 1
    .uses_dynamic_stack: false
    .vgpr_count:     0
    .vgpr_spill_count: 0
    .wavefront_size: 64
  - .agpr_count:     0
    .args:
      - .offset:         0
        .size:           56
        .value_kind:     by_value
    .group_segment_fixed_size: 0
    .kernarg_segment_align: 8
    .kernarg_segment_size: 56
    .language:       OpenCL C
    .language_version:
      - 2
      - 0
    .max_flat_workgroup_size: 128
    .name:           _ZN7rocprim17ROCPRIM_400000_NS6detail17trampoline_kernelINS0_14default_configENS1_38merge_sort_block_merge_config_selectorIlNS0_10empty_typeEEEZZNS1_27merge_sort_block_merge_implIS3_PlPS5_mZN2at6native12_GLOBAL__N_124unique_dim_cuda_templateIsEESt5tupleIJNSA_6TensorESF_SF_EERKSF_lbbbEUlllE_EE10hipError_tT0_T1_T2_jT3_P12ihipStream_tbPNSt15iterator_traitsISL_E10value_typeEPNSR_ISM_E10value_typeEPSN_NS1_7vsmem_tEENKUlT_SL_SM_SN_E_clIS8_S8_S9_S9_EESK_S10_SL_SM_SN_EUlS10_E_NS1_11comp_targetILNS1_3genE10ELNS1_11target_archE1201ELNS1_3gpuE5ELNS1_3repE0EEENS1_48merge_mergepath_partition_config_static_selectorELNS0_4arch9wavefront6targetE1EEEvSM_
    .private_segment_fixed_size: 0
    .sgpr_count:     6
    .sgpr_spill_count: 0
    .symbol:         _ZN7rocprim17ROCPRIM_400000_NS6detail17trampoline_kernelINS0_14default_configENS1_38merge_sort_block_merge_config_selectorIlNS0_10empty_typeEEEZZNS1_27merge_sort_block_merge_implIS3_PlPS5_mZN2at6native12_GLOBAL__N_124unique_dim_cuda_templateIsEESt5tupleIJNSA_6TensorESF_SF_EERKSF_lbbbEUlllE_EE10hipError_tT0_T1_T2_jT3_P12ihipStream_tbPNSt15iterator_traitsISL_E10value_typeEPNSR_ISM_E10value_typeEPSN_NS1_7vsmem_tEENKUlT_SL_SM_SN_E_clIS8_S8_S9_S9_EESK_S10_SL_SM_SN_EUlS10_E_NS1_11comp_targetILNS1_3genE10ELNS1_11target_archE1201ELNS1_3gpuE5ELNS1_3repE0EEENS1_48merge_mergepath_partition_config_static_selectorELNS0_4arch9wavefront6targetE1EEEvSM_.kd
    .uniform_work_group_size: 1
    .uses_dynamic_stack: false
    .vgpr_count:     0
    .vgpr_spill_count: 0
    .wavefront_size: 64
  - .agpr_count:     0
    .args:
      - .offset:         0
        .size:           56
        .value_kind:     by_value
    .group_segment_fixed_size: 0
    .kernarg_segment_align: 8
    .kernarg_segment_size: 56
    .language:       OpenCL C
    .language_version:
      - 2
      - 0
    .max_flat_workgroup_size: 128
    .name:           _ZN7rocprim17ROCPRIM_400000_NS6detail17trampoline_kernelINS0_14default_configENS1_38merge_sort_block_merge_config_selectorIlNS0_10empty_typeEEEZZNS1_27merge_sort_block_merge_implIS3_PlPS5_mZN2at6native12_GLOBAL__N_124unique_dim_cuda_templateIsEESt5tupleIJNSA_6TensorESF_SF_EERKSF_lbbbEUlllE_EE10hipError_tT0_T1_T2_jT3_P12ihipStream_tbPNSt15iterator_traitsISL_E10value_typeEPNSR_ISM_E10value_typeEPSN_NS1_7vsmem_tEENKUlT_SL_SM_SN_E_clIS8_S8_S9_S9_EESK_S10_SL_SM_SN_EUlS10_E_NS1_11comp_targetILNS1_3genE5ELNS1_11target_archE942ELNS1_3gpuE9ELNS1_3repE0EEENS1_48merge_mergepath_partition_config_static_selectorELNS0_4arch9wavefront6targetE1EEEvSM_
    .private_segment_fixed_size: 0
    .sgpr_count:     42
    .sgpr_spill_count: 0
    .symbol:         _ZN7rocprim17ROCPRIM_400000_NS6detail17trampoline_kernelINS0_14default_configENS1_38merge_sort_block_merge_config_selectorIlNS0_10empty_typeEEEZZNS1_27merge_sort_block_merge_implIS3_PlPS5_mZN2at6native12_GLOBAL__N_124unique_dim_cuda_templateIsEESt5tupleIJNSA_6TensorESF_SF_EERKSF_lbbbEUlllE_EE10hipError_tT0_T1_T2_jT3_P12ihipStream_tbPNSt15iterator_traitsISL_E10value_typeEPNSR_ISM_E10value_typeEPSN_NS1_7vsmem_tEENKUlT_SL_SM_SN_E_clIS8_S8_S9_S9_EESK_S10_SL_SM_SN_EUlS10_E_NS1_11comp_targetILNS1_3genE5ELNS1_11target_archE942ELNS1_3gpuE9ELNS1_3repE0EEENS1_48merge_mergepath_partition_config_static_selectorELNS0_4arch9wavefront6targetE1EEEvSM_.kd
    .uniform_work_group_size: 1
    .uses_dynamic_stack: false
    .vgpr_count:     23
    .vgpr_spill_count: 0
    .wavefront_size: 64
  - .agpr_count:     0
    .args:
      - .offset:         0
        .size:           56
        .value_kind:     by_value
    .group_segment_fixed_size: 0
    .kernarg_segment_align: 8
    .kernarg_segment_size: 56
    .language:       OpenCL C
    .language_version:
      - 2
      - 0
    .max_flat_workgroup_size: 128
    .name:           _ZN7rocprim17ROCPRIM_400000_NS6detail17trampoline_kernelINS0_14default_configENS1_38merge_sort_block_merge_config_selectorIlNS0_10empty_typeEEEZZNS1_27merge_sort_block_merge_implIS3_PlPS5_mZN2at6native12_GLOBAL__N_124unique_dim_cuda_templateIsEESt5tupleIJNSA_6TensorESF_SF_EERKSF_lbbbEUlllE_EE10hipError_tT0_T1_T2_jT3_P12ihipStream_tbPNSt15iterator_traitsISL_E10value_typeEPNSR_ISM_E10value_typeEPSN_NS1_7vsmem_tEENKUlT_SL_SM_SN_E_clIS8_S8_S9_S9_EESK_S10_SL_SM_SN_EUlS10_E_NS1_11comp_targetILNS1_3genE4ELNS1_11target_archE910ELNS1_3gpuE8ELNS1_3repE0EEENS1_48merge_mergepath_partition_config_static_selectorELNS0_4arch9wavefront6targetE1EEEvSM_
    .private_segment_fixed_size: 0
    .sgpr_count:     6
    .sgpr_spill_count: 0
    .symbol:         _ZN7rocprim17ROCPRIM_400000_NS6detail17trampoline_kernelINS0_14default_configENS1_38merge_sort_block_merge_config_selectorIlNS0_10empty_typeEEEZZNS1_27merge_sort_block_merge_implIS3_PlPS5_mZN2at6native12_GLOBAL__N_124unique_dim_cuda_templateIsEESt5tupleIJNSA_6TensorESF_SF_EERKSF_lbbbEUlllE_EE10hipError_tT0_T1_T2_jT3_P12ihipStream_tbPNSt15iterator_traitsISL_E10value_typeEPNSR_ISM_E10value_typeEPSN_NS1_7vsmem_tEENKUlT_SL_SM_SN_E_clIS8_S8_S9_S9_EESK_S10_SL_SM_SN_EUlS10_E_NS1_11comp_targetILNS1_3genE4ELNS1_11target_archE910ELNS1_3gpuE8ELNS1_3repE0EEENS1_48merge_mergepath_partition_config_static_selectorELNS0_4arch9wavefront6targetE1EEEvSM_.kd
    .uniform_work_group_size: 1
    .uses_dynamic_stack: false
    .vgpr_count:     0
    .vgpr_spill_count: 0
    .wavefront_size: 64
  - .agpr_count:     0
    .args:
      - .offset:         0
        .size:           56
        .value_kind:     by_value
    .group_segment_fixed_size: 0
    .kernarg_segment_align: 8
    .kernarg_segment_size: 56
    .language:       OpenCL C
    .language_version:
      - 2
      - 0
    .max_flat_workgroup_size: 128
    .name:           _ZN7rocprim17ROCPRIM_400000_NS6detail17trampoline_kernelINS0_14default_configENS1_38merge_sort_block_merge_config_selectorIlNS0_10empty_typeEEEZZNS1_27merge_sort_block_merge_implIS3_PlPS5_mZN2at6native12_GLOBAL__N_124unique_dim_cuda_templateIsEESt5tupleIJNSA_6TensorESF_SF_EERKSF_lbbbEUlllE_EE10hipError_tT0_T1_T2_jT3_P12ihipStream_tbPNSt15iterator_traitsISL_E10value_typeEPNSR_ISM_E10value_typeEPSN_NS1_7vsmem_tEENKUlT_SL_SM_SN_E_clIS8_S8_S9_S9_EESK_S10_SL_SM_SN_EUlS10_E_NS1_11comp_targetILNS1_3genE3ELNS1_11target_archE908ELNS1_3gpuE7ELNS1_3repE0EEENS1_48merge_mergepath_partition_config_static_selectorELNS0_4arch9wavefront6targetE1EEEvSM_
    .private_segment_fixed_size: 0
    .sgpr_count:     6
    .sgpr_spill_count: 0
    .symbol:         _ZN7rocprim17ROCPRIM_400000_NS6detail17trampoline_kernelINS0_14default_configENS1_38merge_sort_block_merge_config_selectorIlNS0_10empty_typeEEEZZNS1_27merge_sort_block_merge_implIS3_PlPS5_mZN2at6native12_GLOBAL__N_124unique_dim_cuda_templateIsEESt5tupleIJNSA_6TensorESF_SF_EERKSF_lbbbEUlllE_EE10hipError_tT0_T1_T2_jT3_P12ihipStream_tbPNSt15iterator_traitsISL_E10value_typeEPNSR_ISM_E10value_typeEPSN_NS1_7vsmem_tEENKUlT_SL_SM_SN_E_clIS8_S8_S9_S9_EESK_S10_SL_SM_SN_EUlS10_E_NS1_11comp_targetILNS1_3genE3ELNS1_11target_archE908ELNS1_3gpuE7ELNS1_3repE0EEENS1_48merge_mergepath_partition_config_static_selectorELNS0_4arch9wavefront6targetE1EEEvSM_.kd
    .uniform_work_group_size: 1
    .uses_dynamic_stack: false
    .vgpr_count:     0
    .vgpr_spill_count: 0
    .wavefront_size: 64
  - .agpr_count:     0
    .args:
      - .offset:         0
        .size:           56
        .value_kind:     by_value
    .group_segment_fixed_size: 0
    .kernarg_segment_align: 8
    .kernarg_segment_size: 56
    .language:       OpenCL C
    .language_version:
      - 2
      - 0
    .max_flat_workgroup_size: 128
    .name:           _ZN7rocprim17ROCPRIM_400000_NS6detail17trampoline_kernelINS0_14default_configENS1_38merge_sort_block_merge_config_selectorIlNS0_10empty_typeEEEZZNS1_27merge_sort_block_merge_implIS3_PlPS5_mZN2at6native12_GLOBAL__N_124unique_dim_cuda_templateIsEESt5tupleIJNSA_6TensorESF_SF_EERKSF_lbbbEUlllE_EE10hipError_tT0_T1_T2_jT3_P12ihipStream_tbPNSt15iterator_traitsISL_E10value_typeEPNSR_ISM_E10value_typeEPSN_NS1_7vsmem_tEENKUlT_SL_SM_SN_E_clIS8_S8_S9_S9_EESK_S10_SL_SM_SN_EUlS10_E_NS1_11comp_targetILNS1_3genE2ELNS1_11target_archE906ELNS1_3gpuE6ELNS1_3repE0EEENS1_48merge_mergepath_partition_config_static_selectorELNS0_4arch9wavefront6targetE1EEEvSM_
    .private_segment_fixed_size: 0
    .sgpr_count:     6
    .sgpr_spill_count: 0
    .symbol:         _ZN7rocprim17ROCPRIM_400000_NS6detail17trampoline_kernelINS0_14default_configENS1_38merge_sort_block_merge_config_selectorIlNS0_10empty_typeEEEZZNS1_27merge_sort_block_merge_implIS3_PlPS5_mZN2at6native12_GLOBAL__N_124unique_dim_cuda_templateIsEESt5tupleIJNSA_6TensorESF_SF_EERKSF_lbbbEUlllE_EE10hipError_tT0_T1_T2_jT3_P12ihipStream_tbPNSt15iterator_traitsISL_E10value_typeEPNSR_ISM_E10value_typeEPSN_NS1_7vsmem_tEENKUlT_SL_SM_SN_E_clIS8_S8_S9_S9_EESK_S10_SL_SM_SN_EUlS10_E_NS1_11comp_targetILNS1_3genE2ELNS1_11target_archE906ELNS1_3gpuE6ELNS1_3repE0EEENS1_48merge_mergepath_partition_config_static_selectorELNS0_4arch9wavefront6targetE1EEEvSM_.kd
    .uniform_work_group_size: 1
    .uses_dynamic_stack: false
    .vgpr_count:     0
    .vgpr_spill_count: 0
    .wavefront_size: 64
  - .agpr_count:     0
    .args:
      - .offset:         0
        .size:           56
        .value_kind:     by_value
    .group_segment_fixed_size: 0
    .kernarg_segment_align: 8
    .kernarg_segment_size: 56
    .language:       OpenCL C
    .language_version:
      - 2
      - 0
    .max_flat_workgroup_size: 128
    .name:           _ZN7rocprim17ROCPRIM_400000_NS6detail17trampoline_kernelINS0_14default_configENS1_38merge_sort_block_merge_config_selectorIlNS0_10empty_typeEEEZZNS1_27merge_sort_block_merge_implIS3_PlPS5_mZN2at6native12_GLOBAL__N_124unique_dim_cuda_templateIsEESt5tupleIJNSA_6TensorESF_SF_EERKSF_lbbbEUlllE_EE10hipError_tT0_T1_T2_jT3_P12ihipStream_tbPNSt15iterator_traitsISL_E10value_typeEPNSR_ISM_E10value_typeEPSN_NS1_7vsmem_tEENKUlT_SL_SM_SN_E_clIS8_S8_S9_S9_EESK_S10_SL_SM_SN_EUlS10_E_NS1_11comp_targetILNS1_3genE9ELNS1_11target_archE1100ELNS1_3gpuE3ELNS1_3repE0EEENS1_48merge_mergepath_partition_config_static_selectorELNS0_4arch9wavefront6targetE1EEEvSM_
    .private_segment_fixed_size: 0
    .sgpr_count:     6
    .sgpr_spill_count: 0
    .symbol:         _ZN7rocprim17ROCPRIM_400000_NS6detail17trampoline_kernelINS0_14default_configENS1_38merge_sort_block_merge_config_selectorIlNS0_10empty_typeEEEZZNS1_27merge_sort_block_merge_implIS3_PlPS5_mZN2at6native12_GLOBAL__N_124unique_dim_cuda_templateIsEESt5tupleIJNSA_6TensorESF_SF_EERKSF_lbbbEUlllE_EE10hipError_tT0_T1_T2_jT3_P12ihipStream_tbPNSt15iterator_traitsISL_E10value_typeEPNSR_ISM_E10value_typeEPSN_NS1_7vsmem_tEENKUlT_SL_SM_SN_E_clIS8_S8_S9_S9_EESK_S10_SL_SM_SN_EUlS10_E_NS1_11comp_targetILNS1_3genE9ELNS1_11target_archE1100ELNS1_3gpuE3ELNS1_3repE0EEENS1_48merge_mergepath_partition_config_static_selectorELNS0_4arch9wavefront6targetE1EEEvSM_.kd
    .uniform_work_group_size: 1
    .uses_dynamic_stack: false
    .vgpr_count:     0
    .vgpr_spill_count: 0
    .wavefront_size: 64
  - .agpr_count:     0
    .args:
      - .offset:         0
        .size:           56
        .value_kind:     by_value
    .group_segment_fixed_size: 0
    .kernarg_segment_align: 8
    .kernarg_segment_size: 56
    .language:       OpenCL C
    .language_version:
      - 2
      - 0
    .max_flat_workgroup_size: 128
    .name:           _ZN7rocprim17ROCPRIM_400000_NS6detail17trampoline_kernelINS0_14default_configENS1_38merge_sort_block_merge_config_selectorIlNS0_10empty_typeEEEZZNS1_27merge_sort_block_merge_implIS3_PlPS5_mZN2at6native12_GLOBAL__N_124unique_dim_cuda_templateIsEESt5tupleIJNSA_6TensorESF_SF_EERKSF_lbbbEUlllE_EE10hipError_tT0_T1_T2_jT3_P12ihipStream_tbPNSt15iterator_traitsISL_E10value_typeEPNSR_ISM_E10value_typeEPSN_NS1_7vsmem_tEENKUlT_SL_SM_SN_E_clIS8_S8_S9_S9_EESK_S10_SL_SM_SN_EUlS10_E_NS1_11comp_targetILNS1_3genE8ELNS1_11target_archE1030ELNS1_3gpuE2ELNS1_3repE0EEENS1_48merge_mergepath_partition_config_static_selectorELNS0_4arch9wavefront6targetE1EEEvSM_
    .private_segment_fixed_size: 0
    .sgpr_count:     6
    .sgpr_spill_count: 0
    .symbol:         _ZN7rocprim17ROCPRIM_400000_NS6detail17trampoline_kernelINS0_14default_configENS1_38merge_sort_block_merge_config_selectorIlNS0_10empty_typeEEEZZNS1_27merge_sort_block_merge_implIS3_PlPS5_mZN2at6native12_GLOBAL__N_124unique_dim_cuda_templateIsEESt5tupleIJNSA_6TensorESF_SF_EERKSF_lbbbEUlllE_EE10hipError_tT0_T1_T2_jT3_P12ihipStream_tbPNSt15iterator_traitsISL_E10value_typeEPNSR_ISM_E10value_typeEPSN_NS1_7vsmem_tEENKUlT_SL_SM_SN_E_clIS8_S8_S9_S9_EESK_S10_SL_SM_SN_EUlS10_E_NS1_11comp_targetILNS1_3genE8ELNS1_11target_archE1030ELNS1_3gpuE2ELNS1_3repE0EEENS1_48merge_mergepath_partition_config_static_selectorELNS0_4arch9wavefront6targetE1EEEvSM_.kd
    .uniform_work_group_size: 1
    .uses_dynamic_stack: false
    .vgpr_count:     0
    .vgpr_spill_count: 0
    .wavefront_size: 64
  - .agpr_count:     0
    .args:
      - .offset:         0
        .size:           88
        .value_kind:     by_value
    .group_segment_fixed_size: 0
    .kernarg_segment_align: 8
    .kernarg_segment_size: 88
    .language:       OpenCL C
    .language_version:
      - 2
      - 0
    .max_flat_workgroup_size: 128
    .name:           _ZN7rocprim17ROCPRIM_400000_NS6detail17trampoline_kernelINS0_14default_configENS1_38merge_sort_block_merge_config_selectorIlNS0_10empty_typeEEEZZNS1_27merge_sort_block_merge_implIS3_PlPS5_mZN2at6native12_GLOBAL__N_124unique_dim_cuda_templateIsEESt5tupleIJNSA_6TensorESF_SF_EERKSF_lbbbEUlllE_EE10hipError_tT0_T1_T2_jT3_P12ihipStream_tbPNSt15iterator_traitsISL_E10value_typeEPNSR_ISM_E10value_typeEPSN_NS1_7vsmem_tEENKUlT_SL_SM_SN_E_clIS8_S8_S9_S9_EESK_S10_SL_SM_SN_EUlS10_E0_NS1_11comp_targetILNS1_3genE0ELNS1_11target_archE4294967295ELNS1_3gpuE0ELNS1_3repE0EEENS1_38merge_mergepath_config_static_selectorELNS0_4arch9wavefront6targetE1EEEvSM_
    .private_segment_fixed_size: 0
    .sgpr_count:     6
    .sgpr_spill_count: 0
    .symbol:         _ZN7rocprim17ROCPRIM_400000_NS6detail17trampoline_kernelINS0_14default_configENS1_38merge_sort_block_merge_config_selectorIlNS0_10empty_typeEEEZZNS1_27merge_sort_block_merge_implIS3_PlPS5_mZN2at6native12_GLOBAL__N_124unique_dim_cuda_templateIsEESt5tupleIJNSA_6TensorESF_SF_EERKSF_lbbbEUlllE_EE10hipError_tT0_T1_T2_jT3_P12ihipStream_tbPNSt15iterator_traitsISL_E10value_typeEPNSR_ISM_E10value_typeEPSN_NS1_7vsmem_tEENKUlT_SL_SM_SN_E_clIS8_S8_S9_S9_EESK_S10_SL_SM_SN_EUlS10_E0_NS1_11comp_targetILNS1_3genE0ELNS1_11target_archE4294967295ELNS1_3gpuE0ELNS1_3repE0EEENS1_38merge_mergepath_config_static_selectorELNS0_4arch9wavefront6targetE1EEEvSM_.kd
    .uniform_work_group_size: 1
    .uses_dynamic_stack: false
    .vgpr_count:     0
    .vgpr_spill_count: 0
    .wavefront_size: 64
  - .agpr_count:     0
    .args:
      - .offset:         0
        .size:           88
        .value_kind:     by_value
    .group_segment_fixed_size: 0
    .kernarg_segment_align: 8
    .kernarg_segment_size: 88
    .language:       OpenCL C
    .language_version:
      - 2
      - 0
    .max_flat_workgroup_size: 512
    .name:           _ZN7rocprim17ROCPRIM_400000_NS6detail17trampoline_kernelINS0_14default_configENS1_38merge_sort_block_merge_config_selectorIlNS0_10empty_typeEEEZZNS1_27merge_sort_block_merge_implIS3_PlPS5_mZN2at6native12_GLOBAL__N_124unique_dim_cuda_templateIsEESt5tupleIJNSA_6TensorESF_SF_EERKSF_lbbbEUlllE_EE10hipError_tT0_T1_T2_jT3_P12ihipStream_tbPNSt15iterator_traitsISL_E10value_typeEPNSR_ISM_E10value_typeEPSN_NS1_7vsmem_tEENKUlT_SL_SM_SN_E_clIS8_S8_S9_S9_EESK_S10_SL_SM_SN_EUlS10_E0_NS1_11comp_targetILNS1_3genE10ELNS1_11target_archE1201ELNS1_3gpuE5ELNS1_3repE0EEENS1_38merge_mergepath_config_static_selectorELNS0_4arch9wavefront6targetE1EEEvSM_
    .private_segment_fixed_size: 0
    .sgpr_count:     6
    .sgpr_spill_count: 0
    .symbol:         _ZN7rocprim17ROCPRIM_400000_NS6detail17trampoline_kernelINS0_14default_configENS1_38merge_sort_block_merge_config_selectorIlNS0_10empty_typeEEEZZNS1_27merge_sort_block_merge_implIS3_PlPS5_mZN2at6native12_GLOBAL__N_124unique_dim_cuda_templateIsEESt5tupleIJNSA_6TensorESF_SF_EERKSF_lbbbEUlllE_EE10hipError_tT0_T1_T2_jT3_P12ihipStream_tbPNSt15iterator_traitsISL_E10value_typeEPNSR_ISM_E10value_typeEPSN_NS1_7vsmem_tEENKUlT_SL_SM_SN_E_clIS8_S8_S9_S9_EESK_S10_SL_SM_SN_EUlS10_E0_NS1_11comp_targetILNS1_3genE10ELNS1_11target_archE1201ELNS1_3gpuE5ELNS1_3repE0EEENS1_38merge_mergepath_config_static_selectorELNS0_4arch9wavefront6targetE1EEEvSM_.kd
    .uniform_work_group_size: 1
    .uses_dynamic_stack: false
    .vgpr_count:     0
    .vgpr_spill_count: 0
    .wavefront_size: 64
  - .agpr_count:     0
    .args:
      - .offset:         0
        .size:           88
        .value_kind:     by_value
      - .offset:         88
        .size:           4
        .value_kind:     hidden_block_count_x
      - .offset:         92
        .size:           4
        .value_kind:     hidden_block_count_y
      - .offset:         96
        .size:           4
        .value_kind:     hidden_block_count_z
      - .offset:         100
        .size:           2
        .value_kind:     hidden_group_size_x
      - .offset:         102
        .size:           2
        .value_kind:     hidden_group_size_y
      - .offset:         104
        .size:           2
        .value_kind:     hidden_group_size_z
      - .offset:         106
        .size:           2
        .value_kind:     hidden_remainder_x
      - .offset:         108
        .size:           2
        .value_kind:     hidden_remainder_y
      - .offset:         110
        .size:           2
        .value_kind:     hidden_remainder_z
      - .offset:         128
        .size:           8
        .value_kind:     hidden_global_offset_x
      - .offset:         136
        .size:           8
        .value_kind:     hidden_global_offset_y
      - .offset:         144
        .size:           8
        .value_kind:     hidden_global_offset_z
      - .offset:         152
        .size:           2
        .value_kind:     hidden_grid_dims
    .group_segment_fixed_size: 8448
    .kernarg_segment_align: 8
    .kernarg_segment_size: 344
    .language:       OpenCL C
    .language_version:
      - 2
      - 0
    .max_flat_workgroup_size: 128
    .name:           _ZN7rocprim17ROCPRIM_400000_NS6detail17trampoline_kernelINS0_14default_configENS1_38merge_sort_block_merge_config_selectorIlNS0_10empty_typeEEEZZNS1_27merge_sort_block_merge_implIS3_PlPS5_mZN2at6native12_GLOBAL__N_124unique_dim_cuda_templateIsEESt5tupleIJNSA_6TensorESF_SF_EERKSF_lbbbEUlllE_EE10hipError_tT0_T1_T2_jT3_P12ihipStream_tbPNSt15iterator_traitsISL_E10value_typeEPNSR_ISM_E10value_typeEPSN_NS1_7vsmem_tEENKUlT_SL_SM_SN_E_clIS8_S8_S9_S9_EESK_S10_SL_SM_SN_EUlS10_E0_NS1_11comp_targetILNS1_3genE5ELNS1_11target_archE942ELNS1_3gpuE9ELNS1_3repE0EEENS1_38merge_mergepath_config_static_selectorELNS0_4arch9wavefront6targetE1EEEvSM_
    .private_segment_fixed_size: 0
    .sgpr_count:     60
    .sgpr_spill_count: 0
    .symbol:         _ZN7rocprim17ROCPRIM_400000_NS6detail17trampoline_kernelINS0_14default_configENS1_38merge_sort_block_merge_config_selectorIlNS0_10empty_typeEEEZZNS1_27merge_sort_block_merge_implIS3_PlPS5_mZN2at6native12_GLOBAL__N_124unique_dim_cuda_templateIsEESt5tupleIJNSA_6TensorESF_SF_EERKSF_lbbbEUlllE_EE10hipError_tT0_T1_T2_jT3_P12ihipStream_tbPNSt15iterator_traitsISL_E10value_typeEPNSR_ISM_E10value_typeEPSN_NS1_7vsmem_tEENKUlT_SL_SM_SN_E_clIS8_S8_S9_S9_EESK_S10_SL_SM_SN_EUlS10_E0_NS1_11comp_targetILNS1_3genE5ELNS1_11target_archE942ELNS1_3gpuE9ELNS1_3repE0EEENS1_38merge_mergepath_config_static_selectorELNS0_4arch9wavefront6targetE1EEEvSM_.kd
    .uniform_work_group_size: 1
    .uses_dynamic_stack: false
    .vgpr_count:     40
    .vgpr_spill_count: 0
    .wavefront_size: 64
  - .agpr_count:     0
    .args:
      - .offset:         0
        .size:           88
        .value_kind:     by_value
    .group_segment_fixed_size: 0
    .kernarg_segment_align: 8
    .kernarg_segment_size: 88
    .language:       OpenCL C
    .language_version:
      - 2
      - 0
    .max_flat_workgroup_size: 256
    .name:           _ZN7rocprim17ROCPRIM_400000_NS6detail17trampoline_kernelINS0_14default_configENS1_38merge_sort_block_merge_config_selectorIlNS0_10empty_typeEEEZZNS1_27merge_sort_block_merge_implIS3_PlPS5_mZN2at6native12_GLOBAL__N_124unique_dim_cuda_templateIsEESt5tupleIJNSA_6TensorESF_SF_EERKSF_lbbbEUlllE_EE10hipError_tT0_T1_T2_jT3_P12ihipStream_tbPNSt15iterator_traitsISL_E10value_typeEPNSR_ISM_E10value_typeEPSN_NS1_7vsmem_tEENKUlT_SL_SM_SN_E_clIS8_S8_S9_S9_EESK_S10_SL_SM_SN_EUlS10_E0_NS1_11comp_targetILNS1_3genE4ELNS1_11target_archE910ELNS1_3gpuE8ELNS1_3repE0EEENS1_38merge_mergepath_config_static_selectorELNS0_4arch9wavefront6targetE1EEEvSM_
    .private_segment_fixed_size: 0
    .sgpr_count:     6
    .sgpr_spill_count: 0
    .symbol:         _ZN7rocprim17ROCPRIM_400000_NS6detail17trampoline_kernelINS0_14default_configENS1_38merge_sort_block_merge_config_selectorIlNS0_10empty_typeEEEZZNS1_27merge_sort_block_merge_implIS3_PlPS5_mZN2at6native12_GLOBAL__N_124unique_dim_cuda_templateIsEESt5tupleIJNSA_6TensorESF_SF_EERKSF_lbbbEUlllE_EE10hipError_tT0_T1_T2_jT3_P12ihipStream_tbPNSt15iterator_traitsISL_E10value_typeEPNSR_ISM_E10value_typeEPSN_NS1_7vsmem_tEENKUlT_SL_SM_SN_E_clIS8_S8_S9_S9_EESK_S10_SL_SM_SN_EUlS10_E0_NS1_11comp_targetILNS1_3genE4ELNS1_11target_archE910ELNS1_3gpuE8ELNS1_3repE0EEENS1_38merge_mergepath_config_static_selectorELNS0_4arch9wavefront6targetE1EEEvSM_.kd
    .uniform_work_group_size: 1
    .uses_dynamic_stack: false
    .vgpr_count:     0
    .vgpr_spill_count: 0
    .wavefront_size: 64
  - .agpr_count:     0
    .args:
      - .offset:         0
        .size:           88
        .value_kind:     by_value
    .group_segment_fixed_size: 0
    .kernarg_segment_align: 8
    .kernarg_segment_size: 88
    .language:       OpenCL C
    .language_version:
      - 2
      - 0
    .max_flat_workgroup_size: 128
    .name:           _ZN7rocprim17ROCPRIM_400000_NS6detail17trampoline_kernelINS0_14default_configENS1_38merge_sort_block_merge_config_selectorIlNS0_10empty_typeEEEZZNS1_27merge_sort_block_merge_implIS3_PlPS5_mZN2at6native12_GLOBAL__N_124unique_dim_cuda_templateIsEESt5tupleIJNSA_6TensorESF_SF_EERKSF_lbbbEUlllE_EE10hipError_tT0_T1_T2_jT3_P12ihipStream_tbPNSt15iterator_traitsISL_E10value_typeEPNSR_ISM_E10value_typeEPSN_NS1_7vsmem_tEENKUlT_SL_SM_SN_E_clIS8_S8_S9_S9_EESK_S10_SL_SM_SN_EUlS10_E0_NS1_11comp_targetILNS1_3genE3ELNS1_11target_archE908ELNS1_3gpuE7ELNS1_3repE0EEENS1_38merge_mergepath_config_static_selectorELNS0_4arch9wavefront6targetE1EEEvSM_
    .private_segment_fixed_size: 0
    .sgpr_count:     6
    .sgpr_spill_count: 0
    .symbol:         _ZN7rocprim17ROCPRIM_400000_NS6detail17trampoline_kernelINS0_14default_configENS1_38merge_sort_block_merge_config_selectorIlNS0_10empty_typeEEEZZNS1_27merge_sort_block_merge_implIS3_PlPS5_mZN2at6native12_GLOBAL__N_124unique_dim_cuda_templateIsEESt5tupleIJNSA_6TensorESF_SF_EERKSF_lbbbEUlllE_EE10hipError_tT0_T1_T2_jT3_P12ihipStream_tbPNSt15iterator_traitsISL_E10value_typeEPNSR_ISM_E10value_typeEPSN_NS1_7vsmem_tEENKUlT_SL_SM_SN_E_clIS8_S8_S9_S9_EESK_S10_SL_SM_SN_EUlS10_E0_NS1_11comp_targetILNS1_3genE3ELNS1_11target_archE908ELNS1_3gpuE7ELNS1_3repE0EEENS1_38merge_mergepath_config_static_selectorELNS0_4arch9wavefront6targetE1EEEvSM_.kd
    .uniform_work_group_size: 1
    .uses_dynamic_stack: false
    .vgpr_count:     0
    .vgpr_spill_count: 0
    .wavefront_size: 64
  - .agpr_count:     0
    .args:
      - .offset:         0
        .size:           88
        .value_kind:     by_value
    .group_segment_fixed_size: 0
    .kernarg_segment_align: 8
    .kernarg_segment_size: 88
    .language:       OpenCL C
    .language_version:
      - 2
      - 0
    .max_flat_workgroup_size: 256
    .name:           _ZN7rocprim17ROCPRIM_400000_NS6detail17trampoline_kernelINS0_14default_configENS1_38merge_sort_block_merge_config_selectorIlNS0_10empty_typeEEEZZNS1_27merge_sort_block_merge_implIS3_PlPS5_mZN2at6native12_GLOBAL__N_124unique_dim_cuda_templateIsEESt5tupleIJNSA_6TensorESF_SF_EERKSF_lbbbEUlllE_EE10hipError_tT0_T1_T2_jT3_P12ihipStream_tbPNSt15iterator_traitsISL_E10value_typeEPNSR_ISM_E10value_typeEPSN_NS1_7vsmem_tEENKUlT_SL_SM_SN_E_clIS8_S8_S9_S9_EESK_S10_SL_SM_SN_EUlS10_E0_NS1_11comp_targetILNS1_3genE2ELNS1_11target_archE906ELNS1_3gpuE6ELNS1_3repE0EEENS1_38merge_mergepath_config_static_selectorELNS0_4arch9wavefront6targetE1EEEvSM_
    .private_segment_fixed_size: 0
    .sgpr_count:     6
    .sgpr_spill_count: 0
    .symbol:         _ZN7rocprim17ROCPRIM_400000_NS6detail17trampoline_kernelINS0_14default_configENS1_38merge_sort_block_merge_config_selectorIlNS0_10empty_typeEEEZZNS1_27merge_sort_block_merge_implIS3_PlPS5_mZN2at6native12_GLOBAL__N_124unique_dim_cuda_templateIsEESt5tupleIJNSA_6TensorESF_SF_EERKSF_lbbbEUlllE_EE10hipError_tT0_T1_T2_jT3_P12ihipStream_tbPNSt15iterator_traitsISL_E10value_typeEPNSR_ISM_E10value_typeEPSN_NS1_7vsmem_tEENKUlT_SL_SM_SN_E_clIS8_S8_S9_S9_EESK_S10_SL_SM_SN_EUlS10_E0_NS1_11comp_targetILNS1_3genE2ELNS1_11target_archE906ELNS1_3gpuE6ELNS1_3repE0EEENS1_38merge_mergepath_config_static_selectorELNS0_4arch9wavefront6targetE1EEEvSM_.kd
    .uniform_work_group_size: 1
    .uses_dynamic_stack: false
    .vgpr_count:     0
    .vgpr_spill_count: 0
    .wavefront_size: 64
  - .agpr_count:     0
    .args:
      - .offset:         0
        .size:           88
        .value_kind:     by_value
    .group_segment_fixed_size: 0
    .kernarg_segment_align: 8
    .kernarg_segment_size: 88
    .language:       OpenCL C
    .language_version:
      - 2
      - 0
    .max_flat_workgroup_size: 512
    .name:           _ZN7rocprim17ROCPRIM_400000_NS6detail17trampoline_kernelINS0_14default_configENS1_38merge_sort_block_merge_config_selectorIlNS0_10empty_typeEEEZZNS1_27merge_sort_block_merge_implIS3_PlPS5_mZN2at6native12_GLOBAL__N_124unique_dim_cuda_templateIsEESt5tupleIJNSA_6TensorESF_SF_EERKSF_lbbbEUlllE_EE10hipError_tT0_T1_T2_jT3_P12ihipStream_tbPNSt15iterator_traitsISL_E10value_typeEPNSR_ISM_E10value_typeEPSN_NS1_7vsmem_tEENKUlT_SL_SM_SN_E_clIS8_S8_S9_S9_EESK_S10_SL_SM_SN_EUlS10_E0_NS1_11comp_targetILNS1_3genE9ELNS1_11target_archE1100ELNS1_3gpuE3ELNS1_3repE0EEENS1_38merge_mergepath_config_static_selectorELNS0_4arch9wavefront6targetE1EEEvSM_
    .private_segment_fixed_size: 0
    .sgpr_count:     6
    .sgpr_spill_count: 0
    .symbol:         _ZN7rocprim17ROCPRIM_400000_NS6detail17trampoline_kernelINS0_14default_configENS1_38merge_sort_block_merge_config_selectorIlNS0_10empty_typeEEEZZNS1_27merge_sort_block_merge_implIS3_PlPS5_mZN2at6native12_GLOBAL__N_124unique_dim_cuda_templateIsEESt5tupleIJNSA_6TensorESF_SF_EERKSF_lbbbEUlllE_EE10hipError_tT0_T1_T2_jT3_P12ihipStream_tbPNSt15iterator_traitsISL_E10value_typeEPNSR_ISM_E10value_typeEPSN_NS1_7vsmem_tEENKUlT_SL_SM_SN_E_clIS8_S8_S9_S9_EESK_S10_SL_SM_SN_EUlS10_E0_NS1_11comp_targetILNS1_3genE9ELNS1_11target_archE1100ELNS1_3gpuE3ELNS1_3repE0EEENS1_38merge_mergepath_config_static_selectorELNS0_4arch9wavefront6targetE1EEEvSM_.kd
    .uniform_work_group_size: 1
    .uses_dynamic_stack: false
    .vgpr_count:     0
    .vgpr_spill_count: 0
    .wavefront_size: 64
  - .agpr_count:     0
    .args:
      - .offset:         0
        .size:           88
        .value_kind:     by_value
    .group_segment_fixed_size: 0
    .kernarg_segment_align: 8
    .kernarg_segment_size: 88
    .language:       OpenCL C
    .language_version:
      - 2
      - 0
    .max_flat_workgroup_size: 1024
    .name:           _ZN7rocprim17ROCPRIM_400000_NS6detail17trampoline_kernelINS0_14default_configENS1_38merge_sort_block_merge_config_selectorIlNS0_10empty_typeEEEZZNS1_27merge_sort_block_merge_implIS3_PlPS5_mZN2at6native12_GLOBAL__N_124unique_dim_cuda_templateIsEESt5tupleIJNSA_6TensorESF_SF_EERKSF_lbbbEUlllE_EE10hipError_tT0_T1_T2_jT3_P12ihipStream_tbPNSt15iterator_traitsISL_E10value_typeEPNSR_ISM_E10value_typeEPSN_NS1_7vsmem_tEENKUlT_SL_SM_SN_E_clIS8_S8_S9_S9_EESK_S10_SL_SM_SN_EUlS10_E0_NS1_11comp_targetILNS1_3genE8ELNS1_11target_archE1030ELNS1_3gpuE2ELNS1_3repE0EEENS1_38merge_mergepath_config_static_selectorELNS0_4arch9wavefront6targetE1EEEvSM_
    .private_segment_fixed_size: 0
    .sgpr_count:     6
    .sgpr_spill_count: 0
    .symbol:         _ZN7rocprim17ROCPRIM_400000_NS6detail17trampoline_kernelINS0_14default_configENS1_38merge_sort_block_merge_config_selectorIlNS0_10empty_typeEEEZZNS1_27merge_sort_block_merge_implIS3_PlPS5_mZN2at6native12_GLOBAL__N_124unique_dim_cuda_templateIsEESt5tupleIJNSA_6TensorESF_SF_EERKSF_lbbbEUlllE_EE10hipError_tT0_T1_T2_jT3_P12ihipStream_tbPNSt15iterator_traitsISL_E10value_typeEPNSR_ISM_E10value_typeEPSN_NS1_7vsmem_tEENKUlT_SL_SM_SN_E_clIS8_S8_S9_S9_EESK_S10_SL_SM_SN_EUlS10_E0_NS1_11comp_targetILNS1_3genE8ELNS1_11target_archE1030ELNS1_3gpuE2ELNS1_3repE0EEENS1_38merge_mergepath_config_static_selectorELNS0_4arch9wavefront6targetE1EEEvSM_.kd
    .uniform_work_group_size: 1
    .uses_dynamic_stack: false
    .vgpr_count:     0
    .vgpr_spill_count: 0
    .wavefront_size: 64
  - .agpr_count:     0
    .args:
      - .offset:         0
        .size:           64
        .value_kind:     by_value
    .group_segment_fixed_size: 0
    .kernarg_segment_align: 8
    .kernarg_segment_size: 64
    .language:       OpenCL C
    .language_version:
      - 2
      - 0
    .max_flat_workgroup_size: 256
    .name:           _ZN7rocprim17ROCPRIM_400000_NS6detail17trampoline_kernelINS0_14default_configENS1_38merge_sort_block_merge_config_selectorIlNS0_10empty_typeEEEZZNS1_27merge_sort_block_merge_implIS3_PlPS5_mZN2at6native12_GLOBAL__N_124unique_dim_cuda_templateIsEESt5tupleIJNSA_6TensorESF_SF_EERKSF_lbbbEUlllE_EE10hipError_tT0_T1_T2_jT3_P12ihipStream_tbPNSt15iterator_traitsISL_E10value_typeEPNSR_ISM_E10value_typeEPSN_NS1_7vsmem_tEENKUlT_SL_SM_SN_E_clIS8_S8_S9_S9_EESK_S10_SL_SM_SN_EUlS10_E1_NS1_11comp_targetILNS1_3genE0ELNS1_11target_archE4294967295ELNS1_3gpuE0ELNS1_3repE0EEENS1_36merge_oddeven_config_static_selectorELNS0_4arch9wavefront6targetE1EEEvSM_
    .private_segment_fixed_size: 0
    .sgpr_count:     6
    .sgpr_spill_count: 0
    .symbol:         _ZN7rocprim17ROCPRIM_400000_NS6detail17trampoline_kernelINS0_14default_configENS1_38merge_sort_block_merge_config_selectorIlNS0_10empty_typeEEEZZNS1_27merge_sort_block_merge_implIS3_PlPS5_mZN2at6native12_GLOBAL__N_124unique_dim_cuda_templateIsEESt5tupleIJNSA_6TensorESF_SF_EERKSF_lbbbEUlllE_EE10hipError_tT0_T1_T2_jT3_P12ihipStream_tbPNSt15iterator_traitsISL_E10value_typeEPNSR_ISM_E10value_typeEPSN_NS1_7vsmem_tEENKUlT_SL_SM_SN_E_clIS8_S8_S9_S9_EESK_S10_SL_SM_SN_EUlS10_E1_NS1_11comp_targetILNS1_3genE0ELNS1_11target_archE4294967295ELNS1_3gpuE0ELNS1_3repE0EEENS1_36merge_oddeven_config_static_selectorELNS0_4arch9wavefront6targetE1EEEvSM_.kd
    .uniform_work_group_size: 1
    .uses_dynamic_stack: false
    .vgpr_count:     0
    .vgpr_spill_count: 0
    .wavefront_size: 64
  - .agpr_count:     0
    .args:
      - .offset:         0
        .size:           64
        .value_kind:     by_value
    .group_segment_fixed_size: 0
    .kernarg_segment_align: 8
    .kernarg_segment_size: 64
    .language:       OpenCL C
    .language_version:
      - 2
      - 0
    .max_flat_workgroup_size: 256
    .name:           _ZN7rocprim17ROCPRIM_400000_NS6detail17trampoline_kernelINS0_14default_configENS1_38merge_sort_block_merge_config_selectorIlNS0_10empty_typeEEEZZNS1_27merge_sort_block_merge_implIS3_PlPS5_mZN2at6native12_GLOBAL__N_124unique_dim_cuda_templateIsEESt5tupleIJNSA_6TensorESF_SF_EERKSF_lbbbEUlllE_EE10hipError_tT0_T1_T2_jT3_P12ihipStream_tbPNSt15iterator_traitsISL_E10value_typeEPNSR_ISM_E10value_typeEPSN_NS1_7vsmem_tEENKUlT_SL_SM_SN_E_clIS8_S8_S9_S9_EESK_S10_SL_SM_SN_EUlS10_E1_NS1_11comp_targetILNS1_3genE10ELNS1_11target_archE1201ELNS1_3gpuE5ELNS1_3repE0EEENS1_36merge_oddeven_config_static_selectorELNS0_4arch9wavefront6targetE1EEEvSM_
    .private_segment_fixed_size: 0
    .sgpr_count:     6
    .sgpr_spill_count: 0
    .symbol:         _ZN7rocprim17ROCPRIM_400000_NS6detail17trampoline_kernelINS0_14default_configENS1_38merge_sort_block_merge_config_selectorIlNS0_10empty_typeEEEZZNS1_27merge_sort_block_merge_implIS3_PlPS5_mZN2at6native12_GLOBAL__N_124unique_dim_cuda_templateIsEESt5tupleIJNSA_6TensorESF_SF_EERKSF_lbbbEUlllE_EE10hipError_tT0_T1_T2_jT3_P12ihipStream_tbPNSt15iterator_traitsISL_E10value_typeEPNSR_ISM_E10value_typeEPSN_NS1_7vsmem_tEENKUlT_SL_SM_SN_E_clIS8_S8_S9_S9_EESK_S10_SL_SM_SN_EUlS10_E1_NS1_11comp_targetILNS1_3genE10ELNS1_11target_archE1201ELNS1_3gpuE5ELNS1_3repE0EEENS1_36merge_oddeven_config_static_selectorELNS0_4arch9wavefront6targetE1EEEvSM_.kd
    .uniform_work_group_size: 1
    .uses_dynamic_stack: false
    .vgpr_count:     0
    .vgpr_spill_count: 0
    .wavefront_size: 64
  - .agpr_count:     0
    .args:
      - .offset:         0
        .size:           64
        .value_kind:     by_value
    .group_segment_fixed_size: 0
    .kernarg_segment_align: 8
    .kernarg_segment_size: 64
    .language:       OpenCL C
    .language_version:
      - 2
      - 0
    .max_flat_workgroup_size: 256
    .name:           _ZN7rocprim17ROCPRIM_400000_NS6detail17trampoline_kernelINS0_14default_configENS1_38merge_sort_block_merge_config_selectorIlNS0_10empty_typeEEEZZNS1_27merge_sort_block_merge_implIS3_PlPS5_mZN2at6native12_GLOBAL__N_124unique_dim_cuda_templateIsEESt5tupleIJNSA_6TensorESF_SF_EERKSF_lbbbEUlllE_EE10hipError_tT0_T1_T2_jT3_P12ihipStream_tbPNSt15iterator_traitsISL_E10value_typeEPNSR_ISM_E10value_typeEPSN_NS1_7vsmem_tEENKUlT_SL_SM_SN_E_clIS8_S8_S9_S9_EESK_S10_SL_SM_SN_EUlS10_E1_NS1_11comp_targetILNS1_3genE5ELNS1_11target_archE942ELNS1_3gpuE9ELNS1_3repE0EEENS1_36merge_oddeven_config_static_selectorELNS0_4arch9wavefront6targetE1EEEvSM_
    .private_segment_fixed_size: 0
    .sgpr_count:     52
    .sgpr_spill_count: 0
    .symbol:         _ZN7rocprim17ROCPRIM_400000_NS6detail17trampoline_kernelINS0_14default_configENS1_38merge_sort_block_merge_config_selectorIlNS0_10empty_typeEEEZZNS1_27merge_sort_block_merge_implIS3_PlPS5_mZN2at6native12_GLOBAL__N_124unique_dim_cuda_templateIsEESt5tupleIJNSA_6TensorESF_SF_EERKSF_lbbbEUlllE_EE10hipError_tT0_T1_T2_jT3_P12ihipStream_tbPNSt15iterator_traitsISL_E10value_typeEPNSR_ISM_E10value_typeEPSN_NS1_7vsmem_tEENKUlT_SL_SM_SN_E_clIS8_S8_S9_S9_EESK_S10_SL_SM_SN_EUlS10_E1_NS1_11comp_targetILNS1_3genE5ELNS1_11target_archE942ELNS1_3gpuE9ELNS1_3repE0EEENS1_36merge_oddeven_config_static_selectorELNS0_4arch9wavefront6targetE1EEEvSM_.kd
    .uniform_work_group_size: 1
    .uses_dynamic_stack: false
    .vgpr_count:     19
    .vgpr_spill_count: 0
    .wavefront_size: 64
  - .agpr_count:     0
    .args:
      - .offset:         0
        .size:           64
        .value_kind:     by_value
    .group_segment_fixed_size: 0
    .kernarg_segment_align: 8
    .kernarg_segment_size: 64
    .language:       OpenCL C
    .language_version:
      - 2
      - 0
    .max_flat_workgroup_size: 256
    .name:           _ZN7rocprim17ROCPRIM_400000_NS6detail17trampoline_kernelINS0_14default_configENS1_38merge_sort_block_merge_config_selectorIlNS0_10empty_typeEEEZZNS1_27merge_sort_block_merge_implIS3_PlPS5_mZN2at6native12_GLOBAL__N_124unique_dim_cuda_templateIsEESt5tupleIJNSA_6TensorESF_SF_EERKSF_lbbbEUlllE_EE10hipError_tT0_T1_T2_jT3_P12ihipStream_tbPNSt15iterator_traitsISL_E10value_typeEPNSR_ISM_E10value_typeEPSN_NS1_7vsmem_tEENKUlT_SL_SM_SN_E_clIS8_S8_S9_S9_EESK_S10_SL_SM_SN_EUlS10_E1_NS1_11comp_targetILNS1_3genE4ELNS1_11target_archE910ELNS1_3gpuE8ELNS1_3repE0EEENS1_36merge_oddeven_config_static_selectorELNS0_4arch9wavefront6targetE1EEEvSM_
    .private_segment_fixed_size: 0
    .sgpr_count:     6
    .sgpr_spill_count: 0
    .symbol:         _ZN7rocprim17ROCPRIM_400000_NS6detail17trampoline_kernelINS0_14default_configENS1_38merge_sort_block_merge_config_selectorIlNS0_10empty_typeEEEZZNS1_27merge_sort_block_merge_implIS3_PlPS5_mZN2at6native12_GLOBAL__N_124unique_dim_cuda_templateIsEESt5tupleIJNSA_6TensorESF_SF_EERKSF_lbbbEUlllE_EE10hipError_tT0_T1_T2_jT3_P12ihipStream_tbPNSt15iterator_traitsISL_E10value_typeEPNSR_ISM_E10value_typeEPSN_NS1_7vsmem_tEENKUlT_SL_SM_SN_E_clIS8_S8_S9_S9_EESK_S10_SL_SM_SN_EUlS10_E1_NS1_11comp_targetILNS1_3genE4ELNS1_11target_archE910ELNS1_3gpuE8ELNS1_3repE0EEENS1_36merge_oddeven_config_static_selectorELNS0_4arch9wavefront6targetE1EEEvSM_.kd
    .uniform_work_group_size: 1
    .uses_dynamic_stack: false
    .vgpr_count:     0
    .vgpr_spill_count: 0
    .wavefront_size: 64
  - .agpr_count:     0
    .args:
      - .offset:         0
        .size:           64
        .value_kind:     by_value
    .group_segment_fixed_size: 0
    .kernarg_segment_align: 8
    .kernarg_segment_size: 64
    .language:       OpenCL C
    .language_version:
      - 2
      - 0
    .max_flat_workgroup_size: 256
    .name:           _ZN7rocprim17ROCPRIM_400000_NS6detail17trampoline_kernelINS0_14default_configENS1_38merge_sort_block_merge_config_selectorIlNS0_10empty_typeEEEZZNS1_27merge_sort_block_merge_implIS3_PlPS5_mZN2at6native12_GLOBAL__N_124unique_dim_cuda_templateIsEESt5tupleIJNSA_6TensorESF_SF_EERKSF_lbbbEUlllE_EE10hipError_tT0_T1_T2_jT3_P12ihipStream_tbPNSt15iterator_traitsISL_E10value_typeEPNSR_ISM_E10value_typeEPSN_NS1_7vsmem_tEENKUlT_SL_SM_SN_E_clIS8_S8_S9_S9_EESK_S10_SL_SM_SN_EUlS10_E1_NS1_11comp_targetILNS1_3genE3ELNS1_11target_archE908ELNS1_3gpuE7ELNS1_3repE0EEENS1_36merge_oddeven_config_static_selectorELNS0_4arch9wavefront6targetE1EEEvSM_
    .private_segment_fixed_size: 0
    .sgpr_count:     6
    .sgpr_spill_count: 0
    .symbol:         _ZN7rocprim17ROCPRIM_400000_NS6detail17trampoline_kernelINS0_14default_configENS1_38merge_sort_block_merge_config_selectorIlNS0_10empty_typeEEEZZNS1_27merge_sort_block_merge_implIS3_PlPS5_mZN2at6native12_GLOBAL__N_124unique_dim_cuda_templateIsEESt5tupleIJNSA_6TensorESF_SF_EERKSF_lbbbEUlllE_EE10hipError_tT0_T1_T2_jT3_P12ihipStream_tbPNSt15iterator_traitsISL_E10value_typeEPNSR_ISM_E10value_typeEPSN_NS1_7vsmem_tEENKUlT_SL_SM_SN_E_clIS8_S8_S9_S9_EESK_S10_SL_SM_SN_EUlS10_E1_NS1_11comp_targetILNS1_3genE3ELNS1_11target_archE908ELNS1_3gpuE7ELNS1_3repE0EEENS1_36merge_oddeven_config_static_selectorELNS0_4arch9wavefront6targetE1EEEvSM_.kd
    .uniform_work_group_size: 1
    .uses_dynamic_stack: false
    .vgpr_count:     0
    .vgpr_spill_count: 0
    .wavefront_size: 64
  - .agpr_count:     0
    .args:
      - .offset:         0
        .size:           64
        .value_kind:     by_value
    .group_segment_fixed_size: 0
    .kernarg_segment_align: 8
    .kernarg_segment_size: 64
    .language:       OpenCL C
    .language_version:
      - 2
      - 0
    .max_flat_workgroup_size: 256
    .name:           _ZN7rocprim17ROCPRIM_400000_NS6detail17trampoline_kernelINS0_14default_configENS1_38merge_sort_block_merge_config_selectorIlNS0_10empty_typeEEEZZNS1_27merge_sort_block_merge_implIS3_PlPS5_mZN2at6native12_GLOBAL__N_124unique_dim_cuda_templateIsEESt5tupleIJNSA_6TensorESF_SF_EERKSF_lbbbEUlllE_EE10hipError_tT0_T1_T2_jT3_P12ihipStream_tbPNSt15iterator_traitsISL_E10value_typeEPNSR_ISM_E10value_typeEPSN_NS1_7vsmem_tEENKUlT_SL_SM_SN_E_clIS8_S8_S9_S9_EESK_S10_SL_SM_SN_EUlS10_E1_NS1_11comp_targetILNS1_3genE2ELNS1_11target_archE906ELNS1_3gpuE6ELNS1_3repE0EEENS1_36merge_oddeven_config_static_selectorELNS0_4arch9wavefront6targetE1EEEvSM_
    .private_segment_fixed_size: 0
    .sgpr_count:     6
    .sgpr_spill_count: 0
    .symbol:         _ZN7rocprim17ROCPRIM_400000_NS6detail17trampoline_kernelINS0_14default_configENS1_38merge_sort_block_merge_config_selectorIlNS0_10empty_typeEEEZZNS1_27merge_sort_block_merge_implIS3_PlPS5_mZN2at6native12_GLOBAL__N_124unique_dim_cuda_templateIsEESt5tupleIJNSA_6TensorESF_SF_EERKSF_lbbbEUlllE_EE10hipError_tT0_T1_T2_jT3_P12ihipStream_tbPNSt15iterator_traitsISL_E10value_typeEPNSR_ISM_E10value_typeEPSN_NS1_7vsmem_tEENKUlT_SL_SM_SN_E_clIS8_S8_S9_S9_EESK_S10_SL_SM_SN_EUlS10_E1_NS1_11comp_targetILNS1_3genE2ELNS1_11target_archE906ELNS1_3gpuE6ELNS1_3repE0EEENS1_36merge_oddeven_config_static_selectorELNS0_4arch9wavefront6targetE1EEEvSM_.kd
    .uniform_work_group_size: 1
    .uses_dynamic_stack: false
    .vgpr_count:     0
    .vgpr_spill_count: 0
    .wavefront_size: 64
  - .agpr_count:     0
    .args:
      - .offset:         0
        .size:           64
        .value_kind:     by_value
    .group_segment_fixed_size: 0
    .kernarg_segment_align: 8
    .kernarg_segment_size: 64
    .language:       OpenCL C
    .language_version:
      - 2
      - 0
    .max_flat_workgroup_size: 256
    .name:           _ZN7rocprim17ROCPRIM_400000_NS6detail17trampoline_kernelINS0_14default_configENS1_38merge_sort_block_merge_config_selectorIlNS0_10empty_typeEEEZZNS1_27merge_sort_block_merge_implIS3_PlPS5_mZN2at6native12_GLOBAL__N_124unique_dim_cuda_templateIsEESt5tupleIJNSA_6TensorESF_SF_EERKSF_lbbbEUlllE_EE10hipError_tT0_T1_T2_jT3_P12ihipStream_tbPNSt15iterator_traitsISL_E10value_typeEPNSR_ISM_E10value_typeEPSN_NS1_7vsmem_tEENKUlT_SL_SM_SN_E_clIS8_S8_S9_S9_EESK_S10_SL_SM_SN_EUlS10_E1_NS1_11comp_targetILNS1_3genE9ELNS1_11target_archE1100ELNS1_3gpuE3ELNS1_3repE0EEENS1_36merge_oddeven_config_static_selectorELNS0_4arch9wavefront6targetE1EEEvSM_
    .private_segment_fixed_size: 0
    .sgpr_count:     6
    .sgpr_spill_count: 0
    .symbol:         _ZN7rocprim17ROCPRIM_400000_NS6detail17trampoline_kernelINS0_14default_configENS1_38merge_sort_block_merge_config_selectorIlNS0_10empty_typeEEEZZNS1_27merge_sort_block_merge_implIS3_PlPS5_mZN2at6native12_GLOBAL__N_124unique_dim_cuda_templateIsEESt5tupleIJNSA_6TensorESF_SF_EERKSF_lbbbEUlllE_EE10hipError_tT0_T1_T2_jT3_P12ihipStream_tbPNSt15iterator_traitsISL_E10value_typeEPNSR_ISM_E10value_typeEPSN_NS1_7vsmem_tEENKUlT_SL_SM_SN_E_clIS8_S8_S9_S9_EESK_S10_SL_SM_SN_EUlS10_E1_NS1_11comp_targetILNS1_3genE9ELNS1_11target_archE1100ELNS1_3gpuE3ELNS1_3repE0EEENS1_36merge_oddeven_config_static_selectorELNS0_4arch9wavefront6targetE1EEEvSM_.kd
    .uniform_work_group_size: 1
    .uses_dynamic_stack: false
    .vgpr_count:     0
    .vgpr_spill_count: 0
    .wavefront_size: 64
  - .agpr_count:     0
    .args:
      - .offset:         0
        .size:           64
        .value_kind:     by_value
    .group_segment_fixed_size: 0
    .kernarg_segment_align: 8
    .kernarg_segment_size: 64
    .language:       OpenCL C
    .language_version:
      - 2
      - 0
    .max_flat_workgroup_size: 256
    .name:           _ZN7rocprim17ROCPRIM_400000_NS6detail17trampoline_kernelINS0_14default_configENS1_38merge_sort_block_merge_config_selectorIlNS0_10empty_typeEEEZZNS1_27merge_sort_block_merge_implIS3_PlPS5_mZN2at6native12_GLOBAL__N_124unique_dim_cuda_templateIsEESt5tupleIJNSA_6TensorESF_SF_EERKSF_lbbbEUlllE_EE10hipError_tT0_T1_T2_jT3_P12ihipStream_tbPNSt15iterator_traitsISL_E10value_typeEPNSR_ISM_E10value_typeEPSN_NS1_7vsmem_tEENKUlT_SL_SM_SN_E_clIS8_S8_S9_S9_EESK_S10_SL_SM_SN_EUlS10_E1_NS1_11comp_targetILNS1_3genE8ELNS1_11target_archE1030ELNS1_3gpuE2ELNS1_3repE0EEENS1_36merge_oddeven_config_static_selectorELNS0_4arch9wavefront6targetE1EEEvSM_
    .private_segment_fixed_size: 0
    .sgpr_count:     6
    .sgpr_spill_count: 0
    .symbol:         _ZN7rocprim17ROCPRIM_400000_NS6detail17trampoline_kernelINS0_14default_configENS1_38merge_sort_block_merge_config_selectorIlNS0_10empty_typeEEEZZNS1_27merge_sort_block_merge_implIS3_PlPS5_mZN2at6native12_GLOBAL__N_124unique_dim_cuda_templateIsEESt5tupleIJNSA_6TensorESF_SF_EERKSF_lbbbEUlllE_EE10hipError_tT0_T1_T2_jT3_P12ihipStream_tbPNSt15iterator_traitsISL_E10value_typeEPNSR_ISM_E10value_typeEPSN_NS1_7vsmem_tEENKUlT_SL_SM_SN_E_clIS8_S8_S9_S9_EESK_S10_SL_SM_SN_EUlS10_E1_NS1_11comp_targetILNS1_3genE8ELNS1_11target_archE1030ELNS1_3gpuE2ELNS1_3repE0EEENS1_36merge_oddeven_config_static_selectorELNS0_4arch9wavefront6targetE1EEEvSM_.kd
    .uniform_work_group_size: 1
    .uses_dynamic_stack: false
    .vgpr_count:     0
    .vgpr_spill_count: 0
    .wavefront_size: 64
  - .agpr_count:     0
    .args:
      - .offset:         0
        .size:           64
        .value_kind:     by_value
    .group_segment_fixed_size: 0
    .kernarg_segment_align: 8
    .kernarg_segment_size: 64
    .language:       OpenCL C
    .language_version:
      - 2
      - 0
    .max_flat_workgroup_size: 128
    .name:           _ZN7rocprim17ROCPRIM_400000_NS6detail17trampoline_kernelINS0_14default_configENS1_35adjacent_difference_config_selectorILb0ElEEZNS1_24adjacent_difference_implIS3_Lb0ELb0EPlS7_ZN2at6native12_GLOBAL__N_124unique_dim_cuda_templateIsEESt5tupleIJNS8_6TensorESD_SD_EERKSD_lbbbEUlllE1_EE10hipError_tPvRmT2_T3_mT4_P12ihipStream_tbEUlT_E_NS1_11comp_targetILNS1_3genE0ELNS1_11target_archE4294967295ELNS1_3gpuE0ELNS1_3repE0EEENS1_30default_config_static_selectorELNS0_4arch9wavefront6targetE1EEEvT1_
    .private_segment_fixed_size: 0
    .sgpr_count:     6
    .sgpr_spill_count: 0
    .symbol:         _ZN7rocprim17ROCPRIM_400000_NS6detail17trampoline_kernelINS0_14default_configENS1_35adjacent_difference_config_selectorILb0ElEEZNS1_24adjacent_difference_implIS3_Lb0ELb0EPlS7_ZN2at6native12_GLOBAL__N_124unique_dim_cuda_templateIsEESt5tupleIJNS8_6TensorESD_SD_EERKSD_lbbbEUlllE1_EE10hipError_tPvRmT2_T3_mT4_P12ihipStream_tbEUlT_E_NS1_11comp_targetILNS1_3genE0ELNS1_11target_archE4294967295ELNS1_3gpuE0ELNS1_3repE0EEENS1_30default_config_static_selectorELNS0_4arch9wavefront6targetE1EEEvT1_.kd
    .uniform_work_group_size: 1
    .uses_dynamic_stack: false
    .vgpr_count:     0
    .vgpr_spill_count: 0
    .wavefront_size: 64
  - .agpr_count:     0
    .args:
      - .offset:         0
        .size:           64
        .value_kind:     by_value
    .group_segment_fixed_size: 0
    .kernarg_segment_align: 8
    .kernarg_segment_size: 64
    .language:       OpenCL C
    .language_version:
      - 2
      - 0
    .max_flat_workgroup_size: 128
    .name:           _ZN7rocprim17ROCPRIM_400000_NS6detail17trampoline_kernelINS0_14default_configENS1_35adjacent_difference_config_selectorILb0ElEEZNS1_24adjacent_difference_implIS3_Lb0ELb0EPlS7_ZN2at6native12_GLOBAL__N_124unique_dim_cuda_templateIsEESt5tupleIJNS8_6TensorESD_SD_EERKSD_lbbbEUlllE1_EE10hipError_tPvRmT2_T3_mT4_P12ihipStream_tbEUlT_E_NS1_11comp_targetILNS1_3genE10ELNS1_11target_archE1201ELNS1_3gpuE5ELNS1_3repE0EEENS1_30default_config_static_selectorELNS0_4arch9wavefront6targetE1EEEvT1_
    .private_segment_fixed_size: 0
    .sgpr_count:     6
    .sgpr_spill_count: 0
    .symbol:         _ZN7rocprim17ROCPRIM_400000_NS6detail17trampoline_kernelINS0_14default_configENS1_35adjacent_difference_config_selectorILb0ElEEZNS1_24adjacent_difference_implIS3_Lb0ELb0EPlS7_ZN2at6native12_GLOBAL__N_124unique_dim_cuda_templateIsEESt5tupleIJNS8_6TensorESD_SD_EERKSD_lbbbEUlllE1_EE10hipError_tPvRmT2_T3_mT4_P12ihipStream_tbEUlT_E_NS1_11comp_targetILNS1_3genE10ELNS1_11target_archE1201ELNS1_3gpuE5ELNS1_3repE0EEENS1_30default_config_static_selectorELNS0_4arch9wavefront6targetE1EEEvT1_.kd
    .uniform_work_group_size: 1
    .uses_dynamic_stack: false
    .vgpr_count:     0
    .vgpr_spill_count: 0
    .wavefront_size: 64
  - .agpr_count:     0
    .args:
      - .offset:         0
        .size:           64
        .value_kind:     by_value
    .group_segment_fixed_size: 6656
    .kernarg_segment_align: 8
    .kernarg_segment_size: 64
    .language:       OpenCL C
    .language_version:
      - 2
      - 0
    .max_flat_workgroup_size: 64
    .name:           _ZN7rocprim17ROCPRIM_400000_NS6detail17trampoline_kernelINS0_14default_configENS1_35adjacent_difference_config_selectorILb0ElEEZNS1_24adjacent_difference_implIS3_Lb0ELb0EPlS7_ZN2at6native12_GLOBAL__N_124unique_dim_cuda_templateIsEESt5tupleIJNS8_6TensorESD_SD_EERKSD_lbbbEUlllE1_EE10hipError_tPvRmT2_T3_mT4_P12ihipStream_tbEUlT_E_NS1_11comp_targetILNS1_3genE5ELNS1_11target_archE942ELNS1_3gpuE9ELNS1_3repE0EEENS1_30default_config_static_selectorELNS0_4arch9wavefront6targetE1EEEvT1_
    .private_segment_fixed_size: 0
    .sgpr_count:     44
    .sgpr_spill_count: 0
    .symbol:         _ZN7rocprim17ROCPRIM_400000_NS6detail17trampoline_kernelINS0_14default_configENS1_35adjacent_difference_config_selectorILb0ElEEZNS1_24adjacent_difference_implIS3_Lb0ELb0EPlS7_ZN2at6native12_GLOBAL__N_124unique_dim_cuda_templateIsEESt5tupleIJNS8_6TensorESD_SD_EERKSD_lbbbEUlllE1_EE10hipError_tPvRmT2_T3_mT4_P12ihipStream_tbEUlT_E_NS1_11comp_targetILNS1_3genE5ELNS1_11target_archE942ELNS1_3gpuE9ELNS1_3repE0EEENS1_30default_config_static_selectorELNS0_4arch9wavefront6targetE1EEEvT1_.kd
    .uniform_work_group_size: 1
    .uses_dynamic_stack: false
    .vgpr_count:     84
    .vgpr_spill_count: 0
    .wavefront_size: 64
  - .agpr_count:     0
    .args:
      - .offset:         0
        .size:           64
        .value_kind:     by_value
    .group_segment_fixed_size: 0
    .kernarg_segment_align: 8
    .kernarg_segment_size: 64
    .language:       OpenCL C
    .language_version:
      - 2
      - 0
    .max_flat_workgroup_size: 256
    .name:           _ZN7rocprim17ROCPRIM_400000_NS6detail17trampoline_kernelINS0_14default_configENS1_35adjacent_difference_config_selectorILb0ElEEZNS1_24adjacent_difference_implIS3_Lb0ELb0EPlS7_ZN2at6native12_GLOBAL__N_124unique_dim_cuda_templateIsEESt5tupleIJNS8_6TensorESD_SD_EERKSD_lbbbEUlllE1_EE10hipError_tPvRmT2_T3_mT4_P12ihipStream_tbEUlT_E_NS1_11comp_targetILNS1_3genE4ELNS1_11target_archE910ELNS1_3gpuE8ELNS1_3repE0EEENS1_30default_config_static_selectorELNS0_4arch9wavefront6targetE1EEEvT1_
    .private_segment_fixed_size: 0
    .sgpr_count:     6
    .sgpr_spill_count: 0
    .symbol:         _ZN7rocprim17ROCPRIM_400000_NS6detail17trampoline_kernelINS0_14default_configENS1_35adjacent_difference_config_selectorILb0ElEEZNS1_24adjacent_difference_implIS3_Lb0ELb0EPlS7_ZN2at6native12_GLOBAL__N_124unique_dim_cuda_templateIsEESt5tupleIJNS8_6TensorESD_SD_EERKSD_lbbbEUlllE1_EE10hipError_tPvRmT2_T3_mT4_P12ihipStream_tbEUlT_E_NS1_11comp_targetILNS1_3genE4ELNS1_11target_archE910ELNS1_3gpuE8ELNS1_3repE0EEENS1_30default_config_static_selectorELNS0_4arch9wavefront6targetE1EEEvT1_.kd
    .uniform_work_group_size: 1
    .uses_dynamic_stack: false
    .vgpr_count:     0
    .vgpr_spill_count: 0
    .wavefront_size: 64
  - .agpr_count:     0
    .args:
      - .offset:         0
        .size:           64
        .value_kind:     by_value
    .group_segment_fixed_size: 0
    .kernarg_segment_align: 8
    .kernarg_segment_size: 64
    .language:       OpenCL C
    .language_version:
      - 2
      - 0
    .max_flat_workgroup_size: 128
    .name:           _ZN7rocprim17ROCPRIM_400000_NS6detail17trampoline_kernelINS0_14default_configENS1_35adjacent_difference_config_selectorILb0ElEEZNS1_24adjacent_difference_implIS3_Lb0ELb0EPlS7_ZN2at6native12_GLOBAL__N_124unique_dim_cuda_templateIsEESt5tupleIJNS8_6TensorESD_SD_EERKSD_lbbbEUlllE1_EE10hipError_tPvRmT2_T3_mT4_P12ihipStream_tbEUlT_E_NS1_11comp_targetILNS1_3genE3ELNS1_11target_archE908ELNS1_3gpuE7ELNS1_3repE0EEENS1_30default_config_static_selectorELNS0_4arch9wavefront6targetE1EEEvT1_
    .private_segment_fixed_size: 0
    .sgpr_count:     6
    .sgpr_spill_count: 0
    .symbol:         _ZN7rocprim17ROCPRIM_400000_NS6detail17trampoline_kernelINS0_14default_configENS1_35adjacent_difference_config_selectorILb0ElEEZNS1_24adjacent_difference_implIS3_Lb0ELb0EPlS7_ZN2at6native12_GLOBAL__N_124unique_dim_cuda_templateIsEESt5tupleIJNS8_6TensorESD_SD_EERKSD_lbbbEUlllE1_EE10hipError_tPvRmT2_T3_mT4_P12ihipStream_tbEUlT_E_NS1_11comp_targetILNS1_3genE3ELNS1_11target_archE908ELNS1_3gpuE7ELNS1_3repE0EEENS1_30default_config_static_selectorELNS0_4arch9wavefront6targetE1EEEvT1_.kd
    .uniform_work_group_size: 1
    .uses_dynamic_stack: false
    .vgpr_count:     0
    .vgpr_spill_count: 0
    .wavefront_size: 64
  - .agpr_count:     0
    .args:
      - .offset:         0
        .size:           64
        .value_kind:     by_value
    .group_segment_fixed_size: 0
    .kernarg_segment_align: 8
    .kernarg_segment_size: 64
    .language:       OpenCL C
    .language_version:
      - 2
      - 0
    .max_flat_workgroup_size: 128
    .name:           _ZN7rocprim17ROCPRIM_400000_NS6detail17trampoline_kernelINS0_14default_configENS1_35adjacent_difference_config_selectorILb0ElEEZNS1_24adjacent_difference_implIS3_Lb0ELb0EPlS7_ZN2at6native12_GLOBAL__N_124unique_dim_cuda_templateIsEESt5tupleIJNS8_6TensorESD_SD_EERKSD_lbbbEUlllE1_EE10hipError_tPvRmT2_T3_mT4_P12ihipStream_tbEUlT_E_NS1_11comp_targetILNS1_3genE2ELNS1_11target_archE906ELNS1_3gpuE6ELNS1_3repE0EEENS1_30default_config_static_selectorELNS0_4arch9wavefront6targetE1EEEvT1_
    .private_segment_fixed_size: 0
    .sgpr_count:     6
    .sgpr_spill_count: 0
    .symbol:         _ZN7rocprim17ROCPRIM_400000_NS6detail17trampoline_kernelINS0_14default_configENS1_35adjacent_difference_config_selectorILb0ElEEZNS1_24adjacent_difference_implIS3_Lb0ELb0EPlS7_ZN2at6native12_GLOBAL__N_124unique_dim_cuda_templateIsEESt5tupleIJNS8_6TensorESD_SD_EERKSD_lbbbEUlllE1_EE10hipError_tPvRmT2_T3_mT4_P12ihipStream_tbEUlT_E_NS1_11comp_targetILNS1_3genE2ELNS1_11target_archE906ELNS1_3gpuE6ELNS1_3repE0EEENS1_30default_config_static_selectorELNS0_4arch9wavefront6targetE1EEEvT1_.kd
    .uniform_work_group_size: 1
    .uses_dynamic_stack: false
    .vgpr_count:     0
    .vgpr_spill_count: 0
    .wavefront_size: 64
  - .agpr_count:     0
    .args:
      - .offset:         0
        .size:           64
        .value_kind:     by_value
    .group_segment_fixed_size: 0
    .kernarg_segment_align: 8
    .kernarg_segment_size: 64
    .language:       OpenCL C
    .language_version:
      - 2
      - 0
    .max_flat_workgroup_size: 512
    .name:           _ZN7rocprim17ROCPRIM_400000_NS6detail17trampoline_kernelINS0_14default_configENS1_35adjacent_difference_config_selectorILb0ElEEZNS1_24adjacent_difference_implIS3_Lb0ELb0EPlS7_ZN2at6native12_GLOBAL__N_124unique_dim_cuda_templateIsEESt5tupleIJNS8_6TensorESD_SD_EERKSD_lbbbEUlllE1_EE10hipError_tPvRmT2_T3_mT4_P12ihipStream_tbEUlT_E_NS1_11comp_targetILNS1_3genE9ELNS1_11target_archE1100ELNS1_3gpuE3ELNS1_3repE0EEENS1_30default_config_static_selectorELNS0_4arch9wavefront6targetE1EEEvT1_
    .private_segment_fixed_size: 0
    .sgpr_count:     6
    .sgpr_spill_count: 0
    .symbol:         _ZN7rocprim17ROCPRIM_400000_NS6detail17trampoline_kernelINS0_14default_configENS1_35adjacent_difference_config_selectorILb0ElEEZNS1_24adjacent_difference_implIS3_Lb0ELb0EPlS7_ZN2at6native12_GLOBAL__N_124unique_dim_cuda_templateIsEESt5tupleIJNS8_6TensorESD_SD_EERKSD_lbbbEUlllE1_EE10hipError_tPvRmT2_T3_mT4_P12ihipStream_tbEUlT_E_NS1_11comp_targetILNS1_3genE9ELNS1_11target_archE1100ELNS1_3gpuE3ELNS1_3repE0EEENS1_30default_config_static_selectorELNS0_4arch9wavefront6targetE1EEEvT1_.kd
    .uniform_work_group_size: 1
    .uses_dynamic_stack: false
    .vgpr_count:     0
    .vgpr_spill_count: 0
    .wavefront_size: 64
  - .agpr_count:     0
    .args:
      - .offset:         0
        .size:           64
        .value_kind:     by_value
    .group_segment_fixed_size: 0
    .kernarg_segment_align: 8
    .kernarg_segment_size: 64
    .language:       OpenCL C
    .language_version:
      - 2
      - 0
    .max_flat_workgroup_size: 1024
    .name:           _ZN7rocprim17ROCPRIM_400000_NS6detail17trampoline_kernelINS0_14default_configENS1_35adjacent_difference_config_selectorILb0ElEEZNS1_24adjacent_difference_implIS3_Lb0ELb0EPlS7_ZN2at6native12_GLOBAL__N_124unique_dim_cuda_templateIsEESt5tupleIJNS8_6TensorESD_SD_EERKSD_lbbbEUlllE1_EE10hipError_tPvRmT2_T3_mT4_P12ihipStream_tbEUlT_E_NS1_11comp_targetILNS1_3genE8ELNS1_11target_archE1030ELNS1_3gpuE2ELNS1_3repE0EEENS1_30default_config_static_selectorELNS0_4arch9wavefront6targetE1EEEvT1_
    .private_segment_fixed_size: 0
    .sgpr_count:     6
    .sgpr_spill_count: 0
    .symbol:         _ZN7rocprim17ROCPRIM_400000_NS6detail17trampoline_kernelINS0_14default_configENS1_35adjacent_difference_config_selectorILb0ElEEZNS1_24adjacent_difference_implIS3_Lb0ELb0EPlS7_ZN2at6native12_GLOBAL__N_124unique_dim_cuda_templateIsEESt5tupleIJNS8_6TensorESD_SD_EERKSD_lbbbEUlllE1_EE10hipError_tPvRmT2_T3_mT4_P12ihipStream_tbEUlT_E_NS1_11comp_targetILNS1_3genE8ELNS1_11target_archE1030ELNS1_3gpuE2ELNS1_3repE0EEENS1_30default_config_static_selectorELNS0_4arch9wavefront6targetE1EEEvT1_.kd
    .uniform_work_group_size: 1
    .uses_dynamic_stack: false
    .vgpr_count:     0
    .vgpr_spill_count: 0
    .wavefront_size: 64
  - .agpr_count:     0
    .args:
      - .offset:         0
        .size:           56
        .value_kind:     by_value
    .group_segment_fixed_size: 0
    .kernarg_segment_align: 8
    .kernarg_segment_size: 56
    .language:       OpenCL C
    .language_version:
      - 2
      - 0
    .max_flat_workgroup_size: 128
    .name:           _ZN7rocprim17ROCPRIM_400000_NS6detail17trampoline_kernelINS0_14default_configENS1_25transform_config_selectorIlLb0EEEZNS1_14transform_implILb0ES3_S5_NS0_18transform_iteratorINS0_17counting_iteratorImlEEZNS1_24adjacent_difference_implIS3_Lb1ELb0EPlSB_ZN2at6native12_GLOBAL__N_124unique_dim_cuda_templateIsEESt5tupleIJNSC_6TensorESH_SH_EERKSH_lbbbEUlllE1_EE10hipError_tPvRmT2_T3_mT4_P12ihipStream_tbEUlmE_lEESB_NS0_8identityIvEEEESM_SP_SQ_mSR_ST_bEUlT_E_NS1_11comp_targetILNS1_3genE0ELNS1_11target_archE4294967295ELNS1_3gpuE0ELNS1_3repE0EEENS1_30default_config_static_selectorELNS0_4arch9wavefront6targetE1EEEvT1_
    .private_segment_fixed_size: 0
    .sgpr_count:     6
    .sgpr_spill_count: 0
    .symbol:         _ZN7rocprim17ROCPRIM_400000_NS6detail17trampoline_kernelINS0_14default_configENS1_25transform_config_selectorIlLb0EEEZNS1_14transform_implILb0ES3_S5_NS0_18transform_iteratorINS0_17counting_iteratorImlEEZNS1_24adjacent_difference_implIS3_Lb1ELb0EPlSB_ZN2at6native12_GLOBAL__N_124unique_dim_cuda_templateIsEESt5tupleIJNSC_6TensorESH_SH_EERKSH_lbbbEUlllE1_EE10hipError_tPvRmT2_T3_mT4_P12ihipStream_tbEUlmE_lEESB_NS0_8identityIvEEEESM_SP_SQ_mSR_ST_bEUlT_E_NS1_11comp_targetILNS1_3genE0ELNS1_11target_archE4294967295ELNS1_3gpuE0ELNS1_3repE0EEENS1_30default_config_static_selectorELNS0_4arch9wavefront6targetE1EEEvT1_.kd
    .uniform_work_group_size: 1
    .uses_dynamic_stack: false
    .vgpr_count:     0
    .vgpr_spill_count: 0
    .wavefront_size: 64
  - .agpr_count:     0
    .args:
      - .offset:         0
        .size:           56
        .value_kind:     by_value
      - .offset:         56
        .size:           4
        .value_kind:     hidden_block_count_x
      - .offset:         60
        .size:           4
        .value_kind:     hidden_block_count_y
      - .offset:         64
        .size:           4
        .value_kind:     hidden_block_count_z
      - .offset:         68
        .size:           2
        .value_kind:     hidden_group_size_x
      - .offset:         70
        .size:           2
        .value_kind:     hidden_group_size_y
      - .offset:         72
        .size:           2
        .value_kind:     hidden_group_size_z
      - .offset:         74
        .size:           2
        .value_kind:     hidden_remainder_x
      - .offset:         76
        .size:           2
        .value_kind:     hidden_remainder_y
      - .offset:         78
        .size:           2
        .value_kind:     hidden_remainder_z
      - .offset:         96
        .size:           8
        .value_kind:     hidden_global_offset_x
      - .offset:         104
        .size:           8
        .value_kind:     hidden_global_offset_y
      - .offset:         112
        .size:           8
        .value_kind:     hidden_global_offset_z
      - .offset:         120
        .size:           2
        .value_kind:     hidden_grid_dims
    .group_segment_fixed_size: 0
    .kernarg_segment_align: 8
    .kernarg_segment_size: 312
    .language:       OpenCL C
    .language_version:
      - 2
      - 0
    .max_flat_workgroup_size: 512
    .name:           _ZN7rocprim17ROCPRIM_400000_NS6detail17trampoline_kernelINS0_14default_configENS1_25transform_config_selectorIlLb0EEEZNS1_14transform_implILb0ES3_S5_NS0_18transform_iteratorINS0_17counting_iteratorImlEEZNS1_24adjacent_difference_implIS3_Lb1ELb0EPlSB_ZN2at6native12_GLOBAL__N_124unique_dim_cuda_templateIsEESt5tupleIJNSC_6TensorESH_SH_EERKSH_lbbbEUlllE1_EE10hipError_tPvRmT2_T3_mT4_P12ihipStream_tbEUlmE_lEESB_NS0_8identityIvEEEESM_SP_SQ_mSR_ST_bEUlT_E_NS1_11comp_targetILNS1_3genE5ELNS1_11target_archE942ELNS1_3gpuE9ELNS1_3repE0EEENS1_30default_config_static_selectorELNS0_4arch9wavefront6targetE1EEEvT1_
    .private_segment_fixed_size: 0
    .sgpr_count:     26
    .sgpr_spill_count: 0
    .symbol:         _ZN7rocprim17ROCPRIM_400000_NS6detail17trampoline_kernelINS0_14default_configENS1_25transform_config_selectorIlLb0EEEZNS1_14transform_implILb0ES3_S5_NS0_18transform_iteratorINS0_17counting_iteratorImlEEZNS1_24adjacent_difference_implIS3_Lb1ELb0EPlSB_ZN2at6native12_GLOBAL__N_124unique_dim_cuda_templateIsEESt5tupleIJNSC_6TensorESH_SH_EERKSH_lbbbEUlllE1_EE10hipError_tPvRmT2_T3_mT4_P12ihipStream_tbEUlmE_lEESB_NS0_8identityIvEEEESM_SP_SQ_mSR_ST_bEUlT_E_NS1_11comp_targetILNS1_3genE5ELNS1_11target_archE942ELNS1_3gpuE9ELNS1_3repE0EEENS1_30default_config_static_selectorELNS0_4arch9wavefront6targetE1EEEvT1_.kd
    .uniform_work_group_size: 1
    .uses_dynamic_stack: false
    .vgpr_count:     12
    .vgpr_spill_count: 0
    .wavefront_size: 64
  - .agpr_count:     0
    .args:
      - .offset:         0
        .size:           56
        .value_kind:     by_value
    .group_segment_fixed_size: 0
    .kernarg_segment_align: 8
    .kernarg_segment_size: 56
    .language:       OpenCL C
    .language_version:
      - 2
      - 0
    .max_flat_workgroup_size: 256
    .name:           _ZN7rocprim17ROCPRIM_400000_NS6detail17trampoline_kernelINS0_14default_configENS1_25transform_config_selectorIlLb0EEEZNS1_14transform_implILb0ES3_S5_NS0_18transform_iteratorINS0_17counting_iteratorImlEEZNS1_24adjacent_difference_implIS3_Lb1ELb0EPlSB_ZN2at6native12_GLOBAL__N_124unique_dim_cuda_templateIsEESt5tupleIJNSC_6TensorESH_SH_EERKSH_lbbbEUlllE1_EE10hipError_tPvRmT2_T3_mT4_P12ihipStream_tbEUlmE_lEESB_NS0_8identityIvEEEESM_SP_SQ_mSR_ST_bEUlT_E_NS1_11comp_targetILNS1_3genE4ELNS1_11target_archE910ELNS1_3gpuE8ELNS1_3repE0EEENS1_30default_config_static_selectorELNS0_4arch9wavefront6targetE1EEEvT1_
    .private_segment_fixed_size: 0
    .sgpr_count:     6
    .sgpr_spill_count: 0
    .symbol:         _ZN7rocprim17ROCPRIM_400000_NS6detail17trampoline_kernelINS0_14default_configENS1_25transform_config_selectorIlLb0EEEZNS1_14transform_implILb0ES3_S5_NS0_18transform_iteratorINS0_17counting_iteratorImlEEZNS1_24adjacent_difference_implIS3_Lb1ELb0EPlSB_ZN2at6native12_GLOBAL__N_124unique_dim_cuda_templateIsEESt5tupleIJNSC_6TensorESH_SH_EERKSH_lbbbEUlllE1_EE10hipError_tPvRmT2_T3_mT4_P12ihipStream_tbEUlmE_lEESB_NS0_8identityIvEEEESM_SP_SQ_mSR_ST_bEUlT_E_NS1_11comp_targetILNS1_3genE4ELNS1_11target_archE910ELNS1_3gpuE8ELNS1_3repE0EEENS1_30default_config_static_selectorELNS0_4arch9wavefront6targetE1EEEvT1_.kd
    .uniform_work_group_size: 1
    .uses_dynamic_stack: false
    .vgpr_count:     0
    .vgpr_spill_count: 0
    .wavefront_size: 64
  - .agpr_count:     0
    .args:
      - .offset:         0
        .size:           56
        .value_kind:     by_value
    .group_segment_fixed_size: 0
    .kernarg_segment_align: 8
    .kernarg_segment_size: 56
    .language:       OpenCL C
    .language_version:
      - 2
      - 0
    .max_flat_workgroup_size: 128
    .name:           _ZN7rocprim17ROCPRIM_400000_NS6detail17trampoline_kernelINS0_14default_configENS1_25transform_config_selectorIlLb0EEEZNS1_14transform_implILb0ES3_S5_NS0_18transform_iteratorINS0_17counting_iteratorImlEEZNS1_24adjacent_difference_implIS3_Lb1ELb0EPlSB_ZN2at6native12_GLOBAL__N_124unique_dim_cuda_templateIsEESt5tupleIJNSC_6TensorESH_SH_EERKSH_lbbbEUlllE1_EE10hipError_tPvRmT2_T3_mT4_P12ihipStream_tbEUlmE_lEESB_NS0_8identityIvEEEESM_SP_SQ_mSR_ST_bEUlT_E_NS1_11comp_targetILNS1_3genE3ELNS1_11target_archE908ELNS1_3gpuE7ELNS1_3repE0EEENS1_30default_config_static_selectorELNS0_4arch9wavefront6targetE1EEEvT1_
    .private_segment_fixed_size: 0
    .sgpr_count:     6
    .sgpr_spill_count: 0
    .symbol:         _ZN7rocprim17ROCPRIM_400000_NS6detail17trampoline_kernelINS0_14default_configENS1_25transform_config_selectorIlLb0EEEZNS1_14transform_implILb0ES3_S5_NS0_18transform_iteratorINS0_17counting_iteratorImlEEZNS1_24adjacent_difference_implIS3_Lb1ELb0EPlSB_ZN2at6native12_GLOBAL__N_124unique_dim_cuda_templateIsEESt5tupleIJNSC_6TensorESH_SH_EERKSH_lbbbEUlllE1_EE10hipError_tPvRmT2_T3_mT4_P12ihipStream_tbEUlmE_lEESB_NS0_8identityIvEEEESM_SP_SQ_mSR_ST_bEUlT_E_NS1_11comp_targetILNS1_3genE3ELNS1_11target_archE908ELNS1_3gpuE7ELNS1_3repE0EEENS1_30default_config_static_selectorELNS0_4arch9wavefront6targetE1EEEvT1_.kd
    .uniform_work_group_size: 1
    .uses_dynamic_stack: false
    .vgpr_count:     0
    .vgpr_spill_count: 0
    .wavefront_size: 64
  - .agpr_count:     0
    .args:
      - .offset:         0
        .size:           56
        .value_kind:     by_value
    .group_segment_fixed_size: 0
    .kernarg_segment_align: 8
    .kernarg_segment_size: 56
    .language:       OpenCL C
    .language_version:
      - 2
      - 0
    .max_flat_workgroup_size: 512
    .name:           _ZN7rocprim17ROCPRIM_400000_NS6detail17trampoline_kernelINS0_14default_configENS1_25transform_config_selectorIlLb0EEEZNS1_14transform_implILb0ES3_S5_NS0_18transform_iteratorINS0_17counting_iteratorImlEEZNS1_24adjacent_difference_implIS3_Lb1ELb0EPlSB_ZN2at6native12_GLOBAL__N_124unique_dim_cuda_templateIsEESt5tupleIJNSC_6TensorESH_SH_EERKSH_lbbbEUlllE1_EE10hipError_tPvRmT2_T3_mT4_P12ihipStream_tbEUlmE_lEESB_NS0_8identityIvEEEESM_SP_SQ_mSR_ST_bEUlT_E_NS1_11comp_targetILNS1_3genE2ELNS1_11target_archE906ELNS1_3gpuE6ELNS1_3repE0EEENS1_30default_config_static_selectorELNS0_4arch9wavefront6targetE1EEEvT1_
    .private_segment_fixed_size: 0
    .sgpr_count:     6
    .sgpr_spill_count: 0
    .symbol:         _ZN7rocprim17ROCPRIM_400000_NS6detail17trampoline_kernelINS0_14default_configENS1_25transform_config_selectorIlLb0EEEZNS1_14transform_implILb0ES3_S5_NS0_18transform_iteratorINS0_17counting_iteratorImlEEZNS1_24adjacent_difference_implIS3_Lb1ELb0EPlSB_ZN2at6native12_GLOBAL__N_124unique_dim_cuda_templateIsEESt5tupleIJNSC_6TensorESH_SH_EERKSH_lbbbEUlllE1_EE10hipError_tPvRmT2_T3_mT4_P12ihipStream_tbEUlmE_lEESB_NS0_8identityIvEEEESM_SP_SQ_mSR_ST_bEUlT_E_NS1_11comp_targetILNS1_3genE2ELNS1_11target_archE906ELNS1_3gpuE6ELNS1_3repE0EEENS1_30default_config_static_selectorELNS0_4arch9wavefront6targetE1EEEvT1_.kd
    .uniform_work_group_size: 1
    .uses_dynamic_stack: false
    .vgpr_count:     0
    .vgpr_spill_count: 0
    .wavefront_size: 64
  - .agpr_count:     0
    .args:
      - .offset:         0
        .size:           56
        .value_kind:     by_value
    .group_segment_fixed_size: 0
    .kernarg_segment_align: 8
    .kernarg_segment_size: 56
    .language:       OpenCL C
    .language_version:
      - 2
      - 0
    .max_flat_workgroup_size: 1024
    .name:           _ZN7rocprim17ROCPRIM_400000_NS6detail17trampoline_kernelINS0_14default_configENS1_25transform_config_selectorIlLb0EEEZNS1_14transform_implILb0ES3_S5_NS0_18transform_iteratorINS0_17counting_iteratorImlEEZNS1_24adjacent_difference_implIS3_Lb1ELb0EPlSB_ZN2at6native12_GLOBAL__N_124unique_dim_cuda_templateIsEESt5tupleIJNSC_6TensorESH_SH_EERKSH_lbbbEUlllE1_EE10hipError_tPvRmT2_T3_mT4_P12ihipStream_tbEUlmE_lEESB_NS0_8identityIvEEEESM_SP_SQ_mSR_ST_bEUlT_E_NS1_11comp_targetILNS1_3genE10ELNS1_11target_archE1201ELNS1_3gpuE5ELNS1_3repE0EEENS1_30default_config_static_selectorELNS0_4arch9wavefront6targetE1EEEvT1_
    .private_segment_fixed_size: 0
    .sgpr_count:     6
    .sgpr_spill_count: 0
    .symbol:         _ZN7rocprim17ROCPRIM_400000_NS6detail17trampoline_kernelINS0_14default_configENS1_25transform_config_selectorIlLb0EEEZNS1_14transform_implILb0ES3_S5_NS0_18transform_iteratorINS0_17counting_iteratorImlEEZNS1_24adjacent_difference_implIS3_Lb1ELb0EPlSB_ZN2at6native12_GLOBAL__N_124unique_dim_cuda_templateIsEESt5tupleIJNSC_6TensorESH_SH_EERKSH_lbbbEUlllE1_EE10hipError_tPvRmT2_T3_mT4_P12ihipStream_tbEUlmE_lEESB_NS0_8identityIvEEEESM_SP_SQ_mSR_ST_bEUlT_E_NS1_11comp_targetILNS1_3genE10ELNS1_11target_archE1201ELNS1_3gpuE5ELNS1_3repE0EEENS1_30default_config_static_selectorELNS0_4arch9wavefront6targetE1EEEvT1_.kd
    .uniform_work_group_size: 1
    .uses_dynamic_stack: false
    .vgpr_count:     0
    .vgpr_spill_count: 0
    .wavefront_size: 64
  - .agpr_count:     0
    .args:
      - .offset:         0
        .size:           56
        .value_kind:     by_value
    .group_segment_fixed_size: 0
    .kernarg_segment_align: 8
    .kernarg_segment_size: 56
    .language:       OpenCL C
    .language_version:
      - 2
      - 0
    .max_flat_workgroup_size: 512
    .name:           _ZN7rocprim17ROCPRIM_400000_NS6detail17trampoline_kernelINS0_14default_configENS1_25transform_config_selectorIlLb0EEEZNS1_14transform_implILb0ES3_S5_NS0_18transform_iteratorINS0_17counting_iteratorImlEEZNS1_24adjacent_difference_implIS3_Lb1ELb0EPlSB_ZN2at6native12_GLOBAL__N_124unique_dim_cuda_templateIsEESt5tupleIJNSC_6TensorESH_SH_EERKSH_lbbbEUlllE1_EE10hipError_tPvRmT2_T3_mT4_P12ihipStream_tbEUlmE_lEESB_NS0_8identityIvEEEESM_SP_SQ_mSR_ST_bEUlT_E_NS1_11comp_targetILNS1_3genE10ELNS1_11target_archE1200ELNS1_3gpuE4ELNS1_3repE0EEENS1_30default_config_static_selectorELNS0_4arch9wavefront6targetE1EEEvT1_
    .private_segment_fixed_size: 0
    .sgpr_count:     6
    .sgpr_spill_count: 0
    .symbol:         _ZN7rocprim17ROCPRIM_400000_NS6detail17trampoline_kernelINS0_14default_configENS1_25transform_config_selectorIlLb0EEEZNS1_14transform_implILb0ES3_S5_NS0_18transform_iteratorINS0_17counting_iteratorImlEEZNS1_24adjacent_difference_implIS3_Lb1ELb0EPlSB_ZN2at6native12_GLOBAL__N_124unique_dim_cuda_templateIsEESt5tupleIJNSC_6TensorESH_SH_EERKSH_lbbbEUlllE1_EE10hipError_tPvRmT2_T3_mT4_P12ihipStream_tbEUlmE_lEESB_NS0_8identityIvEEEESM_SP_SQ_mSR_ST_bEUlT_E_NS1_11comp_targetILNS1_3genE10ELNS1_11target_archE1200ELNS1_3gpuE4ELNS1_3repE0EEENS1_30default_config_static_selectorELNS0_4arch9wavefront6targetE1EEEvT1_.kd
    .uniform_work_group_size: 1
    .uses_dynamic_stack: false
    .vgpr_count:     0
    .vgpr_spill_count: 0
    .wavefront_size: 64
  - .agpr_count:     0
    .args:
      - .offset:         0
        .size:           56
        .value_kind:     by_value
    .group_segment_fixed_size: 0
    .kernarg_segment_align: 8
    .kernarg_segment_size: 56
    .language:       OpenCL C
    .language_version:
      - 2
      - 0
    .max_flat_workgroup_size: 512
    .name:           _ZN7rocprim17ROCPRIM_400000_NS6detail17trampoline_kernelINS0_14default_configENS1_25transform_config_selectorIlLb0EEEZNS1_14transform_implILb0ES3_S5_NS0_18transform_iteratorINS0_17counting_iteratorImlEEZNS1_24adjacent_difference_implIS3_Lb1ELb0EPlSB_ZN2at6native12_GLOBAL__N_124unique_dim_cuda_templateIsEESt5tupleIJNSC_6TensorESH_SH_EERKSH_lbbbEUlllE1_EE10hipError_tPvRmT2_T3_mT4_P12ihipStream_tbEUlmE_lEESB_NS0_8identityIvEEEESM_SP_SQ_mSR_ST_bEUlT_E_NS1_11comp_targetILNS1_3genE9ELNS1_11target_archE1100ELNS1_3gpuE3ELNS1_3repE0EEENS1_30default_config_static_selectorELNS0_4arch9wavefront6targetE1EEEvT1_
    .private_segment_fixed_size: 0
    .sgpr_count:     6
    .sgpr_spill_count: 0
    .symbol:         _ZN7rocprim17ROCPRIM_400000_NS6detail17trampoline_kernelINS0_14default_configENS1_25transform_config_selectorIlLb0EEEZNS1_14transform_implILb0ES3_S5_NS0_18transform_iteratorINS0_17counting_iteratorImlEEZNS1_24adjacent_difference_implIS3_Lb1ELb0EPlSB_ZN2at6native12_GLOBAL__N_124unique_dim_cuda_templateIsEESt5tupleIJNSC_6TensorESH_SH_EERKSH_lbbbEUlllE1_EE10hipError_tPvRmT2_T3_mT4_P12ihipStream_tbEUlmE_lEESB_NS0_8identityIvEEEESM_SP_SQ_mSR_ST_bEUlT_E_NS1_11comp_targetILNS1_3genE9ELNS1_11target_archE1100ELNS1_3gpuE3ELNS1_3repE0EEENS1_30default_config_static_selectorELNS0_4arch9wavefront6targetE1EEEvT1_.kd
    .uniform_work_group_size: 1
    .uses_dynamic_stack: false
    .vgpr_count:     0
    .vgpr_spill_count: 0
    .wavefront_size: 64
  - .agpr_count:     0
    .args:
      - .offset:         0
        .size:           56
        .value_kind:     by_value
    .group_segment_fixed_size: 0
    .kernarg_segment_align: 8
    .kernarg_segment_size: 56
    .language:       OpenCL C
    .language_version:
      - 2
      - 0
    .max_flat_workgroup_size: 512
    .name:           _ZN7rocprim17ROCPRIM_400000_NS6detail17trampoline_kernelINS0_14default_configENS1_25transform_config_selectorIlLb0EEEZNS1_14transform_implILb0ES3_S5_NS0_18transform_iteratorINS0_17counting_iteratorImlEEZNS1_24adjacent_difference_implIS3_Lb1ELb0EPlSB_ZN2at6native12_GLOBAL__N_124unique_dim_cuda_templateIsEESt5tupleIJNSC_6TensorESH_SH_EERKSH_lbbbEUlllE1_EE10hipError_tPvRmT2_T3_mT4_P12ihipStream_tbEUlmE_lEESB_NS0_8identityIvEEEESM_SP_SQ_mSR_ST_bEUlT_E_NS1_11comp_targetILNS1_3genE8ELNS1_11target_archE1030ELNS1_3gpuE2ELNS1_3repE0EEENS1_30default_config_static_selectorELNS0_4arch9wavefront6targetE1EEEvT1_
    .private_segment_fixed_size: 0
    .sgpr_count:     6
    .sgpr_spill_count: 0
    .symbol:         _ZN7rocprim17ROCPRIM_400000_NS6detail17trampoline_kernelINS0_14default_configENS1_25transform_config_selectorIlLb0EEEZNS1_14transform_implILb0ES3_S5_NS0_18transform_iteratorINS0_17counting_iteratorImlEEZNS1_24adjacent_difference_implIS3_Lb1ELb0EPlSB_ZN2at6native12_GLOBAL__N_124unique_dim_cuda_templateIsEESt5tupleIJNSC_6TensorESH_SH_EERKSH_lbbbEUlllE1_EE10hipError_tPvRmT2_T3_mT4_P12ihipStream_tbEUlmE_lEESB_NS0_8identityIvEEEESM_SP_SQ_mSR_ST_bEUlT_E_NS1_11comp_targetILNS1_3genE8ELNS1_11target_archE1030ELNS1_3gpuE2ELNS1_3repE0EEENS1_30default_config_static_selectorELNS0_4arch9wavefront6targetE1EEEvT1_.kd
    .uniform_work_group_size: 1
    .uses_dynamic_stack: false
    .vgpr_count:     0
    .vgpr_spill_count: 0
    .wavefront_size: 64
  - .agpr_count:     0
    .args:
      - .offset:         0
        .size:           64
        .value_kind:     by_value
    .group_segment_fixed_size: 0
    .kernarg_segment_align: 8
    .kernarg_segment_size: 64
    .language:       OpenCL C
    .language_version:
      - 2
      - 0
    .max_flat_workgroup_size: 512
    .name:           _ZN7rocprim17ROCPRIM_400000_NS6detail17trampoline_kernelINS0_14default_configENS1_35adjacent_difference_config_selectorILb1ElEEZNS1_24adjacent_difference_implIS3_Lb1ELb0EPlS7_ZN2at6native12_GLOBAL__N_124unique_dim_cuda_templateIsEESt5tupleIJNS8_6TensorESD_SD_EERKSD_lbbbEUlllE1_EE10hipError_tPvRmT2_T3_mT4_P12ihipStream_tbEUlT_E_NS1_11comp_targetILNS1_3genE0ELNS1_11target_archE4294967295ELNS1_3gpuE0ELNS1_3repE0EEENS1_30default_config_static_selectorELNS0_4arch9wavefront6targetE1EEEvT1_
    .private_segment_fixed_size: 0
    .sgpr_count:     6
    .sgpr_spill_count: 0
    .symbol:         _ZN7rocprim17ROCPRIM_400000_NS6detail17trampoline_kernelINS0_14default_configENS1_35adjacent_difference_config_selectorILb1ElEEZNS1_24adjacent_difference_implIS3_Lb1ELb0EPlS7_ZN2at6native12_GLOBAL__N_124unique_dim_cuda_templateIsEESt5tupleIJNS8_6TensorESD_SD_EERKSD_lbbbEUlllE1_EE10hipError_tPvRmT2_T3_mT4_P12ihipStream_tbEUlT_E_NS1_11comp_targetILNS1_3genE0ELNS1_11target_archE4294967295ELNS1_3gpuE0ELNS1_3repE0EEENS1_30default_config_static_selectorELNS0_4arch9wavefront6targetE1EEEvT1_.kd
    .uniform_work_group_size: 1
    .uses_dynamic_stack: false
    .vgpr_count:     0
    .vgpr_spill_count: 0
    .wavefront_size: 64
  - .agpr_count:     0
    .args:
      - .offset:         0
        .size:           64
        .value_kind:     by_value
    .group_segment_fixed_size: 0
    .kernarg_segment_align: 8
    .kernarg_segment_size: 64
    .language:       OpenCL C
    .language_version:
      - 2
      - 0
    .max_flat_workgroup_size: 32
    .name:           _ZN7rocprim17ROCPRIM_400000_NS6detail17trampoline_kernelINS0_14default_configENS1_35adjacent_difference_config_selectorILb1ElEEZNS1_24adjacent_difference_implIS3_Lb1ELb0EPlS7_ZN2at6native12_GLOBAL__N_124unique_dim_cuda_templateIsEESt5tupleIJNS8_6TensorESD_SD_EERKSD_lbbbEUlllE1_EE10hipError_tPvRmT2_T3_mT4_P12ihipStream_tbEUlT_E_NS1_11comp_targetILNS1_3genE10ELNS1_11target_archE1201ELNS1_3gpuE5ELNS1_3repE0EEENS1_30default_config_static_selectorELNS0_4arch9wavefront6targetE1EEEvT1_
    .private_segment_fixed_size: 0
    .sgpr_count:     6
    .sgpr_spill_count: 0
    .symbol:         _ZN7rocprim17ROCPRIM_400000_NS6detail17trampoline_kernelINS0_14default_configENS1_35adjacent_difference_config_selectorILb1ElEEZNS1_24adjacent_difference_implIS3_Lb1ELb0EPlS7_ZN2at6native12_GLOBAL__N_124unique_dim_cuda_templateIsEESt5tupleIJNS8_6TensorESD_SD_EERKSD_lbbbEUlllE1_EE10hipError_tPvRmT2_T3_mT4_P12ihipStream_tbEUlT_E_NS1_11comp_targetILNS1_3genE10ELNS1_11target_archE1201ELNS1_3gpuE5ELNS1_3repE0EEENS1_30default_config_static_selectorELNS0_4arch9wavefront6targetE1EEEvT1_.kd
    .uniform_work_group_size: 1
    .uses_dynamic_stack: false
    .vgpr_count:     0
    .vgpr_spill_count: 0
    .wavefront_size: 64
  - .agpr_count:     0
    .args:
      - .offset:         0
        .size:           64
        .value_kind:     by_value
    .group_segment_fixed_size: 22528
    .kernarg_segment_align: 8
    .kernarg_segment_size: 64
    .language:       OpenCL C
    .language_version:
      - 2
      - 0
    .max_flat_workgroup_size: 256
    .name:           _ZN7rocprim17ROCPRIM_400000_NS6detail17trampoline_kernelINS0_14default_configENS1_35adjacent_difference_config_selectorILb1ElEEZNS1_24adjacent_difference_implIS3_Lb1ELb0EPlS7_ZN2at6native12_GLOBAL__N_124unique_dim_cuda_templateIsEESt5tupleIJNS8_6TensorESD_SD_EERKSD_lbbbEUlllE1_EE10hipError_tPvRmT2_T3_mT4_P12ihipStream_tbEUlT_E_NS1_11comp_targetILNS1_3genE5ELNS1_11target_archE942ELNS1_3gpuE9ELNS1_3repE0EEENS1_30default_config_static_selectorELNS0_4arch9wavefront6targetE1EEEvT1_
    .private_segment_fixed_size: 0
    .sgpr_count:     44
    .sgpr_spill_count: 0
    .symbol:         _ZN7rocprim17ROCPRIM_400000_NS6detail17trampoline_kernelINS0_14default_configENS1_35adjacent_difference_config_selectorILb1ElEEZNS1_24adjacent_difference_implIS3_Lb1ELb0EPlS7_ZN2at6native12_GLOBAL__N_124unique_dim_cuda_templateIsEESt5tupleIJNS8_6TensorESD_SD_EERKSD_lbbbEUlllE1_EE10hipError_tPvRmT2_T3_mT4_P12ihipStream_tbEUlT_E_NS1_11comp_targetILNS1_3genE5ELNS1_11target_archE942ELNS1_3gpuE9ELNS1_3repE0EEENS1_30default_config_static_selectorELNS0_4arch9wavefront6targetE1EEEvT1_.kd
    .uniform_work_group_size: 1
    .uses_dynamic_stack: false
    .vgpr_count:     70
    .vgpr_spill_count: 0
    .wavefront_size: 64
  - .agpr_count:     0
    .args:
      - .offset:         0
        .size:           64
        .value_kind:     by_value
    .group_segment_fixed_size: 0
    .kernarg_segment_align: 8
    .kernarg_segment_size: 64
    .language:       OpenCL C
    .language_version:
      - 2
      - 0
    .max_flat_workgroup_size: 512
    .name:           _ZN7rocprim17ROCPRIM_400000_NS6detail17trampoline_kernelINS0_14default_configENS1_35adjacent_difference_config_selectorILb1ElEEZNS1_24adjacent_difference_implIS3_Lb1ELb0EPlS7_ZN2at6native12_GLOBAL__N_124unique_dim_cuda_templateIsEESt5tupleIJNS8_6TensorESD_SD_EERKSD_lbbbEUlllE1_EE10hipError_tPvRmT2_T3_mT4_P12ihipStream_tbEUlT_E_NS1_11comp_targetILNS1_3genE4ELNS1_11target_archE910ELNS1_3gpuE8ELNS1_3repE0EEENS1_30default_config_static_selectorELNS0_4arch9wavefront6targetE1EEEvT1_
    .private_segment_fixed_size: 0
    .sgpr_count:     6
    .sgpr_spill_count: 0
    .symbol:         _ZN7rocprim17ROCPRIM_400000_NS6detail17trampoline_kernelINS0_14default_configENS1_35adjacent_difference_config_selectorILb1ElEEZNS1_24adjacent_difference_implIS3_Lb1ELb0EPlS7_ZN2at6native12_GLOBAL__N_124unique_dim_cuda_templateIsEESt5tupleIJNS8_6TensorESD_SD_EERKSD_lbbbEUlllE1_EE10hipError_tPvRmT2_T3_mT4_P12ihipStream_tbEUlT_E_NS1_11comp_targetILNS1_3genE4ELNS1_11target_archE910ELNS1_3gpuE8ELNS1_3repE0EEENS1_30default_config_static_selectorELNS0_4arch9wavefront6targetE1EEEvT1_.kd
    .uniform_work_group_size: 1
    .uses_dynamic_stack: false
    .vgpr_count:     0
    .vgpr_spill_count: 0
    .wavefront_size: 64
  - .agpr_count:     0
    .args:
      - .offset:         0
        .size:           64
        .value_kind:     by_value
    .group_segment_fixed_size: 0
    .kernarg_segment_align: 8
    .kernarg_segment_size: 64
    .language:       OpenCL C
    .language_version:
      - 2
      - 0
    .max_flat_workgroup_size: 512
    .name:           _ZN7rocprim17ROCPRIM_400000_NS6detail17trampoline_kernelINS0_14default_configENS1_35adjacent_difference_config_selectorILb1ElEEZNS1_24adjacent_difference_implIS3_Lb1ELb0EPlS7_ZN2at6native12_GLOBAL__N_124unique_dim_cuda_templateIsEESt5tupleIJNS8_6TensorESD_SD_EERKSD_lbbbEUlllE1_EE10hipError_tPvRmT2_T3_mT4_P12ihipStream_tbEUlT_E_NS1_11comp_targetILNS1_3genE3ELNS1_11target_archE908ELNS1_3gpuE7ELNS1_3repE0EEENS1_30default_config_static_selectorELNS0_4arch9wavefront6targetE1EEEvT1_
    .private_segment_fixed_size: 0
    .sgpr_count:     6
    .sgpr_spill_count: 0
    .symbol:         _ZN7rocprim17ROCPRIM_400000_NS6detail17trampoline_kernelINS0_14default_configENS1_35adjacent_difference_config_selectorILb1ElEEZNS1_24adjacent_difference_implIS3_Lb1ELb0EPlS7_ZN2at6native12_GLOBAL__N_124unique_dim_cuda_templateIsEESt5tupleIJNS8_6TensorESD_SD_EERKSD_lbbbEUlllE1_EE10hipError_tPvRmT2_T3_mT4_P12ihipStream_tbEUlT_E_NS1_11comp_targetILNS1_3genE3ELNS1_11target_archE908ELNS1_3gpuE7ELNS1_3repE0EEENS1_30default_config_static_selectorELNS0_4arch9wavefront6targetE1EEEvT1_.kd
    .uniform_work_group_size: 1
    .uses_dynamic_stack: false
    .vgpr_count:     0
    .vgpr_spill_count: 0
    .wavefront_size: 64
  - .agpr_count:     0
    .args:
      - .offset:         0
        .size:           64
        .value_kind:     by_value
    .group_segment_fixed_size: 0
    .kernarg_segment_align: 8
    .kernarg_segment_size: 64
    .language:       OpenCL C
    .language_version:
      - 2
      - 0
    .max_flat_workgroup_size: 128
    .name:           _ZN7rocprim17ROCPRIM_400000_NS6detail17trampoline_kernelINS0_14default_configENS1_35adjacent_difference_config_selectorILb1ElEEZNS1_24adjacent_difference_implIS3_Lb1ELb0EPlS7_ZN2at6native12_GLOBAL__N_124unique_dim_cuda_templateIsEESt5tupleIJNS8_6TensorESD_SD_EERKSD_lbbbEUlllE1_EE10hipError_tPvRmT2_T3_mT4_P12ihipStream_tbEUlT_E_NS1_11comp_targetILNS1_3genE2ELNS1_11target_archE906ELNS1_3gpuE6ELNS1_3repE0EEENS1_30default_config_static_selectorELNS0_4arch9wavefront6targetE1EEEvT1_
    .private_segment_fixed_size: 0
    .sgpr_count:     6
    .sgpr_spill_count: 0
    .symbol:         _ZN7rocprim17ROCPRIM_400000_NS6detail17trampoline_kernelINS0_14default_configENS1_35adjacent_difference_config_selectorILb1ElEEZNS1_24adjacent_difference_implIS3_Lb1ELb0EPlS7_ZN2at6native12_GLOBAL__N_124unique_dim_cuda_templateIsEESt5tupleIJNS8_6TensorESD_SD_EERKSD_lbbbEUlllE1_EE10hipError_tPvRmT2_T3_mT4_P12ihipStream_tbEUlT_E_NS1_11comp_targetILNS1_3genE2ELNS1_11target_archE906ELNS1_3gpuE6ELNS1_3repE0EEENS1_30default_config_static_selectorELNS0_4arch9wavefront6targetE1EEEvT1_.kd
    .uniform_work_group_size: 1
    .uses_dynamic_stack: false
    .vgpr_count:     0
    .vgpr_spill_count: 0
    .wavefront_size: 64
  - .agpr_count:     0
    .args:
      - .offset:         0
        .size:           64
        .value_kind:     by_value
    .group_segment_fixed_size: 0
    .kernarg_segment_align: 8
    .kernarg_segment_size: 64
    .language:       OpenCL C
    .language_version:
      - 2
      - 0
    .max_flat_workgroup_size: 128
    .name:           _ZN7rocprim17ROCPRIM_400000_NS6detail17trampoline_kernelINS0_14default_configENS1_35adjacent_difference_config_selectorILb1ElEEZNS1_24adjacent_difference_implIS3_Lb1ELb0EPlS7_ZN2at6native12_GLOBAL__N_124unique_dim_cuda_templateIsEESt5tupleIJNS8_6TensorESD_SD_EERKSD_lbbbEUlllE1_EE10hipError_tPvRmT2_T3_mT4_P12ihipStream_tbEUlT_E_NS1_11comp_targetILNS1_3genE9ELNS1_11target_archE1100ELNS1_3gpuE3ELNS1_3repE0EEENS1_30default_config_static_selectorELNS0_4arch9wavefront6targetE1EEEvT1_
    .private_segment_fixed_size: 0
    .sgpr_count:     6
    .sgpr_spill_count: 0
    .symbol:         _ZN7rocprim17ROCPRIM_400000_NS6detail17trampoline_kernelINS0_14default_configENS1_35adjacent_difference_config_selectorILb1ElEEZNS1_24adjacent_difference_implIS3_Lb1ELb0EPlS7_ZN2at6native12_GLOBAL__N_124unique_dim_cuda_templateIsEESt5tupleIJNS8_6TensorESD_SD_EERKSD_lbbbEUlllE1_EE10hipError_tPvRmT2_T3_mT4_P12ihipStream_tbEUlT_E_NS1_11comp_targetILNS1_3genE9ELNS1_11target_archE1100ELNS1_3gpuE3ELNS1_3repE0EEENS1_30default_config_static_selectorELNS0_4arch9wavefront6targetE1EEEvT1_.kd
    .uniform_work_group_size: 1
    .uses_dynamic_stack: false
    .vgpr_count:     0
    .vgpr_spill_count: 0
    .wavefront_size: 64
  - .agpr_count:     0
    .args:
      - .offset:         0
        .size:           64
        .value_kind:     by_value
    .group_segment_fixed_size: 0
    .kernarg_segment_align: 8
    .kernarg_segment_size: 64
    .language:       OpenCL C
    .language_version:
      - 2
      - 0
    .max_flat_workgroup_size: 32
    .name:           _ZN7rocprim17ROCPRIM_400000_NS6detail17trampoline_kernelINS0_14default_configENS1_35adjacent_difference_config_selectorILb1ElEEZNS1_24adjacent_difference_implIS3_Lb1ELb0EPlS7_ZN2at6native12_GLOBAL__N_124unique_dim_cuda_templateIsEESt5tupleIJNS8_6TensorESD_SD_EERKSD_lbbbEUlllE1_EE10hipError_tPvRmT2_T3_mT4_P12ihipStream_tbEUlT_E_NS1_11comp_targetILNS1_3genE8ELNS1_11target_archE1030ELNS1_3gpuE2ELNS1_3repE0EEENS1_30default_config_static_selectorELNS0_4arch9wavefront6targetE1EEEvT1_
    .private_segment_fixed_size: 0
    .sgpr_count:     6
    .sgpr_spill_count: 0
    .symbol:         _ZN7rocprim17ROCPRIM_400000_NS6detail17trampoline_kernelINS0_14default_configENS1_35adjacent_difference_config_selectorILb1ElEEZNS1_24adjacent_difference_implIS3_Lb1ELb0EPlS7_ZN2at6native12_GLOBAL__N_124unique_dim_cuda_templateIsEESt5tupleIJNS8_6TensorESD_SD_EERKSD_lbbbEUlllE1_EE10hipError_tPvRmT2_T3_mT4_P12ihipStream_tbEUlT_E_NS1_11comp_targetILNS1_3genE8ELNS1_11target_archE1030ELNS1_3gpuE2ELNS1_3repE0EEENS1_30default_config_static_selectorELNS0_4arch9wavefront6targetE1EEEvT1_.kd
    .uniform_work_group_size: 1
    .uses_dynamic_stack: false
    .vgpr_count:     0
    .vgpr_spill_count: 0
    .wavefront_size: 64
  - .agpr_count:     0
    .args:
      - .offset:         0
        .size:           120
        .value_kind:     by_value
    .group_segment_fixed_size: 0
    .kernarg_segment_align: 8
    .kernarg_segment_size: 120
    .language:       OpenCL C
    .language_version:
      - 2
      - 0
    .max_flat_workgroup_size: 512
    .name:           _ZN7rocprim17ROCPRIM_400000_NS6detail17trampoline_kernelINS0_14default_configENS1_25partition_config_selectorILNS1_17partition_subalgoE8ElNS0_10empty_typeEbEEZZNS1_14partition_implILS5_8ELb0ES3_jPlPS6_PKS6_NS0_5tupleIJS9_S6_EEENSD_IJSA_SA_EEENS0_18inequality_wrapperIZN2at6native12_GLOBAL__N_124unique_dim_cuda_templateIsEESt5tupleIJNSH_6TensorESM_SM_EERKSM_lbbbEUlllE0_EEPmJS6_EEE10hipError_tPvRmT3_T4_T5_T6_T7_T9_mT8_P12ihipStream_tbDpT10_ENKUlT_T0_E_clISt17integral_constantIbLb0EES1C_EEDaS17_S18_EUlS17_E_NS1_11comp_targetILNS1_3genE0ELNS1_11target_archE4294967295ELNS1_3gpuE0ELNS1_3repE0EEENS1_30default_config_static_selectorELNS0_4arch9wavefront6targetE1EEEvT1_
    .private_segment_fixed_size: 0
    .sgpr_count:     6
    .sgpr_spill_count: 0
    .symbol:         _ZN7rocprim17ROCPRIM_400000_NS6detail17trampoline_kernelINS0_14default_configENS1_25partition_config_selectorILNS1_17partition_subalgoE8ElNS0_10empty_typeEbEEZZNS1_14partition_implILS5_8ELb0ES3_jPlPS6_PKS6_NS0_5tupleIJS9_S6_EEENSD_IJSA_SA_EEENS0_18inequality_wrapperIZN2at6native12_GLOBAL__N_124unique_dim_cuda_templateIsEESt5tupleIJNSH_6TensorESM_SM_EERKSM_lbbbEUlllE0_EEPmJS6_EEE10hipError_tPvRmT3_T4_T5_T6_T7_T9_mT8_P12ihipStream_tbDpT10_ENKUlT_T0_E_clISt17integral_constantIbLb0EES1C_EEDaS17_S18_EUlS17_E_NS1_11comp_targetILNS1_3genE0ELNS1_11target_archE4294967295ELNS1_3gpuE0ELNS1_3repE0EEENS1_30default_config_static_selectorELNS0_4arch9wavefront6targetE1EEEvT1_.kd
    .uniform_work_group_size: 1
    .uses_dynamic_stack: false
    .vgpr_count:     0
    .vgpr_spill_count: 0
    .wavefront_size: 64
  - .agpr_count:     0
    .args:
      - .offset:         0
        .size:           120
        .value_kind:     by_value
    .group_segment_fixed_size: 28684
    .kernarg_segment_align: 8
    .kernarg_segment_size: 120
    .language:       OpenCL C
    .language_version:
      - 2
      - 0
    .max_flat_workgroup_size: 512
    .name:           _ZN7rocprim17ROCPRIM_400000_NS6detail17trampoline_kernelINS0_14default_configENS1_25partition_config_selectorILNS1_17partition_subalgoE8ElNS0_10empty_typeEbEEZZNS1_14partition_implILS5_8ELb0ES3_jPlPS6_PKS6_NS0_5tupleIJS9_S6_EEENSD_IJSA_SA_EEENS0_18inequality_wrapperIZN2at6native12_GLOBAL__N_124unique_dim_cuda_templateIsEESt5tupleIJNSH_6TensorESM_SM_EERKSM_lbbbEUlllE0_EEPmJS6_EEE10hipError_tPvRmT3_T4_T5_T6_T7_T9_mT8_P12ihipStream_tbDpT10_ENKUlT_T0_E_clISt17integral_constantIbLb0EES1C_EEDaS17_S18_EUlS17_E_NS1_11comp_targetILNS1_3genE5ELNS1_11target_archE942ELNS1_3gpuE9ELNS1_3repE0EEENS1_30default_config_static_selectorELNS0_4arch9wavefront6targetE1EEEvT1_
    .private_segment_fixed_size: 0
    .sgpr_count:     58
    .sgpr_spill_count: 0
    .symbol:         _ZN7rocprim17ROCPRIM_400000_NS6detail17trampoline_kernelINS0_14default_configENS1_25partition_config_selectorILNS1_17partition_subalgoE8ElNS0_10empty_typeEbEEZZNS1_14partition_implILS5_8ELb0ES3_jPlPS6_PKS6_NS0_5tupleIJS9_S6_EEENSD_IJSA_SA_EEENS0_18inequality_wrapperIZN2at6native12_GLOBAL__N_124unique_dim_cuda_templateIsEESt5tupleIJNSH_6TensorESM_SM_EERKSM_lbbbEUlllE0_EEPmJS6_EEE10hipError_tPvRmT3_T4_T5_T6_T7_T9_mT8_P12ihipStream_tbDpT10_ENKUlT_T0_E_clISt17integral_constantIbLb0EES1C_EEDaS17_S18_EUlS17_E_NS1_11comp_targetILNS1_3genE5ELNS1_11target_archE942ELNS1_3gpuE9ELNS1_3repE0EEENS1_30default_config_static_selectorELNS0_4arch9wavefront6targetE1EEEvT1_.kd
    .uniform_work_group_size: 1
    .uses_dynamic_stack: false
    .vgpr_count:     52
    .vgpr_spill_count: 0
    .wavefront_size: 64
  - .agpr_count:     0
    .args:
      - .offset:         0
        .size:           120
        .value_kind:     by_value
    .group_segment_fixed_size: 0
    .kernarg_segment_align: 8
    .kernarg_segment_size: 120
    .language:       OpenCL C
    .language_version:
      - 2
      - 0
    .max_flat_workgroup_size: 256
    .name:           _ZN7rocprim17ROCPRIM_400000_NS6detail17trampoline_kernelINS0_14default_configENS1_25partition_config_selectorILNS1_17partition_subalgoE8ElNS0_10empty_typeEbEEZZNS1_14partition_implILS5_8ELb0ES3_jPlPS6_PKS6_NS0_5tupleIJS9_S6_EEENSD_IJSA_SA_EEENS0_18inequality_wrapperIZN2at6native12_GLOBAL__N_124unique_dim_cuda_templateIsEESt5tupleIJNSH_6TensorESM_SM_EERKSM_lbbbEUlllE0_EEPmJS6_EEE10hipError_tPvRmT3_T4_T5_T6_T7_T9_mT8_P12ihipStream_tbDpT10_ENKUlT_T0_E_clISt17integral_constantIbLb0EES1C_EEDaS17_S18_EUlS17_E_NS1_11comp_targetILNS1_3genE4ELNS1_11target_archE910ELNS1_3gpuE8ELNS1_3repE0EEENS1_30default_config_static_selectorELNS0_4arch9wavefront6targetE1EEEvT1_
    .private_segment_fixed_size: 0
    .sgpr_count:     6
    .sgpr_spill_count: 0
    .symbol:         _ZN7rocprim17ROCPRIM_400000_NS6detail17trampoline_kernelINS0_14default_configENS1_25partition_config_selectorILNS1_17partition_subalgoE8ElNS0_10empty_typeEbEEZZNS1_14partition_implILS5_8ELb0ES3_jPlPS6_PKS6_NS0_5tupleIJS9_S6_EEENSD_IJSA_SA_EEENS0_18inequality_wrapperIZN2at6native12_GLOBAL__N_124unique_dim_cuda_templateIsEESt5tupleIJNSH_6TensorESM_SM_EERKSM_lbbbEUlllE0_EEPmJS6_EEE10hipError_tPvRmT3_T4_T5_T6_T7_T9_mT8_P12ihipStream_tbDpT10_ENKUlT_T0_E_clISt17integral_constantIbLb0EES1C_EEDaS17_S18_EUlS17_E_NS1_11comp_targetILNS1_3genE4ELNS1_11target_archE910ELNS1_3gpuE8ELNS1_3repE0EEENS1_30default_config_static_selectorELNS0_4arch9wavefront6targetE1EEEvT1_.kd
    .uniform_work_group_size: 1
    .uses_dynamic_stack: false
    .vgpr_count:     0
    .vgpr_spill_count: 0
    .wavefront_size: 64
  - .agpr_count:     0
    .args:
      - .offset:         0
        .size:           120
        .value_kind:     by_value
    .group_segment_fixed_size: 0
    .kernarg_segment_align: 8
    .kernarg_segment_size: 120
    .language:       OpenCL C
    .language_version:
      - 2
      - 0
    .max_flat_workgroup_size: 512
    .name:           _ZN7rocprim17ROCPRIM_400000_NS6detail17trampoline_kernelINS0_14default_configENS1_25partition_config_selectorILNS1_17partition_subalgoE8ElNS0_10empty_typeEbEEZZNS1_14partition_implILS5_8ELb0ES3_jPlPS6_PKS6_NS0_5tupleIJS9_S6_EEENSD_IJSA_SA_EEENS0_18inequality_wrapperIZN2at6native12_GLOBAL__N_124unique_dim_cuda_templateIsEESt5tupleIJNSH_6TensorESM_SM_EERKSM_lbbbEUlllE0_EEPmJS6_EEE10hipError_tPvRmT3_T4_T5_T6_T7_T9_mT8_P12ihipStream_tbDpT10_ENKUlT_T0_E_clISt17integral_constantIbLb0EES1C_EEDaS17_S18_EUlS17_E_NS1_11comp_targetILNS1_3genE3ELNS1_11target_archE908ELNS1_3gpuE7ELNS1_3repE0EEENS1_30default_config_static_selectorELNS0_4arch9wavefront6targetE1EEEvT1_
    .private_segment_fixed_size: 0
    .sgpr_count:     6
    .sgpr_spill_count: 0
    .symbol:         _ZN7rocprim17ROCPRIM_400000_NS6detail17trampoline_kernelINS0_14default_configENS1_25partition_config_selectorILNS1_17partition_subalgoE8ElNS0_10empty_typeEbEEZZNS1_14partition_implILS5_8ELb0ES3_jPlPS6_PKS6_NS0_5tupleIJS9_S6_EEENSD_IJSA_SA_EEENS0_18inequality_wrapperIZN2at6native12_GLOBAL__N_124unique_dim_cuda_templateIsEESt5tupleIJNSH_6TensorESM_SM_EERKSM_lbbbEUlllE0_EEPmJS6_EEE10hipError_tPvRmT3_T4_T5_T6_T7_T9_mT8_P12ihipStream_tbDpT10_ENKUlT_T0_E_clISt17integral_constantIbLb0EES1C_EEDaS17_S18_EUlS17_E_NS1_11comp_targetILNS1_3genE3ELNS1_11target_archE908ELNS1_3gpuE7ELNS1_3repE0EEENS1_30default_config_static_selectorELNS0_4arch9wavefront6targetE1EEEvT1_.kd
    .uniform_work_group_size: 1
    .uses_dynamic_stack: false
    .vgpr_count:     0
    .vgpr_spill_count: 0
    .wavefront_size: 64
  - .agpr_count:     0
    .args:
      - .offset:         0
        .size:           120
        .value_kind:     by_value
    .group_segment_fixed_size: 0
    .kernarg_segment_align: 8
    .kernarg_segment_size: 120
    .language:       OpenCL C
    .language_version:
      - 2
      - 0
    .max_flat_workgroup_size: 256
    .name:           _ZN7rocprim17ROCPRIM_400000_NS6detail17trampoline_kernelINS0_14default_configENS1_25partition_config_selectorILNS1_17partition_subalgoE8ElNS0_10empty_typeEbEEZZNS1_14partition_implILS5_8ELb0ES3_jPlPS6_PKS6_NS0_5tupleIJS9_S6_EEENSD_IJSA_SA_EEENS0_18inequality_wrapperIZN2at6native12_GLOBAL__N_124unique_dim_cuda_templateIsEESt5tupleIJNSH_6TensorESM_SM_EERKSM_lbbbEUlllE0_EEPmJS6_EEE10hipError_tPvRmT3_T4_T5_T6_T7_T9_mT8_P12ihipStream_tbDpT10_ENKUlT_T0_E_clISt17integral_constantIbLb0EES1C_EEDaS17_S18_EUlS17_E_NS1_11comp_targetILNS1_3genE2ELNS1_11target_archE906ELNS1_3gpuE6ELNS1_3repE0EEENS1_30default_config_static_selectorELNS0_4arch9wavefront6targetE1EEEvT1_
    .private_segment_fixed_size: 0
    .sgpr_count:     6
    .sgpr_spill_count: 0
    .symbol:         _ZN7rocprim17ROCPRIM_400000_NS6detail17trampoline_kernelINS0_14default_configENS1_25partition_config_selectorILNS1_17partition_subalgoE8ElNS0_10empty_typeEbEEZZNS1_14partition_implILS5_8ELb0ES3_jPlPS6_PKS6_NS0_5tupleIJS9_S6_EEENSD_IJSA_SA_EEENS0_18inequality_wrapperIZN2at6native12_GLOBAL__N_124unique_dim_cuda_templateIsEESt5tupleIJNSH_6TensorESM_SM_EERKSM_lbbbEUlllE0_EEPmJS6_EEE10hipError_tPvRmT3_T4_T5_T6_T7_T9_mT8_P12ihipStream_tbDpT10_ENKUlT_T0_E_clISt17integral_constantIbLb0EES1C_EEDaS17_S18_EUlS17_E_NS1_11comp_targetILNS1_3genE2ELNS1_11target_archE906ELNS1_3gpuE6ELNS1_3repE0EEENS1_30default_config_static_selectorELNS0_4arch9wavefront6targetE1EEEvT1_.kd
    .uniform_work_group_size: 1
    .uses_dynamic_stack: false
    .vgpr_count:     0
    .vgpr_spill_count: 0
    .wavefront_size: 64
  - .agpr_count:     0
    .args:
      - .offset:         0
        .size:           120
        .value_kind:     by_value
    .group_segment_fixed_size: 0
    .kernarg_segment_align: 8
    .kernarg_segment_size: 120
    .language:       OpenCL C
    .language_version:
      - 2
      - 0
    .max_flat_workgroup_size: 384
    .name:           _ZN7rocprim17ROCPRIM_400000_NS6detail17trampoline_kernelINS0_14default_configENS1_25partition_config_selectorILNS1_17partition_subalgoE8ElNS0_10empty_typeEbEEZZNS1_14partition_implILS5_8ELb0ES3_jPlPS6_PKS6_NS0_5tupleIJS9_S6_EEENSD_IJSA_SA_EEENS0_18inequality_wrapperIZN2at6native12_GLOBAL__N_124unique_dim_cuda_templateIsEESt5tupleIJNSH_6TensorESM_SM_EERKSM_lbbbEUlllE0_EEPmJS6_EEE10hipError_tPvRmT3_T4_T5_T6_T7_T9_mT8_P12ihipStream_tbDpT10_ENKUlT_T0_E_clISt17integral_constantIbLb0EES1C_EEDaS17_S18_EUlS17_E_NS1_11comp_targetILNS1_3genE10ELNS1_11target_archE1200ELNS1_3gpuE4ELNS1_3repE0EEENS1_30default_config_static_selectorELNS0_4arch9wavefront6targetE1EEEvT1_
    .private_segment_fixed_size: 0
    .sgpr_count:     6
    .sgpr_spill_count: 0
    .symbol:         _ZN7rocprim17ROCPRIM_400000_NS6detail17trampoline_kernelINS0_14default_configENS1_25partition_config_selectorILNS1_17partition_subalgoE8ElNS0_10empty_typeEbEEZZNS1_14partition_implILS5_8ELb0ES3_jPlPS6_PKS6_NS0_5tupleIJS9_S6_EEENSD_IJSA_SA_EEENS0_18inequality_wrapperIZN2at6native12_GLOBAL__N_124unique_dim_cuda_templateIsEESt5tupleIJNSH_6TensorESM_SM_EERKSM_lbbbEUlllE0_EEPmJS6_EEE10hipError_tPvRmT3_T4_T5_T6_T7_T9_mT8_P12ihipStream_tbDpT10_ENKUlT_T0_E_clISt17integral_constantIbLb0EES1C_EEDaS17_S18_EUlS17_E_NS1_11comp_targetILNS1_3genE10ELNS1_11target_archE1200ELNS1_3gpuE4ELNS1_3repE0EEENS1_30default_config_static_selectorELNS0_4arch9wavefront6targetE1EEEvT1_.kd
    .uniform_work_group_size: 1
    .uses_dynamic_stack: false
    .vgpr_count:     0
    .vgpr_spill_count: 0
    .wavefront_size: 64
  - .agpr_count:     0
    .args:
      - .offset:         0
        .size:           120
        .value_kind:     by_value
    .group_segment_fixed_size: 0
    .kernarg_segment_align: 8
    .kernarg_segment_size: 120
    .language:       OpenCL C
    .language_version:
      - 2
      - 0
    .max_flat_workgroup_size: 512
    .name:           _ZN7rocprim17ROCPRIM_400000_NS6detail17trampoline_kernelINS0_14default_configENS1_25partition_config_selectorILNS1_17partition_subalgoE8ElNS0_10empty_typeEbEEZZNS1_14partition_implILS5_8ELb0ES3_jPlPS6_PKS6_NS0_5tupleIJS9_S6_EEENSD_IJSA_SA_EEENS0_18inequality_wrapperIZN2at6native12_GLOBAL__N_124unique_dim_cuda_templateIsEESt5tupleIJNSH_6TensorESM_SM_EERKSM_lbbbEUlllE0_EEPmJS6_EEE10hipError_tPvRmT3_T4_T5_T6_T7_T9_mT8_P12ihipStream_tbDpT10_ENKUlT_T0_E_clISt17integral_constantIbLb0EES1C_EEDaS17_S18_EUlS17_E_NS1_11comp_targetILNS1_3genE9ELNS1_11target_archE1100ELNS1_3gpuE3ELNS1_3repE0EEENS1_30default_config_static_selectorELNS0_4arch9wavefront6targetE1EEEvT1_
    .private_segment_fixed_size: 0
    .sgpr_count:     6
    .sgpr_spill_count: 0
    .symbol:         _ZN7rocprim17ROCPRIM_400000_NS6detail17trampoline_kernelINS0_14default_configENS1_25partition_config_selectorILNS1_17partition_subalgoE8ElNS0_10empty_typeEbEEZZNS1_14partition_implILS5_8ELb0ES3_jPlPS6_PKS6_NS0_5tupleIJS9_S6_EEENSD_IJSA_SA_EEENS0_18inequality_wrapperIZN2at6native12_GLOBAL__N_124unique_dim_cuda_templateIsEESt5tupleIJNSH_6TensorESM_SM_EERKSM_lbbbEUlllE0_EEPmJS6_EEE10hipError_tPvRmT3_T4_T5_T6_T7_T9_mT8_P12ihipStream_tbDpT10_ENKUlT_T0_E_clISt17integral_constantIbLb0EES1C_EEDaS17_S18_EUlS17_E_NS1_11comp_targetILNS1_3genE9ELNS1_11target_archE1100ELNS1_3gpuE3ELNS1_3repE0EEENS1_30default_config_static_selectorELNS0_4arch9wavefront6targetE1EEEvT1_.kd
    .uniform_work_group_size: 1
    .uses_dynamic_stack: false
    .vgpr_count:     0
    .vgpr_spill_count: 0
    .wavefront_size: 64
  - .agpr_count:     0
    .args:
      - .offset:         0
        .size:           120
        .value_kind:     by_value
    .group_segment_fixed_size: 0
    .kernarg_segment_align: 8
    .kernarg_segment_size: 120
    .language:       OpenCL C
    .language_version:
      - 2
      - 0
    .max_flat_workgroup_size: 512
    .name:           _ZN7rocprim17ROCPRIM_400000_NS6detail17trampoline_kernelINS0_14default_configENS1_25partition_config_selectorILNS1_17partition_subalgoE8ElNS0_10empty_typeEbEEZZNS1_14partition_implILS5_8ELb0ES3_jPlPS6_PKS6_NS0_5tupleIJS9_S6_EEENSD_IJSA_SA_EEENS0_18inequality_wrapperIZN2at6native12_GLOBAL__N_124unique_dim_cuda_templateIsEESt5tupleIJNSH_6TensorESM_SM_EERKSM_lbbbEUlllE0_EEPmJS6_EEE10hipError_tPvRmT3_T4_T5_T6_T7_T9_mT8_P12ihipStream_tbDpT10_ENKUlT_T0_E_clISt17integral_constantIbLb0EES1C_EEDaS17_S18_EUlS17_E_NS1_11comp_targetILNS1_3genE8ELNS1_11target_archE1030ELNS1_3gpuE2ELNS1_3repE0EEENS1_30default_config_static_selectorELNS0_4arch9wavefront6targetE1EEEvT1_
    .private_segment_fixed_size: 0
    .sgpr_count:     6
    .sgpr_spill_count: 0
    .symbol:         _ZN7rocprim17ROCPRIM_400000_NS6detail17trampoline_kernelINS0_14default_configENS1_25partition_config_selectorILNS1_17partition_subalgoE8ElNS0_10empty_typeEbEEZZNS1_14partition_implILS5_8ELb0ES3_jPlPS6_PKS6_NS0_5tupleIJS9_S6_EEENSD_IJSA_SA_EEENS0_18inequality_wrapperIZN2at6native12_GLOBAL__N_124unique_dim_cuda_templateIsEESt5tupleIJNSH_6TensorESM_SM_EERKSM_lbbbEUlllE0_EEPmJS6_EEE10hipError_tPvRmT3_T4_T5_T6_T7_T9_mT8_P12ihipStream_tbDpT10_ENKUlT_T0_E_clISt17integral_constantIbLb0EES1C_EEDaS17_S18_EUlS17_E_NS1_11comp_targetILNS1_3genE8ELNS1_11target_archE1030ELNS1_3gpuE2ELNS1_3repE0EEENS1_30default_config_static_selectorELNS0_4arch9wavefront6targetE1EEEvT1_.kd
    .uniform_work_group_size: 1
    .uses_dynamic_stack: false
    .vgpr_count:     0
    .vgpr_spill_count: 0
    .wavefront_size: 64
  - .agpr_count:     0
    .args:
      - .offset:         0
        .size:           136
        .value_kind:     by_value
    .group_segment_fixed_size: 0
    .kernarg_segment_align: 8
    .kernarg_segment_size: 136
    .language:       OpenCL C
    .language_version:
      - 2
      - 0
    .max_flat_workgroup_size: 512
    .name:           _ZN7rocprim17ROCPRIM_400000_NS6detail17trampoline_kernelINS0_14default_configENS1_25partition_config_selectorILNS1_17partition_subalgoE8ElNS0_10empty_typeEbEEZZNS1_14partition_implILS5_8ELb0ES3_jPlPS6_PKS6_NS0_5tupleIJS9_S6_EEENSD_IJSA_SA_EEENS0_18inequality_wrapperIZN2at6native12_GLOBAL__N_124unique_dim_cuda_templateIsEESt5tupleIJNSH_6TensorESM_SM_EERKSM_lbbbEUlllE0_EEPmJS6_EEE10hipError_tPvRmT3_T4_T5_T6_T7_T9_mT8_P12ihipStream_tbDpT10_ENKUlT_T0_E_clISt17integral_constantIbLb1EES1C_EEDaS17_S18_EUlS17_E_NS1_11comp_targetILNS1_3genE0ELNS1_11target_archE4294967295ELNS1_3gpuE0ELNS1_3repE0EEENS1_30default_config_static_selectorELNS0_4arch9wavefront6targetE1EEEvT1_
    .private_segment_fixed_size: 0
    .sgpr_count:     6
    .sgpr_spill_count: 0
    .symbol:         _ZN7rocprim17ROCPRIM_400000_NS6detail17trampoline_kernelINS0_14default_configENS1_25partition_config_selectorILNS1_17partition_subalgoE8ElNS0_10empty_typeEbEEZZNS1_14partition_implILS5_8ELb0ES3_jPlPS6_PKS6_NS0_5tupleIJS9_S6_EEENSD_IJSA_SA_EEENS0_18inequality_wrapperIZN2at6native12_GLOBAL__N_124unique_dim_cuda_templateIsEESt5tupleIJNSH_6TensorESM_SM_EERKSM_lbbbEUlllE0_EEPmJS6_EEE10hipError_tPvRmT3_T4_T5_T6_T7_T9_mT8_P12ihipStream_tbDpT10_ENKUlT_T0_E_clISt17integral_constantIbLb1EES1C_EEDaS17_S18_EUlS17_E_NS1_11comp_targetILNS1_3genE0ELNS1_11target_archE4294967295ELNS1_3gpuE0ELNS1_3repE0EEENS1_30default_config_static_selectorELNS0_4arch9wavefront6targetE1EEEvT1_.kd
    .uniform_work_group_size: 1
    .uses_dynamic_stack: false
    .vgpr_count:     0
    .vgpr_spill_count: 0
    .wavefront_size: 64
  - .agpr_count:     0
    .args:
      - .offset:         0
        .size:           136
        .value_kind:     by_value
    .group_segment_fixed_size: 28684
    .kernarg_segment_align: 8
    .kernarg_segment_size: 136
    .language:       OpenCL C
    .language_version:
      - 2
      - 0
    .max_flat_workgroup_size: 512
    .name:           _ZN7rocprim17ROCPRIM_400000_NS6detail17trampoline_kernelINS0_14default_configENS1_25partition_config_selectorILNS1_17partition_subalgoE8ElNS0_10empty_typeEbEEZZNS1_14partition_implILS5_8ELb0ES3_jPlPS6_PKS6_NS0_5tupleIJS9_S6_EEENSD_IJSA_SA_EEENS0_18inequality_wrapperIZN2at6native12_GLOBAL__N_124unique_dim_cuda_templateIsEESt5tupleIJNSH_6TensorESM_SM_EERKSM_lbbbEUlllE0_EEPmJS6_EEE10hipError_tPvRmT3_T4_T5_T6_T7_T9_mT8_P12ihipStream_tbDpT10_ENKUlT_T0_E_clISt17integral_constantIbLb1EES1C_EEDaS17_S18_EUlS17_E_NS1_11comp_targetILNS1_3genE5ELNS1_11target_archE942ELNS1_3gpuE9ELNS1_3repE0EEENS1_30default_config_static_selectorELNS0_4arch9wavefront6targetE1EEEvT1_
    .private_segment_fixed_size: 0
    .sgpr_count:     62
    .sgpr_spill_count: 0
    .symbol:         _ZN7rocprim17ROCPRIM_400000_NS6detail17trampoline_kernelINS0_14default_configENS1_25partition_config_selectorILNS1_17partition_subalgoE8ElNS0_10empty_typeEbEEZZNS1_14partition_implILS5_8ELb0ES3_jPlPS6_PKS6_NS0_5tupleIJS9_S6_EEENSD_IJSA_SA_EEENS0_18inequality_wrapperIZN2at6native12_GLOBAL__N_124unique_dim_cuda_templateIsEESt5tupleIJNSH_6TensorESM_SM_EERKSM_lbbbEUlllE0_EEPmJS6_EEE10hipError_tPvRmT3_T4_T5_T6_T7_T9_mT8_P12ihipStream_tbDpT10_ENKUlT_T0_E_clISt17integral_constantIbLb1EES1C_EEDaS17_S18_EUlS17_E_NS1_11comp_targetILNS1_3genE5ELNS1_11target_archE942ELNS1_3gpuE9ELNS1_3repE0EEENS1_30default_config_static_selectorELNS0_4arch9wavefront6targetE1EEEvT1_.kd
    .uniform_work_group_size: 1
    .uses_dynamic_stack: false
    .vgpr_count:     52
    .vgpr_spill_count: 0
    .wavefront_size: 64
  - .agpr_count:     0
    .args:
      - .offset:         0
        .size:           136
        .value_kind:     by_value
    .group_segment_fixed_size: 0
    .kernarg_segment_align: 8
    .kernarg_segment_size: 136
    .language:       OpenCL C
    .language_version:
      - 2
      - 0
    .max_flat_workgroup_size: 256
    .name:           _ZN7rocprim17ROCPRIM_400000_NS6detail17trampoline_kernelINS0_14default_configENS1_25partition_config_selectorILNS1_17partition_subalgoE8ElNS0_10empty_typeEbEEZZNS1_14partition_implILS5_8ELb0ES3_jPlPS6_PKS6_NS0_5tupleIJS9_S6_EEENSD_IJSA_SA_EEENS0_18inequality_wrapperIZN2at6native12_GLOBAL__N_124unique_dim_cuda_templateIsEESt5tupleIJNSH_6TensorESM_SM_EERKSM_lbbbEUlllE0_EEPmJS6_EEE10hipError_tPvRmT3_T4_T5_T6_T7_T9_mT8_P12ihipStream_tbDpT10_ENKUlT_T0_E_clISt17integral_constantIbLb1EES1C_EEDaS17_S18_EUlS17_E_NS1_11comp_targetILNS1_3genE4ELNS1_11target_archE910ELNS1_3gpuE8ELNS1_3repE0EEENS1_30default_config_static_selectorELNS0_4arch9wavefront6targetE1EEEvT1_
    .private_segment_fixed_size: 0
    .sgpr_count:     6
    .sgpr_spill_count: 0
    .symbol:         _ZN7rocprim17ROCPRIM_400000_NS6detail17trampoline_kernelINS0_14default_configENS1_25partition_config_selectorILNS1_17partition_subalgoE8ElNS0_10empty_typeEbEEZZNS1_14partition_implILS5_8ELb0ES3_jPlPS6_PKS6_NS0_5tupleIJS9_S6_EEENSD_IJSA_SA_EEENS0_18inequality_wrapperIZN2at6native12_GLOBAL__N_124unique_dim_cuda_templateIsEESt5tupleIJNSH_6TensorESM_SM_EERKSM_lbbbEUlllE0_EEPmJS6_EEE10hipError_tPvRmT3_T4_T5_T6_T7_T9_mT8_P12ihipStream_tbDpT10_ENKUlT_T0_E_clISt17integral_constantIbLb1EES1C_EEDaS17_S18_EUlS17_E_NS1_11comp_targetILNS1_3genE4ELNS1_11target_archE910ELNS1_3gpuE8ELNS1_3repE0EEENS1_30default_config_static_selectorELNS0_4arch9wavefront6targetE1EEEvT1_.kd
    .uniform_work_group_size: 1
    .uses_dynamic_stack: false
    .vgpr_count:     0
    .vgpr_spill_count: 0
    .wavefront_size: 64
  - .agpr_count:     0
    .args:
      - .offset:         0
        .size:           136
        .value_kind:     by_value
    .group_segment_fixed_size: 0
    .kernarg_segment_align: 8
    .kernarg_segment_size: 136
    .language:       OpenCL C
    .language_version:
      - 2
      - 0
    .max_flat_workgroup_size: 512
    .name:           _ZN7rocprim17ROCPRIM_400000_NS6detail17trampoline_kernelINS0_14default_configENS1_25partition_config_selectorILNS1_17partition_subalgoE8ElNS0_10empty_typeEbEEZZNS1_14partition_implILS5_8ELb0ES3_jPlPS6_PKS6_NS0_5tupleIJS9_S6_EEENSD_IJSA_SA_EEENS0_18inequality_wrapperIZN2at6native12_GLOBAL__N_124unique_dim_cuda_templateIsEESt5tupleIJNSH_6TensorESM_SM_EERKSM_lbbbEUlllE0_EEPmJS6_EEE10hipError_tPvRmT3_T4_T5_T6_T7_T9_mT8_P12ihipStream_tbDpT10_ENKUlT_T0_E_clISt17integral_constantIbLb1EES1C_EEDaS17_S18_EUlS17_E_NS1_11comp_targetILNS1_3genE3ELNS1_11target_archE908ELNS1_3gpuE7ELNS1_3repE0EEENS1_30default_config_static_selectorELNS0_4arch9wavefront6targetE1EEEvT1_
    .private_segment_fixed_size: 0
    .sgpr_count:     6
    .sgpr_spill_count: 0
    .symbol:         _ZN7rocprim17ROCPRIM_400000_NS6detail17trampoline_kernelINS0_14default_configENS1_25partition_config_selectorILNS1_17partition_subalgoE8ElNS0_10empty_typeEbEEZZNS1_14partition_implILS5_8ELb0ES3_jPlPS6_PKS6_NS0_5tupleIJS9_S6_EEENSD_IJSA_SA_EEENS0_18inequality_wrapperIZN2at6native12_GLOBAL__N_124unique_dim_cuda_templateIsEESt5tupleIJNSH_6TensorESM_SM_EERKSM_lbbbEUlllE0_EEPmJS6_EEE10hipError_tPvRmT3_T4_T5_T6_T7_T9_mT8_P12ihipStream_tbDpT10_ENKUlT_T0_E_clISt17integral_constantIbLb1EES1C_EEDaS17_S18_EUlS17_E_NS1_11comp_targetILNS1_3genE3ELNS1_11target_archE908ELNS1_3gpuE7ELNS1_3repE0EEENS1_30default_config_static_selectorELNS0_4arch9wavefront6targetE1EEEvT1_.kd
    .uniform_work_group_size: 1
    .uses_dynamic_stack: false
    .vgpr_count:     0
    .vgpr_spill_count: 0
    .wavefront_size: 64
  - .agpr_count:     0
    .args:
      - .offset:         0
        .size:           136
        .value_kind:     by_value
    .group_segment_fixed_size: 0
    .kernarg_segment_align: 8
    .kernarg_segment_size: 136
    .language:       OpenCL C
    .language_version:
      - 2
      - 0
    .max_flat_workgroup_size: 256
    .name:           _ZN7rocprim17ROCPRIM_400000_NS6detail17trampoline_kernelINS0_14default_configENS1_25partition_config_selectorILNS1_17partition_subalgoE8ElNS0_10empty_typeEbEEZZNS1_14partition_implILS5_8ELb0ES3_jPlPS6_PKS6_NS0_5tupleIJS9_S6_EEENSD_IJSA_SA_EEENS0_18inequality_wrapperIZN2at6native12_GLOBAL__N_124unique_dim_cuda_templateIsEESt5tupleIJNSH_6TensorESM_SM_EERKSM_lbbbEUlllE0_EEPmJS6_EEE10hipError_tPvRmT3_T4_T5_T6_T7_T9_mT8_P12ihipStream_tbDpT10_ENKUlT_T0_E_clISt17integral_constantIbLb1EES1C_EEDaS17_S18_EUlS17_E_NS1_11comp_targetILNS1_3genE2ELNS1_11target_archE906ELNS1_3gpuE6ELNS1_3repE0EEENS1_30default_config_static_selectorELNS0_4arch9wavefront6targetE1EEEvT1_
    .private_segment_fixed_size: 0
    .sgpr_count:     6
    .sgpr_spill_count: 0
    .symbol:         _ZN7rocprim17ROCPRIM_400000_NS6detail17trampoline_kernelINS0_14default_configENS1_25partition_config_selectorILNS1_17partition_subalgoE8ElNS0_10empty_typeEbEEZZNS1_14partition_implILS5_8ELb0ES3_jPlPS6_PKS6_NS0_5tupleIJS9_S6_EEENSD_IJSA_SA_EEENS0_18inequality_wrapperIZN2at6native12_GLOBAL__N_124unique_dim_cuda_templateIsEESt5tupleIJNSH_6TensorESM_SM_EERKSM_lbbbEUlllE0_EEPmJS6_EEE10hipError_tPvRmT3_T4_T5_T6_T7_T9_mT8_P12ihipStream_tbDpT10_ENKUlT_T0_E_clISt17integral_constantIbLb1EES1C_EEDaS17_S18_EUlS17_E_NS1_11comp_targetILNS1_3genE2ELNS1_11target_archE906ELNS1_3gpuE6ELNS1_3repE0EEENS1_30default_config_static_selectorELNS0_4arch9wavefront6targetE1EEEvT1_.kd
    .uniform_work_group_size: 1
    .uses_dynamic_stack: false
    .vgpr_count:     0
    .vgpr_spill_count: 0
    .wavefront_size: 64
  - .agpr_count:     0
    .args:
      - .offset:         0
        .size:           136
        .value_kind:     by_value
    .group_segment_fixed_size: 0
    .kernarg_segment_align: 8
    .kernarg_segment_size: 136
    .language:       OpenCL C
    .language_version:
      - 2
      - 0
    .max_flat_workgroup_size: 384
    .name:           _ZN7rocprim17ROCPRIM_400000_NS6detail17trampoline_kernelINS0_14default_configENS1_25partition_config_selectorILNS1_17partition_subalgoE8ElNS0_10empty_typeEbEEZZNS1_14partition_implILS5_8ELb0ES3_jPlPS6_PKS6_NS0_5tupleIJS9_S6_EEENSD_IJSA_SA_EEENS0_18inequality_wrapperIZN2at6native12_GLOBAL__N_124unique_dim_cuda_templateIsEESt5tupleIJNSH_6TensorESM_SM_EERKSM_lbbbEUlllE0_EEPmJS6_EEE10hipError_tPvRmT3_T4_T5_T6_T7_T9_mT8_P12ihipStream_tbDpT10_ENKUlT_T0_E_clISt17integral_constantIbLb1EES1C_EEDaS17_S18_EUlS17_E_NS1_11comp_targetILNS1_3genE10ELNS1_11target_archE1200ELNS1_3gpuE4ELNS1_3repE0EEENS1_30default_config_static_selectorELNS0_4arch9wavefront6targetE1EEEvT1_
    .private_segment_fixed_size: 0
    .sgpr_count:     6
    .sgpr_spill_count: 0
    .symbol:         _ZN7rocprim17ROCPRIM_400000_NS6detail17trampoline_kernelINS0_14default_configENS1_25partition_config_selectorILNS1_17partition_subalgoE8ElNS0_10empty_typeEbEEZZNS1_14partition_implILS5_8ELb0ES3_jPlPS6_PKS6_NS0_5tupleIJS9_S6_EEENSD_IJSA_SA_EEENS0_18inequality_wrapperIZN2at6native12_GLOBAL__N_124unique_dim_cuda_templateIsEESt5tupleIJNSH_6TensorESM_SM_EERKSM_lbbbEUlllE0_EEPmJS6_EEE10hipError_tPvRmT3_T4_T5_T6_T7_T9_mT8_P12ihipStream_tbDpT10_ENKUlT_T0_E_clISt17integral_constantIbLb1EES1C_EEDaS17_S18_EUlS17_E_NS1_11comp_targetILNS1_3genE10ELNS1_11target_archE1200ELNS1_3gpuE4ELNS1_3repE0EEENS1_30default_config_static_selectorELNS0_4arch9wavefront6targetE1EEEvT1_.kd
    .uniform_work_group_size: 1
    .uses_dynamic_stack: false
    .vgpr_count:     0
    .vgpr_spill_count: 0
    .wavefront_size: 64
  - .agpr_count:     0
    .args:
      - .offset:         0
        .size:           136
        .value_kind:     by_value
    .group_segment_fixed_size: 0
    .kernarg_segment_align: 8
    .kernarg_segment_size: 136
    .language:       OpenCL C
    .language_version:
      - 2
      - 0
    .max_flat_workgroup_size: 512
    .name:           _ZN7rocprim17ROCPRIM_400000_NS6detail17trampoline_kernelINS0_14default_configENS1_25partition_config_selectorILNS1_17partition_subalgoE8ElNS0_10empty_typeEbEEZZNS1_14partition_implILS5_8ELb0ES3_jPlPS6_PKS6_NS0_5tupleIJS9_S6_EEENSD_IJSA_SA_EEENS0_18inequality_wrapperIZN2at6native12_GLOBAL__N_124unique_dim_cuda_templateIsEESt5tupleIJNSH_6TensorESM_SM_EERKSM_lbbbEUlllE0_EEPmJS6_EEE10hipError_tPvRmT3_T4_T5_T6_T7_T9_mT8_P12ihipStream_tbDpT10_ENKUlT_T0_E_clISt17integral_constantIbLb1EES1C_EEDaS17_S18_EUlS17_E_NS1_11comp_targetILNS1_3genE9ELNS1_11target_archE1100ELNS1_3gpuE3ELNS1_3repE0EEENS1_30default_config_static_selectorELNS0_4arch9wavefront6targetE1EEEvT1_
    .private_segment_fixed_size: 0
    .sgpr_count:     6
    .sgpr_spill_count: 0
    .symbol:         _ZN7rocprim17ROCPRIM_400000_NS6detail17trampoline_kernelINS0_14default_configENS1_25partition_config_selectorILNS1_17partition_subalgoE8ElNS0_10empty_typeEbEEZZNS1_14partition_implILS5_8ELb0ES3_jPlPS6_PKS6_NS0_5tupleIJS9_S6_EEENSD_IJSA_SA_EEENS0_18inequality_wrapperIZN2at6native12_GLOBAL__N_124unique_dim_cuda_templateIsEESt5tupleIJNSH_6TensorESM_SM_EERKSM_lbbbEUlllE0_EEPmJS6_EEE10hipError_tPvRmT3_T4_T5_T6_T7_T9_mT8_P12ihipStream_tbDpT10_ENKUlT_T0_E_clISt17integral_constantIbLb1EES1C_EEDaS17_S18_EUlS17_E_NS1_11comp_targetILNS1_3genE9ELNS1_11target_archE1100ELNS1_3gpuE3ELNS1_3repE0EEENS1_30default_config_static_selectorELNS0_4arch9wavefront6targetE1EEEvT1_.kd
    .uniform_work_group_size: 1
    .uses_dynamic_stack: false
    .vgpr_count:     0
    .vgpr_spill_count: 0
    .wavefront_size: 64
  - .agpr_count:     0
    .args:
      - .offset:         0
        .size:           136
        .value_kind:     by_value
    .group_segment_fixed_size: 0
    .kernarg_segment_align: 8
    .kernarg_segment_size: 136
    .language:       OpenCL C
    .language_version:
      - 2
      - 0
    .max_flat_workgroup_size: 512
    .name:           _ZN7rocprim17ROCPRIM_400000_NS6detail17trampoline_kernelINS0_14default_configENS1_25partition_config_selectorILNS1_17partition_subalgoE8ElNS0_10empty_typeEbEEZZNS1_14partition_implILS5_8ELb0ES3_jPlPS6_PKS6_NS0_5tupleIJS9_S6_EEENSD_IJSA_SA_EEENS0_18inequality_wrapperIZN2at6native12_GLOBAL__N_124unique_dim_cuda_templateIsEESt5tupleIJNSH_6TensorESM_SM_EERKSM_lbbbEUlllE0_EEPmJS6_EEE10hipError_tPvRmT3_T4_T5_T6_T7_T9_mT8_P12ihipStream_tbDpT10_ENKUlT_T0_E_clISt17integral_constantIbLb1EES1C_EEDaS17_S18_EUlS17_E_NS1_11comp_targetILNS1_3genE8ELNS1_11target_archE1030ELNS1_3gpuE2ELNS1_3repE0EEENS1_30default_config_static_selectorELNS0_4arch9wavefront6targetE1EEEvT1_
    .private_segment_fixed_size: 0
    .sgpr_count:     6
    .sgpr_spill_count: 0
    .symbol:         _ZN7rocprim17ROCPRIM_400000_NS6detail17trampoline_kernelINS0_14default_configENS1_25partition_config_selectorILNS1_17partition_subalgoE8ElNS0_10empty_typeEbEEZZNS1_14partition_implILS5_8ELb0ES3_jPlPS6_PKS6_NS0_5tupleIJS9_S6_EEENSD_IJSA_SA_EEENS0_18inequality_wrapperIZN2at6native12_GLOBAL__N_124unique_dim_cuda_templateIsEESt5tupleIJNSH_6TensorESM_SM_EERKSM_lbbbEUlllE0_EEPmJS6_EEE10hipError_tPvRmT3_T4_T5_T6_T7_T9_mT8_P12ihipStream_tbDpT10_ENKUlT_T0_E_clISt17integral_constantIbLb1EES1C_EEDaS17_S18_EUlS17_E_NS1_11comp_targetILNS1_3genE8ELNS1_11target_archE1030ELNS1_3gpuE2ELNS1_3repE0EEENS1_30default_config_static_selectorELNS0_4arch9wavefront6targetE1EEEvT1_.kd
    .uniform_work_group_size: 1
    .uses_dynamic_stack: false
    .vgpr_count:     0
    .vgpr_spill_count: 0
    .wavefront_size: 64
  - .agpr_count:     0
    .args:
      - .offset:         0
        .size:           120
        .value_kind:     by_value
    .group_segment_fixed_size: 0
    .kernarg_segment_align: 8
    .kernarg_segment_size: 120
    .language:       OpenCL C
    .language_version:
      - 2
      - 0
    .max_flat_workgroup_size: 512
    .name:           _ZN7rocprim17ROCPRIM_400000_NS6detail17trampoline_kernelINS0_14default_configENS1_25partition_config_selectorILNS1_17partition_subalgoE8ElNS0_10empty_typeEbEEZZNS1_14partition_implILS5_8ELb0ES3_jPlPS6_PKS6_NS0_5tupleIJS9_S6_EEENSD_IJSA_SA_EEENS0_18inequality_wrapperIZN2at6native12_GLOBAL__N_124unique_dim_cuda_templateIsEESt5tupleIJNSH_6TensorESM_SM_EERKSM_lbbbEUlllE0_EEPmJS6_EEE10hipError_tPvRmT3_T4_T5_T6_T7_T9_mT8_P12ihipStream_tbDpT10_ENKUlT_T0_E_clISt17integral_constantIbLb1EES1B_IbLb0EEEEDaS17_S18_EUlS17_E_NS1_11comp_targetILNS1_3genE0ELNS1_11target_archE4294967295ELNS1_3gpuE0ELNS1_3repE0EEENS1_30default_config_static_selectorELNS0_4arch9wavefront6targetE1EEEvT1_
    .private_segment_fixed_size: 0
    .sgpr_count:     6
    .sgpr_spill_count: 0
    .symbol:         _ZN7rocprim17ROCPRIM_400000_NS6detail17trampoline_kernelINS0_14default_configENS1_25partition_config_selectorILNS1_17partition_subalgoE8ElNS0_10empty_typeEbEEZZNS1_14partition_implILS5_8ELb0ES3_jPlPS6_PKS6_NS0_5tupleIJS9_S6_EEENSD_IJSA_SA_EEENS0_18inequality_wrapperIZN2at6native12_GLOBAL__N_124unique_dim_cuda_templateIsEESt5tupleIJNSH_6TensorESM_SM_EERKSM_lbbbEUlllE0_EEPmJS6_EEE10hipError_tPvRmT3_T4_T5_T6_T7_T9_mT8_P12ihipStream_tbDpT10_ENKUlT_T0_E_clISt17integral_constantIbLb1EES1B_IbLb0EEEEDaS17_S18_EUlS17_E_NS1_11comp_targetILNS1_3genE0ELNS1_11target_archE4294967295ELNS1_3gpuE0ELNS1_3repE0EEENS1_30default_config_static_selectorELNS0_4arch9wavefront6targetE1EEEvT1_.kd
    .uniform_work_group_size: 1
    .uses_dynamic_stack: false
    .vgpr_count:     0
    .vgpr_spill_count: 0
    .wavefront_size: 64
  - .agpr_count:     0
    .args:
      - .offset:         0
        .size:           120
        .value_kind:     by_value
    .group_segment_fixed_size: 28684
    .kernarg_segment_align: 8
    .kernarg_segment_size: 120
    .language:       OpenCL C
    .language_version:
      - 2
      - 0
    .max_flat_workgroup_size: 512
    .name:           _ZN7rocprim17ROCPRIM_400000_NS6detail17trampoline_kernelINS0_14default_configENS1_25partition_config_selectorILNS1_17partition_subalgoE8ElNS0_10empty_typeEbEEZZNS1_14partition_implILS5_8ELb0ES3_jPlPS6_PKS6_NS0_5tupleIJS9_S6_EEENSD_IJSA_SA_EEENS0_18inequality_wrapperIZN2at6native12_GLOBAL__N_124unique_dim_cuda_templateIsEESt5tupleIJNSH_6TensorESM_SM_EERKSM_lbbbEUlllE0_EEPmJS6_EEE10hipError_tPvRmT3_T4_T5_T6_T7_T9_mT8_P12ihipStream_tbDpT10_ENKUlT_T0_E_clISt17integral_constantIbLb1EES1B_IbLb0EEEEDaS17_S18_EUlS17_E_NS1_11comp_targetILNS1_3genE5ELNS1_11target_archE942ELNS1_3gpuE9ELNS1_3repE0EEENS1_30default_config_static_selectorELNS0_4arch9wavefront6targetE1EEEvT1_
    .private_segment_fixed_size: 0
    .sgpr_count:     58
    .sgpr_spill_count: 0
    .symbol:         _ZN7rocprim17ROCPRIM_400000_NS6detail17trampoline_kernelINS0_14default_configENS1_25partition_config_selectorILNS1_17partition_subalgoE8ElNS0_10empty_typeEbEEZZNS1_14partition_implILS5_8ELb0ES3_jPlPS6_PKS6_NS0_5tupleIJS9_S6_EEENSD_IJSA_SA_EEENS0_18inequality_wrapperIZN2at6native12_GLOBAL__N_124unique_dim_cuda_templateIsEESt5tupleIJNSH_6TensorESM_SM_EERKSM_lbbbEUlllE0_EEPmJS6_EEE10hipError_tPvRmT3_T4_T5_T6_T7_T9_mT8_P12ihipStream_tbDpT10_ENKUlT_T0_E_clISt17integral_constantIbLb1EES1B_IbLb0EEEEDaS17_S18_EUlS17_E_NS1_11comp_targetILNS1_3genE5ELNS1_11target_archE942ELNS1_3gpuE9ELNS1_3repE0EEENS1_30default_config_static_selectorELNS0_4arch9wavefront6targetE1EEEvT1_.kd
    .uniform_work_group_size: 1
    .uses_dynamic_stack: false
    .vgpr_count:     52
    .vgpr_spill_count: 0
    .wavefront_size: 64
  - .agpr_count:     0
    .args:
      - .offset:         0
        .size:           120
        .value_kind:     by_value
    .group_segment_fixed_size: 0
    .kernarg_segment_align: 8
    .kernarg_segment_size: 120
    .language:       OpenCL C
    .language_version:
      - 2
      - 0
    .max_flat_workgroup_size: 256
    .name:           _ZN7rocprim17ROCPRIM_400000_NS6detail17trampoline_kernelINS0_14default_configENS1_25partition_config_selectorILNS1_17partition_subalgoE8ElNS0_10empty_typeEbEEZZNS1_14partition_implILS5_8ELb0ES3_jPlPS6_PKS6_NS0_5tupleIJS9_S6_EEENSD_IJSA_SA_EEENS0_18inequality_wrapperIZN2at6native12_GLOBAL__N_124unique_dim_cuda_templateIsEESt5tupleIJNSH_6TensorESM_SM_EERKSM_lbbbEUlllE0_EEPmJS6_EEE10hipError_tPvRmT3_T4_T5_T6_T7_T9_mT8_P12ihipStream_tbDpT10_ENKUlT_T0_E_clISt17integral_constantIbLb1EES1B_IbLb0EEEEDaS17_S18_EUlS17_E_NS1_11comp_targetILNS1_3genE4ELNS1_11target_archE910ELNS1_3gpuE8ELNS1_3repE0EEENS1_30default_config_static_selectorELNS0_4arch9wavefront6targetE1EEEvT1_
    .private_segment_fixed_size: 0
    .sgpr_count:     6
    .sgpr_spill_count: 0
    .symbol:         _ZN7rocprim17ROCPRIM_400000_NS6detail17trampoline_kernelINS0_14default_configENS1_25partition_config_selectorILNS1_17partition_subalgoE8ElNS0_10empty_typeEbEEZZNS1_14partition_implILS5_8ELb0ES3_jPlPS6_PKS6_NS0_5tupleIJS9_S6_EEENSD_IJSA_SA_EEENS0_18inequality_wrapperIZN2at6native12_GLOBAL__N_124unique_dim_cuda_templateIsEESt5tupleIJNSH_6TensorESM_SM_EERKSM_lbbbEUlllE0_EEPmJS6_EEE10hipError_tPvRmT3_T4_T5_T6_T7_T9_mT8_P12ihipStream_tbDpT10_ENKUlT_T0_E_clISt17integral_constantIbLb1EES1B_IbLb0EEEEDaS17_S18_EUlS17_E_NS1_11comp_targetILNS1_3genE4ELNS1_11target_archE910ELNS1_3gpuE8ELNS1_3repE0EEENS1_30default_config_static_selectorELNS0_4arch9wavefront6targetE1EEEvT1_.kd
    .uniform_work_group_size: 1
    .uses_dynamic_stack: false
    .vgpr_count:     0
    .vgpr_spill_count: 0
    .wavefront_size: 64
  - .agpr_count:     0
    .args:
      - .offset:         0
        .size:           120
        .value_kind:     by_value
    .group_segment_fixed_size: 0
    .kernarg_segment_align: 8
    .kernarg_segment_size: 120
    .language:       OpenCL C
    .language_version:
      - 2
      - 0
    .max_flat_workgroup_size: 512
    .name:           _ZN7rocprim17ROCPRIM_400000_NS6detail17trampoline_kernelINS0_14default_configENS1_25partition_config_selectorILNS1_17partition_subalgoE8ElNS0_10empty_typeEbEEZZNS1_14partition_implILS5_8ELb0ES3_jPlPS6_PKS6_NS0_5tupleIJS9_S6_EEENSD_IJSA_SA_EEENS0_18inequality_wrapperIZN2at6native12_GLOBAL__N_124unique_dim_cuda_templateIsEESt5tupleIJNSH_6TensorESM_SM_EERKSM_lbbbEUlllE0_EEPmJS6_EEE10hipError_tPvRmT3_T4_T5_T6_T7_T9_mT8_P12ihipStream_tbDpT10_ENKUlT_T0_E_clISt17integral_constantIbLb1EES1B_IbLb0EEEEDaS17_S18_EUlS17_E_NS1_11comp_targetILNS1_3genE3ELNS1_11target_archE908ELNS1_3gpuE7ELNS1_3repE0EEENS1_30default_config_static_selectorELNS0_4arch9wavefront6targetE1EEEvT1_
    .private_segment_fixed_size: 0
    .sgpr_count:     6
    .sgpr_spill_count: 0
    .symbol:         _ZN7rocprim17ROCPRIM_400000_NS6detail17trampoline_kernelINS0_14default_configENS1_25partition_config_selectorILNS1_17partition_subalgoE8ElNS0_10empty_typeEbEEZZNS1_14partition_implILS5_8ELb0ES3_jPlPS6_PKS6_NS0_5tupleIJS9_S6_EEENSD_IJSA_SA_EEENS0_18inequality_wrapperIZN2at6native12_GLOBAL__N_124unique_dim_cuda_templateIsEESt5tupleIJNSH_6TensorESM_SM_EERKSM_lbbbEUlllE0_EEPmJS6_EEE10hipError_tPvRmT3_T4_T5_T6_T7_T9_mT8_P12ihipStream_tbDpT10_ENKUlT_T0_E_clISt17integral_constantIbLb1EES1B_IbLb0EEEEDaS17_S18_EUlS17_E_NS1_11comp_targetILNS1_3genE3ELNS1_11target_archE908ELNS1_3gpuE7ELNS1_3repE0EEENS1_30default_config_static_selectorELNS0_4arch9wavefront6targetE1EEEvT1_.kd
    .uniform_work_group_size: 1
    .uses_dynamic_stack: false
    .vgpr_count:     0
    .vgpr_spill_count: 0
    .wavefront_size: 64
  - .agpr_count:     0
    .args:
      - .offset:         0
        .size:           120
        .value_kind:     by_value
    .group_segment_fixed_size: 0
    .kernarg_segment_align: 8
    .kernarg_segment_size: 120
    .language:       OpenCL C
    .language_version:
      - 2
      - 0
    .max_flat_workgroup_size: 256
    .name:           _ZN7rocprim17ROCPRIM_400000_NS6detail17trampoline_kernelINS0_14default_configENS1_25partition_config_selectorILNS1_17partition_subalgoE8ElNS0_10empty_typeEbEEZZNS1_14partition_implILS5_8ELb0ES3_jPlPS6_PKS6_NS0_5tupleIJS9_S6_EEENSD_IJSA_SA_EEENS0_18inequality_wrapperIZN2at6native12_GLOBAL__N_124unique_dim_cuda_templateIsEESt5tupleIJNSH_6TensorESM_SM_EERKSM_lbbbEUlllE0_EEPmJS6_EEE10hipError_tPvRmT3_T4_T5_T6_T7_T9_mT8_P12ihipStream_tbDpT10_ENKUlT_T0_E_clISt17integral_constantIbLb1EES1B_IbLb0EEEEDaS17_S18_EUlS17_E_NS1_11comp_targetILNS1_3genE2ELNS1_11target_archE906ELNS1_3gpuE6ELNS1_3repE0EEENS1_30default_config_static_selectorELNS0_4arch9wavefront6targetE1EEEvT1_
    .private_segment_fixed_size: 0
    .sgpr_count:     6
    .sgpr_spill_count: 0
    .symbol:         _ZN7rocprim17ROCPRIM_400000_NS6detail17trampoline_kernelINS0_14default_configENS1_25partition_config_selectorILNS1_17partition_subalgoE8ElNS0_10empty_typeEbEEZZNS1_14partition_implILS5_8ELb0ES3_jPlPS6_PKS6_NS0_5tupleIJS9_S6_EEENSD_IJSA_SA_EEENS0_18inequality_wrapperIZN2at6native12_GLOBAL__N_124unique_dim_cuda_templateIsEESt5tupleIJNSH_6TensorESM_SM_EERKSM_lbbbEUlllE0_EEPmJS6_EEE10hipError_tPvRmT3_T4_T5_T6_T7_T9_mT8_P12ihipStream_tbDpT10_ENKUlT_T0_E_clISt17integral_constantIbLb1EES1B_IbLb0EEEEDaS17_S18_EUlS17_E_NS1_11comp_targetILNS1_3genE2ELNS1_11target_archE906ELNS1_3gpuE6ELNS1_3repE0EEENS1_30default_config_static_selectorELNS0_4arch9wavefront6targetE1EEEvT1_.kd
    .uniform_work_group_size: 1
    .uses_dynamic_stack: false
    .vgpr_count:     0
    .vgpr_spill_count: 0
    .wavefront_size: 64
  - .agpr_count:     0
    .args:
      - .offset:         0
        .size:           120
        .value_kind:     by_value
    .group_segment_fixed_size: 0
    .kernarg_segment_align: 8
    .kernarg_segment_size: 120
    .language:       OpenCL C
    .language_version:
      - 2
      - 0
    .max_flat_workgroup_size: 384
    .name:           _ZN7rocprim17ROCPRIM_400000_NS6detail17trampoline_kernelINS0_14default_configENS1_25partition_config_selectorILNS1_17partition_subalgoE8ElNS0_10empty_typeEbEEZZNS1_14partition_implILS5_8ELb0ES3_jPlPS6_PKS6_NS0_5tupleIJS9_S6_EEENSD_IJSA_SA_EEENS0_18inequality_wrapperIZN2at6native12_GLOBAL__N_124unique_dim_cuda_templateIsEESt5tupleIJNSH_6TensorESM_SM_EERKSM_lbbbEUlllE0_EEPmJS6_EEE10hipError_tPvRmT3_T4_T5_T6_T7_T9_mT8_P12ihipStream_tbDpT10_ENKUlT_T0_E_clISt17integral_constantIbLb1EES1B_IbLb0EEEEDaS17_S18_EUlS17_E_NS1_11comp_targetILNS1_3genE10ELNS1_11target_archE1200ELNS1_3gpuE4ELNS1_3repE0EEENS1_30default_config_static_selectorELNS0_4arch9wavefront6targetE1EEEvT1_
    .private_segment_fixed_size: 0
    .sgpr_count:     6
    .sgpr_spill_count: 0
    .symbol:         _ZN7rocprim17ROCPRIM_400000_NS6detail17trampoline_kernelINS0_14default_configENS1_25partition_config_selectorILNS1_17partition_subalgoE8ElNS0_10empty_typeEbEEZZNS1_14partition_implILS5_8ELb0ES3_jPlPS6_PKS6_NS0_5tupleIJS9_S6_EEENSD_IJSA_SA_EEENS0_18inequality_wrapperIZN2at6native12_GLOBAL__N_124unique_dim_cuda_templateIsEESt5tupleIJNSH_6TensorESM_SM_EERKSM_lbbbEUlllE0_EEPmJS6_EEE10hipError_tPvRmT3_T4_T5_T6_T7_T9_mT8_P12ihipStream_tbDpT10_ENKUlT_T0_E_clISt17integral_constantIbLb1EES1B_IbLb0EEEEDaS17_S18_EUlS17_E_NS1_11comp_targetILNS1_3genE10ELNS1_11target_archE1200ELNS1_3gpuE4ELNS1_3repE0EEENS1_30default_config_static_selectorELNS0_4arch9wavefront6targetE1EEEvT1_.kd
    .uniform_work_group_size: 1
    .uses_dynamic_stack: false
    .vgpr_count:     0
    .vgpr_spill_count: 0
    .wavefront_size: 64
  - .agpr_count:     0
    .args:
      - .offset:         0
        .size:           120
        .value_kind:     by_value
    .group_segment_fixed_size: 0
    .kernarg_segment_align: 8
    .kernarg_segment_size: 120
    .language:       OpenCL C
    .language_version:
      - 2
      - 0
    .max_flat_workgroup_size: 512
    .name:           _ZN7rocprim17ROCPRIM_400000_NS6detail17trampoline_kernelINS0_14default_configENS1_25partition_config_selectorILNS1_17partition_subalgoE8ElNS0_10empty_typeEbEEZZNS1_14partition_implILS5_8ELb0ES3_jPlPS6_PKS6_NS0_5tupleIJS9_S6_EEENSD_IJSA_SA_EEENS0_18inequality_wrapperIZN2at6native12_GLOBAL__N_124unique_dim_cuda_templateIsEESt5tupleIJNSH_6TensorESM_SM_EERKSM_lbbbEUlllE0_EEPmJS6_EEE10hipError_tPvRmT3_T4_T5_T6_T7_T9_mT8_P12ihipStream_tbDpT10_ENKUlT_T0_E_clISt17integral_constantIbLb1EES1B_IbLb0EEEEDaS17_S18_EUlS17_E_NS1_11comp_targetILNS1_3genE9ELNS1_11target_archE1100ELNS1_3gpuE3ELNS1_3repE0EEENS1_30default_config_static_selectorELNS0_4arch9wavefront6targetE1EEEvT1_
    .private_segment_fixed_size: 0
    .sgpr_count:     6
    .sgpr_spill_count: 0
    .symbol:         _ZN7rocprim17ROCPRIM_400000_NS6detail17trampoline_kernelINS0_14default_configENS1_25partition_config_selectorILNS1_17partition_subalgoE8ElNS0_10empty_typeEbEEZZNS1_14partition_implILS5_8ELb0ES3_jPlPS6_PKS6_NS0_5tupleIJS9_S6_EEENSD_IJSA_SA_EEENS0_18inequality_wrapperIZN2at6native12_GLOBAL__N_124unique_dim_cuda_templateIsEESt5tupleIJNSH_6TensorESM_SM_EERKSM_lbbbEUlllE0_EEPmJS6_EEE10hipError_tPvRmT3_T4_T5_T6_T7_T9_mT8_P12ihipStream_tbDpT10_ENKUlT_T0_E_clISt17integral_constantIbLb1EES1B_IbLb0EEEEDaS17_S18_EUlS17_E_NS1_11comp_targetILNS1_3genE9ELNS1_11target_archE1100ELNS1_3gpuE3ELNS1_3repE0EEENS1_30default_config_static_selectorELNS0_4arch9wavefront6targetE1EEEvT1_.kd
    .uniform_work_group_size: 1
    .uses_dynamic_stack: false
    .vgpr_count:     0
    .vgpr_spill_count: 0
    .wavefront_size: 64
  - .agpr_count:     0
    .args:
      - .offset:         0
        .size:           120
        .value_kind:     by_value
    .group_segment_fixed_size: 0
    .kernarg_segment_align: 8
    .kernarg_segment_size: 120
    .language:       OpenCL C
    .language_version:
      - 2
      - 0
    .max_flat_workgroup_size: 512
    .name:           _ZN7rocprim17ROCPRIM_400000_NS6detail17trampoline_kernelINS0_14default_configENS1_25partition_config_selectorILNS1_17partition_subalgoE8ElNS0_10empty_typeEbEEZZNS1_14partition_implILS5_8ELb0ES3_jPlPS6_PKS6_NS0_5tupleIJS9_S6_EEENSD_IJSA_SA_EEENS0_18inequality_wrapperIZN2at6native12_GLOBAL__N_124unique_dim_cuda_templateIsEESt5tupleIJNSH_6TensorESM_SM_EERKSM_lbbbEUlllE0_EEPmJS6_EEE10hipError_tPvRmT3_T4_T5_T6_T7_T9_mT8_P12ihipStream_tbDpT10_ENKUlT_T0_E_clISt17integral_constantIbLb1EES1B_IbLb0EEEEDaS17_S18_EUlS17_E_NS1_11comp_targetILNS1_3genE8ELNS1_11target_archE1030ELNS1_3gpuE2ELNS1_3repE0EEENS1_30default_config_static_selectorELNS0_4arch9wavefront6targetE1EEEvT1_
    .private_segment_fixed_size: 0
    .sgpr_count:     6
    .sgpr_spill_count: 0
    .symbol:         _ZN7rocprim17ROCPRIM_400000_NS6detail17trampoline_kernelINS0_14default_configENS1_25partition_config_selectorILNS1_17partition_subalgoE8ElNS0_10empty_typeEbEEZZNS1_14partition_implILS5_8ELb0ES3_jPlPS6_PKS6_NS0_5tupleIJS9_S6_EEENSD_IJSA_SA_EEENS0_18inequality_wrapperIZN2at6native12_GLOBAL__N_124unique_dim_cuda_templateIsEESt5tupleIJNSH_6TensorESM_SM_EERKSM_lbbbEUlllE0_EEPmJS6_EEE10hipError_tPvRmT3_T4_T5_T6_T7_T9_mT8_P12ihipStream_tbDpT10_ENKUlT_T0_E_clISt17integral_constantIbLb1EES1B_IbLb0EEEEDaS17_S18_EUlS17_E_NS1_11comp_targetILNS1_3genE8ELNS1_11target_archE1030ELNS1_3gpuE2ELNS1_3repE0EEENS1_30default_config_static_selectorELNS0_4arch9wavefront6targetE1EEEvT1_.kd
    .uniform_work_group_size: 1
    .uses_dynamic_stack: false
    .vgpr_count:     0
    .vgpr_spill_count: 0
    .wavefront_size: 64
  - .agpr_count:     0
    .args:
      - .offset:         0
        .size:           136
        .value_kind:     by_value
    .group_segment_fixed_size: 0
    .kernarg_segment_align: 8
    .kernarg_segment_size: 136
    .language:       OpenCL C
    .language_version:
      - 2
      - 0
    .max_flat_workgroup_size: 512
    .name:           _ZN7rocprim17ROCPRIM_400000_NS6detail17trampoline_kernelINS0_14default_configENS1_25partition_config_selectorILNS1_17partition_subalgoE8ElNS0_10empty_typeEbEEZZNS1_14partition_implILS5_8ELb0ES3_jPlPS6_PKS6_NS0_5tupleIJS9_S6_EEENSD_IJSA_SA_EEENS0_18inequality_wrapperIZN2at6native12_GLOBAL__N_124unique_dim_cuda_templateIsEESt5tupleIJNSH_6TensorESM_SM_EERKSM_lbbbEUlllE0_EEPmJS6_EEE10hipError_tPvRmT3_T4_T5_T6_T7_T9_mT8_P12ihipStream_tbDpT10_ENKUlT_T0_E_clISt17integral_constantIbLb0EES1B_IbLb1EEEEDaS17_S18_EUlS17_E_NS1_11comp_targetILNS1_3genE0ELNS1_11target_archE4294967295ELNS1_3gpuE0ELNS1_3repE0EEENS1_30default_config_static_selectorELNS0_4arch9wavefront6targetE1EEEvT1_
    .private_segment_fixed_size: 0
    .sgpr_count:     6
    .sgpr_spill_count: 0
    .symbol:         _ZN7rocprim17ROCPRIM_400000_NS6detail17trampoline_kernelINS0_14default_configENS1_25partition_config_selectorILNS1_17partition_subalgoE8ElNS0_10empty_typeEbEEZZNS1_14partition_implILS5_8ELb0ES3_jPlPS6_PKS6_NS0_5tupleIJS9_S6_EEENSD_IJSA_SA_EEENS0_18inequality_wrapperIZN2at6native12_GLOBAL__N_124unique_dim_cuda_templateIsEESt5tupleIJNSH_6TensorESM_SM_EERKSM_lbbbEUlllE0_EEPmJS6_EEE10hipError_tPvRmT3_T4_T5_T6_T7_T9_mT8_P12ihipStream_tbDpT10_ENKUlT_T0_E_clISt17integral_constantIbLb0EES1B_IbLb1EEEEDaS17_S18_EUlS17_E_NS1_11comp_targetILNS1_3genE0ELNS1_11target_archE4294967295ELNS1_3gpuE0ELNS1_3repE0EEENS1_30default_config_static_selectorELNS0_4arch9wavefront6targetE1EEEvT1_.kd
    .uniform_work_group_size: 1
    .uses_dynamic_stack: false
    .vgpr_count:     0
    .vgpr_spill_count: 0
    .wavefront_size: 64
  - .agpr_count:     0
    .args:
      - .offset:         0
        .size:           136
        .value_kind:     by_value
    .group_segment_fixed_size: 28684
    .kernarg_segment_align: 8
    .kernarg_segment_size: 136
    .language:       OpenCL C
    .language_version:
      - 2
      - 0
    .max_flat_workgroup_size: 512
    .name:           _ZN7rocprim17ROCPRIM_400000_NS6detail17trampoline_kernelINS0_14default_configENS1_25partition_config_selectorILNS1_17partition_subalgoE8ElNS0_10empty_typeEbEEZZNS1_14partition_implILS5_8ELb0ES3_jPlPS6_PKS6_NS0_5tupleIJS9_S6_EEENSD_IJSA_SA_EEENS0_18inequality_wrapperIZN2at6native12_GLOBAL__N_124unique_dim_cuda_templateIsEESt5tupleIJNSH_6TensorESM_SM_EERKSM_lbbbEUlllE0_EEPmJS6_EEE10hipError_tPvRmT3_T4_T5_T6_T7_T9_mT8_P12ihipStream_tbDpT10_ENKUlT_T0_E_clISt17integral_constantIbLb0EES1B_IbLb1EEEEDaS17_S18_EUlS17_E_NS1_11comp_targetILNS1_3genE5ELNS1_11target_archE942ELNS1_3gpuE9ELNS1_3repE0EEENS1_30default_config_static_selectorELNS0_4arch9wavefront6targetE1EEEvT1_
    .private_segment_fixed_size: 0
    .sgpr_count:     62
    .sgpr_spill_count: 0
    .symbol:         _ZN7rocprim17ROCPRIM_400000_NS6detail17trampoline_kernelINS0_14default_configENS1_25partition_config_selectorILNS1_17partition_subalgoE8ElNS0_10empty_typeEbEEZZNS1_14partition_implILS5_8ELb0ES3_jPlPS6_PKS6_NS0_5tupleIJS9_S6_EEENSD_IJSA_SA_EEENS0_18inequality_wrapperIZN2at6native12_GLOBAL__N_124unique_dim_cuda_templateIsEESt5tupleIJNSH_6TensorESM_SM_EERKSM_lbbbEUlllE0_EEPmJS6_EEE10hipError_tPvRmT3_T4_T5_T6_T7_T9_mT8_P12ihipStream_tbDpT10_ENKUlT_T0_E_clISt17integral_constantIbLb0EES1B_IbLb1EEEEDaS17_S18_EUlS17_E_NS1_11comp_targetILNS1_3genE5ELNS1_11target_archE942ELNS1_3gpuE9ELNS1_3repE0EEENS1_30default_config_static_selectorELNS0_4arch9wavefront6targetE1EEEvT1_.kd
    .uniform_work_group_size: 1
    .uses_dynamic_stack: false
    .vgpr_count:     52
    .vgpr_spill_count: 0
    .wavefront_size: 64
  - .agpr_count:     0
    .args:
      - .offset:         0
        .size:           136
        .value_kind:     by_value
    .group_segment_fixed_size: 0
    .kernarg_segment_align: 8
    .kernarg_segment_size: 136
    .language:       OpenCL C
    .language_version:
      - 2
      - 0
    .max_flat_workgroup_size: 256
    .name:           _ZN7rocprim17ROCPRIM_400000_NS6detail17trampoline_kernelINS0_14default_configENS1_25partition_config_selectorILNS1_17partition_subalgoE8ElNS0_10empty_typeEbEEZZNS1_14partition_implILS5_8ELb0ES3_jPlPS6_PKS6_NS0_5tupleIJS9_S6_EEENSD_IJSA_SA_EEENS0_18inequality_wrapperIZN2at6native12_GLOBAL__N_124unique_dim_cuda_templateIsEESt5tupleIJNSH_6TensorESM_SM_EERKSM_lbbbEUlllE0_EEPmJS6_EEE10hipError_tPvRmT3_T4_T5_T6_T7_T9_mT8_P12ihipStream_tbDpT10_ENKUlT_T0_E_clISt17integral_constantIbLb0EES1B_IbLb1EEEEDaS17_S18_EUlS17_E_NS1_11comp_targetILNS1_3genE4ELNS1_11target_archE910ELNS1_3gpuE8ELNS1_3repE0EEENS1_30default_config_static_selectorELNS0_4arch9wavefront6targetE1EEEvT1_
    .private_segment_fixed_size: 0
    .sgpr_count:     6
    .sgpr_spill_count: 0
    .symbol:         _ZN7rocprim17ROCPRIM_400000_NS6detail17trampoline_kernelINS0_14default_configENS1_25partition_config_selectorILNS1_17partition_subalgoE8ElNS0_10empty_typeEbEEZZNS1_14partition_implILS5_8ELb0ES3_jPlPS6_PKS6_NS0_5tupleIJS9_S6_EEENSD_IJSA_SA_EEENS0_18inequality_wrapperIZN2at6native12_GLOBAL__N_124unique_dim_cuda_templateIsEESt5tupleIJNSH_6TensorESM_SM_EERKSM_lbbbEUlllE0_EEPmJS6_EEE10hipError_tPvRmT3_T4_T5_T6_T7_T9_mT8_P12ihipStream_tbDpT10_ENKUlT_T0_E_clISt17integral_constantIbLb0EES1B_IbLb1EEEEDaS17_S18_EUlS17_E_NS1_11comp_targetILNS1_3genE4ELNS1_11target_archE910ELNS1_3gpuE8ELNS1_3repE0EEENS1_30default_config_static_selectorELNS0_4arch9wavefront6targetE1EEEvT1_.kd
    .uniform_work_group_size: 1
    .uses_dynamic_stack: false
    .vgpr_count:     0
    .vgpr_spill_count: 0
    .wavefront_size: 64
  - .agpr_count:     0
    .args:
      - .offset:         0
        .size:           136
        .value_kind:     by_value
    .group_segment_fixed_size: 0
    .kernarg_segment_align: 8
    .kernarg_segment_size: 136
    .language:       OpenCL C
    .language_version:
      - 2
      - 0
    .max_flat_workgroup_size: 512
    .name:           _ZN7rocprim17ROCPRIM_400000_NS6detail17trampoline_kernelINS0_14default_configENS1_25partition_config_selectorILNS1_17partition_subalgoE8ElNS0_10empty_typeEbEEZZNS1_14partition_implILS5_8ELb0ES3_jPlPS6_PKS6_NS0_5tupleIJS9_S6_EEENSD_IJSA_SA_EEENS0_18inequality_wrapperIZN2at6native12_GLOBAL__N_124unique_dim_cuda_templateIsEESt5tupleIJNSH_6TensorESM_SM_EERKSM_lbbbEUlllE0_EEPmJS6_EEE10hipError_tPvRmT3_T4_T5_T6_T7_T9_mT8_P12ihipStream_tbDpT10_ENKUlT_T0_E_clISt17integral_constantIbLb0EES1B_IbLb1EEEEDaS17_S18_EUlS17_E_NS1_11comp_targetILNS1_3genE3ELNS1_11target_archE908ELNS1_3gpuE7ELNS1_3repE0EEENS1_30default_config_static_selectorELNS0_4arch9wavefront6targetE1EEEvT1_
    .private_segment_fixed_size: 0
    .sgpr_count:     6
    .sgpr_spill_count: 0
    .symbol:         _ZN7rocprim17ROCPRIM_400000_NS6detail17trampoline_kernelINS0_14default_configENS1_25partition_config_selectorILNS1_17partition_subalgoE8ElNS0_10empty_typeEbEEZZNS1_14partition_implILS5_8ELb0ES3_jPlPS6_PKS6_NS0_5tupleIJS9_S6_EEENSD_IJSA_SA_EEENS0_18inequality_wrapperIZN2at6native12_GLOBAL__N_124unique_dim_cuda_templateIsEESt5tupleIJNSH_6TensorESM_SM_EERKSM_lbbbEUlllE0_EEPmJS6_EEE10hipError_tPvRmT3_T4_T5_T6_T7_T9_mT8_P12ihipStream_tbDpT10_ENKUlT_T0_E_clISt17integral_constantIbLb0EES1B_IbLb1EEEEDaS17_S18_EUlS17_E_NS1_11comp_targetILNS1_3genE3ELNS1_11target_archE908ELNS1_3gpuE7ELNS1_3repE0EEENS1_30default_config_static_selectorELNS0_4arch9wavefront6targetE1EEEvT1_.kd
    .uniform_work_group_size: 1
    .uses_dynamic_stack: false
    .vgpr_count:     0
    .vgpr_spill_count: 0
    .wavefront_size: 64
  - .agpr_count:     0
    .args:
      - .offset:         0
        .size:           136
        .value_kind:     by_value
    .group_segment_fixed_size: 0
    .kernarg_segment_align: 8
    .kernarg_segment_size: 136
    .language:       OpenCL C
    .language_version:
      - 2
      - 0
    .max_flat_workgroup_size: 256
    .name:           _ZN7rocprim17ROCPRIM_400000_NS6detail17trampoline_kernelINS0_14default_configENS1_25partition_config_selectorILNS1_17partition_subalgoE8ElNS0_10empty_typeEbEEZZNS1_14partition_implILS5_8ELb0ES3_jPlPS6_PKS6_NS0_5tupleIJS9_S6_EEENSD_IJSA_SA_EEENS0_18inequality_wrapperIZN2at6native12_GLOBAL__N_124unique_dim_cuda_templateIsEESt5tupleIJNSH_6TensorESM_SM_EERKSM_lbbbEUlllE0_EEPmJS6_EEE10hipError_tPvRmT3_T4_T5_T6_T7_T9_mT8_P12ihipStream_tbDpT10_ENKUlT_T0_E_clISt17integral_constantIbLb0EES1B_IbLb1EEEEDaS17_S18_EUlS17_E_NS1_11comp_targetILNS1_3genE2ELNS1_11target_archE906ELNS1_3gpuE6ELNS1_3repE0EEENS1_30default_config_static_selectorELNS0_4arch9wavefront6targetE1EEEvT1_
    .private_segment_fixed_size: 0
    .sgpr_count:     6
    .sgpr_spill_count: 0
    .symbol:         _ZN7rocprim17ROCPRIM_400000_NS6detail17trampoline_kernelINS0_14default_configENS1_25partition_config_selectorILNS1_17partition_subalgoE8ElNS0_10empty_typeEbEEZZNS1_14partition_implILS5_8ELb0ES3_jPlPS6_PKS6_NS0_5tupleIJS9_S6_EEENSD_IJSA_SA_EEENS0_18inequality_wrapperIZN2at6native12_GLOBAL__N_124unique_dim_cuda_templateIsEESt5tupleIJNSH_6TensorESM_SM_EERKSM_lbbbEUlllE0_EEPmJS6_EEE10hipError_tPvRmT3_T4_T5_T6_T7_T9_mT8_P12ihipStream_tbDpT10_ENKUlT_T0_E_clISt17integral_constantIbLb0EES1B_IbLb1EEEEDaS17_S18_EUlS17_E_NS1_11comp_targetILNS1_3genE2ELNS1_11target_archE906ELNS1_3gpuE6ELNS1_3repE0EEENS1_30default_config_static_selectorELNS0_4arch9wavefront6targetE1EEEvT1_.kd
    .uniform_work_group_size: 1
    .uses_dynamic_stack: false
    .vgpr_count:     0
    .vgpr_spill_count: 0
    .wavefront_size: 64
  - .agpr_count:     0
    .args:
      - .offset:         0
        .size:           136
        .value_kind:     by_value
    .group_segment_fixed_size: 0
    .kernarg_segment_align: 8
    .kernarg_segment_size: 136
    .language:       OpenCL C
    .language_version:
      - 2
      - 0
    .max_flat_workgroup_size: 384
    .name:           _ZN7rocprim17ROCPRIM_400000_NS6detail17trampoline_kernelINS0_14default_configENS1_25partition_config_selectorILNS1_17partition_subalgoE8ElNS0_10empty_typeEbEEZZNS1_14partition_implILS5_8ELb0ES3_jPlPS6_PKS6_NS0_5tupleIJS9_S6_EEENSD_IJSA_SA_EEENS0_18inequality_wrapperIZN2at6native12_GLOBAL__N_124unique_dim_cuda_templateIsEESt5tupleIJNSH_6TensorESM_SM_EERKSM_lbbbEUlllE0_EEPmJS6_EEE10hipError_tPvRmT3_T4_T5_T6_T7_T9_mT8_P12ihipStream_tbDpT10_ENKUlT_T0_E_clISt17integral_constantIbLb0EES1B_IbLb1EEEEDaS17_S18_EUlS17_E_NS1_11comp_targetILNS1_3genE10ELNS1_11target_archE1200ELNS1_3gpuE4ELNS1_3repE0EEENS1_30default_config_static_selectorELNS0_4arch9wavefront6targetE1EEEvT1_
    .private_segment_fixed_size: 0
    .sgpr_count:     6
    .sgpr_spill_count: 0
    .symbol:         _ZN7rocprim17ROCPRIM_400000_NS6detail17trampoline_kernelINS0_14default_configENS1_25partition_config_selectorILNS1_17partition_subalgoE8ElNS0_10empty_typeEbEEZZNS1_14partition_implILS5_8ELb0ES3_jPlPS6_PKS6_NS0_5tupleIJS9_S6_EEENSD_IJSA_SA_EEENS0_18inequality_wrapperIZN2at6native12_GLOBAL__N_124unique_dim_cuda_templateIsEESt5tupleIJNSH_6TensorESM_SM_EERKSM_lbbbEUlllE0_EEPmJS6_EEE10hipError_tPvRmT3_T4_T5_T6_T7_T9_mT8_P12ihipStream_tbDpT10_ENKUlT_T0_E_clISt17integral_constantIbLb0EES1B_IbLb1EEEEDaS17_S18_EUlS17_E_NS1_11comp_targetILNS1_3genE10ELNS1_11target_archE1200ELNS1_3gpuE4ELNS1_3repE0EEENS1_30default_config_static_selectorELNS0_4arch9wavefront6targetE1EEEvT1_.kd
    .uniform_work_group_size: 1
    .uses_dynamic_stack: false
    .vgpr_count:     0
    .vgpr_spill_count: 0
    .wavefront_size: 64
  - .agpr_count:     0
    .args:
      - .offset:         0
        .size:           136
        .value_kind:     by_value
    .group_segment_fixed_size: 0
    .kernarg_segment_align: 8
    .kernarg_segment_size: 136
    .language:       OpenCL C
    .language_version:
      - 2
      - 0
    .max_flat_workgroup_size: 512
    .name:           _ZN7rocprim17ROCPRIM_400000_NS6detail17trampoline_kernelINS0_14default_configENS1_25partition_config_selectorILNS1_17partition_subalgoE8ElNS0_10empty_typeEbEEZZNS1_14partition_implILS5_8ELb0ES3_jPlPS6_PKS6_NS0_5tupleIJS9_S6_EEENSD_IJSA_SA_EEENS0_18inequality_wrapperIZN2at6native12_GLOBAL__N_124unique_dim_cuda_templateIsEESt5tupleIJNSH_6TensorESM_SM_EERKSM_lbbbEUlllE0_EEPmJS6_EEE10hipError_tPvRmT3_T4_T5_T6_T7_T9_mT8_P12ihipStream_tbDpT10_ENKUlT_T0_E_clISt17integral_constantIbLb0EES1B_IbLb1EEEEDaS17_S18_EUlS17_E_NS1_11comp_targetILNS1_3genE9ELNS1_11target_archE1100ELNS1_3gpuE3ELNS1_3repE0EEENS1_30default_config_static_selectorELNS0_4arch9wavefront6targetE1EEEvT1_
    .private_segment_fixed_size: 0
    .sgpr_count:     6
    .sgpr_spill_count: 0
    .symbol:         _ZN7rocprim17ROCPRIM_400000_NS6detail17trampoline_kernelINS0_14default_configENS1_25partition_config_selectorILNS1_17partition_subalgoE8ElNS0_10empty_typeEbEEZZNS1_14partition_implILS5_8ELb0ES3_jPlPS6_PKS6_NS0_5tupleIJS9_S6_EEENSD_IJSA_SA_EEENS0_18inequality_wrapperIZN2at6native12_GLOBAL__N_124unique_dim_cuda_templateIsEESt5tupleIJNSH_6TensorESM_SM_EERKSM_lbbbEUlllE0_EEPmJS6_EEE10hipError_tPvRmT3_T4_T5_T6_T7_T9_mT8_P12ihipStream_tbDpT10_ENKUlT_T0_E_clISt17integral_constantIbLb0EES1B_IbLb1EEEEDaS17_S18_EUlS17_E_NS1_11comp_targetILNS1_3genE9ELNS1_11target_archE1100ELNS1_3gpuE3ELNS1_3repE0EEENS1_30default_config_static_selectorELNS0_4arch9wavefront6targetE1EEEvT1_.kd
    .uniform_work_group_size: 1
    .uses_dynamic_stack: false
    .vgpr_count:     0
    .vgpr_spill_count: 0
    .wavefront_size: 64
  - .agpr_count:     0
    .args:
      - .offset:         0
        .size:           136
        .value_kind:     by_value
    .group_segment_fixed_size: 0
    .kernarg_segment_align: 8
    .kernarg_segment_size: 136
    .language:       OpenCL C
    .language_version:
      - 2
      - 0
    .max_flat_workgroup_size: 512
    .name:           _ZN7rocprim17ROCPRIM_400000_NS6detail17trampoline_kernelINS0_14default_configENS1_25partition_config_selectorILNS1_17partition_subalgoE8ElNS0_10empty_typeEbEEZZNS1_14partition_implILS5_8ELb0ES3_jPlPS6_PKS6_NS0_5tupleIJS9_S6_EEENSD_IJSA_SA_EEENS0_18inequality_wrapperIZN2at6native12_GLOBAL__N_124unique_dim_cuda_templateIsEESt5tupleIJNSH_6TensorESM_SM_EERKSM_lbbbEUlllE0_EEPmJS6_EEE10hipError_tPvRmT3_T4_T5_T6_T7_T9_mT8_P12ihipStream_tbDpT10_ENKUlT_T0_E_clISt17integral_constantIbLb0EES1B_IbLb1EEEEDaS17_S18_EUlS17_E_NS1_11comp_targetILNS1_3genE8ELNS1_11target_archE1030ELNS1_3gpuE2ELNS1_3repE0EEENS1_30default_config_static_selectorELNS0_4arch9wavefront6targetE1EEEvT1_
    .private_segment_fixed_size: 0
    .sgpr_count:     6
    .sgpr_spill_count: 0
    .symbol:         _ZN7rocprim17ROCPRIM_400000_NS6detail17trampoline_kernelINS0_14default_configENS1_25partition_config_selectorILNS1_17partition_subalgoE8ElNS0_10empty_typeEbEEZZNS1_14partition_implILS5_8ELb0ES3_jPlPS6_PKS6_NS0_5tupleIJS9_S6_EEENSD_IJSA_SA_EEENS0_18inequality_wrapperIZN2at6native12_GLOBAL__N_124unique_dim_cuda_templateIsEESt5tupleIJNSH_6TensorESM_SM_EERKSM_lbbbEUlllE0_EEPmJS6_EEE10hipError_tPvRmT3_T4_T5_T6_T7_T9_mT8_P12ihipStream_tbDpT10_ENKUlT_T0_E_clISt17integral_constantIbLb0EES1B_IbLb1EEEEDaS17_S18_EUlS17_E_NS1_11comp_targetILNS1_3genE8ELNS1_11target_archE1030ELNS1_3gpuE2ELNS1_3repE0EEENS1_30default_config_static_selectorELNS0_4arch9wavefront6targetE1EEEvT1_.kd
    .uniform_work_group_size: 1
    .uses_dynamic_stack: false
    .vgpr_count:     0
    .vgpr_spill_count: 0
    .wavefront_size: 64
  - .agpr_count:     0
    .args:
      - .offset:         0
        .size:           120
        .value_kind:     by_value
    .group_segment_fixed_size: 0
    .kernarg_segment_align: 8
    .kernarg_segment_size: 120
    .language:       OpenCL C
    .language_version:
      - 2
      - 0
    .max_flat_workgroup_size: 128
    .name:           _ZN7rocprim17ROCPRIM_400000_NS6detail17trampoline_kernelINS0_14default_configENS1_25partition_config_selectorILNS1_17partition_subalgoE9EllbEEZZNS1_14partition_implILS5_9ELb0ES3_jPlS8_PNS0_10empty_typeENS0_5tupleIJS8_S9_EEENSB_IJS8_SA_EEENS0_18inequality_wrapperIZN2at6native12_GLOBAL__N_124unique_dim_cuda_templateIsEESt5tupleIJNSF_6TensorESK_SK_EERKSK_lbbbEUlllE0_EEPmJS9_EEE10hipError_tPvRmT3_T4_T5_T6_T7_T9_mT8_P12ihipStream_tbDpT10_ENKUlT_T0_E_clISt17integral_constantIbLb0EES1A_EEDaS15_S16_EUlS15_E_NS1_11comp_targetILNS1_3genE0ELNS1_11target_archE4294967295ELNS1_3gpuE0ELNS1_3repE0EEENS1_30default_config_static_selectorELNS0_4arch9wavefront6targetE1EEEvT1_
    .private_segment_fixed_size: 0
    .sgpr_count:     6
    .sgpr_spill_count: 0
    .symbol:         _ZN7rocprim17ROCPRIM_400000_NS6detail17trampoline_kernelINS0_14default_configENS1_25partition_config_selectorILNS1_17partition_subalgoE9EllbEEZZNS1_14partition_implILS5_9ELb0ES3_jPlS8_PNS0_10empty_typeENS0_5tupleIJS8_S9_EEENSB_IJS8_SA_EEENS0_18inequality_wrapperIZN2at6native12_GLOBAL__N_124unique_dim_cuda_templateIsEESt5tupleIJNSF_6TensorESK_SK_EERKSK_lbbbEUlllE0_EEPmJS9_EEE10hipError_tPvRmT3_T4_T5_T6_T7_T9_mT8_P12ihipStream_tbDpT10_ENKUlT_T0_E_clISt17integral_constantIbLb0EES1A_EEDaS15_S16_EUlS15_E_NS1_11comp_targetILNS1_3genE0ELNS1_11target_archE4294967295ELNS1_3gpuE0ELNS1_3repE0EEENS1_30default_config_static_selectorELNS0_4arch9wavefront6targetE1EEEvT1_.kd
    .uniform_work_group_size: 1
    .uses_dynamic_stack: false
    .vgpr_count:     0
    .vgpr_spill_count: 0
    .wavefront_size: 64
  - .agpr_count:     0
    .args:
      - .offset:         0
        .size:           120
        .value_kind:     by_value
    .group_segment_fixed_size: 28684
    .kernarg_segment_align: 8
    .kernarg_segment_size: 120
    .language:       OpenCL C
    .language_version:
      - 2
      - 0
    .max_flat_workgroup_size: 512
    .name:           _ZN7rocprim17ROCPRIM_400000_NS6detail17trampoline_kernelINS0_14default_configENS1_25partition_config_selectorILNS1_17partition_subalgoE9EllbEEZZNS1_14partition_implILS5_9ELb0ES3_jPlS8_PNS0_10empty_typeENS0_5tupleIJS8_S9_EEENSB_IJS8_SA_EEENS0_18inequality_wrapperIZN2at6native12_GLOBAL__N_124unique_dim_cuda_templateIsEESt5tupleIJNSF_6TensorESK_SK_EERKSK_lbbbEUlllE0_EEPmJS9_EEE10hipError_tPvRmT3_T4_T5_T6_T7_T9_mT8_P12ihipStream_tbDpT10_ENKUlT_T0_E_clISt17integral_constantIbLb0EES1A_EEDaS15_S16_EUlS15_E_NS1_11comp_targetILNS1_3genE5ELNS1_11target_archE942ELNS1_3gpuE9ELNS1_3repE0EEENS1_30default_config_static_selectorELNS0_4arch9wavefront6targetE1EEEvT1_
    .private_segment_fixed_size: 0
    .sgpr_count:     58
    .sgpr_spill_count: 0
    .symbol:         _ZN7rocprim17ROCPRIM_400000_NS6detail17trampoline_kernelINS0_14default_configENS1_25partition_config_selectorILNS1_17partition_subalgoE9EllbEEZZNS1_14partition_implILS5_9ELb0ES3_jPlS8_PNS0_10empty_typeENS0_5tupleIJS8_S9_EEENSB_IJS8_SA_EEENS0_18inequality_wrapperIZN2at6native12_GLOBAL__N_124unique_dim_cuda_templateIsEESt5tupleIJNSF_6TensorESK_SK_EERKSK_lbbbEUlllE0_EEPmJS9_EEE10hipError_tPvRmT3_T4_T5_T6_T7_T9_mT8_P12ihipStream_tbDpT10_ENKUlT_T0_E_clISt17integral_constantIbLb0EES1A_EEDaS15_S16_EUlS15_E_NS1_11comp_targetILNS1_3genE5ELNS1_11target_archE942ELNS1_3gpuE9ELNS1_3repE0EEENS1_30default_config_static_selectorELNS0_4arch9wavefront6targetE1EEEvT1_.kd
    .uniform_work_group_size: 1
    .uses_dynamic_stack: false
    .vgpr_count:     66
    .vgpr_spill_count: 0
    .wavefront_size: 64
  - .agpr_count:     0
    .args:
      - .offset:         0
        .size:           120
        .value_kind:     by_value
    .group_segment_fixed_size: 0
    .kernarg_segment_align: 8
    .kernarg_segment_size: 120
    .language:       OpenCL C
    .language_version:
      - 2
      - 0
    .max_flat_workgroup_size: 128
    .name:           _ZN7rocprim17ROCPRIM_400000_NS6detail17trampoline_kernelINS0_14default_configENS1_25partition_config_selectorILNS1_17partition_subalgoE9EllbEEZZNS1_14partition_implILS5_9ELb0ES3_jPlS8_PNS0_10empty_typeENS0_5tupleIJS8_S9_EEENSB_IJS8_SA_EEENS0_18inequality_wrapperIZN2at6native12_GLOBAL__N_124unique_dim_cuda_templateIsEESt5tupleIJNSF_6TensorESK_SK_EERKSK_lbbbEUlllE0_EEPmJS9_EEE10hipError_tPvRmT3_T4_T5_T6_T7_T9_mT8_P12ihipStream_tbDpT10_ENKUlT_T0_E_clISt17integral_constantIbLb0EES1A_EEDaS15_S16_EUlS15_E_NS1_11comp_targetILNS1_3genE4ELNS1_11target_archE910ELNS1_3gpuE8ELNS1_3repE0EEENS1_30default_config_static_selectorELNS0_4arch9wavefront6targetE1EEEvT1_
    .private_segment_fixed_size: 0
    .sgpr_count:     6
    .sgpr_spill_count: 0
    .symbol:         _ZN7rocprim17ROCPRIM_400000_NS6detail17trampoline_kernelINS0_14default_configENS1_25partition_config_selectorILNS1_17partition_subalgoE9EllbEEZZNS1_14partition_implILS5_9ELb0ES3_jPlS8_PNS0_10empty_typeENS0_5tupleIJS8_S9_EEENSB_IJS8_SA_EEENS0_18inequality_wrapperIZN2at6native12_GLOBAL__N_124unique_dim_cuda_templateIsEESt5tupleIJNSF_6TensorESK_SK_EERKSK_lbbbEUlllE0_EEPmJS9_EEE10hipError_tPvRmT3_T4_T5_T6_T7_T9_mT8_P12ihipStream_tbDpT10_ENKUlT_T0_E_clISt17integral_constantIbLb0EES1A_EEDaS15_S16_EUlS15_E_NS1_11comp_targetILNS1_3genE4ELNS1_11target_archE910ELNS1_3gpuE8ELNS1_3repE0EEENS1_30default_config_static_selectorELNS0_4arch9wavefront6targetE1EEEvT1_.kd
    .uniform_work_group_size: 1
    .uses_dynamic_stack: false
    .vgpr_count:     0
    .vgpr_spill_count: 0
    .wavefront_size: 64
  - .agpr_count:     0
    .args:
      - .offset:         0
        .size:           120
        .value_kind:     by_value
    .group_segment_fixed_size: 0
    .kernarg_segment_align: 8
    .kernarg_segment_size: 120
    .language:       OpenCL C
    .language_version:
      - 2
      - 0
    .max_flat_workgroup_size: 128
    .name:           _ZN7rocprim17ROCPRIM_400000_NS6detail17trampoline_kernelINS0_14default_configENS1_25partition_config_selectorILNS1_17partition_subalgoE9EllbEEZZNS1_14partition_implILS5_9ELb0ES3_jPlS8_PNS0_10empty_typeENS0_5tupleIJS8_S9_EEENSB_IJS8_SA_EEENS0_18inequality_wrapperIZN2at6native12_GLOBAL__N_124unique_dim_cuda_templateIsEESt5tupleIJNSF_6TensorESK_SK_EERKSK_lbbbEUlllE0_EEPmJS9_EEE10hipError_tPvRmT3_T4_T5_T6_T7_T9_mT8_P12ihipStream_tbDpT10_ENKUlT_T0_E_clISt17integral_constantIbLb0EES1A_EEDaS15_S16_EUlS15_E_NS1_11comp_targetILNS1_3genE3ELNS1_11target_archE908ELNS1_3gpuE7ELNS1_3repE0EEENS1_30default_config_static_selectorELNS0_4arch9wavefront6targetE1EEEvT1_
    .private_segment_fixed_size: 0
    .sgpr_count:     6
    .sgpr_spill_count: 0
    .symbol:         _ZN7rocprim17ROCPRIM_400000_NS6detail17trampoline_kernelINS0_14default_configENS1_25partition_config_selectorILNS1_17partition_subalgoE9EllbEEZZNS1_14partition_implILS5_9ELb0ES3_jPlS8_PNS0_10empty_typeENS0_5tupleIJS8_S9_EEENSB_IJS8_SA_EEENS0_18inequality_wrapperIZN2at6native12_GLOBAL__N_124unique_dim_cuda_templateIsEESt5tupleIJNSF_6TensorESK_SK_EERKSK_lbbbEUlllE0_EEPmJS9_EEE10hipError_tPvRmT3_T4_T5_T6_T7_T9_mT8_P12ihipStream_tbDpT10_ENKUlT_T0_E_clISt17integral_constantIbLb0EES1A_EEDaS15_S16_EUlS15_E_NS1_11comp_targetILNS1_3genE3ELNS1_11target_archE908ELNS1_3gpuE7ELNS1_3repE0EEENS1_30default_config_static_selectorELNS0_4arch9wavefront6targetE1EEEvT1_.kd
    .uniform_work_group_size: 1
    .uses_dynamic_stack: false
    .vgpr_count:     0
    .vgpr_spill_count: 0
    .wavefront_size: 64
  - .agpr_count:     0
    .args:
      - .offset:         0
        .size:           120
        .value_kind:     by_value
    .group_segment_fixed_size: 0
    .kernarg_segment_align: 8
    .kernarg_segment_size: 120
    .language:       OpenCL C
    .language_version:
      - 2
      - 0
    .max_flat_workgroup_size: 192
    .name:           _ZN7rocprim17ROCPRIM_400000_NS6detail17trampoline_kernelINS0_14default_configENS1_25partition_config_selectorILNS1_17partition_subalgoE9EllbEEZZNS1_14partition_implILS5_9ELb0ES3_jPlS8_PNS0_10empty_typeENS0_5tupleIJS8_S9_EEENSB_IJS8_SA_EEENS0_18inequality_wrapperIZN2at6native12_GLOBAL__N_124unique_dim_cuda_templateIsEESt5tupleIJNSF_6TensorESK_SK_EERKSK_lbbbEUlllE0_EEPmJS9_EEE10hipError_tPvRmT3_T4_T5_T6_T7_T9_mT8_P12ihipStream_tbDpT10_ENKUlT_T0_E_clISt17integral_constantIbLb0EES1A_EEDaS15_S16_EUlS15_E_NS1_11comp_targetILNS1_3genE2ELNS1_11target_archE906ELNS1_3gpuE6ELNS1_3repE0EEENS1_30default_config_static_selectorELNS0_4arch9wavefront6targetE1EEEvT1_
    .private_segment_fixed_size: 0
    .sgpr_count:     6
    .sgpr_spill_count: 0
    .symbol:         _ZN7rocprim17ROCPRIM_400000_NS6detail17trampoline_kernelINS0_14default_configENS1_25partition_config_selectorILNS1_17partition_subalgoE9EllbEEZZNS1_14partition_implILS5_9ELb0ES3_jPlS8_PNS0_10empty_typeENS0_5tupleIJS8_S9_EEENSB_IJS8_SA_EEENS0_18inequality_wrapperIZN2at6native12_GLOBAL__N_124unique_dim_cuda_templateIsEESt5tupleIJNSF_6TensorESK_SK_EERKSK_lbbbEUlllE0_EEPmJS9_EEE10hipError_tPvRmT3_T4_T5_T6_T7_T9_mT8_P12ihipStream_tbDpT10_ENKUlT_T0_E_clISt17integral_constantIbLb0EES1A_EEDaS15_S16_EUlS15_E_NS1_11comp_targetILNS1_3genE2ELNS1_11target_archE906ELNS1_3gpuE6ELNS1_3repE0EEENS1_30default_config_static_selectorELNS0_4arch9wavefront6targetE1EEEvT1_.kd
    .uniform_work_group_size: 1
    .uses_dynamic_stack: false
    .vgpr_count:     0
    .vgpr_spill_count: 0
    .wavefront_size: 64
  - .agpr_count:     0
    .args:
      - .offset:         0
        .size:           120
        .value_kind:     by_value
    .group_segment_fixed_size: 0
    .kernarg_segment_align: 8
    .kernarg_segment_size: 120
    .language:       OpenCL C
    .language_version:
      - 2
      - 0
    .max_flat_workgroup_size: 384
    .name:           _ZN7rocprim17ROCPRIM_400000_NS6detail17trampoline_kernelINS0_14default_configENS1_25partition_config_selectorILNS1_17partition_subalgoE9EllbEEZZNS1_14partition_implILS5_9ELb0ES3_jPlS8_PNS0_10empty_typeENS0_5tupleIJS8_S9_EEENSB_IJS8_SA_EEENS0_18inequality_wrapperIZN2at6native12_GLOBAL__N_124unique_dim_cuda_templateIsEESt5tupleIJNSF_6TensorESK_SK_EERKSK_lbbbEUlllE0_EEPmJS9_EEE10hipError_tPvRmT3_T4_T5_T6_T7_T9_mT8_P12ihipStream_tbDpT10_ENKUlT_T0_E_clISt17integral_constantIbLb0EES1A_EEDaS15_S16_EUlS15_E_NS1_11comp_targetILNS1_3genE10ELNS1_11target_archE1200ELNS1_3gpuE4ELNS1_3repE0EEENS1_30default_config_static_selectorELNS0_4arch9wavefront6targetE1EEEvT1_
    .private_segment_fixed_size: 0
    .sgpr_count:     6
    .sgpr_spill_count: 0
    .symbol:         _ZN7rocprim17ROCPRIM_400000_NS6detail17trampoline_kernelINS0_14default_configENS1_25partition_config_selectorILNS1_17partition_subalgoE9EllbEEZZNS1_14partition_implILS5_9ELb0ES3_jPlS8_PNS0_10empty_typeENS0_5tupleIJS8_S9_EEENSB_IJS8_SA_EEENS0_18inequality_wrapperIZN2at6native12_GLOBAL__N_124unique_dim_cuda_templateIsEESt5tupleIJNSF_6TensorESK_SK_EERKSK_lbbbEUlllE0_EEPmJS9_EEE10hipError_tPvRmT3_T4_T5_T6_T7_T9_mT8_P12ihipStream_tbDpT10_ENKUlT_T0_E_clISt17integral_constantIbLb0EES1A_EEDaS15_S16_EUlS15_E_NS1_11comp_targetILNS1_3genE10ELNS1_11target_archE1200ELNS1_3gpuE4ELNS1_3repE0EEENS1_30default_config_static_selectorELNS0_4arch9wavefront6targetE1EEEvT1_.kd
    .uniform_work_group_size: 1
    .uses_dynamic_stack: false
    .vgpr_count:     0
    .vgpr_spill_count: 0
    .wavefront_size: 64
  - .agpr_count:     0
    .args:
      - .offset:         0
        .size:           120
        .value_kind:     by_value
    .group_segment_fixed_size: 0
    .kernarg_segment_align: 8
    .kernarg_segment_size: 120
    .language:       OpenCL C
    .language_version:
      - 2
      - 0
    .max_flat_workgroup_size: 512
    .name:           _ZN7rocprim17ROCPRIM_400000_NS6detail17trampoline_kernelINS0_14default_configENS1_25partition_config_selectorILNS1_17partition_subalgoE9EllbEEZZNS1_14partition_implILS5_9ELb0ES3_jPlS8_PNS0_10empty_typeENS0_5tupleIJS8_S9_EEENSB_IJS8_SA_EEENS0_18inequality_wrapperIZN2at6native12_GLOBAL__N_124unique_dim_cuda_templateIsEESt5tupleIJNSF_6TensorESK_SK_EERKSK_lbbbEUlllE0_EEPmJS9_EEE10hipError_tPvRmT3_T4_T5_T6_T7_T9_mT8_P12ihipStream_tbDpT10_ENKUlT_T0_E_clISt17integral_constantIbLb0EES1A_EEDaS15_S16_EUlS15_E_NS1_11comp_targetILNS1_3genE9ELNS1_11target_archE1100ELNS1_3gpuE3ELNS1_3repE0EEENS1_30default_config_static_selectorELNS0_4arch9wavefront6targetE1EEEvT1_
    .private_segment_fixed_size: 0
    .sgpr_count:     6
    .sgpr_spill_count: 0
    .symbol:         _ZN7rocprim17ROCPRIM_400000_NS6detail17trampoline_kernelINS0_14default_configENS1_25partition_config_selectorILNS1_17partition_subalgoE9EllbEEZZNS1_14partition_implILS5_9ELb0ES3_jPlS8_PNS0_10empty_typeENS0_5tupleIJS8_S9_EEENSB_IJS8_SA_EEENS0_18inequality_wrapperIZN2at6native12_GLOBAL__N_124unique_dim_cuda_templateIsEESt5tupleIJNSF_6TensorESK_SK_EERKSK_lbbbEUlllE0_EEPmJS9_EEE10hipError_tPvRmT3_T4_T5_T6_T7_T9_mT8_P12ihipStream_tbDpT10_ENKUlT_T0_E_clISt17integral_constantIbLb0EES1A_EEDaS15_S16_EUlS15_E_NS1_11comp_targetILNS1_3genE9ELNS1_11target_archE1100ELNS1_3gpuE3ELNS1_3repE0EEENS1_30default_config_static_selectorELNS0_4arch9wavefront6targetE1EEEvT1_.kd
    .uniform_work_group_size: 1
    .uses_dynamic_stack: false
    .vgpr_count:     0
    .vgpr_spill_count: 0
    .wavefront_size: 64
  - .agpr_count:     0
    .args:
      - .offset:         0
        .size:           120
        .value_kind:     by_value
    .group_segment_fixed_size: 0
    .kernarg_segment_align: 8
    .kernarg_segment_size: 120
    .language:       OpenCL C
    .language_version:
      - 2
      - 0
    .max_flat_workgroup_size: 512
    .name:           _ZN7rocprim17ROCPRIM_400000_NS6detail17trampoline_kernelINS0_14default_configENS1_25partition_config_selectorILNS1_17partition_subalgoE9EllbEEZZNS1_14partition_implILS5_9ELb0ES3_jPlS8_PNS0_10empty_typeENS0_5tupleIJS8_S9_EEENSB_IJS8_SA_EEENS0_18inequality_wrapperIZN2at6native12_GLOBAL__N_124unique_dim_cuda_templateIsEESt5tupleIJNSF_6TensorESK_SK_EERKSK_lbbbEUlllE0_EEPmJS9_EEE10hipError_tPvRmT3_T4_T5_T6_T7_T9_mT8_P12ihipStream_tbDpT10_ENKUlT_T0_E_clISt17integral_constantIbLb0EES1A_EEDaS15_S16_EUlS15_E_NS1_11comp_targetILNS1_3genE8ELNS1_11target_archE1030ELNS1_3gpuE2ELNS1_3repE0EEENS1_30default_config_static_selectorELNS0_4arch9wavefront6targetE1EEEvT1_
    .private_segment_fixed_size: 0
    .sgpr_count:     6
    .sgpr_spill_count: 0
    .symbol:         _ZN7rocprim17ROCPRIM_400000_NS6detail17trampoline_kernelINS0_14default_configENS1_25partition_config_selectorILNS1_17partition_subalgoE9EllbEEZZNS1_14partition_implILS5_9ELb0ES3_jPlS8_PNS0_10empty_typeENS0_5tupleIJS8_S9_EEENSB_IJS8_SA_EEENS0_18inequality_wrapperIZN2at6native12_GLOBAL__N_124unique_dim_cuda_templateIsEESt5tupleIJNSF_6TensorESK_SK_EERKSK_lbbbEUlllE0_EEPmJS9_EEE10hipError_tPvRmT3_T4_T5_T6_T7_T9_mT8_P12ihipStream_tbDpT10_ENKUlT_T0_E_clISt17integral_constantIbLb0EES1A_EEDaS15_S16_EUlS15_E_NS1_11comp_targetILNS1_3genE8ELNS1_11target_archE1030ELNS1_3gpuE2ELNS1_3repE0EEENS1_30default_config_static_selectorELNS0_4arch9wavefront6targetE1EEEvT1_.kd
    .uniform_work_group_size: 1
    .uses_dynamic_stack: false
    .vgpr_count:     0
    .vgpr_spill_count: 0
    .wavefront_size: 64
  - .agpr_count:     0
    .args:
      - .offset:         0
        .size:           136
        .value_kind:     by_value
    .group_segment_fixed_size: 0
    .kernarg_segment_align: 8
    .kernarg_segment_size: 136
    .language:       OpenCL C
    .language_version:
      - 2
      - 0
    .max_flat_workgroup_size: 128
    .name:           _ZN7rocprim17ROCPRIM_400000_NS6detail17trampoline_kernelINS0_14default_configENS1_25partition_config_selectorILNS1_17partition_subalgoE9EllbEEZZNS1_14partition_implILS5_9ELb0ES3_jPlS8_PNS0_10empty_typeENS0_5tupleIJS8_S9_EEENSB_IJS8_SA_EEENS0_18inequality_wrapperIZN2at6native12_GLOBAL__N_124unique_dim_cuda_templateIsEESt5tupleIJNSF_6TensorESK_SK_EERKSK_lbbbEUlllE0_EEPmJS9_EEE10hipError_tPvRmT3_T4_T5_T6_T7_T9_mT8_P12ihipStream_tbDpT10_ENKUlT_T0_E_clISt17integral_constantIbLb1EES1A_EEDaS15_S16_EUlS15_E_NS1_11comp_targetILNS1_3genE0ELNS1_11target_archE4294967295ELNS1_3gpuE0ELNS1_3repE0EEENS1_30default_config_static_selectorELNS0_4arch9wavefront6targetE1EEEvT1_
    .private_segment_fixed_size: 0
    .sgpr_count:     6
    .sgpr_spill_count: 0
    .symbol:         _ZN7rocprim17ROCPRIM_400000_NS6detail17trampoline_kernelINS0_14default_configENS1_25partition_config_selectorILNS1_17partition_subalgoE9EllbEEZZNS1_14partition_implILS5_9ELb0ES3_jPlS8_PNS0_10empty_typeENS0_5tupleIJS8_S9_EEENSB_IJS8_SA_EEENS0_18inequality_wrapperIZN2at6native12_GLOBAL__N_124unique_dim_cuda_templateIsEESt5tupleIJNSF_6TensorESK_SK_EERKSK_lbbbEUlllE0_EEPmJS9_EEE10hipError_tPvRmT3_T4_T5_T6_T7_T9_mT8_P12ihipStream_tbDpT10_ENKUlT_T0_E_clISt17integral_constantIbLb1EES1A_EEDaS15_S16_EUlS15_E_NS1_11comp_targetILNS1_3genE0ELNS1_11target_archE4294967295ELNS1_3gpuE0ELNS1_3repE0EEENS1_30default_config_static_selectorELNS0_4arch9wavefront6targetE1EEEvT1_.kd
    .uniform_work_group_size: 1
    .uses_dynamic_stack: false
    .vgpr_count:     0
    .vgpr_spill_count: 0
    .wavefront_size: 64
  - .agpr_count:     0
    .args:
      - .offset:         0
        .size:           136
        .value_kind:     by_value
    .group_segment_fixed_size: 28684
    .kernarg_segment_align: 8
    .kernarg_segment_size: 136
    .language:       OpenCL C
    .language_version:
      - 2
      - 0
    .max_flat_workgroup_size: 512
    .name:           _ZN7rocprim17ROCPRIM_400000_NS6detail17trampoline_kernelINS0_14default_configENS1_25partition_config_selectorILNS1_17partition_subalgoE9EllbEEZZNS1_14partition_implILS5_9ELb0ES3_jPlS8_PNS0_10empty_typeENS0_5tupleIJS8_S9_EEENSB_IJS8_SA_EEENS0_18inequality_wrapperIZN2at6native12_GLOBAL__N_124unique_dim_cuda_templateIsEESt5tupleIJNSF_6TensorESK_SK_EERKSK_lbbbEUlllE0_EEPmJS9_EEE10hipError_tPvRmT3_T4_T5_T6_T7_T9_mT8_P12ihipStream_tbDpT10_ENKUlT_T0_E_clISt17integral_constantIbLb1EES1A_EEDaS15_S16_EUlS15_E_NS1_11comp_targetILNS1_3genE5ELNS1_11target_archE942ELNS1_3gpuE9ELNS1_3repE0EEENS1_30default_config_static_selectorELNS0_4arch9wavefront6targetE1EEEvT1_
    .private_segment_fixed_size: 0
    .sgpr_count:     64
    .sgpr_spill_count: 0
    .symbol:         _ZN7rocprim17ROCPRIM_400000_NS6detail17trampoline_kernelINS0_14default_configENS1_25partition_config_selectorILNS1_17partition_subalgoE9EllbEEZZNS1_14partition_implILS5_9ELb0ES3_jPlS8_PNS0_10empty_typeENS0_5tupleIJS8_S9_EEENSB_IJS8_SA_EEENS0_18inequality_wrapperIZN2at6native12_GLOBAL__N_124unique_dim_cuda_templateIsEESt5tupleIJNSF_6TensorESK_SK_EERKSK_lbbbEUlllE0_EEPmJS9_EEE10hipError_tPvRmT3_T4_T5_T6_T7_T9_mT8_P12ihipStream_tbDpT10_ENKUlT_T0_E_clISt17integral_constantIbLb1EES1A_EEDaS15_S16_EUlS15_E_NS1_11comp_targetILNS1_3genE5ELNS1_11target_archE942ELNS1_3gpuE9ELNS1_3repE0EEENS1_30default_config_static_selectorELNS0_4arch9wavefront6targetE1EEEvT1_.kd
    .uniform_work_group_size: 1
    .uses_dynamic_stack: false
    .vgpr_count:     66
    .vgpr_spill_count: 0
    .wavefront_size: 64
  - .agpr_count:     0
    .args:
      - .offset:         0
        .size:           136
        .value_kind:     by_value
    .group_segment_fixed_size: 0
    .kernarg_segment_align: 8
    .kernarg_segment_size: 136
    .language:       OpenCL C
    .language_version:
      - 2
      - 0
    .max_flat_workgroup_size: 128
    .name:           _ZN7rocprim17ROCPRIM_400000_NS6detail17trampoline_kernelINS0_14default_configENS1_25partition_config_selectorILNS1_17partition_subalgoE9EllbEEZZNS1_14partition_implILS5_9ELb0ES3_jPlS8_PNS0_10empty_typeENS0_5tupleIJS8_S9_EEENSB_IJS8_SA_EEENS0_18inequality_wrapperIZN2at6native12_GLOBAL__N_124unique_dim_cuda_templateIsEESt5tupleIJNSF_6TensorESK_SK_EERKSK_lbbbEUlllE0_EEPmJS9_EEE10hipError_tPvRmT3_T4_T5_T6_T7_T9_mT8_P12ihipStream_tbDpT10_ENKUlT_T0_E_clISt17integral_constantIbLb1EES1A_EEDaS15_S16_EUlS15_E_NS1_11comp_targetILNS1_3genE4ELNS1_11target_archE910ELNS1_3gpuE8ELNS1_3repE0EEENS1_30default_config_static_selectorELNS0_4arch9wavefront6targetE1EEEvT1_
    .private_segment_fixed_size: 0
    .sgpr_count:     6
    .sgpr_spill_count: 0
    .symbol:         _ZN7rocprim17ROCPRIM_400000_NS6detail17trampoline_kernelINS0_14default_configENS1_25partition_config_selectorILNS1_17partition_subalgoE9EllbEEZZNS1_14partition_implILS5_9ELb0ES3_jPlS8_PNS0_10empty_typeENS0_5tupleIJS8_S9_EEENSB_IJS8_SA_EEENS0_18inequality_wrapperIZN2at6native12_GLOBAL__N_124unique_dim_cuda_templateIsEESt5tupleIJNSF_6TensorESK_SK_EERKSK_lbbbEUlllE0_EEPmJS9_EEE10hipError_tPvRmT3_T4_T5_T6_T7_T9_mT8_P12ihipStream_tbDpT10_ENKUlT_T0_E_clISt17integral_constantIbLb1EES1A_EEDaS15_S16_EUlS15_E_NS1_11comp_targetILNS1_3genE4ELNS1_11target_archE910ELNS1_3gpuE8ELNS1_3repE0EEENS1_30default_config_static_selectorELNS0_4arch9wavefront6targetE1EEEvT1_.kd
    .uniform_work_group_size: 1
    .uses_dynamic_stack: false
    .vgpr_count:     0
    .vgpr_spill_count: 0
    .wavefront_size: 64
  - .agpr_count:     0
    .args:
      - .offset:         0
        .size:           136
        .value_kind:     by_value
    .group_segment_fixed_size: 0
    .kernarg_segment_align: 8
    .kernarg_segment_size: 136
    .language:       OpenCL C
    .language_version:
      - 2
      - 0
    .max_flat_workgroup_size: 128
    .name:           _ZN7rocprim17ROCPRIM_400000_NS6detail17trampoline_kernelINS0_14default_configENS1_25partition_config_selectorILNS1_17partition_subalgoE9EllbEEZZNS1_14partition_implILS5_9ELb0ES3_jPlS8_PNS0_10empty_typeENS0_5tupleIJS8_S9_EEENSB_IJS8_SA_EEENS0_18inequality_wrapperIZN2at6native12_GLOBAL__N_124unique_dim_cuda_templateIsEESt5tupleIJNSF_6TensorESK_SK_EERKSK_lbbbEUlllE0_EEPmJS9_EEE10hipError_tPvRmT3_T4_T5_T6_T7_T9_mT8_P12ihipStream_tbDpT10_ENKUlT_T0_E_clISt17integral_constantIbLb1EES1A_EEDaS15_S16_EUlS15_E_NS1_11comp_targetILNS1_3genE3ELNS1_11target_archE908ELNS1_3gpuE7ELNS1_3repE0EEENS1_30default_config_static_selectorELNS0_4arch9wavefront6targetE1EEEvT1_
    .private_segment_fixed_size: 0
    .sgpr_count:     6
    .sgpr_spill_count: 0
    .symbol:         _ZN7rocprim17ROCPRIM_400000_NS6detail17trampoline_kernelINS0_14default_configENS1_25partition_config_selectorILNS1_17partition_subalgoE9EllbEEZZNS1_14partition_implILS5_9ELb0ES3_jPlS8_PNS0_10empty_typeENS0_5tupleIJS8_S9_EEENSB_IJS8_SA_EEENS0_18inequality_wrapperIZN2at6native12_GLOBAL__N_124unique_dim_cuda_templateIsEESt5tupleIJNSF_6TensorESK_SK_EERKSK_lbbbEUlllE0_EEPmJS9_EEE10hipError_tPvRmT3_T4_T5_T6_T7_T9_mT8_P12ihipStream_tbDpT10_ENKUlT_T0_E_clISt17integral_constantIbLb1EES1A_EEDaS15_S16_EUlS15_E_NS1_11comp_targetILNS1_3genE3ELNS1_11target_archE908ELNS1_3gpuE7ELNS1_3repE0EEENS1_30default_config_static_selectorELNS0_4arch9wavefront6targetE1EEEvT1_.kd
    .uniform_work_group_size: 1
    .uses_dynamic_stack: false
    .vgpr_count:     0
    .vgpr_spill_count: 0
    .wavefront_size: 64
  - .agpr_count:     0
    .args:
      - .offset:         0
        .size:           136
        .value_kind:     by_value
    .group_segment_fixed_size: 0
    .kernarg_segment_align: 8
    .kernarg_segment_size: 136
    .language:       OpenCL C
    .language_version:
      - 2
      - 0
    .max_flat_workgroup_size: 192
    .name:           _ZN7rocprim17ROCPRIM_400000_NS6detail17trampoline_kernelINS0_14default_configENS1_25partition_config_selectorILNS1_17partition_subalgoE9EllbEEZZNS1_14partition_implILS5_9ELb0ES3_jPlS8_PNS0_10empty_typeENS0_5tupleIJS8_S9_EEENSB_IJS8_SA_EEENS0_18inequality_wrapperIZN2at6native12_GLOBAL__N_124unique_dim_cuda_templateIsEESt5tupleIJNSF_6TensorESK_SK_EERKSK_lbbbEUlllE0_EEPmJS9_EEE10hipError_tPvRmT3_T4_T5_T6_T7_T9_mT8_P12ihipStream_tbDpT10_ENKUlT_T0_E_clISt17integral_constantIbLb1EES1A_EEDaS15_S16_EUlS15_E_NS1_11comp_targetILNS1_3genE2ELNS1_11target_archE906ELNS1_3gpuE6ELNS1_3repE0EEENS1_30default_config_static_selectorELNS0_4arch9wavefront6targetE1EEEvT1_
    .private_segment_fixed_size: 0
    .sgpr_count:     6
    .sgpr_spill_count: 0
    .symbol:         _ZN7rocprim17ROCPRIM_400000_NS6detail17trampoline_kernelINS0_14default_configENS1_25partition_config_selectorILNS1_17partition_subalgoE9EllbEEZZNS1_14partition_implILS5_9ELb0ES3_jPlS8_PNS0_10empty_typeENS0_5tupleIJS8_S9_EEENSB_IJS8_SA_EEENS0_18inequality_wrapperIZN2at6native12_GLOBAL__N_124unique_dim_cuda_templateIsEESt5tupleIJNSF_6TensorESK_SK_EERKSK_lbbbEUlllE0_EEPmJS9_EEE10hipError_tPvRmT3_T4_T5_T6_T7_T9_mT8_P12ihipStream_tbDpT10_ENKUlT_T0_E_clISt17integral_constantIbLb1EES1A_EEDaS15_S16_EUlS15_E_NS1_11comp_targetILNS1_3genE2ELNS1_11target_archE906ELNS1_3gpuE6ELNS1_3repE0EEENS1_30default_config_static_selectorELNS0_4arch9wavefront6targetE1EEEvT1_.kd
    .uniform_work_group_size: 1
    .uses_dynamic_stack: false
    .vgpr_count:     0
    .vgpr_spill_count: 0
    .wavefront_size: 64
  - .agpr_count:     0
    .args:
      - .offset:         0
        .size:           136
        .value_kind:     by_value
    .group_segment_fixed_size: 0
    .kernarg_segment_align: 8
    .kernarg_segment_size: 136
    .language:       OpenCL C
    .language_version:
      - 2
      - 0
    .max_flat_workgroup_size: 384
    .name:           _ZN7rocprim17ROCPRIM_400000_NS6detail17trampoline_kernelINS0_14default_configENS1_25partition_config_selectorILNS1_17partition_subalgoE9EllbEEZZNS1_14partition_implILS5_9ELb0ES3_jPlS8_PNS0_10empty_typeENS0_5tupleIJS8_S9_EEENSB_IJS8_SA_EEENS0_18inequality_wrapperIZN2at6native12_GLOBAL__N_124unique_dim_cuda_templateIsEESt5tupleIJNSF_6TensorESK_SK_EERKSK_lbbbEUlllE0_EEPmJS9_EEE10hipError_tPvRmT3_T4_T5_T6_T7_T9_mT8_P12ihipStream_tbDpT10_ENKUlT_T0_E_clISt17integral_constantIbLb1EES1A_EEDaS15_S16_EUlS15_E_NS1_11comp_targetILNS1_3genE10ELNS1_11target_archE1200ELNS1_3gpuE4ELNS1_3repE0EEENS1_30default_config_static_selectorELNS0_4arch9wavefront6targetE1EEEvT1_
    .private_segment_fixed_size: 0
    .sgpr_count:     6
    .sgpr_spill_count: 0
    .symbol:         _ZN7rocprim17ROCPRIM_400000_NS6detail17trampoline_kernelINS0_14default_configENS1_25partition_config_selectorILNS1_17partition_subalgoE9EllbEEZZNS1_14partition_implILS5_9ELb0ES3_jPlS8_PNS0_10empty_typeENS0_5tupleIJS8_S9_EEENSB_IJS8_SA_EEENS0_18inequality_wrapperIZN2at6native12_GLOBAL__N_124unique_dim_cuda_templateIsEESt5tupleIJNSF_6TensorESK_SK_EERKSK_lbbbEUlllE0_EEPmJS9_EEE10hipError_tPvRmT3_T4_T5_T6_T7_T9_mT8_P12ihipStream_tbDpT10_ENKUlT_T0_E_clISt17integral_constantIbLb1EES1A_EEDaS15_S16_EUlS15_E_NS1_11comp_targetILNS1_3genE10ELNS1_11target_archE1200ELNS1_3gpuE4ELNS1_3repE0EEENS1_30default_config_static_selectorELNS0_4arch9wavefront6targetE1EEEvT1_.kd
    .uniform_work_group_size: 1
    .uses_dynamic_stack: false
    .vgpr_count:     0
    .vgpr_spill_count: 0
    .wavefront_size: 64
  - .agpr_count:     0
    .args:
      - .offset:         0
        .size:           136
        .value_kind:     by_value
    .group_segment_fixed_size: 0
    .kernarg_segment_align: 8
    .kernarg_segment_size: 136
    .language:       OpenCL C
    .language_version:
      - 2
      - 0
    .max_flat_workgroup_size: 512
    .name:           _ZN7rocprim17ROCPRIM_400000_NS6detail17trampoline_kernelINS0_14default_configENS1_25partition_config_selectorILNS1_17partition_subalgoE9EllbEEZZNS1_14partition_implILS5_9ELb0ES3_jPlS8_PNS0_10empty_typeENS0_5tupleIJS8_S9_EEENSB_IJS8_SA_EEENS0_18inequality_wrapperIZN2at6native12_GLOBAL__N_124unique_dim_cuda_templateIsEESt5tupleIJNSF_6TensorESK_SK_EERKSK_lbbbEUlllE0_EEPmJS9_EEE10hipError_tPvRmT3_T4_T5_T6_T7_T9_mT8_P12ihipStream_tbDpT10_ENKUlT_T0_E_clISt17integral_constantIbLb1EES1A_EEDaS15_S16_EUlS15_E_NS1_11comp_targetILNS1_3genE9ELNS1_11target_archE1100ELNS1_3gpuE3ELNS1_3repE0EEENS1_30default_config_static_selectorELNS0_4arch9wavefront6targetE1EEEvT1_
    .private_segment_fixed_size: 0
    .sgpr_count:     6
    .sgpr_spill_count: 0
    .symbol:         _ZN7rocprim17ROCPRIM_400000_NS6detail17trampoline_kernelINS0_14default_configENS1_25partition_config_selectorILNS1_17partition_subalgoE9EllbEEZZNS1_14partition_implILS5_9ELb0ES3_jPlS8_PNS0_10empty_typeENS0_5tupleIJS8_S9_EEENSB_IJS8_SA_EEENS0_18inequality_wrapperIZN2at6native12_GLOBAL__N_124unique_dim_cuda_templateIsEESt5tupleIJNSF_6TensorESK_SK_EERKSK_lbbbEUlllE0_EEPmJS9_EEE10hipError_tPvRmT3_T4_T5_T6_T7_T9_mT8_P12ihipStream_tbDpT10_ENKUlT_T0_E_clISt17integral_constantIbLb1EES1A_EEDaS15_S16_EUlS15_E_NS1_11comp_targetILNS1_3genE9ELNS1_11target_archE1100ELNS1_3gpuE3ELNS1_3repE0EEENS1_30default_config_static_selectorELNS0_4arch9wavefront6targetE1EEEvT1_.kd
    .uniform_work_group_size: 1
    .uses_dynamic_stack: false
    .vgpr_count:     0
    .vgpr_spill_count: 0
    .wavefront_size: 64
  - .agpr_count:     0
    .args:
      - .offset:         0
        .size:           136
        .value_kind:     by_value
    .group_segment_fixed_size: 0
    .kernarg_segment_align: 8
    .kernarg_segment_size: 136
    .language:       OpenCL C
    .language_version:
      - 2
      - 0
    .max_flat_workgroup_size: 512
    .name:           _ZN7rocprim17ROCPRIM_400000_NS6detail17trampoline_kernelINS0_14default_configENS1_25partition_config_selectorILNS1_17partition_subalgoE9EllbEEZZNS1_14partition_implILS5_9ELb0ES3_jPlS8_PNS0_10empty_typeENS0_5tupleIJS8_S9_EEENSB_IJS8_SA_EEENS0_18inequality_wrapperIZN2at6native12_GLOBAL__N_124unique_dim_cuda_templateIsEESt5tupleIJNSF_6TensorESK_SK_EERKSK_lbbbEUlllE0_EEPmJS9_EEE10hipError_tPvRmT3_T4_T5_T6_T7_T9_mT8_P12ihipStream_tbDpT10_ENKUlT_T0_E_clISt17integral_constantIbLb1EES1A_EEDaS15_S16_EUlS15_E_NS1_11comp_targetILNS1_3genE8ELNS1_11target_archE1030ELNS1_3gpuE2ELNS1_3repE0EEENS1_30default_config_static_selectorELNS0_4arch9wavefront6targetE1EEEvT1_
    .private_segment_fixed_size: 0
    .sgpr_count:     6
    .sgpr_spill_count: 0
    .symbol:         _ZN7rocprim17ROCPRIM_400000_NS6detail17trampoline_kernelINS0_14default_configENS1_25partition_config_selectorILNS1_17partition_subalgoE9EllbEEZZNS1_14partition_implILS5_9ELb0ES3_jPlS8_PNS0_10empty_typeENS0_5tupleIJS8_S9_EEENSB_IJS8_SA_EEENS0_18inequality_wrapperIZN2at6native12_GLOBAL__N_124unique_dim_cuda_templateIsEESt5tupleIJNSF_6TensorESK_SK_EERKSK_lbbbEUlllE0_EEPmJS9_EEE10hipError_tPvRmT3_T4_T5_T6_T7_T9_mT8_P12ihipStream_tbDpT10_ENKUlT_T0_E_clISt17integral_constantIbLb1EES1A_EEDaS15_S16_EUlS15_E_NS1_11comp_targetILNS1_3genE8ELNS1_11target_archE1030ELNS1_3gpuE2ELNS1_3repE0EEENS1_30default_config_static_selectorELNS0_4arch9wavefront6targetE1EEEvT1_.kd
    .uniform_work_group_size: 1
    .uses_dynamic_stack: false
    .vgpr_count:     0
    .vgpr_spill_count: 0
    .wavefront_size: 64
  - .agpr_count:     0
    .args:
      - .offset:         0
        .size:           120
        .value_kind:     by_value
    .group_segment_fixed_size: 0
    .kernarg_segment_align: 8
    .kernarg_segment_size: 120
    .language:       OpenCL C
    .language_version:
      - 2
      - 0
    .max_flat_workgroup_size: 128
    .name:           _ZN7rocprim17ROCPRIM_400000_NS6detail17trampoline_kernelINS0_14default_configENS1_25partition_config_selectorILNS1_17partition_subalgoE9EllbEEZZNS1_14partition_implILS5_9ELb0ES3_jPlS8_PNS0_10empty_typeENS0_5tupleIJS8_S9_EEENSB_IJS8_SA_EEENS0_18inequality_wrapperIZN2at6native12_GLOBAL__N_124unique_dim_cuda_templateIsEESt5tupleIJNSF_6TensorESK_SK_EERKSK_lbbbEUlllE0_EEPmJS9_EEE10hipError_tPvRmT3_T4_T5_T6_T7_T9_mT8_P12ihipStream_tbDpT10_ENKUlT_T0_E_clISt17integral_constantIbLb1EES19_IbLb0EEEEDaS15_S16_EUlS15_E_NS1_11comp_targetILNS1_3genE0ELNS1_11target_archE4294967295ELNS1_3gpuE0ELNS1_3repE0EEENS1_30default_config_static_selectorELNS0_4arch9wavefront6targetE1EEEvT1_
    .private_segment_fixed_size: 0
    .sgpr_count:     6
    .sgpr_spill_count: 0
    .symbol:         _ZN7rocprim17ROCPRIM_400000_NS6detail17trampoline_kernelINS0_14default_configENS1_25partition_config_selectorILNS1_17partition_subalgoE9EllbEEZZNS1_14partition_implILS5_9ELb0ES3_jPlS8_PNS0_10empty_typeENS0_5tupleIJS8_S9_EEENSB_IJS8_SA_EEENS0_18inequality_wrapperIZN2at6native12_GLOBAL__N_124unique_dim_cuda_templateIsEESt5tupleIJNSF_6TensorESK_SK_EERKSK_lbbbEUlllE0_EEPmJS9_EEE10hipError_tPvRmT3_T4_T5_T6_T7_T9_mT8_P12ihipStream_tbDpT10_ENKUlT_T0_E_clISt17integral_constantIbLb1EES19_IbLb0EEEEDaS15_S16_EUlS15_E_NS1_11comp_targetILNS1_3genE0ELNS1_11target_archE4294967295ELNS1_3gpuE0ELNS1_3repE0EEENS1_30default_config_static_selectorELNS0_4arch9wavefront6targetE1EEEvT1_.kd
    .uniform_work_group_size: 1
    .uses_dynamic_stack: false
    .vgpr_count:     0
    .vgpr_spill_count: 0
    .wavefront_size: 64
  - .agpr_count:     0
    .args:
      - .offset:         0
        .size:           120
        .value_kind:     by_value
    .group_segment_fixed_size: 28684
    .kernarg_segment_align: 8
    .kernarg_segment_size: 120
    .language:       OpenCL C
    .language_version:
      - 2
      - 0
    .max_flat_workgroup_size: 512
    .name:           _ZN7rocprim17ROCPRIM_400000_NS6detail17trampoline_kernelINS0_14default_configENS1_25partition_config_selectorILNS1_17partition_subalgoE9EllbEEZZNS1_14partition_implILS5_9ELb0ES3_jPlS8_PNS0_10empty_typeENS0_5tupleIJS8_S9_EEENSB_IJS8_SA_EEENS0_18inequality_wrapperIZN2at6native12_GLOBAL__N_124unique_dim_cuda_templateIsEESt5tupleIJNSF_6TensorESK_SK_EERKSK_lbbbEUlllE0_EEPmJS9_EEE10hipError_tPvRmT3_T4_T5_T6_T7_T9_mT8_P12ihipStream_tbDpT10_ENKUlT_T0_E_clISt17integral_constantIbLb1EES19_IbLb0EEEEDaS15_S16_EUlS15_E_NS1_11comp_targetILNS1_3genE5ELNS1_11target_archE942ELNS1_3gpuE9ELNS1_3repE0EEENS1_30default_config_static_selectorELNS0_4arch9wavefront6targetE1EEEvT1_
    .private_segment_fixed_size: 0
    .sgpr_count:     58
    .sgpr_spill_count: 0
    .symbol:         _ZN7rocprim17ROCPRIM_400000_NS6detail17trampoline_kernelINS0_14default_configENS1_25partition_config_selectorILNS1_17partition_subalgoE9EllbEEZZNS1_14partition_implILS5_9ELb0ES3_jPlS8_PNS0_10empty_typeENS0_5tupleIJS8_S9_EEENSB_IJS8_SA_EEENS0_18inequality_wrapperIZN2at6native12_GLOBAL__N_124unique_dim_cuda_templateIsEESt5tupleIJNSF_6TensorESK_SK_EERKSK_lbbbEUlllE0_EEPmJS9_EEE10hipError_tPvRmT3_T4_T5_T6_T7_T9_mT8_P12ihipStream_tbDpT10_ENKUlT_T0_E_clISt17integral_constantIbLb1EES19_IbLb0EEEEDaS15_S16_EUlS15_E_NS1_11comp_targetILNS1_3genE5ELNS1_11target_archE942ELNS1_3gpuE9ELNS1_3repE0EEENS1_30default_config_static_selectorELNS0_4arch9wavefront6targetE1EEEvT1_.kd
    .uniform_work_group_size: 1
    .uses_dynamic_stack: false
    .vgpr_count:     66
    .vgpr_spill_count: 0
    .wavefront_size: 64
  - .agpr_count:     0
    .args:
      - .offset:         0
        .size:           120
        .value_kind:     by_value
    .group_segment_fixed_size: 0
    .kernarg_segment_align: 8
    .kernarg_segment_size: 120
    .language:       OpenCL C
    .language_version:
      - 2
      - 0
    .max_flat_workgroup_size: 128
    .name:           _ZN7rocprim17ROCPRIM_400000_NS6detail17trampoline_kernelINS0_14default_configENS1_25partition_config_selectorILNS1_17partition_subalgoE9EllbEEZZNS1_14partition_implILS5_9ELb0ES3_jPlS8_PNS0_10empty_typeENS0_5tupleIJS8_S9_EEENSB_IJS8_SA_EEENS0_18inequality_wrapperIZN2at6native12_GLOBAL__N_124unique_dim_cuda_templateIsEESt5tupleIJNSF_6TensorESK_SK_EERKSK_lbbbEUlllE0_EEPmJS9_EEE10hipError_tPvRmT3_T4_T5_T6_T7_T9_mT8_P12ihipStream_tbDpT10_ENKUlT_T0_E_clISt17integral_constantIbLb1EES19_IbLb0EEEEDaS15_S16_EUlS15_E_NS1_11comp_targetILNS1_3genE4ELNS1_11target_archE910ELNS1_3gpuE8ELNS1_3repE0EEENS1_30default_config_static_selectorELNS0_4arch9wavefront6targetE1EEEvT1_
    .private_segment_fixed_size: 0
    .sgpr_count:     6
    .sgpr_spill_count: 0
    .symbol:         _ZN7rocprim17ROCPRIM_400000_NS6detail17trampoline_kernelINS0_14default_configENS1_25partition_config_selectorILNS1_17partition_subalgoE9EllbEEZZNS1_14partition_implILS5_9ELb0ES3_jPlS8_PNS0_10empty_typeENS0_5tupleIJS8_S9_EEENSB_IJS8_SA_EEENS0_18inequality_wrapperIZN2at6native12_GLOBAL__N_124unique_dim_cuda_templateIsEESt5tupleIJNSF_6TensorESK_SK_EERKSK_lbbbEUlllE0_EEPmJS9_EEE10hipError_tPvRmT3_T4_T5_T6_T7_T9_mT8_P12ihipStream_tbDpT10_ENKUlT_T0_E_clISt17integral_constantIbLb1EES19_IbLb0EEEEDaS15_S16_EUlS15_E_NS1_11comp_targetILNS1_3genE4ELNS1_11target_archE910ELNS1_3gpuE8ELNS1_3repE0EEENS1_30default_config_static_selectorELNS0_4arch9wavefront6targetE1EEEvT1_.kd
    .uniform_work_group_size: 1
    .uses_dynamic_stack: false
    .vgpr_count:     0
    .vgpr_spill_count: 0
    .wavefront_size: 64
  - .agpr_count:     0
    .args:
      - .offset:         0
        .size:           120
        .value_kind:     by_value
    .group_segment_fixed_size: 0
    .kernarg_segment_align: 8
    .kernarg_segment_size: 120
    .language:       OpenCL C
    .language_version:
      - 2
      - 0
    .max_flat_workgroup_size: 128
    .name:           _ZN7rocprim17ROCPRIM_400000_NS6detail17trampoline_kernelINS0_14default_configENS1_25partition_config_selectorILNS1_17partition_subalgoE9EllbEEZZNS1_14partition_implILS5_9ELb0ES3_jPlS8_PNS0_10empty_typeENS0_5tupleIJS8_S9_EEENSB_IJS8_SA_EEENS0_18inequality_wrapperIZN2at6native12_GLOBAL__N_124unique_dim_cuda_templateIsEESt5tupleIJNSF_6TensorESK_SK_EERKSK_lbbbEUlllE0_EEPmJS9_EEE10hipError_tPvRmT3_T4_T5_T6_T7_T9_mT8_P12ihipStream_tbDpT10_ENKUlT_T0_E_clISt17integral_constantIbLb1EES19_IbLb0EEEEDaS15_S16_EUlS15_E_NS1_11comp_targetILNS1_3genE3ELNS1_11target_archE908ELNS1_3gpuE7ELNS1_3repE0EEENS1_30default_config_static_selectorELNS0_4arch9wavefront6targetE1EEEvT1_
    .private_segment_fixed_size: 0
    .sgpr_count:     6
    .sgpr_spill_count: 0
    .symbol:         _ZN7rocprim17ROCPRIM_400000_NS6detail17trampoline_kernelINS0_14default_configENS1_25partition_config_selectorILNS1_17partition_subalgoE9EllbEEZZNS1_14partition_implILS5_9ELb0ES3_jPlS8_PNS0_10empty_typeENS0_5tupleIJS8_S9_EEENSB_IJS8_SA_EEENS0_18inequality_wrapperIZN2at6native12_GLOBAL__N_124unique_dim_cuda_templateIsEESt5tupleIJNSF_6TensorESK_SK_EERKSK_lbbbEUlllE0_EEPmJS9_EEE10hipError_tPvRmT3_T4_T5_T6_T7_T9_mT8_P12ihipStream_tbDpT10_ENKUlT_T0_E_clISt17integral_constantIbLb1EES19_IbLb0EEEEDaS15_S16_EUlS15_E_NS1_11comp_targetILNS1_3genE3ELNS1_11target_archE908ELNS1_3gpuE7ELNS1_3repE0EEENS1_30default_config_static_selectorELNS0_4arch9wavefront6targetE1EEEvT1_.kd
    .uniform_work_group_size: 1
    .uses_dynamic_stack: false
    .vgpr_count:     0
    .vgpr_spill_count: 0
    .wavefront_size: 64
  - .agpr_count:     0
    .args:
      - .offset:         0
        .size:           120
        .value_kind:     by_value
    .group_segment_fixed_size: 0
    .kernarg_segment_align: 8
    .kernarg_segment_size: 120
    .language:       OpenCL C
    .language_version:
      - 2
      - 0
    .max_flat_workgroup_size: 192
    .name:           _ZN7rocprim17ROCPRIM_400000_NS6detail17trampoline_kernelINS0_14default_configENS1_25partition_config_selectorILNS1_17partition_subalgoE9EllbEEZZNS1_14partition_implILS5_9ELb0ES3_jPlS8_PNS0_10empty_typeENS0_5tupleIJS8_S9_EEENSB_IJS8_SA_EEENS0_18inequality_wrapperIZN2at6native12_GLOBAL__N_124unique_dim_cuda_templateIsEESt5tupleIJNSF_6TensorESK_SK_EERKSK_lbbbEUlllE0_EEPmJS9_EEE10hipError_tPvRmT3_T4_T5_T6_T7_T9_mT8_P12ihipStream_tbDpT10_ENKUlT_T0_E_clISt17integral_constantIbLb1EES19_IbLb0EEEEDaS15_S16_EUlS15_E_NS1_11comp_targetILNS1_3genE2ELNS1_11target_archE906ELNS1_3gpuE6ELNS1_3repE0EEENS1_30default_config_static_selectorELNS0_4arch9wavefront6targetE1EEEvT1_
    .private_segment_fixed_size: 0
    .sgpr_count:     6
    .sgpr_spill_count: 0
    .symbol:         _ZN7rocprim17ROCPRIM_400000_NS6detail17trampoline_kernelINS0_14default_configENS1_25partition_config_selectorILNS1_17partition_subalgoE9EllbEEZZNS1_14partition_implILS5_9ELb0ES3_jPlS8_PNS0_10empty_typeENS0_5tupleIJS8_S9_EEENSB_IJS8_SA_EEENS0_18inequality_wrapperIZN2at6native12_GLOBAL__N_124unique_dim_cuda_templateIsEESt5tupleIJNSF_6TensorESK_SK_EERKSK_lbbbEUlllE0_EEPmJS9_EEE10hipError_tPvRmT3_T4_T5_T6_T7_T9_mT8_P12ihipStream_tbDpT10_ENKUlT_T0_E_clISt17integral_constantIbLb1EES19_IbLb0EEEEDaS15_S16_EUlS15_E_NS1_11comp_targetILNS1_3genE2ELNS1_11target_archE906ELNS1_3gpuE6ELNS1_3repE0EEENS1_30default_config_static_selectorELNS0_4arch9wavefront6targetE1EEEvT1_.kd
    .uniform_work_group_size: 1
    .uses_dynamic_stack: false
    .vgpr_count:     0
    .vgpr_spill_count: 0
    .wavefront_size: 64
  - .agpr_count:     0
    .args:
      - .offset:         0
        .size:           120
        .value_kind:     by_value
    .group_segment_fixed_size: 0
    .kernarg_segment_align: 8
    .kernarg_segment_size: 120
    .language:       OpenCL C
    .language_version:
      - 2
      - 0
    .max_flat_workgroup_size: 384
    .name:           _ZN7rocprim17ROCPRIM_400000_NS6detail17trampoline_kernelINS0_14default_configENS1_25partition_config_selectorILNS1_17partition_subalgoE9EllbEEZZNS1_14partition_implILS5_9ELb0ES3_jPlS8_PNS0_10empty_typeENS0_5tupleIJS8_S9_EEENSB_IJS8_SA_EEENS0_18inequality_wrapperIZN2at6native12_GLOBAL__N_124unique_dim_cuda_templateIsEESt5tupleIJNSF_6TensorESK_SK_EERKSK_lbbbEUlllE0_EEPmJS9_EEE10hipError_tPvRmT3_T4_T5_T6_T7_T9_mT8_P12ihipStream_tbDpT10_ENKUlT_T0_E_clISt17integral_constantIbLb1EES19_IbLb0EEEEDaS15_S16_EUlS15_E_NS1_11comp_targetILNS1_3genE10ELNS1_11target_archE1200ELNS1_3gpuE4ELNS1_3repE0EEENS1_30default_config_static_selectorELNS0_4arch9wavefront6targetE1EEEvT1_
    .private_segment_fixed_size: 0
    .sgpr_count:     6
    .sgpr_spill_count: 0
    .symbol:         _ZN7rocprim17ROCPRIM_400000_NS6detail17trampoline_kernelINS0_14default_configENS1_25partition_config_selectorILNS1_17partition_subalgoE9EllbEEZZNS1_14partition_implILS5_9ELb0ES3_jPlS8_PNS0_10empty_typeENS0_5tupleIJS8_S9_EEENSB_IJS8_SA_EEENS0_18inequality_wrapperIZN2at6native12_GLOBAL__N_124unique_dim_cuda_templateIsEESt5tupleIJNSF_6TensorESK_SK_EERKSK_lbbbEUlllE0_EEPmJS9_EEE10hipError_tPvRmT3_T4_T5_T6_T7_T9_mT8_P12ihipStream_tbDpT10_ENKUlT_T0_E_clISt17integral_constantIbLb1EES19_IbLb0EEEEDaS15_S16_EUlS15_E_NS1_11comp_targetILNS1_3genE10ELNS1_11target_archE1200ELNS1_3gpuE4ELNS1_3repE0EEENS1_30default_config_static_selectorELNS0_4arch9wavefront6targetE1EEEvT1_.kd
    .uniform_work_group_size: 1
    .uses_dynamic_stack: false
    .vgpr_count:     0
    .vgpr_spill_count: 0
    .wavefront_size: 64
  - .agpr_count:     0
    .args:
      - .offset:         0
        .size:           120
        .value_kind:     by_value
    .group_segment_fixed_size: 0
    .kernarg_segment_align: 8
    .kernarg_segment_size: 120
    .language:       OpenCL C
    .language_version:
      - 2
      - 0
    .max_flat_workgroup_size: 512
    .name:           _ZN7rocprim17ROCPRIM_400000_NS6detail17trampoline_kernelINS0_14default_configENS1_25partition_config_selectorILNS1_17partition_subalgoE9EllbEEZZNS1_14partition_implILS5_9ELb0ES3_jPlS8_PNS0_10empty_typeENS0_5tupleIJS8_S9_EEENSB_IJS8_SA_EEENS0_18inequality_wrapperIZN2at6native12_GLOBAL__N_124unique_dim_cuda_templateIsEESt5tupleIJNSF_6TensorESK_SK_EERKSK_lbbbEUlllE0_EEPmJS9_EEE10hipError_tPvRmT3_T4_T5_T6_T7_T9_mT8_P12ihipStream_tbDpT10_ENKUlT_T0_E_clISt17integral_constantIbLb1EES19_IbLb0EEEEDaS15_S16_EUlS15_E_NS1_11comp_targetILNS1_3genE9ELNS1_11target_archE1100ELNS1_3gpuE3ELNS1_3repE0EEENS1_30default_config_static_selectorELNS0_4arch9wavefront6targetE1EEEvT1_
    .private_segment_fixed_size: 0
    .sgpr_count:     6
    .sgpr_spill_count: 0
    .symbol:         _ZN7rocprim17ROCPRIM_400000_NS6detail17trampoline_kernelINS0_14default_configENS1_25partition_config_selectorILNS1_17partition_subalgoE9EllbEEZZNS1_14partition_implILS5_9ELb0ES3_jPlS8_PNS0_10empty_typeENS0_5tupleIJS8_S9_EEENSB_IJS8_SA_EEENS0_18inequality_wrapperIZN2at6native12_GLOBAL__N_124unique_dim_cuda_templateIsEESt5tupleIJNSF_6TensorESK_SK_EERKSK_lbbbEUlllE0_EEPmJS9_EEE10hipError_tPvRmT3_T4_T5_T6_T7_T9_mT8_P12ihipStream_tbDpT10_ENKUlT_T0_E_clISt17integral_constantIbLb1EES19_IbLb0EEEEDaS15_S16_EUlS15_E_NS1_11comp_targetILNS1_3genE9ELNS1_11target_archE1100ELNS1_3gpuE3ELNS1_3repE0EEENS1_30default_config_static_selectorELNS0_4arch9wavefront6targetE1EEEvT1_.kd
    .uniform_work_group_size: 1
    .uses_dynamic_stack: false
    .vgpr_count:     0
    .vgpr_spill_count: 0
    .wavefront_size: 64
  - .agpr_count:     0
    .args:
      - .offset:         0
        .size:           120
        .value_kind:     by_value
    .group_segment_fixed_size: 0
    .kernarg_segment_align: 8
    .kernarg_segment_size: 120
    .language:       OpenCL C
    .language_version:
      - 2
      - 0
    .max_flat_workgroup_size: 512
    .name:           _ZN7rocprim17ROCPRIM_400000_NS6detail17trampoline_kernelINS0_14default_configENS1_25partition_config_selectorILNS1_17partition_subalgoE9EllbEEZZNS1_14partition_implILS5_9ELb0ES3_jPlS8_PNS0_10empty_typeENS0_5tupleIJS8_S9_EEENSB_IJS8_SA_EEENS0_18inequality_wrapperIZN2at6native12_GLOBAL__N_124unique_dim_cuda_templateIsEESt5tupleIJNSF_6TensorESK_SK_EERKSK_lbbbEUlllE0_EEPmJS9_EEE10hipError_tPvRmT3_T4_T5_T6_T7_T9_mT8_P12ihipStream_tbDpT10_ENKUlT_T0_E_clISt17integral_constantIbLb1EES19_IbLb0EEEEDaS15_S16_EUlS15_E_NS1_11comp_targetILNS1_3genE8ELNS1_11target_archE1030ELNS1_3gpuE2ELNS1_3repE0EEENS1_30default_config_static_selectorELNS0_4arch9wavefront6targetE1EEEvT1_
    .private_segment_fixed_size: 0
    .sgpr_count:     6
    .sgpr_spill_count: 0
    .symbol:         _ZN7rocprim17ROCPRIM_400000_NS6detail17trampoline_kernelINS0_14default_configENS1_25partition_config_selectorILNS1_17partition_subalgoE9EllbEEZZNS1_14partition_implILS5_9ELb0ES3_jPlS8_PNS0_10empty_typeENS0_5tupleIJS8_S9_EEENSB_IJS8_SA_EEENS0_18inequality_wrapperIZN2at6native12_GLOBAL__N_124unique_dim_cuda_templateIsEESt5tupleIJNSF_6TensorESK_SK_EERKSK_lbbbEUlllE0_EEPmJS9_EEE10hipError_tPvRmT3_T4_T5_T6_T7_T9_mT8_P12ihipStream_tbDpT10_ENKUlT_T0_E_clISt17integral_constantIbLb1EES19_IbLb0EEEEDaS15_S16_EUlS15_E_NS1_11comp_targetILNS1_3genE8ELNS1_11target_archE1030ELNS1_3gpuE2ELNS1_3repE0EEENS1_30default_config_static_selectorELNS0_4arch9wavefront6targetE1EEEvT1_.kd
    .uniform_work_group_size: 1
    .uses_dynamic_stack: false
    .vgpr_count:     0
    .vgpr_spill_count: 0
    .wavefront_size: 64
  - .agpr_count:     0
    .args:
      - .offset:         0
        .size:           136
        .value_kind:     by_value
    .group_segment_fixed_size: 0
    .kernarg_segment_align: 8
    .kernarg_segment_size: 136
    .language:       OpenCL C
    .language_version:
      - 2
      - 0
    .max_flat_workgroup_size: 128
    .name:           _ZN7rocprim17ROCPRIM_400000_NS6detail17trampoline_kernelINS0_14default_configENS1_25partition_config_selectorILNS1_17partition_subalgoE9EllbEEZZNS1_14partition_implILS5_9ELb0ES3_jPlS8_PNS0_10empty_typeENS0_5tupleIJS8_S9_EEENSB_IJS8_SA_EEENS0_18inequality_wrapperIZN2at6native12_GLOBAL__N_124unique_dim_cuda_templateIsEESt5tupleIJNSF_6TensorESK_SK_EERKSK_lbbbEUlllE0_EEPmJS9_EEE10hipError_tPvRmT3_T4_T5_T6_T7_T9_mT8_P12ihipStream_tbDpT10_ENKUlT_T0_E_clISt17integral_constantIbLb0EES19_IbLb1EEEEDaS15_S16_EUlS15_E_NS1_11comp_targetILNS1_3genE0ELNS1_11target_archE4294967295ELNS1_3gpuE0ELNS1_3repE0EEENS1_30default_config_static_selectorELNS0_4arch9wavefront6targetE1EEEvT1_
    .private_segment_fixed_size: 0
    .sgpr_count:     6
    .sgpr_spill_count: 0
    .symbol:         _ZN7rocprim17ROCPRIM_400000_NS6detail17trampoline_kernelINS0_14default_configENS1_25partition_config_selectorILNS1_17partition_subalgoE9EllbEEZZNS1_14partition_implILS5_9ELb0ES3_jPlS8_PNS0_10empty_typeENS0_5tupleIJS8_S9_EEENSB_IJS8_SA_EEENS0_18inequality_wrapperIZN2at6native12_GLOBAL__N_124unique_dim_cuda_templateIsEESt5tupleIJNSF_6TensorESK_SK_EERKSK_lbbbEUlllE0_EEPmJS9_EEE10hipError_tPvRmT3_T4_T5_T6_T7_T9_mT8_P12ihipStream_tbDpT10_ENKUlT_T0_E_clISt17integral_constantIbLb0EES19_IbLb1EEEEDaS15_S16_EUlS15_E_NS1_11comp_targetILNS1_3genE0ELNS1_11target_archE4294967295ELNS1_3gpuE0ELNS1_3repE0EEENS1_30default_config_static_selectorELNS0_4arch9wavefront6targetE1EEEvT1_.kd
    .uniform_work_group_size: 1
    .uses_dynamic_stack: false
    .vgpr_count:     0
    .vgpr_spill_count: 0
    .wavefront_size: 64
  - .agpr_count:     0
    .args:
      - .offset:         0
        .size:           136
        .value_kind:     by_value
    .group_segment_fixed_size: 28684
    .kernarg_segment_align: 8
    .kernarg_segment_size: 136
    .language:       OpenCL C
    .language_version:
      - 2
      - 0
    .max_flat_workgroup_size: 512
    .name:           _ZN7rocprim17ROCPRIM_400000_NS6detail17trampoline_kernelINS0_14default_configENS1_25partition_config_selectorILNS1_17partition_subalgoE9EllbEEZZNS1_14partition_implILS5_9ELb0ES3_jPlS8_PNS0_10empty_typeENS0_5tupleIJS8_S9_EEENSB_IJS8_SA_EEENS0_18inequality_wrapperIZN2at6native12_GLOBAL__N_124unique_dim_cuda_templateIsEESt5tupleIJNSF_6TensorESK_SK_EERKSK_lbbbEUlllE0_EEPmJS9_EEE10hipError_tPvRmT3_T4_T5_T6_T7_T9_mT8_P12ihipStream_tbDpT10_ENKUlT_T0_E_clISt17integral_constantIbLb0EES19_IbLb1EEEEDaS15_S16_EUlS15_E_NS1_11comp_targetILNS1_3genE5ELNS1_11target_archE942ELNS1_3gpuE9ELNS1_3repE0EEENS1_30default_config_static_selectorELNS0_4arch9wavefront6targetE1EEEvT1_
    .private_segment_fixed_size: 0
    .sgpr_count:     64
    .sgpr_spill_count: 0
    .symbol:         _ZN7rocprim17ROCPRIM_400000_NS6detail17trampoline_kernelINS0_14default_configENS1_25partition_config_selectorILNS1_17partition_subalgoE9EllbEEZZNS1_14partition_implILS5_9ELb0ES3_jPlS8_PNS0_10empty_typeENS0_5tupleIJS8_S9_EEENSB_IJS8_SA_EEENS0_18inequality_wrapperIZN2at6native12_GLOBAL__N_124unique_dim_cuda_templateIsEESt5tupleIJNSF_6TensorESK_SK_EERKSK_lbbbEUlllE0_EEPmJS9_EEE10hipError_tPvRmT3_T4_T5_T6_T7_T9_mT8_P12ihipStream_tbDpT10_ENKUlT_T0_E_clISt17integral_constantIbLb0EES19_IbLb1EEEEDaS15_S16_EUlS15_E_NS1_11comp_targetILNS1_3genE5ELNS1_11target_archE942ELNS1_3gpuE9ELNS1_3repE0EEENS1_30default_config_static_selectorELNS0_4arch9wavefront6targetE1EEEvT1_.kd
    .uniform_work_group_size: 1
    .uses_dynamic_stack: false
    .vgpr_count:     66
    .vgpr_spill_count: 0
    .wavefront_size: 64
  - .agpr_count:     0
    .args:
      - .offset:         0
        .size:           136
        .value_kind:     by_value
    .group_segment_fixed_size: 0
    .kernarg_segment_align: 8
    .kernarg_segment_size: 136
    .language:       OpenCL C
    .language_version:
      - 2
      - 0
    .max_flat_workgroup_size: 128
    .name:           _ZN7rocprim17ROCPRIM_400000_NS6detail17trampoline_kernelINS0_14default_configENS1_25partition_config_selectorILNS1_17partition_subalgoE9EllbEEZZNS1_14partition_implILS5_9ELb0ES3_jPlS8_PNS0_10empty_typeENS0_5tupleIJS8_S9_EEENSB_IJS8_SA_EEENS0_18inequality_wrapperIZN2at6native12_GLOBAL__N_124unique_dim_cuda_templateIsEESt5tupleIJNSF_6TensorESK_SK_EERKSK_lbbbEUlllE0_EEPmJS9_EEE10hipError_tPvRmT3_T4_T5_T6_T7_T9_mT8_P12ihipStream_tbDpT10_ENKUlT_T0_E_clISt17integral_constantIbLb0EES19_IbLb1EEEEDaS15_S16_EUlS15_E_NS1_11comp_targetILNS1_3genE4ELNS1_11target_archE910ELNS1_3gpuE8ELNS1_3repE0EEENS1_30default_config_static_selectorELNS0_4arch9wavefront6targetE1EEEvT1_
    .private_segment_fixed_size: 0
    .sgpr_count:     6
    .sgpr_spill_count: 0
    .symbol:         _ZN7rocprim17ROCPRIM_400000_NS6detail17trampoline_kernelINS0_14default_configENS1_25partition_config_selectorILNS1_17partition_subalgoE9EllbEEZZNS1_14partition_implILS5_9ELb0ES3_jPlS8_PNS0_10empty_typeENS0_5tupleIJS8_S9_EEENSB_IJS8_SA_EEENS0_18inequality_wrapperIZN2at6native12_GLOBAL__N_124unique_dim_cuda_templateIsEESt5tupleIJNSF_6TensorESK_SK_EERKSK_lbbbEUlllE0_EEPmJS9_EEE10hipError_tPvRmT3_T4_T5_T6_T7_T9_mT8_P12ihipStream_tbDpT10_ENKUlT_T0_E_clISt17integral_constantIbLb0EES19_IbLb1EEEEDaS15_S16_EUlS15_E_NS1_11comp_targetILNS1_3genE4ELNS1_11target_archE910ELNS1_3gpuE8ELNS1_3repE0EEENS1_30default_config_static_selectorELNS0_4arch9wavefront6targetE1EEEvT1_.kd
    .uniform_work_group_size: 1
    .uses_dynamic_stack: false
    .vgpr_count:     0
    .vgpr_spill_count: 0
    .wavefront_size: 64
  - .agpr_count:     0
    .args:
      - .offset:         0
        .size:           136
        .value_kind:     by_value
    .group_segment_fixed_size: 0
    .kernarg_segment_align: 8
    .kernarg_segment_size: 136
    .language:       OpenCL C
    .language_version:
      - 2
      - 0
    .max_flat_workgroup_size: 128
    .name:           _ZN7rocprim17ROCPRIM_400000_NS6detail17trampoline_kernelINS0_14default_configENS1_25partition_config_selectorILNS1_17partition_subalgoE9EllbEEZZNS1_14partition_implILS5_9ELb0ES3_jPlS8_PNS0_10empty_typeENS0_5tupleIJS8_S9_EEENSB_IJS8_SA_EEENS0_18inequality_wrapperIZN2at6native12_GLOBAL__N_124unique_dim_cuda_templateIsEESt5tupleIJNSF_6TensorESK_SK_EERKSK_lbbbEUlllE0_EEPmJS9_EEE10hipError_tPvRmT3_T4_T5_T6_T7_T9_mT8_P12ihipStream_tbDpT10_ENKUlT_T0_E_clISt17integral_constantIbLb0EES19_IbLb1EEEEDaS15_S16_EUlS15_E_NS1_11comp_targetILNS1_3genE3ELNS1_11target_archE908ELNS1_3gpuE7ELNS1_3repE0EEENS1_30default_config_static_selectorELNS0_4arch9wavefront6targetE1EEEvT1_
    .private_segment_fixed_size: 0
    .sgpr_count:     6
    .sgpr_spill_count: 0
    .symbol:         _ZN7rocprim17ROCPRIM_400000_NS6detail17trampoline_kernelINS0_14default_configENS1_25partition_config_selectorILNS1_17partition_subalgoE9EllbEEZZNS1_14partition_implILS5_9ELb0ES3_jPlS8_PNS0_10empty_typeENS0_5tupleIJS8_S9_EEENSB_IJS8_SA_EEENS0_18inequality_wrapperIZN2at6native12_GLOBAL__N_124unique_dim_cuda_templateIsEESt5tupleIJNSF_6TensorESK_SK_EERKSK_lbbbEUlllE0_EEPmJS9_EEE10hipError_tPvRmT3_T4_T5_T6_T7_T9_mT8_P12ihipStream_tbDpT10_ENKUlT_T0_E_clISt17integral_constantIbLb0EES19_IbLb1EEEEDaS15_S16_EUlS15_E_NS1_11comp_targetILNS1_3genE3ELNS1_11target_archE908ELNS1_3gpuE7ELNS1_3repE0EEENS1_30default_config_static_selectorELNS0_4arch9wavefront6targetE1EEEvT1_.kd
    .uniform_work_group_size: 1
    .uses_dynamic_stack: false
    .vgpr_count:     0
    .vgpr_spill_count: 0
    .wavefront_size: 64
  - .agpr_count:     0
    .args:
      - .offset:         0
        .size:           136
        .value_kind:     by_value
    .group_segment_fixed_size: 0
    .kernarg_segment_align: 8
    .kernarg_segment_size: 136
    .language:       OpenCL C
    .language_version:
      - 2
      - 0
    .max_flat_workgroup_size: 192
    .name:           _ZN7rocprim17ROCPRIM_400000_NS6detail17trampoline_kernelINS0_14default_configENS1_25partition_config_selectorILNS1_17partition_subalgoE9EllbEEZZNS1_14partition_implILS5_9ELb0ES3_jPlS8_PNS0_10empty_typeENS0_5tupleIJS8_S9_EEENSB_IJS8_SA_EEENS0_18inequality_wrapperIZN2at6native12_GLOBAL__N_124unique_dim_cuda_templateIsEESt5tupleIJNSF_6TensorESK_SK_EERKSK_lbbbEUlllE0_EEPmJS9_EEE10hipError_tPvRmT3_T4_T5_T6_T7_T9_mT8_P12ihipStream_tbDpT10_ENKUlT_T0_E_clISt17integral_constantIbLb0EES19_IbLb1EEEEDaS15_S16_EUlS15_E_NS1_11comp_targetILNS1_3genE2ELNS1_11target_archE906ELNS1_3gpuE6ELNS1_3repE0EEENS1_30default_config_static_selectorELNS0_4arch9wavefront6targetE1EEEvT1_
    .private_segment_fixed_size: 0
    .sgpr_count:     6
    .sgpr_spill_count: 0
    .symbol:         _ZN7rocprim17ROCPRIM_400000_NS6detail17trampoline_kernelINS0_14default_configENS1_25partition_config_selectorILNS1_17partition_subalgoE9EllbEEZZNS1_14partition_implILS5_9ELb0ES3_jPlS8_PNS0_10empty_typeENS0_5tupleIJS8_S9_EEENSB_IJS8_SA_EEENS0_18inequality_wrapperIZN2at6native12_GLOBAL__N_124unique_dim_cuda_templateIsEESt5tupleIJNSF_6TensorESK_SK_EERKSK_lbbbEUlllE0_EEPmJS9_EEE10hipError_tPvRmT3_T4_T5_T6_T7_T9_mT8_P12ihipStream_tbDpT10_ENKUlT_T0_E_clISt17integral_constantIbLb0EES19_IbLb1EEEEDaS15_S16_EUlS15_E_NS1_11comp_targetILNS1_3genE2ELNS1_11target_archE906ELNS1_3gpuE6ELNS1_3repE0EEENS1_30default_config_static_selectorELNS0_4arch9wavefront6targetE1EEEvT1_.kd
    .uniform_work_group_size: 1
    .uses_dynamic_stack: false
    .vgpr_count:     0
    .vgpr_spill_count: 0
    .wavefront_size: 64
  - .agpr_count:     0
    .args:
      - .offset:         0
        .size:           136
        .value_kind:     by_value
    .group_segment_fixed_size: 0
    .kernarg_segment_align: 8
    .kernarg_segment_size: 136
    .language:       OpenCL C
    .language_version:
      - 2
      - 0
    .max_flat_workgroup_size: 384
    .name:           _ZN7rocprim17ROCPRIM_400000_NS6detail17trampoline_kernelINS0_14default_configENS1_25partition_config_selectorILNS1_17partition_subalgoE9EllbEEZZNS1_14partition_implILS5_9ELb0ES3_jPlS8_PNS0_10empty_typeENS0_5tupleIJS8_S9_EEENSB_IJS8_SA_EEENS0_18inequality_wrapperIZN2at6native12_GLOBAL__N_124unique_dim_cuda_templateIsEESt5tupleIJNSF_6TensorESK_SK_EERKSK_lbbbEUlllE0_EEPmJS9_EEE10hipError_tPvRmT3_T4_T5_T6_T7_T9_mT8_P12ihipStream_tbDpT10_ENKUlT_T0_E_clISt17integral_constantIbLb0EES19_IbLb1EEEEDaS15_S16_EUlS15_E_NS1_11comp_targetILNS1_3genE10ELNS1_11target_archE1200ELNS1_3gpuE4ELNS1_3repE0EEENS1_30default_config_static_selectorELNS0_4arch9wavefront6targetE1EEEvT1_
    .private_segment_fixed_size: 0
    .sgpr_count:     6
    .sgpr_spill_count: 0
    .symbol:         _ZN7rocprim17ROCPRIM_400000_NS6detail17trampoline_kernelINS0_14default_configENS1_25partition_config_selectorILNS1_17partition_subalgoE9EllbEEZZNS1_14partition_implILS5_9ELb0ES3_jPlS8_PNS0_10empty_typeENS0_5tupleIJS8_S9_EEENSB_IJS8_SA_EEENS0_18inequality_wrapperIZN2at6native12_GLOBAL__N_124unique_dim_cuda_templateIsEESt5tupleIJNSF_6TensorESK_SK_EERKSK_lbbbEUlllE0_EEPmJS9_EEE10hipError_tPvRmT3_T4_T5_T6_T7_T9_mT8_P12ihipStream_tbDpT10_ENKUlT_T0_E_clISt17integral_constantIbLb0EES19_IbLb1EEEEDaS15_S16_EUlS15_E_NS1_11comp_targetILNS1_3genE10ELNS1_11target_archE1200ELNS1_3gpuE4ELNS1_3repE0EEENS1_30default_config_static_selectorELNS0_4arch9wavefront6targetE1EEEvT1_.kd
    .uniform_work_group_size: 1
    .uses_dynamic_stack: false
    .vgpr_count:     0
    .vgpr_spill_count: 0
    .wavefront_size: 64
  - .agpr_count:     0
    .args:
      - .offset:         0
        .size:           136
        .value_kind:     by_value
    .group_segment_fixed_size: 0
    .kernarg_segment_align: 8
    .kernarg_segment_size: 136
    .language:       OpenCL C
    .language_version:
      - 2
      - 0
    .max_flat_workgroup_size: 512
    .name:           _ZN7rocprim17ROCPRIM_400000_NS6detail17trampoline_kernelINS0_14default_configENS1_25partition_config_selectorILNS1_17partition_subalgoE9EllbEEZZNS1_14partition_implILS5_9ELb0ES3_jPlS8_PNS0_10empty_typeENS0_5tupleIJS8_S9_EEENSB_IJS8_SA_EEENS0_18inequality_wrapperIZN2at6native12_GLOBAL__N_124unique_dim_cuda_templateIsEESt5tupleIJNSF_6TensorESK_SK_EERKSK_lbbbEUlllE0_EEPmJS9_EEE10hipError_tPvRmT3_T4_T5_T6_T7_T9_mT8_P12ihipStream_tbDpT10_ENKUlT_T0_E_clISt17integral_constantIbLb0EES19_IbLb1EEEEDaS15_S16_EUlS15_E_NS1_11comp_targetILNS1_3genE9ELNS1_11target_archE1100ELNS1_3gpuE3ELNS1_3repE0EEENS1_30default_config_static_selectorELNS0_4arch9wavefront6targetE1EEEvT1_
    .private_segment_fixed_size: 0
    .sgpr_count:     6
    .sgpr_spill_count: 0
    .symbol:         _ZN7rocprim17ROCPRIM_400000_NS6detail17trampoline_kernelINS0_14default_configENS1_25partition_config_selectorILNS1_17partition_subalgoE9EllbEEZZNS1_14partition_implILS5_9ELb0ES3_jPlS8_PNS0_10empty_typeENS0_5tupleIJS8_S9_EEENSB_IJS8_SA_EEENS0_18inequality_wrapperIZN2at6native12_GLOBAL__N_124unique_dim_cuda_templateIsEESt5tupleIJNSF_6TensorESK_SK_EERKSK_lbbbEUlllE0_EEPmJS9_EEE10hipError_tPvRmT3_T4_T5_T6_T7_T9_mT8_P12ihipStream_tbDpT10_ENKUlT_T0_E_clISt17integral_constantIbLb0EES19_IbLb1EEEEDaS15_S16_EUlS15_E_NS1_11comp_targetILNS1_3genE9ELNS1_11target_archE1100ELNS1_3gpuE3ELNS1_3repE0EEENS1_30default_config_static_selectorELNS0_4arch9wavefront6targetE1EEEvT1_.kd
    .uniform_work_group_size: 1
    .uses_dynamic_stack: false
    .vgpr_count:     0
    .vgpr_spill_count: 0
    .wavefront_size: 64
  - .agpr_count:     0
    .args:
      - .offset:         0
        .size:           136
        .value_kind:     by_value
    .group_segment_fixed_size: 0
    .kernarg_segment_align: 8
    .kernarg_segment_size: 136
    .language:       OpenCL C
    .language_version:
      - 2
      - 0
    .max_flat_workgroup_size: 512
    .name:           _ZN7rocprim17ROCPRIM_400000_NS6detail17trampoline_kernelINS0_14default_configENS1_25partition_config_selectorILNS1_17partition_subalgoE9EllbEEZZNS1_14partition_implILS5_9ELb0ES3_jPlS8_PNS0_10empty_typeENS0_5tupleIJS8_S9_EEENSB_IJS8_SA_EEENS0_18inequality_wrapperIZN2at6native12_GLOBAL__N_124unique_dim_cuda_templateIsEESt5tupleIJNSF_6TensorESK_SK_EERKSK_lbbbEUlllE0_EEPmJS9_EEE10hipError_tPvRmT3_T4_T5_T6_T7_T9_mT8_P12ihipStream_tbDpT10_ENKUlT_T0_E_clISt17integral_constantIbLb0EES19_IbLb1EEEEDaS15_S16_EUlS15_E_NS1_11comp_targetILNS1_3genE8ELNS1_11target_archE1030ELNS1_3gpuE2ELNS1_3repE0EEENS1_30default_config_static_selectorELNS0_4arch9wavefront6targetE1EEEvT1_
    .private_segment_fixed_size: 0
    .sgpr_count:     6
    .sgpr_spill_count: 0
    .symbol:         _ZN7rocprim17ROCPRIM_400000_NS6detail17trampoline_kernelINS0_14default_configENS1_25partition_config_selectorILNS1_17partition_subalgoE9EllbEEZZNS1_14partition_implILS5_9ELb0ES3_jPlS8_PNS0_10empty_typeENS0_5tupleIJS8_S9_EEENSB_IJS8_SA_EEENS0_18inequality_wrapperIZN2at6native12_GLOBAL__N_124unique_dim_cuda_templateIsEESt5tupleIJNSF_6TensorESK_SK_EERKSK_lbbbEUlllE0_EEPmJS9_EEE10hipError_tPvRmT3_T4_T5_T6_T7_T9_mT8_P12ihipStream_tbDpT10_ENKUlT_T0_E_clISt17integral_constantIbLb0EES19_IbLb1EEEEDaS15_S16_EUlS15_E_NS1_11comp_targetILNS1_3genE8ELNS1_11target_archE1030ELNS1_3gpuE2ELNS1_3repE0EEENS1_30default_config_static_selectorELNS0_4arch9wavefront6targetE1EEEvT1_.kd
    .uniform_work_group_size: 1
    .uses_dynamic_stack: false
    .vgpr_count:     0
    .vgpr_spill_count: 0
    .wavefront_size: 64
  - .agpr_count:     0
    .args:
      - .offset:         0
        .size:           72
        .value_kind:     by_value
    .group_segment_fixed_size: 0
    .kernarg_segment_align: 8
    .kernarg_segment_size: 72
    .language:       OpenCL C
    .language_version:
      - 2
      - 0
    .max_flat_workgroup_size: 256
    .name:           _ZN7rocprim17ROCPRIM_400000_NS6detail17trampoline_kernelINS0_14default_configENS1_37merge_sort_block_sort_config_selectorIlNS0_10empty_typeEEEZNS1_21merge_sort_block_sortIS3_PlS8_PS5_S9_ZN2at6native12_GLOBAL__N_124unique_dim_cuda_templateIdEESt5tupleIJNSA_6TensorESF_SF_EERKSF_lbbbEUlllE_EE10hipError_tT0_T1_T2_T3_mRjT4_P12ihipStream_tbNS1_7vsmem_tEEUlT_E_NS1_11comp_targetILNS1_3genE0ELNS1_11target_archE4294967295ELNS1_3gpuE0ELNS1_3repE0EEENS1_30default_config_static_selectorELNS0_4arch9wavefront6targetE1EEEvSM_
    .private_segment_fixed_size: 0
    .sgpr_count:     6
    .sgpr_spill_count: 0
    .symbol:         _ZN7rocprim17ROCPRIM_400000_NS6detail17trampoline_kernelINS0_14default_configENS1_37merge_sort_block_sort_config_selectorIlNS0_10empty_typeEEEZNS1_21merge_sort_block_sortIS3_PlS8_PS5_S9_ZN2at6native12_GLOBAL__N_124unique_dim_cuda_templateIdEESt5tupleIJNSA_6TensorESF_SF_EERKSF_lbbbEUlllE_EE10hipError_tT0_T1_T2_T3_mRjT4_P12ihipStream_tbNS1_7vsmem_tEEUlT_E_NS1_11comp_targetILNS1_3genE0ELNS1_11target_archE4294967295ELNS1_3gpuE0ELNS1_3repE0EEENS1_30default_config_static_selectorELNS0_4arch9wavefront6targetE1EEEvSM_.kd
    .uniform_work_group_size: 1
    .uses_dynamic_stack: false
    .vgpr_count:     0
    .vgpr_spill_count: 0
    .wavefront_size: 64
  - .agpr_count:     0
    .args:
      - .offset:         0
        .size:           72
        .value_kind:     by_value
      - .offset:         72
        .size:           4
        .value_kind:     hidden_block_count_x
      - .offset:         76
        .size:           4
        .value_kind:     hidden_block_count_y
      - .offset:         80
        .size:           4
        .value_kind:     hidden_block_count_z
      - .offset:         84
        .size:           2
        .value_kind:     hidden_group_size_x
      - .offset:         86
        .size:           2
        .value_kind:     hidden_group_size_y
      - .offset:         88
        .size:           2
        .value_kind:     hidden_group_size_z
      - .offset:         90
        .size:           2
        .value_kind:     hidden_remainder_x
      - .offset:         92
        .size:           2
        .value_kind:     hidden_remainder_y
      - .offset:         94
        .size:           2
        .value_kind:     hidden_remainder_z
      - .offset:         112
        .size:           8
        .value_kind:     hidden_global_offset_x
      - .offset:         120
        .size:           8
        .value_kind:     hidden_global_offset_y
      - .offset:         128
        .size:           8
        .value_kind:     hidden_global_offset_z
      - .offset:         136
        .size:           2
        .value_kind:     hidden_grid_dims
      - .offset:         152
        .size:           8
        .value_kind:     hidden_hostcall_buffer
      - .offset:         160
        .size:           8
        .value_kind:     hidden_multigrid_sync_arg
      - .offset:         168
        .size:           8
        .value_kind:     hidden_heap_v1
      - .offset:         176
        .size:           8
        .value_kind:     hidden_default_queue
      - .offset:         184
        .size:           8
        .value_kind:     hidden_completion_action
      - .offset:         272
        .size:           8
        .value_kind:     hidden_queue_ptr
    .group_segment_fixed_size: 16896
    .kernarg_segment_align: 8
    .kernarg_segment_size: 328
    .language:       OpenCL C
    .language_version:
      - 2
      - 0
    .max_flat_workgroup_size: 256
    .name:           _ZN7rocprim17ROCPRIM_400000_NS6detail17trampoline_kernelINS0_14default_configENS1_37merge_sort_block_sort_config_selectorIlNS0_10empty_typeEEEZNS1_21merge_sort_block_sortIS3_PlS8_PS5_S9_ZN2at6native12_GLOBAL__N_124unique_dim_cuda_templateIdEESt5tupleIJNSA_6TensorESF_SF_EERKSF_lbbbEUlllE_EE10hipError_tT0_T1_T2_T3_mRjT4_P12ihipStream_tbNS1_7vsmem_tEEUlT_E_NS1_11comp_targetILNS1_3genE5ELNS1_11target_archE942ELNS1_3gpuE9ELNS1_3repE0EEENS1_30default_config_static_selectorELNS0_4arch9wavefront6targetE1EEEvSM_
    .private_segment_fixed_size: 8
    .sgpr_count:     77
    .sgpr_spill_count: 0
    .symbol:         _ZN7rocprim17ROCPRIM_400000_NS6detail17trampoline_kernelINS0_14default_configENS1_37merge_sort_block_sort_config_selectorIlNS0_10empty_typeEEEZNS1_21merge_sort_block_sortIS3_PlS8_PS5_S9_ZN2at6native12_GLOBAL__N_124unique_dim_cuda_templateIdEESt5tupleIJNSA_6TensorESF_SF_EERKSF_lbbbEUlllE_EE10hipError_tT0_T1_T2_T3_mRjT4_P12ihipStream_tbNS1_7vsmem_tEEUlT_E_NS1_11comp_targetILNS1_3genE5ELNS1_11target_archE942ELNS1_3gpuE9ELNS1_3repE0EEENS1_30default_config_static_selectorELNS0_4arch9wavefront6targetE1EEEvSM_.kd
    .uniform_work_group_size: 1
    .uses_dynamic_stack: false
    .vgpr_count:     129
    .vgpr_spill_count: 0
    .wavefront_size: 64
  - .agpr_count:     0
    .args:
      - .offset:         0
        .size:           72
        .value_kind:     by_value
    .group_segment_fixed_size: 0
    .kernarg_segment_align: 8
    .kernarg_segment_size: 72
    .language:       OpenCL C
    .language_version:
      - 2
      - 0
    .max_flat_workgroup_size: 256
    .name:           _ZN7rocprim17ROCPRIM_400000_NS6detail17trampoline_kernelINS0_14default_configENS1_37merge_sort_block_sort_config_selectorIlNS0_10empty_typeEEEZNS1_21merge_sort_block_sortIS3_PlS8_PS5_S9_ZN2at6native12_GLOBAL__N_124unique_dim_cuda_templateIdEESt5tupleIJNSA_6TensorESF_SF_EERKSF_lbbbEUlllE_EE10hipError_tT0_T1_T2_T3_mRjT4_P12ihipStream_tbNS1_7vsmem_tEEUlT_E_NS1_11comp_targetILNS1_3genE4ELNS1_11target_archE910ELNS1_3gpuE8ELNS1_3repE0EEENS1_30default_config_static_selectorELNS0_4arch9wavefront6targetE1EEEvSM_
    .private_segment_fixed_size: 0
    .sgpr_count:     6
    .sgpr_spill_count: 0
    .symbol:         _ZN7rocprim17ROCPRIM_400000_NS6detail17trampoline_kernelINS0_14default_configENS1_37merge_sort_block_sort_config_selectorIlNS0_10empty_typeEEEZNS1_21merge_sort_block_sortIS3_PlS8_PS5_S9_ZN2at6native12_GLOBAL__N_124unique_dim_cuda_templateIdEESt5tupleIJNSA_6TensorESF_SF_EERKSF_lbbbEUlllE_EE10hipError_tT0_T1_T2_T3_mRjT4_P12ihipStream_tbNS1_7vsmem_tEEUlT_E_NS1_11comp_targetILNS1_3genE4ELNS1_11target_archE910ELNS1_3gpuE8ELNS1_3repE0EEENS1_30default_config_static_selectorELNS0_4arch9wavefront6targetE1EEEvSM_.kd
    .uniform_work_group_size: 1
    .uses_dynamic_stack: false
    .vgpr_count:     0
    .vgpr_spill_count: 0
    .wavefront_size: 64
  - .agpr_count:     0
    .args:
      - .offset:         0
        .size:           72
        .value_kind:     by_value
    .group_segment_fixed_size: 0
    .kernarg_segment_align: 8
    .kernarg_segment_size: 72
    .language:       OpenCL C
    .language_version:
      - 2
      - 0
    .max_flat_workgroup_size: 256
    .name:           _ZN7rocprim17ROCPRIM_400000_NS6detail17trampoline_kernelINS0_14default_configENS1_37merge_sort_block_sort_config_selectorIlNS0_10empty_typeEEEZNS1_21merge_sort_block_sortIS3_PlS8_PS5_S9_ZN2at6native12_GLOBAL__N_124unique_dim_cuda_templateIdEESt5tupleIJNSA_6TensorESF_SF_EERKSF_lbbbEUlllE_EE10hipError_tT0_T1_T2_T3_mRjT4_P12ihipStream_tbNS1_7vsmem_tEEUlT_E_NS1_11comp_targetILNS1_3genE3ELNS1_11target_archE908ELNS1_3gpuE7ELNS1_3repE0EEENS1_30default_config_static_selectorELNS0_4arch9wavefront6targetE1EEEvSM_
    .private_segment_fixed_size: 0
    .sgpr_count:     6
    .sgpr_spill_count: 0
    .symbol:         _ZN7rocprim17ROCPRIM_400000_NS6detail17trampoline_kernelINS0_14default_configENS1_37merge_sort_block_sort_config_selectorIlNS0_10empty_typeEEEZNS1_21merge_sort_block_sortIS3_PlS8_PS5_S9_ZN2at6native12_GLOBAL__N_124unique_dim_cuda_templateIdEESt5tupleIJNSA_6TensorESF_SF_EERKSF_lbbbEUlllE_EE10hipError_tT0_T1_T2_T3_mRjT4_P12ihipStream_tbNS1_7vsmem_tEEUlT_E_NS1_11comp_targetILNS1_3genE3ELNS1_11target_archE908ELNS1_3gpuE7ELNS1_3repE0EEENS1_30default_config_static_selectorELNS0_4arch9wavefront6targetE1EEEvSM_.kd
    .uniform_work_group_size: 1
    .uses_dynamic_stack: false
    .vgpr_count:     0
    .vgpr_spill_count: 0
    .wavefront_size: 64
  - .agpr_count:     0
    .args:
      - .offset:         0
        .size:           72
        .value_kind:     by_value
    .group_segment_fixed_size: 0
    .kernarg_segment_align: 8
    .kernarg_segment_size: 72
    .language:       OpenCL C
    .language_version:
      - 2
      - 0
    .max_flat_workgroup_size: 256
    .name:           _ZN7rocprim17ROCPRIM_400000_NS6detail17trampoline_kernelINS0_14default_configENS1_37merge_sort_block_sort_config_selectorIlNS0_10empty_typeEEEZNS1_21merge_sort_block_sortIS3_PlS8_PS5_S9_ZN2at6native12_GLOBAL__N_124unique_dim_cuda_templateIdEESt5tupleIJNSA_6TensorESF_SF_EERKSF_lbbbEUlllE_EE10hipError_tT0_T1_T2_T3_mRjT4_P12ihipStream_tbNS1_7vsmem_tEEUlT_E_NS1_11comp_targetILNS1_3genE2ELNS1_11target_archE906ELNS1_3gpuE6ELNS1_3repE0EEENS1_30default_config_static_selectorELNS0_4arch9wavefront6targetE1EEEvSM_
    .private_segment_fixed_size: 0
    .sgpr_count:     6
    .sgpr_spill_count: 0
    .symbol:         _ZN7rocprim17ROCPRIM_400000_NS6detail17trampoline_kernelINS0_14default_configENS1_37merge_sort_block_sort_config_selectorIlNS0_10empty_typeEEEZNS1_21merge_sort_block_sortIS3_PlS8_PS5_S9_ZN2at6native12_GLOBAL__N_124unique_dim_cuda_templateIdEESt5tupleIJNSA_6TensorESF_SF_EERKSF_lbbbEUlllE_EE10hipError_tT0_T1_T2_T3_mRjT4_P12ihipStream_tbNS1_7vsmem_tEEUlT_E_NS1_11comp_targetILNS1_3genE2ELNS1_11target_archE906ELNS1_3gpuE6ELNS1_3repE0EEENS1_30default_config_static_selectorELNS0_4arch9wavefront6targetE1EEEvSM_.kd
    .uniform_work_group_size: 1
    .uses_dynamic_stack: false
    .vgpr_count:     0
    .vgpr_spill_count: 0
    .wavefront_size: 64
  - .agpr_count:     0
    .args:
      - .offset:         0
        .size:           72
        .value_kind:     by_value
    .group_segment_fixed_size: 0
    .kernarg_segment_align: 8
    .kernarg_segment_size: 72
    .language:       OpenCL C
    .language_version:
      - 2
      - 0
    .max_flat_workgroup_size: 256
    .name:           _ZN7rocprim17ROCPRIM_400000_NS6detail17trampoline_kernelINS0_14default_configENS1_37merge_sort_block_sort_config_selectorIlNS0_10empty_typeEEEZNS1_21merge_sort_block_sortIS3_PlS8_PS5_S9_ZN2at6native12_GLOBAL__N_124unique_dim_cuda_templateIdEESt5tupleIJNSA_6TensorESF_SF_EERKSF_lbbbEUlllE_EE10hipError_tT0_T1_T2_T3_mRjT4_P12ihipStream_tbNS1_7vsmem_tEEUlT_E_NS1_11comp_targetILNS1_3genE10ELNS1_11target_archE1201ELNS1_3gpuE5ELNS1_3repE0EEENS1_30default_config_static_selectorELNS0_4arch9wavefront6targetE1EEEvSM_
    .private_segment_fixed_size: 0
    .sgpr_count:     6
    .sgpr_spill_count: 0
    .symbol:         _ZN7rocprim17ROCPRIM_400000_NS6detail17trampoline_kernelINS0_14default_configENS1_37merge_sort_block_sort_config_selectorIlNS0_10empty_typeEEEZNS1_21merge_sort_block_sortIS3_PlS8_PS5_S9_ZN2at6native12_GLOBAL__N_124unique_dim_cuda_templateIdEESt5tupleIJNSA_6TensorESF_SF_EERKSF_lbbbEUlllE_EE10hipError_tT0_T1_T2_T3_mRjT4_P12ihipStream_tbNS1_7vsmem_tEEUlT_E_NS1_11comp_targetILNS1_3genE10ELNS1_11target_archE1201ELNS1_3gpuE5ELNS1_3repE0EEENS1_30default_config_static_selectorELNS0_4arch9wavefront6targetE1EEEvSM_.kd
    .uniform_work_group_size: 1
    .uses_dynamic_stack: false
    .vgpr_count:     0
    .vgpr_spill_count: 0
    .wavefront_size: 64
  - .agpr_count:     0
    .args:
      - .offset:         0
        .size:           72
        .value_kind:     by_value
    .group_segment_fixed_size: 0
    .kernarg_segment_align: 8
    .kernarg_segment_size: 72
    .language:       OpenCL C
    .language_version:
      - 2
      - 0
    .max_flat_workgroup_size: 512
    .name:           _ZN7rocprim17ROCPRIM_400000_NS6detail17trampoline_kernelINS0_14default_configENS1_37merge_sort_block_sort_config_selectorIlNS0_10empty_typeEEEZNS1_21merge_sort_block_sortIS3_PlS8_PS5_S9_ZN2at6native12_GLOBAL__N_124unique_dim_cuda_templateIdEESt5tupleIJNSA_6TensorESF_SF_EERKSF_lbbbEUlllE_EE10hipError_tT0_T1_T2_T3_mRjT4_P12ihipStream_tbNS1_7vsmem_tEEUlT_E_NS1_11comp_targetILNS1_3genE10ELNS1_11target_archE1200ELNS1_3gpuE4ELNS1_3repE0EEENS1_30default_config_static_selectorELNS0_4arch9wavefront6targetE1EEEvSM_
    .private_segment_fixed_size: 0
    .sgpr_count:     6
    .sgpr_spill_count: 0
    .symbol:         _ZN7rocprim17ROCPRIM_400000_NS6detail17trampoline_kernelINS0_14default_configENS1_37merge_sort_block_sort_config_selectorIlNS0_10empty_typeEEEZNS1_21merge_sort_block_sortIS3_PlS8_PS5_S9_ZN2at6native12_GLOBAL__N_124unique_dim_cuda_templateIdEESt5tupleIJNSA_6TensorESF_SF_EERKSF_lbbbEUlllE_EE10hipError_tT0_T1_T2_T3_mRjT4_P12ihipStream_tbNS1_7vsmem_tEEUlT_E_NS1_11comp_targetILNS1_3genE10ELNS1_11target_archE1200ELNS1_3gpuE4ELNS1_3repE0EEENS1_30default_config_static_selectorELNS0_4arch9wavefront6targetE1EEEvSM_.kd
    .uniform_work_group_size: 1
    .uses_dynamic_stack: false
    .vgpr_count:     0
    .vgpr_spill_count: 0
    .wavefront_size: 64
  - .agpr_count:     0
    .args:
      - .offset:         0
        .size:           72
        .value_kind:     by_value
    .group_segment_fixed_size: 0
    .kernarg_segment_align: 8
    .kernarg_segment_size: 72
    .language:       OpenCL C
    .language_version:
      - 2
      - 0
    .max_flat_workgroup_size: 256
    .name:           _ZN7rocprim17ROCPRIM_400000_NS6detail17trampoline_kernelINS0_14default_configENS1_37merge_sort_block_sort_config_selectorIlNS0_10empty_typeEEEZNS1_21merge_sort_block_sortIS3_PlS8_PS5_S9_ZN2at6native12_GLOBAL__N_124unique_dim_cuda_templateIdEESt5tupleIJNSA_6TensorESF_SF_EERKSF_lbbbEUlllE_EE10hipError_tT0_T1_T2_T3_mRjT4_P12ihipStream_tbNS1_7vsmem_tEEUlT_E_NS1_11comp_targetILNS1_3genE9ELNS1_11target_archE1100ELNS1_3gpuE3ELNS1_3repE0EEENS1_30default_config_static_selectorELNS0_4arch9wavefront6targetE1EEEvSM_
    .private_segment_fixed_size: 0
    .sgpr_count:     6
    .sgpr_spill_count: 0
    .symbol:         _ZN7rocprim17ROCPRIM_400000_NS6detail17trampoline_kernelINS0_14default_configENS1_37merge_sort_block_sort_config_selectorIlNS0_10empty_typeEEEZNS1_21merge_sort_block_sortIS3_PlS8_PS5_S9_ZN2at6native12_GLOBAL__N_124unique_dim_cuda_templateIdEESt5tupleIJNSA_6TensorESF_SF_EERKSF_lbbbEUlllE_EE10hipError_tT0_T1_T2_T3_mRjT4_P12ihipStream_tbNS1_7vsmem_tEEUlT_E_NS1_11comp_targetILNS1_3genE9ELNS1_11target_archE1100ELNS1_3gpuE3ELNS1_3repE0EEENS1_30default_config_static_selectorELNS0_4arch9wavefront6targetE1EEEvSM_.kd
    .uniform_work_group_size: 1
    .uses_dynamic_stack: false
    .vgpr_count:     0
    .vgpr_spill_count: 0
    .wavefront_size: 64
  - .agpr_count:     0
    .args:
      - .offset:         0
        .size:           72
        .value_kind:     by_value
    .group_segment_fixed_size: 0
    .kernarg_segment_align: 8
    .kernarg_segment_size: 72
    .language:       OpenCL C
    .language_version:
      - 2
      - 0
    .max_flat_workgroup_size: 256
    .name:           _ZN7rocprim17ROCPRIM_400000_NS6detail17trampoline_kernelINS0_14default_configENS1_37merge_sort_block_sort_config_selectorIlNS0_10empty_typeEEEZNS1_21merge_sort_block_sortIS3_PlS8_PS5_S9_ZN2at6native12_GLOBAL__N_124unique_dim_cuda_templateIdEESt5tupleIJNSA_6TensorESF_SF_EERKSF_lbbbEUlllE_EE10hipError_tT0_T1_T2_T3_mRjT4_P12ihipStream_tbNS1_7vsmem_tEEUlT_E_NS1_11comp_targetILNS1_3genE8ELNS1_11target_archE1030ELNS1_3gpuE2ELNS1_3repE0EEENS1_30default_config_static_selectorELNS0_4arch9wavefront6targetE1EEEvSM_
    .private_segment_fixed_size: 0
    .sgpr_count:     6
    .sgpr_spill_count: 0
    .symbol:         _ZN7rocprim17ROCPRIM_400000_NS6detail17trampoline_kernelINS0_14default_configENS1_37merge_sort_block_sort_config_selectorIlNS0_10empty_typeEEEZNS1_21merge_sort_block_sortIS3_PlS8_PS5_S9_ZN2at6native12_GLOBAL__N_124unique_dim_cuda_templateIdEESt5tupleIJNSA_6TensorESF_SF_EERKSF_lbbbEUlllE_EE10hipError_tT0_T1_T2_T3_mRjT4_P12ihipStream_tbNS1_7vsmem_tEEUlT_E_NS1_11comp_targetILNS1_3genE8ELNS1_11target_archE1030ELNS1_3gpuE2ELNS1_3repE0EEENS1_30default_config_static_selectorELNS0_4arch9wavefront6targetE1EEEvSM_.kd
    .uniform_work_group_size: 1
    .uses_dynamic_stack: false
    .vgpr_count:     0
    .vgpr_spill_count: 0
    .wavefront_size: 64
  - .agpr_count:     0
    .args:
      - .offset:         0
        .size:           56
        .value_kind:     by_value
    .group_segment_fixed_size: 0
    .kernarg_segment_align: 8
    .kernarg_segment_size: 56
    .language:       OpenCL C
    .language_version:
      - 2
      - 0
    .max_flat_workgroup_size: 128
    .name:           _ZN7rocprim17ROCPRIM_400000_NS6detail17trampoline_kernelINS0_14default_configENS1_38merge_sort_block_merge_config_selectorIlNS0_10empty_typeEEEZZNS1_27merge_sort_block_merge_implIS3_PlPS5_mZN2at6native12_GLOBAL__N_124unique_dim_cuda_templateIdEESt5tupleIJNSA_6TensorESF_SF_EERKSF_lbbbEUlllE_EE10hipError_tT0_T1_T2_jT3_P12ihipStream_tbPNSt15iterator_traitsISL_E10value_typeEPNSR_ISM_E10value_typeEPSN_NS1_7vsmem_tEENKUlT_SL_SM_SN_E_clIS8_S8_S9_S9_EESK_S10_SL_SM_SN_EUlS10_E_NS1_11comp_targetILNS1_3genE0ELNS1_11target_archE4294967295ELNS1_3gpuE0ELNS1_3repE0EEENS1_48merge_mergepath_partition_config_static_selectorELNS0_4arch9wavefront6targetE1EEEvSM_
    .private_segment_fixed_size: 0
    .sgpr_count:     6
    .sgpr_spill_count: 0
    .symbol:         _ZN7rocprim17ROCPRIM_400000_NS6detail17trampoline_kernelINS0_14default_configENS1_38merge_sort_block_merge_config_selectorIlNS0_10empty_typeEEEZZNS1_27merge_sort_block_merge_implIS3_PlPS5_mZN2at6native12_GLOBAL__N_124unique_dim_cuda_templateIdEESt5tupleIJNSA_6TensorESF_SF_EERKSF_lbbbEUlllE_EE10hipError_tT0_T1_T2_jT3_P12ihipStream_tbPNSt15iterator_traitsISL_E10value_typeEPNSR_ISM_E10value_typeEPSN_NS1_7vsmem_tEENKUlT_SL_SM_SN_E_clIS8_S8_S9_S9_EESK_S10_SL_SM_SN_EUlS10_E_NS1_11comp_targetILNS1_3genE0ELNS1_11target_archE4294967295ELNS1_3gpuE0ELNS1_3repE0EEENS1_48merge_mergepath_partition_config_static_selectorELNS0_4arch9wavefront6targetE1EEEvSM_.kd
    .uniform_work_group_size: 1
    .uses_dynamic_stack: false
    .vgpr_count:     0
    .vgpr_spill_count: 0
    .wavefront_size: 64
  - .agpr_count:     0
    .args:
      - .offset:         0
        .size:           56
        .value_kind:     by_value
    .group_segment_fixed_size: 0
    .kernarg_segment_align: 8
    .kernarg_segment_size: 56
    .language:       OpenCL C
    .language_version:
      - 2
      - 0
    .max_flat_workgroup_size: 128
    .name:           _ZN7rocprim17ROCPRIM_400000_NS6detail17trampoline_kernelINS0_14default_configENS1_38merge_sort_block_merge_config_selectorIlNS0_10empty_typeEEEZZNS1_27merge_sort_block_merge_implIS3_PlPS5_mZN2at6native12_GLOBAL__N_124unique_dim_cuda_templateIdEESt5tupleIJNSA_6TensorESF_SF_EERKSF_lbbbEUlllE_EE10hipError_tT0_T1_T2_jT3_P12ihipStream_tbPNSt15iterator_traitsISL_E10value_typeEPNSR_ISM_E10value_typeEPSN_NS1_7vsmem_tEENKUlT_SL_SM_SN_E_clIS8_S8_S9_S9_EESK_S10_SL_SM_SN_EUlS10_E_NS1_11comp_targetILNS1_3genE10ELNS1_11target_archE1201ELNS1_3gpuE5ELNS1_3repE0EEENS1_48merge_mergepath_partition_config_static_selectorELNS0_4arch9wavefront6targetE1EEEvSM_
    .private_segment_fixed_size: 0
    .sgpr_count:     6
    .sgpr_spill_count: 0
    .symbol:         _ZN7rocprim17ROCPRIM_400000_NS6detail17trampoline_kernelINS0_14default_configENS1_38merge_sort_block_merge_config_selectorIlNS0_10empty_typeEEEZZNS1_27merge_sort_block_merge_implIS3_PlPS5_mZN2at6native12_GLOBAL__N_124unique_dim_cuda_templateIdEESt5tupleIJNSA_6TensorESF_SF_EERKSF_lbbbEUlllE_EE10hipError_tT0_T1_T2_jT3_P12ihipStream_tbPNSt15iterator_traitsISL_E10value_typeEPNSR_ISM_E10value_typeEPSN_NS1_7vsmem_tEENKUlT_SL_SM_SN_E_clIS8_S8_S9_S9_EESK_S10_SL_SM_SN_EUlS10_E_NS1_11comp_targetILNS1_3genE10ELNS1_11target_archE1201ELNS1_3gpuE5ELNS1_3repE0EEENS1_48merge_mergepath_partition_config_static_selectorELNS0_4arch9wavefront6targetE1EEEvSM_.kd
    .uniform_work_group_size: 1
    .uses_dynamic_stack: false
    .vgpr_count:     0
    .vgpr_spill_count: 0
    .wavefront_size: 64
  - .agpr_count:     0
    .args:
      - .offset:         0
        .size:           56
        .value_kind:     by_value
    .group_segment_fixed_size: 0
    .kernarg_segment_align: 8
    .kernarg_segment_size: 56
    .language:       OpenCL C
    .language_version:
      - 2
      - 0
    .max_flat_workgroup_size: 128
    .name:           _ZN7rocprim17ROCPRIM_400000_NS6detail17trampoline_kernelINS0_14default_configENS1_38merge_sort_block_merge_config_selectorIlNS0_10empty_typeEEEZZNS1_27merge_sort_block_merge_implIS3_PlPS5_mZN2at6native12_GLOBAL__N_124unique_dim_cuda_templateIdEESt5tupleIJNSA_6TensorESF_SF_EERKSF_lbbbEUlllE_EE10hipError_tT0_T1_T2_jT3_P12ihipStream_tbPNSt15iterator_traitsISL_E10value_typeEPNSR_ISM_E10value_typeEPSN_NS1_7vsmem_tEENKUlT_SL_SM_SN_E_clIS8_S8_S9_S9_EESK_S10_SL_SM_SN_EUlS10_E_NS1_11comp_targetILNS1_3genE5ELNS1_11target_archE942ELNS1_3gpuE9ELNS1_3repE0EEENS1_48merge_mergepath_partition_config_static_selectorELNS0_4arch9wavefront6targetE1EEEvSM_
    .private_segment_fixed_size: 0
    .sgpr_count:     42
    .sgpr_spill_count: 0
    .symbol:         _ZN7rocprim17ROCPRIM_400000_NS6detail17trampoline_kernelINS0_14default_configENS1_38merge_sort_block_merge_config_selectorIlNS0_10empty_typeEEEZZNS1_27merge_sort_block_merge_implIS3_PlPS5_mZN2at6native12_GLOBAL__N_124unique_dim_cuda_templateIdEESt5tupleIJNSA_6TensorESF_SF_EERKSF_lbbbEUlllE_EE10hipError_tT0_T1_T2_jT3_P12ihipStream_tbPNSt15iterator_traitsISL_E10value_typeEPNSR_ISM_E10value_typeEPSN_NS1_7vsmem_tEENKUlT_SL_SM_SN_E_clIS8_S8_S9_S9_EESK_S10_SL_SM_SN_EUlS10_E_NS1_11comp_targetILNS1_3genE5ELNS1_11target_archE942ELNS1_3gpuE9ELNS1_3repE0EEENS1_48merge_mergepath_partition_config_static_selectorELNS0_4arch9wavefront6targetE1EEEvSM_.kd
    .uniform_work_group_size: 1
    .uses_dynamic_stack: false
    .vgpr_count:     23
    .vgpr_spill_count: 0
    .wavefront_size: 64
  - .agpr_count:     0
    .args:
      - .offset:         0
        .size:           56
        .value_kind:     by_value
    .group_segment_fixed_size: 0
    .kernarg_segment_align: 8
    .kernarg_segment_size: 56
    .language:       OpenCL C
    .language_version:
      - 2
      - 0
    .max_flat_workgroup_size: 128
    .name:           _ZN7rocprim17ROCPRIM_400000_NS6detail17trampoline_kernelINS0_14default_configENS1_38merge_sort_block_merge_config_selectorIlNS0_10empty_typeEEEZZNS1_27merge_sort_block_merge_implIS3_PlPS5_mZN2at6native12_GLOBAL__N_124unique_dim_cuda_templateIdEESt5tupleIJNSA_6TensorESF_SF_EERKSF_lbbbEUlllE_EE10hipError_tT0_T1_T2_jT3_P12ihipStream_tbPNSt15iterator_traitsISL_E10value_typeEPNSR_ISM_E10value_typeEPSN_NS1_7vsmem_tEENKUlT_SL_SM_SN_E_clIS8_S8_S9_S9_EESK_S10_SL_SM_SN_EUlS10_E_NS1_11comp_targetILNS1_3genE4ELNS1_11target_archE910ELNS1_3gpuE8ELNS1_3repE0EEENS1_48merge_mergepath_partition_config_static_selectorELNS0_4arch9wavefront6targetE1EEEvSM_
    .private_segment_fixed_size: 0
    .sgpr_count:     6
    .sgpr_spill_count: 0
    .symbol:         _ZN7rocprim17ROCPRIM_400000_NS6detail17trampoline_kernelINS0_14default_configENS1_38merge_sort_block_merge_config_selectorIlNS0_10empty_typeEEEZZNS1_27merge_sort_block_merge_implIS3_PlPS5_mZN2at6native12_GLOBAL__N_124unique_dim_cuda_templateIdEESt5tupleIJNSA_6TensorESF_SF_EERKSF_lbbbEUlllE_EE10hipError_tT0_T1_T2_jT3_P12ihipStream_tbPNSt15iterator_traitsISL_E10value_typeEPNSR_ISM_E10value_typeEPSN_NS1_7vsmem_tEENKUlT_SL_SM_SN_E_clIS8_S8_S9_S9_EESK_S10_SL_SM_SN_EUlS10_E_NS1_11comp_targetILNS1_3genE4ELNS1_11target_archE910ELNS1_3gpuE8ELNS1_3repE0EEENS1_48merge_mergepath_partition_config_static_selectorELNS0_4arch9wavefront6targetE1EEEvSM_.kd
    .uniform_work_group_size: 1
    .uses_dynamic_stack: false
    .vgpr_count:     0
    .vgpr_spill_count: 0
    .wavefront_size: 64
  - .agpr_count:     0
    .args:
      - .offset:         0
        .size:           56
        .value_kind:     by_value
    .group_segment_fixed_size: 0
    .kernarg_segment_align: 8
    .kernarg_segment_size: 56
    .language:       OpenCL C
    .language_version:
      - 2
      - 0
    .max_flat_workgroup_size: 128
    .name:           _ZN7rocprim17ROCPRIM_400000_NS6detail17trampoline_kernelINS0_14default_configENS1_38merge_sort_block_merge_config_selectorIlNS0_10empty_typeEEEZZNS1_27merge_sort_block_merge_implIS3_PlPS5_mZN2at6native12_GLOBAL__N_124unique_dim_cuda_templateIdEESt5tupleIJNSA_6TensorESF_SF_EERKSF_lbbbEUlllE_EE10hipError_tT0_T1_T2_jT3_P12ihipStream_tbPNSt15iterator_traitsISL_E10value_typeEPNSR_ISM_E10value_typeEPSN_NS1_7vsmem_tEENKUlT_SL_SM_SN_E_clIS8_S8_S9_S9_EESK_S10_SL_SM_SN_EUlS10_E_NS1_11comp_targetILNS1_3genE3ELNS1_11target_archE908ELNS1_3gpuE7ELNS1_3repE0EEENS1_48merge_mergepath_partition_config_static_selectorELNS0_4arch9wavefront6targetE1EEEvSM_
    .private_segment_fixed_size: 0
    .sgpr_count:     6
    .sgpr_spill_count: 0
    .symbol:         _ZN7rocprim17ROCPRIM_400000_NS6detail17trampoline_kernelINS0_14default_configENS1_38merge_sort_block_merge_config_selectorIlNS0_10empty_typeEEEZZNS1_27merge_sort_block_merge_implIS3_PlPS5_mZN2at6native12_GLOBAL__N_124unique_dim_cuda_templateIdEESt5tupleIJNSA_6TensorESF_SF_EERKSF_lbbbEUlllE_EE10hipError_tT0_T1_T2_jT3_P12ihipStream_tbPNSt15iterator_traitsISL_E10value_typeEPNSR_ISM_E10value_typeEPSN_NS1_7vsmem_tEENKUlT_SL_SM_SN_E_clIS8_S8_S9_S9_EESK_S10_SL_SM_SN_EUlS10_E_NS1_11comp_targetILNS1_3genE3ELNS1_11target_archE908ELNS1_3gpuE7ELNS1_3repE0EEENS1_48merge_mergepath_partition_config_static_selectorELNS0_4arch9wavefront6targetE1EEEvSM_.kd
    .uniform_work_group_size: 1
    .uses_dynamic_stack: false
    .vgpr_count:     0
    .vgpr_spill_count: 0
    .wavefront_size: 64
  - .agpr_count:     0
    .args:
      - .offset:         0
        .size:           56
        .value_kind:     by_value
    .group_segment_fixed_size: 0
    .kernarg_segment_align: 8
    .kernarg_segment_size: 56
    .language:       OpenCL C
    .language_version:
      - 2
      - 0
    .max_flat_workgroup_size: 128
    .name:           _ZN7rocprim17ROCPRIM_400000_NS6detail17trampoline_kernelINS0_14default_configENS1_38merge_sort_block_merge_config_selectorIlNS0_10empty_typeEEEZZNS1_27merge_sort_block_merge_implIS3_PlPS5_mZN2at6native12_GLOBAL__N_124unique_dim_cuda_templateIdEESt5tupleIJNSA_6TensorESF_SF_EERKSF_lbbbEUlllE_EE10hipError_tT0_T1_T2_jT3_P12ihipStream_tbPNSt15iterator_traitsISL_E10value_typeEPNSR_ISM_E10value_typeEPSN_NS1_7vsmem_tEENKUlT_SL_SM_SN_E_clIS8_S8_S9_S9_EESK_S10_SL_SM_SN_EUlS10_E_NS1_11comp_targetILNS1_3genE2ELNS1_11target_archE906ELNS1_3gpuE6ELNS1_3repE0EEENS1_48merge_mergepath_partition_config_static_selectorELNS0_4arch9wavefront6targetE1EEEvSM_
    .private_segment_fixed_size: 0
    .sgpr_count:     6
    .sgpr_spill_count: 0
    .symbol:         _ZN7rocprim17ROCPRIM_400000_NS6detail17trampoline_kernelINS0_14default_configENS1_38merge_sort_block_merge_config_selectorIlNS0_10empty_typeEEEZZNS1_27merge_sort_block_merge_implIS3_PlPS5_mZN2at6native12_GLOBAL__N_124unique_dim_cuda_templateIdEESt5tupleIJNSA_6TensorESF_SF_EERKSF_lbbbEUlllE_EE10hipError_tT0_T1_T2_jT3_P12ihipStream_tbPNSt15iterator_traitsISL_E10value_typeEPNSR_ISM_E10value_typeEPSN_NS1_7vsmem_tEENKUlT_SL_SM_SN_E_clIS8_S8_S9_S9_EESK_S10_SL_SM_SN_EUlS10_E_NS1_11comp_targetILNS1_3genE2ELNS1_11target_archE906ELNS1_3gpuE6ELNS1_3repE0EEENS1_48merge_mergepath_partition_config_static_selectorELNS0_4arch9wavefront6targetE1EEEvSM_.kd
    .uniform_work_group_size: 1
    .uses_dynamic_stack: false
    .vgpr_count:     0
    .vgpr_spill_count: 0
    .wavefront_size: 64
  - .agpr_count:     0
    .args:
      - .offset:         0
        .size:           56
        .value_kind:     by_value
    .group_segment_fixed_size: 0
    .kernarg_segment_align: 8
    .kernarg_segment_size: 56
    .language:       OpenCL C
    .language_version:
      - 2
      - 0
    .max_flat_workgroup_size: 128
    .name:           _ZN7rocprim17ROCPRIM_400000_NS6detail17trampoline_kernelINS0_14default_configENS1_38merge_sort_block_merge_config_selectorIlNS0_10empty_typeEEEZZNS1_27merge_sort_block_merge_implIS3_PlPS5_mZN2at6native12_GLOBAL__N_124unique_dim_cuda_templateIdEESt5tupleIJNSA_6TensorESF_SF_EERKSF_lbbbEUlllE_EE10hipError_tT0_T1_T2_jT3_P12ihipStream_tbPNSt15iterator_traitsISL_E10value_typeEPNSR_ISM_E10value_typeEPSN_NS1_7vsmem_tEENKUlT_SL_SM_SN_E_clIS8_S8_S9_S9_EESK_S10_SL_SM_SN_EUlS10_E_NS1_11comp_targetILNS1_3genE9ELNS1_11target_archE1100ELNS1_3gpuE3ELNS1_3repE0EEENS1_48merge_mergepath_partition_config_static_selectorELNS0_4arch9wavefront6targetE1EEEvSM_
    .private_segment_fixed_size: 0
    .sgpr_count:     6
    .sgpr_spill_count: 0
    .symbol:         _ZN7rocprim17ROCPRIM_400000_NS6detail17trampoline_kernelINS0_14default_configENS1_38merge_sort_block_merge_config_selectorIlNS0_10empty_typeEEEZZNS1_27merge_sort_block_merge_implIS3_PlPS5_mZN2at6native12_GLOBAL__N_124unique_dim_cuda_templateIdEESt5tupleIJNSA_6TensorESF_SF_EERKSF_lbbbEUlllE_EE10hipError_tT0_T1_T2_jT3_P12ihipStream_tbPNSt15iterator_traitsISL_E10value_typeEPNSR_ISM_E10value_typeEPSN_NS1_7vsmem_tEENKUlT_SL_SM_SN_E_clIS8_S8_S9_S9_EESK_S10_SL_SM_SN_EUlS10_E_NS1_11comp_targetILNS1_3genE9ELNS1_11target_archE1100ELNS1_3gpuE3ELNS1_3repE0EEENS1_48merge_mergepath_partition_config_static_selectorELNS0_4arch9wavefront6targetE1EEEvSM_.kd
    .uniform_work_group_size: 1
    .uses_dynamic_stack: false
    .vgpr_count:     0
    .vgpr_spill_count: 0
    .wavefront_size: 64
  - .agpr_count:     0
    .args:
      - .offset:         0
        .size:           56
        .value_kind:     by_value
    .group_segment_fixed_size: 0
    .kernarg_segment_align: 8
    .kernarg_segment_size: 56
    .language:       OpenCL C
    .language_version:
      - 2
      - 0
    .max_flat_workgroup_size: 128
    .name:           _ZN7rocprim17ROCPRIM_400000_NS6detail17trampoline_kernelINS0_14default_configENS1_38merge_sort_block_merge_config_selectorIlNS0_10empty_typeEEEZZNS1_27merge_sort_block_merge_implIS3_PlPS5_mZN2at6native12_GLOBAL__N_124unique_dim_cuda_templateIdEESt5tupleIJNSA_6TensorESF_SF_EERKSF_lbbbEUlllE_EE10hipError_tT0_T1_T2_jT3_P12ihipStream_tbPNSt15iterator_traitsISL_E10value_typeEPNSR_ISM_E10value_typeEPSN_NS1_7vsmem_tEENKUlT_SL_SM_SN_E_clIS8_S8_S9_S9_EESK_S10_SL_SM_SN_EUlS10_E_NS1_11comp_targetILNS1_3genE8ELNS1_11target_archE1030ELNS1_3gpuE2ELNS1_3repE0EEENS1_48merge_mergepath_partition_config_static_selectorELNS0_4arch9wavefront6targetE1EEEvSM_
    .private_segment_fixed_size: 0
    .sgpr_count:     6
    .sgpr_spill_count: 0
    .symbol:         _ZN7rocprim17ROCPRIM_400000_NS6detail17trampoline_kernelINS0_14default_configENS1_38merge_sort_block_merge_config_selectorIlNS0_10empty_typeEEEZZNS1_27merge_sort_block_merge_implIS3_PlPS5_mZN2at6native12_GLOBAL__N_124unique_dim_cuda_templateIdEESt5tupleIJNSA_6TensorESF_SF_EERKSF_lbbbEUlllE_EE10hipError_tT0_T1_T2_jT3_P12ihipStream_tbPNSt15iterator_traitsISL_E10value_typeEPNSR_ISM_E10value_typeEPSN_NS1_7vsmem_tEENKUlT_SL_SM_SN_E_clIS8_S8_S9_S9_EESK_S10_SL_SM_SN_EUlS10_E_NS1_11comp_targetILNS1_3genE8ELNS1_11target_archE1030ELNS1_3gpuE2ELNS1_3repE0EEENS1_48merge_mergepath_partition_config_static_selectorELNS0_4arch9wavefront6targetE1EEEvSM_.kd
    .uniform_work_group_size: 1
    .uses_dynamic_stack: false
    .vgpr_count:     0
    .vgpr_spill_count: 0
    .wavefront_size: 64
  - .agpr_count:     0
    .args:
      - .offset:         0
        .size:           88
        .value_kind:     by_value
    .group_segment_fixed_size: 0
    .kernarg_segment_align: 8
    .kernarg_segment_size: 88
    .language:       OpenCL C
    .language_version:
      - 2
      - 0
    .max_flat_workgroup_size: 128
    .name:           _ZN7rocprim17ROCPRIM_400000_NS6detail17trampoline_kernelINS0_14default_configENS1_38merge_sort_block_merge_config_selectorIlNS0_10empty_typeEEEZZNS1_27merge_sort_block_merge_implIS3_PlPS5_mZN2at6native12_GLOBAL__N_124unique_dim_cuda_templateIdEESt5tupleIJNSA_6TensorESF_SF_EERKSF_lbbbEUlllE_EE10hipError_tT0_T1_T2_jT3_P12ihipStream_tbPNSt15iterator_traitsISL_E10value_typeEPNSR_ISM_E10value_typeEPSN_NS1_7vsmem_tEENKUlT_SL_SM_SN_E_clIS8_S8_S9_S9_EESK_S10_SL_SM_SN_EUlS10_E0_NS1_11comp_targetILNS1_3genE0ELNS1_11target_archE4294967295ELNS1_3gpuE0ELNS1_3repE0EEENS1_38merge_mergepath_config_static_selectorELNS0_4arch9wavefront6targetE1EEEvSM_
    .private_segment_fixed_size: 0
    .sgpr_count:     6
    .sgpr_spill_count: 0
    .symbol:         _ZN7rocprim17ROCPRIM_400000_NS6detail17trampoline_kernelINS0_14default_configENS1_38merge_sort_block_merge_config_selectorIlNS0_10empty_typeEEEZZNS1_27merge_sort_block_merge_implIS3_PlPS5_mZN2at6native12_GLOBAL__N_124unique_dim_cuda_templateIdEESt5tupleIJNSA_6TensorESF_SF_EERKSF_lbbbEUlllE_EE10hipError_tT0_T1_T2_jT3_P12ihipStream_tbPNSt15iterator_traitsISL_E10value_typeEPNSR_ISM_E10value_typeEPSN_NS1_7vsmem_tEENKUlT_SL_SM_SN_E_clIS8_S8_S9_S9_EESK_S10_SL_SM_SN_EUlS10_E0_NS1_11comp_targetILNS1_3genE0ELNS1_11target_archE4294967295ELNS1_3gpuE0ELNS1_3repE0EEENS1_38merge_mergepath_config_static_selectorELNS0_4arch9wavefront6targetE1EEEvSM_.kd
    .uniform_work_group_size: 1
    .uses_dynamic_stack: false
    .vgpr_count:     0
    .vgpr_spill_count: 0
    .wavefront_size: 64
  - .agpr_count:     0
    .args:
      - .offset:         0
        .size:           88
        .value_kind:     by_value
    .group_segment_fixed_size: 0
    .kernarg_segment_align: 8
    .kernarg_segment_size: 88
    .language:       OpenCL C
    .language_version:
      - 2
      - 0
    .max_flat_workgroup_size: 512
    .name:           _ZN7rocprim17ROCPRIM_400000_NS6detail17trampoline_kernelINS0_14default_configENS1_38merge_sort_block_merge_config_selectorIlNS0_10empty_typeEEEZZNS1_27merge_sort_block_merge_implIS3_PlPS5_mZN2at6native12_GLOBAL__N_124unique_dim_cuda_templateIdEESt5tupleIJNSA_6TensorESF_SF_EERKSF_lbbbEUlllE_EE10hipError_tT0_T1_T2_jT3_P12ihipStream_tbPNSt15iterator_traitsISL_E10value_typeEPNSR_ISM_E10value_typeEPSN_NS1_7vsmem_tEENKUlT_SL_SM_SN_E_clIS8_S8_S9_S9_EESK_S10_SL_SM_SN_EUlS10_E0_NS1_11comp_targetILNS1_3genE10ELNS1_11target_archE1201ELNS1_3gpuE5ELNS1_3repE0EEENS1_38merge_mergepath_config_static_selectorELNS0_4arch9wavefront6targetE1EEEvSM_
    .private_segment_fixed_size: 0
    .sgpr_count:     6
    .sgpr_spill_count: 0
    .symbol:         _ZN7rocprim17ROCPRIM_400000_NS6detail17trampoline_kernelINS0_14default_configENS1_38merge_sort_block_merge_config_selectorIlNS0_10empty_typeEEEZZNS1_27merge_sort_block_merge_implIS3_PlPS5_mZN2at6native12_GLOBAL__N_124unique_dim_cuda_templateIdEESt5tupleIJNSA_6TensorESF_SF_EERKSF_lbbbEUlllE_EE10hipError_tT0_T1_T2_jT3_P12ihipStream_tbPNSt15iterator_traitsISL_E10value_typeEPNSR_ISM_E10value_typeEPSN_NS1_7vsmem_tEENKUlT_SL_SM_SN_E_clIS8_S8_S9_S9_EESK_S10_SL_SM_SN_EUlS10_E0_NS1_11comp_targetILNS1_3genE10ELNS1_11target_archE1201ELNS1_3gpuE5ELNS1_3repE0EEENS1_38merge_mergepath_config_static_selectorELNS0_4arch9wavefront6targetE1EEEvSM_.kd
    .uniform_work_group_size: 1
    .uses_dynamic_stack: false
    .vgpr_count:     0
    .vgpr_spill_count: 0
    .wavefront_size: 64
  - .agpr_count:     0
    .args:
      - .offset:         0
        .size:           88
        .value_kind:     by_value
      - .offset:         88
        .size:           4
        .value_kind:     hidden_block_count_x
      - .offset:         92
        .size:           4
        .value_kind:     hidden_block_count_y
      - .offset:         96
        .size:           4
        .value_kind:     hidden_block_count_z
      - .offset:         100
        .size:           2
        .value_kind:     hidden_group_size_x
      - .offset:         102
        .size:           2
        .value_kind:     hidden_group_size_y
      - .offset:         104
        .size:           2
        .value_kind:     hidden_group_size_z
      - .offset:         106
        .size:           2
        .value_kind:     hidden_remainder_x
      - .offset:         108
        .size:           2
        .value_kind:     hidden_remainder_y
      - .offset:         110
        .size:           2
        .value_kind:     hidden_remainder_z
      - .offset:         128
        .size:           8
        .value_kind:     hidden_global_offset_x
      - .offset:         136
        .size:           8
        .value_kind:     hidden_global_offset_y
      - .offset:         144
        .size:           8
        .value_kind:     hidden_global_offset_z
      - .offset:         152
        .size:           2
        .value_kind:     hidden_grid_dims
    .group_segment_fixed_size: 8448
    .kernarg_segment_align: 8
    .kernarg_segment_size: 344
    .language:       OpenCL C
    .language_version:
      - 2
      - 0
    .max_flat_workgroup_size: 128
    .name:           _ZN7rocprim17ROCPRIM_400000_NS6detail17trampoline_kernelINS0_14default_configENS1_38merge_sort_block_merge_config_selectorIlNS0_10empty_typeEEEZZNS1_27merge_sort_block_merge_implIS3_PlPS5_mZN2at6native12_GLOBAL__N_124unique_dim_cuda_templateIdEESt5tupleIJNSA_6TensorESF_SF_EERKSF_lbbbEUlllE_EE10hipError_tT0_T1_T2_jT3_P12ihipStream_tbPNSt15iterator_traitsISL_E10value_typeEPNSR_ISM_E10value_typeEPSN_NS1_7vsmem_tEENKUlT_SL_SM_SN_E_clIS8_S8_S9_S9_EESK_S10_SL_SM_SN_EUlS10_E0_NS1_11comp_targetILNS1_3genE5ELNS1_11target_archE942ELNS1_3gpuE9ELNS1_3repE0EEENS1_38merge_mergepath_config_static_selectorELNS0_4arch9wavefront6targetE1EEEvSM_
    .private_segment_fixed_size: 0
    .sgpr_count:     62
    .sgpr_spill_count: 0
    .symbol:         _ZN7rocprim17ROCPRIM_400000_NS6detail17trampoline_kernelINS0_14default_configENS1_38merge_sort_block_merge_config_selectorIlNS0_10empty_typeEEEZZNS1_27merge_sort_block_merge_implIS3_PlPS5_mZN2at6native12_GLOBAL__N_124unique_dim_cuda_templateIdEESt5tupleIJNSA_6TensorESF_SF_EERKSF_lbbbEUlllE_EE10hipError_tT0_T1_T2_jT3_P12ihipStream_tbPNSt15iterator_traitsISL_E10value_typeEPNSR_ISM_E10value_typeEPSN_NS1_7vsmem_tEENKUlT_SL_SM_SN_E_clIS8_S8_S9_S9_EESK_S10_SL_SM_SN_EUlS10_E0_NS1_11comp_targetILNS1_3genE5ELNS1_11target_archE942ELNS1_3gpuE9ELNS1_3repE0EEENS1_38merge_mergepath_config_static_selectorELNS0_4arch9wavefront6targetE1EEEvSM_.kd
    .uniform_work_group_size: 1
    .uses_dynamic_stack: false
    .vgpr_count:     44
    .vgpr_spill_count: 0
    .wavefront_size: 64
  - .agpr_count:     0
    .args:
      - .offset:         0
        .size:           88
        .value_kind:     by_value
    .group_segment_fixed_size: 0
    .kernarg_segment_align: 8
    .kernarg_segment_size: 88
    .language:       OpenCL C
    .language_version:
      - 2
      - 0
    .max_flat_workgroup_size: 256
    .name:           _ZN7rocprim17ROCPRIM_400000_NS6detail17trampoline_kernelINS0_14default_configENS1_38merge_sort_block_merge_config_selectorIlNS0_10empty_typeEEEZZNS1_27merge_sort_block_merge_implIS3_PlPS5_mZN2at6native12_GLOBAL__N_124unique_dim_cuda_templateIdEESt5tupleIJNSA_6TensorESF_SF_EERKSF_lbbbEUlllE_EE10hipError_tT0_T1_T2_jT3_P12ihipStream_tbPNSt15iterator_traitsISL_E10value_typeEPNSR_ISM_E10value_typeEPSN_NS1_7vsmem_tEENKUlT_SL_SM_SN_E_clIS8_S8_S9_S9_EESK_S10_SL_SM_SN_EUlS10_E0_NS1_11comp_targetILNS1_3genE4ELNS1_11target_archE910ELNS1_3gpuE8ELNS1_3repE0EEENS1_38merge_mergepath_config_static_selectorELNS0_4arch9wavefront6targetE1EEEvSM_
    .private_segment_fixed_size: 0
    .sgpr_count:     6
    .sgpr_spill_count: 0
    .symbol:         _ZN7rocprim17ROCPRIM_400000_NS6detail17trampoline_kernelINS0_14default_configENS1_38merge_sort_block_merge_config_selectorIlNS0_10empty_typeEEEZZNS1_27merge_sort_block_merge_implIS3_PlPS5_mZN2at6native12_GLOBAL__N_124unique_dim_cuda_templateIdEESt5tupleIJNSA_6TensorESF_SF_EERKSF_lbbbEUlllE_EE10hipError_tT0_T1_T2_jT3_P12ihipStream_tbPNSt15iterator_traitsISL_E10value_typeEPNSR_ISM_E10value_typeEPSN_NS1_7vsmem_tEENKUlT_SL_SM_SN_E_clIS8_S8_S9_S9_EESK_S10_SL_SM_SN_EUlS10_E0_NS1_11comp_targetILNS1_3genE4ELNS1_11target_archE910ELNS1_3gpuE8ELNS1_3repE0EEENS1_38merge_mergepath_config_static_selectorELNS0_4arch9wavefront6targetE1EEEvSM_.kd
    .uniform_work_group_size: 1
    .uses_dynamic_stack: false
    .vgpr_count:     0
    .vgpr_spill_count: 0
    .wavefront_size: 64
  - .agpr_count:     0
    .args:
      - .offset:         0
        .size:           88
        .value_kind:     by_value
    .group_segment_fixed_size: 0
    .kernarg_segment_align: 8
    .kernarg_segment_size: 88
    .language:       OpenCL C
    .language_version:
      - 2
      - 0
    .max_flat_workgroup_size: 128
    .name:           _ZN7rocprim17ROCPRIM_400000_NS6detail17trampoline_kernelINS0_14default_configENS1_38merge_sort_block_merge_config_selectorIlNS0_10empty_typeEEEZZNS1_27merge_sort_block_merge_implIS3_PlPS5_mZN2at6native12_GLOBAL__N_124unique_dim_cuda_templateIdEESt5tupleIJNSA_6TensorESF_SF_EERKSF_lbbbEUlllE_EE10hipError_tT0_T1_T2_jT3_P12ihipStream_tbPNSt15iterator_traitsISL_E10value_typeEPNSR_ISM_E10value_typeEPSN_NS1_7vsmem_tEENKUlT_SL_SM_SN_E_clIS8_S8_S9_S9_EESK_S10_SL_SM_SN_EUlS10_E0_NS1_11comp_targetILNS1_3genE3ELNS1_11target_archE908ELNS1_3gpuE7ELNS1_3repE0EEENS1_38merge_mergepath_config_static_selectorELNS0_4arch9wavefront6targetE1EEEvSM_
    .private_segment_fixed_size: 0
    .sgpr_count:     6
    .sgpr_spill_count: 0
    .symbol:         _ZN7rocprim17ROCPRIM_400000_NS6detail17trampoline_kernelINS0_14default_configENS1_38merge_sort_block_merge_config_selectorIlNS0_10empty_typeEEEZZNS1_27merge_sort_block_merge_implIS3_PlPS5_mZN2at6native12_GLOBAL__N_124unique_dim_cuda_templateIdEESt5tupleIJNSA_6TensorESF_SF_EERKSF_lbbbEUlllE_EE10hipError_tT0_T1_T2_jT3_P12ihipStream_tbPNSt15iterator_traitsISL_E10value_typeEPNSR_ISM_E10value_typeEPSN_NS1_7vsmem_tEENKUlT_SL_SM_SN_E_clIS8_S8_S9_S9_EESK_S10_SL_SM_SN_EUlS10_E0_NS1_11comp_targetILNS1_3genE3ELNS1_11target_archE908ELNS1_3gpuE7ELNS1_3repE0EEENS1_38merge_mergepath_config_static_selectorELNS0_4arch9wavefront6targetE1EEEvSM_.kd
    .uniform_work_group_size: 1
    .uses_dynamic_stack: false
    .vgpr_count:     0
    .vgpr_spill_count: 0
    .wavefront_size: 64
  - .agpr_count:     0
    .args:
      - .offset:         0
        .size:           88
        .value_kind:     by_value
    .group_segment_fixed_size: 0
    .kernarg_segment_align: 8
    .kernarg_segment_size: 88
    .language:       OpenCL C
    .language_version:
      - 2
      - 0
    .max_flat_workgroup_size: 256
    .name:           _ZN7rocprim17ROCPRIM_400000_NS6detail17trampoline_kernelINS0_14default_configENS1_38merge_sort_block_merge_config_selectorIlNS0_10empty_typeEEEZZNS1_27merge_sort_block_merge_implIS3_PlPS5_mZN2at6native12_GLOBAL__N_124unique_dim_cuda_templateIdEESt5tupleIJNSA_6TensorESF_SF_EERKSF_lbbbEUlllE_EE10hipError_tT0_T1_T2_jT3_P12ihipStream_tbPNSt15iterator_traitsISL_E10value_typeEPNSR_ISM_E10value_typeEPSN_NS1_7vsmem_tEENKUlT_SL_SM_SN_E_clIS8_S8_S9_S9_EESK_S10_SL_SM_SN_EUlS10_E0_NS1_11comp_targetILNS1_3genE2ELNS1_11target_archE906ELNS1_3gpuE6ELNS1_3repE0EEENS1_38merge_mergepath_config_static_selectorELNS0_4arch9wavefront6targetE1EEEvSM_
    .private_segment_fixed_size: 0
    .sgpr_count:     6
    .sgpr_spill_count: 0
    .symbol:         _ZN7rocprim17ROCPRIM_400000_NS6detail17trampoline_kernelINS0_14default_configENS1_38merge_sort_block_merge_config_selectorIlNS0_10empty_typeEEEZZNS1_27merge_sort_block_merge_implIS3_PlPS5_mZN2at6native12_GLOBAL__N_124unique_dim_cuda_templateIdEESt5tupleIJNSA_6TensorESF_SF_EERKSF_lbbbEUlllE_EE10hipError_tT0_T1_T2_jT3_P12ihipStream_tbPNSt15iterator_traitsISL_E10value_typeEPNSR_ISM_E10value_typeEPSN_NS1_7vsmem_tEENKUlT_SL_SM_SN_E_clIS8_S8_S9_S9_EESK_S10_SL_SM_SN_EUlS10_E0_NS1_11comp_targetILNS1_3genE2ELNS1_11target_archE906ELNS1_3gpuE6ELNS1_3repE0EEENS1_38merge_mergepath_config_static_selectorELNS0_4arch9wavefront6targetE1EEEvSM_.kd
    .uniform_work_group_size: 1
    .uses_dynamic_stack: false
    .vgpr_count:     0
    .vgpr_spill_count: 0
    .wavefront_size: 64
  - .agpr_count:     0
    .args:
      - .offset:         0
        .size:           88
        .value_kind:     by_value
    .group_segment_fixed_size: 0
    .kernarg_segment_align: 8
    .kernarg_segment_size: 88
    .language:       OpenCL C
    .language_version:
      - 2
      - 0
    .max_flat_workgroup_size: 512
    .name:           _ZN7rocprim17ROCPRIM_400000_NS6detail17trampoline_kernelINS0_14default_configENS1_38merge_sort_block_merge_config_selectorIlNS0_10empty_typeEEEZZNS1_27merge_sort_block_merge_implIS3_PlPS5_mZN2at6native12_GLOBAL__N_124unique_dim_cuda_templateIdEESt5tupleIJNSA_6TensorESF_SF_EERKSF_lbbbEUlllE_EE10hipError_tT0_T1_T2_jT3_P12ihipStream_tbPNSt15iterator_traitsISL_E10value_typeEPNSR_ISM_E10value_typeEPSN_NS1_7vsmem_tEENKUlT_SL_SM_SN_E_clIS8_S8_S9_S9_EESK_S10_SL_SM_SN_EUlS10_E0_NS1_11comp_targetILNS1_3genE9ELNS1_11target_archE1100ELNS1_3gpuE3ELNS1_3repE0EEENS1_38merge_mergepath_config_static_selectorELNS0_4arch9wavefront6targetE1EEEvSM_
    .private_segment_fixed_size: 0
    .sgpr_count:     6
    .sgpr_spill_count: 0
    .symbol:         _ZN7rocprim17ROCPRIM_400000_NS6detail17trampoline_kernelINS0_14default_configENS1_38merge_sort_block_merge_config_selectorIlNS0_10empty_typeEEEZZNS1_27merge_sort_block_merge_implIS3_PlPS5_mZN2at6native12_GLOBAL__N_124unique_dim_cuda_templateIdEESt5tupleIJNSA_6TensorESF_SF_EERKSF_lbbbEUlllE_EE10hipError_tT0_T1_T2_jT3_P12ihipStream_tbPNSt15iterator_traitsISL_E10value_typeEPNSR_ISM_E10value_typeEPSN_NS1_7vsmem_tEENKUlT_SL_SM_SN_E_clIS8_S8_S9_S9_EESK_S10_SL_SM_SN_EUlS10_E0_NS1_11comp_targetILNS1_3genE9ELNS1_11target_archE1100ELNS1_3gpuE3ELNS1_3repE0EEENS1_38merge_mergepath_config_static_selectorELNS0_4arch9wavefront6targetE1EEEvSM_.kd
    .uniform_work_group_size: 1
    .uses_dynamic_stack: false
    .vgpr_count:     0
    .vgpr_spill_count: 0
    .wavefront_size: 64
  - .agpr_count:     0
    .args:
      - .offset:         0
        .size:           88
        .value_kind:     by_value
    .group_segment_fixed_size: 0
    .kernarg_segment_align: 8
    .kernarg_segment_size: 88
    .language:       OpenCL C
    .language_version:
      - 2
      - 0
    .max_flat_workgroup_size: 1024
    .name:           _ZN7rocprim17ROCPRIM_400000_NS6detail17trampoline_kernelINS0_14default_configENS1_38merge_sort_block_merge_config_selectorIlNS0_10empty_typeEEEZZNS1_27merge_sort_block_merge_implIS3_PlPS5_mZN2at6native12_GLOBAL__N_124unique_dim_cuda_templateIdEESt5tupleIJNSA_6TensorESF_SF_EERKSF_lbbbEUlllE_EE10hipError_tT0_T1_T2_jT3_P12ihipStream_tbPNSt15iterator_traitsISL_E10value_typeEPNSR_ISM_E10value_typeEPSN_NS1_7vsmem_tEENKUlT_SL_SM_SN_E_clIS8_S8_S9_S9_EESK_S10_SL_SM_SN_EUlS10_E0_NS1_11comp_targetILNS1_3genE8ELNS1_11target_archE1030ELNS1_3gpuE2ELNS1_3repE0EEENS1_38merge_mergepath_config_static_selectorELNS0_4arch9wavefront6targetE1EEEvSM_
    .private_segment_fixed_size: 0
    .sgpr_count:     6
    .sgpr_spill_count: 0
    .symbol:         _ZN7rocprim17ROCPRIM_400000_NS6detail17trampoline_kernelINS0_14default_configENS1_38merge_sort_block_merge_config_selectorIlNS0_10empty_typeEEEZZNS1_27merge_sort_block_merge_implIS3_PlPS5_mZN2at6native12_GLOBAL__N_124unique_dim_cuda_templateIdEESt5tupleIJNSA_6TensorESF_SF_EERKSF_lbbbEUlllE_EE10hipError_tT0_T1_T2_jT3_P12ihipStream_tbPNSt15iterator_traitsISL_E10value_typeEPNSR_ISM_E10value_typeEPSN_NS1_7vsmem_tEENKUlT_SL_SM_SN_E_clIS8_S8_S9_S9_EESK_S10_SL_SM_SN_EUlS10_E0_NS1_11comp_targetILNS1_3genE8ELNS1_11target_archE1030ELNS1_3gpuE2ELNS1_3repE0EEENS1_38merge_mergepath_config_static_selectorELNS0_4arch9wavefront6targetE1EEEvSM_.kd
    .uniform_work_group_size: 1
    .uses_dynamic_stack: false
    .vgpr_count:     0
    .vgpr_spill_count: 0
    .wavefront_size: 64
  - .agpr_count:     0
    .args:
      - .offset:         0
        .size:           64
        .value_kind:     by_value
    .group_segment_fixed_size: 0
    .kernarg_segment_align: 8
    .kernarg_segment_size: 64
    .language:       OpenCL C
    .language_version:
      - 2
      - 0
    .max_flat_workgroup_size: 256
    .name:           _ZN7rocprim17ROCPRIM_400000_NS6detail17trampoline_kernelINS0_14default_configENS1_38merge_sort_block_merge_config_selectorIlNS0_10empty_typeEEEZZNS1_27merge_sort_block_merge_implIS3_PlPS5_mZN2at6native12_GLOBAL__N_124unique_dim_cuda_templateIdEESt5tupleIJNSA_6TensorESF_SF_EERKSF_lbbbEUlllE_EE10hipError_tT0_T1_T2_jT3_P12ihipStream_tbPNSt15iterator_traitsISL_E10value_typeEPNSR_ISM_E10value_typeEPSN_NS1_7vsmem_tEENKUlT_SL_SM_SN_E_clIS8_S8_S9_S9_EESK_S10_SL_SM_SN_EUlS10_E1_NS1_11comp_targetILNS1_3genE0ELNS1_11target_archE4294967295ELNS1_3gpuE0ELNS1_3repE0EEENS1_36merge_oddeven_config_static_selectorELNS0_4arch9wavefront6targetE1EEEvSM_
    .private_segment_fixed_size: 0
    .sgpr_count:     6
    .sgpr_spill_count: 0
    .symbol:         _ZN7rocprim17ROCPRIM_400000_NS6detail17trampoline_kernelINS0_14default_configENS1_38merge_sort_block_merge_config_selectorIlNS0_10empty_typeEEEZZNS1_27merge_sort_block_merge_implIS3_PlPS5_mZN2at6native12_GLOBAL__N_124unique_dim_cuda_templateIdEESt5tupleIJNSA_6TensorESF_SF_EERKSF_lbbbEUlllE_EE10hipError_tT0_T1_T2_jT3_P12ihipStream_tbPNSt15iterator_traitsISL_E10value_typeEPNSR_ISM_E10value_typeEPSN_NS1_7vsmem_tEENKUlT_SL_SM_SN_E_clIS8_S8_S9_S9_EESK_S10_SL_SM_SN_EUlS10_E1_NS1_11comp_targetILNS1_3genE0ELNS1_11target_archE4294967295ELNS1_3gpuE0ELNS1_3repE0EEENS1_36merge_oddeven_config_static_selectorELNS0_4arch9wavefront6targetE1EEEvSM_.kd
    .uniform_work_group_size: 1
    .uses_dynamic_stack: false
    .vgpr_count:     0
    .vgpr_spill_count: 0
    .wavefront_size: 64
  - .agpr_count:     0
    .args:
      - .offset:         0
        .size:           64
        .value_kind:     by_value
    .group_segment_fixed_size: 0
    .kernarg_segment_align: 8
    .kernarg_segment_size: 64
    .language:       OpenCL C
    .language_version:
      - 2
      - 0
    .max_flat_workgroup_size: 256
    .name:           _ZN7rocprim17ROCPRIM_400000_NS6detail17trampoline_kernelINS0_14default_configENS1_38merge_sort_block_merge_config_selectorIlNS0_10empty_typeEEEZZNS1_27merge_sort_block_merge_implIS3_PlPS5_mZN2at6native12_GLOBAL__N_124unique_dim_cuda_templateIdEESt5tupleIJNSA_6TensorESF_SF_EERKSF_lbbbEUlllE_EE10hipError_tT0_T1_T2_jT3_P12ihipStream_tbPNSt15iterator_traitsISL_E10value_typeEPNSR_ISM_E10value_typeEPSN_NS1_7vsmem_tEENKUlT_SL_SM_SN_E_clIS8_S8_S9_S9_EESK_S10_SL_SM_SN_EUlS10_E1_NS1_11comp_targetILNS1_3genE10ELNS1_11target_archE1201ELNS1_3gpuE5ELNS1_3repE0EEENS1_36merge_oddeven_config_static_selectorELNS0_4arch9wavefront6targetE1EEEvSM_
    .private_segment_fixed_size: 0
    .sgpr_count:     6
    .sgpr_spill_count: 0
    .symbol:         _ZN7rocprim17ROCPRIM_400000_NS6detail17trampoline_kernelINS0_14default_configENS1_38merge_sort_block_merge_config_selectorIlNS0_10empty_typeEEEZZNS1_27merge_sort_block_merge_implIS3_PlPS5_mZN2at6native12_GLOBAL__N_124unique_dim_cuda_templateIdEESt5tupleIJNSA_6TensorESF_SF_EERKSF_lbbbEUlllE_EE10hipError_tT0_T1_T2_jT3_P12ihipStream_tbPNSt15iterator_traitsISL_E10value_typeEPNSR_ISM_E10value_typeEPSN_NS1_7vsmem_tEENKUlT_SL_SM_SN_E_clIS8_S8_S9_S9_EESK_S10_SL_SM_SN_EUlS10_E1_NS1_11comp_targetILNS1_3genE10ELNS1_11target_archE1201ELNS1_3gpuE5ELNS1_3repE0EEENS1_36merge_oddeven_config_static_selectorELNS0_4arch9wavefront6targetE1EEEvSM_.kd
    .uniform_work_group_size: 1
    .uses_dynamic_stack: false
    .vgpr_count:     0
    .vgpr_spill_count: 0
    .wavefront_size: 64
  - .agpr_count:     0
    .args:
      - .offset:         0
        .size:           64
        .value_kind:     by_value
    .group_segment_fixed_size: 0
    .kernarg_segment_align: 8
    .kernarg_segment_size: 64
    .language:       OpenCL C
    .language_version:
      - 2
      - 0
    .max_flat_workgroup_size: 256
    .name:           _ZN7rocprim17ROCPRIM_400000_NS6detail17trampoline_kernelINS0_14default_configENS1_38merge_sort_block_merge_config_selectorIlNS0_10empty_typeEEEZZNS1_27merge_sort_block_merge_implIS3_PlPS5_mZN2at6native12_GLOBAL__N_124unique_dim_cuda_templateIdEESt5tupleIJNSA_6TensorESF_SF_EERKSF_lbbbEUlllE_EE10hipError_tT0_T1_T2_jT3_P12ihipStream_tbPNSt15iterator_traitsISL_E10value_typeEPNSR_ISM_E10value_typeEPSN_NS1_7vsmem_tEENKUlT_SL_SM_SN_E_clIS8_S8_S9_S9_EESK_S10_SL_SM_SN_EUlS10_E1_NS1_11comp_targetILNS1_3genE5ELNS1_11target_archE942ELNS1_3gpuE9ELNS1_3repE0EEENS1_36merge_oddeven_config_static_selectorELNS0_4arch9wavefront6targetE1EEEvSM_
    .private_segment_fixed_size: 0
    .sgpr_count:     52
    .sgpr_spill_count: 0
    .symbol:         _ZN7rocprim17ROCPRIM_400000_NS6detail17trampoline_kernelINS0_14default_configENS1_38merge_sort_block_merge_config_selectorIlNS0_10empty_typeEEEZZNS1_27merge_sort_block_merge_implIS3_PlPS5_mZN2at6native12_GLOBAL__N_124unique_dim_cuda_templateIdEESt5tupleIJNSA_6TensorESF_SF_EERKSF_lbbbEUlllE_EE10hipError_tT0_T1_T2_jT3_P12ihipStream_tbPNSt15iterator_traitsISL_E10value_typeEPNSR_ISM_E10value_typeEPSN_NS1_7vsmem_tEENKUlT_SL_SM_SN_E_clIS8_S8_S9_S9_EESK_S10_SL_SM_SN_EUlS10_E1_NS1_11comp_targetILNS1_3genE5ELNS1_11target_archE942ELNS1_3gpuE9ELNS1_3repE0EEENS1_36merge_oddeven_config_static_selectorELNS0_4arch9wavefront6targetE1EEEvSM_.kd
    .uniform_work_group_size: 1
    .uses_dynamic_stack: false
    .vgpr_count:     22
    .vgpr_spill_count: 0
    .wavefront_size: 64
  - .agpr_count:     0
    .args:
      - .offset:         0
        .size:           64
        .value_kind:     by_value
    .group_segment_fixed_size: 0
    .kernarg_segment_align: 8
    .kernarg_segment_size: 64
    .language:       OpenCL C
    .language_version:
      - 2
      - 0
    .max_flat_workgroup_size: 256
    .name:           _ZN7rocprim17ROCPRIM_400000_NS6detail17trampoline_kernelINS0_14default_configENS1_38merge_sort_block_merge_config_selectorIlNS0_10empty_typeEEEZZNS1_27merge_sort_block_merge_implIS3_PlPS5_mZN2at6native12_GLOBAL__N_124unique_dim_cuda_templateIdEESt5tupleIJNSA_6TensorESF_SF_EERKSF_lbbbEUlllE_EE10hipError_tT0_T1_T2_jT3_P12ihipStream_tbPNSt15iterator_traitsISL_E10value_typeEPNSR_ISM_E10value_typeEPSN_NS1_7vsmem_tEENKUlT_SL_SM_SN_E_clIS8_S8_S9_S9_EESK_S10_SL_SM_SN_EUlS10_E1_NS1_11comp_targetILNS1_3genE4ELNS1_11target_archE910ELNS1_3gpuE8ELNS1_3repE0EEENS1_36merge_oddeven_config_static_selectorELNS0_4arch9wavefront6targetE1EEEvSM_
    .private_segment_fixed_size: 0
    .sgpr_count:     6
    .sgpr_spill_count: 0
    .symbol:         _ZN7rocprim17ROCPRIM_400000_NS6detail17trampoline_kernelINS0_14default_configENS1_38merge_sort_block_merge_config_selectorIlNS0_10empty_typeEEEZZNS1_27merge_sort_block_merge_implIS3_PlPS5_mZN2at6native12_GLOBAL__N_124unique_dim_cuda_templateIdEESt5tupleIJNSA_6TensorESF_SF_EERKSF_lbbbEUlllE_EE10hipError_tT0_T1_T2_jT3_P12ihipStream_tbPNSt15iterator_traitsISL_E10value_typeEPNSR_ISM_E10value_typeEPSN_NS1_7vsmem_tEENKUlT_SL_SM_SN_E_clIS8_S8_S9_S9_EESK_S10_SL_SM_SN_EUlS10_E1_NS1_11comp_targetILNS1_3genE4ELNS1_11target_archE910ELNS1_3gpuE8ELNS1_3repE0EEENS1_36merge_oddeven_config_static_selectorELNS0_4arch9wavefront6targetE1EEEvSM_.kd
    .uniform_work_group_size: 1
    .uses_dynamic_stack: false
    .vgpr_count:     0
    .vgpr_spill_count: 0
    .wavefront_size: 64
  - .agpr_count:     0
    .args:
      - .offset:         0
        .size:           64
        .value_kind:     by_value
    .group_segment_fixed_size: 0
    .kernarg_segment_align: 8
    .kernarg_segment_size: 64
    .language:       OpenCL C
    .language_version:
      - 2
      - 0
    .max_flat_workgroup_size: 256
    .name:           _ZN7rocprim17ROCPRIM_400000_NS6detail17trampoline_kernelINS0_14default_configENS1_38merge_sort_block_merge_config_selectorIlNS0_10empty_typeEEEZZNS1_27merge_sort_block_merge_implIS3_PlPS5_mZN2at6native12_GLOBAL__N_124unique_dim_cuda_templateIdEESt5tupleIJNSA_6TensorESF_SF_EERKSF_lbbbEUlllE_EE10hipError_tT0_T1_T2_jT3_P12ihipStream_tbPNSt15iterator_traitsISL_E10value_typeEPNSR_ISM_E10value_typeEPSN_NS1_7vsmem_tEENKUlT_SL_SM_SN_E_clIS8_S8_S9_S9_EESK_S10_SL_SM_SN_EUlS10_E1_NS1_11comp_targetILNS1_3genE3ELNS1_11target_archE908ELNS1_3gpuE7ELNS1_3repE0EEENS1_36merge_oddeven_config_static_selectorELNS0_4arch9wavefront6targetE1EEEvSM_
    .private_segment_fixed_size: 0
    .sgpr_count:     6
    .sgpr_spill_count: 0
    .symbol:         _ZN7rocprim17ROCPRIM_400000_NS6detail17trampoline_kernelINS0_14default_configENS1_38merge_sort_block_merge_config_selectorIlNS0_10empty_typeEEEZZNS1_27merge_sort_block_merge_implIS3_PlPS5_mZN2at6native12_GLOBAL__N_124unique_dim_cuda_templateIdEESt5tupleIJNSA_6TensorESF_SF_EERKSF_lbbbEUlllE_EE10hipError_tT0_T1_T2_jT3_P12ihipStream_tbPNSt15iterator_traitsISL_E10value_typeEPNSR_ISM_E10value_typeEPSN_NS1_7vsmem_tEENKUlT_SL_SM_SN_E_clIS8_S8_S9_S9_EESK_S10_SL_SM_SN_EUlS10_E1_NS1_11comp_targetILNS1_3genE3ELNS1_11target_archE908ELNS1_3gpuE7ELNS1_3repE0EEENS1_36merge_oddeven_config_static_selectorELNS0_4arch9wavefront6targetE1EEEvSM_.kd
    .uniform_work_group_size: 1
    .uses_dynamic_stack: false
    .vgpr_count:     0
    .vgpr_spill_count: 0
    .wavefront_size: 64
  - .agpr_count:     0
    .args:
      - .offset:         0
        .size:           64
        .value_kind:     by_value
    .group_segment_fixed_size: 0
    .kernarg_segment_align: 8
    .kernarg_segment_size: 64
    .language:       OpenCL C
    .language_version:
      - 2
      - 0
    .max_flat_workgroup_size: 256
    .name:           _ZN7rocprim17ROCPRIM_400000_NS6detail17trampoline_kernelINS0_14default_configENS1_38merge_sort_block_merge_config_selectorIlNS0_10empty_typeEEEZZNS1_27merge_sort_block_merge_implIS3_PlPS5_mZN2at6native12_GLOBAL__N_124unique_dim_cuda_templateIdEESt5tupleIJNSA_6TensorESF_SF_EERKSF_lbbbEUlllE_EE10hipError_tT0_T1_T2_jT3_P12ihipStream_tbPNSt15iterator_traitsISL_E10value_typeEPNSR_ISM_E10value_typeEPSN_NS1_7vsmem_tEENKUlT_SL_SM_SN_E_clIS8_S8_S9_S9_EESK_S10_SL_SM_SN_EUlS10_E1_NS1_11comp_targetILNS1_3genE2ELNS1_11target_archE906ELNS1_3gpuE6ELNS1_3repE0EEENS1_36merge_oddeven_config_static_selectorELNS0_4arch9wavefront6targetE1EEEvSM_
    .private_segment_fixed_size: 0
    .sgpr_count:     6
    .sgpr_spill_count: 0
    .symbol:         _ZN7rocprim17ROCPRIM_400000_NS6detail17trampoline_kernelINS0_14default_configENS1_38merge_sort_block_merge_config_selectorIlNS0_10empty_typeEEEZZNS1_27merge_sort_block_merge_implIS3_PlPS5_mZN2at6native12_GLOBAL__N_124unique_dim_cuda_templateIdEESt5tupleIJNSA_6TensorESF_SF_EERKSF_lbbbEUlllE_EE10hipError_tT0_T1_T2_jT3_P12ihipStream_tbPNSt15iterator_traitsISL_E10value_typeEPNSR_ISM_E10value_typeEPSN_NS1_7vsmem_tEENKUlT_SL_SM_SN_E_clIS8_S8_S9_S9_EESK_S10_SL_SM_SN_EUlS10_E1_NS1_11comp_targetILNS1_3genE2ELNS1_11target_archE906ELNS1_3gpuE6ELNS1_3repE0EEENS1_36merge_oddeven_config_static_selectorELNS0_4arch9wavefront6targetE1EEEvSM_.kd
    .uniform_work_group_size: 1
    .uses_dynamic_stack: false
    .vgpr_count:     0
    .vgpr_spill_count: 0
    .wavefront_size: 64
  - .agpr_count:     0
    .args:
      - .offset:         0
        .size:           64
        .value_kind:     by_value
    .group_segment_fixed_size: 0
    .kernarg_segment_align: 8
    .kernarg_segment_size: 64
    .language:       OpenCL C
    .language_version:
      - 2
      - 0
    .max_flat_workgroup_size: 256
    .name:           _ZN7rocprim17ROCPRIM_400000_NS6detail17trampoline_kernelINS0_14default_configENS1_38merge_sort_block_merge_config_selectorIlNS0_10empty_typeEEEZZNS1_27merge_sort_block_merge_implIS3_PlPS5_mZN2at6native12_GLOBAL__N_124unique_dim_cuda_templateIdEESt5tupleIJNSA_6TensorESF_SF_EERKSF_lbbbEUlllE_EE10hipError_tT0_T1_T2_jT3_P12ihipStream_tbPNSt15iterator_traitsISL_E10value_typeEPNSR_ISM_E10value_typeEPSN_NS1_7vsmem_tEENKUlT_SL_SM_SN_E_clIS8_S8_S9_S9_EESK_S10_SL_SM_SN_EUlS10_E1_NS1_11comp_targetILNS1_3genE9ELNS1_11target_archE1100ELNS1_3gpuE3ELNS1_3repE0EEENS1_36merge_oddeven_config_static_selectorELNS0_4arch9wavefront6targetE1EEEvSM_
    .private_segment_fixed_size: 0
    .sgpr_count:     6
    .sgpr_spill_count: 0
    .symbol:         _ZN7rocprim17ROCPRIM_400000_NS6detail17trampoline_kernelINS0_14default_configENS1_38merge_sort_block_merge_config_selectorIlNS0_10empty_typeEEEZZNS1_27merge_sort_block_merge_implIS3_PlPS5_mZN2at6native12_GLOBAL__N_124unique_dim_cuda_templateIdEESt5tupleIJNSA_6TensorESF_SF_EERKSF_lbbbEUlllE_EE10hipError_tT0_T1_T2_jT3_P12ihipStream_tbPNSt15iterator_traitsISL_E10value_typeEPNSR_ISM_E10value_typeEPSN_NS1_7vsmem_tEENKUlT_SL_SM_SN_E_clIS8_S8_S9_S9_EESK_S10_SL_SM_SN_EUlS10_E1_NS1_11comp_targetILNS1_3genE9ELNS1_11target_archE1100ELNS1_3gpuE3ELNS1_3repE0EEENS1_36merge_oddeven_config_static_selectorELNS0_4arch9wavefront6targetE1EEEvSM_.kd
    .uniform_work_group_size: 1
    .uses_dynamic_stack: false
    .vgpr_count:     0
    .vgpr_spill_count: 0
    .wavefront_size: 64
  - .agpr_count:     0
    .args:
      - .offset:         0
        .size:           64
        .value_kind:     by_value
    .group_segment_fixed_size: 0
    .kernarg_segment_align: 8
    .kernarg_segment_size: 64
    .language:       OpenCL C
    .language_version:
      - 2
      - 0
    .max_flat_workgroup_size: 256
    .name:           _ZN7rocprim17ROCPRIM_400000_NS6detail17trampoline_kernelINS0_14default_configENS1_38merge_sort_block_merge_config_selectorIlNS0_10empty_typeEEEZZNS1_27merge_sort_block_merge_implIS3_PlPS5_mZN2at6native12_GLOBAL__N_124unique_dim_cuda_templateIdEESt5tupleIJNSA_6TensorESF_SF_EERKSF_lbbbEUlllE_EE10hipError_tT0_T1_T2_jT3_P12ihipStream_tbPNSt15iterator_traitsISL_E10value_typeEPNSR_ISM_E10value_typeEPSN_NS1_7vsmem_tEENKUlT_SL_SM_SN_E_clIS8_S8_S9_S9_EESK_S10_SL_SM_SN_EUlS10_E1_NS1_11comp_targetILNS1_3genE8ELNS1_11target_archE1030ELNS1_3gpuE2ELNS1_3repE0EEENS1_36merge_oddeven_config_static_selectorELNS0_4arch9wavefront6targetE1EEEvSM_
    .private_segment_fixed_size: 0
    .sgpr_count:     6
    .sgpr_spill_count: 0
    .symbol:         _ZN7rocprim17ROCPRIM_400000_NS6detail17trampoline_kernelINS0_14default_configENS1_38merge_sort_block_merge_config_selectorIlNS0_10empty_typeEEEZZNS1_27merge_sort_block_merge_implIS3_PlPS5_mZN2at6native12_GLOBAL__N_124unique_dim_cuda_templateIdEESt5tupleIJNSA_6TensorESF_SF_EERKSF_lbbbEUlllE_EE10hipError_tT0_T1_T2_jT3_P12ihipStream_tbPNSt15iterator_traitsISL_E10value_typeEPNSR_ISM_E10value_typeEPSN_NS1_7vsmem_tEENKUlT_SL_SM_SN_E_clIS8_S8_S9_S9_EESK_S10_SL_SM_SN_EUlS10_E1_NS1_11comp_targetILNS1_3genE8ELNS1_11target_archE1030ELNS1_3gpuE2ELNS1_3repE0EEENS1_36merge_oddeven_config_static_selectorELNS0_4arch9wavefront6targetE1EEEvSM_.kd
    .uniform_work_group_size: 1
    .uses_dynamic_stack: false
    .vgpr_count:     0
    .vgpr_spill_count: 0
    .wavefront_size: 64
  - .agpr_count:     0
    .args:
      - .offset:         0
        .size:           64
        .value_kind:     by_value
    .group_segment_fixed_size: 0
    .kernarg_segment_align: 8
    .kernarg_segment_size: 64
    .language:       OpenCL C
    .language_version:
      - 2
      - 0
    .max_flat_workgroup_size: 128
    .name:           _ZN7rocprim17ROCPRIM_400000_NS6detail17trampoline_kernelINS0_14default_configENS1_35adjacent_difference_config_selectorILb0ElEEZNS1_24adjacent_difference_implIS3_Lb0ELb0EPlS7_ZN2at6native12_GLOBAL__N_124unique_dim_cuda_templateIdEESt5tupleIJNS8_6TensorESD_SD_EERKSD_lbbbEUlllE1_EE10hipError_tPvRmT2_T3_mT4_P12ihipStream_tbEUlT_E_NS1_11comp_targetILNS1_3genE0ELNS1_11target_archE4294967295ELNS1_3gpuE0ELNS1_3repE0EEENS1_30default_config_static_selectorELNS0_4arch9wavefront6targetE1EEEvT1_
    .private_segment_fixed_size: 0
    .sgpr_count:     6
    .sgpr_spill_count: 0
    .symbol:         _ZN7rocprim17ROCPRIM_400000_NS6detail17trampoline_kernelINS0_14default_configENS1_35adjacent_difference_config_selectorILb0ElEEZNS1_24adjacent_difference_implIS3_Lb0ELb0EPlS7_ZN2at6native12_GLOBAL__N_124unique_dim_cuda_templateIdEESt5tupleIJNS8_6TensorESD_SD_EERKSD_lbbbEUlllE1_EE10hipError_tPvRmT2_T3_mT4_P12ihipStream_tbEUlT_E_NS1_11comp_targetILNS1_3genE0ELNS1_11target_archE4294967295ELNS1_3gpuE0ELNS1_3repE0EEENS1_30default_config_static_selectorELNS0_4arch9wavefront6targetE1EEEvT1_.kd
    .uniform_work_group_size: 1
    .uses_dynamic_stack: false
    .vgpr_count:     0
    .vgpr_spill_count: 0
    .wavefront_size: 64
  - .agpr_count:     0
    .args:
      - .offset:         0
        .size:           64
        .value_kind:     by_value
    .group_segment_fixed_size: 0
    .kernarg_segment_align: 8
    .kernarg_segment_size: 64
    .language:       OpenCL C
    .language_version:
      - 2
      - 0
    .max_flat_workgroup_size: 128
    .name:           _ZN7rocprim17ROCPRIM_400000_NS6detail17trampoline_kernelINS0_14default_configENS1_35adjacent_difference_config_selectorILb0ElEEZNS1_24adjacent_difference_implIS3_Lb0ELb0EPlS7_ZN2at6native12_GLOBAL__N_124unique_dim_cuda_templateIdEESt5tupleIJNS8_6TensorESD_SD_EERKSD_lbbbEUlllE1_EE10hipError_tPvRmT2_T3_mT4_P12ihipStream_tbEUlT_E_NS1_11comp_targetILNS1_3genE10ELNS1_11target_archE1201ELNS1_3gpuE5ELNS1_3repE0EEENS1_30default_config_static_selectorELNS0_4arch9wavefront6targetE1EEEvT1_
    .private_segment_fixed_size: 0
    .sgpr_count:     6
    .sgpr_spill_count: 0
    .symbol:         _ZN7rocprim17ROCPRIM_400000_NS6detail17trampoline_kernelINS0_14default_configENS1_35adjacent_difference_config_selectorILb0ElEEZNS1_24adjacent_difference_implIS3_Lb0ELb0EPlS7_ZN2at6native12_GLOBAL__N_124unique_dim_cuda_templateIdEESt5tupleIJNS8_6TensorESD_SD_EERKSD_lbbbEUlllE1_EE10hipError_tPvRmT2_T3_mT4_P12ihipStream_tbEUlT_E_NS1_11comp_targetILNS1_3genE10ELNS1_11target_archE1201ELNS1_3gpuE5ELNS1_3repE0EEENS1_30default_config_static_selectorELNS0_4arch9wavefront6targetE1EEEvT1_.kd
    .uniform_work_group_size: 1
    .uses_dynamic_stack: false
    .vgpr_count:     0
    .vgpr_spill_count: 0
    .wavefront_size: 64
  - .agpr_count:     0
    .args:
      - .offset:         0
        .size:           64
        .value_kind:     by_value
    .group_segment_fixed_size: 6656
    .kernarg_segment_align: 8
    .kernarg_segment_size: 64
    .language:       OpenCL C
    .language_version:
      - 2
      - 0
    .max_flat_workgroup_size: 64
    .name:           _ZN7rocprim17ROCPRIM_400000_NS6detail17trampoline_kernelINS0_14default_configENS1_35adjacent_difference_config_selectorILb0ElEEZNS1_24adjacent_difference_implIS3_Lb0ELb0EPlS7_ZN2at6native12_GLOBAL__N_124unique_dim_cuda_templateIdEESt5tupleIJNS8_6TensorESD_SD_EERKSD_lbbbEUlllE1_EE10hipError_tPvRmT2_T3_mT4_P12ihipStream_tbEUlT_E_NS1_11comp_targetILNS1_3genE5ELNS1_11target_archE942ELNS1_3gpuE9ELNS1_3repE0EEENS1_30default_config_static_selectorELNS0_4arch9wavefront6targetE1EEEvT1_
    .private_segment_fixed_size: 0
    .sgpr_count:     44
    .sgpr_spill_count: 0
    .symbol:         _ZN7rocprim17ROCPRIM_400000_NS6detail17trampoline_kernelINS0_14default_configENS1_35adjacent_difference_config_selectorILb0ElEEZNS1_24adjacent_difference_implIS3_Lb0ELb0EPlS7_ZN2at6native12_GLOBAL__N_124unique_dim_cuda_templateIdEESt5tupleIJNS8_6TensorESD_SD_EERKSD_lbbbEUlllE1_EE10hipError_tPvRmT2_T3_mT4_P12ihipStream_tbEUlT_E_NS1_11comp_targetILNS1_3genE5ELNS1_11target_archE942ELNS1_3gpuE9ELNS1_3repE0EEENS1_30default_config_static_selectorELNS0_4arch9wavefront6targetE1EEEvT1_.kd
    .uniform_work_group_size: 1
    .uses_dynamic_stack: false
    .vgpr_count:     84
    .vgpr_spill_count: 0
    .wavefront_size: 64
  - .agpr_count:     0
    .args:
      - .offset:         0
        .size:           64
        .value_kind:     by_value
    .group_segment_fixed_size: 0
    .kernarg_segment_align: 8
    .kernarg_segment_size: 64
    .language:       OpenCL C
    .language_version:
      - 2
      - 0
    .max_flat_workgroup_size: 256
    .name:           _ZN7rocprim17ROCPRIM_400000_NS6detail17trampoline_kernelINS0_14default_configENS1_35adjacent_difference_config_selectorILb0ElEEZNS1_24adjacent_difference_implIS3_Lb0ELb0EPlS7_ZN2at6native12_GLOBAL__N_124unique_dim_cuda_templateIdEESt5tupleIJNS8_6TensorESD_SD_EERKSD_lbbbEUlllE1_EE10hipError_tPvRmT2_T3_mT4_P12ihipStream_tbEUlT_E_NS1_11comp_targetILNS1_3genE4ELNS1_11target_archE910ELNS1_3gpuE8ELNS1_3repE0EEENS1_30default_config_static_selectorELNS0_4arch9wavefront6targetE1EEEvT1_
    .private_segment_fixed_size: 0
    .sgpr_count:     6
    .sgpr_spill_count: 0
    .symbol:         _ZN7rocprim17ROCPRIM_400000_NS6detail17trampoline_kernelINS0_14default_configENS1_35adjacent_difference_config_selectorILb0ElEEZNS1_24adjacent_difference_implIS3_Lb0ELb0EPlS7_ZN2at6native12_GLOBAL__N_124unique_dim_cuda_templateIdEESt5tupleIJNS8_6TensorESD_SD_EERKSD_lbbbEUlllE1_EE10hipError_tPvRmT2_T3_mT4_P12ihipStream_tbEUlT_E_NS1_11comp_targetILNS1_3genE4ELNS1_11target_archE910ELNS1_3gpuE8ELNS1_3repE0EEENS1_30default_config_static_selectorELNS0_4arch9wavefront6targetE1EEEvT1_.kd
    .uniform_work_group_size: 1
    .uses_dynamic_stack: false
    .vgpr_count:     0
    .vgpr_spill_count: 0
    .wavefront_size: 64
  - .agpr_count:     0
    .args:
      - .offset:         0
        .size:           64
        .value_kind:     by_value
    .group_segment_fixed_size: 0
    .kernarg_segment_align: 8
    .kernarg_segment_size: 64
    .language:       OpenCL C
    .language_version:
      - 2
      - 0
    .max_flat_workgroup_size: 128
    .name:           _ZN7rocprim17ROCPRIM_400000_NS6detail17trampoline_kernelINS0_14default_configENS1_35adjacent_difference_config_selectorILb0ElEEZNS1_24adjacent_difference_implIS3_Lb0ELb0EPlS7_ZN2at6native12_GLOBAL__N_124unique_dim_cuda_templateIdEESt5tupleIJNS8_6TensorESD_SD_EERKSD_lbbbEUlllE1_EE10hipError_tPvRmT2_T3_mT4_P12ihipStream_tbEUlT_E_NS1_11comp_targetILNS1_3genE3ELNS1_11target_archE908ELNS1_3gpuE7ELNS1_3repE0EEENS1_30default_config_static_selectorELNS0_4arch9wavefront6targetE1EEEvT1_
    .private_segment_fixed_size: 0
    .sgpr_count:     6
    .sgpr_spill_count: 0
    .symbol:         _ZN7rocprim17ROCPRIM_400000_NS6detail17trampoline_kernelINS0_14default_configENS1_35adjacent_difference_config_selectorILb0ElEEZNS1_24adjacent_difference_implIS3_Lb0ELb0EPlS7_ZN2at6native12_GLOBAL__N_124unique_dim_cuda_templateIdEESt5tupleIJNS8_6TensorESD_SD_EERKSD_lbbbEUlllE1_EE10hipError_tPvRmT2_T3_mT4_P12ihipStream_tbEUlT_E_NS1_11comp_targetILNS1_3genE3ELNS1_11target_archE908ELNS1_3gpuE7ELNS1_3repE0EEENS1_30default_config_static_selectorELNS0_4arch9wavefront6targetE1EEEvT1_.kd
    .uniform_work_group_size: 1
    .uses_dynamic_stack: false
    .vgpr_count:     0
    .vgpr_spill_count: 0
    .wavefront_size: 64
  - .agpr_count:     0
    .args:
      - .offset:         0
        .size:           64
        .value_kind:     by_value
    .group_segment_fixed_size: 0
    .kernarg_segment_align: 8
    .kernarg_segment_size: 64
    .language:       OpenCL C
    .language_version:
      - 2
      - 0
    .max_flat_workgroup_size: 128
    .name:           _ZN7rocprim17ROCPRIM_400000_NS6detail17trampoline_kernelINS0_14default_configENS1_35adjacent_difference_config_selectorILb0ElEEZNS1_24adjacent_difference_implIS3_Lb0ELb0EPlS7_ZN2at6native12_GLOBAL__N_124unique_dim_cuda_templateIdEESt5tupleIJNS8_6TensorESD_SD_EERKSD_lbbbEUlllE1_EE10hipError_tPvRmT2_T3_mT4_P12ihipStream_tbEUlT_E_NS1_11comp_targetILNS1_3genE2ELNS1_11target_archE906ELNS1_3gpuE6ELNS1_3repE0EEENS1_30default_config_static_selectorELNS0_4arch9wavefront6targetE1EEEvT1_
    .private_segment_fixed_size: 0
    .sgpr_count:     6
    .sgpr_spill_count: 0
    .symbol:         _ZN7rocprim17ROCPRIM_400000_NS6detail17trampoline_kernelINS0_14default_configENS1_35adjacent_difference_config_selectorILb0ElEEZNS1_24adjacent_difference_implIS3_Lb0ELb0EPlS7_ZN2at6native12_GLOBAL__N_124unique_dim_cuda_templateIdEESt5tupleIJNS8_6TensorESD_SD_EERKSD_lbbbEUlllE1_EE10hipError_tPvRmT2_T3_mT4_P12ihipStream_tbEUlT_E_NS1_11comp_targetILNS1_3genE2ELNS1_11target_archE906ELNS1_3gpuE6ELNS1_3repE0EEENS1_30default_config_static_selectorELNS0_4arch9wavefront6targetE1EEEvT1_.kd
    .uniform_work_group_size: 1
    .uses_dynamic_stack: false
    .vgpr_count:     0
    .vgpr_spill_count: 0
    .wavefront_size: 64
  - .agpr_count:     0
    .args:
      - .offset:         0
        .size:           64
        .value_kind:     by_value
    .group_segment_fixed_size: 0
    .kernarg_segment_align: 8
    .kernarg_segment_size: 64
    .language:       OpenCL C
    .language_version:
      - 2
      - 0
    .max_flat_workgroup_size: 512
    .name:           _ZN7rocprim17ROCPRIM_400000_NS6detail17trampoline_kernelINS0_14default_configENS1_35adjacent_difference_config_selectorILb0ElEEZNS1_24adjacent_difference_implIS3_Lb0ELb0EPlS7_ZN2at6native12_GLOBAL__N_124unique_dim_cuda_templateIdEESt5tupleIJNS8_6TensorESD_SD_EERKSD_lbbbEUlllE1_EE10hipError_tPvRmT2_T3_mT4_P12ihipStream_tbEUlT_E_NS1_11comp_targetILNS1_3genE9ELNS1_11target_archE1100ELNS1_3gpuE3ELNS1_3repE0EEENS1_30default_config_static_selectorELNS0_4arch9wavefront6targetE1EEEvT1_
    .private_segment_fixed_size: 0
    .sgpr_count:     6
    .sgpr_spill_count: 0
    .symbol:         _ZN7rocprim17ROCPRIM_400000_NS6detail17trampoline_kernelINS0_14default_configENS1_35adjacent_difference_config_selectorILb0ElEEZNS1_24adjacent_difference_implIS3_Lb0ELb0EPlS7_ZN2at6native12_GLOBAL__N_124unique_dim_cuda_templateIdEESt5tupleIJNS8_6TensorESD_SD_EERKSD_lbbbEUlllE1_EE10hipError_tPvRmT2_T3_mT4_P12ihipStream_tbEUlT_E_NS1_11comp_targetILNS1_3genE9ELNS1_11target_archE1100ELNS1_3gpuE3ELNS1_3repE0EEENS1_30default_config_static_selectorELNS0_4arch9wavefront6targetE1EEEvT1_.kd
    .uniform_work_group_size: 1
    .uses_dynamic_stack: false
    .vgpr_count:     0
    .vgpr_spill_count: 0
    .wavefront_size: 64
  - .agpr_count:     0
    .args:
      - .offset:         0
        .size:           64
        .value_kind:     by_value
    .group_segment_fixed_size: 0
    .kernarg_segment_align: 8
    .kernarg_segment_size: 64
    .language:       OpenCL C
    .language_version:
      - 2
      - 0
    .max_flat_workgroup_size: 1024
    .name:           _ZN7rocprim17ROCPRIM_400000_NS6detail17trampoline_kernelINS0_14default_configENS1_35adjacent_difference_config_selectorILb0ElEEZNS1_24adjacent_difference_implIS3_Lb0ELb0EPlS7_ZN2at6native12_GLOBAL__N_124unique_dim_cuda_templateIdEESt5tupleIJNS8_6TensorESD_SD_EERKSD_lbbbEUlllE1_EE10hipError_tPvRmT2_T3_mT4_P12ihipStream_tbEUlT_E_NS1_11comp_targetILNS1_3genE8ELNS1_11target_archE1030ELNS1_3gpuE2ELNS1_3repE0EEENS1_30default_config_static_selectorELNS0_4arch9wavefront6targetE1EEEvT1_
    .private_segment_fixed_size: 0
    .sgpr_count:     6
    .sgpr_spill_count: 0
    .symbol:         _ZN7rocprim17ROCPRIM_400000_NS6detail17trampoline_kernelINS0_14default_configENS1_35adjacent_difference_config_selectorILb0ElEEZNS1_24adjacent_difference_implIS3_Lb0ELb0EPlS7_ZN2at6native12_GLOBAL__N_124unique_dim_cuda_templateIdEESt5tupleIJNS8_6TensorESD_SD_EERKSD_lbbbEUlllE1_EE10hipError_tPvRmT2_T3_mT4_P12ihipStream_tbEUlT_E_NS1_11comp_targetILNS1_3genE8ELNS1_11target_archE1030ELNS1_3gpuE2ELNS1_3repE0EEENS1_30default_config_static_selectorELNS0_4arch9wavefront6targetE1EEEvT1_.kd
    .uniform_work_group_size: 1
    .uses_dynamic_stack: false
    .vgpr_count:     0
    .vgpr_spill_count: 0
    .wavefront_size: 64
  - .agpr_count:     0
    .args:
      - .offset:         0
        .size:           56
        .value_kind:     by_value
    .group_segment_fixed_size: 0
    .kernarg_segment_align: 8
    .kernarg_segment_size: 56
    .language:       OpenCL C
    .language_version:
      - 2
      - 0
    .max_flat_workgroup_size: 128
    .name:           _ZN7rocprim17ROCPRIM_400000_NS6detail17trampoline_kernelINS0_14default_configENS1_25transform_config_selectorIlLb0EEEZNS1_14transform_implILb0ES3_S5_NS0_18transform_iteratorINS0_17counting_iteratorImlEEZNS1_24adjacent_difference_implIS3_Lb1ELb0EPlSB_ZN2at6native12_GLOBAL__N_124unique_dim_cuda_templateIdEESt5tupleIJNSC_6TensorESH_SH_EERKSH_lbbbEUlllE1_EE10hipError_tPvRmT2_T3_mT4_P12ihipStream_tbEUlmE_lEESB_NS0_8identityIvEEEESM_SP_SQ_mSR_ST_bEUlT_E_NS1_11comp_targetILNS1_3genE0ELNS1_11target_archE4294967295ELNS1_3gpuE0ELNS1_3repE0EEENS1_30default_config_static_selectorELNS0_4arch9wavefront6targetE1EEEvT1_
    .private_segment_fixed_size: 0
    .sgpr_count:     6
    .sgpr_spill_count: 0
    .symbol:         _ZN7rocprim17ROCPRIM_400000_NS6detail17trampoline_kernelINS0_14default_configENS1_25transform_config_selectorIlLb0EEEZNS1_14transform_implILb0ES3_S5_NS0_18transform_iteratorINS0_17counting_iteratorImlEEZNS1_24adjacent_difference_implIS3_Lb1ELb0EPlSB_ZN2at6native12_GLOBAL__N_124unique_dim_cuda_templateIdEESt5tupleIJNSC_6TensorESH_SH_EERKSH_lbbbEUlllE1_EE10hipError_tPvRmT2_T3_mT4_P12ihipStream_tbEUlmE_lEESB_NS0_8identityIvEEEESM_SP_SQ_mSR_ST_bEUlT_E_NS1_11comp_targetILNS1_3genE0ELNS1_11target_archE4294967295ELNS1_3gpuE0ELNS1_3repE0EEENS1_30default_config_static_selectorELNS0_4arch9wavefront6targetE1EEEvT1_.kd
    .uniform_work_group_size: 1
    .uses_dynamic_stack: false
    .vgpr_count:     0
    .vgpr_spill_count: 0
    .wavefront_size: 64
  - .agpr_count:     0
    .args:
      - .offset:         0
        .size:           56
        .value_kind:     by_value
      - .offset:         56
        .size:           4
        .value_kind:     hidden_block_count_x
      - .offset:         60
        .size:           4
        .value_kind:     hidden_block_count_y
      - .offset:         64
        .size:           4
        .value_kind:     hidden_block_count_z
      - .offset:         68
        .size:           2
        .value_kind:     hidden_group_size_x
      - .offset:         70
        .size:           2
        .value_kind:     hidden_group_size_y
      - .offset:         72
        .size:           2
        .value_kind:     hidden_group_size_z
      - .offset:         74
        .size:           2
        .value_kind:     hidden_remainder_x
      - .offset:         76
        .size:           2
        .value_kind:     hidden_remainder_y
      - .offset:         78
        .size:           2
        .value_kind:     hidden_remainder_z
      - .offset:         96
        .size:           8
        .value_kind:     hidden_global_offset_x
      - .offset:         104
        .size:           8
        .value_kind:     hidden_global_offset_y
      - .offset:         112
        .size:           8
        .value_kind:     hidden_global_offset_z
      - .offset:         120
        .size:           2
        .value_kind:     hidden_grid_dims
    .group_segment_fixed_size: 0
    .kernarg_segment_align: 8
    .kernarg_segment_size: 312
    .language:       OpenCL C
    .language_version:
      - 2
      - 0
    .max_flat_workgroup_size: 512
    .name:           _ZN7rocprim17ROCPRIM_400000_NS6detail17trampoline_kernelINS0_14default_configENS1_25transform_config_selectorIlLb0EEEZNS1_14transform_implILb0ES3_S5_NS0_18transform_iteratorINS0_17counting_iteratorImlEEZNS1_24adjacent_difference_implIS3_Lb1ELb0EPlSB_ZN2at6native12_GLOBAL__N_124unique_dim_cuda_templateIdEESt5tupleIJNSC_6TensorESH_SH_EERKSH_lbbbEUlllE1_EE10hipError_tPvRmT2_T3_mT4_P12ihipStream_tbEUlmE_lEESB_NS0_8identityIvEEEESM_SP_SQ_mSR_ST_bEUlT_E_NS1_11comp_targetILNS1_3genE5ELNS1_11target_archE942ELNS1_3gpuE9ELNS1_3repE0EEENS1_30default_config_static_selectorELNS0_4arch9wavefront6targetE1EEEvT1_
    .private_segment_fixed_size: 0
    .sgpr_count:     26
    .sgpr_spill_count: 0
    .symbol:         _ZN7rocprim17ROCPRIM_400000_NS6detail17trampoline_kernelINS0_14default_configENS1_25transform_config_selectorIlLb0EEEZNS1_14transform_implILb0ES3_S5_NS0_18transform_iteratorINS0_17counting_iteratorImlEEZNS1_24adjacent_difference_implIS3_Lb1ELb0EPlSB_ZN2at6native12_GLOBAL__N_124unique_dim_cuda_templateIdEESt5tupleIJNSC_6TensorESH_SH_EERKSH_lbbbEUlllE1_EE10hipError_tPvRmT2_T3_mT4_P12ihipStream_tbEUlmE_lEESB_NS0_8identityIvEEEESM_SP_SQ_mSR_ST_bEUlT_E_NS1_11comp_targetILNS1_3genE5ELNS1_11target_archE942ELNS1_3gpuE9ELNS1_3repE0EEENS1_30default_config_static_selectorELNS0_4arch9wavefront6targetE1EEEvT1_.kd
    .uniform_work_group_size: 1
    .uses_dynamic_stack: false
    .vgpr_count:     12
    .vgpr_spill_count: 0
    .wavefront_size: 64
  - .agpr_count:     0
    .args:
      - .offset:         0
        .size:           56
        .value_kind:     by_value
    .group_segment_fixed_size: 0
    .kernarg_segment_align: 8
    .kernarg_segment_size: 56
    .language:       OpenCL C
    .language_version:
      - 2
      - 0
    .max_flat_workgroup_size: 256
    .name:           _ZN7rocprim17ROCPRIM_400000_NS6detail17trampoline_kernelINS0_14default_configENS1_25transform_config_selectorIlLb0EEEZNS1_14transform_implILb0ES3_S5_NS0_18transform_iteratorINS0_17counting_iteratorImlEEZNS1_24adjacent_difference_implIS3_Lb1ELb0EPlSB_ZN2at6native12_GLOBAL__N_124unique_dim_cuda_templateIdEESt5tupleIJNSC_6TensorESH_SH_EERKSH_lbbbEUlllE1_EE10hipError_tPvRmT2_T3_mT4_P12ihipStream_tbEUlmE_lEESB_NS0_8identityIvEEEESM_SP_SQ_mSR_ST_bEUlT_E_NS1_11comp_targetILNS1_3genE4ELNS1_11target_archE910ELNS1_3gpuE8ELNS1_3repE0EEENS1_30default_config_static_selectorELNS0_4arch9wavefront6targetE1EEEvT1_
    .private_segment_fixed_size: 0
    .sgpr_count:     6
    .sgpr_spill_count: 0
    .symbol:         _ZN7rocprim17ROCPRIM_400000_NS6detail17trampoline_kernelINS0_14default_configENS1_25transform_config_selectorIlLb0EEEZNS1_14transform_implILb0ES3_S5_NS0_18transform_iteratorINS0_17counting_iteratorImlEEZNS1_24adjacent_difference_implIS3_Lb1ELb0EPlSB_ZN2at6native12_GLOBAL__N_124unique_dim_cuda_templateIdEESt5tupleIJNSC_6TensorESH_SH_EERKSH_lbbbEUlllE1_EE10hipError_tPvRmT2_T3_mT4_P12ihipStream_tbEUlmE_lEESB_NS0_8identityIvEEEESM_SP_SQ_mSR_ST_bEUlT_E_NS1_11comp_targetILNS1_3genE4ELNS1_11target_archE910ELNS1_3gpuE8ELNS1_3repE0EEENS1_30default_config_static_selectorELNS0_4arch9wavefront6targetE1EEEvT1_.kd
    .uniform_work_group_size: 1
    .uses_dynamic_stack: false
    .vgpr_count:     0
    .vgpr_spill_count: 0
    .wavefront_size: 64
  - .agpr_count:     0
    .args:
      - .offset:         0
        .size:           56
        .value_kind:     by_value
    .group_segment_fixed_size: 0
    .kernarg_segment_align: 8
    .kernarg_segment_size: 56
    .language:       OpenCL C
    .language_version:
      - 2
      - 0
    .max_flat_workgroup_size: 128
    .name:           _ZN7rocprim17ROCPRIM_400000_NS6detail17trampoline_kernelINS0_14default_configENS1_25transform_config_selectorIlLb0EEEZNS1_14transform_implILb0ES3_S5_NS0_18transform_iteratorINS0_17counting_iteratorImlEEZNS1_24adjacent_difference_implIS3_Lb1ELb0EPlSB_ZN2at6native12_GLOBAL__N_124unique_dim_cuda_templateIdEESt5tupleIJNSC_6TensorESH_SH_EERKSH_lbbbEUlllE1_EE10hipError_tPvRmT2_T3_mT4_P12ihipStream_tbEUlmE_lEESB_NS0_8identityIvEEEESM_SP_SQ_mSR_ST_bEUlT_E_NS1_11comp_targetILNS1_3genE3ELNS1_11target_archE908ELNS1_3gpuE7ELNS1_3repE0EEENS1_30default_config_static_selectorELNS0_4arch9wavefront6targetE1EEEvT1_
    .private_segment_fixed_size: 0
    .sgpr_count:     6
    .sgpr_spill_count: 0
    .symbol:         _ZN7rocprim17ROCPRIM_400000_NS6detail17trampoline_kernelINS0_14default_configENS1_25transform_config_selectorIlLb0EEEZNS1_14transform_implILb0ES3_S5_NS0_18transform_iteratorINS0_17counting_iteratorImlEEZNS1_24adjacent_difference_implIS3_Lb1ELb0EPlSB_ZN2at6native12_GLOBAL__N_124unique_dim_cuda_templateIdEESt5tupleIJNSC_6TensorESH_SH_EERKSH_lbbbEUlllE1_EE10hipError_tPvRmT2_T3_mT4_P12ihipStream_tbEUlmE_lEESB_NS0_8identityIvEEEESM_SP_SQ_mSR_ST_bEUlT_E_NS1_11comp_targetILNS1_3genE3ELNS1_11target_archE908ELNS1_3gpuE7ELNS1_3repE0EEENS1_30default_config_static_selectorELNS0_4arch9wavefront6targetE1EEEvT1_.kd
    .uniform_work_group_size: 1
    .uses_dynamic_stack: false
    .vgpr_count:     0
    .vgpr_spill_count: 0
    .wavefront_size: 64
  - .agpr_count:     0
    .args:
      - .offset:         0
        .size:           56
        .value_kind:     by_value
    .group_segment_fixed_size: 0
    .kernarg_segment_align: 8
    .kernarg_segment_size: 56
    .language:       OpenCL C
    .language_version:
      - 2
      - 0
    .max_flat_workgroup_size: 512
    .name:           _ZN7rocprim17ROCPRIM_400000_NS6detail17trampoline_kernelINS0_14default_configENS1_25transform_config_selectorIlLb0EEEZNS1_14transform_implILb0ES3_S5_NS0_18transform_iteratorINS0_17counting_iteratorImlEEZNS1_24adjacent_difference_implIS3_Lb1ELb0EPlSB_ZN2at6native12_GLOBAL__N_124unique_dim_cuda_templateIdEESt5tupleIJNSC_6TensorESH_SH_EERKSH_lbbbEUlllE1_EE10hipError_tPvRmT2_T3_mT4_P12ihipStream_tbEUlmE_lEESB_NS0_8identityIvEEEESM_SP_SQ_mSR_ST_bEUlT_E_NS1_11comp_targetILNS1_3genE2ELNS1_11target_archE906ELNS1_3gpuE6ELNS1_3repE0EEENS1_30default_config_static_selectorELNS0_4arch9wavefront6targetE1EEEvT1_
    .private_segment_fixed_size: 0
    .sgpr_count:     6
    .sgpr_spill_count: 0
    .symbol:         _ZN7rocprim17ROCPRIM_400000_NS6detail17trampoline_kernelINS0_14default_configENS1_25transform_config_selectorIlLb0EEEZNS1_14transform_implILb0ES3_S5_NS0_18transform_iteratorINS0_17counting_iteratorImlEEZNS1_24adjacent_difference_implIS3_Lb1ELb0EPlSB_ZN2at6native12_GLOBAL__N_124unique_dim_cuda_templateIdEESt5tupleIJNSC_6TensorESH_SH_EERKSH_lbbbEUlllE1_EE10hipError_tPvRmT2_T3_mT4_P12ihipStream_tbEUlmE_lEESB_NS0_8identityIvEEEESM_SP_SQ_mSR_ST_bEUlT_E_NS1_11comp_targetILNS1_3genE2ELNS1_11target_archE906ELNS1_3gpuE6ELNS1_3repE0EEENS1_30default_config_static_selectorELNS0_4arch9wavefront6targetE1EEEvT1_.kd
    .uniform_work_group_size: 1
    .uses_dynamic_stack: false
    .vgpr_count:     0
    .vgpr_spill_count: 0
    .wavefront_size: 64
  - .agpr_count:     0
    .args:
      - .offset:         0
        .size:           56
        .value_kind:     by_value
    .group_segment_fixed_size: 0
    .kernarg_segment_align: 8
    .kernarg_segment_size: 56
    .language:       OpenCL C
    .language_version:
      - 2
      - 0
    .max_flat_workgroup_size: 1024
    .name:           _ZN7rocprim17ROCPRIM_400000_NS6detail17trampoline_kernelINS0_14default_configENS1_25transform_config_selectorIlLb0EEEZNS1_14transform_implILb0ES3_S5_NS0_18transform_iteratorINS0_17counting_iteratorImlEEZNS1_24adjacent_difference_implIS3_Lb1ELb0EPlSB_ZN2at6native12_GLOBAL__N_124unique_dim_cuda_templateIdEESt5tupleIJNSC_6TensorESH_SH_EERKSH_lbbbEUlllE1_EE10hipError_tPvRmT2_T3_mT4_P12ihipStream_tbEUlmE_lEESB_NS0_8identityIvEEEESM_SP_SQ_mSR_ST_bEUlT_E_NS1_11comp_targetILNS1_3genE10ELNS1_11target_archE1201ELNS1_3gpuE5ELNS1_3repE0EEENS1_30default_config_static_selectorELNS0_4arch9wavefront6targetE1EEEvT1_
    .private_segment_fixed_size: 0
    .sgpr_count:     6
    .sgpr_spill_count: 0
    .symbol:         _ZN7rocprim17ROCPRIM_400000_NS6detail17trampoline_kernelINS0_14default_configENS1_25transform_config_selectorIlLb0EEEZNS1_14transform_implILb0ES3_S5_NS0_18transform_iteratorINS0_17counting_iteratorImlEEZNS1_24adjacent_difference_implIS3_Lb1ELb0EPlSB_ZN2at6native12_GLOBAL__N_124unique_dim_cuda_templateIdEESt5tupleIJNSC_6TensorESH_SH_EERKSH_lbbbEUlllE1_EE10hipError_tPvRmT2_T3_mT4_P12ihipStream_tbEUlmE_lEESB_NS0_8identityIvEEEESM_SP_SQ_mSR_ST_bEUlT_E_NS1_11comp_targetILNS1_3genE10ELNS1_11target_archE1201ELNS1_3gpuE5ELNS1_3repE0EEENS1_30default_config_static_selectorELNS0_4arch9wavefront6targetE1EEEvT1_.kd
    .uniform_work_group_size: 1
    .uses_dynamic_stack: false
    .vgpr_count:     0
    .vgpr_spill_count: 0
    .wavefront_size: 64
  - .agpr_count:     0
    .args:
      - .offset:         0
        .size:           56
        .value_kind:     by_value
    .group_segment_fixed_size: 0
    .kernarg_segment_align: 8
    .kernarg_segment_size: 56
    .language:       OpenCL C
    .language_version:
      - 2
      - 0
    .max_flat_workgroup_size: 512
    .name:           _ZN7rocprim17ROCPRIM_400000_NS6detail17trampoline_kernelINS0_14default_configENS1_25transform_config_selectorIlLb0EEEZNS1_14transform_implILb0ES3_S5_NS0_18transform_iteratorINS0_17counting_iteratorImlEEZNS1_24adjacent_difference_implIS3_Lb1ELb0EPlSB_ZN2at6native12_GLOBAL__N_124unique_dim_cuda_templateIdEESt5tupleIJNSC_6TensorESH_SH_EERKSH_lbbbEUlllE1_EE10hipError_tPvRmT2_T3_mT4_P12ihipStream_tbEUlmE_lEESB_NS0_8identityIvEEEESM_SP_SQ_mSR_ST_bEUlT_E_NS1_11comp_targetILNS1_3genE10ELNS1_11target_archE1200ELNS1_3gpuE4ELNS1_3repE0EEENS1_30default_config_static_selectorELNS0_4arch9wavefront6targetE1EEEvT1_
    .private_segment_fixed_size: 0
    .sgpr_count:     6
    .sgpr_spill_count: 0
    .symbol:         _ZN7rocprim17ROCPRIM_400000_NS6detail17trampoline_kernelINS0_14default_configENS1_25transform_config_selectorIlLb0EEEZNS1_14transform_implILb0ES3_S5_NS0_18transform_iteratorINS0_17counting_iteratorImlEEZNS1_24adjacent_difference_implIS3_Lb1ELb0EPlSB_ZN2at6native12_GLOBAL__N_124unique_dim_cuda_templateIdEESt5tupleIJNSC_6TensorESH_SH_EERKSH_lbbbEUlllE1_EE10hipError_tPvRmT2_T3_mT4_P12ihipStream_tbEUlmE_lEESB_NS0_8identityIvEEEESM_SP_SQ_mSR_ST_bEUlT_E_NS1_11comp_targetILNS1_3genE10ELNS1_11target_archE1200ELNS1_3gpuE4ELNS1_3repE0EEENS1_30default_config_static_selectorELNS0_4arch9wavefront6targetE1EEEvT1_.kd
    .uniform_work_group_size: 1
    .uses_dynamic_stack: false
    .vgpr_count:     0
    .vgpr_spill_count: 0
    .wavefront_size: 64
  - .agpr_count:     0
    .args:
      - .offset:         0
        .size:           56
        .value_kind:     by_value
    .group_segment_fixed_size: 0
    .kernarg_segment_align: 8
    .kernarg_segment_size: 56
    .language:       OpenCL C
    .language_version:
      - 2
      - 0
    .max_flat_workgroup_size: 512
    .name:           _ZN7rocprim17ROCPRIM_400000_NS6detail17trampoline_kernelINS0_14default_configENS1_25transform_config_selectorIlLb0EEEZNS1_14transform_implILb0ES3_S5_NS0_18transform_iteratorINS0_17counting_iteratorImlEEZNS1_24adjacent_difference_implIS3_Lb1ELb0EPlSB_ZN2at6native12_GLOBAL__N_124unique_dim_cuda_templateIdEESt5tupleIJNSC_6TensorESH_SH_EERKSH_lbbbEUlllE1_EE10hipError_tPvRmT2_T3_mT4_P12ihipStream_tbEUlmE_lEESB_NS0_8identityIvEEEESM_SP_SQ_mSR_ST_bEUlT_E_NS1_11comp_targetILNS1_3genE9ELNS1_11target_archE1100ELNS1_3gpuE3ELNS1_3repE0EEENS1_30default_config_static_selectorELNS0_4arch9wavefront6targetE1EEEvT1_
    .private_segment_fixed_size: 0
    .sgpr_count:     6
    .sgpr_spill_count: 0
    .symbol:         _ZN7rocprim17ROCPRIM_400000_NS6detail17trampoline_kernelINS0_14default_configENS1_25transform_config_selectorIlLb0EEEZNS1_14transform_implILb0ES3_S5_NS0_18transform_iteratorINS0_17counting_iteratorImlEEZNS1_24adjacent_difference_implIS3_Lb1ELb0EPlSB_ZN2at6native12_GLOBAL__N_124unique_dim_cuda_templateIdEESt5tupleIJNSC_6TensorESH_SH_EERKSH_lbbbEUlllE1_EE10hipError_tPvRmT2_T3_mT4_P12ihipStream_tbEUlmE_lEESB_NS0_8identityIvEEEESM_SP_SQ_mSR_ST_bEUlT_E_NS1_11comp_targetILNS1_3genE9ELNS1_11target_archE1100ELNS1_3gpuE3ELNS1_3repE0EEENS1_30default_config_static_selectorELNS0_4arch9wavefront6targetE1EEEvT1_.kd
    .uniform_work_group_size: 1
    .uses_dynamic_stack: false
    .vgpr_count:     0
    .vgpr_spill_count: 0
    .wavefront_size: 64
  - .agpr_count:     0
    .args:
      - .offset:         0
        .size:           56
        .value_kind:     by_value
    .group_segment_fixed_size: 0
    .kernarg_segment_align: 8
    .kernarg_segment_size: 56
    .language:       OpenCL C
    .language_version:
      - 2
      - 0
    .max_flat_workgroup_size: 512
    .name:           _ZN7rocprim17ROCPRIM_400000_NS6detail17trampoline_kernelINS0_14default_configENS1_25transform_config_selectorIlLb0EEEZNS1_14transform_implILb0ES3_S5_NS0_18transform_iteratorINS0_17counting_iteratorImlEEZNS1_24adjacent_difference_implIS3_Lb1ELb0EPlSB_ZN2at6native12_GLOBAL__N_124unique_dim_cuda_templateIdEESt5tupleIJNSC_6TensorESH_SH_EERKSH_lbbbEUlllE1_EE10hipError_tPvRmT2_T3_mT4_P12ihipStream_tbEUlmE_lEESB_NS0_8identityIvEEEESM_SP_SQ_mSR_ST_bEUlT_E_NS1_11comp_targetILNS1_3genE8ELNS1_11target_archE1030ELNS1_3gpuE2ELNS1_3repE0EEENS1_30default_config_static_selectorELNS0_4arch9wavefront6targetE1EEEvT1_
    .private_segment_fixed_size: 0
    .sgpr_count:     6
    .sgpr_spill_count: 0
    .symbol:         _ZN7rocprim17ROCPRIM_400000_NS6detail17trampoline_kernelINS0_14default_configENS1_25transform_config_selectorIlLb0EEEZNS1_14transform_implILb0ES3_S5_NS0_18transform_iteratorINS0_17counting_iteratorImlEEZNS1_24adjacent_difference_implIS3_Lb1ELb0EPlSB_ZN2at6native12_GLOBAL__N_124unique_dim_cuda_templateIdEESt5tupleIJNSC_6TensorESH_SH_EERKSH_lbbbEUlllE1_EE10hipError_tPvRmT2_T3_mT4_P12ihipStream_tbEUlmE_lEESB_NS0_8identityIvEEEESM_SP_SQ_mSR_ST_bEUlT_E_NS1_11comp_targetILNS1_3genE8ELNS1_11target_archE1030ELNS1_3gpuE2ELNS1_3repE0EEENS1_30default_config_static_selectorELNS0_4arch9wavefront6targetE1EEEvT1_.kd
    .uniform_work_group_size: 1
    .uses_dynamic_stack: false
    .vgpr_count:     0
    .vgpr_spill_count: 0
    .wavefront_size: 64
  - .agpr_count:     0
    .args:
      - .offset:         0
        .size:           64
        .value_kind:     by_value
    .group_segment_fixed_size: 0
    .kernarg_segment_align: 8
    .kernarg_segment_size: 64
    .language:       OpenCL C
    .language_version:
      - 2
      - 0
    .max_flat_workgroup_size: 512
    .name:           _ZN7rocprim17ROCPRIM_400000_NS6detail17trampoline_kernelINS0_14default_configENS1_35adjacent_difference_config_selectorILb1ElEEZNS1_24adjacent_difference_implIS3_Lb1ELb0EPlS7_ZN2at6native12_GLOBAL__N_124unique_dim_cuda_templateIdEESt5tupleIJNS8_6TensorESD_SD_EERKSD_lbbbEUlllE1_EE10hipError_tPvRmT2_T3_mT4_P12ihipStream_tbEUlT_E_NS1_11comp_targetILNS1_3genE0ELNS1_11target_archE4294967295ELNS1_3gpuE0ELNS1_3repE0EEENS1_30default_config_static_selectorELNS0_4arch9wavefront6targetE1EEEvT1_
    .private_segment_fixed_size: 0
    .sgpr_count:     6
    .sgpr_spill_count: 0
    .symbol:         _ZN7rocprim17ROCPRIM_400000_NS6detail17trampoline_kernelINS0_14default_configENS1_35adjacent_difference_config_selectorILb1ElEEZNS1_24adjacent_difference_implIS3_Lb1ELb0EPlS7_ZN2at6native12_GLOBAL__N_124unique_dim_cuda_templateIdEESt5tupleIJNS8_6TensorESD_SD_EERKSD_lbbbEUlllE1_EE10hipError_tPvRmT2_T3_mT4_P12ihipStream_tbEUlT_E_NS1_11comp_targetILNS1_3genE0ELNS1_11target_archE4294967295ELNS1_3gpuE0ELNS1_3repE0EEENS1_30default_config_static_selectorELNS0_4arch9wavefront6targetE1EEEvT1_.kd
    .uniform_work_group_size: 1
    .uses_dynamic_stack: false
    .vgpr_count:     0
    .vgpr_spill_count: 0
    .wavefront_size: 64
  - .agpr_count:     0
    .args:
      - .offset:         0
        .size:           64
        .value_kind:     by_value
    .group_segment_fixed_size: 0
    .kernarg_segment_align: 8
    .kernarg_segment_size: 64
    .language:       OpenCL C
    .language_version:
      - 2
      - 0
    .max_flat_workgroup_size: 32
    .name:           _ZN7rocprim17ROCPRIM_400000_NS6detail17trampoline_kernelINS0_14default_configENS1_35adjacent_difference_config_selectorILb1ElEEZNS1_24adjacent_difference_implIS3_Lb1ELb0EPlS7_ZN2at6native12_GLOBAL__N_124unique_dim_cuda_templateIdEESt5tupleIJNS8_6TensorESD_SD_EERKSD_lbbbEUlllE1_EE10hipError_tPvRmT2_T3_mT4_P12ihipStream_tbEUlT_E_NS1_11comp_targetILNS1_3genE10ELNS1_11target_archE1201ELNS1_3gpuE5ELNS1_3repE0EEENS1_30default_config_static_selectorELNS0_4arch9wavefront6targetE1EEEvT1_
    .private_segment_fixed_size: 0
    .sgpr_count:     6
    .sgpr_spill_count: 0
    .symbol:         _ZN7rocprim17ROCPRIM_400000_NS6detail17trampoline_kernelINS0_14default_configENS1_35adjacent_difference_config_selectorILb1ElEEZNS1_24adjacent_difference_implIS3_Lb1ELb0EPlS7_ZN2at6native12_GLOBAL__N_124unique_dim_cuda_templateIdEESt5tupleIJNS8_6TensorESD_SD_EERKSD_lbbbEUlllE1_EE10hipError_tPvRmT2_T3_mT4_P12ihipStream_tbEUlT_E_NS1_11comp_targetILNS1_3genE10ELNS1_11target_archE1201ELNS1_3gpuE5ELNS1_3repE0EEENS1_30default_config_static_selectorELNS0_4arch9wavefront6targetE1EEEvT1_.kd
    .uniform_work_group_size: 1
    .uses_dynamic_stack: false
    .vgpr_count:     0
    .vgpr_spill_count: 0
    .wavefront_size: 64
  - .agpr_count:     0
    .args:
      - .offset:         0
        .size:           64
        .value_kind:     by_value
    .group_segment_fixed_size: 22528
    .kernarg_segment_align: 8
    .kernarg_segment_size: 64
    .language:       OpenCL C
    .language_version:
      - 2
      - 0
    .max_flat_workgroup_size: 256
    .name:           _ZN7rocprim17ROCPRIM_400000_NS6detail17trampoline_kernelINS0_14default_configENS1_35adjacent_difference_config_selectorILb1ElEEZNS1_24adjacent_difference_implIS3_Lb1ELb0EPlS7_ZN2at6native12_GLOBAL__N_124unique_dim_cuda_templateIdEESt5tupleIJNS8_6TensorESD_SD_EERKSD_lbbbEUlllE1_EE10hipError_tPvRmT2_T3_mT4_P12ihipStream_tbEUlT_E_NS1_11comp_targetILNS1_3genE5ELNS1_11target_archE942ELNS1_3gpuE9ELNS1_3repE0EEENS1_30default_config_static_selectorELNS0_4arch9wavefront6targetE1EEEvT1_
    .private_segment_fixed_size: 0
    .sgpr_count:     44
    .sgpr_spill_count: 0
    .symbol:         _ZN7rocprim17ROCPRIM_400000_NS6detail17trampoline_kernelINS0_14default_configENS1_35adjacent_difference_config_selectorILb1ElEEZNS1_24adjacent_difference_implIS3_Lb1ELb0EPlS7_ZN2at6native12_GLOBAL__N_124unique_dim_cuda_templateIdEESt5tupleIJNS8_6TensorESD_SD_EERKSD_lbbbEUlllE1_EE10hipError_tPvRmT2_T3_mT4_P12ihipStream_tbEUlT_E_NS1_11comp_targetILNS1_3genE5ELNS1_11target_archE942ELNS1_3gpuE9ELNS1_3repE0EEENS1_30default_config_static_selectorELNS0_4arch9wavefront6targetE1EEEvT1_.kd
    .uniform_work_group_size: 1
    .uses_dynamic_stack: false
    .vgpr_count:     70
    .vgpr_spill_count: 0
    .wavefront_size: 64
  - .agpr_count:     0
    .args:
      - .offset:         0
        .size:           64
        .value_kind:     by_value
    .group_segment_fixed_size: 0
    .kernarg_segment_align: 8
    .kernarg_segment_size: 64
    .language:       OpenCL C
    .language_version:
      - 2
      - 0
    .max_flat_workgroup_size: 512
    .name:           _ZN7rocprim17ROCPRIM_400000_NS6detail17trampoline_kernelINS0_14default_configENS1_35adjacent_difference_config_selectorILb1ElEEZNS1_24adjacent_difference_implIS3_Lb1ELb0EPlS7_ZN2at6native12_GLOBAL__N_124unique_dim_cuda_templateIdEESt5tupleIJNS8_6TensorESD_SD_EERKSD_lbbbEUlllE1_EE10hipError_tPvRmT2_T3_mT4_P12ihipStream_tbEUlT_E_NS1_11comp_targetILNS1_3genE4ELNS1_11target_archE910ELNS1_3gpuE8ELNS1_3repE0EEENS1_30default_config_static_selectorELNS0_4arch9wavefront6targetE1EEEvT1_
    .private_segment_fixed_size: 0
    .sgpr_count:     6
    .sgpr_spill_count: 0
    .symbol:         _ZN7rocprim17ROCPRIM_400000_NS6detail17trampoline_kernelINS0_14default_configENS1_35adjacent_difference_config_selectorILb1ElEEZNS1_24adjacent_difference_implIS3_Lb1ELb0EPlS7_ZN2at6native12_GLOBAL__N_124unique_dim_cuda_templateIdEESt5tupleIJNS8_6TensorESD_SD_EERKSD_lbbbEUlllE1_EE10hipError_tPvRmT2_T3_mT4_P12ihipStream_tbEUlT_E_NS1_11comp_targetILNS1_3genE4ELNS1_11target_archE910ELNS1_3gpuE8ELNS1_3repE0EEENS1_30default_config_static_selectorELNS0_4arch9wavefront6targetE1EEEvT1_.kd
    .uniform_work_group_size: 1
    .uses_dynamic_stack: false
    .vgpr_count:     0
    .vgpr_spill_count: 0
    .wavefront_size: 64
  - .agpr_count:     0
    .args:
      - .offset:         0
        .size:           64
        .value_kind:     by_value
    .group_segment_fixed_size: 0
    .kernarg_segment_align: 8
    .kernarg_segment_size: 64
    .language:       OpenCL C
    .language_version:
      - 2
      - 0
    .max_flat_workgroup_size: 512
    .name:           _ZN7rocprim17ROCPRIM_400000_NS6detail17trampoline_kernelINS0_14default_configENS1_35adjacent_difference_config_selectorILb1ElEEZNS1_24adjacent_difference_implIS3_Lb1ELb0EPlS7_ZN2at6native12_GLOBAL__N_124unique_dim_cuda_templateIdEESt5tupleIJNS8_6TensorESD_SD_EERKSD_lbbbEUlllE1_EE10hipError_tPvRmT2_T3_mT4_P12ihipStream_tbEUlT_E_NS1_11comp_targetILNS1_3genE3ELNS1_11target_archE908ELNS1_3gpuE7ELNS1_3repE0EEENS1_30default_config_static_selectorELNS0_4arch9wavefront6targetE1EEEvT1_
    .private_segment_fixed_size: 0
    .sgpr_count:     6
    .sgpr_spill_count: 0
    .symbol:         _ZN7rocprim17ROCPRIM_400000_NS6detail17trampoline_kernelINS0_14default_configENS1_35adjacent_difference_config_selectorILb1ElEEZNS1_24adjacent_difference_implIS3_Lb1ELb0EPlS7_ZN2at6native12_GLOBAL__N_124unique_dim_cuda_templateIdEESt5tupleIJNS8_6TensorESD_SD_EERKSD_lbbbEUlllE1_EE10hipError_tPvRmT2_T3_mT4_P12ihipStream_tbEUlT_E_NS1_11comp_targetILNS1_3genE3ELNS1_11target_archE908ELNS1_3gpuE7ELNS1_3repE0EEENS1_30default_config_static_selectorELNS0_4arch9wavefront6targetE1EEEvT1_.kd
    .uniform_work_group_size: 1
    .uses_dynamic_stack: false
    .vgpr_count:     0
    .vgpr_spill_count: 0
    .wavefront_size: 64
  - .agpr_count:     0
    .args:
      - .offset:         0
        .size:           64
        .value_kind:     by_value
    .group_segment_fixed_size: 0
    .kernarg_segment_align: 8
    .kernarg_segment_size: 64
    .language:       OpenCL C
    .language_version:
      - 2
      - 0
    .max_flat_workgroup_size: 128
    .name:           _ZN7rocprim17ROCPRIM_400000_NS6detail17trampoline_kernelINS0_14default_configENS1_35adjacent_difference_config_selectorILb1ElEEZNS1_24adjacent_difference_implIS3_Lb1ELb0EPlS7_ZN2at6native12_GLOBAL__N_124unique_dim_cuda_templateIdEESt5tupleIJNS8_6TensorESD_SD_EERKSD_lbbbEUlllE1_EE10hipError_tPvRmT2_T3_mT4_P12ihipStream_tbEUlT_E_NS1_11comp_targetILNS1_3genE2ELNS1_11target_archE906ELNS1_3gpuE6ELNS1_3repE0EEENS1_30default_config_static_selectorELNS0_4arch9wavefront6targetE1EEEvT1_
    .private_segment_fixed_size: 0
    .sgpr_count:     6
    .sgpr_spill_count: 0
    .symbol:         _ZN7rocprim17ROCPRIM_400000_NS6detail17trampoline_kernelINS0_14default_configENS1_35adjacent_difference_config_selectorILb1ElEEZNS1_24adjacent_difference_implIS3_Lb1ELb0EPlS7_ZN2at6native12_GLOBAL__N_124unique_dim_cuda_templateIdEESt5tupleIJNS8_6TensorESD_SD_EERKSD_lbbbEUlllE1_EE10hipError_tPvRmT2_T3_mT4_P12ihipStream_tbEUlT_E_NS1_11comp_targetILNS1_3genE2ELNS1_11target_archE906ELNS1_3gpuE6ELNS1_3repE0EEENS1_30default_config_static_selectorELNS0_4arch9wavefront6targetE1EEEvT1_.kd
    .uniform_work_group_size: 1
    .uses_dynamic_stack: false
    .vgpr_count:     0
    .vgpr_spill_count: 0
    .wavefront_size: 64
  - .agpr_count:     0
    .args:
      - .offset:         0
        .size:           64
        .value_kind:     by_value
    .group_segment_fixed_size: 0
    .kernarg_segment_align: 8
    .kernarg_segment_size: 64
    .language:       OpenCL C
    .language_version:
      - 2
      - 0
    .max_flat_workgroup_size: 128
    .name:           _ZN7rocprim17ROCPRIM_400000_NS6detail17trampoline_kernelINS0_14default_configENS1_35adjacent_difference_config_selectorILb1ElEEZNS1_24adjacent_difference_implIS3_Lb1ELb0EPlS7_ZN2at6native12_GLOBAL__N_124unique_dim_cuda_templateIdEESt5tupleIJNS8_6TensorESD_SD_EERKSD_lbbbEUlllE1_EE10hipError_tPvRmT2_T3_mT4_P12ihipStream_tbEUlT_E_NS1_11comp_targetILNS1_3genE9ELNS1_11target_archE1100ELNS1_3gpuE3ELNS1_3repE0EEENS1_30default_config_static_selectorELNS0_4arch9wavefront6targetE1EEEvT1_
    .private_segment_fixed_size: 0
    .sgpr_count:     6
    .sgpr_spill_count: 0
    .symbol:         _ZN7rocprim17ROCPRIM_400000_NS6detail17trampoline_kernelINS0_14default_configENS1_35adjacent_difference_config_selectorILb1ElEEZNS1_24adjacent_difference_implIS3_Lb1ELb0EPlS7_ZN2at6native12_GLOBAL__N_124unique_dim_cuda_templateIdEESt5tupleIJNS8_6TensorESD_SD_EERKSD_lbbbEUlllE1_EE10hipError_tPvRmT2_T3_mT4_P12ihipStream_tbEUlT_E_NS1_11comp_targetILNS1_3genE9ELNS1_11target_archE1100ELNS1_3gpuE3ELNS1_3repE0EEENS1_30default_config_static_selectorELNS0_4arch9wavefront6targetE1EEEvT1_.kd
    .uniform_work_group_size: 1
    .uses_dynamic_stack: false
    .vgpr_count:     0
    .vgpr_spill_count: 0
    .wavefront_size: 64
  - .agpr_count:     0
    .args:
      - .offset:         0
        .size:           64
        .value_kind:     by_value
    .group_segment_fixed_size: 0
    .kernarg_segment_align: 8
    .kernarg_segment_size: 64
    .language:       OpenCL C
    .language_version:
      - 2
      - 0
    .max_flat_workgroup_size: 32
    .name:           _ZN7rocprim17ROCPRIM_400000_NS6detail17trampoline_kernelINS0_14default_configENS1_35adjacent_difference_config_selectorILb1ElEEZNS1_24adjacent_difference_implIS3_Lb1ELb0EPlS7_ZN2at6native12_GLOBAL__N_124unique_dim_cuda_templateIdEESt5tupleIJNS8_6TensorESD_SD_EERKSD_lbbbEUlllE1_EE10hipError_tPvRmT2_T3_mT4_P12ihipStream_tbEUlT_E_NS1_11comp_targetILNS1_3genE8ELNS1_11target_archE1030ELNS1_3gpuE2ELNS1_3repE0EEENS1_30default_config_static_selectorELNS0_4arch9wavefront6targetE1EEEvT1_
    .private_segment_fixed_size: 0
    .sgpr_count:     6
    .sgpr_spill_count: 0
    .symbol:         _ZN7rocprim17ROCPRIM_400000_NS6detail17trampoline_kernelINS0_14default_configENS1_35adjacent_difference_config_selectorILb1ElEEZNS1_24adjacent_difference_implIS3_Lb1ELb0EPlS7_ZN2at6native12_GLOBAL__N_124unique_dim_cuda_templateIdEESt5tupleIJNS8_6TensorESD_SD_EERKSD_lbbbEUlllE1_EE10hipError_tPvRmT2_T3_mT4_P12ihipStream_tbEUlT_E_NS1_11comp_targetILNS1_3genE8ELNS1_11target_archE1030ELNS1_3gpuE2ELNS1_3repE0EEENS1_30default_config_static_selectorELNS0_4arch9wavefront6targetE1EEEvT1_.kd
    .uniform_work_group_size: 1
    .uses_dynamic_stack: false
    .vgpr_count:     0
    .vgpr_spill_count: 0
    .wavefront_size: 64
  - .agpr_count:     0
    .args:
      - .offset:         0
        .size:           120
        .value_kind:     by_value
    .group_segment_fixed_size: 0
    .kernarg_segment_align: 8
    .kernarg_segment_size: 120
    .language:       OpenCL C
    .language_version:
      - 2
      - 0
    .max_flat_workgroup_size: 512
    .name:           _ZN7rocprim17ROCPRIM_400000_NS6detail17trampoline_kernelINS0_14default_configENS1_25partition_config_selectorILNS1_17partition_subalgoE8ElNS0_10empty_typeEbEEZZNS1_14partition_implILS5_8ELb0ES3_jPlPS6_PKS6_NS0_5tupleIJS9_S6_EEENSD_IJSA_SA_EEENS0_18inequality_wrapperIZN2at6native12_GLOBAL__N_124unique_dim_cuda_templateIdEESt5tupleIJNSH_6TensorESM_SM_EERKSM_lbbbEUlllE0_EEPmJS6_EEE10hipError_tPvRmT3_T4_T5_T6_T7_T9_mT8_P12ihipStream_tbDpT10_ENKUlT_T0_E_clISt17integral_constantIbLb0EES1C_EEDaS17_S18_EUlS17_E_NS1_11comp_targetILNS1_3genE0ELNS1_11target_archE4294967295ELNS1_3gpuE0ELNS1_3repE0EEENS1_30default_config_static_selectorELNS0_4arch9wavefront6targetE1EEEvT1_
    .private_segment_fixed_size: 0
    .sgpr_count:     6
    .sgpr_spill_count: 0
    .symbol:         _ZN7rocprim17ROCPRIM_400000_NS6detail17trampoline_kernelINS0_14default_configENS1_25partition_config_selectorILNS1_17partition_subalgoE8ElNS0_10empty_typeEbEEZZNS1_14partition_implILS5_8ELb0ES3_jPlPS6_PKS6_NS0_5tupleIJS9_S6_EEENSD_IJSA_SA_EEENS0_18inequality_wrapperIZN2at6native12_GLOBAL__N_124unique_dim_cuda_templateIdEESt5tupleIJNSH_6TensorESM_SM_EERKSM_lbbbEUlllE0_EEPmJS6_EEE10hipError_tPvRmT3_T4_T5_T6_T7_T9_mT8_P12ihipStream_tbDpT10_ENKUlT_T0_E_clISt17integral_constantIbLb0EES1C_EEDaS17_S18_EUlS17_E_NS1_11comp_targetILNS1_3genE0ELNS1_11target_archE4294967295ELNS1_3gpuE0ELNS1_3repE0EEENS1_30default_config_static_selectorELNS0_4arch9wavefront6targetE1EEEvT1_.kd
    .uniform_work_group_size: 1
    .uses_dynamic_stack: false
    .vgpr_count:     0
    .vgpr_spill_count: 0
    .wavefront_size: 64
  - .agpr_count:     0
    .args:
      - .offset:         0
        .size:           120
        .value_kind:     by_value
    .group_segment_fixed_size: 28684
    .kernarg_segment_align: 8
    .kernarg_segment_size: 120
    .language:       OpenCL C
    .language_version:
      - 2
      - 0
    .max_flat_workgroup_size: 512
    .name:           _ZN7rocprim17ROCPRIM_400000_NS6detail17trampoline_kernelINS0_14default_configENS1_25partition_config_selectorILNS1_17partition_subalgoE8ElNS0_10empty_typeEbEEZZNS1_14partition_implILS5_8ELb0ES3_jPlPS6_PKS6_NS0_5tupleIJS9_S6_EEENSD_IJSA_SA_EEENS0_18inequality_wrapperIZN2at6native12_GLOBAL__N_124unique_dim_cuda_templateIdEESt5tupleIJNSH_6TensorESM_SM_EERKSM_lbbbEUlllE0_EEPmJS6_EEE10hipError_tPvRmT3_T4_T5_T6_T7_T9_mT8_P12ihipStream_tbDpT10_ENKUlT_T0_E_clISt17integral_constantIbLb0EES1C_EEDaS17_S18_EUlS17_E_NS1_11comp_targetILNS1_3genE5ELNS1_11target_archE942ELNS1_3gpuE9ELNS1_3repE0EEENS1_30default_config_static_selectorELNS0_4arch9wavefront6targetE1EEEvT1_
    .private_segment_fixed_size: 0
    .sgpr_count:     58
    .sgpr_spill_count: 0
    .symbol:         _ZN7rocprim17ROCPRIM_400000_NS6detail17trampoline_kernelINS0_14default_configENS1_25partition_config_selectorILNS1_17partition_subalgoE8ElNS0_10empty_typeEbEEZZNS1_14partition_implILS5_8ELb0ES3_jPlPS6_PKS6_NS0_5tupleIJS9_S6_EEENSD_IJSA_SA_EEENS0_18inequality_wrapperIZN2at6native12_GLOBAL__N_124unique_dim_cuda_templateIdEESt5tupleIJNSH_6TensorESM_SM_EERKSM_lbbbEUlllE0_EEPmJS6_EEE10hipError_tPvRmT3_T4_T5_T6_T7_T9_mT8_P12ihipStream_tbDpT10_ENKUlT_T0_E_clISt17integral_constantIbLb0EES1C_EEDaS17_S18_EUlS17_E_NS1_11comp_targetILNS1_3genE5ELNS1_11target_archE942ELNS1_3gpuE9ELNS1_3repE0EEENS1_30default_config_static_selectorELNS0_4arch9wavefront6targetE1EEEvT1_.kd
    .uniform_work_group_size: 1
    .uses_dynamic_stack: false
    .vgpr_count:     52
    .vgpr_spill_count: 0
    .wavefront_size: 64
  - .agpr_count:     0
    .args:
      - .offset:         0
        .size:           120
        .value_kind:     by_value
    .group_segment_fixed_size: 0
    .kernarg_segment_align: 8
    .kernarg_segment_size: 120
    .language:       OpenCL C
    .language_version:
      - 2
      - 0
    .max_flat_workgroup_size: 256
    .name:           _ZN7rocprim17ROCPRIM_400000_NS6detail17trampoline_kernelINS0_14default_configENS1_25partition_config_selectorILNS1_17partition_subalgoE8ElNS0_10empty_typeEbEEZZNS1_14partition_implILS5_8ELb0ES3_jPlPS6_PKS6_NS0_5tupleIJS9_S6_EEENSD_IJSA_SA_EEENS0_18inequality_wrapperIZN2at6native12_GLOBAL__N_124unique_dim_cuda_templateIdEESt5tupleIJNSH_6TensorESM_SM_EERKSM_lbbbEUlllE0_EEPmJS6_EEE10hipError_tPvRmT3_T4_T5_T6_T7_T9_mT8_P12ihipStream_tbDpT10_ENKUlT_T0_E_clISt17integral_constantIbLb0EES1C_EEDaS17_S18_EUlS17_E_NS1_11comp_targetILNS1_3genE4ELNS1_11target_archE910ELNS1_3gpuE8ELNS1_3repE0EEENS1_30default_config_static_selectorELNS0_4arch9wavefront6targetE1EEEvT1_
    .private_segment_fixed_size: 0
    .sgpr_count:     6
    .sgpr_spill_count: 0
    .symbol:         _ZN7rocprim17ROCPRIM_400000_NS6detail17trampoline_kernelINS0_14default_configENS1_25partition_config_selectorILNS1_17partition_subalgoE8ElNS0_10empty_typeEbEEZZNS1_14partition_implILS5_8ELb0ES3_jPlPS6_PKS6_NS0_5tupleIJS9_S6_EEENSD_IJSA_SA_EEENS0_18inequality_wrapperIZN2at6native12_GLOBAL__N_124unique_dim_cuda_templateIdEESt5tupleIJNSH_6TensorESM_SM_EERKSM_lbbbEUlllE0_EEPmJS6_EEE10hipError_tPvRmT3_T4_T5_T6_T7_T9_mT8_P12ihipStream_tbDpT10_ENKUlT_T0_E_clISt17integral_constantIbLb0EES1C_EEDaS17_S18_EUlS17_E_NS1_11comp_targetILNS1_3genE4ELNS1_11target_archE910ELNS1_3gpuE8ELNS1_3repE0EEENS1_30default_config_static_selectorELNS0_4arch9wavefront6targetE1EEEvT1_.kd
    .uniform_work_group_size: 1
    .uses_dynamic_stack: false
    .vgpr_count:     0
    .vgpr_spill_count: 0
    .wavefront_size: 64
  - .agpr_count:     0
    .args:
      - .offset:         0
        .size:           120
        .value_kind:     by_value
    .group_segment_fixed_size: 0
    .kernarg_segment_align: 8
    .kernarg_segment_size: 120
    .language:       OpenCL C
    .language_version:
      - 2
      - 0
    .max_flat_workgroup_size: 512
    .name:           _ZN7rocprim17ROCPRIM_400000_NS6detail17trampoline_kernelINS0_14default_configENS1_25partition_config_selectorILNS1_17partition_subalgoE8ElNS0_10empty_typeEbEEZZNS1_14partition_implILS5_8ELb0ES3_jPlPS6_PKS6_NS0_5tupleIJS9_S6_EEENSD_IJSA_SA_EEENS0_18inequality_wrapperIZN2at6native12_GLOBAL__N_124unique_dim_cuda_templateIdEESt5tupleIJNSH_6TensorESM_SM_EERKSM_lbbbEUlllE0_EEPmJS6_EEE10hipError_tPvRmT3_T4_T5_T6_T7_T9_mT8_P12ihipStream_tbDpT10_ENKUlT_T0_E_clISt17integral_constantIbLb0EES1C_EEDaS17_S18_EUlS17_E_NS1_11comp_targetILNS1_3genE3ELNS1_11target_archE908ELNS1_3gpuE7ELNS1_3repE0EEENS1_30default_config_static_selectorELNS0_4arch9wavefront6targetE1EEEvT1_
    .private_segment_fixed_size: 0
    .sgpr_count:     6
    .sgpr_spill_count: 0
    .symbol:         _ZN7rocprim17ROCPRIM_400000_NS6detail17trampoline_kernelINS0_14default_configENS1_25partition_config_selectorILNS1_17partition_subalgoE8ElNS0_10empty_typeEbEEZZNS1_14partition_implILS5_8ELb0ES3_jPlPS6_PKS6_NS0_5tupleIJS9_S6_EEENSD_IJSA_SA_EEENS0_18inequality_wrapperIZN2at6native12_GLOBAL__N_124unique_dim_cuda_templateIdEESt5tupleIJNSH_6TensorESM_SM_EERKSM_lbbbEUlllE0_EEPmJS6_EEE10hipError_tPvRmT3_T4_T5_T6_T7_T9_mT8_P12ihipStream_tbDpT10_ENKUlT_T0_E_clISt17integral_constantIbLb0EES1C_EEDaS17_S18_EUlS17_E_NS1_11comp_targetILNS1_3genE3ELNS1_11target_archE908ELNS1_3gpuE7ELNS1_3repE0EEENS1_30default_config_static_selectorELNS0_4arch9wavefront6targetE1EEEvT1_.kd
    .uniform_work_group_size: 1
    .uses_dynamic_stack: false
    .vgpr_count:     0
    .vgpr_spill_count: 0
    .wavefront_size: 64
  - .agpr_count:     0
    .args:
      - .offset:         0
        .size:           120
        .value_kind:     by_value
    .group_segment_fixed_size: 0
    .kernarg_segment_align: 8
    .kernarg_segment_size: 120
    .language:       OpenCL C
    .language_version:
      - 2
      - 0
    .max_flat_workgroup_size: 256
    .name:           _ZN7rocprim17ROCPRIM_400000_NS6detail17trampoline_kernelINS0_14default_configENS1_25partition_config_selectorILNS1_17partition_subalgoE8ElNS0_10empty_typeEbEEZZNS1_14partition_implILS5_8ELb0ES3_jPlPS6_PKS6_NS0_5tupleIJS9_S6_EEENSD_IJSA_SA_EEENS0_18inequality_wrapperIZN2at6native12_GLOBAL__N_124unique_dim_cuda_templateIdEESt5tupleIJNSH_6TensorESM_SM_EERKSM_lbbbEUlllE0_EEPmJS6_EEE10hipError_tPvRmT3_T4_T5_T6_T7_T9_mT8_P12ihipStream_tbDpT10_ENKUlT_T0_E_clISt17integral_constantIbLb0EES1C_EEDaS17_S18_EUlS17_E_NS1_11comp_targetILNS1_3genE2ELNS1_11target_archE906ELNS1_3gpuE6ELNS1_3repE0EEENS1_30default_config_static_selectorELNS0_4arch9wavefront6targetE1EEEvT1_
    .private_segment_fixed_size: 0
    .sgpr_count:     6
    .sgpr_spill_count: 0
    .symbol:         _ZN7rocprim17ROCPRIM_400000_NS6detail17trampoline_kernelINS0_14default_configENS1_25partition_config_selectorILNS1_17partition_subalgoE8ElNS0_10empty_typeEbEEZZNS1_14partition_implILS5_8ELb0ES3_jPlPS6_PKS6_NS0_5tupleIJS9_S6_EEENSD_IJSA_SA_EEENS0_18inequality_wrapperIZN2at6native12_GLOBAL__N_124unique_dim_cuda_templateIdEESt5tupleIJNSH_6TensorESM_SM_EERKSM_lbbbEUlllE0_EEPmJS6_EEE10hipError_tPvRmT3_T4_T5_T6_T7_T9_mT8_P12ihipStream_tbDpT10_ENKUlT_T0_E_clISt17integral_constantIbLb0EES1C_EEDaS17_S18_EUlS17_E_NS1_11comp_targetILNS1_3genE2ELNS1_11target_archE906ELNS1_3gpuE6ELNS1_3repE0EEENS1_30default_config_static_selectorELNS0_4arch9wavefront6targetE1EEEvT1_.kd
    .uniform_work_group_size: 1
    .uses_dynamic_stack: false
    .vgpr_count:     0
    .vgpr_spill_count: 0
    .wavefront_size: 64
  - .agpr_count:     0
    .args:
      - .offset:         0
        .size:           120
        .value_kind:     by_value
    .group_segment_fixed_size: 0
    .kernarg_segment_align: 8
    .kernarg_segment_size: 120
    .language:       OpenCL C
    .language_version:
      - 2
      - 0
    .max_flat_workgroup_size: 384
    .name:           _ZN7rocprim17ROCPRIM_400000_NS6detail17trampoline_kernelINS0_14default_configENS1_25partition_config_selectorILNS1_17partition_subalgoE8ElNS0_10empty_typeEbEEZZNS1_14partition_implILS5_8ELb0ES3_jPlPS6_PKS6_NS0_5tupleIJS9_S6_EEENSD_IJSA_SA_EEENS0_18inequality_wrapperIZN2at6native12_GLOBAL__N_124unique_dim_cuda_templateIdEESt5tupleIJNSH_6TensorESM_SM_EERKSM_lbbbEUlllE0_EEPmJS6_EEE10hipError_tPvRmT3_T4_T5_T6_T7_T9_mT8_P12ihipStream_tbDpT10_ENKUlT_T0_E_clISt17integral_constantIbLb0EES1C_EEDaS17_S18_EUlS17_E_NS1_11comp_targetILNS1_3genE10ELNS1_11target_archE1200ELNS1_3gpuE4ELNS1_3repE0EEENS1_30default_config_static_selectorELNS0_4arch9wavefront6targetE1EEEvT1_
    .private_segment_fixed_size: 0
    .sgpr_count:     6
    .sgpr_spill_count: 0
    .symbol:         _ZN7rocprim17ROCPRIM_400000_NS6detail17trampoline_kernelINS0_14default_configENS1_25partition_config_selectorILNS1_17partition_subalgoE8ElNS0_10empty_typeEbEEZZNS1_14partition_implILS5_8ELb0ES3_jPlPS6_PKS6_NS0_5tupleIJS9_S6_EEENSD_IJSA_SA_EEENS0_18inequality_wrapperIZN2at6native12_GLOBAL__N_124unique_dim_cuda_templateIdEESt5tupleIJNSH_6TensorESM_SM_EERKSM_lbbbEUlllE0_EEPmJS6_EEE10hipError_tPvRmT3_T4_T5_T6_T7_T9_mT8_P12ihipStream_tbDpT10_ENKUlT_T0_E_clISt17integral_constantIbLb0EES1C_EEDaS17_S18_EUlS17_E_NS1_11comp_targetILNS1_3genE10ELNS1_11target_archE1200ELNS1_3gpuE4ELNS1_3repE0EEENS1_30default_config_static_selectorELNS0_4arch9wavefront6targetE1EEEvT1_.kd
    .uniform_work_group_size: 1
    .uses_dynamic_stack: false
    .vgpr_count:     0
    .vgpr_spill_count: 0
    .wavefront_size: 64
  - .agpr_count:     0
    .args:
      - .offset:         0
        .size:           120
        .value_kind:     by_value
    .group_segment_fixed_size: 0
    .kernarg_segment_align: 8
    .kernarg_segment_size: 120
    .language:       OpenCL C
    .language_version:
      - 2
      - 0
    .max_flat_workgroup_size: 512
    .name:           _ZN7rocprim17ROCPRIM_400000_NS6detail17trampoline_kernelINS0_14default_configENS1_25partition_config_selectorILNS1_17partition_subalgoE8ElNS0_10empty_typeEbEEZZNS1_14partition_implILS5_8ELb0ES3_jPlPS6_PKS6_NS0_5tupleIJS9_S6_EEENSD_IJSA_SA_EEENS0_18inequality_wrapperIZN2at6native12_GLOBAL__N_124unique_dim_cuda_templateIdEESt5tupleIJNSH_6TensorESM_SM_EERKSM_lbbbEUlllE0_EEPmJS6_EEE10hipError_tPvRmT3_T4_T5_T6_T7_T9_mT8_P12ihipStream_tbDpT10_ENKUlT_T0_E_clISt17integral_constantIbLb0EES1C_EEDaS17_S18_EUlS17_E_NS1_11comp_targetILNS1_3genE9ELNS1_11target_archE1100ELNS1_3gpuE3ELNS1_3repE0EEENS1_30default_config_static_selectorELNS0_4arch9wavefront6targetE1EEEvT1_
    .private_segment_fixed_size: 0
    .sgpr_count:     6
    .sgpr_spill_count: 0
    .symbol:         _ZN7rocprim17ROCPRIM_400000_NS6detail17trampoline_kernelINS0_14default_configENS1_25partition_config_selectorILNS1_17partition_subalgoE8ElNS0_10empty_typeEbEEZZNS1_14partition_implILS5_8ELb0ES3_jPlPS6_PKS6_NS0_5tupleIJS9_S6_EEENSD_IJSA_SA_EEENS0_18inequality_wrapperIZN2at6native12_GLOBAL__N_124unique_dim_cuda_templateIdEESt5tupleIJNSH_6TensorESM_SM_EERKSM_lbbbEUlllE0_EEPmJS6_EEE10hipError_tPvRmT3_T4_T5_T6_T7_T9_mT8_P12ihipStream_tbDpT10_ENKUlT_T0_E_clISt17integral_constantIbLb0EES1C_EEDaS17_S18_EUlS17_E_NS1_11comp_targetILNS1_3genE9ELNS1_11target_archE1100ELNS1_3gpuE3ELNS1_3repE0EEENS1_30default_config_static_selectorELNS0_4arch9wavefront6targetE1EEEvT1_.kd
    .uniform_work_group_size: 1
    .uses_dynamic_stack: false
    .vgpr_count:     0
    .vgpr_spill_count: 0
    .wavefront_size: 64
  - .agpr_count:     0
    .args:
      - .offset:         0
        .size:           120
        .value_kind:     by_value
    .group_segment_fixed_size: 0
    .kernarg_segment_align: 8
    .kernarg_segment_size: 120
    .language:       OpenCL C
    .language_version:
      - 2
      - 0
    .max_flat_workgroup_size: 512
    .name:           _ZN7rocprim17ROCPRIM_400000_NS6detail17trampoline_kernelINS0_14default_configENS1_25partition_config_selectorILNS1_17partition_subalgoE8ElNS0_10empty_typeEbEEZZNS1_14partition_implILS5_8ELb0ES3_jPlPS6_PKS6_NS0_5tupleIJS9_S6_EEENSD_IJSA_SA_EEENS0_18inequality_wrapperIZN2at6native12_GLOBAL__N_124unique_dim_cuda_templateIdEESt5tupleIJNSH_6TensorESM_SM_EERKSM_lbbbEUlllE0_EEPmJS6_EEE10hipError_tPvRmT3_T4_T5_T6_T7_T9_mT8_P12ihipStream_tbDpT10_ENKUlT_T0_E_clISt17integral_constantIbLb0EES1C_EEDaS17_S18_EUlS17_E_NS1_11comp_targetILNS1_3genE8ELNS1_11target_archE1030ELNS1_3gpuE2ELNS1_3repE0EEENS1_30default_config_static_selectorELNS0_4arch9wavefront6targetE1EEEvT1_
    .private_segment_fixed_size: 0
    .sgpr_count:     6
    .sgpr_spill_count: 0
    .symbol:         _ZN7rocprim17ROCPRIM_400000_NS6detail17trampoline_kernelINS0_14default_configENS1_25partition_config_selectorILNS1_17partition_subalgoE8ElNS0_10empty_typeEbEEZZNS1_14partition_implILS5_8ELb0ES3_jPlPS6_PKS6_NS0_5tupleIJS9_S6_EEENSD_IJSA_SA_EEENS0_18inequality_wrapperIZN2at6native12_GLOBAL__N_124unique_dim_cuda_templateIdEESt5tupleIJNSH_6TensorESM_SM_EERKSM_lbbbEUlllE0_EEPmJS6_EEE10hipError_tPvRmT3_T4_T5_T6_T7_T9_mT8_P12ihipStream_tbDpT10_ENKUlT_T0_E_clISt17integral_constantIbLb0EES1C_EEDaS17_S18_EUlS17_E_NS1_11comp_targetILNS1_3genE8ELNS1_11target_archE1030ELNS1_3gpuE2ELNS1_3repE0EEENS1_30default_config_static_selectorELNS0_4arch9wavefront6targetE1EEEvT1_.kd
    .uniform_work_group_size: 1
    .uses_dynamic_stack: false
    .vgpr_count:     0
    .vgpr_spill_count: 0
    .wavefront_size: 64
  - .agpr_count:     0
    .args:
      - .offset:         0
        .size:           136
        .value_kind:     by_value
    .group_segment_fixed_size: 0
    .kernarg_segment_align: 8
    .kernarg_segment_size: 136
    .language:       OpenCL C
    .language_version:
      - 2
      - 0
    .max_flat_workgroup_size: 512
    .name:           _ZN7rocprim17ROCPRIM_400000_NS6detail17trampoline_kernelINS0_14default_configENS1_25partition_config_selectorILNS1_17partition_subalgoE8ElNS0_10empty_typeEbEEZZNS1_14partition_implILS5_8ELb0ES3_jPlPS6_PKS6_NS0_5tupleIJS9_S6_EEENSD_IJSA_SA_EEENS0_18inequality_wrapperIZN2at6native12_GLOBAL__N_124unique_dim_cuda_templateIdEESt5tupleIJNSH_6TensorESM_SM_EERKSM_lbbbEUlllE0_EEPmJS6_EEE10hipError_tPvRmT3_T4_T5_T6_T7_T9_mT8_P12ihipStream_tbDpT10_ENKUlT_T0_E_clISt17integral_constantIbLb1EES1C_EEDaS17_S18_EUlS17_E_NS1_11comp_targetILNS1_3genE0ELNS1_11target_archE4294967295ELNS1_3gpuE0ELNS1_3repE0EEENS1_30default_config_static_selectorELNS0_4arch9wavefront6targetE1EEEvT1_
    .private_segment_fixed_size: 0
    .sgpr_count:     6
    .sgpr_spill_count: 0
    .symbol:         _ZN7rocprim17ROCPRIM_400000_NS6detail17trampoline_kernelINS0_14default_configENS1_25partition_config_selectorILNS1_17partition_subalgoE8ElNS0_10empty_typeEbEEZZNS1_14partition_implILS5_8ELb0ES3_jPlPS6_PKS6_NS0_5tupleIJS9_S6_EEENSD_IJSA_SA_EEENS0_18inequality_wrapperIZN2at6native12_GLOBAL__N_124unique_dim_cuda_templateIdEESt5tupleIJNSH_6TensorESM_SM_EERKSM_lbbbEUlllE0_EEPmJS6_EEE10hipError_tPvRmT3_T4_T5_T6_T7_T9_mT8_P12ihipStream_tbDpT10_ENKUlT_T0_E_clISt17integral_constantIbLb1EES1C_EEDaS17_S18_EUlS17_E_NS1_11comp_targetILNS1_3genE0ELNS1_11target_archE4294967295ELNS1_3gpuE0ELNS1_3repE0EEENS1_30default_config_static_selectorELNS0_4arch9wavefront6targetE1EEEvT1_.kd
    .uniform_work_group_size: 1
    .uses_dynamic_stack: false
    .vgpr_count:     0
    .vgpr_spill_count: 0
    .wavefront_size: 64
  - .agpr_count:     0
    .args:
      - .offset:         0
        .size:           136
        .value_kind:     by_value
    .group_segment_fixed_size: 28684
    .kernarg_segment_align: 8
    .kernarg_segment_size: 136
    .language:       OpenCL C
    .language_version:
      - 2
      - 0
    .max_flat_workgroup_size: 512
    .name:           _ZN7rocprim17ROCPRIM_400000_NS6detail17trampoline_kernelINS0_14default_configENS1_25partition_config_selectorILNS1_17partition_subalgoE8ElNS0_10empty_typeEbEEZZNS1_14partition_implILS5_8ELb0ES3_jPlPS6_PKS6_NS0_5tupleIJS9_S6_EEENSD_IJSA_SA_EEENS0_18inequality_wrapperIZN2at6native12_GLOBAL__N_124unique_dim_cuda_templateIdEESt5tupleIJNSH_6TensorESM_SM_EERKSM_lbbbEUlllE0_EEPmJS6_EEE10hipError_tPvRmT3_T4_T5_T6_T7_T9_mT8_P12ihipStream_tbDpT10_ENKUlT_T0_E_clISt17integral_constantIbLb1EES1C_EEDaS17_S18_EUlS17_E_NS1_11comp_targetILNS1_3genE5ELNS1_11target_archE942ELNS1_3gpuE9ELNS1_3repE0EEENS1_30default_config_static_selectorELNS0_4arch9wavefront6targetE1EEEvT1_
    .private_segment_fixed_size: 0
    .sgpr_count:     62
    .sgpr_spill_count: 0
    .symbol:         _ZN7rocprim17ROCPRIM_400000_NS6detail17trampoline_kernelINS0_14default_configENS1_25partition_config_selectorILNS1_17partition_subalgoE8ElNS0_10empty_typeEbEEZZNS1_14partition_implILS5_8ELb0ES3_jPlPS6_PKS6_NS0_5tupleIJS9_S6_EEENSD_IJSA_SA_EEENS0_18inequality_wrapperIZN2at6native12_GLOBAL__N_124unique_dim_cuda_templateIdEESt5tupleIJNSH_6TensorESM_SM_EERKSM_lbbbEUlllE0_EEPmJS6_EEE10hipError_tPvRmT3_T4_T5_T6_T7_T9_mT8_P12ihipStream_tbDpT10_ENKUlT_T0_E_clISt17integral_constantIbLb1EES1C_EEDaS17_S18_EUlS17_E_NS1_11comp_targetILNS1_3genE5ELNS1_11target_archE942ELNS1_3gpuE9ELNS1_3repE0EEENS1_30default_config_static_selectorELNS0_4arch9wavefront6targetE1EEEvT1_.kd
    .uniform_work_group_size: 1
    .uses_dynamic_stack: false
    .vgpr_count:     52
    .vgpr_spill_count: 0
    .wavefront_size: 64
  - .agpr_count:     0
    .args:
      - .offset:         0
        .size:           136
        .value_kind:     by_value
    .group_segment_fixed_size: 0
    .kernarg_segment_align: 8
    .kernarg_segment_size: 136
    .language:       OpenCL C
    .language_version:
      - 2
      - 0
    .max_flat_workgroup_size: 256
    .name:           _ZN7rocprim17ROCPRIM_400000_NS6detail17trampoline_kernelINS0_14default_configENS1_25partition_config_selectorILNS1_17partition_subalgoE8ElNS0_10empty_typeEbEEZZNS1_14partition_implILS5_8ELb0ES3_jPlPS6_PKS6_NS0_5tupleIJS9_S6_EEENSD_IJSA_SA_EEENS0_18inequality_wrapperIZN2at6native12_GLOBAL__N_124unique_dim_cuda_templateIdEESt5tupleIJNSH_6TensorESM_SM_EERKSM_lbbbEUlllE0_EEPmJS6_EEE10hipError_tPvRmT3_T4_T5_T6_T7_T9_mT8_P12ihipStream_tbDpT10_ENKUlT_T0_E_clISt17integral_constantIbLb1EES1C_EEDaS17_S18_EUlS17_E_NS1_11comp_targetILNS1_3genE4ELNS1_11target_archE910ELNS1_3gpuE8ELNS1_3repE0EEENS1_30default_config_static_selectorELNS0_4arch9wavefront6targetE1EEEvT1_
    .private_segment_fixed_size: 0
    .sgpr_count:     6
    .sgpr_spill_count: 0
    .symbol:         _ZN7rocprim17ROCPRIM_400000_NS6detail17trampoline_kernelINS0_14default_configENS1_25partition_config_selectorILNS1_17partition_subalgoE8ElNS0_10empty_typeEbEEZZNS1_14partition_implILS5_8ELb0ES3_jPlPS6_PKS6_NS0_5tupleIJS9_S6_EEENSD_IJSA_SA_EEENS0_18inequality_wrapperIZN2at6native12_GLOBAL__N_124unique_dim_cuda_templateIdEESt5tupleIJNSH_6TensorESM_SM_EERKSM_lbbbEUlllE0_EEPmJS6_EEE10hipError_tPvRmT3_T4_T5_T6_T7_T9_mT8_P12ihipStream_tbDpT10_ENKUlT_T0_E_clISt17integral_constantIbLb1EES1C_EEDaS17_S18_EUlS17_E_NS1_11comp_targetILNS1_3genE4ELNS1_11target_archE910ELNS1_3gpuE8ELNS1_3repE0EEENS1_30default_config_static_selectorELNS0_4arch9wavefront6targetE1EEEvT1_.kd
    .uniform_work_group_size: 1
    .uses_dynamic_stack: false
    .vgpr_count:     0
    .vgpr_spill_count: 0
    .wavefront_size: 64
  - .agpr_count:     0
    .args:
      - .offset:         0
        .size:           136
        .value_kind:     by_value
    .group_segment_fixed_size: 0
    .kernarg_segment_align: 8
    .kernarg_segment_size: 136
    .language:       OpenCL C
    .language_version:
      - 2
      - 0
    .max_flat_workgroup_size: 512
    .name:           _ZN7rocprim17ROCPRIM_400000_NS6detail17trampoline_kernelINS0_14default_configENS1_25partition_config_selectorILNS1_17partition_subalgoE8ElNS0_10empty_typeEbEEZZNS1_14partition_implILS5_8ELb0ES3_jPlPS6_PKS6_NS0_5tupleIJS9_S6_EEENSD_IJSA_SA_EEENS0_18inequality_wrapperIZN2at6native12_GLOBAL__N_124unique_dim_cuda_templateIdEESt5tupleIJNSH_6TensorESM_SM_EERKSM_lbbbEUlllE0_EEPmJS6_EEE10hipError_tPvRmT3_T4_T5_T6_T7_T9_mT8_P12ihipStream_tbDpT10_ENKUlT_T0_E_clISt17integral_constantIbLb1EES1C_EEDaS17_S18_EUlS17_E_NS1_11comp_targetILNS1_3genE3ELNS1_11target_archE908ELNS1_3gpuE7ELNS1_3repE0EEENS1_30default_config_static_selectorELNS0_4arch9wavefront6targetE1EEEvT1_
    .private_segment_fixed_size: 0
    .sgpr_count:     6
    .sgpr_spill_count: 0
    .symbol:         _ZN7rocprim17ROCPRIM_400000_NS6detail17trampoline_kernelINS0_14default_configENS1_25partition_config_selectorILNS1_17partition_subalgoE8ElNS0_10empty_typeEbEEZZNS1_14partition_implILS5_8ELb0ES3_jPlPS6_PKS6_NS0_5tupleIJS9_S6_EEENSD_IJSA_SA_EEENS0_18inequality_wrapperIZN2at6native12_GLOBAL__N_124unique_dim_cuda_templateIdEESt5tupleIJNSH_6TensorESM_SM_EERKSM_lbbbEUlllE0_EEPmJS6_EEE10hipError_tPvRmT3_T4_T5_T6_T7_T9_mT8_P12ihipStream_tbDpT10_ENKUlT_T0_E_clISt17integral_constantIbLb1EES1C_EEDaS17_S18_EUlS17_E_NS1_11comp_targetILNS1_3genE3ELNS1_11target_archE908ELNS1_3gpuE7ELNS1_3repE0EEENS1_30default_config_static_selectorELNS0_4arch9wavefront6targetE1EEEvT1_.kd
    .uniform_work_group_size: 1
    .uses_dynamic_stack: false
    .vgpr_count:     0
    .vgpr_spill_count: 0
    .wavefront_size: 64
  - .agpr_count:     0
    .args:
      - .offset:         0
        .size:           136
        .value_kind:     by_value
    .group_segment_fixed_size: 0
    .kernarg_segment_align: 8
    .kernarg_segment_size: 136
    .language:       OpenCL C
    .language_version:
      - 2
      - 0
    .max_flat_workgroup_size: 256
    .name:           _ZN7rocprim17ROCPRIM_400000_NS6detail17trampoline_kernelINS0_14default_configENS1_25partition_config_selectorILNS1_17partition_subalgoE8ElNS0_10empty_typeEbEEZZNS1_14partition_implILS5_8ELb0ES3_jPlPS6_PKS6_NS0_5tupleIJS9_S6_EEENSD_IJSA_SA_EEENS0_18inequality_wrapperIZN2at6native12_GLOBAL__N_124unique_dim_cuda_templateIdEESt5tupleIJNSH_6TensorESM_SM_EERKSM_lbbbEUlllE0_EEPmJS6_EEE10hipError_tPvRmT3_T4_T5_T6_T7_T9_mT8_P12ihipStream_tbDpT10_ENKUlT_T0_E_clISt17integral_constantIbLb1EES1C_EEDaS17_S18_EUlS17_E_NS1_11comp_targetILNS1_3genE2ELNS1_11target_archE906ELNS1_3gpuE6ELNS1_3repE0EEENS1_30default_config_static_selectorELNS0_4arch9wavefront6targetE1EEEvT1_
    .private_segment_fixed_size: 0
    .sgpr_count:     6
    .sgpr_spill_count: 0
    .symbol:         _ZN7rocprim17ROCPRIM_400000_NS6detail17trampoline_kernelINS0_14default_configENS1_25partition_config_selectorILNS1_17partition_subalgoE8ElNS0_10empty_typeEbEEZZNS1_14partition_implILS5_8ELb0ES3_jPlPS6_PKS6_NS0_5tupleIJS9_S6_EEENSD_IJSA_SA_EEENS0_18inequality_wrapperIZN2at6native12_GLOBAL__N_124unique_dim_cuda_templateIdEESt5tupleIJNSH_6TensorESM_SM_EERKSM_lbbbEUlllE0_EEPmJS6_EEE10hipError_tPvRmT3_T4_T5_T6_T7_T9_mT8_P12ihipStream_tbDpT10_ENKUlT_T0_E_clISt17integral_constantIbLb1EES1C_EEDaS17_S18_EUlS17_E_NS1_11comp_targetILNS1_3genE2ELNS1_11target_archE906ELNS1_3gpuE6ELNS1_3repE0EEENS1_30default_config_static_selectorELNS0_4arch9wavefront6targetE1EEEvT1_.kd
    .uniform_work_group_size: 1
    .uses_dynamic_stack: false
    .vgpr_count:     0
    .vgpr_spill_count: 0
    .wavefront_size: 64
  - .agpr_count:     0
    .args:
      - .offset:         0
        .size:           136
        .value_kind:     by_value
    .group_segment_fixed_size: 0
    .kernarg_segment_align: 8
    .kernarg_segment_size: 136
    .language:       OpenCL C
    .language_version:
      - 2
      - 0
    .max_flat_workgroup_size: 384
    .name:           _ZN7rocprim17ROCPRIM_400000_NS6detail17trampoline_kernelINS0_14default_configENS1_25partition_config_selectorILNS1_17partition_subalgoE8ElNS0_10empty_typeEbEEZZNS1_14partition_implILS5_8ELb0ES3_jPlPS6_PKS6_NS0_5tupleIJS9_S6_EEENSD_IJSA_SA_EEENS0_18inequality_wrapperIZN2at6native12_GLOBAL__N_124unique_dim_cuda_templateIdEESt5tupleIJNSH_6TensorESM_SM_EERKSM_lbbbEUlllE0_EEPmJS6_EEE10hipError_tPvRmT3_T4_T5_T6_T7_T9_mT8_P12ihipStream_tbDpT10_ENKUlT_T0_E_clISt17integral_constantIbLb1EES1C_EEDaS17_S18_EUlS17_E_NS1_11comp_targetILNS1_3genE10ELNS1_11target_archE1200ELNS1_3gpuE4ELNS1_3repE0EEENS1_30default_config_static_selectorELNS0_4arch9wavefront6targetE1EEEvT1_
    .private_segment_fixed_size: 0
    .sgpr_count:     6
    .sgpr_spill_count: 0
    .symbol:         _ZN7rocprim17ROCPRIM_400000_NS6detail17trampoline_kernelINS0_14default_configENS1_25partition_config_selectorILNS1_17partition_subalgoE8ElNS0_10empty_typeEbEEZZNS1_14partition_implILS5_8ELb0ES3_jPlPS6_PKS6_NS0_5tupleIJS9_S6_EEENSD_IJSA_SA_EEENS0_18inequality_wrapperIZN2at6native12_GLOBAL__N_124unique_dim_cuda_templateIdEESt5tupleIJNSH_6TensorESM_SM_EERKSM_lbbbEUlllE0_EEPmJS6_EEE10hipError_tPvRmT3_T4_T5_T6_T7_T9_mT8_P12ihipStream_tbDpT10_ENKUlT_T0_E_clISt17integral_constantIbLb1EES1C_EEDaS17_S18_EUlS17_E_NS1_11comp_targetILNS1_3genE10ELNS1_11target_archE1200ELNS1_3gpuE4ELNS1_3repE0EEENS1_30default_config_static_selectorELNS0_4arch9wavefront6targetE1EEEvT1_.kd
    .uniform_work_group_size: 1
    .uses_dynamic_stack: false
    .vgpr_count:     0
    .vgpr_spill_count: 0
    .wavefront_size: 64
  - .agpr_count:     0
    .args:
      - .offset:         0
        .size:           136
        .value_kind:     by_value
    .group_segment_fixed_size: 0
    .kernarg_segment_align: 8
    .kernarg_segment_size: 136
    .language:       OpenCL C
    .language_version:
      - 2
      - 0
    .max_flat_workgroup_size: 512
    .name:           _ZN7rocprim17ROCPRIM_400000_NS6detail17trampoline_kernelINS0_14default_configENS1_25partition_config_selectorILNS1_17partition_subalgoE8ElNS0_10empty_typeEbEEZZNS1_14partition_implILS5_8ELb0ES3_jPlPS6_PKS6_NS0_5tupleIJS9_S6_EEENSD_IJSA_SA_EEENS0_18inequality_wrapperIZN2at6native12_GLOBAL__N_124unique_dim_cuda_templateIdEESt5tupleIJNSH_6TensorESM_SM_EERKSM_lbbbEUlllE0_EEPmJS6_EEE10hipError_tPvRmT3_T4_T5_T6_T7_T9_mT8_P12ihipStream_tbDpT10_ENKUlT_T0_E_clISt17integral_constantIbLb1EES1C_EEDaS17_S18_EUlS17_E_NS1_11comp_targetILNS1_3genE9ELNS1_11target_archE1100ELNS1_3gpuE3ELNS1_3repE0EEENS1_30default_config_static_selectorELNS0_4arch9wavefront6targetE1EEEvT1_
    .private_segment_fixed_size: 0
    .sgpr_count:     6
    .sgpr_spill_count: 0
    .symbol:         _ZN7rocprim17ROCPRIM_400000_NS6detail17trampoline_kernelINS0_14default_configENS1_25partition_config_selectorILNS1_17partition_subalgoE8ElNS0_10empty_typeEbEEZZNS1_14partition_implILS5_8ELb0ES3_jPlPS6_PKS6_NS0_5tupleIJS9_S6_EEENSD_IJSA_SA_EEENS0_18inequality_wrapperIZN2at6native12_GLOBAL__N_124unique_dim_cuda_templateIdEESt5tupleIJNSH_6TensorESM_SM_EERKSM_lbbbEUlllE0_EEPmJS6_EEE10hipError_tPvRmT3_T4_T5_T6_T7_T9_mT8_P12ihipStream_tbDpT10_ENKUlT_T0_E_clISt17integral_constantIbLb1EES1C_EEDaS17_S18_EUlS17_E_NS1_11comp_targetILNS1_3genE9ELNS1_11target_archE1100ELNS1_3gpuE3ELNS1_3repE0EEENS1_30default_config_static_selectorELNS0_4arch9wavefront6targetE1EEEvT1_.kd
    .uniform_work_group_size: 1
    .uses_dynamic_stack: false
    .vgpr_count:     0
    .vgpr_spill_count: 0
    .wavefront_size: 64
  - .agpr_count:     0
    .args:
      - .offset:         0
        .size:           136
        .value_kind:     by_value
    .group_segment_fixed_size: 0
    .kernarg_segment_align: 8
    .kernarg_segment_size: 136
    .language:       OpenCL C
    .language_version:
      - 2
      - 0
    .max_flat_workgroup_size: 512
    .name:           _ZN7rocprim17ROCPRIM_400000_NS6detail17trampoline_kernelINS0_14default_configENS1_25partition_config_selectorILNS1_17partition_subalgoE8ElNS0_10empty_typeEbEEZZNS1_14partition_implILS5_8ELb0ES3_jPlPS6_PKS6_NS0_5tupleIJS9_S6_EEENSD_IJSA_SA_EEENS0_18inequality_wrapperIZN2at6native12_GLOBAL__N_124unique_dim_cuda_templateIdEESt5tupleIJNSH_6TensorESM_SM_EERKSM_lbbbEUlllE0_EEPmJS6_EEE10hipError_tPvRmT3_T4_T5_T6_T7_T9_mT8_P12ihipStream_tbDpT10_ENKUlT_T0_E_clISt17integral_constantIbLb1EES1C_EEDaS17_S18_EUlS17_E_NS1_11comp_targetILNS1_3genE8ELNS1_11target_archE1030ELNS1_3gpuE2ELNS1_3repE0EEENS1_30default_config_static_selectorELNS0_4arch9wavefront6targetE1EEEvT1_
    .private_segment_fixed_size: 0
    .sgpr_count:     6
    .sgpr_spill_count: 0
    .symbol:         _ZN7rocprim17ROCPRIM_400000_NS6detail17trampoline_kernelINS0_14default_configENS1_25partition_config_selectorILNS1_17partition_subalgoE8ElNS0_10empty_typeEbEEZZNS1_14partition_implILS5_8ELb0ES3_jPlPS6_PKS6_NS0_5tupleIJS9_S6_EEENSD_IJSA_SA_EEENS0_18inequality_wrapperIZN2at6native12_GLOBAL__N_124unique_dim_cuda_templateIdEESt5tupleIJNSH_6TensorESM_SM_EERKSM_lbbbEUlllE0_EEPmJS6_EEE10hipError_tPvRmT3_T4_T5_T6_T7_T9_mT8_P12ihipStream_tbDpT10_ENKUlT_T0_E_clISt17integral_constantIbLb1EES1C_EEDaS17_S18_EUlS17_E_NS1_11comp_targetILNS1_3genE8ELNS1_11target_archE1030ELNS1_3gpuE2ELNS1_3repE0EEENS1_30default_config_static_selectorELNS0_4arch9wavefront6targetE1EEEvT1_.kd
    .uniform_work_group_size: 1
    .uses_dynamic_stack: false
    .vgpr_count:     0
    .vgpr_spill_count: 0
    .wavefront_size: 64
  - .agpr_count:     0
    .args:
      - .offset:         0
        .size:           120
        .value_kind:     by_value
    .group_segment_fixed_size: 0
    .kernarg_segment_align: 8
    .kernarg_segment_size: 120
    .language:       OpenCL C
    .language_version:
      - 2
      - 0
    .max_flat_workgroup_size: 512
    .name:           _ZN7rocprim17ROCPRIM_400000_NS6detail17trampoline_kernelINS0_14default_configENS1_25partition_config_selectorILNS1_17partition_subalgoE8ElNS0_10empty_typeEbEEZZNS1_14partition_implILS5_8ELb0ES3_jPlPS6_PKS6_NS0_5tupleIJS9_S6_EEENSD_IJSA_SA_EEENS0_18inequality_wrapperIZN2at6native12_GLOBAL__N_124unique_dim_cuda_templateIdEESt5tupleIJNSH_6TensorESM_SM_EERKSM_lbbbEUlllE0_EEPmJS6_EEE10hipError_tPvRmT3_T4_T5_T6_T7_T9_mT8_P12ihipStream_tbDpT10_ENKUlT_T0_E_clISt17integral_constantIbLb1EES1B_IbLb0EEEEDaS17_S18_EUlS17_E_NS1_11comp_targetILNS1_3genE0ELNS1_11target_archE4294967295ELNS1_3gpuE0ELNS1_3repE0EEENS1_30default_config_static_selectorELNS0_4arch9wavefront6targetE1EEEvT1_
    .private_segment_fixed_size: 0
    .sgpr_count:     6
    .sgpr_spill_count: 0
    .symbol:         _ZN7rocprim17ROCPRIM_400000_NS6detail17trampoline_kernelINS0_14default_configENS1_25partition_config_selectorILNS1_17partition_subalgoE8ElNS0_10empty_typeEbEEZZNS1_14partition_implILS5_8ELb0ES3_jPlPS6_PKS6_NS0_5tupleIJS9_S6_EEENSD_IJSA_SA_EEENS0_18inequality_wrapperIZN2at6native12_GLOBAL__N_124unique_dim_cuda_templateIdEESt5tupleIJNSH_6TensorESM_SM_EERKSM_lbbbEUlllE0_EEPmJS6_EEE10hipError_tPvRmT3_T4_T5_T6_T7_T9_mT8_P12ihipStream_tbDpT10_ENKUlT_T0_E_clISt17integral_constantIbLb1EES1B_IbLb0EEEEDaS17_S18_EUlS17_E_NS1_11comp_targetILNS1_3genE0ELNS1_11target_archE4294967295ELNS1_3gpuE0ELNS1_3repE0EEENS1_30default_config_static_selectorELNS0_4arch9wavefront6targetE1EEEvT1_.kd
    .uniform_work_group_size: 1
    .uses_dynamic_stack: false
    .vgpr_count:     0
    .vgpr_spill_count: 0
    .wavefront_size: 64
  - .agpr_count:     0
    .args:
      - .offset:         0
        .size:           120
        .value_kind:     by_value
    .group_segment_fixed_size: 28684
    .kernarg_segment_align: 8
    .kernarg_segment_size: 120
    .language:       OpenCL C
    .language_version:
      - 2
      - 0
    .max_flat_workgroup_size: 512
    .name:           _ZN7rocprim17ROCPRIM_400000_NS6detail17trampoline_kernelINS0_14default_configENS1_25partition_config_selectorILNS1_17partition_subalgoE8ElNS0_10empty_typeEbEEZZNS1_14partition_implILS5_8ELb0ES3_jPlPS6_PKS6_NS0_5tupleIJS9_S6_EEENSD_IJSA_SA_EEENS0_18inequality_wrapperIZN2at6native12_GLOBAL__N_124unique_dim_cuda_templateIdEESt5tupleIJNSH_6TensorESM_SM_EERKSM_lbbbEUlllE0_EEPmJS6_EEE10hipError_tPvRmT3_T4_T5_T6_T7_T9_mT8_P12ihipStream_tbDpT10_ENKUlT_T0_E_clISt17integral_constantIbLb1EES1B_IbLb0EEEEDaS17_S18_EUlS17_E_NS1_11comp_targetILNS1_3genE5ELNS1_11target_archE942ELNS1_3gpuE9ELNS1_3repE0EEENS1_30default_config_static_selectorELNS0_4arch9wavefront6targetE1EEEvT1_
    .private_segment_fixed_size: 0
    .sgpr_count:     58
    .sgpr_spill_count: 0
    .symbol:         _ZN7rocprim17ROCPRIM_400000_NS6detail17trampoline_kernelINS0_14default_configENS1_25partition_config_selectorILNS1_17partition_subalgoE8ElNS0_10empty_typeEbEEZZNS1_14partition_implILS5_8ELb0ES3_jPlPS6_PKS6_NS0_5tupleIJS9_S6_EEENSD_IJSA_SA_EEENS0_18inequality_wrapperIZN2at6native12_GLOBAL__N_124unique_dim_cuda_templateIdEESt5tupleIJNSH_6TensorESM_SM_EERKSM_lbbbEUlllE0_EEPmJS6_EEE10hipError_tPvRmT3_T4_T5_T6_T7_T9_mT8_P12ihipStream_tbDpT10_ENKUlT_T0_E_clISt17integral_constantIbLb1EES1B_IbLb0EEEEDaS17_S18_EUlS17_E_NS1_11comp_targetILNS1_3genE5ELNS1_11target_archE942ELNS1_3gpuE9ELNS1_3repE0EEENS1_30default_config_static_selectorELNS0_4arch9wavefront6targetE1EEEvT1_.kd
    .uniform_work_group_size: 1
    .uses_dynamic_stack: false
    .vgpr_count:     52
    .vgpr_spill_count: 0
    .wavefront_size: 64
  - .agpr_count:     0
    .args:
      - .offset:         0
        .size:           120
        .value_kind:     by_value
    .group_segment_fixed_size: 0
    .kernarg_segment_align: 8
    .kernarg_segment_size: 120
    .language:       OpenCL C
    .language_version:
      - 2
      - 0
    .max_flat_workgroup_size: 256
    .name:           _ZN7rocprim17ROCPRIM_400000_NS6detail17trampoline_kernelINS0_14default_configENS1_25partition_config_selectorILNS1_17partition_subalgoE8ElNS0_10empty_typeEbEEZZNS1_14partition_implILS5_8ELb0ES3_jPlPS6_PKS6_NS0_5tupleIJS9_S6_EEENSD_IJSA_SA_EEENS0_18inequality_wrapperIZN2at6native12_GLOBAL__N_124unique_dim_cuda_templateIdEESt5tupleIJNSH_6TensorESM_SM_EERKSM_lbbbEUlllE0_EEPmJS6_EEE10hipError_tPvRmT3_T4_T5_T6_T7_T9_mT8_P12ihipStream_tbDpT10_ENKUlT_T0_E_clISt17integral_constantIbLb1EES1B_IbLb0EEEEDaS17_S18_EUlS17_E_NS1_11comp_targetILNS1_3genE4ELNS1_11target_archE910ELNS1_3gpuE8ELNS1_3repE0EEENS1_30default_config_static_selectorELNS0_4arch9wavefront6targetE1EEEvT1_
    .private_segment_fixed_size: 0
    .sgpr_count:     6
    .sgpr_spill_count: 0
    .symbol:         _ZN7rocprim17ROCPRIM_400000_NS6detail17trampoline_kernelINS0_14default_configENS1_25partition_config_selectorILNS1_17partition_subalgoE8ElNS0_10empty_typeEbEEZZNS1_14partition_implILS5_8ELb0ES3_jPlPS6_PKS6_NS0_5tupleIJS9_S6_EEENSD_IJSA_SA_EEENS0_18inequality_wrapperIZN2at6native12_GLOBAL__N_124unique_dim_cuda_templateIdEESt5tupleIJNSH_6TensorESM_SM_EERKSM_lbbbEUlllE0_EEPmJS6_EEE10hipError_tPvRmT3_T4_T5_T6_T7_T9_mT8_P12ihipStream_tbDpT10_ENKUlT_T0_E_clISt17integral_constantIbLb1EES1B_IbLb0EEEEDaS17_S18_EUlS17_E_NS1_11comp_targetILNS1_3genE4ELNS1_11target_archE910ELNS1_3gpuE8ELNS1_3repE0EEENS1_30default_config_static_selectorELNS0_4arch9wavefront6targetE1EEEvT1_.kd
    .uniform_work_group_size: 1
    .uses_dynamic_stack: false
    .vgpr_count:     0
    .vgpr_spill_count: 0
    .wavefront_size: 64
  - .agpr_count:     0
    .args:
      - .offset:         0
        .size:           120
        .value_kind:     by_value
    .group_segment_fixed_size: 0
    .kernarg_segment_align: 8
    .kernarg_segment_size: 120
    .language:       OpenCL C
    .language_version:
      - 2
      - 0
    .max_flat_workgroup_size: 512
    .name:           _ZN7rocprim17ROCPRIM_400000_NS6detail17trampoline_kernelINS0_14default_configENS1_25partition_config_selectorILNS1_17partition_subalgoE8ElNS0_10empty_typeEbEEZZNS1_14partition_implILS5_8ELb0ES3_jPlPS6_PKS6_NS0_5tupleIJS9_S6_EEENSD_IJSA_SA_EEENS0_18inequality_wrapperIZN2at6native12_GLOBAL__N_124unique_dim_cuda_templateIdEESt5tupleIJNSH_6TensorESM_SM_EERKSM_lbbbEUlllE0_EEPmJS6_EEE10hipError_tPvRmT3_T4_T5_T6_T7_T9_mT8_P12ihipStream_tbDpT10_ENKUlT_T0_E_clISt17integral_constantIbLb1EES1B_IbLb0EEEEDaS17_S18_EUlS17_E_NS1_11comp_targetILNS1_3genE3ELNS1_11target_archE908ELNS1_3gpuE7ELNS1_3repE0EEENS1_30default_config_static_selectorELNS0_4arch9wavefront6targetE1EEEvT1_
    .private_segment_fixed_size: 0
    .sgpr_count:     6
    .sgpr_spill_count: 0
    .symbol:         _ZN7rocprim17ROCPRIM_400000_NS6detail17trampoline_kernelINS0_14default_configENS1_25partition_config_selectorILNS1_17partition_subalgoE8ElNS0_10empty_typeEbEEZZNS1_14partition_implILS5_8ELb0ES3_jPlPS6_PKS6_NS0_5tupleIJS9_S6_EEENSD_IJSA_SA_EEENS0_18inequality_wrapperIZN2at6native12_GLOBAL__N_124unique_dim_cuda_templateIdEESt5tupleIJNSH_6TensorESM_SM_EERKSM_lbbbEUlllE0_EEPmJS6_EEE10hipError_tPvRmT3_T4_T5_T6_T7_T9_mT8_P12ihipStream_tbDpT10_ENKUlT_T0_E_clISt17integral_constantIbLb1EES1B_IbLb0EEEEDaS17_S18_EUlS17_E_NS1_11comp_targetILNS1_3genE3ELNS1_11target_archE908ELNS1_3gpuE7ELNS1_3repE0EEENS1_30default_config_static_selectorELNS0_4arch9wavefront6targetE1EEEvT1_.kd
    .uniform_work_group_size: 1
    .uses_dynamic_stack: false
    .vgpr_count:     0
    .vgpr_spill_count: 0
    .wavefront_size: 64
  - .agpr_count:     0
    .args:
      - .offset:         0
        .size:           120
        .value_kind:     by_value
    .group_segment_fixed_size: 0
    .kernarg_segment_align: 8
    .kernarg_segment_size: 120
    .language:       OpenCL C
    .language_version:
      - 2
      - 0
    .max_flat_workgroup_size: 256
    .name:           _ZN7rocprim17ROCPRIM_400000_NS6detail17trampoline_kernelINS0_14default_configENS1_25partition_config_selectorILNS1_17partition_subalgoE8ElNS0_10empty_typeEbEEZZNS1_14partition_implILS5_8ELb0ES3_jPlPS6_PKS6_NS0_5tupleIJS9_S6_EEENSD_IJSA_SA_EEENS0_18inequality_wrapperIZN2at6native12_GLOBAL__N_124unique_dim_cuda_templateIdEESt5tupleIJNSH_6TensorESM_SM_EERKSM_lbbbEUlllE0_EEPmJS6_EEE10hipError_tPvRmT3_T4_T5_T6_T7_T9_mT8_P12ihipStream_tbDpT10_ENKUlT_T0_E_clISt17integral_constantIbLb1EES1B_IbLb0EEEEDaS17_S18_EUlS17_E_NS1_11comp_targetILNS1_3genE2ELNS1_11target_archE906ELNS1_3gpuE6ELNS1_3repE0EEENS1_30default_config_static_selectorELNS0_4arch9wavefront6targetE1EEEvT1_
    .private_segment_fixed_size: 0
    .sgpr_count:     6
    .sgpr_spill_count: 0
    .symbol:         _ZN7rocprim17ROCPRIM_400000_NS6detail17trampoline_kernelINS0_14default_configENS1_25partition_config_selectorILNS1_17partition_subalgoE8ElNS0_10empty_typeEbEEZZNS1_14partition_implILS5_8ELb0ES3_jPlPS6_PKS6_NS0_5tupleIJS9_S6_EEENSD_IJSA_SA_EEENS0_18inequality_wrapperIZN2at6native12_GLOBAL__N_124unique_dim_cuda_templateIdEESt5tupleIJNSH_6TensorESM_SM_EERKSM_lbbbEUlllE0_EEPmJS6_EEE10hipError_tPvRmT3_T4_T5_T6_T7_T9_mT8_P12ihipStream_tbDpT10_ENKUlT_T0_E_clISt17integral_constantIbLb1EES1B_IbLb0EEEEDaS17_S18_EUlS17_E_NS1_11comp_targetILNS1_3genE2ELNS1_11target_archE906ELNS1_3gpuE6ELNS1_3repE0EEENS1_30default_config_static_selectorELNS0_4arch9wavefront6targetE1EEEvT1_.kd
    .uniform_work_group_size: 1
    .uses_dynamic_stack: false
    .vgpr_count:     0
    .vgpr_spill_count: 0
    .wavefront_size: 64
  - .agpr_count:     0
    .args:
      - .offset:         0
        .size:           120
        .value_kind:     by_value
    .group_segment_fixed_size: 0
    .kernarg_segment_align: 8
    .kernarg_segment_size: 120
    .language:       OpenCL C
    .language_version:
      - 2
      - 0
    .max_flat_workgroup_size: 384
    .name:           _ZN7rocprim17ROCPRIM_400000_NS6detail17trampoline_kernelINS0_14default_configENS1_25partition_config_selectorILNS1_17partition_subalgoE8ElNS0_10empty_typeEbEEZZNS1_14partition_implILS5_8ELb0ES3_jPlPS6_PKS6_NS0_5tupleIJS9_S6_EEENSD_IJSA_SA_EEENS0_18inequality_wrapperIZN2at6native12_GLOBAL__N_124unique_dim_cuda_templateIdEESt5tupleIJNSH_6TensorESM_SM_EERKSM_lbbbEUlllE0_EEPmJS6_EEE10hipError_tPvRmT3_T4_T5_T6_T7_T9_mT8_P12ihipStream_tbDpT10_ENKUlT_T0_E_clISt17integral_constantIbLb1EES1B_IbLb0EEEEDaS17_S18_EUlS17_E_NS1_11comp_targetILNS1_3genE10ELNS1_11target_archE1200ELNS1_3gpuE4ELNS1_3repE0EEENS1_30default_config_static_selectorELNS0_4arch9wavefront6targetE1EEEvT1_
    .private_segment_fixed_size: 0
    .sgpr_count:     6
    .sgpr_spill_count: 0
    .symbol:         _ZN7rocprim17ROCPRIM_400000_NS6detail17trampoline_kernelINS0_14default_configENS1_25partition_config_selectorILNS1_17partition_subalgoE8ElNS0_10empty_typeEbEEZZNS1_14partition_implILS5_8ELb0ES3_jPlPS6_PKS6_NS0_5tupleIJS9_S6_EEENSD_IJSA_SA_EEENS0_18inequality_wrapperIZN2at6native12_GLOBAL__N_124unique_dim_cuda_templateIdEESt5tupleIJNSH_6TensorESM_SM_EERKSM_lbbbEUlllE0_EEPmJS6_EEE10hipError_tPvRmT3_T4_T5_T6_T7_T9_mT8_P12ihipStream_tbDpT10_ENKUlT_T0_E_clISt17integral_constantIbLb1EES1B_IbLb0EEEEDaS17_S18_EUlS17_E_NS1_11comp_targetILNS1_3genE10ELNS1_11target_archE1200ELNS1_3gpuE4ELNS1_3repE0EEENS1_30default_config_static_selectorELNS0_4arch9wavefront6targetE1EEEvT1_.kd
    .uniform_work_group_size: 1
    .uses_dynamic_stack: false
    .vgpr_count:     0
    .vgpr_spill_count: 0
    .wavefront_size: 64
  - .agpr_count:     0
    .args:
      - .offset:         0
        .size:           120
        .value_kind:     by_value
    .group_segment_fixed_size: 0
    .kernarg_segment_align: 8
    .kernarg_segment_size: 120
    .language:       OpenCL C
    .language_version:
      - 2
      - 0
    .max_flat_workgroup_size: 512
    .name:           _ZN7rocprim17ROCPRIM_400000_NS6detail17trampoline_kernelINS0_14default_configENS1_25partition_config_selectorILNS1_17partition_subalgoE8ElNS0_10empty_typeEbEEZZNS1_14partition_implILS5_8ELb0ES3_jPlPS6_PKS6_NS0_5tupleIJS9_S6_EEENSD_IJSA_SA_EEENS0_18inequality_wrapperIZN2at6native12_GLOBAL__N_124unique_dim_cuda_templateIdEESt5tupleIJNSH_6TensorESM_SM_EERKSM_lbbbEUlllE0_EEPmJS6_EEE10hipError_tPvRmT3_T4_T5_T6_T7_T9_mT8_P12ihipStream_tbDpT10_ENKUlT_T0_E_clISt17integral_constantIbLb1EES1B_IbLb0EEEEDaS17_S18_EUlS17_E_NS1_11comp_targetILNS1_3genE9ELNS1_11target_archE1100ELNS1_3gpuE3ELNS1_3repE0EEENS1_30default_config_static_selectorELNS0_4arch9wavefront6targetE1EEEvT1_
    .private_segment_fixed_size: 0
    .sgpr_count:     6
    .sgpr_spill_count: 0
    .symbol:         _ZN7rocprim17ROCPRIM_400000_NS6detail17trampoline_kernelINS0_14default_configENS1_25partition_config_selectorILNS1_17partition_subalgoE8ElNS0_10empty_typeEbEEZZNS1_14partition_implILS5_8ELb0ES3_jPlPS6_PKS6_NS0_5tupleIJS9_S6_EEENSD_IJSA_SA_EEENS0_18inequality_wrapperIZN2at6native12_GLOBAL__N_124unique_dim_cuda_templateIdEESt5tupleIJNSH_6TensorESM_SM_EERKSM_lbbbEUlllE0_EEPmJS6_EEE10hipError_tPvRmT3_T4_T5_T6_T7_T9_mT8_P12ihipStream_tbDpT10_ENKUlT_T0_E_clISt17integral_constantIbLb1EES1B_IbLb0EEEEDaS17_S18_EUlS17_E_NS1_11comp_targetILNS1_3genE9ELNS1_11target_archE1100ELNS1_3gpuE3ELNS1_3repE0EEENS1_30default_config_static_selectorELNS0_4arch9wavefront6targetE1EEEvT1_.kd
    .uniform_work_group_size: 1
    .uses_dynamic_stack: false
    .vgpr_count:     0
    .vgpr_spill_count: 0
    .wavefront_size: 64
  - .agpr_count:     0
    .args:
      - .offset:         0
        .size:           120
        .value_kind:     by_value
    .group_segment_fixed_size: 0
    .kernarg_segment_align: 8
    .kernarg_segment_size: 120
    .language:       OpenCL C
    .language_version:
      - 2
      - 0
    .max_flat_workgroup_size: 512
    .name:           _ZN7rocprim17ROCPRIM_400000_NS6detail17trampoline_kernelINS0_14default_configENS1_25partition_config_selectorILNS1_17partition_subalgoE8ElNS0_10empty_typeEbEEZZNS1_14partition_implILS5_8ELb0ES3_jPlPS6_PKS6_NS0_5tupleIJS9_S6_EEENSD_IJSA_SA_EEENS0_18inequality_wrapperIZN2at6native12_GLOBAL__N_124unique_dim_cuda_templateIdEESt5tupleIJNSH_6TensorESM_SM_EERKSM_lbbbEUlllE0_EEPmJS6_EEE10hipError_tPvRmT3_T4_T5_T6_T7_T9_mT8_P12ihipStream_tbDpT10_ENKUlT_T0_E_clISt17integral_constantIbLb1EES1B_IbLb0EEEEDaS17_S18_EUlS17_E_NS1_11comp_targetILNS1_3genE8ELNS1_11target_archE1030ELNS1_3gpuE2ELNS1_3repE0EEENS1_30default_config_static_selectorELNS0_4arch9wavefront6targetE1EEEvT1_
    .private_segment_fixed_size: 0
    .sgpr_count:     6
    .sgpr_spill_count: 0
    .symbol:         _ZN7rocprim17ROCPRIM_400000_NS6detail17trampoline_kernelINS0_14default_configENS1_25partition_config_selectorILNS1_17partition_subalgoE8ElNS0_10empty_typeEbEEZZNS1_14partition_implILS5_8ELb0ES3_jPlPS6_PKS6_NS0_5tupleIJS9_S6_EEENSD_IJSA_SA_EEENS0_18inequality_wrapperIZN2at6native12_GLOBAL__N_124unique_dim_cuda_templateIdEESt5tupleIJNSH_6TensorESM_SM_EERKSM_lbbbEUlllE0_EEPmJS6_EEE10hipError_tPvRmT3_T4_T5_T6_T7_T9_mT8_P12ihipStream_tbDpT10_ENKUlT_T0_E_clISt17integral_constantIbLb1EES1B_IbLb0EEEEDaS17_S18_EUlS17_E_NS1_11comp_targetILNS1_3genE8ELNS1_11target_archE1030ELNS1_3gpuE2ELNS1_3repE0EEENS1_30default_config_static_selectorELNS0_4arch9wavefront6targetE1EEEvT1_.kd
    .uniform_work_group_size: 1
    .uses_dynamic_stack: false
    .vgpr_count:     0
    .vgpr_spill_count: 0
    .wavefront_size: 64
  - .agpr_count:     0
    .args:
      - .offset:         0
        .size:           136
        .value_kind:     by_value
    .group_segment_fixed_size: 0
    .kernarg_segment_align: 8
    .kernarg_segment_size: 136
    .language:       OpenCL C
    .language_version:
      - 2
      - 0
    .max_flat_workgroup_size: 512
    .name:           _ZN7rocprim17ROCPRIM_400000_NS6detail17trampoline_kernelINS0_14default_configENS1_25partition_config_selectorILNS1_17partition_subalgoE8ElNS0_10empty_typeEbEEZZNS1_14partition_implILS5_8ELb0ES3_jPlPS6_PKS6_NS0_5tupleIJS9_S6_EEENSD_IJSA_SA_EEENS0_18inequality_wrapperIZN2at6native12_GLOBAL__N_124unique_dim_cuda_templateIdEESt5tupleIJNSH_6TensorESM_SM_EERKSM_lbbbEUlllE0_EEPmJS6_EEE10hipError_tPvRmT3_T4_T5_T6_T7_T9_mT8_P12ihipStream_tbDpT10_ENKUlT_T0_E_clISt17integral_constantIbLb0EES1B_IbLb1EEEEDaS17_S18_EUlS17_E_NS1_11comp_targetILNS1_3genE0ELNS1_11target_archE4294967295ELNS1_3gpuE0ELNS1_3repE0EEENS1_30default_config_static_selectorELNS0_4arch9wavefront6targetE1EEEvT1_
    .private_segment_fixed_size: 0
    .sgpr_count:     6
    .sgpr_spill_count: 0
    .symbol:         _ZN7rocprim17ROCPRIM_400000_NS6detail17trampoline_kernelINS0_14default_configENS1_25partition_config_selectorILNS1_17partition_subalgoE8ElNS0_10empty_typeEbEEZZNS1_14partition_implILS5_8ELb0ES3_jPlPS6_PKS6_NS0_5tupleIJS9_S6_EEENSD_IJSA_SA_EEENS0_18inequality_wrapperIZN2at6native12_GLOBAL__N_124unique_dim_cuda_templateIdEESt5tupleIJNSH_6TensorESM_SM_EERKSM_lbbbEUlllE0_EEPmJS6_EEE10hipError_tPvRmT3_T4_T5_T6_T7_T9_mT8_P12ihipStream_tbDpT10_ENKUlT_T0_E_clISt17integral_constantIbLb0EES1B_IbLb1EEEEDaS17_S18_EUlS17_E_NS1_11comp_targetILNS1_3genE0ELNS1_11target_archE4294967295ELNS1_3gpuE0ELNS1_3repE0EEENS1_30default_config_static_selectorELNS0_4arch9wavefront6targetE1EEEvT1_.kd
    .uniform_work_group_size: 1
    .uses_dynamic_stack: false
    .vgpr_count:     0
    .vgpr_spill_count: 0
    .wavefront_size: 64
  - .agpr_count:     0
    .args:
      - .offset:         0
        .size:           136
        .value_kind:     by_value
    .group_segment_fixed_size: 28684
    .kernarg_segment_align: 8
    .kernarg_segment_size: 136
    .language:       OpenCL C
    .language_version:
      - 2
      - 0
    .max_flat_workgroup_size: 512
    .name:           _ZN7rocprim17ROCPRIM_400000_NS6detail17trampoline_kernelINS0_14default_configENS1_25partition_config_selectorILNS1_17partition_subalgoE8ElNS0_10empty_typeEbEEZZNS1_14partition_implILS5_8ELb0ES3_jPlPS6_PKS6_NS0_5tupleIJS9_S6_EEENSD_IJSA_SA_EEENS0_18inequality_wrapperIZN2at6native12_GLOBAL__N_124unique_dim_cuda_templateIdEESt5tupleIJNSH_6TensorESM_SM_EERKSM_lbbbEUlllE0_EEPmJS6_EEE10hipError_tPvRmT3_T4_T5_T6_T7_T9_mT8_P12ihipStream_tbDpT10_ENKUlT_T0_E_clISt17integral_constantIbLb0EES1B_IbLb1EEEEDaS17_S18_EUlS17_E_NS1_11comp_targetILNS1_3genE5ELNS1_11target_archE942ELNS1_3gpuE9ELNS1_3repE0EEENS1_30default_config_static_selectorELNS0_4arch9wavefront6targetE1EEEvT1_
    .private_segment_fixed_size: 0
    .sgpr_count:     62
    .sgpr_spill_count: 0
    .symbol:         _ZN7rocprim17ROCPRIM_400000_NS6detail17trampoline_kernelINS0_14default_configENS1_25partition_config_selectorILNS1_17partition_subalgoE8ElNS0_10empty_typeEbEEZZNS1_14partition_implILS5_8ELb0ES3_jPlPS6_PKS6_NS0_5tupleIJS9_S6_EEENSD_IJSA_SA_EEENS0_18inequality_wrapperIZN2at6native12_GLOBAL__N_124unique_dim_cuda_templateIdEESt5tupleIJNSH_6TensorESM_SM_EERKSM_lbbbEUlllE0_EEPmJS6_EEE10hipError_tPvRmT3_T4_T5_T6_T7_T9_mT8_P12ihipStream_tbDpT10_ENKUlT_T0_E_clISt17integral_constantIbLb0EES1B_IbLb1EEEEDaS17_S18_EUlS17_E_NS1_11comp_targetILNS1_3genE5ELNS1_11target_archE942ELNS1_3gpuE9ELNS1_3repE0EEENS1_30default_config_static_selectorELNS0_4arch9wavefront6targetE1EEEvT1_.kd
    .uniform_work_group_size: 1
    .uses_dynamic_stack: false
    .vgpr_count:     52
    .vgpr_spill_count: 0
    .wavefront_size: 64
  - .agpr_count:     0
    .args:
      - .offset:         0
        .size:           136
        .value_kind:     by_value
    .group_segment_fixed_size: 0
    .kernarg_segment_align: 8
    .kernarg_segment_size: 136
    .language:       OpenCL C
    .language_version:
      - 2
      - 0
    .max_flat_workgroup_size: 256
    .name:           _ZN7rocprim17ROCPRIM_400000_NS6detail17trampoline_kernelINS0_14default_configENS1_25partition_config_selectorILNS1_17partition_subalgoE8ElNS0_10empty_typeEbEEZZNS1_14partition_implILS5_8ELb0ES3_jPlPS6_PKS6_NS0_5tupleIJS9_S6_EEENSD_IJSA_SA_EEENS0_18inequality_wrapperIZN2at6native12_GLOBAL__N_124unique_dim_cuda_templateIdEESt5tupleIJNSH_6TensorESM_SM_EERKSM_lbbbEUlllE0_EEPmJS6_EEE10hipError_tPvRmT3_T4_T5_T6_T7_T9_mT8_P12ihipStream_tbDpT10_ENKUlT_T0_E_clISt17integral_constantIbLb0EES1B_IbLb1EEEEDaS17_S18_EUlS17_E_NS1_11comp_targetILNS1_3genE4ELNS1_11target_archE910ELNS1_3gpuE8ELNS1_3repE0EEENS1_30default_config_static_selectorELNS0_4arch9wavefront6targetE1EEEvT1_
    .private_segment_fixed_size: 0
    .sgpr_count:     6
    .sgpr_spill_count: 0
    .symbol:         _ZN7rocprim17ROCPRIM_400000_NS6detail17trampoline_kernelINS0_14default_configENS1_25partition_config_selectorILNS1_17partition_subalgoE8ElNS0_10empty_typeEbEEZZNS1_14partition_implILS5_8ELb0ES3_jPlPS6_PKS6_NS0_5tupleIJS9_S6_EEENSD_IJSA_SA_EEENS0_18inequality_wrapperIZN2at6native12_GLOBAL__N_124unique_dim_cuda_templateIdEESt5tupleIJNSH_6TensorESM_SM_EERKSM_lbbbEUlllE0_EEPmJS6_EEE10hipError_tPvRmT3_T4_T5_T6_T7_T9_mT8_P12ihipStream_tbDpT10_ENKUlT_T0_E_clISt17integral_constantIbLb0EES1B_IbLb1EEEEDaS17_S18_EUlS17_E_NS1_11comp_targetILNS1_3genE4ELNS1_11target_archE910ELNS1_3gpuE8ELNS1_3repE0EEENS1_30default_config_static_selectorELNS0_4arch9wavefront6targetE1EEEvT1_.kd
    .uniform_work_group_size: 1
    .uses_dynamic_stack: false
    .vgpr_count:     0
    .vgpr_spill_count: 0
    .wavefront_size: 64
  - .agpr_count:     0
    .args:
      - .offset:         0
        .size:           136
        .value_kind:     by_value
    .group_segment_fixed_size: 0
    .kernarg_segment_align: 8
    .kernarg_segment_size: 136
    .language:       OpenCL C
    .language_version:
      - 2
      - 0
    .max_flat_workgroup_size: 512
    .name:           _ZN7rocprim17ROCPRIM_400000_NS6detail17trampoline_kernelINS0_14default_configENS1_25partition_config_selectorILNS1_17partition_subalgoE8ElNS0_10empty_typeEbEEZZNS1_14partition_implILS5_8ELb0ES3_jPlPS6_PKS6_NS0_5tupleIJS9_S6_EEENSD_IJSA_SA_EEENS0_18inequality_wrapperIZN2at6native12_GLOBAL__N_124unique_dim_cuda_templateIdEESt5tupleIJNSH_6TensorESM_SM_EERKSM_lbbbEUlllE0_EEPmJS6_EEE10hipError_tPvRmT3_T4_T5_T6_T7_T9_mT8_P12ihipStream_tbDpT10_ENKUlT_T0_E_clISt17integral_constantIbLb0EES1B_IbLb1EEEEDaS17_S18_EUlS17_E_NS1_11comp_targetILNS1_3genE3ELNS1_11target_archE908ELNS1_3gpuE7ELNS1_3repE0EEENS1_30default_config_static_selectorELNS0_4arch9wavefront6targetE1EEEvT1_
    .private_segment_fixed_size: 0
    .sgpr_count:     6
    .sgpr_spill_count: 0
    .symbol:         _ZN7rocprim17ROCPRIM_400000_NS6detail17trampoline_kernelINS0_14default_configENS1_25partition_config_selectorILNS1_17partition_subalgoE8ElNS0_10empty_typeEbEEZZNS1_14partition_implILS5_8ELb0ES3_jPlPS6_PKS6_NS0_5tupleIJS9_S6_EEENSD_IJSA_SA_EEENS0_18inequality_wrapperIZN2at6native12_GLOBAL__N_124unique_dim_cuda_templateIdEESt5tupleIJNSH_6TensorESM_SM_EERKSM_lbbbEUlllE0_EEPmJS6_EEE10hipError_tPvRmT3_T4_T5_T6_T7_T9_mT8_P12ihipStream_tbDpT10_ENKUlT_T0_E_clISt17integral_constantIbLb0EES1B_IbLb1EEEEDaS17_S18_EUlS17_E_NS1_11comp_targetILNS1_3genE3ELNS1_11target_archE908ELNS1_3gpuE7ELNS1_3repE0EEENS1_30default_config_static_selectorELNS0_4arch9wavefront6targetE1EEEvT1_.kd
    .uniform_work_group_size: 1
    .uses_dynamic_stack: false
    .vgpr_count:     0
    .vgpr_spill_count: 0
    .wavefront_size: 64
  - .agpr_count:     0
    .args:
      - .offset:         0
        .size:           136
        .value_kind:     by_value
    .group_segment_fixed_size: 0
    .kernarg_segment_align: 8
    .kernarg_segment_size: 136
    .language:       OpenCL C
    .language_version:
      - 2
      - 0
    .max_flat_workgroup_size: 256
    .name:           _ZN7rocprim17ROCPRIM_400000_NS6detail17trampoline_kernelINS0_14default_configENS1_25partition_config_selectorILNS1_17partition_subalgoE8ElNS0_10empty_typeEbEEZZNS1_14partition_implILS5_8ELb0ES3_jPlPS6_PKS6_NS0_5tupleIJS9_S6_EEENSD_IJSA_SA_EEENS0_18inequality_wrapperIZN2at6native12_GLOBAL__N_124unique_dim_cuda_templateIdEESt5tupleIJNSH_6TensorESM_SM_EERKSM_lbbbEUlllE0_EEPmJS6_EEE10hipError_tPvRmT3_T4_T5_T6_T7_T9_mT8_P12ihipStream_tbDpT10_ENKUlT_T0_E_clISt17integral_constantIbLb0EES1B_IbLb1EEEEDaS17_S18_EUlS17_E_NS1_11comp_targetILNS1_3genE2ELNS1_11target_archE906ELNS1_3gpuE6ELNS1_3repE0EEENS1_30default_config_static_selectorELNS0_4arch9wavefront6targetE1EEEvT1_
    .private_segment_fixed_size: 0
    .sgpr_count:     6
    .sgpr_spill_count: 0
    .symbol:         _ZN7rocprim17ROCPRIM_400000_NS6detail17trampoline_kernelINS0_14default_configENS1_25partition_config_selectorILNS1_17partition_subalgoE8ElNS0_10empty_typeEbEEZZNS1_14partition_implILS5_8ELb0ES3_jPlPS6_PKS6_NS0_5tupleIJS9_S6_EEENSD_IJSA_SA_EEENS0_18inequality_wrapperIZN2at6native12_GLOBAL__N_124unique_dim_cuda_templateIdEESt5tupleIJNSH_6TensorESM_SM_EERKSM_lbbbEUlllE0_EEPmJS6_EEE10hipError_tPvRmT3_T4_T5_T6_T7_T9_mT8_P12ihipStream_tbDpT10_ENKUlT_T0_E_clISt17integral_constantIbLb0EES1B_IbLb1EEEEDaS17_S18_EUlS17_E_NS1_11comp_targetILNS1_3genE2ELNS1_11target_archE906ELNS1_3gpuE6ELNS1_3repE0EEENS1_30default_config_static_selectorELNS0_4arch9wavefront6targetE1EEEvT1_.kd
    .uniform_work_group_size: 1
    .uses_dynamic_stack: false
    .vgpr_count:     0
    .vgpr_spill_count: 0
    .wavefront_size: 64
  - .agpr_count:     0
    .args:
      - .offset:         0
        .size:           136
        .value_kind:     by_value
    .group_segment_fixed_size: 0
    .kernarg_segment_align: 8
    .kernarg_segment_size: 136
    .language:       OpenCL C
    .language_version:
      - 2
      - 0
    .max_flat_workgroup_size: 384
    .name:           _ZN7rocprim17ROCPRIM_400000_NS6detail17trampoline_kernelINS0_14default_configENS1_25partition_config_selectorILNS1_17partition_subalgoE8ElNS0_10empty_typeEbEEZZNS1_14partition_implILS5_8ELb0ES3_jPlPS6_PKS6_NS0_5tupleIJS9_S6_EEENSD_IJSA_SA_EEENS0_18inequality_wrapperIZN2at6native12_GLOBAL__N_124unique_dim_cuda_templateIdEESt5tupleIJNSH_6TensorESM_SM_EERKSM_lbbbEUlllE0_EEPmJS6_EEE10hipError_tPvRmT3_T4_T5_T6_T7_T9_mT8_P12ihipStream_tbDpT10_ENKUlT_T0_E_clISt17integral_constantIbLb0EES1B_IbLb1EEEEDaS17_S18_EUlS17_E_NS1_11comp_targetILNS1_3genE10ELNS1_11target_archE1200ELNS1_3gpuE4ELNS1_3repE0EEENS1_30default_config_static_selectorELNS0_4arch9wavefront6targetE1EEEvT1_
    .private_segment_fixed_size: 0
    .sgpr_count:     6
    .sgpr_spill_count: 0
    .symbol:         _ZN7rocprim17ROCPRIM_400000_NS6detail17trampoline_kernelINS0_14default_configENS1_25partition_config_selectorILNS1_17partition_subalgoE8ElNS0_10empty_typeEbEEZZNS1_14partition_implILS5_8ELb0ES3_jPlPS6_PKS6_NS0_5tupleIJS9_S6_EEENSD_IJSA_SA_EEENS0_18inequality_wrapperIZN2at6native12_GLOBAL__N_124unique_dim_cuda_templateIdEESt5tupleIJNSH_6TensorESM_SM_EERKSM_lbbbEUlllE0_EEPmJS6_EEE10hipError_tPvRmT3_T4_T5_T6_T7_T9_mT8_P12ihipStream_tbDpT10_ENKUlT_T0_E_clISt17integral_constantIbLb0EES1B_IbLb1EEEEDaS17_S18_EUlS17_E_NS1_11comp_targetILNS1_3genE10ELNS1_11target_archE1200ELNS1_3gpuE4ELNS1_3repE0EEENS1_30default_config_static_selectorELNS0_4arch9wavefront6targetE1EEEvT1_.kd
    .uniform_work_group_size: 1
    .uses_dynamic_stack: false
    .vgpr_count:     0
    .vgpr_spill_count: 0
    .wavefront_size: 64
  - .agpr_count:     0
    .args:
      - .offset:         0
        .size:           136
        .value_kind:     by_value
    .group_segment_fixed_size: 0
    .kernarg_segment_align: 8
    .kernarg_segment_size: 136
    .language:       OpenCL C
    .language_version:
      - 2
      - 0
    .max_flat_workgroup_size: 512
    .name:           _ZN7rocprim17ROCPRIM_400000_NS6detail17trampoline_kernelINS0_14default_configENS1_25partition_config_selectorILNS1_17partition_subalgoE8ElNS0_10empty_typeEbEEZZNS1_14partition_implILS5_8ELb0ES3_jPlPS6_PKS6_NS0_5tupleIJS9_S6_EEENSD_IJSA_SA_EEENS0_18inequality_wrapperIZN2at6native12_GLOBAL__N_124unique_dim_cuda_templateIdEESt5tupleIJNSH_6TensorESM_SM_EERKSM_lbbbEUlllE0_EEPmJS6_EEE10hipError_tPvRmT3_T4_T5_T6_T7_T9_mT8_P12ihipStream_tbDpT10_ENKUlT_T0_E_clISt17integral_constantIbLb0EES1B_IbLb1EEEEDaS17_S18_EUlS17_E_NS1_11comp_targetILNS1_3genE9ELNS1_11target_archE1100ELNS1_3gpuE3ELNS1_3repE0EEENS1_30default_config_static_selectorELNS0_4arch9wavefront6targetE1EEEvT1_
    .private_segment_fixed_size: 0
    .sgpr_count:     6
    .sgpr_spill_count: 0
    .symbol:         _ZN7rocprim17ROCPRIM_400000_NS6detail17trampoline_kernelINS0_14default_configENS1_25partition_config_selectorILNS1_17partition_subalgoE8ElNS0_10empty_typeEbEEZZNS1_14partition_implILS5_8ELb0ES3_jPlPS6_PKS6_NS0_5tupleIJS9_S6_EEENSD_IJSA_SA_EEENS0_18inequality_wrapperIZN2at6native12_GLOBAL__N_124unique_dim_cuda_templateIdEESt5tupleIJNSH_6TensorESM_SM_EERKSM_lbbbEUlllE0_EEPmJS6_EEE10hipError_tPvRmT3_T4_T5_T6_T7_T9_mT8_P12ihipStream_tbDpT10_ENKUlT_T0_E_clISt17integral_constantIbLb0EES1B_IbLb1EEEEDaS17_S18_EUlS17_E_NS1_11comp_targetILNS1_3genE9ELNS1_11target_archE1100ELNS1_3gpuE3ELNS1_3repE0EEENS1_30default_config_static_selectorELNS0_4arch9wavefront6targetE1EEEvT1_.kd
    .uniform_work_group_size: 1
    .uses_dynamic_stack: false
    .vgpr_count:     0
    .vgpr_spill_count: 0
    .wavefront_size: 64
  - .agpr_count:     0
    .args:
      - .offset:         0
        .size:           136
        .value_kind:     by_value
    .group_segment_fixed_size: 0
    .kernarg_segment_align: 8
    .kernarg_segment_size: 136
    .language:       OpenCL C
    .language_version:
      - 2
      - 0
    .max_flat_workgroup_size: 512
    .name:           _ZN7rocprim17ROCPRIM_400000_NS6detail17trampoline_kernelINS0_14default_configENS1_25partition_config_selectorILNS1_17partition_subalgoE8ElNS0_10empty_typeEbEEZZNS1_14partition_implILS5_8ELb0ES3_jPlPS6_PKS6_NS0_5tupleIJS9_S6_EEENSD_IJSA_SA_EEENS0_18inequality_wrapperIZN2at6native12_GLOBAL__N_124unique_dim_cuda_templateIdEESt5tupleIJNSH_6TensorESM_SM_EERKSM_lbbbEUlllE0_EEPmJS6_EEE10hipError_tPvRmT3_T4_T5_T6_T7_T9_mT8_P12ihipStream_tbDpT10_ENKUlT_T0_E_clISt17integral_constantIbLb0EES1B_IbLb1EEEEDaS17_S18_EUlS17_E_NS1_11comp_targetILNS1_3genE8ELNS1_11target_archE1030ELNS1_3gpuE2ELNS1_3repE0EEENS1_30default_config_static_selectorELNS0_4arch9wavefront6targetE1EEEvT1_
    .private_segment_fixed_size: 0
    .sgpr_count:     6
    .sgpr_spill_count: 0
    .symbol:         _ZN7rocprim17ROCPRIM_400000_NS6detail17trampoline_kernelINS0_14default_configENS1_25partition_config_selectorILNS1_17partition_subalgoE8ElNS0_10empty_typeEbEEZZNS1_14partition_implILS5_8ELb0ES3_jPlPS6_PKS6_NS0_5tupleIJS9_S6_EEENSD_IJSA_SA_EEENS0_18inequality_wrapperIZN2at6native12_GLOBAL__N_124unique_dim_cuda_templateIdEESt5tupleIJNSH_6TensorESM_SM_EERKSM_lbbbEUlllE0_EEPmJS6_EEE10hipError_tPvRmT3_T4_T5_T6_T7_T9_mT8_P12ihipStream_tbDpT10_ENKUlT_T0_E_clISt17integral_constantIbLb0EES1B_IbLb1EEEEDaS17_S18_EUlS17_E_NS1_11comp_targetILNS1_3genE8ELNS1_11target_archE1030ELNS1_3gpuE2ELNS1_3repE0EEENS1_30default_config_static_selectorELNS0_4arch9wavefront6targetE1EEEvT1_.kd
    .uniform_work_group_size: 1
    .uses_dynamic_stack: false
    .vgpr_count:     0
    .vgpr_spill_count: 0
    .wavefront_size: 64
  - .agpr_count:     0
    .args:
      - .offset:         0
        .size:           120
        .value_kind:     by_value
    .group_segment_fixed_size: 0
    .kernarg_segment_align: 8
    .kernarg_segment_size: 120
    .language:       OpenCL C
    .language_version:
      - 2
      - 0
    .max_flat_workgroup_size: 128
    .name:           _ZN7rocprim17ROCPRIM_400000_NS6detail17trampoline_kernelINS0_14default_configENS1_25partition_config_selectorILNS1_17partition_subalgoE9EllbEEZZNS1_14partition_implILS5_9ELb0ES3_jPlS8_PNS0_10empty_typeENS0_5tupleIJS8_S9_EEENSB_IJS8_SA_EEENS0_18inequality_wrapperIZN2at6native12_GLOBAL__N_124unique_dim_cuda_templateIdEESt5tupleIJNSF_6TensorESK_SK_EERKSK_lbbbEUlllE0_EEPmJS9_EEE10hipError_tPvRmT3_T4_T5_T6_T7_T9_mT8_P12ihipStream_tbDpT10_ENKUlT_T0_E_clISt17integral_constantIbLb0EES1A_EEDaS15_S16_EUlS15_E_NS1_11comp_targetILNS1_3genE0ELNS1_11target_archE4294967295ELNS1_3gpuE0ELNS1_3repE0EEENS1_30default_config_static_selectorELNS0_4arch9wavefront6targetE1EEEvT1_
    .private_segment_fixed_size: 0
    .sgpr_count:     6
    .sgpr_spill_count: 0
    .symbol:         _ZN7rocprim17ROCPRIM_400000_NS6detail17trampoline_kernelINS0_14default_configENS1_25partition_config_selectorILNS1_17partition_subalgoE9EllbEEZZNS1_14partition_implILS5_9ELb0ES3_jPlS8_PNS0_10empty_typeENS0_5tupleIJS8_S9_EEENSB_IJS8_SA_EEENS0_18inequality_wrapperIZN2at6native12_GLOBAL__N_124unique_dim_cuda_templateIdEESt5tupleIJNSF_6TensorESK_SK_EERKSK_lbbbEUlllE0_EEPmJS9_EEE10hipError_tPvRmT3_T4_T5_T6_T7_T9_mT8_P12ihipStream_tbDpT10_ENKUlT_T0_E_clISt17integral_constantIbLb0EES1A_EEDaS15_S16_EUlS15_E_NS1_11comp_targetILNS1_3genE0ELNS1_11target_archE4294967295ELNS1_3gpuE0ELNS1_3repE0EEENS1_30default_config_static_selectorELNS0_4arch9wavefront6targetE1EEEvT1_.kd
    .uniform_work_group_size: 1
    .uses_dynamic_stack: false
    .vgpr_count:     0
    .vgpr_spill_count: 0
    .wavefront_size: 64
  - .agpr_count:     0
    .args:
      - .offset:         0
        .size:           120
        .value_kind:     by_value
    .group_segment_fixed_size: 28684
    .kernarg_segment_align: 8
    .kernarg_segment_size: 120
    .language:       OpenCL C
    .language_version:
      - 2
      - 0
    .max_flat_workgroup_size: 512
    .name:           _ZN7rocprim17ROCPRIM_400000_NS6detail17trampoline_kernelINS0_14default_configENS1_25partition_config_selectorILNS1_17partition_subalgoE9EllbEEZZNS1_14partition_implILS5_9ELb0ES3_jPlS8_PNS0_10empty_typeENS0_5tupleIJS8_S9_EEENSB_IJS8_SA_EEENS0_18inequality_wrapperIZN2at6native12_GLOBAL__N_124unique_dim_cuda_templateIdEESt5tupleIJNSF_6TensorESK_SK_EERKSK_lbbbEUlllE0_EEPmJS9_EEE10hipError_tPvRmT3_T4_T5_T6_T7_T9_mT8_P12ihipStream_tbDpT10_ENKUlT_T0_E_clISt17integral_constantIbLb0EES1A_EEDaS15_S16_EUlS15_E_NS1_11comp_targetILNS1_3genE5ELNS1_11target_archE942ELNS1_3gpuE9ELNS1_3repE0EEENS1_30default_config_static_selectorELNS0_4arch9wavefront6targetE1EEEvT1_
    .private_segment_fixed_size: 0
    .sgpr_count:     58
    .sgpr_spill_count: 0
    .symbol:         _ZN7rocprim17ROCPRIM_400000_NS6detail17trampoline_kernelINS0_14default_configENS1_25partition_config_selectorILNS1_17partition_subalgoE9EllbEEZZNS1_14partition_implILS5_9ELb0ES3_jPlS8_PNS0_10empty_typeENS0_5tupleIJS8_S9_EEENSB_IJS8_SA_EEENS0_18inequality_wrapperIZN2at6native12_GLOBAL__N_124unique_dim_cuda_templateIdEESt5tupleIJNSF_6TensorESK_SK_EERKSK_lbbbEUlllE0_EEPmJS9_EEE10hipError_tPvRmT3_T4_T5_T6_T7_T9_mT8_P12ihipStream_tbDpT10_ENKUlT_T0_E_clISt17integral_constantIbLb0EES1A_EEDaS15_S16_EUlS15_E_NS1_11comp_targetILNS1_3genE5ELNS1_11target_archE942ELNS1_3gpuE9ELNS1_3repE0EEENS1_30default_config_static_selectorELNS0_4arch9wavefront6targetE1EEEvT1_.kd
    .uniform_work_group_size: 1
    .uses_dynamic_stack: false
    .vgpr_count:     66
    .vgpr_spill_count: 0
    .wavefront_size: 64
  - .agpr_count:     0
    .args:
      - .offset:         0
        .size:           120
        .value_kind:     by_value
    .group_segment_fixed_size: 0
    .kernarg_segment_align: 8
    .kernarg_segment_size: 120
    .language:       OpenCL C
    .language_version:
      - 2
      - 0
    .max_flat_workgroup_size: 128
    .name:           _ZN7rocprim17ROCPRIM_400000_NS6detail17trampoline_kernelINS0_14default_configENS1_25partition_config_selectorILNS1_17partition_subalgoE9EllbEEZZNS1_14partition_implILS5_9ELb0ES3_jPlS8_PNS0_10empty_typeENS0_5tupleIJS8_S9_EEENSB_IJS8_SA_EEENS0_18inequality_wrapperIZN2at6native12_GLOBAL__N_124unique_dim_cuda_templateIdEESt5tupleIJNSF_6TensorESK_SK_EERKSK_lbbbEUlllE0_EEPmJS9_EEE10hipError_tPvRmT3_T4_T5_T6_T7_T9_mT8_P12ihipStream_tbDpT10_ENKUlT_T0_E_clISt17integral_constantIbLb0EES1A_EEDaS15_S16_EUlS15_E_NS1_11comp_targetILNS1_3genE4ELNS1_11target_archE910ELNS1_3gpuE8ELNS1_3repE0EEENS1_30default_config_static_selectorELNS0_4arch9wavefront6targetE1EEEvT1_
    .private_segment_fixed_size: 0
    .sgpr_count:     6
    .sgpr_spill_count: 0
    .symbol:         _ZN7rocprim17ROCPRIM_400000_NS6detail17trampoline_kernelINS0_14default_configENS1_25partition_config_selectorILNS1_17partition_subalgoE9EllbEEZZNS1_14partition_implILS5_9ELb0ES3_jPlS8_PNS0_10empty_typeENS0_5tupleIJS8_S9_EEENSB_IJS8_SA_EEENS0_18inequality_wrapperIZN2at6native12_GLOBAL__N_124unique_dim_cuda_templateIdEESt5tupleIJNSF_6TensorESK_SK_EERKSK_lbbbEUlllE0_EEPmJS9_EEE10hipError_tPvRmT3_T4_T5_T6_T7_T9_mT8_P12ihipStream_tbDpT10_ENKUlT_T0_E_clISt17integral_constantIbLb0EES1A_EEDaS15_S16_EUlS15_E_NS1_11comp_targetILNS1_3genE4ELNS1_11target_archE910ELNS1_3gpuE8ELNS1_3repE0EEENS1_30default_config_static_selectorELNS0_4arch9wavefront6targetE1EEEvT1_.kd
    .uniform_work_group_size: 1
    .uses_dynamic_stack: false
    .vgpr_count:     0
    .vgpr_spill_count: 0
    .wavefront_size: 64
  - .agpr_count:     0
    .args:
      - .offset:         0
        .size:           120
        .value_kind:     by_value
    .group_segment_fixed_size: 0
    .kernarg_segment_align: 8
    .kernarg_segment_size: 120
    .language:       OpenCL C
    .language_version:
      - 2
      - 0
    .max_flat_workgroup_size: 128
    .name:           _ZN7rocprim17ROCPRIM_400000_NS6detail17trampoline_kernelINS0_14default_configENS1_25partition_config_selectorILNS1_17partition_subalgoE9EllbEEZZNS1_14partition_implILS5_9ELb0ES3_jPlS8_PNS0_10empty_typeENS0_5tupleIJS8_S9_EEENSB_IJS8_SA_EEENS0_18inequality_wrapperIZN2at6native12_GLOBAL__N_124unique_dim_cuda_templateIdEESt5tupleIJNSF_6TensorESK_SK_EERKSK_lbbbEUlllE0_EEPmJS9_EEE10hipError_tPvRmT3_T4_T5_T6_T7_T9_mT8_P12ihipStream_tbDpT10_ENKUlT_T0_E_clISt17integral_constantIbLb0EES1A_EEDaS15_S16_EUlS15_E_NS1_11comp_targetILNS1_3genE3ELNS1_11target_archE908ELNS1_3gpuE7ELNS1_3repE0EEENS1_30default_config_static_selectorELNS0_4arch9wavefront6targetE1EEEvT1_
    .private_segment_fixed_size: 0
    .sgpr_count:     6
    .sgpr_spill_count: 0
    .symbol:         _ZN7rocprim17ROCPRIM_400000_NS6detail17trampoline_kernelINS0_14default_configENS1_25partition_config_selectorILNS1_17partition_subalgoE9EllbEEZZNS1_14partition_implILS5_9ELb0ES3_jPlS8_PNS0_10empty_typeENS0_5tupleIJS8_S9_EEENSB_IJS8_SA_EEENS0_18inequality_wrapperIZN2at6native12_GLOBAL__N_124unique_dim_cuda_templateIdEESt5tupleIJNSF_6TensorESK_SK_EERKSK_lbbbEUlllE0_EEPmJS9_EEE10hipError_tPvRmT3_T4_T5_T6_T7_T9_mT8_P12ihipStream_tbDpT10_ENKUlT_T0_E_clISt17integral_constantIbLb0EES1A_EEDaS15_S16_EUlS15_E_NS1_11comp_targetILNS1_3genE3ELNS1_11target_archE908ELNS1_3gpuE7ELNS1_3repE0EEENS1_30default_config_static_selectorELNS0_4arch9wavefront6targetE1EEEvT1_.kd
    .uniform_work_group_size: 1
    .uses_dynamic_stack: false
    .vgpr_count:     0
    .vgpr_spill_count: 0
    .wavefront_size: 64
  - .agpr_count:     0
    .args:
      - .offset:         0
        .size:           120
        .value_kind:     by_value
    .group_segment_fixed_size: 0
    .kernarg_segment_align: 8
    .kernarg_segment_size: 120
    .language:       OpenCL C
    .language_version:
      - 2
      - 0
    .max_flat_workgroup_size: 192
    .name:           _ZN7rocprim17ROCPRIM_400000_NS6detail17trampoline_kernelINS0_14default_configENS1_25partition_config_selectorILNS1_17partition_subalgoE9EllbEEZZNS1_14partition_implILS5_9ELb0ES3_jPlS8_PNS0_10empty_typeENS0_5tupleIJS8_S9_EEENSB_IJS8_SA_EEENS0_18inequality_wrapperIZN2at6native12_GLOBAL__N_124unique_dim_cuda_templateIdEESt5tupleIJNSF_6TensorESK_SK_EERKSK_lbbbEUlllE0_EEPmJS9_EEE10hipError_tPvRmT3_T4_T5_T6_T7_T9_mT8_P12ihipStream_tbDpT10_ENKUlT_T0_E_clISt17integral_constantIbLb0EES1A_EEDaS15_S16_EUlS15_E_NS1_11comp_targetILNS1_3genE2ELNS1_11target_archE906ELNS1_3gpuE6ELNS1_3repE0EEENS1_30default_config_static_selectorELNS0_4arch9wavefront6targetE1EEEvT1_
    .private_segment_fixed_size: 0
    .sgpr_count:     6
    .sgpr_spill_count: 0
    .symbol:         _ZN7rocprim17ROCPRIM_400000_NS6detail17trampoline_kernelINS0_14default_configENS1_25partition_config_selectorILNS1_17partition_subalgoE9EllbEEZZNS1_14partition_implILS5_9ELb0ES3_jPlS8_PNS0_10empty_typeENS0_5tupleIJS8_S9_EEENSB_IJS8_SA_EEENS0_18inequality_wrapperIZN2at6native12_GLOBAL__N_124unique_dim_cuda_templateIdEESt5tupleIJNSF_6TensorESK_SK_EERKSK_lbbbEUlllE0_EEPmJS9_EEE10hipError_tPvRmT3_T4_T5_T6_T7_T9_mT8_P12ihipStream_tbDpT10_ENKUlT_T0_E_clISt17integral_constantIbLb0EES1A_EEDaS15_S16_EUlS15_E_NS1_11comp_targetILNS1_3genE2ELNS1_11target_archE906ELNS1_3gpuE6ELNS1_3repE0EEENS1_30default_config_static_selectorELNS0_4arch9wavefront6targetE1EEEvT1_.kd
    .uniform_work_group_size: 1
    .uses_dynamic_stack: false
    .vgpr_count:     0
    .vgpr_spill_count: 0
    .wavefront_size: 64
  - .agpr_count:     0
    .args:
      - .offset:         0
        .size:           120
        .value_kind:     by_value
    .group_segment_fixed_size: 0
    .kernarg_segment_align: 8
    .kernarg_segment_size: 120
    .language:       OpenCL C
    .language_version:
      - 2
      - 0
    .max_flat_workgroup_size: 384
    .name:           _ZN7rocprim17ROCPRIM_400000_NS6detail17trampoline_kernelINS0_14default_configENS1_25partition_config_selectorILNS1_17partition_subalgoE9EllbEEZZNS1_14partition_implILS5_9ELb0ES3_jPlS8_PNS0_10empty_typeENS0_5tupleIJS8_S9_EEENSB_IJS8_SA_EEENS0_18inequality_wrapperIZN2at6native12_GLOBAL__N_124unique_dim_cuda_templateIdEESt5tupleIJNSF_6TensorESK_SK_EERKSK_lbbbEUlllE0_EEPmJS9_EEE10hipError_tPvRmT3_T4_T5_T6_T7_T9_mT8_P12ihipStream_tbDpT10_ENKUlT_T0_E_clISt17integral_constantIbLb0EES1A_EEDaS15_S16_EUlS15_E_NS1_11comp_targetILNS1_3genE10ELNS1_11target_archE1200ELNS1_3gpuE4ELNS1_3repE0EEENS1_30default_config_static_selectorELNS0_4arch9wavefront6targetE1EEEvT1_
    .private_segment_fixed_size: 0
    .sgpr_count:     6
    .sgpr_spill_count: 0
    .symbol:         _ZN7rocprim17ROCPRIM_400000_NS6detail17trampoline_kernelINS0_14default_configENS1_25partition_config_selectorILNS1_17partition_subalgoE9EllbEEZZNS1_14partition_implILS5_9ELb0ES3_jPlS8_PNS0_10empty_typeENS0_5tupleIJS8_S9_EEENSB_IJS8_SA_EEENS0_18inequality_wrapperIZN2at6native12_GLOBAL__N_124unique_dim_cuda_templateIdEESt5tupleIJNSF_6TensorESK_SK_EERKSK_lbbbEUlllE0_EEPmJS9_EEE10hipError_tPvRmT3_T4_T5_T6_T7_T9_mT8_P12ihipStream_tbDpT10_ENKUlT_T0_E_clISt17integral_constantIbLb0EES1A_EEDaS15_S16_EUlS15_E_NS1_11comp_targetILNS1_3genE10ELNS1_11target_archE1200ELNS1_3gpuE4ELNS1_3repE0EEENS1_30default_config_static_selectorELNS0_4arch9wavefront6targetE1EEEvT1_.kd
    .uniform_work_group_size: 1
    .uses_dynamic_stack: false
    .vgpr_count:     0
    .vgpr_spill_count: 0
    .wavefront_size: 64
  - .agpr_count:     0
    .args:
      - .offset:         0
        .size:           120
        .value_kind:     by_value
    .group_segment_fixed_size: 0
    .kernarg_segment_align: 8
    .kernarg_segment_size: 120
    .language:       OpenCL C
    .language_version:
      - 2
      - 0
    .max_flat_workgroup_size: 512
    .name:           _ZN7rocprim17ROCPRIM_400000_NS6detail17trampoline_kernelINS0_14default_configENS1_25partition_config_selectorILNS1_17partition_subalgoE9EllbEEZZNS1_14partition_implILS5_9ELb0ES3_jPlS8_PNS0_10empty_typeENS0_5tupleIJS8_S9_EEENSB_IJS8_SA_EEENS0_18inequality_wrapperIZN2at6native12_GLOBAL__N_124unique_dim_cuda_templateIdEESt5tupleIJNSF_6TensorESK_SK_EERKSK_lbbbEUlllE0_EEPmJS9_EEE10hipError_tPvRmT3_T4_T5_T6_T7_T9_mT8_P12ihipStream_tbDpT10_ENKUlT_T0_E_clISt17integral_constantIbLb0EES1A_EEDaS15_S16_EUlS15_E_NS1_11comp_targetILNS1_3genE9ELNS1_11target_archE1100ELNS1_3gpuE3ELNS1_3repE0EEENS1_30default_config_static_selectorELNS0_4arch9wavefront6targetE1EEEvT1_
    .private_segment_fixed_size: 0
    .sgpr_count:     6
    .sgpr_spill_count: 0
    .symbol:         _ZN7rocprim17ROCPRIM_400000_NS6detail17trampoline_kernelINS0_14default_configENS1_25partition_config_selectorILNS1_17partition_subalgoE9EllbEEZZNS1_14partition_implILS5_9ELb0ES3_jPlS8_PNS0_10empty_typeENS0_5tupleIJS8_S9_EEENSB_IJS8_SA_EEENS0_18inequality_wrapperIZN2at6native12_GLOBAL__N_124unique_dim_cuda_templateIdEESt5tupleIJNSF_6TensorESK_SK_EERKSK_lbbbEUlllE0_EEPmJS9_EEE10hipError_tPvRmT3_T4_T5_T6_T7_T9_mT8_P12ihipStream_tbDpT10_ENKUlT_T0_E_clISt17integral_constantIbLb0EES1A_EEDaS15_S16_EUlS15_E_NS1_11comp_targetILNS1_3genE9ELNS1_11target_archE1100ELNS1_3gpuE3ELNS1_3repE0EEENS1_30default_config_static_selectorELNS0_4arch9wavefront6targetE1EEEvT1_.kd
    .uniform_work_group_size: 1
    .uses_dynamic_stack: false
    .vgpr_count:     0
    .vgpr_spill_count: 0
    .wavefront_size: 64
  - .agpr_count:     0
    .args:
      - .offset:         0
        .size:           120
        .value_kind:     by_value
    .group_segment_fixed_size: 0
    .kernarg_segment_align: 8
    .kernarg_segment_size: 120
    .language:       OpenCL C
    .language_version:
      - 2
      - 0
    .max_flat_workgroup_size: 512
    .name:           _ZN7rocprim17ROCPRIM_400000_NS6detail17trampoline_kernelINS0_14default_configENS1_25partition_config_selectorILNS1_17partition_subalgoE9EllbEEZZNS1_14partition_implILS5_9ELb0ES3_jPlS8_PNS0_10empty_typeENS0_5tupleIJS8_S9_EEENSB_IJS8_SA_EEENS0_18inequality_wrapperIZN2at6native12_GLOBAL__N_124unique_dim_cuda_templateIdEESt5tupleIJNSF_6TensorESK_SK_EERKSK_lbbbEUlllE0_EEPmJS9_EEE10hipError_tPvRmT3_T4_T5_T6_T7_T9_mT8_P12ihipStream_tbDpT10_ENKUlT_T0_E_clISt17integral_constantIbLb0EES1A_EEDaS15_S16_EUlS15_E_NS1_11comp_targetILNS1_3genE8ELNS1_11target_archE1030ELNS1_3gpuE2ELNS1_3repE0EEENS1_30default_config_static_selectorELNS0_4arch9wavefront6targetE1EEEvT1_
    .private_segment_fixed_size: 0
    .sgpr_count:     6
    .sgpr_spill_count: 0
    .symbol:         _ZN7rocprim17ROCPRIM_400000_NS6detail17trampoline_kernelINS0_14default_configENS1_25partition_config_selectorILNS1_17partition_subalgoE9EllbEEZZNS1_14partition_implILS5_9ELb0ES3_jPlS8_PNS0_10empty_typeENS0_5tupleIJS8_S9_EEENSB_IJS8_SA_EEENS0_18inequality_wrapperIZN2at6native12_GLOBAL__N_124unique_dim_cuda_templateIdEESt5tupleIJNSF_6TensorESK_SK_EERKSK_lbbbEUlllE0_EEPmJS9_EEE10hipError_tPvRmT3_T4_T5_T6_T7_T9_mT8_P12ihipStream_tbDpT10_ENKUlT_T0_E_clISt17integral_constantIbLb0EES1A_EEDaS15_S16_EUlS15_E_NS1_11comp_targetILNS1_3genE8ELNS1_11target_archE1030ELNS1_3gpuE2ELNS1_3repE0EEENS1_30default_config_static_selectorELNS0_4arch9wavefront6targetE1EEEvT1_.kd
    .uniform_work_group_size: 1
    .uses_dynamic_stack: false
    .vgpr_count:     0
    .vgpr_spill_count: 0
    .wavefront_size: 64
  - .agpr_count:     0
    .args:
      - .offset:         0
        .size:           136
        .value_kind:     by_value
    .group_segment_fixed_size: 0
    .kernarg_segment_align: 8
    .kernarg_segment_size: 136
    .language:       OpenCL C
    .language_version:
      - 2
      - 0
    .max_flat_workgroup_size: 128
    .name:           _ZN7rocprim17ROCPRIM_400000_NS6detail17trampoline_kernelINS0_14default_configENS1_25partition_config_selectorILNS1_17partition_subalgoE9EllbEEZZNS1_14partition_implILS5_9ELb0ES3_jPlS8_PNS0_10empty_typeENS0_5tupleIJS8_S9_EEENSB_IJS8_SA_EEENS0_18inequality_wrapperIZN2at6native12_GLOBAL__N_124unique_dim_cuda_templateIdEESt5tupleIJNSF_6TensorESK_SK_EERKSK_lbbbEUlllE0_EEPmJS9_EEE10hipError_tPvRmT3_T4_T5_T6_T7_T9_mT8_P12ihipStream_tbDpT10_ENKUlT_T0_E_clISt17integral_constantIbLb1EES1A_EEDaS15_S16_EUlS15_E_NS1_11comp_targetILNS1_3genE0ELNS1_11target_archE4294967295ELNS1_3gpuE0ELNS1_3repE0EEENS1_30default_config_static_selectorELNS0_4arch9wavefront6targetE1EEEvT1_
    .private_segment_fixed_size: 0
    .sgpr_count:     6
    .sgpr_spill_count: 0
    .symbol:         _ZN7rocprim17ROCPRIM_400000_NS6detail17trampoline_kernelINS0_14default_configENS1_25partition_config_selectorILNS1_17partition_subalgoE9EllbEEZZNS1_14partition_implILS5_9ELb0ES3_jPlS8_PNS0_10empty_typeENS0_5tupleIJS8_S9_EEENSB_IJS8_SA_EEENS0_18inequality_wrapperIZN2at6native12_GLOBAL__N_124unique_dim_cuda_templateIdEESt5tupleIJNSF_6TensorESK_SK_EERKSK_lbbbEUlllE0_EEPmJS9_EEE10hipError_tPvRmT3_T4_T5_T6_T7_T9_mT8_P12ihipStream_tbDpT10_ENKUlT_T0_E_clISt17integral_constantIbLb1EES1A_EEDaS15_S16_EUlS15_E_NS1_11comp_targetILNS1_3genE0ELNS1_11target_archE4294967295ELNS1_3gpuE0ELNS1_3repE0EEENS1_30default_config_static_selectorELNS0_4arch9wavefront6targetE1EEEvT1_.kd
    .uniform_work_group_size: 1
    .uses_dynamic_stack: false
    .vgpr_count:     0
    .vgpr_spill_count: 0
    .wavefront_size: 64
  - .agpr_count:     0
    .args:
      - .offset:         0
        .size:           136
        .value_kind:     by_value
    .group_segment_fixed_size: 28684
    .kernarg_segment_align: 8
    .kernarg_segment_size: 136
    .language:       OpenCL C
    .language_version:
      - 2
      - 0
    .max_flat_workgroup_size: 512
    .name:           _ZN7rocprim17ROCPRIM_400000_NS6detail17trampoline_kernelINS0_14default_configENS1_25partition_config_selectorILNS1_17partition_subalgoE9EllbEEZZNS1_14partition_implILS5_9ELb0ES3_jPlS8_PNS0_10empty_typeENS0_5tupleIJS8_S9_EEENSB_IJS8_SA_EEENS0_18inequality_wrapperIZN2at6native12_GLOBAL__N_124unique_dim_cuda_templateIdEESt5tupleIJNSF_6TensorESK_SK_EERKSK_lbbbEUlllE0_EEPmJS9_EEE10hipError_tPvRmT3_T4_T5_T6_T7_T9_mT8_P12ihipStream_tbDpT10_ENKUlT_T0_E_clISt17integral_constantIbLb1EES1A_EEDaS15_S16_EUlS15_E_NS1_11comp_targetILNS1_3genE5ELNS1_11target_archE942ELNS1_3gpuE9ELNS1_3repE0EEENS1_30default_config_static_selectorELNS0_4arch9wavefront6targetE1EEEvT1_
    .private_segment_fixed_size: 0
    .sgpr_count:     64
    .sgpr_spill_count: 0
    .symbol:         _ZN7rocprim17ROCPRIM_400000_NS6detail17trampoline_kernelINS0_14default_configENS1_25partition_config_selectorILNS1_17partition_subalgoE9EllbEEZZNS1_14partition_implILS5_9ELb0ES3_jPlS8_PNS0_10empty_typeENS0_5tupleIJS8_S9_EEENSB_IJS8_SA_EEENS0_18inequality_wrapperIZN2at6native12_GLOBAL__N_124unique_dim_cuda_templateIdEESt5tupleIJNSF_6TensorESK_SK_EERKSK_lbbbEUlllE0_EEPmJS9_EEE10hipError_tPvRmT3_T4_T5_T6_T7_T9_mT8_P12ihipStream_tbDpT10_ENKUlT_T0_E_clISt17integral_constantIbLb1EES1A_EEDaS15_S16_EUlS15_E_NS1_11comp_targetILNS1_3genE5ELNS1_11target_archE942ELNS1_3gpuE9ELNS1_3repE0EEENS1_30default_config_static_selectorELNS0_4arch9wavefront6targetE1EEEvT1_.kd
    .uniform_work_group_size: 1
    .uses_dynamic_stack: false
    .vgpr_count:     66
    .vgpr_spill_count: 0
    .wavefront_size: 64
  - .agpr_count:     0
    .args:
      - .offset:         0
        .size:           136
        .value_kind:     by_value
    .group_segment_fixed_size: 0
    .kernarg_segment_align: 8
    .kernarg_segment_size: 136
    .language:       OpenCL C
    .language_version:
      - 2
      - 0
    .max_flat_workgroup_size: 128
    .name:           _ZN7rocprim17ROCPRIM_400000_NS6detail17trampoline_kernelINS0_14default_configENS1_25partition_config_selectorILNS1_17partition_subalgoE9EllbEEZZNS1_14partition_implILS5_9ELb0ES3_jPlS8_PNS0_10empty_typeENS0_5tupleIJS8_S9_EEENSB_IJS8_SA_EEENS0_18inequality_wrapperIZN2at6native12_GLOBAL__N_124unique_dim_cuda_templateIdEESt5tupleIJNSF_6TensorESK_SK_EERKSK_lbbbEUlllE0_EEPmJS9_EEE10hipError_tPvRmT3_T4_T5_T6_T7_T9_mT8_P12ihipStream_tbDpT10_ENKUlT_T0_E_clISt17integral_constantIbLb1EES1A_EEDaS15_S16_EUlS15_E_NS1_11comp_targetILNS1_3genE4ELNS1_11target_archE910ELNS1_3gpuE8ELNS1_3repE0EEENS1_30default_config_static_selectorELNS0_4arch9wavefront6targetE1EEEvT1_
    .private_segment_fixed_size: 0
    .sgpr_count:     6
    .sgpr_spill_count: 0
    .symbol:         _ZN7rocprim17ROCPRIM_400000_NS6detail17trampoline_kernelINS0_14default_configENS1_25partition_config_selectorILNS1_17partition_subalgoE9EllbEEZZNS1_14partition_implILS5_9ELb0ES3_jPlS8_PNS0_10empty_typeENS0_5tupleIJS8_S9_EEENSB_IJS8_SA_EEENS0_18inequality_wrapperIZN2at6native12_GLOBAL__N_124unique_dim_cuda_templateIdEESt5tupleIJNSF_6TensorESK_SK_EERKSK_lbbbEUlllE0_EEPmJS9_EEE10hipError_tPvRmT3_T4_T5_T6_T7_T9_mT8_P12ihipStream_tbDpT10_ENKUlT_T0_E_clISt17integral_constantIbLb1EES1A_EEDaS15_S16_EUlS15_E_NS1_11comp_targetILNS1_3genE4ELNS1_11target_archE910ELNS1_3gpuE8ELNS1_3repE0EEENS1_30default_config_static_selectorELNS0_4arch9wavefront6targetE1EEEvT1_.kd
    .uniform_work_group_size: 1
    .uses_dynamic_stack: false
    .vgpr_count:     0
    .vgpr_spill_count: 0
    .wavefront_size: 64
  - .agpr_count:     0
    .args:
      - .offset:         0
        .size:           136
        .value_kind:     by_value
    .group_segment_fixed_size: 0
    .kernarg_segment_align: 8
    .kernarg_segment_size: 136
    .language:       OpenCL C
    .language_version:
      - 2
      - 0
    .max_flat_workgroup_size: 128
    .name:           _ZN7rocprim17ROCPRIM_400000_NS6detail17trampoline_kernelINS0_14default_configENS1_25partition_config_selectorILNS1_17partition_subalgoE9EllbEEZZNS1_14partition_implILS5_9ELb0ES3_jPlS8_PNS0_10empty_typeENS0_5tupleIJS8_S9_EEENSB_IJS8_SA_EEENS0_18inequality_wrapperIZN2at6native12_GLOBAL__N_124unique_dim_cuda_templateIdEESt5tupleIJNSF_6TensorESK_SK_EERKSK_lbbbEUlllE0_EEPmJS9_EEE10hipError_tPvRmT3_T4_T5_T6_T7_T9_mT8_P12ihipStream_tbDpT10_ENKUlT_T0_E_clISt17integral_constantIbLb1EES1A_EEDaS15_S16_EUlS15_E_NS1_11comp_targetILNS1_3genE3ELNS1_11target_archE908ELNS1_3gpuE7ELNS1_3repE0EEENS1_30default_config_static_selectorELNS0_4arch9wavefront6targetE1EEEvT1_
    .private_segment_fixed_size: 0
    .sgpr_count:     6
    .sgpr_spill_count: 0
    .symbol:         _ZN7rocprim17ROCPRIM_400000_NS6detail17trampoline_kernelINS0_14default_configENS1_25partition_config_selectorILNS1_17partition_subalgoE9EllbEEZZNS1_14partition_implILS5_9ELb0ES3_jPlS8_PNS0_10empty_typeENS0_5tupleIJS8_S9_EEENSB_IJS8_SA_EEENS0_18inequality_wrapperIZN2at6native12_GLOBAL__N_124unique_dim_cuda_templateIdEESt5tupleIJNSF_6TensorESK_SK_EERKSK_lbbbEUlllE0_EEPmJS9_EEE10hipError_tPvRmT3_T4_T5_T6_T7_T9_mT8_P12ihipStream_tbDpT10_ENKUlT_T0_E_clISt17integral_constantIbLb1EES1A_EEDaS15_S16_EUlS15_E_NS1_11comp_targetILNS1_3genE3ELNS1_11target_archE908ELNS1_3gpuE7ELNS1_3repE0EEENS1_30default_config_static_selectorELNS0_4arch9wavefront6targetE1EEEvT1_.kd
    .uniform_work_group_size: 1
    .uses_dynamic_stack: false
    .vgpr_count:     0
    .vgpr_spill_count: 0
    .wavefront_size: 64
  - .agpr_count:     0
    .args:
      - .offset:         0
        .size:           136
        .value_kind:     by_value
    .group_segment_fixed_size: 0
    .kernarg_segment_align: 8
    .kernarg_segment_size: 136
    .language:       OpenCL C
    .language_version:
      - 2
      - 0
    .max_flat_workgroup_size: 192
    .name:           _ZN7rocprim17ROCPRIM_400000_NS6detail17trampoline_kernelINS0_14default_configENS1_25partition_config_selectorILNS1_17partition_subalgoE9EllbEEZZNS1_14partition_implILS5_9ELb0ES3_jPlS8_PNS0_10empty_typeENS0_5tupleIJS8_S9_EEENSB_IJS8_SA_EEENS0_18inequality_wrapperIZN2at6native12_GLOBAL__N_124unique_dim_cuda_templateIdEESt5tupleIJNSF_6TensorESK_SK_EERKSK_lbbbEUlllE0_EEPmJS9_EEE10hipError_tPvRmT3_T4_T5_T6_T7_T9_mT8_P12ihipStream_tbDpT10_ENKUlT_T0_E_clISt17integral_constantIbLb1EES1A_EEDaS15_S16_EUlS15_E_NS1_11comp_targetILNS1_3genE2ELNS1_11target_archE906ELNS1_3gpuE6ELNS1_3repE0EEENS1_30default_config_static_selectorELNS0_4arch9wavefront6targetE1EEEvT1_
    .private_segment_fixed_size: 0
    .sgpr_count:     6
    .sgpr_spill_count: 0
    .symbol:         _ZN7rocprim17ROCPRIM_400000_NS6detail17trampoline_kernelINS0_14default_configENS1_25partition_config_selectorILNS1_17partition_subalgoE9EllbEEZZNS1_14partition_implILS5_9ELb0ES3_jPlS8_PNS0_10empty_typeENS0_5tupleIJS8_S9_EEENSB_IJS8_SA_EEENS0_18inequality_wrapperIZN2at6native12_GLOBAL__N_124unique_dim_cuda_templateIdEESt5tupleIJNSF_6TensorESK_SK_EERKSK_lbbbEUlllE0_EEPmJS9_EEE10hipError_tPvRmT3_T4_T5_T6_T7_T9_mT8_P12ihipStream_tbDpT10_ENKUlT_T0_E_clISt17integral_constantIbLb1EES1A_EEDaS15_S16_EUlS15_E_NS1_11comp_targetILNS1_3genE2ELNS1_11target_archE906ELNS1_3gpuE6ELNS1_3repE0EEENS1_30default_config_static_selectorELNS0_4arch9wavefront6targetE1EEEvT1_.kd
    .uniform_work_group_size: 1
    .uses_dynamic_stack: false
    .vgpr_count:     0
    .vgpr_spill_count: 0
    .wavefront_size: 64
  - .agpr_count:     0
    .args:
      - .offset:         0
        .size:           136
        .value_kind:     by_value
    .group_segment_fixed_size: 0
    .kernarg_segment_align: 8
    .kernarg_segment_size: 136
    .language:       OpenCL C
    .language_version:
      - 2
      - 0
    .max_flat_workgroup_size: 384
    .name:           _ZN7rocprim17ROCPRIM_400000_NS6detail17trampoline_kernelINS0_14default_configENS1_25partition_config_selectorILNS1_17partition_subalgoE9EllbEEZZNS1_14partition_implILS5_9ELb0ES3_jPlS8_PNS0_10empty_typeENS0_5tupleIJS8_S9_EEENSB_IJS8_SA_EEENS0_18inequality_wrapperIZN2at6native12_GLOBAL__N_124unique_dim_cuda_templateIdEESt5tupleIJNSF_6TensorESK_SK_EERKSK_lbbbEUlllE0_EEPmJS9_EEE10hipError_tPvRmT3_T4_T5_T6_T7_T9_mT8_P12ihipStream_tbDpT10_ENKUlT_T0_E_clISt17integral_constantIbLb1EES1A_EEDaS15_S16_EUlS15_E_NS1_11comp_targetILNS1_3genE10ELNS1_11target_archE1200ELNS1_3gpuE4ELNS1_3repE0EEENS1_30default_config_static_selectorELNS0_4arch9wavefront6targetE1EEEvT1_
    .private_segment_fixed_size: 0
    .sgpr_count:     6
    .sgpr_spill_count: 0
    .symbol:         _ZN7rocprim17ROCPRIM_400000_NS6detail17trampoline_kernelINS0_14default_configENS1_25partition_config_selectorILNS1_17partition_subalgoE9EllbEEZZNS1_14partition_implILS5_9ELb0ES3_jPlS8_PNS0_10empty_typeENS0_5tupleIJS8_S9_EEENSB_IJS8_SA_EEENS0_18inequality_wrapperIZN2at6native12_GLOBAL__N_124unique_dim_cuda_templateIdEESt5tupleIJNSF_6TensorESK_SK_EERKSK_lbbbEUlllE0_EEPmJS9_EEE10hipError_tPvRmT3_T4_T5_T6_T7_T9_mT8_P12ihipStream_tbDpT10_ENKUlT_T0_E_clISt17integral_constantIbLb1EES1A_EEDaS15_S16_EUlS15_E_NS1_11comp_targetILNS1_3genE10ELNS1_11target_archE1200ELNS1_3gpuE4ELNS1_3repE0EEENS1_30default_config_static_selectorELNS0_4arch9wavefront6targetE1EEEvT1_.kd
    .uniform_work_group_size: 1
    .uses_dynamic_stack: false
    .vgpr_count:     0
    .vgpr_spill_count: 0
    .wavefront_size: 64
  - .agpr_count:     0
    .args:
      - .offset:         0
        .size:           136
        .value_kind:     by_value
    .group_segment_fixed_size: 0
    .kernarg_segment_align: 8
    .kernarg_segment_size: 136
    .language:       OpenCL C
    .language_version:
      - 2
      - 0
    .max_flat_workgroup_size: 512
    .name:           _ZN7rocprim17ROCPRIM_400000_NS6detail17trampoline_kernelINS0_14default_configENS1_25partition_config_selectorILNS1_17partition_subalgoE9EllbEEZZNS1_14partition_implILS5_9ELb0ES3_jPlS8_PNS0_10empty_typeENS0_5tupleIJS8_S9_EEENSB_IJS8_SA_EEENS0_18inequality_wrapperIZN2at6native12_GLOBAL__N_124unique_dim_cuda_templateIdEESt5tupleIJNSF_6TensorESK_SK_EERKSK_lbbbEUlllE0_EEPmJS9_EEE10hipError_tPvRmT3_T4_T5_T6_T7_T9_mT8_P12ihipStream_tbDpT10_ENKUlT_T0_E_clISt17integral_constantIbLb1EES1A_EEDaS15_S16_EUlS15_E_NS1_11comp_targetILNS1_3genE9ELNS1_11target_archE1100ELNS1_3gpuE3ELNS1_3repE0EEENS1_30default_config_static_selectorELNS0_4arch9wavefront6targetE1EEEvT1_
    .private_segment_fixed_size: 0
    .sgpr_count:     6
    .sgpr_spill_count: 0
    .symbol:         _ZN7rocprim17ROCPRIM_400000_NS6detail17trampoline_kernelINS0_14default_configENS1_25partition_config_selectorILNS1_17partition_subalgoE9EllbEEZZNS1_14partition_implILS5_9ELb0ES3_jPlS8_PNS0_10empty_typeENS0_5tupleIJS8_S9_EEENSB_IJS8_SA_EEENS0_18inequality_wrapperIZN2at6native12_GLOBAL__N_124unique_dim_cuda_templateIdEESt5tupleIJNSF_6TensorESK_SK_EERKSK_lbbbEUlllE0_EEPmJS9_EEE10hipError_tPvRmT3_T4_T5_T6_T7_T9_mT8_P12ihipStream_tbDpT10_ENKUlT_T0_E_clISt17integral_constantIbLb1EES1A_EEDaS15_S16_EUlS15_E_NS1_11comp_targetILNS1_3genE9ELNS1_11target_archE1100ELNS1_3gpuE3ELNS1_3repE0EEENS1_30default_config_static_selectorELNS0_4arch9wavefront6targetE1EEEvT1_.kd
    .uniform_work_group_size: 1
    .uses_dynamic_stack: false
    .vgpr_count:     0
    .vgpr_spill_count: 0
    .wavefront_size: 64
  - .agpr_count:     0
    .args:
      - .offset:         0
        .size:           136
        .value_kind:     by_value
    .group_segment_fixed_size: 0
    .kernarg_segment_align: 8
    .kernarg_segment_size: 136
    .language:       OpenCL C
    .language_version:
      - 2
      - 0
    .max_flat_workgroup_size: 512
    .name:           _ZN7rocprim17ROCPRIM_400000_NS6detail17trampoline_kernelINS0_14default_configENS1_25partition_config_selectorILNS1_17partition_subalgoE9EllbEEZZNS1_14partition_implILS5_9ELb0ES3_jPlS8_PNS0_10empty_typeENS0_5tupleIJS8_S9_EEENSB_IJS8_SA_EEENS0_18inequality_wrapperIZN2at6native12_GLOBAL__N_124unique_dim_cuda_templateIdEESt5tupleIJNSF_6TensorESK_SK_EERKSK_lbbbEUlllE0_EEPmJS9_EEE10hipError_tPvRmT3_T4_T5_T6_T7_T9_mT8_P12ihipStream_tbDpT10_ENKUlT_T0_E_clISt17integral_constantIbLb1EES1A_EEDaS15_S16_EUlS15_E_NS1_11comp_targetILNS1_3genE8ELNS1_11target_archE1030ELNS1_3gpuE2ELNS1_3repE0EEENS1_30default_config_static_selectorELNS0_4arch9wavefront6targetE1EEEvT1_
    .private_segment_fixed_size: 0
    .sgpr_count:     6
    .sgpr_spill_count: 0
    .symbol:         _ZN7rocprim17ROCPRIM_400000_NS6detail17trampoline_kernelINS0_14default_configENS1_25partition_config_selectorILNS1_17partition_subalgoE9EllbEEZZNS1_14partition_implILS5_9ELb0ES3_jPlS8_PNS0_10empty_typeENS0_5tupleIJS8_S9_EEENSB_IJS8_SA_EEENS0_18inequality_wrapperIZN2at6native12_GLOBAL__N_124unique_dim_cuda_templateIdEESt5tupleIJNSF_6TensorESK_SK_EERKSK_lbbbEUlllE0_EEPmJS9_EEE10hipError_tPvRmT3_T4_T5_T6_T7_T9_mT8_P12ihipStream_tbDpT10_ENKUlT_T0_E_clISt17integral_constantIbLb1EES1A_EEDaS15_S16_EUlS15_E_NS1_11comp_targetILNS1_3genE8ELNS1_11target_archE1030ELNS1_3gpuE2ELNS1_3repE0EEENS1_30default_config_static_selectorELNS0_4arch9wavefront6targetE1EEEvT1_.kd
    .uniform_work_group_size: 1
    .uses_dynamic_stack: false
    .vgpr_count:     0
    .vgpr_spill_count: 0
    .wavefront_size: 64
  - .agpr_count:     0
    .args:
      - .offset:         0
        .size:           120
        .value_kind:     by_value
    .group_segment_fixed_size: 0
    .kernarg_segment_align: 8
    .kernarg_segment_size: 120
    .language:       OpenCL C
    .language_version:
      - 2
      - 0
    .max_flat_workgroup_size: 128
    .name:           _ZN7rocprim17ROCPRIM_400000_NS6detail17trampoline_kernelINS0_14default_configENS1_25partition_config_selectorILNS1_17partition_subalgoE9EllbEEZZNS1_14partition_implILS5_9ELb0ES3_jPlS8_PNS0_10empty_typeENS0_5tupleIJS8_S9_EEENSB_IJS8_SA_EEENS0_18inequality_wrapperIZN2at6native12_GLOBAL__N_124unique_dim_cuda_templateIdEESt5tupleIJNSF_6TensorESK_SK_EERKSK_lbbbEUlllE0_EEPmJS9_EEE10hipError_tPvRmT3_T4_T5_T6_T7_T9_mT8_P12ihipStream_tbDpT10_ENKUlT_T0_E_clISt17integral_constantIbLb1EES19_IbLb0EEEEDaS15_S16_EUlS15_E_NS1_11comp_targetILNS1_3genE0ELNS1_11target_archE4294967295ELNS1_3gpuE0ELNS1_3repE0EEENS1_30default_config_static_selectorELNS0_4arch9wavefront6targetE1EEEvT1_
    .private_segment_fixed_size: 0
    .sgpr_count:     6
    .sgpr_spill_count: 0
    .symbol:         _ZN7rocprim17ROCPRIM_400000_NS6detail17trampoline_kernelINS0_14default_configENS1_25partition_config_selectorILNS1_17partition_subalgoE9EllbEEZZNS1_14partition_implILS5_9ELb0ES3_jPlS8_PNS0_10empty_typeENS0_5tupleIJS8_S9_EEENSB_IJS8_SA_EEENS0_18inequality_wrapperIZN2at6native12_GLOBAL__N_124unique_dim_cuda_templateIdEESt5tupleIJNSF_6TensorESK_SK_EERKSK_lbbbEUlllE0_EEPmJS9_EEE10hipError_tPvRmT3_T4_T5_T6_T7_T9_mT8_P12ihipStream_tbDpT10_ENKUlT_T0_E_clISt17integral_constantIbLb1EES19_IbLb0EEEEDaS15_S16_EUlS15_E_NS1_11comp_targetILNS1_3genE0ELNS1_11target_archE4294967295ELNS1_3gpuE0ELNS1_3repE0EEENS1_30default_config_static_selectorELNS0_4arch9wavefront6targetE1EEEvT1_.kd
    .uniform_work_group_size: 1
    .uses_dynamic_stack: false
    .vgpr_count:     0
    .vgpr_spill_count: 0
    .wavefront_size: 64
  - .agpr_count:     0
    .args:
      - .offset:         0
        .size:           120
        .value_kind:     by_value
    .group_segment_fixed_size: 28684
    .kernarg_segment_align: 8
    .kernarg_segment_size: 120
    .language:       OpenCL C
    .language_version:
      - 2
      - 0
    .max_flat_workgroup_size: 512
    .name:           _ZN7rocprim17ROCPRIM_400000_NS6detail17trampoline_kernelINS0_14default_configENS1_25partition_config_selectorILNS1_17partition_subalgoE9EllbEEZZNS1_14partition_implILS5_9ELb0ES3_jPlS8_PNS0_10empty_typeENS0_5tupleIJS8_S9_EEENSB_IJS8_SA_EEENS0_18inequality_wrapperIZN2at6native12_GLOBAL__N_124unique_dim_cuda_templateIdEESt5tupleIJNSF_6TensorESK_SK_EERKSK_lbbbEUlllE0_EEPmJS9_EEE10hipError_tPvRmT3_T4_T5_T6_T7_T9_mT8_P12ihipStream_tbDpT10_ENKUlT_T0_E_clISt17integral_constantIbLb1EES19_IbLb0EEEEDaS15_S16_EUlS15_E_NS1_11comp_targetILNS1_3genE5ELNS1_11target_archE942ELNS1_3gpuE9ELNS1_3repE0EEENS1_30default_config_static_selectorELNS0_4arch9wavefront6targetE1EEEvT1_
    .private_segment_fixed_size: 0
    .sgpr_count:     58
    .sgpr_spill_count: 0
    .symbol:         _ZN7rocprim17ROCPRIM_400000_NS6detail17trampoline_kernelINS0_14default_configENS1_25partition_config_selectorILNS1_17partition_subalgoE9EllbEEZZNS1_14partition_implILS5_9ELb0ES3_jPlS8_PNS0_10empty_typeENS0_5tupleIJS8_S9_EEENSB_IJS8_SA_EEENS0_18inequality_wrapperIZN2at6native12_GLOBAL__N_124unique_dim_cuda_templateIdEESt5tupleIJNSF_6TensorESK_SK_EERKSK_lbbbEUlllE0_EEPmJS9_EEE10hipError_tPvRmT3_T4_T5_T6_T7_T9_mT8_P12ihipStream_tbDpT10_ENKUlT_T0_E_clISt17integral_constantIbLb1EES19_IbLb0EEEEDaS15_S16_EUlS15_E_NS1_11comp_targetILNS1_3genE5ELNS1_11target_archE942ELNS1_3gpuE9ELNS1_3repE0EEENS1_30default_config_static_selectorELNS0_4arch9wavefront6targetE1EEEvT1_.kd
    .uniform_work_group_size: 1
    .uses_dynamic_stack: false
    .vgpr_count:     66
    .vgpr_spill_count: 0
    .wavefront_size: 64
  - .agpr_count:     0
    .args:
      - .offset:         0
        .size:           120
        .value_kind:     by_value
    .group_segment_fixed_size: 0
    .kernarg_segment_align: 8
    .kernarg_segment_size: 120
    .language:       OpenCL C
    .language_version:
      - 2
      - 0
    .max_flat_workgroup_size: 128
    .name:           _ZN7rocprim17ROCPRIM_400000_NS6detail17trampoline_kernelINS0_14default_configENS1_25partition_config_selectorILNS1_17partition_subalgoE9EllbEEZZNS1_14partition_implILS5_9ELb0ES3_jPlS8_PNS0_10empty_typeENS0_5tupleIJS8_S9_EEENSB_IJS8_SA_EEENS0_18inequality_wrapperIZN2at6native12_GLOBAL__N_124unique_dim_cuda_templateIdEESt5tupleIJNSF_6TensorESK_SK_EERKSK_lbbbEUlllE0_EEPmJS9_EEE10hipError_tPvRmT3_T4_T5_T6_T7_T9_mT8_P12ihipStream_tbDpT10_ENKUlT_T0_E_clISt17integral_constantIbLb1EES19_IbLb0EEEEDaS15_S16_EUlS15_E_NS1_11comp_targetILNS1_3genE4ELNS1_11target_archE910ELNS1_3gpuE8ELNS1_3repE0EEENS1_30default_config_static_selectorELNS0_4arch9wavefront6targetE1EEEvT1_
    .private_segment_fixed_size: 0
    .sgpr_count:     6
    .sgpr_spill_count: 0
    .symbol:         _ZN7rocprim17ROCPRIM_400000_NS6detail17trampoline_kernelINS0_14default_configENS1_25partition_config_selectorILNS1_17partition_subalgoE9EllbEEZZNS1_14partition_implILS5_9ELb0ES3_jPlS8_PNS0_10empty_typeENS0_5tupleIJS8_S9_EEENSB_IJS8_SA_EEENS0_18inequality_wrapperIZN2at6native12_GLOBAL__N_124unique_dim_cuda_templateIdEESt5tupleIJNSF_6TensorESK_SK_EERKSK_lbbbEUlllE0_EEPmJS9_EEE10hipError_tPvRmT3_T4_T5_T6_T7_T9_mT8_P12ihipStream_tbDpT10_ENKUlT_T0_E_clISt17integral_constantIbLb1EES19_IbLb0EEEEDaS15_S16_EUlS15_E_NS1_11comp_targetILNS1_3genE4ELNS1_11target_archE910ELNS1_3gpuE8ELNS1_3repE0EEENS1_30default_config_static_selectorELNS0_4arch9wavefront6targetE1EEEvT1_.kd
    .uniform_work_group_size: 1
    .uses_dynamic_stack: false
    .vgpr_count:     0
    .vgpr_spill_count: 0
    .wavefront_size: 64
  - .agpr_count:     0
    .args:
      - .offset:         0
        .size:           120
        .value_kind:     by_value
    .group_segment_fixed_size: 0
    .kernarg_segment_align: 8
    .kernarg_segment_size: 120
    .language:       OpenCL C
    .language_version:
      - 2
      - 0
    .max_flat_workgroup_size: 128
    .name:           _ZN7rocprim17ROCPRIM_400000_NS6detail17trampoline_kernelINS0_14default_configENS1_25partition_config_selectorILNS1_17partition_subalgoE9EllbEEZZNS1_14partition_implILS5_9ELb0ES3_jPlS8_PNS0_10empty_typeENS0_5tupleIJS8_S9_EEENSB_IJS8_SA_EEENS0_18inequality_wrapperIZN2at6native12_GLOBAL__N_124unique_dim_cuda_templateIdEESt5tupleIJNSF_6TensorESK_SK_EERKSK_lbbbEUlllE0_EEPmJS9_EEE10hipError_tPvRmT3_T4_T5_T6_T7_T9_mT8_P12ihipStream_tbDpT10_ENKUlT_T0_E_clISt17integral_constantIbLb1EES19_IbLb0EEEEDaS15_S16_EUlS15_E_NS1_11comp_targetILNS1_3genE3ELNS1_11target_archE908ELNS1_3gpuE7ELNS1_3repE0EEENS1_30default_config_static_selectorELNS0_4arch9wavefront6targetE1EEEvT1_
    .private_segment_fixed_size: 0
    .sgpr_count:     6
    .sgpr_spill_count: 0
    .symbol:         _ZN7rocprim17ROCPRIM_400000_NS6detail17trampoline_kernelINS0_14default_configENS1_25partition_config_selectorILNS1_17partition_subalgoE9EllbEEZZNS1_14partition_implILS5_9ELb0ES3_jPlS8_PNS0_10empty_typeENS0_5tupleIJS8_S9_EEENSB_IJS8_SA_EEENS0_18inequality_wrapperIZN2at6native12_GLOBAL__N_124unique_dim_cuda_templateIdEESt5tupleIJNSF_6TensorESK_SK_EERKSK_lbbbEUlllE0_EEPmJS9_EEE10hipError_tPvRmT3_T4_T5_T6_T7_T9_mT8_P12ihipStream_tbDpT10_ENKUlT_T0_E_clISt17integral_constantIbLb1EES19_IbLb0EEEEDaS15_S16_EUlS15_E_NS1_11comp_targetILNS1_3genE3ELNS1_11target_archE908ELNS1_3gpuE7ELNS1_3repE0EEENS1_30default_config_static_selectorELNS0_4arch9wavefront6targetE1EEEvT1_.kd
    .uniform_work_group_size: 1
    .uses_dynamic_stack: false
    .vgpr_count:     0
    .vgpr_spill_count: 0
    .wavefront_size: 64
  - .agpr_count:     0
    .args:
      - .offset:         0
        .size:           120
        .value_kind:     by_value
    .group_segment_fixed_size: 0
    .kernarg_segment_align: 8
    .kernarg_segment_size: 120
    .language:       OpenCL C
    .language_version:
      - 2
      - 0
    .max_flat_workgroup_size: 192
    .name:           _ZN7rocprim17ROCPRIM_400000_NS6detail17trampoline_kernelINS0_14default_configENS1_25partition_config_selectorILNS1_17partition_subalgoE9EllbEEZZNS1_14partition_implILS5_9ELb0ES3_jPlS8_PNS0_10empty_typeENS0_5tupleIJS8_S9_EEENSB_IJS8_SA_EEENS0_18inequality_wrapperIZN2at6native12_GLOBAL__N_124unique_dim_cuda_templateIdEESt5tupleIJNSF_6TensorESK_SK_EERKSK_lbbbEUlllE0_EEPmJS9_EEE10hipError_tPvRmT3_T4_T5_T6_T7_T9_mT8_P12ihipStream_tbDpT10_ENKUlT_T0_E_clISt17integral_constantIbLb1EES19_IbLb0EEEEDaS15_S16_EUlS15_E_NS1_11comp_targetILNS1_3genE2ELNS1_11target_archE906ELNS1_3gpuE6ELNS1_3repE0EEENS1_30default_config_static_selectorELNS0_4arch9wavefront6targetE1EEEvT1_
    .private_segment_fixed_size: 0
    .sgpr_count:     6
    .sgpr_spill_count: 0
    .symbol:         _ZN7rocprim17ROCPRIM_400000_NS6detail17trampoline_kernelINS0_14default_configENS1_25partition_config_selectorILNS1_17partition_subalgoE9EllbEEZZNS1_14partition_implILS5_9ELb0ES3_jPlS8_PNS0_10empty_typeENS0_5tupleIJS8_S9_EEENSB_IJS8_SA_EEENS0_18inequality_wrapperIZN2at6native12_GLOBAL__N_124unique_dim_cuda_templateIdEESt5tupleIJNSF_6TensorESK_SK_EERKSK_lbbbEUlllE0_EEPmJS9_EEE10hipError_tPvRmT3_T4_T5_T6_T7_T9_mT8_P12ihipStream_tbDpT10_ENKUlT_T0_E_clISt17integral_constantIbLb1EES19_IbLb0EEEEDaS15_S16_EUlS15_E_NS1_11comp_targetILNS1_3genE2ELNS1_11target_archE906ELNS1_3gpuE6ELNS1_3repE0EEENS1_30default_config_static_selectorELNS0_4arch9wavefront6targetE1EEEvT1_.kd
    .uniform_work_group_size: 1
    .uses_dynamic_stack: false
    .vgpr_count:     0
    .vgpr_spill_count: 0
    .wavefront_size: 64
  - .agpr_count:     0
    .args:
      - .offset:         0
        .size:           120
        .value_kind:     by_value
    .group_segment_fixed_size: 0
    .kernarg_segment_align: 8
    .kernarg_segment_size: 120
    .language:       OpenCL C
    .language_version:
      - 2
      - 0
    .max_flat_workgroup_size: 384
    .name:           _ZN7rocprim17ROCPRIM_400000_NS6detail17trampoline_kernelINS0_14default_configENS1_25partition_config_selectorILNS1_17partition_subalgoE9EllbEEZZNS1_14partition_implILS5_9ELb0ES3_jPlS8_PNS0_10empty_typeENS0_5tupleIJS8_S9_EEENSB_IJS8_SA_EEENS0_18inequality_wrapperIZN2at6native12_GLOBAL__N_124unique_dim_cuda_templateIdEESt5tupleIJNSF_6TensorESK_SK_EERKSK_lbbbEUlllE0_EEPmJS9_EEE10hipError_tPvRmT3_T4_T5_T6_T7_T9_mT8_P12ihipStream_tbDpT10_ENKUlT_T0_E_clISt17integral_constantIbLb1EES19_IbLb0EEEEDaS15_S16_EUlS15_E_NS1_11comp_targetILNS1_3genE10ELNS1_11target_archE1200ELNS1_3gpuE4ELNS1_3repE0EEENS1_30default_config_static_selectorELNS0_4arch9wavefront6targetE1EEEvT1_
    .private_segment_fixed_size: 0
    .sgpr_count:     6
    .sgpr_spill_count: 0
    .symbol:         _ZN7rocprim17ROCPRIM_400000_NS6detail17trampoline_kernelINS0_14default_configENS1_25partition_config_selectorILNS1_17partition_subalgoE9EllbEEZZNS1_14partition_implILS5_9ELb0ES3_jPlS8_PNS0_10empty_typeENS0_5tupleIJS8_S9_EEENSB_IJS8_SA_EEENS0_18inequality_wrapperIZN2at6native12_GLOBAL__N_124unique_dim_cuda_templateIdEESt5tupleIJNSF_6TensorESK_SK_EERKSK_lbbbEUlllE0_EEPmJS9_EEE10hipError_tPvRmT3_T4_T5_T6_T7_T9_mT8_P12ihipStream_tbDpT10_ENKUlT_T0_E_clISt17integral_constantIbLb1EES19_IbLb0EEEEDaS15_S16_EUlS15_E_NS1_11comp_targetILNS1_3genE10ELNS1_11target_archE1200ELNS1_3gpuE4ELNS1_3repE0EEENS1_30default_config_static_selectorELNS0_4arch9wavefront6targetE1EEEvT1_.kd
    .uniform_work_group_size: 1
    .uses_dynamic_stack: false
    .vgpr_count:     0
    .vgpr_spill_count: 0
    .wavefront_size: 64
  - .agpr_count:     0
    .args:
      - .offset:         0
        .size:           120
        .value_kind:     by_value
    .group_segment_fixed_size: 0
    .kernarg_segment_align: 8
    .kernarg_segment_size: 120
    .language:       OpenCL C
    .language_version:
      - 2
      - 0
    .max_flat_workgroup_size: 512
    .name:           _ZN7rocprim17ROCPRIM_400000_NS6detail17trampoline_kernelINS0_14default_configENS1_25partition_config_selectorILNS1_17partition_subalgoE9EllbEEZZNS1_14partition_implILS5_9ELb0ES3_jPlS8_PNS0_10empty_typeENS0_5tupleIJS8_S9_EEENSB_IJS8_SA_EEENS0_18inequality_wrapperIZN2at6native12_GLOBAL__N_124unique_dim_cuda_templateIdEESt5tupleIJNSF_6TensorESK_SK_EERKSK_lbbbEUlllE0_EEPmJS9_EEE10hipError_tPvRmT3_T4_T5_T6_T7_T9_mT8_P12ihipStream_tbDpT10_ENKUlT_T0_E_clISt17integral_constantIbLb1EES19_IbLb0EEEEDaS15_S16_EUlS15_E_NS1_11comp_targetILNS1_3genE9ELNS1_11target_archE1100ELNS1_3gpuE3ELNS1_3repE0EEENS1_30default_config_static_selectorELNS0_4arch9wavefront6targetE1EEEvT1_
    .private_segment_fixed_size: 0
    .sgpr_count:     6
    .sgpr_spill_count: 0
    .symbol:         _ZN7rocprim17ROCPRIM_400000_NS6detail17trampoline_kernelINS0_14default_configENS1_25partition_config_selectorILNS1_17partition_subalgoE9EllbEEZZNS1_14partition_implILS5_9ELb0ES3_jPlS8_PNS0_10empty_typeENS0_5tupleIJS8_S9_EEENSB_IJS8_SA_EEENS0_18inequality_wrapperIZN2at6native12_GLOBAL__N_124unique_dim_cuda_templateIdEESt5tupleIJNSF_6TensorESK_SK_EERKSK_lbbbEUlllE0_EEPmJS9_EEE10hipError_tPvRmT3_T4_T5_T6_T7_T9_mT8_P12ihipStream_tbDpT10_ENKUlT_T0_E_clISt17integral_constantIbLb1EES19_IbLb0EEEEDaS15_S16_EUlS15_E_NS1_11comp_targetILNS1_3genE9ELNS1_11target_archE1100ELNS1_3gpuE3ELNS1_3repE0EEENS1_30default_config_static_selectorELNS0_4arch9wavefront6targetE1EEEvT1_.kd
    .uniform_work_group_size: 1
    .uses_dynamic_stack: false
    .vgpr_count:     0
    .vgpr_spill_count: 0
    .wavefront_size: 64
  - .agpr_count:     0
    .args:
      - .offset:         0
        .size:           120
        .value_kind:     by_value
    .group_segment_fixed_size: 0
    .kernarg_segment_align: 8
    .kernarg_segment_size: 120
    .language:       OpenCL C
    .language_version:
      - 2
      - 0
    .max_flat_workgroup_size: 512
    .name:           _ZN7rocprim17ROCPRIM_400000_NS6detail17trampoline_kernelINS0_14default_configENS1_25partition_config_selectorILNS1_17partition_subalgoE9EllbEEZZNS1_14partition_implILS5_9ELb0ES3_jPlS8_PNS0_10empty_typeENS0_5tupleIJS8_S9_EEENSB_IJS8_SA_EEENS0_18inequality_wrapperIZN2at6native12_GLOBAL__N_124unique_dim_cuda_templateIdEESt5tupleIJNSF_6TensorESK_SK_EERKSK_lbbbEUlllE0_EEPmJS9_EEE10hipError_tPvRmT3_T4_T5_T6_T7_T9_mT8_P12ihipStream_tbDpT10_ENKUlT_T0_E_clISt17integral_constantIbLb1EES19_IbLb0EEEEDaS15_S16_EUlS15_E_NS1_11comp_targetILNS1_3genE8ELNS1_11target_archE1030ELNS1_3gpuE2ELNS1_3repE0EEENS1_30default_config_static_selectorELNS0_4arch9wavefront6targetE1EEEvT1_
    .private_segment_fixed_size: 0
    .sgpr_count:     6
    .sgpr_spill_count: 0
    .symbol:         _ZN7rocprim17ROCPRIM_400000_NS6detail17trampoline_kernelINS0_14default_configENS1_25partition_config_selectorILNS1_17partition_subalgoE9EllbEEZZNS1_14partition_implILS5_9ELb0ES3_jPlS8_PNS0_10empty_typeENS0_5tupleIJS8_S9_EEENSB_IJS8_SA_EEENS0_18inequality_wrapperIZN2at6native12_GLOBAL__N_124unique_dim_cuda_templateIdEESt5tupleIJNSF_6TensorESK_SK_EERKSK_lbbbEUlllE0_EEPmJS9_EEE10hipError_tPvRmT3_T4_T5_T6_T7_T9_mT8_P12ihipStream_tbDpT10_ENKUlT_T0_E_clISt17integral_constantIbLb1EES19_IbLb0EEEEDaS15_S16_EUlS15_E_NS1_11comp_targetILNS1_3genE8ELNS1_11target_archE1030ELNS1_3gpuE2ELNS1_3repE0EEENS1_30default_config_static_selectorELNS0_4arch9wavefront6targetE1EEEvT1_.kd
    .uniform_work_group_size: 1
    .uses_dynamic_stack: false
    .vgpr_count:     0
    .vgpr_spill_count: 0
    .wavefront_size: 64
  - .agpr_count:     0
    .args:
      - .offset:         0
        .size:           136
        .value_kind:     by_value
    .group_segment_fixed_size: 0
    .kernarg_segment_align: 8
    .kernarg_segment_size: 136
    .language:       OpenCL C
    .language_version:
      - 2
      - 0
    .max_flat_workgroup_size: 128
    .name:           _ZN7rocprim17ROCPRIM_400000_NS6detail17trampoline_kernelINS0_14default_configENS1_25partition_config_selectorILNS1_17partition_subalgoE9EllbEEZZNS1_14partition_implILS5_9ELb0ES3_jPlS8_PNS0_10empty_typeENS0_5tupleIJS8_S9_EEENSB_IJS8_SA_EEENS0_18inequality_wrapperIZN2at6native12_GLOBAL__N_124unique_dim_cuda_templateIdEESt5tupleIJNSF_6TensorESK_SK_EERKSK_lbbbEUlllE0_EEPmJS9_EEE10hipError_tPvRmT3_T4_T5_T6_T7_T9_mT8_P12ihipStream_tbDpT10_ENKUlT_T0_E_clISt17integral_constantIbLb0EES19_IbLb1EEEEDaS15_S16_EUlS15_E_NS1_11comp_targetILNS1_3genE0ELNS1_11target_archE4294967295ELNS1_3gpuE0ELNS1_3repE0EEENS1_30default_config_static_selectorELNS0_4arch9wavefront6targetE1EEEvT1_
    .private_segment_fixed_size: 0
    .sgpr_count:     6
    .sgpr_spill_count: 0
    .symbol:         _ZN7rocprim17ROCPRIM_400000_NS6detail17trampoline_kernelINS0_14default_configENS1_25partition_config_selectorILNS1_17partition_subalgoE9EllbEEZZNS1_14partition_implILS5_9ELb0ES3_jPlS8_PNS0_10empty_typeENS0_5tupleIJS8_S9_EEENSB_IJS8_SA_EEENS0_18inequality_wrapperIZN2at6native12_GLOBAL__N_124unique_dim_cuda_templateIdEESt5tupleIJNSF_6TensorESK_SK_EERKSK_lbbbEUlllE0_EEPmJS9_EEE10hipError_tPvRmT3_T4_T5_T6_T7_T9_mT8_P12ihipStream_tbDpT10_ENKUlT_T0_E_clISt17integral_constantIbLb0EES19_IbLb1EEEEDaS15_S16_EUlS15_E_NS1_11comp_targetILNS1_3genE0ELNS1_11target_archE4294967295ELNS1_3gpuE0ELNS1_3repE0EEENS1_30default_config_static_selectorELNS0_4arch9wavefront6targetE1EEEvT1_.kd
    .uniform_work_group_size: 1
    .uses_dynamic_stack: false
    .vgpr_count:     0
    .vgpr_spill_count: 0
    .wavefront_size: 64
  - .agpr_count:     0
    .args:
      - .offset:         0
        .size:           136
        .value_kind:     by_value
    .group_segment_fixed_size: 28684
    .kernarg_segment_align: 8
    .kernarg_segment_size: 136
    .language:       OpenCL C
    .language_version:
      - 2
      - 0
    .max_flat_workgroup_size: 512
    .name:           _ZN7rocprim17ROCPRIM_400000_NS6detail17trampoline_kernelINS0_14default_configENS1_25partition_config_selectorILNS1_17partition_subalgoE9EllbEEZZNS1_14partition_implILS5_9ELb0ES3_jPlS8_PNS0_10empty_typeENS0_5tupleIJS8_S9_EEENSB_IJS8_SA_EEENS0_18inequality_wrapperIZN2at6native12_GLOBAL__N_124unique_dim_cuda_templateIdEESt5tupleIJNSF_6TensorESK_SK_EERKSK_lbbbEUlllE0_EEPmJS9_EEE10hipError_tPvRmT3_T4_T5_T6_T7_T9_mT8_P12ihipStream_tbDpT10_ENKUlT_T0_E_clISt17integral_constantIbLb0EES19_IbLb1EEEEDaS15_S16_EUlS15_E_NS1_11comp_targetILNS1_3genE5ELNS1_11target_archE942ELNS1_3gpuE9ELNS1_3repE0EEENS1_30default_config_static_selectorELNS0_4arch9wavefront6targetE1EEEvT1_
    .private_segment_fixed_size: 0
    .sgpr_count:     64
    .sgpr_spill_count: 0
    .symbol:         _ZN7rocprim17ROCPRIM_400000_NS6detail17trampoline_kernelINS0_14default_configENS1_25partition_config_selectorILNS1_17partition_subalgoE9EllbEEZZNS1_14partition_implILS5_9ELb0ES3_jPlS8_PNS0_10empty_typeENS0_5tupleIJS8_S9_EEENSB_IJS8_SA_EEENS0_18inequality_wrapperIZN2at6native12_GLOBAL__N_124unique_dim_cuda_templateIdEESt5tupleIJNSF_6TensorESK_SK_EERKSK_lbbbEUlllE0_EEPmJS9_EEE10hipError_tPvRmT3_T4_T5_T6_T7_T9_mT8_P12ihipStream_tbDpT10_ENKUlT_T0_E_clISt17integral_constantIbLb0EES19_IbLb1EEEEDaS15_S16_EUlS15_E_NS1_11comp_targetILNS1_3genE5ELNS1_11target_archE942ELNS1_3gpuE9ELNS1_3repE0EEENS1_30default_config_static_selectorELNS0_4arch9wavefront6targetE1EEEvT1_.kd
    .uniform_work_group_size: 1
    .uses_dynamic_stack: false
    .vgpr_count:     66
    .vgpr_spill_count: 0
    .wavefront_size: 64
  - .agpr_count:     0
    .args:
      - .offset:         0
        .size:           136
        .value_kind:     by_value
    .group_segment_fixed_size: 0
    .kernarg_segment_align: 8
    .kernarg_segment_size: 136
    .language:       OpenCL C
    .language_version:
      - 2
      - 0
    .max_flat_workgroup_size: 128
    .name:           _ZN7rocprim17ROCPRIM_400000_NS6detail17trampoline_kernelINS0_14default_configENS1_25partition_config_selectorILNS1_17partition_subalgoE9EllbEEZZNS1_14partition_implILS5_9ELb0ES3_jPlS8_PNS0_10empty_typeENS0_5tupleIJS8_S9_EEENSB_IJS8_SA_EEENS0_18inequality_wrapperIZN2at6native12_GLOBAL__N_124unique_dim_cuda_templateIdEESt5tupleIJNSF_6TensorESK_SK_EERKSK_lbbbEUlllE0_EEPmJS9_EEE10hipError_tPvRmT3_T4_T5_T6_T7_T9_mT8_P12ihipStream_tbDpT10_ENKUlT_T0_E_clISt17integral_constantIbLb0EES19_IbLb1EEEEDaS15_S16_EUlS15_E_NS1_11comp_targetILNS1_3genE4ELNS1_11target_archE910ELNS1_3gpuE8ELNS1_3repE0EEENS1_30default_config_static_selectorELNS0_4arch9wavefront6targetE1EEEvT1_
    .private_segment_fixed_size: 0
    .sgpr_count:     6
    .sgpr_spill_count: 0
    .symbol:         _ZN7rocprim17ROCPRIM_400000_NS6detail17trampoline_kernelINS0_14default_configENS1_25partition_config_selectorILNS1_17partition_subalgoE9EllbEEZZNS1_14partition_implILS5_9ELb0ES3_jPlS8_PNS0_10empty_typeENS0_5tupleIJS8_S9_EEENSB_IJS8_SA_EEENS0_18inequality_wrapperIZN2at6native12_GLOBAL__N_124unique_dim_cuda_templateIdEESt5tupleIJNSF_6TensorESK_SK_EERKSK_lbbbEUlllE0_EEPmJS9_EEE10hipError_tPvRmT3_T4_T5_T6_T7_T9_mT8_P12ihipStream_tbDpT10_ENKUlT_T0_E_clISt17integral_constantIbLb0EES19_IbLb1EEEEDaS15_S16_EUlS15_E_NS1_11comp_targetILNS1_3genE4ELNS1_11target_archE910ELNS1_3gpuE8ELNS1_3repE0EEENS1_30default_config_static_selectorELNS0_4arch9wavefront6targetE1EEEvT1_.kd
    .uniform_work_group_size: 1
    .uses_dynamic_stack: false
    .vgpr_count:     0
    .vgpr_spill_count: 0
    .wavefront_size: 64
  - .agpr_count:     0
    .args:
      - .offset:         0
        .size:           136
        .value_kind:     by_value
    .group_segment_fixed_size: 0
    .kernarg_segment_align: 8
    .kernarg_segment_size: 136
    .language:       OpenCL C
    .language_version:
      - 2
      - 0
    .max_flat_workgroup_size: 128
    .name:           _ZN7rocprim17ROCPRIM_400000_NS6detail17trampoline_kernelINS0_14default_configENS1_25partition_config_selectorILNS1_17partition_subalgoE9EllbEEZZNS1_14partition_implILS5_9ELb0ES3_jPlS8_PNS0_10empty_typeENS0_5tupleIJS8_S9_EEENSB_IJS8_SA_EEENS0_18inequality_wrapperIZN2at6native12_GLOBAL__N_124unique_dim_cuda_templateIdEESt5tupleIJNSF_6TensorESK_SK_EERKSK_lbbbEUlllE0_EEPmJS9_EEE10hipError_tPvRmT3_T4_T5_T6_T7_T9_mT8_P12ihipStream_tbDpT10_ENKUlT_T0_E_clISt17integral_constantIbLb0EES19_IbLb1EEEEDaS15_S16_EUlS15_E_NS1_11comp_targetILNS1_3genE3ELNS1_11target_archE908ELNS1_3gpuE7ELNS1_3repE0EEENS1_30default_config_static_selectorELNS0_4arch9wavefront6targetE1EEEvT1_
    .private_segment_fixed_size: 0
    .sgpr_count:     6
    .sgpr_spill_count: 0
    .symbol:         _ZN7rocprim17ROCPRIM_400000_NS6detail17trampoline_kernelINS0_14default_configENS1_25partition_config_selectorILNS1_17partition_subalgoE9EllbEEZZNS1_14partition_implILS5_9ELb0ES3_jPlS8_PNS0_10empty_typeENS0_5tupleIJS8_S9_EEENSB_IJS8_SA_EEENS0_18inequality_wrapperIZN2at6native12_GLOBAL__N_124unique_dim_cuda_templateIdEESt5tupleIJNSF_6TensorESK_SK_EERKSK_lbbbEUlllE0_EEPmJS9_EEE10hipError_tPvRmT3_T4_T5_T6_T7_T9_mT8_P12ihipStream_tbDpT10_ENKUlT_T0_E_clISt17integral_constantIbLb0EES19_IbLb1EEEEDaS15_S16_EUlS15_E_NS1_11comp_targetILNS1_3genE3ELNS1_11target_archE908ELNS1_3gpuE7ELNS1_3repE0EEENS1_30default_config_static_selectorELNS0_4arch9wavefront6targetE1EEEvT1_.kd
    .uniform_work_group_size: 1
    .uses_dynamic_stack: false
    .vgpr_count:     0
    .vgpr_spill_count: 0
    .wavefront_size: 64
  - .agpr_count:     0
    .args:
      - .offset:         0
        .size:           136
        .value_kind:     by_value
    .group_segment_fixed_size: 0
    .kernarg_segment_align: 8
    .kernarg_segment_size: 136
    .language:       OpenCL C
    .language_version:
      - 2
      - 0
    .max_flat_workgroup_size: 192
    .name:           _ZN7rocprim17ROCPRIM_400000_NS6detail17trampoline_kernelINS0_14default_configENS1_25partition_config_selectorILNS1_17partition_subalgoE9EllbEEZZNS1_14partition_implILS5_9ELb0ES3_jPlS8_PNS0_10empty_typeENS0_5tupleIJS8_S9_EEENSB_IJS8_SA_EEENS0_18inequality_wrapperIZN2at6native12_GLOBAL__N_124unique_dim_cuda_templateIdEESt5tupleIJNSF_6TensorESK_SK_EERKSK_lbbbEUlllE0_EEPmJS9_EEE10hipError_tPvRmT3_T4_T5_T6_T7_T9_mT8_P12ihipStream_tbDpT10_ENKUlT_T0_E_clISt17integral_constantIbLb0EES19_IbLb1EEEEDaS15_S16_EUlS15_E_NS1_11comp_targetILNS1_3genE2ELNS1_11target_archE906ELNS1_3gpuE6ELNS1_3repE0EEENS1_30default_config_static_selectorELNS0_4arch9wavefront6targetE1EEEvT1_
    .private_segment_fixed_size: 0
    .sgpr_count:     6
    .sgpr_spill_count: 0
    .symbol:         _ZN7rocprim17ROCPRIM_400000_NS6detail17trampoline_kernelINS0_14default_configENS1_25partition_config_selectorILNS1_17partition_subalgoE9EllbEEZZNS1_14partition_implILS5_9ELb0ES3_jPlS8_PNS0_10empty_typeENS0_5tupleIJS8_S9_EEENSB_IJS8_SA_EEENS0_18inequality_wrapperIZN2at6native12_GLOBAL__N_124unique_dim_cuda_templateIdEESt5tupleIJNSF_6TensorESK_SK_EERKSK_lbbbEUlllE0_EEPmJS9_EEE10hipError_tPvRmT3_T4_T5_T6_T7_T9_mT8_P12ihipStream_tbDpT10_ENKUlT_T0_E_clISt17integral_constantIbLb0EES19_IbLb1EEEEDaS15_S16_EUlS15_E_NS1_11comp_targetILNS1_3genE2ELNS1_11target_archE906ELNS1_3gpuE6ELNS1_3repE0EEENS1_30default_config_static_selectorELNS0_4arch9wavefront6targetE1EEEvT1_.kd
    .uniform_work_group_size: 1
    .uses_dynamic_stack: false
    .vgpr_count:     0
    .vgpr_spill_count: 0
    .wavefront_size: 64
  - .agpr_count:     0
    .args:
      - .offset:         0
        .size:           136
        .value_kind:     by_value
    .group_segment_fixed_size: 0
    .kernarg_segment_align: 8
    .kernarg_segment_size: 136
    .language:       OpenCL C
    .language_version:
      - 2
      - 0
    .max_flat_workgroup_size: 384
    .name:           _ZN7rocprim17ROCPRIM_400000_NS6detail17trampoline_kernelINS0_14default_configENS1_25partition_config_selectorILNS1_17partition_subalgoE9EllbEEZZNS1_14partition_implILS5_9ELb0ES3_jPlS8_PNS0_10empty_typeENS0_5tupleIJS8_S9_EEENSB_IJS8_SA_EEENS0_18inequality_wrapperIZN2at6native12_GLOBAL__N_124unique_dim_cuda_templateIdEESt5tupleIJNSF_6TensorESK_SK_EERKSK_lbbbEUlllE0_EEPmJS9_EEE10hipError_tPvRmT3_T4_T5_T6_T7_T9_mT8_P12ihipStream_tbDpT10_ENKUlT_T0_E_clISt17integral_constantIbLb0EES19_IbLb1EEEEDaS15_S16_EUlS15_E_NS1_11comp_targetILNS1_3genE10ELNS1_11target_archE1200ELNS1_3gpuE4ELNS1_3repE0EEENS1_30default_config_static_selectorELNS0_4arch9wavefront6targetE1EEEvT1_
    .private_segment_fixed_size: 0
    .sgpr_count:     6
    .sgpr_spill_count: 0
    .symbol:         _ZN7rocprim17ROCPRIM_400000_NS6detail17trampoline_kernelINS0_14default_configENS1_25partition_config_selectorILNS1_17partition_subalgoE9EllbEEZZNS1_14partition_implILS5_9ELb0ES3_jPlS8_PNS0_10empty_typeENS0_5tupleIJS8_S9_EEENSB_IJS8_SA_EEENS0_18inequality_wrapperIZN2at6native12_GLOBAL__N_124unique_dim_cuda_templateIdEESt5tupleIJNSF_6TensorESK_SK_EERKSK_lbbbEUlllE0_EEPmJS9_EEE10hipError_tPvRmT3_T4_T5_T6_T7_T9_mT8_P12ihipStream_tbDpT10_ENKUlT_T0_E_clISt17integral_constantIbLb0EES19_IbLb1EEEEDaS15_S16_EUlS15_E_NS1_11comp_targetILNS1_3genE10ELNS1_11target_archE1200ELNS1_3gpuE4ELNS1_3repE0EEENS1_30default_config_static_selectorELNS0_4arch9wavefront6targetE1EEEvT1_.kd
    .uniform_work_group_size: 1
    .uses_dynamic_stack: false
    .vgpr_count:     0
    .vgpr_spill_count: 0
    .wavefront_size: 64
  - .agpr_count:     0
    .args:
      - .offset:         0
        .size:           136
        .value_kind:     by_value
    .group_segment_fixed_size: 0
    .kernarg_segment_align: 8
    .kernarg_segment_size: 136
    .language:       OpenCL C
    .language_version:
      - 2
      - 0
    .max_flat_workgroup_size: 512
    .name:           _ZN7rocprim17ROCPRIM_400000_NS6detail17trampoline_kernelINS0_14default_configENS1_25partition_config_selectorILNS1_17partition_subalgoE9EllbEEZZNS1_14partition_implILS5_9ELb0ES3_jPlS8_PNS0_10empty_typeENS0_5tupleIJS8_S9_EEENSB_IJS8_SA_EEENS0_18inequality_wrapperIZN2at6native12_GLOBAL__N_124unique_dim_cuda_templateIdEESt5tupleIJNSF_6TensorESK_SK_EERKSK_lbbbEUlllE0_EEPmJS9_EEE10hipError_tPvRmT3_T4_T5_T6_T7_T9_mT8_P12ihipStream_tbDpT10_ENKUlT_T0_E_clISt17integral_constantIbLb0EES19_IbLb1EEEEDaS15_S16_EUlS15_E_NS1_11comp_targetILNS1_3genE9ELNS1_11target_archE1100ELNS1_3gpuE3ELNS1_3repE0EEENS1_30default_config_static_selectorELNS0_4arch9wavefront6targetE1EEEvT1_
    .private_segment_fixed_size: 0
    .sgpr_count:     6
    .sgpr_spill_count: 0
    .symbol:         _ZN7rocprim17ROCPRIM_400000_NS6detail17trampoline_kernelINS0_14default_configENS1_25partition_config_selectorILNS1_17partition_subalgoE9EllbEEZZNS1_14partition_implILS5_9ELb0ES3_jPlS8_PNS0_10empty_typeENS0_5tupleIJS8_S9_EEENSB_IJS8_SA_EEENS0_18inequality_wrapperIZN2at6native12_GLOBAL__N_124unique_dim_cuda_templateIdEESt5tupleIJNSF_6TensorESK_SK_EERKSK_lbbbEUlllE0_EEPmJS9_EEE10hipError_tPvRmT3_T4_T5_T6_T7_T9_mT8_P12ihipStream_tbDpT10_ENKUlT_T0_E_clISt17integral_constantIbLb0EES19_IbLb1EEEEDaS15_S16_EUlS15_E_NS1_11comp_targetILNS1_3genE9ELNS1_11target_archE1100ELNS1_3gpuE3ELNS1_3repE0EEENS1_30default_config_static_selectorELNS0_4arch9wavefront6targetE1EEEvT1_.kd
    .uniform_work_group_size: 1
    .uses_dynamic_stack: false
    .vgpr_count:     0
    .vgpr_spill_count: 0
    .wavefront_size: 64
  - .agpr_count:     0
    .args:
      - .offset:         0
        .size:           136
        .value_kind:     by_value
    .group_segment_fixed_size: 0
    .kernarg_segment_align: 8
    .kernarg_segment_size: 136
    .language:       OpenCL C
    .language_version:
      - 2
      - 0
    .max_flat_workgroup_size: 512
    .name:           _ZN7rocprim17ROCPRIM_400000_NS6detail17trampoline_kernelINS0_14default_configENS1_25partition_config_selectorILNS1_17partition_subalgoE9EllbEEZZNS1_14partition_implILS5_9ELb0ES3_jPlS8_PNS0_10empty_typeENS0_5tupleIJS8_S9_EEENSB_IJS8_SA_EEENS0_18inequality_wrapperIZN2at6native12_GLOBAL__N_124unique_dim_cuda_templateIdEESt5tupleIJNSF_6TensorESK_SK_EERKSK_lbbbEUlllE0_EEPmJS9_EEE10hipError_tPvRmT3_T4_T5_T6_T7_T9_mT8_P12ihipStream_tbDpT10_ENKUlT_T0_E_clISt17integral_constantIbLb0EES19_IbLb1EEEEDaS15_S16_EUlS15_E_NS1_11comp_targetILNS1_3genE8ELNS1_11target_archE1030ELNS1_3gpuE2ELNS1_3repE0EEENS1_30default_config_static_selectorELNS0_4arch9wavefront6targetE1EEEvT1_
    .private_segment_fixed_size: 0
    .sgpr_count:     6
    .sgpr_spill_count: 0
    .symbol:         _ZN7rocprim17ROCPRIM_400000_NS6detail17trampoline_kernelINS0_14default_configENS1_25partition_config_selectorILNS1_17partition_subalgoE9EllbEEZZNS1_14partition_implILS5_9ELb0ES3_jPlS8_PNS0_10empty_typeENS0_5tupleIJS8_S9_EEENSB_IJS8_SA_EEENS0_18inequality_wrapperIZN2at6native12_GLOBAL__N_124unique_dim_cuda_templateIdEESt5tupleIJNSF_6TensorESK_SK_EERKSK_lbbbEUlllE0_EEPmJS9_EEE10hipError_tPvRmT3_T4_T5_T6_T7_T9_mT8_P12ihipStream_tbDpT10_ENKUlT_T0_E_clISt17integral_constantIbLb0EES19_IbLb1EEEEDaS15_S16_EUlS15_E_NS1_11comp_targetILNS1_3genE8ELNS1_11target_archE1030ELNS1_3gpuE2ELNS1_3repE0EEENS1_30default_config_static_selectorELNS0_4arch9wavefront6targetE1EEEvT1_.kd
    .uniform_work_group_size: 1
    .uses_dynamic_stack: false
    .vgpr_count:     0
    .vgpr_spill_count: 0
    .wavefront_size: 64
  - .agpr_count:     0
    .args:
      - .offset:         0
        .size:           72
        .value_kind:     by_value
    .group_segment_fixed_size: 0
    .kernarg_segment_align: 8
    .kernarg_segment_size: 72
    .language:       OpenCL C
    .language_version:
      - 2
      - 0
    .max_flat_workgroup_size: 256
    .name:           _ZN7rocprim17ROCPRIM_400000_NS6detail17trampoline_kernelINS0_14default_configENS1_37merge_sort_block_sort_config_selectorIlNS0_10empty_typeEEEZNS1_21merge_sort_block_sortIS3_PlS8_PS5_S9_ZN2at6native12_GLOBAL__N_124unique_dim_cuda_templateIfEESt5tupleIJNSA_6TensorESF_SF_EERKSF_lbbbEUlllE_EE10hipError_tT0_T1_T2_T3_mRjT4_P12ihipStream_tbNS1_7vsmem_tEEUlT_E_NS1_11comp_targetILNS1_3genE0ELNS1_11target_archE4294967295ELNS1_3gpuE0ELNS1_3repE0EEENS1_30default_config_static_selectorELNS0_4arch9wavefront6targetE1EEEvSM_
    .private_segment_fixed_size: 0
    .sgpr_count:     6
    .sgpr_spill_count: 0
    .symbol:         _ZN7rocprim17ROCPRIM_400000_NS6detail17trampoline_kernelINS0_14default_configENS1_37merge_sort_block_sort_config_selectorIlNS0_10empty_typeEEEZNS1_21merge_sort_block_sortIS3_PlS8_PS5_S9_ZN2at6native12_GLOBAL__N_124unique_dim_cuda_templateIfEESt5tupleIJNSA_6TensorESF_SF_EERKSF_lbbbEUlllE_EE10hipError_tT0_T1_T2_T3_mRjT4_P12ihipStream_tbNS1_7vsmem_tEEUlT_E_NS1_11comp_targetILNS1_3genE0ELNS1_11target_archE4294967295ELNS1_3gpuE0ELNS1_3repE0EEENS1_30default_config_static_selectorELNS0_4arch9wavefront6targetE1EEEvSM_.kd
    .uniform_work_group_size: 1
    .uses_dynamic_stack: false
    .vgpr_count:     0
    .vgpr_spill_count: 0
    .wavefront_size: 64
  - .agpr_count:     0
    .args:
      - .offset:         0
        .size:           72
        .value_kind:     by_value
      - .offset:         72
        .size:           4
        .value_kind:     hidden_block_count_x
      - .offset:         76
        .size:           4
        .value_kind:     hidden_block_count_y
      - .offset:         80
        .size:           4
        .value_kind:     hidden_block_count_z
      - .offset:         84
        .size:           2
        .value_kind:     hidden_group_size_x
      - .offset:         86
        .size:           2
        .value_kind:     hidden_group_size_y
      - .offset:         88
        .size:           2
        .value_kind:     hidden_group_size_z
      - .offset:         90
        .size:           2
        .value_kind:     hidden_remainder_x
      - .offset:         92
        .size:           2
        .value_kind:     hidden_remainder_y
      - .offset:         94
        .size:           2
        .value_kind:     hidden_remainder_z
      - .offset:         112
        .size:           8
        .value_kind:     hidden_global_offset_x
      - .offset:         120
        .size:           8
        .value_kind:     hidden_global_offset_y
      - .offset:         128
        .size:           8
        .value_kind:     hidden_global_offset_z
      - .offset:         136
        .size:           2
        .value_kind:     hidden_grid_dims
      - .offset:         152
        .size:           8
        .value_kind:     hidden_hostcall_buffer
      - .offset:         160
        .size:           8
        .value_kind:     hidden_multigrid_sync_arg
      - .offset:         168
        .size:           8
        .value_kind:     hidden_heap_v1
      - .offset:         176
        .size:           8
        .value_kind:     hidden_default_queue
      - .offset:         184
        .size:           8
        .value_kind:     hidden_completion_action
      - .offset:         272
        .size:           8
        .value_kind:     hidden_queue_ptr
    .group_segment_fixed_size: 16896
    .kernarg_segment_align: 8
    .kernarg_segment_size: 328
    .language:       OpenCL C
    .language_version:
      - 2
      - 0
    .max_flat_workgroup_size: 256
    .name:           _ZN7rocprim17ROCPRIM_400000_NS6detail17trampoline_kernelINS0_14default_configENS1_37merge_sort_block_sort_config_selectorIlNS0_10empty_typeEEEZNS1_21merge_sort_block_sortIS3_PlS8_PS5_S9_ZN2at6native12_GLOBAL__N_124unique_dim_cuda_templateIfEESt5tupleIJNSA_6TensorESF_SF_EERKSF_lbbbEUlllE_EE10hipError_tT0_T1_T2_T3_mRjT4_P12ihipStream_tbNS1_7vsmem_tEEUlT_E_NS1_11comp_targetILNS1_3genE5ELNS1_11target_archE942ELNS1_3gpuE9ELNS1_3repE0EEENS1_30default_config_static_selectorELNS0_4arch9wavefront6targetE1EEEvSM_
    .private_segment_fixed_size: 8
    .sgpr_count:     77
    .sgpr_spill_count: 0
    .symbol:         _ZN7rocprim17ROCPRIM_400000_NS6detail17trampoline_kernelINS0_14default_configENS1_37merge_sort_block_sort_config_selectorIlNS0_10empty_typeEEEZNS1_21merge_sort_block_sortIS3_PlS8_PS5_S9_ZN2at6native12_GLOBAL__N_124unique_dim_cuda_templateIfEESt5tupleIJNSA_6TensorESF_SF_EERKSF_lbbbEUlllE_EE10hipError_tT0_T1_T2_T3_mRjT4_P12ihipStream_tbNS1_7vsmem_tEEUlT_E_NS1_11comp_targetILNS1_3genE5ELNS1_11target_archE942ELNS1_3gpuE9ELNS1_3repE0EEENS1_30default_config_static_selectorELNS0_4arch9wavefront6targetE1EEEvSM_.kd
    .uniform_work_group_size: 1
    .uses_dynamic_stack: false
    .vgpr_count:     129
    .vgpr_spill_count: 0
    .wavefront_size: 64
  - .agpr_count:     0
    .args:
      - .offset:         0
        .size:           72
        .value_kind:     by_value
    .group_segment_fixed_size: 0
    .kernarg_segment_align: 8
    .kernarg_segment_size: 72
    .language:       OpenCL C
    .language_version:
      - 2
      - 0
    .max_flat_workgroup_size: 256
    .name:           _ZN7rocprim17ROCPRIM_400000_NS6detail17trampoline_kernelINS0_14default_configENS1_37merge_sort_block_sort_config_selectorIlNS0_10empty_typeEEEZNS1_21merge_sort_block_sortIS3_PlS8_PS5_S9_ZN2at6native12_GLOBAL__N_124unique_dim_cuda_templateIfEESt5tupleIJNSA_6TensorESF_SF_EERKSF_lbbbEUlllE_EE10hipError_tT0_T1_T2_T3_mRjT4_P12ihipStream_tbNS1_7vsmem_tEEUlT_E_NS1_11comp_targetILNS1_3genE4ELNS1_11target_archE910ELNS1_3gpuE8ELNS1_3repE0EEENS1_30default_config_static_selectorELNS0_4arch9wavefront6targetE1EEEvSM_
    .private_segment_fixed_size: 0
    .sgpr_count:     6
    .sgpr_spill_count: 0
    .symbol:         _ZN7rocprim17ROCPRIM_400000_NS6detail17trampoline_kernelINS0_14default_configENS1_37merge_sort_block_sort_config_selectorIlNS0_10empty_typeEEEZNS1_21merge_sort_block_sortIS3_PlS8_PS5_S9_ZN2at6native12_GLOBAL__N_124unique_dim_cuda_templateIfEESt5tupleIJNSA_6TensorESF_SF_EERKSF_lbbbEUlllE_EE10hipError_tT0_T1_T2_T3_mRjT4_P12ihipStream_tbNS1_7vsmem_tEEUlT_E_NS1_11comp_targetILNS1_3genE4ELNS1_11target_archE910ELNS1_3gpuE8ELNS1_3repE0EEENS1_30default_config_static_selectorELNS0_4arch9wavefront6targetE1EEEvSM_.kd
    .uniform_work_group_size: 1
    .uses_dynamic_stack: false
    .vgpr_count:     0
    .vgpr_spill_count: 0
    .wavefront_size: 64
  - .agpr_count:     0
    .args:
      - .offset:         0
        .size:           72
        .value_kind:     by_value
    .group_segment_fixed_size: 0
    .kernarg_segment_align: 8
    .kernarg_segment_size: 72
    .language:       OpenCL C
    .language_version:
      - 2
      - 0
    .max_flat_workgroup_size: 256
    .name:           _ZN7rocprim17ROCPRIM_400000_NS6detail17trampoline_kernelINS0_14default_configENS1_37merge_sort_block_sort_config_selectorIlNS0_10empty_typeEEEZNS1_21merge_sort_block_sortIS3_PlS8_PS5_S9_ZN2at6native12_GLOBAL__N_124unique_dim_cuda_templateIfEESt5tupleIJNSA_6TensorESF_SF_EERKSF_lbbbEUlllE_EE10hipError_tT0_T1_T2_T3_mRjT4_P12ihipStream_tbNS1_7vsmem_tEEUlT_E_NS1_11comp_targetILNS1_3genE3ELNS1_11target_archE908ELNS1_3gpuE7ELNS1_3repE0EEENS1_30default_config_static_selectorELNS0_4arch9wavefront6targetE1EEEvSM_
    .private_segment_fixed_size: 0
    .sgpr_count:     6
    .sgpr_spill_count: 0
    .symbol:         _ZN7rocprim17ROCPRIM_400000_NS6detail17trampoline_kernelINS0_14default_configENS1_37merge_sort_block_sort_config_selectorIlNS0_10empty_typeEEEZNS1_21merge_sort_block_sortIS3_PlS8_PS5_S9_ZN2at6native12_GLOBAL__N_124unique_dim_cuda_templateIfEESt5tupleIJNSA_6TensorESF_SF_EERKSF_lbbbEUlllE_EE10hipError_tT0_T1_T2_T3_mRjT4_P12ihipStream_tbNS1_7vsmem_tEEUlT_E_NS1_11comp_targetILNS1_3genE3ELNS1_11target_archE908ELNS1_3gpuE7ELNS1_3repE0EEENS1_30default_config_static_selectorELNS0_4arch9wavefront6targetE1EEEvSM_.kd
    .uniform_work_group_size: 1
    .uses_dynamic_stack: false
    .vgpr_count:     0
    .vgpr_spill_count: 0
    .wavefront_size: 64
  - .agpr_count:     0
    .args:
      - .offset:         0
        .size:           72
        .value_kind:     by_value
    .group_segment_fixed_size: 0
    .kernarg_segment_align: 8
    .kernarg_segment_size: 72
    .language:       OpenCL C
    .language_version:
      - 2
      - 0
    .max_flat_workgroup_size: 256
    .name:           _ZN7rocprim17ROCPRIM_400000_NS6detail17trampoline_kernelINS0_14default_configENS1_37merge_sort_block_sort_config_selectorIlNS0_10empty_typeEEEZNS1_21merge_sort_block_sortIS3_PlS8_PS5_S9_ZN2at6native12_GLOBAL__N_124unique_dim_cuda_templateIfEESt5tupleIJNSA_6TensorESF_SF_EERKSF_lbbbEUlllE_EE10hipError_tT0_T1_T2_T3_mRjT4_P12ihipStream_tbNS1_7vsmem_tEEUlT_E_NS1_11comp_targetILNS1_3genE2ELNS1_11target_archE906ELNS1_3gpuE6ELNS1_3repE0EEENS1_30default_config_static_selectorELNS0_4arch9wavefront6targetE1EEEvSM_
    .private_segment_fixed_size: 0
    .sgpr_count:     6
    .sgpr_spill_count: 0
    .symbol:         _ZN7rocprim17ROCPRIM_400000_NS6detail17trampoline_kernelINS0_14default_configENS1_37merge_sort_block_sort_config_selectorIlNS0_10empty_typeEEEZNS1_21merge_sort_block_sortIS3_PlS8_PS5_S9_ZN2at6native12_GLOBAL__N_124unique_dim_cuda_templateIfEESt5tupleIJNSA_6TensorESF_SF_EERKSF_lbbbEUlllE_EE10hipError_tT0_T1_T2_T3_mRjT4_P12ihipStream_tbNS1_7vsmem_tEEUlT_E_NS1_11comp_targetILNS1_3genE2ELNS1_11target_archE906ELNS1_3gpuE6ELNS1_3repE0EEENS1_30default_config_static_selectorELNS0_4arch9wavefront6targetE1EEEvSM_.kd
    .uniform_work_group_size: 1
    .uses_dynamic_stack: false
    .vgpr_count:     0
    .vgpr_spill_count: 0
    .wavefront_size: 64
  - .agpr_count:     0
    .args:
      - .offset:         0
        .size:           72
        .value_kind:     by_value
    .group_segment_fixed_size: 0
    .kernarg_segment_align: 8
    .kernarg_segment_size: 72
    .language:       OpenCL C
    .language_version:
      - 2
      - 0
    .max_flat_workgroup_size: 256
    .name:           _ZN7rocprim17ROCPRIM_400000_NS6detail17trampoline_kernelINS0_14default_configENS1_37merge_sort_block_sort_config_selectorIlNS0_10empty_typeEEEZNS1_21merge_sort_block_sortIS3_PlS8_PS5_S9_ZN2at6native12_GLOBAL__N_124unique_dim_cuda_templateIfEESt5tupleIJNSA_6TensorESF_SF_EERKSF_lbbbEUlllE_EE10hipError_tT0_T1_T2_T3_mRjT4_P12ihipStream_tbNS1_7vsmem_tEEUlT_E_NS1_11comp_targetILNS1_3genE10ELNS1_11target_archE1201ELNS1_3gpuE5ELNS1_3repE0EEENS1_30default_config_static_selectorELNS0_4arch9wavefront6targetE1EEEvSM_
    .private_segment_fixed_size: 0
    .sgpr_count:     6
    .sgpr_spill_count: 0
    .symbol:         _ZN7rocprim17ROCPRIM_400000_NS6detail17trampoline_kernelINS0_14default_configENS1_37merge_sort_block_sort_config_selectorIlNS0_10empty_typeEEEZNS1_21merge_sort_block_sortIS3_PlS8_PS5_S9_ZN2at6native12_GLOBAL__N_124unique_dim_cuda_templateIfEESt5tupleIJNSA_6TensorESF_SF_EERKSF_lbbbEUlllE_EE10hipError_tT0_T1_T2_T3_mRjT4_P12ihipStream_tbNS1_7vsmem_tEEUlT_E_NS1_11comp_targetILNS1_3genE10ELNS1_11target_archE1201ELNS1_3gpuE5ELNS1_3repE0EEENS1_30default_config_static_selectorELNS0_4arch9wavefront6targetE1EEEvSM_.kd
    .uniform_work_group_size: 1
    .uses_dynamic_stack: false
    .vgpr_count:     0
    .vgpr_spill_count: 0
    .wavefront_size: 64
  - .agpr_count:     0
    .args:
      - .offset:         0
        .size:           72
        .value_kind:     by_value
    .group_segment_fixed_size: 0
    .kernarg_segment_align: 8
    .kernarg_segment_size: 72
    .language:       OpenCL C
    .language_version:
      - 2
      - 0
    .max_flat_workgroup_size: 512
    .name:           _ZN7rocprim17ROCPRIM_400000_NS6detail17trampoline_kernelINS0_14default_configENS1_37merge_sort_block_sort_config_selectorIlNS0_10empty_typeEEEZNS1_21merge_sort_block_sortIS3_PlS8_PS5_S9_ZN2at6native12_GLOBAL__N_124unique_dim_cuda_templateIfEESt5tupleIJNSA_6TensorESF_SF_EERKSF_lbbbEUlllE_EE10hipError_tT0_T1_T2_T3_mRjT4_P12ihipStream_tbNS1_7vsmem_tEEUlT_E_NS1_11comp_targetILNS1_3genE10ELNS1_11target_archE1200ELNS1_3gpuE4ELNS1_3repE0EEENS1_30default_config_static_selectorELNS0_4arch9wavefront6targetE1EEEvSM_
    .private_segment_fixed_size: 0
    .sgpr_count:     6
    .sgpr_spill_count: 0
    .symbol:         _ZN7rocprim17ROCPRIM_400000_NS6detail17trampoline_kernelINS0_14default_configENS1_37merge_sort_block_sort_config_selectorIlNS0_10empty_typeEEEZNS1_21merge_sort_block_sortIS3_PlS8_PS5_S9_ZN2at6native12_GLOBAL__N_124unique_dim_cuda_templateIfEESt5tupleIJNSA_6TensorESF_SF_EERKSF_lbbbEUlllE_EE10hipError_tT0_T1_T2_T3_mRjT4_P12ihipStream_tbNS1_7vsmem_tEEUlT_E_NS1_11comp_targetILNS1_3genE10ELNS1_11target_archE1200ELNS1_3gpuE4ELNS1_3repE0EEENS1_30default_config_static_selectorELNS0_4arch9wavefront6targetE1EEEvSM_.kd
    .uniform_work_group_size: 1
    .uses_dynamic_stack: false
    .vgpr_count:     0
    .vgpr_spill_count: 0
    .wavefront_size: 64
  - .agpr_count:     0
    .args:
      - .offset:         0
        .size:           72
        .value_kind:     by_value
    .group_segment_fixed_size: 0
    .kernarg_segment_align: 8
    .kernarg_segment_size: 72
    .language:       OpenCL C
    .language_version:
      - 2
      - 0
    .max_flat_workgroup_size: 256
    .name:           _ZN7rocprim17ROCPRIM_400000_NS6detail17trampoline_kernelINS0_14default_configENS1_37merge_sort_block_sort_config_selectorIlNS0_10empty_typeEEEZNS1_21merge_sort_block_sortIS3_PlS8_PS5_S9_ZN2at6native12_GLOBAL__N_124unique_dim_cuda_templateIfEESt5tupleIJNSA_6TensorESF_SF_EERKSF_lbbbEUlllE_EE10hipError_tT0_T1_T2_T3_mRjT4_P12ihipStream_tbNS1_7vsmem_tEEUlT_E_NS1_11comp_targetILNS1_3genE9ELNS1_11target_archE1100ELNS1_3gpuE3ELNS1_3repE0EEENS1_30default_config_static_selectorELNS0_4arch9wavefront6targetE1EEEvSM_
    .private_segment_fixed_size: 0
    .sgpr_count:     6
    .sgpr_spill_count: 0
    .symbol:         _ZN7rocprim17ROCPRIM_400000_NS6detail17trampoline_kernelINS0_14default_configENS1_37merge_sort_block_sort_config_selectorIlNS0_10empty_typeEEEZNS1_21merge_sort_block_sortIS3_PlS8_PS5_S9_ZN2at6native12_GLOBAL__N_124unique_dim_cuda_templateIfEESt5tupleIJNSA_6TensorESF_SF_EERKSF_lbbbEUlllE_EE10hipError_tT0_T1_T2_T3_mRjT4_P12ihipStream_tbNS1_7vsmem_tEEUlT_E_NS1_11comp_targetILNS1_3genE9ELNS1_11target_archE1100ELNS1_3gpuE3ELNS1_3repE0EEENS1_30default_config_static_selectorELNS0_4arch9wavefront6targetE1EEEvSM_.kd
    .uniform_work_group_size: 1
    .uses_dynamic_stack: false
    .vgpr_count:     0
    .vgpr_spill_count: 0
    .wavefront_size: 64
  - .agpr_count:     0
    .args:
      - .offset:         0
        .size:           72
        .value_kind:     by_value
    .group_segment_fixed_size: 0
    .kernarg_segment_align: 8
    .kernarg_segment_size: 72
    .language:       OpenCL C
    .language_version:
      - 2
      - 0
    .max_flat_workgroup_size: 256
    .name:           _ZN7rocprim17ROCPRIM_400000_NS6detail17trampoline_kernelINS0_14default_configENS1_37merge_sort_block_sort_config_selectorIlNS0_10empty_typeEEEZNS1_21merge_sort_block_sortIS3_PlS8_PS5_S9_ZN2at6native12_GLOBAL__N_124unique_dim_cuda_templateIfEESt5tupleIJNSA_6TensorESF_SF_EERKSF_lbbbEUlllE_EE10hipError_tT0_T1_T2_T3_mRjT4_P12ihipStream_tbNS1_7vsmem_tEEUlT_E_NS1_11comp_targetILNS1_3genE8ELNS1_11target_archE1030ELNS1_3gpuE2ELNS1_3repE0EEENS1_30default_config_static_selectorELNS0_4arch9wavefront6targetE1EEEvSM_
    .private_segment_fixed_size: 0
    .sgpr_count:     6
    .sgpr_spill_count: 0
    .symbol:         _ZN7rocprim17ROCPRIM_400000_NS6detail17trampoline_kernelINS0_14default_configENS1_37merge_sort_block_sort_config_selectorIlNS0_10empty_typeEEEZNS1_21merge_sort_block_sortIS3_PlS8_PS5_S9_ZN2at6native12_GLOBAL__N_124unique_dim_cuda_templateIfEESt5tupleIJNSA_6TensorESF_SF_EERKSF_lbbbEUlllE_EE10hipError_tT0_T1_T2_T3_mRjT4_P12ihipStream_tbNS1_7vsmem_tEEUlT_E_NS1_11comp_targetILNS1_3genE8ELNS1_11target_archE1030ELNS1_3gpuE2ELNS1_3repE0EEENS1_30default_config_static_selectorELNS0_4arch9wavefront6targetE1EEEvSM_.kd
    .uniform_work_group_size: 1
    .uses_dynamic_stack: false
    .vgpr_count:     0
    .vgpr_spill_count: 0
    .wavefront_size: 64
  - .agpr_count:     0
    .args:
      - .offset:         0
        .size:           56
        .value_kind:     by_value
    .group_segment_fixed_size: 0
    .kernarg_segment_align: 8
    .kernarg_segment_size: 56
    .language:       OpenCL C
    .language_version:
      - 2
      - 0
    .max_flat_workgroup_size: 128
    .name:           _ZN7rocprim17ROCPRIM_400000_NS6detail17trampoline_kernelINS0_14default_configENS1_38merge_sort_block_merge_config_selectorIlNS0_10empty_typeEEEZZNS1_27merge_sort_block_merge_implIS3_PlPS5_mZN2at6native12_GLOBAL__N_124unique_dim_cuda_templateIfEESt5tupleIJNSA_6TensorESF_SF_EERKSF_lbbbEUlllE_EE10hipError_tT0_T1_T2_jT3_P12ihipStream_tbPNSt15iterator_traitsISL_E10value_typeEPNSR_ISM_E10value_typeEPSN_NS1_7vsmem_tEENKUlT_SL_SM_SN_E_clIS8_S8_S9_S9_EESK_S10_SL_SM_SN_EUlS10_E_NS1_11comp_targetILNS1_3genE0ELNS1_11target_archE4294967295ELNS1_3gpuE0ELNS1_3repE0EEENS1_48merge_mergepath_partition_config_static_selectorELNS0_4arch9wavefront6targetE1EEEvSM_
    .private_segment_fixed_size: 0
    .sgpr_count:     6
    .sgpr_spill_count: 0
    .symbol:         _ZN7rocprim17ROCPRIM_400000_NS6detail17trampoline_kernelINS0_14default_configENS1_38merge_sort_block_merge_config_selectorIlNS0_10empty_typeEEEZZNS1_27merge_sort_block_merge_implIS3_PlPS5_mZN2at6native12_GLOBAL__N_124unique_dim_cuda_templateIfEESt5tupleIJNSA_6TensorESF_SF_EERKSF_lbbbEUlllE_EE10hipError_tT0_T1_T2_jT3_P12ihipStream_tbPNSt15iterator_traitsISL_E10value_typeEPNSR_ISM_E10value_typeEPSN_NS1_7vsmem_tEENKUlT_SL_SM_SN_E_clIS8_S8_S9_S9_EESK_S10_SL_SM_SN_EUlS10_E_NS1_11comp_targetILNS1_3genE0ELNS1_11target_archE4294967295ELNS1_3gpuE0ELNS1_3repE0EEENS1_48merge_mergepath_partition_config_static_selectorELNS0_4arch9wavefront6targetE1EEEvSM_.kd
    .uniform_work_group_size: 1
    .uses_dynamic_stack: false
    .vgpr_count:     0
    .vgpr_spill_count: 0
    .wavefront_size: 64
  - .agpr_count:     0
    .args:
      - .offset:         0
        .size:           56
        .value_kind:     by_value
    .group_segment_fixed_size: 0
    .kernarg_segment_align: 8
    .kernarg_segment_size: 56
    .language:       OpenCL C
    .language_version:
      - 2
      - 0
    .max_flat_workgroup_size: 128
    .name:           _ZN7rocprim17ROCPRIM_400000_NS6detail17trampoline_kernelINS0_14default_configENS1_38merge_sort_block_merge_config_selectorIlNS0_10empty_typeEEEZZNS1_27merge_sort_block_merge_implIS3_PlPS5_mZN2at6native12_GLOBAL__N_124unique_dim_cuda_templateIfEESt5tupleIJNSA_6TensorESF_SF_EERKSF_lbbbEUlllE_EE10hipError_tT0_T1_T2_jT3_P12ihipStream_tbPNSt15iterator_traitsISL_E10value_typeEPNSR_ISM_E10value_typeEPSN_NS1_7vsmem_tEENKUlT_SL_SM_SN_E_clIS8_S8_S9_S9_EESK_S10_SL_SM_SN_EUlS10_E_NS1_11comp_targetILNS1_3genE10ELNS1_11target_archE1201ELNS1_3gpuE5ELNS1_3repE0EEENS1_48merge_mergepath_partition_config_static_selectorELNS0_4arch9wavefront6targetE1EEEvSM_
    .private_segment_fixed_size: 0
    .sgpr_count:     6
    .sgpr_spill_count: 0
    .symbol:         _ZN7rocprim17ROCPRIM_400000_NS6detail17trampoline_kernelINS0_14default_configENS1_38merge_sort_block_merge_config_selectorIlNS0_10empty_typeEEEZZNS1_27merge_sort_block_merge_implIS3_PlPS5_mZN2at6native12_GLOBAL__N_124unique_dim_cuda_templateIfEESt5tupleIJNSA_6TensorESF_SF_EERKSF_lbbbEUlllE_EE10hipError_tT0_T1_T2_jT3_P12ihipStream_tbPNSt15iterator_traitsISL_E10value_typeEPNSR_ISM_E10value_typeEPSN_NS1_7vsmem_tEENKUlT_SL_SM_SN_E_clIS8_S8_S9_S9_EESK_S10_SL_SM_SN_EUlS10_E_NS1_11comp_targetILNS1_3genE10ELNS1_11target_archE1201ELNS1_3gpuE5ELNS1_3repE0EEENS1_48merge_mergepath_partition_config_static_selectorELNS0_4arch9wavefront6targetE1EEEvSM_.kd
    .uniform_work_group_size: 1
    .uses_dynamic_stack: false
    .vgpr_count:     0
    .vgpr_spill_count: 0
    .wavefront_size: 64
  - .agpr_count:     0
    .args:
      - .offset:         0
        .size:           56
        .value_kind:     by_value
    .group_segment_fixed_size: 0
    .kernarg_segment_align: 8
    .kernarg_segment_size: 56
    .language:       OpenCL C
    .language_version:
      - 2
      - 0
    .max_flat_workgroup_size: 128
    .name:           _ZN7rocprim17ROCPRIM_400000_NS6detail17trampoline_kernelINS0_14default_configENS1_38merge_sort_block_merge_config_selectorIlNS0_10empty_typeEEEZZNS1_27merge_sort_block_merge_implIS3_PlPS5_mZN2at6native12_GLOBAL__N_124unique_dim_cuda_templateIfEESt5tupleIJNSA_6TensorESF_SF_EERKSF_lbbbEUlllE_EE10hipError_tT0_T1_T2_jT3_P12ihipStream_tbPNSt15iterator_traitsISL_E10value_typeEPNSR_ISM_E10value_typeEPSN_NS1_7vsmem_tEENKUlT_SL_SM_SN_E_clIS8_S8_S9_S9_EESK_S10_SL_SM_SN_EUlS10_E_NS1_11comp_targetILNS1_3genE5ELNS1_11target_archE942ELNS1_3gpuE9ELNS1_3repE0EEENS1_48merge_mergepath_partition_config_static_selectorELNS0_4arch9wavefront6targetE1EEEvSM_
    .private_segment_fixed_size: 0
    .sgpr_count:     42
    .sgpr_spill_count: 0
    .symbol:         _ZN7rocprim17ROCPRIM_400000_NS6detail17trampoline_kernelINS0_14default_configENS1_38merge_sort_block_merge_config_selectorIlNS0_10empty_typeEEEZZNS1_27merge_sort_block_merge_implIS3_PlPS5_mZN2at6native12_GLOBAL__N_124unique_dim_cuda_templateIfEESt5tupleIJNSA_6TensorESF_SF_EERKSF_lbbbEUlllE_EE10hipError_tT0_T1_T2_jT3_P12ihipStream_tbPNSt15iterator_traitsISL_E10value_typeEPNSR_ISM_E10value_typeEPSN_NS1_7vsmem_tEENKUlT_SL_SM_SN_E_clIS8_S8_S9_S9_EESK_S10_SL_SM_SN_EUlS10_E_NS1_11comp_targetILNS1_3genE5ELNS1_11target_archE942ELNS1_3gpuE9ELNS1_3repE0EEENS1_48merge_mergepath_partition_config_static_selectorELNS0_4arch9wavefront6targetE1EEEvSM_.kd
    .uniform_work_group_size: 1
    .uses_dynamic_stack: false
    .vgpr_count:     23
    .vgpr_spill_count: 0
    .wavefront_size: 64
  - .agpr_count:     0
    .args:
      - .offset:         0
        .size:           56
        .value_kind:     by_value
    .group_segment_fixed_size: 0
    .kernarg_segment_align: 8
    .kernarg_segment_size: 56
    .language:       OpenCL C
    .language_version:
      - 2
      - 0
    .max_flat_workgroup_size: 128
    .name:           _ZN7rocprim17ROCPRIM_400000_NS6detail17trampoline_kernelINS0_14default_configENS1_38merge_sort_block_merge_config_selectorIlNS0_10empty_typeEEEZZNS1_27merge_sort_block_merge_implIS3_PlPS5_mZN2at6native12_GLOBAL__N_124unique_dim_cuda_templateIfEESt5tupleIJNSA_6TensorESF_SF_EERKSF_lbbbEUlllE_EE10hipError_tT0_T1_T2_jT3_P12ihipStream_tbPNSt15iterator_traitsISL_E10value_typeEPNSR_ISM_E10value_typeEPSN_NS1_7vsmem_tEENKUlT_SL_SM_SN_E_clIS8_S8_S9_S9_EESK_S10_SL_SM_SN_EUlS10_E_NS1_11comp_targetILNS1_3genE4ELNS1_11target_archE910ELNS1_3gpuE8ELNS1_3repE0EEENS1_48merge_mergepath_partition_config_static_selectorELNS0_4arch9wavefront6targetE1EEEvSM_
    .private_segment_fixed_size: 0
    .sgpr_count:     6
    .sgpr_spill_count: 0
    .symbol:         _ZN7rocprim17ROCPRIM_400000_NS6detail17trampoline_kernelINS0_14default_configENS1_38merge_sort_block_merge_config_selectorIlNS0_10empty_typeEEEZZNS1_27merge_sort_block_merge_implIS3_PlPS5_mZN2at6native12_GLOBAL__N_124unique_dim_cuda_templateIfEESt5tupleIJNSA_6TensorESF_SF_EERKSF_lbbbEUlllE_EE10hipError_tT0_T1_T2_jT3_P12ihipStream_tbPNSt15iterator_traitsISL_E10value_typeEPNSR_ISM_E10value_typeEPSN_NS1_7vsmem_tEENKUlT_SL_SM_SN_E_clIS8_S8_S9_S9_EESK_S10_SL_SM_SN_EUlS10_E_NS1_11comp_targetILNS1_3genE4ELNS1_11target_archE910ELNS1_3gpuE8ELNS1_3repE0EEENS1_48merge_mergepath_partition_config_static_selectorELNS0_4arch9wavefront6targetE1EEEvSM_.kd
    .uniform_work_group_size: 1
    .uses_dynamic_stack: false
    .vgpr_count:     0
    .vgpr_spill_count: 0
    .wavefront_size: 64
  - .agpr_count:     0
    .args:
      - .offset:         0
        .size:           56
        .value_kind:     by_value
    .group_segment_fixed_size: 0
    .kernarg_segment_align: 8
    .kernarg_segment_size: 56
    .language:       OpenCL C
    .language_version:
      - 2
      - 0
    .max_flat_workgroup_size: 128
    .name:           _ZN7rocprim17ROCPRIM_400000_NS6detail17trampoline_kernelINS0_14default_configENS1_38merge_sort_block_merge_config_selectorIlNS0_10empty_typeEEEZZNS1_27merge_sort_block_merge_implIS3_PlPS5_mZN2at6native12_GLOBAL__N_124unique_dim_cuda_templateIfEESt5tupleIJNSA_6TensorESF_SF_EERKSF_lbbbEUlllE_EE10hipError_tT0_T1_T2_jT3_P12ihipStream_tbPNSt15iterator_traitsISL_E10value_typeEPNSR_ISM_E10value_typeEPSN_NS1_7vsmem_tEENKUlT_SL_SM_SN_E_clIS8_S8_S9_S9_EESK_S10_SL_SM_SN_EUlS10_E_NS1_11comp_targetILNS1_3genE3ELNS1_11target_archE908ELNS1_3gpuE7ELNS1_3repE0EEENS1_48merge_mergepath_partition_config_static_selectorELNS0_4arch9wavefront6targetE1EEEvSM_
    .private_segment_fixed_size: 0
    .sgpr_count:     6
    .sgpr_spill_count: 0
    .symbol:         _ZN7rocprim17ROCPRIM_400000_NS6detail17trampoline_kernelINS0_14default_configENS1_38merge_sort_block_merge_config_selectorIlNS0_10empty_typeEEEZZNS1_27merge_sort_block_merge_implIS3_PlPS5_mZN2at6native12_GLOBAL__N_124unique_dim_cuda_templateIfEESt5tupleIJNSA_6TensorESF_SF_EERKSF_lbbbEUlllE_EE10hipError_tT0_T1_T2_jT3_P12ihipStream_tbPNSt15iterator_traitsISL_E10value_typeEPNSR_ISM_E10value_typeEPSN_NS1_7vsmem_tEENKUlT_SL_SM_SN_E_clIS8_S8_S9_S9_EESK_S10_SL_SM_SN_EUlS10_E_NS1_11comp_targetILNS1_3genE3ELNS1_11target_archE908ELNS1_3gpuE7ELNS1_3repE0EEENS1_48merge_mergepath_partition_config_static_selectorELNS0_4arch9wavefront6targetE1EEEvSM_.kd
    .uniform_work_group_size: 1
    .uses_dynamic_stack: false
    .vgpr_count:     0
    .vgpr_spill_count: 0
    .wavefront_size: 64
  - .agpr_count:     0
    .args:
      - .offset:         0
        .size:           56
        .value_kind:     by_value
    .group_segment_fixed_size: 0
    .kernarg_segment_align: 8
    .kernarg_segment_size: 56
    .language:       OpenCL C
    .language_version:
      - 2
      - 0
    .max_flat_workgroup_size: 128
    .name:           _ZN7rocprim17ROCPRIM_400000_NS6detail17trampoline_kernelINS0_14default_configENS1_38merge_sort_block_merge_config_selectorIlNS0_10empty_typeEEEZZNS1_27merge_sort_block_merge_implIS3_PlPS5_mZN2at6native12_GLOBAL__N_124unique_dim_cuda_templateIfEESt5tupleIJNSA_6TensorESF_SF_EERKSF_lbbbEUlllE_EE10hipError_tT0_T1_T2_jT3_P12ihipStream_tbPNSt15iterator_traitsISL_E10value_typeEPNSR_ISM_E10value_typeEPSN_NS1_7vsmem_tEENKUlT_SL_SM_SN_E_clIS8_S8_S9_S9_EESK_S10_SL_SM_SN_EUlS10_E_NS1_11comp_targetILNS1_3genE2ELNS1_11target_archE906ELNS1_3gpuE6ELNS1_3repE0EEENS1_48merge_mergepath_partition_config_static_selectorELNS0_4arch9wavefront6targetE1EEEvSM_
    .private_segment_fixed_size: 0
    .sgpr_count:     6
    .sgpr_spill_count: 0
    .symbol:         _ZN7rocprim17ROCPRIM_400000_NS6detail17trampoline_kernelINS0_14default_configENS1_38merge_sort_block_merge_config_selectorIlNS0_10empty_typeEEEZZNS1_27merge_sort_block_merge_implIS3_PlPS5_mZN2at6native12_GLOBAL__N_124unique_dim_cuda_templateIfEESt5tupleIJNSA_6TensorESF_SF_EERKSF_lbbbEUlllE_EE10hipError_tT0_T1_T2_jT3_P12ihipStream_tbPNSt15iterator_traitsISL_E10value_typeEPNSR_ISM_E10value_typeEPSN_NS1_7vsmem_tEENKUlT_SL_SM_SN_E_clIS8_S8_S9_S9_EESK_S10_SL_SM_SN_EUlS10_E_NS1_11comp_targetILNS1_3genE2ELNS1_11target_archE906ELNS1_3gpuE6ELNS1_3repE0EEENS1_48merge_mergepath_partition_config_static_selectorELNS0_4arch9wavefront6targetE1EEEvSM_.kd
    .uniform_work_group_size: 1
    .uses_dynamic_stack: false
    .vgpr_count:     0
    .vgpr_spill_count: 0
    .wavefront_size: 64
  - .agpr_count:     0
    .args:
      - .offset:         0
        .size:           56
        .value_kind:     by_value
    .group_segment_fixed_size: 0
    .kernarg_segment_align: 8
    .kernarg_segment_size: 56
    .language:       OpenCL C
    .language_version:
      - 2
      - 0
    .max_flat_workgroup_size: 128
    .name:           _ZN7rocprim17ROCPRIM_400000_NS6detail17trampoline_kernelINS0_14default_configENS1_38merge_sort_block_merge_config_selectorIlNS0_10empty_typeEEEZZNS1_27merge_sort_block_merge_implIS3_PlPS5_mZN2at6native12_GLOBAL__N_124unique_dim_cuda_templateIfEESt5tupleIJNSA_6TensorESF_SF_EERKSF_lbbbEUlllE_EE10hipError_tT0_T1_T2_jT3_P12ihipStream_tbPNSt15iterator_traitsISL_E10value_typeEPNSR_ISM_E10value_typeEPSN_NS1_7vsmem_tEENKUlT_SL_SM_SN_E_clIS8_S8_S9_S9_EESK_S10_SL_SM_SN_EUlS10_E_NS1_11comp_targetILNS1_3genE9ELNS1_11target_archE1100ELNS1_3gpuE3ELNS1_3repE0EEENS1_48merge_mergepath_partition_config_static_selectorELNS0_4arch9wavefront6targetE1EEEvSM_
    .private_segment_fixed_size: 0
    .sgpr_count:     6
    .sgpr_spill_count: 0
    .symbol:         _ZN7rocprim17ROCPRIM_400000_NS6detail17trampoline_kernelINS0_14default_configENS1_38merge_sort_block_merge_config_selectorIlNS0_10empty_typeEEEZZNS1_27merge_sort_block_merge_implIS3_PlPS5_mZN2at6native12_GLOBAL__N_124unique_dim_cuda_templateIfEESt5tupleIJNSA_6TensorESF_SF_EERKSF_lbbbEUlllE_EE10hipError_tT0_T1_T2_jT3_P12ihipStream_tbPNSt15iterator_traitsISL_E10value_typeEPNSR_ISM_E10value_typeEPSN_NS1_7vsmem_tEENKUlT_SL_SM_SN_E_clIS8_S8_S9_S9_EESK_S10_SL_SM_SN_EUlS10_E_NS1_11comp_targetILNS1_3genE9ELNS1_11target_archE1100ELNS1_3gpuE3ELNS1_3repE0EEENS1_48merge_mergepath_partition_config_static_selectorELNS0_4arch9wavefront6targetE1EEEvSM_.kd
    .uniform_work_group_size: 1
    .uses_dynamic_stack: false
    .vgpr_count:     0
    .vgpr_spill_count: 0
    .wavefront_size: 64
  - .agpr_count:     0
    .args:
      - .offset:         0
        .size:           56
        .value_kind:     by_value
    .group_segment_fixed_size: 0
    .kernarg_segment_align: 8
    .kernarg_segment_size: 56
    .language:       OpenCL C
    .language_version:
      - 2
      - 0
    .max_flat_workgroup_size: 128
    .name:           _ZN7rocprim17ROCPRIM_400000_NS6detail17trampoline_kernelINS0_14default_configENS1_38merge_sort_block_merge_config_selectorIlNS0_10empty_typeEEEZZNS1_27merge_sort_block_merge_implIS3_PlPS5_mZN2at6native12_GLOBAL__N_124unique_dim_cuda_templateIfEESt5tupleIJNSA_6TensorESF_SF_EERKSF_lbbbEUlllE_EE10hipError_tT0_T1_T2_jT3_P12ihipStream_tbPNSt15iterator_traitsISL_E10value_typeEPNSR_ISM_E10value_typeEPSN_NS1_7vsmem_tEENKUlT_SL_SM_SN_E_clIS8_S8_S9_S9_EESK_S10_SL_SM_SN_EUlS10_E_NS1_11comp_targetILNS1_3genE8ELNS1_11target_archE1030ELNS1_3gpuE2ELNS1_3repE0EEENS1_48merge_mergepath_partition_config_static_selectorELNS0_4arch9wavefront6targetE1EEEvSM_
    .private_segment_fixed_size: 0
    .sgpr_count:     6
    .sgpr_spill_count: 0
    .symbol:         _ZN7rocprim17ROCPRIM_400000_NS6detail17trampoline_kernelINS0_14default_configENS1_38merge_sort_block_merge_config_selectorIlNS0_10empty_typeEEEZZNS1_27merge_sort_block_merge_implIS3_PlPS5_mZN2at6native12_GLOBAL__N_124unique_dim_cuda_templateIfEESt5tupleIJNSA_6TensorESF_SF_EERKSF_lbbbEUlllE_EE10hipError_tT0_T1_T2_jT3_P12ihipStream_tbPNSt15iterator_traitsISL_E10value_typeEPNSR_ISM_E10value_typeEPSN_NS1_7vsmem_tEENKUlT_SL_SM_SN_E_clIS8_S8_S9_S9_EESK_S10_SL_SM_SN_EUlS10_E_NS1_11comp_targetILNS1_3genE8ELNS1_11target_archE1030ELNS1_3gpuE2ELNS1_3repE0EEENS1_48merge_mergepath_partition_config_static_selectorELNS0_4arch9wavefront6targetE1EEEvSM_.kd
    .uniform_work_group_size: 1
    .uses_dynamic_stack: false
    .vgpr_count:     0
    .vgpr_spill_count: 0
    .wavefront_size: 64
  - .agpr_count:     0
    .args:
      - .offset:         0
        .size:           88
        .value_kind:     by_value
    .group_segment_fixed_size: 0
    .kernarg_segment_align: 8
    .kernarg_segment_size: 88
    .language:       OpenCL C
    .language_version:
      - 2
      - 0
    .max_flat_workgroup_size: 128
    .name:           _ZN7rocprim17ROCPRIM_400000_NS6detail17trampoline_kernelINS0_14default_configENS1_38merge_sort_block_merge_config_selectorIlNS0_10empty_typeEEEZZNS1_27merge_sort_block_merge_implIS3_PlPS5_mZN2at6native12_GLOBAL__N_124unique_dim_cuda_templateIfEESt5tupleIJNSA_6TensorESF_SF_EERKSF_lbbbEUlllE_EE10hipError_tT0_T1_T2_jT3_P12ihipStream_tbPNSt15iterator_traitsISL_E10value_typeEPNSR_ISM_E10value_typeEPSN_NS1_7vsmem_tEENKUlT_SL_SM_SN_E_clIS8_S8_S9_S9_EESK_S10_SL_SM_SN_EUlS10_E0_NS1_11comp_targetILNS1_3genE0ELNS1_11target_archE4294967295ELNS1_3gpuE0ELNS1_3repE0EEENS1_38merge_mergepath_config_static_selectorELNS0_4arch9wavefront6targetE1EEEvSM_
    .private_segment_fixed_size: 0
    .sgpr_count:     6
    .sgpr_spill_count: 0
    .symbol:         _ZN7rocprim17ROCPRIM_400000_NS6detail17trampoline_kernelINS0_14default_configENS1_38merge_sort_block_merge_config_selectorIlNS0_10empty_typeEEEZZNS1_27merge_sort_block_merge_implIS3_PlPS5_mZN2at6native12_GLOBAL__N_124unique_dim_cuda_templateIfEESt5tupleIJNSA_6TensorESF_SF_EERKSF_lbbbEUlllE_EE10hipError_tT0_T1_T2_jT3_P12ihipStream_tbPNSt15iterator_traitsISL_E10value_typeEPNSR_ISM_E10value_typeEPSN_NS1_7vsmem_tEENKUlT_SL_SM_SN_E_clIS8_S8_S9_S9_EESK_S10_SL_SM_SN_EUlS10_E0_NS1_11comp_targetILNS1_3genE0ELNS1_11target_archE4294967295ELNS1_3gpuE0ELNS1_3repE0EEENS1_38merge_mergepath_config_static_selectorELNS0_4arch9wavefront6targetE1EEEvSM_.kd
    .uniform_work_group_size: 1
    .uses_dynamic_stack: false
    .vgpr_count:     0
    .vgpr_spill_count: 0
    .wavefront_size: 64
  - .agpr_count:     0
    .args:
      - .offset:         0
        .size:           88
        .value_kind:     by_value
    .group_segment_fixed_size: 0
    .kernarg_segment_align: 8
    .kernarg_segment_size: 88
    .language:       OpenCL C
    .language_version:
      - 2
      - 0
    .max_flat_workgroup_size: 512
    .name:           _ZN7rocprim17ROCPRIM_400000_NS6detail17trampoline_kernelINS0_14default_configENS1_38merge_sort_block_merge_config_selectorIlNS0_10empty_typeEEEZZNS1_27merge_sort_block_merge_implIS3_PlPS5_mZN2at6native12_GLOBAL__N_124unique_dim_cuda_templateIfEESt5tupleIJNSA_6TensorESF_SF_EERKSF_lbbbEUlllE_EE10hipError_tT0_T1_T2_jT3_P12ihipStream_tbPNSt15iterator_traitsISL_E10value_typeEPNSR_ISM_E10value_typeEPSN_NS1_7vsmem_tEENKUlT_SL_SM_SN_E_clIS8_S8_S9_S9_EESK_S10_SL_SM_SN_EUlS10_E0_NS1_11comp_targetILNS1_3genE10ELNS1_11target_archE1201ELNS1_3gpuE5ELNS1_3repE0EEENS1_38merge_mergepath_config_static_selectorELNS0_4arch9wavefront6targetE1EEEvSM_
    .private_segment_fixed_size: 0
    .sgpr_count:     6
    .sgpr_spill_count: 0
    .symbol:         _ZN7rocprim17ROCPRIM_400000_NS6detail17trampoline_kernelINS0_14default_configENS1_38merge_sort_block_merge_config_selectorIlNS0_10empty_typeEEEZZNS1_27merge_sort_block_merge_implIS3_PlPS5_mZN2at6native12_GLOBAL__N_124unique_dim_cuda_templateIfEESt5tupleIJNSA_6TensorESF_SF_EERKSF_lbbbEUlllE_EE10hipError_tT0_T1_T2_jT3_P12ihipStream_tbPNSt15iterator_traitsISL_E10value_typeEPNSR_ISM_E10value_typeEPSN_NS1_7vsmem_tEENKUlT_SL_SM_SN_E_clIS8_S8_S9_S9_EESK_S10_SL_SM_SN_EUlS10_E0_NS1_11comp_targetILNS1_3genE10ELNS1_11target_archE1201ELNS1_3gpuE5ELNS1_3repE0EEENS1_38merge_mergepath_config_static_selectorELNS0_4arch9wavefront6targetE1EEEvSM_.kd
    .uniform_work_group_size: 1
    .uses_dynamic_stack: false
    .vgpr_count:     0
    .vgpr_spill_count: 0
    .wavefront_size: 64
  - .agpr_count:     0
    .args:
      - .offset:         0
        .size:           88
        .value_kind:     by_value
      - .offset:         88
        .size:           4
        .value_kind:     hidden_block_count_x
      - .offset:         92
        .size:           4
        .value_kind:     hidden_block_count_y
      - .offset:         96
        .size:           4
        .value_kind:     hidden_block_count_z
      - .offset:         100
        .size:           2
        .value_kind:     hidden_group_size_x
      - .offset:         102
        .size:           2
        .value_kind:     hidden_group_size_y
      - .offset:         104
        .size:           2
        .value_kind:     hidden_group_size_z
      - .offset:         106
        .size:           2
        .value_kind:     hidden_remainder_x
      - .offset:         108
        .size:           2
        .value_kind:     hidden_remainder_y
      - .offset:         110
        .size:           2
        .value_kind:     hidden_remainder_z
      - .offset:         128
        .size:           8
        .value_kind:     hidden_global_offset_x
      - .offset:         136
        .size:           8
        .value_kind:     hidden_global_offset_y
      - .offset:         144
        .size:           8
        .value_kind:     hidden_global_offset_z
      - .offset:         152
        .size:           2
        .value_kind:     hidden_grid_dims
    .group_segment_fixed_size: 8448
    .kernarg_segment_align: 8
    .kernarg_segment_size: 344
    .language:       OpenCL C
    .language_version:
      - 2
      - 0
    .max_flat_workgroup_size: 128
    .name:           _ZN7rocprim17ROCPRIM_400000_NS6detail17trampoline_kernelINS0_14default_configENS1_38merge_sort_block_merge_config_selectorIlNS0_10empty_typeEEEZZNS1_27merge_sort_block_merge_implIS3_PlPS5_mZN2at6native12_GLOBAL__N_124unique_dim_cuda_templateIfEESt5tupleIJNSA_6TensorESF_SF_EERKSF_lbbbEUlllE_EE10hipError_tT0_T1_T2_jT3_P12ihipStream_tbPNSt15iterator_traitsISL_E10value_typeEPNSR_ISM_E10value_typeEPSN_NS1_7vsmem_tEENKUlT_SL_SM_SN_E_clIS8_S8_S9_S9_EESK_S10_SL_SM_SN_EUlS10_E0_NS1_11comp_targetILNS1_3genE5ELNS1_11target_archE942ELNS1_3gpuE9ELNS1_3repE0EEENS1_38merge_mergepath_config_static_selectorELNS0_4arch9wavefront6targetE1EEEvSM_
    .private_segment_fixed_size: 0
    .sgpr_count:     62
    .sgpr_spill_count: 0
    .symbol:         _ZN7rocprim17ROCPRIM_400000_NS6detail17trampoline_kernelINS0_14default_configENS1_38merge_sort_block_merge_config_selectorIlNS0_10empty_typeEEEZZNS1_27merge_sort_block_merge_implIS3_PlPS5_mZN2at6native12_GLOBAL__N_124unique_dim_cuda_templateIfEESt5tupleIJNSA_6TensorESF_SF_EERKSF_lbbbEUlllE_EE10hipError_tT0_T1_T2_jT3_P12ihipStream_tbPNSt15iterator_traitsISL_E10value_typeEPNSR_ISM_E10value_typeEPSN_NS1_7vsmem_tEENKUlT_SL_SM_SN_E_clIS8_S8_S9_S9_EESK_S10_SL_SM_SN_EUlS10_E0_NS1_11comp_targetILNS1_3genE5ELNS1_11target_archE942ELNS1_3gpuE9ELNS1_3repE0EEENS1_38merge_mergepath_config_static_selectorELNS0_4arch9wavefront6targetE1EEEvSM_.kd
    .uniform_work_group_size: 1
    .uses_dynamic_stack: false
    .vgpr_count:     42
    .vgpr_spill_count: 0
    .wavefront_size: 64
  - .agpr_count:     0
    .args:
      - .offset:         0
        .size:           88
        .value_kind:     by_value
    .group_segment_fixed_size: 0
    .kernarg_segment_align: 8
    .kernarg_segment_size: 88
    .language:       OpenCL C
    .language_version:
      - 2
      - 0
    .max_flat_workgroup_size: 256
    .name:           _ZN7rocprim17ROCPRIM_400000_NS6detail17trampoline_kernelINS0_14default_configENS1_38merge_sort_block_merge_config_selectorIlNS0_10empty_typeEEEZZNS1_27merge_sort_block_merge_implIS3_PlPS5_mZN2at6native12_GLOBAL__N_124unique_dim_cuda_templateIfEESt5tupleIJNSA_6TensorESF_SF_EERKSF_lbbbEUlllE_EE10hipError_tT0_T1_T2_jT3_P12ihipStream_tbPNSt15iterator_traitsISL_E10value_typeEPNSR_ISM_E10value_typeEPSN_NS1_7vsmem_tEENKUlT_SL_SM_SN_E_clIS8_S8_S9_S9_EESK_S10_SL_SM_SN_EUlS10_E0_NS1_11comp_targetILNS1_3genE4ELNS1_11target_archE910ELNS1_3gpuE8ELNS1_3repE0EEENS1_38merge_mergepath_config_static_selectorELNS0_4arch9wavefront6targetE1EEEvSM_
    .private_segment_fixed_size: 0
    .sgpr_count:     6
    .sgpr_spill_count: 0
    .symbol:         _ZN7rocprim17ROCPRIM_400000_NS6detail17trampoline_kernelINS0_14default_configENS1_38merge_sort_block_merge_config_selectorIlNS0_10empty_typeEEEZZNS1_27merge_sort_block_merge_implIS3_PlPS5_mZN2at6native12_GLOBAL__N_124unique_dim_cuda_templateIfEESt5tupleIJNSA_6TensorESF_SF_EERKSF_lbbbEUlllE_EE10hipError_tT0_T1_T2_jT3_P12ihipStream_tbPNSt15iterator_traitsISL_E10value_typeEPNSR_ISM_E10value_typeEPSN_NS1_7vsmem_tEENKUlT_SL_SM_SN_E_clIS8_S8_S9_S9_EESK_S10_SL_SM_SN_EUlS10_E0_NS1_11comp_targetILNS1_3genE4ELNS1_11target_archE910ELNS1_3gpuE8ELNS1_3repE0EEENS1_38merge_mergepath_config_static_selectorELNS0_4arch9wavefront6targetE1EEEvSM_.kd
    .uniform_work_group_size: 1
    .uses_dynamic_stack: false
    .vgpr_count:     0
    .vgpr_spill_count: 0
    .wavefront_size: 64
  - .agpr_count:     0
    .args:
      - .offset:         0
        .size:           88
        .value_kind:     by_value
    .group_segment_fixed_size: 0
    .kernarg_segment_align: 8
    .kernarg_segment_size: 88
    .language:       OpenCL C
    .language_version:
      - 2
      - 0
    .max_flat_workgroup_size: 128
    .name:           _ZN7rocprim17ROCPRIM_400000_NS6detail17trampoline_kernelINS0_14default_configENS1_38merge_sort_block_merge_config_selectorIlNS0_10empty_typeEEEZZNS1_27merge_sort_block_merge_implIS3_PlPS5_mZN2at6native12_GLOBAL__N_124unique_dim_cuda_templateIfEESt5tupleIJNSA_6TensorESF_SF_EERKSF_lbbbEUlllE_EE10hipError_tT0_T1_T2_jT3_P12ihipStream_tbPNSt15iterator_traitsISL_E10value_typeEPNSR_ISM_E10value_typeEPSN_NS1_7vsmem_tEENKUlT_SL_SM_SN_E_clIS8_S8_S9_S9_EESK_S10_SL_SM_SN_EUlS10_E0_NS1_11comp_targetILNS1_3genE3ELNS1_11target_archE908ELNS1_3gpuE7ELNS1_3repE0EEENS1_38merge_mergepath_config_static_selectorELNS0_4arch9wavefront6targetE1EEEvSM_
    .private_segment_fixed_size: 0
    .sgpr_count:     6
    .sgpr_spill_count: 0
    .symbol:         _ZN7rocprim17ROCPRIM_400000_NS6detail17trampoline_kernelINS0_14default_configENS1_38merge_sort_block_merge_config_selectorIlNS0_10empty_typeEEEZZNS1_27merge_sort_block_merge_implIS3_PlPS5_mZN2at6native12_GLOBAL__N_124unique_dim_cuda_templateIfEESt5tupleIJNSA_6TensorESF_SF_EERKSF_lbbbEUlllE_EE10hipError_tT0_T1_T2_jT3_P12ihipStream_tbPNSt15iterator_traitsISL_E10value_typeEPNSR_ISM_E10value_typeEPSN_NS1_7vsmem_tEENKUlT_SL_SM_SN_E_clIS8_S8_S9_S9_EESK_S10_SL_SM_SN_EUlS10_E0_NS1_11comp_targetILNS1_3genE3ELNS1_11target_archE908ELNS1_3gpuE7ELNS1_3repE0EEENS1_38merge_mergepath_config_static_selectorELNS0_4arch9wavefront6targetE1EEEvSM_.kd
    .uniform_work_group_size: 1
    .uses_dynamic_stack: false
    .vgpr_count:     0
    .vgpr_spill_count: 0
    .wavefront_size: 64
  - .agpr_count:     0
    .args:
      - .offset:         0
        .size:           88
        .value_kind:     by_value
    .group_segment_fixed_size: 0
    .kernarg_segment_align: 8
    .kernarg_segment_size: 88
    .language:       OpenCL C
    .language_version:
      - 2
      - 0
    .max_flat_workgroup_size: 256
    .name:           _ZN7rocprim17ROCPRIM_400000_NS6detail17trampoline_kernelINS0_14default_configENS1_38merge_sort_block_merge_config_selectorIlNS0_10empty_typeEEEZZNS1_27merge_sort_block_merge_implIS3_PlPS5_mZN2at6native12_GLOBAL__N_124unique_dim_cuda_templateIfEESt5tupleIJNSA_6TensorESF_SF_EERKSF_lbbbEUlllE_EE10hipError_tT0_T1_T2_jT3_P12ihipStream_tbPNSt15iterator_traitsISL_E10value_typeEPNSR_ISM_E10value_typeEPSN_NS1_7vsmem_tEENKUlT_SL_SM_SN_E_clIS8_S8_S9_S9_EESK_S10_SL_SM_SN_EUlS10_E0_NS1_11comp_targetILNS1_3genE2ELNS1_11target_archE906ELNS1_3gpuE6ELNS1_3repE0EEENS1_38merge_mergepath_config_static_selectorELNS0_4arch9wavefront6targetE1EEEvSM_
    .private_segment_fixed_size: 0
    .sgpr_count:     6
    .sgpr_spill_count: 0
    .symbol:         _ZN7rocprim17ROCPRIM_400000_NS6detail17trampoline_kernelINS0_14default_configENS1_38merge_sort_block_merge_config_selectorIlNS0_10empty_typeEEEZZNS1_27merge_sort_block_merge_implIS3_PlPS5_mZN2at6native12_GLOBAL__N_124unique_dim_cuda_templateIfEESt5tupleIJNSA_6TensorESF_SF_EERKSF_lbbbEUlllE_EE10hipError_tT0_T1_T2_jT3_P12ihipStream_tbPNSt15iterator_traitsISL_E10value_typeEPNSR_ISM_E10value_typeEPSN_NS1_7vsmem_tEENKUlT_SL_SM_SN_E_clIS8_S8_S9_S9_EESK_S10_SL_SM_SN_EUlS10_E0_NS1_11comp_targetILNS1_3genE2ELNS1_11target_archE906ELNS1_3gpuE6ELNS1_3repE0EEENS1_38merge_mergepath_config_static_selectorELNS0_4arch9wavefront6targetE1EEEvSM_.kd
    .uniform_work_group_size: 1
    .uses_dynamic_stack: false
    .vgpr_count:     0
    .vgpr_spill_count: 0
    .wavefront_size: 64
  - .agpr_count:     0
    .args:
      - .offset:         0
        .size:           88
        .value_kind:     by_value
    .group_segment_fixed_size: 0
    .kernarg_segment_align: 8
    .kernarg_segment_size: 88
    .language:       OpenCL C
    .language_version:
      - 2
      - 0
    .max_flat_workgroup_size: 512
    .name:           _ZN7rocprim17ROCPRIM_400000_NS6detail17trampoline_kernelINS0_14default_configENS1_38merge_sort_block_merge_config_selectorIlNS0_10empty_typeEEEZZNS1_27merge_sort_block_merge_implIS3_PlPS5_mZN2at6native12_GLOBAL__N_124unique_dim_cuda_templateIfEESt5tupleIJNSA_6TensorESF_SF_EERKSF_lbbbEUlllE_EE10hipError_tT0_T1_T2_jT3_P12ihipStream_tbPNSt15iterator_traitsISL_E10value_typeEPNSR_ISM_E10value_typeEPSN_NS1_7vsmem_tEENKUlT_SL_SM_SN_E_clIS8_S8_S9_S9_EESK_S10_SL_SM_SN_EUlS10_E0_NS1_11comp_targetILNS1_3genE9ELNS1_11target_archE1100ELNS1_3gpuE3ELNS1_3repE0EEENS1_38merge_mergepath_config_static_selectorELNS0_4arch9wavefront6targetE1EEEvSM_
    .private_segment_fixed_size: 0
    .sgpr_count:     6
    .sgpr_spill_count: 0
    .symbol:         _ZN7rocprim17ROCPRIM_400000_NS6detail17trampoline_kernelINS0_14default_configENS1_38merge_sort_block_merge_config_selectorIlNS0_10empty_typeEEEZZNS1_27merge_sort_block_merge_implIS3_PlPS5_mZN2at6native12_GLOBAL__N_124unique_dim_cuda_templateIfEESt5tupleIJNSA_6TensorESF_SF_EERKSF_lbbbEUlllE_EE10hipError_tT0_T1_T2_jT3_P12ihipStream_tbPNSt15iterator_traitsISL_E10value_typeEPNSR_ISM_E10value_typeEPSN_NS1_7vsmem_tEENKUlT_SL_SM_SN_E_clIS8_S8_S9_S9_EESK_S10_SL_SM_SN_EUlS10_E0_NS1_11comp_targetILNS1_3genE9ELNS1_11target_archE1100ELNS1_3gpuE3ELNS1_3repE0EEENS1_38merge_mergepath_config_static_selectorELNS0_4arch9wavefront6targetE1EEEvSM_.kd
    .uniform_work_group_size: 1
    .uses_dynamic_stack: false
    .vgpr_count:     0
    .vgpr_spill_count: 0
    .wavefront_size: 64
  - .agpr_count:     0
    .args:
      - .offset:         0
        .size:           88
        .value_kind:     by_value
    .group_segment_fixed_size: 0
    .kernarg_segment_align: 8
    .kernarg_segment_size: 88
    .language:       OpenCL C
    .language_version:
      - 2
      - 0
    .max_flat_workgroup_size: 1024
    .name:           _ZN7rocprim17ROCPRIM_400000_NS6detail17trampoline_kernelINS0_14default_configENS1_38merge_sort_block_merge_config_selectorIlNS0_10empty_typeEEEZZNS1_27merge_sort_block_merge_implIS3_PlPS5_mZN2at6native12_GLOBAL__N_124unique_dim_cuda_templateIfEESt5tupleIJNSA_6TensorESF_SF_EERKSF_lbbbEUlllE_EE10hipError_tT0_T1_T2_jT3_P12ihipStream_tbPNSt15iterator_traitsISL_E10value_typeEPNSR_ISM_E10value_typeEPSN_NS1_7vsmem_tEENKUlT_SL_SM_SN_E_clIS8_S8_S9_S9_EESK_S10_SL_SM_SN_EUlS10_E0_NS1_11comp_targetILNS1_3genE8ELNS1_11target_archE1030ELNS1_3gpuE2ELNS1_3repE0EEENS1_38merge_mergepath_config_static_selectorELNS0_4arch9wavefront6targetE1EEEvSM_
    .private_segment_fixed_size: 0
    .sgpr_count:     6
    .sgpr_spill_count: 0
    .symbol:         _ZN7rocprim17ROCPRIM_400000_NS6detail17trampoline_kernelINS0_14default_configENS1_38merge_sort_block_merge_config_selectorIlNS0_10empty_typeEEEZZNS1_27merge_sort_block_merge_implIS3_PlPS5_mZN2at6native12_GLOBAL__N_124unique_dim_cuda_templateIfEESt5tupleIJNSA_6TensorESF_SF_EERKSF_lbbbEUlllE_EE10hipError_tT0_T1_T2_jT3_P12ihipStream_tbPNSt15iterator_traitsISL_E10value_typeEPNSR_ISM_E10value_typeEPSN_NS1_7vsmem_tEENKUlT_SL_SM_SN_E_clIS8_S8_S9_S9_EESK_S10_SL_SM_SN_EUlS10_E0_NS1_11comp_targetILNS1_3genE8ELNS1_11target_archE1030ELNS1_3gpuE2ELNS1_3repE0EEENS1_38merge_mergepath_config_static_selectorELNS0_4arch9wavefront6targetE1EEEvSM_.kd
    .uniform_work_group_size: 1
    .uses_dynamic_stack: false
    .vgpr_count:     0
    .vgpr_spill_count: 0
    .wavefront_size: 64
  - .agpr_count:     0
    .args:
      - .offset:         0
        .size:           64
        .value_kind:     by_value
    .group_segment_fixed_size: 0
    .kernarg_segment_align: 8
    .kernarg_segment_size: 64
    .language:       OpenCL C
    .language_version:
      - 2
      - 0
    .max_flat_workgroup_size: 256
    .name:           _ZN7rocprim17ROCPRIM_400000_NS6detail17trampoline_kernelINS0_14default_configENS1_38merge_sort_block_merge_config_selectorIlNS0_10empty_typeEEEZZNS1_27merge_sort_block_merge_implIS3_PlPS5_mZN2at6native12_GLOBAL__N_124unique_dim_cuda_templateIfEESt5tupleIJNSA_6TensorESF_SF_EERKSF_lbbbEUlllE_EE10hipError_tT0_T1_T2_jT3_P12ihipStream_tbPNSt15iterator_traitsISL_E10value_typeEPNSR_ISM_E10value_typeEPSN_NS1_7vsmem_tEENKUlT_SL_SM_SN_E_clIS8_S8_S9_S9_EESK_S10_SL_SM_SN_EUlS10_E1_NS1_11comp_targetILNS1_3genE0ELNS1_11target_archE4294967295ELNS1_3gpuE0ELNS1_3repE0EEENS1_36merge_oddeven_config_static_selectorELNS0_4arch9wavefront6targetE1EEEvSM_
    .private_segment_fixed_size: 0
    .sgpr_count:     6
    .sgpr_spill_count: 0
    .symbol:         _ZN7rocprim17ROCPRIM_400000_NS6detail17trampoline_kernelINS0_14default_configENS1_38merge_sort_block_merge_config_selectorIlNS0_10empty_typeEEEZZNS1_27merge_sort_block_merge_implIS3_PlPS5_mZN2at6native12_GLOBAL__N_124unique_dim_cuda_templateIfEESt5tupleIJNSA_6TensorESF_SF_EERKSF_lbbbEUlllE_EE10hipError_tT0_T1_T2_jT3_P12ihipStream_tbPNSt15iterator_traitsISL_E10value_typeEPNSR_ISM_E10value_typeEPSN_NS1_7vsmem_tEENKUlT_SL_SM_SN_E_clIS8_S8_S9_S9_EESK_S10_SL_SM_SN_EUlS10_E1_NS1_11comp_targetILNS1_3genE0ELNS1_11target_archE4294967295ELNS1_3gpuE0ELNS1_3repE0EEENS1_36merge_oddeven_config_static_selectorELNS0_4arch9wavefront6targetE1EEEvSM_.kd
    .uniform_work_group_size: 1
    .uses_dynamic_stack: false
    .vgpr_count:     0
    .vgpr_spill_count: 0
    .wavefront_size: 64
  - .agpr_count:     0
    .args:
      - .offset:         0
        .size:           64
        .value_kind:     by_value
    .group_segment_fixed_size: 0
    .kernarg_segment_align: 8
    .kernarg_segment_size: 64
    .language:       OpenCL C
    .language_version:
      - 2
      - 0
    .max_flat_workgroup_size: 256
    .name:           _ZN7rocprim17ROCPRIM_400000_NS6detail17trampoline_kernelINS0_14default_configENS1_38merge_sort_block_merge_config_selectorIlNS0_10empty_typeEEEZZNS1_27merge_sort_block_merge_implIS3_PlPS5_mZN2at6native12_GLOBAL__N_124unique_dim_cuda_templateIfEESt5tupleIJNSA_6TensorESF_SF_EERKSF_lbbbEUlllE_EE10hipError_tT0_T1_T2_jT3_P12ihipStream_tbPNSt15iterator_traitsISL_E10value_typeEPNSR_ISM_E10value_typeEPSN_NS1_7vsmem_tEENKUlT_SL_SM_SN_E_clIS8_S8_S9_S9_EESK_S10_SL_SM_SN_EUlS10_E1_NS1_11comp_targetILNS1_3genE10ELNS1_11target_archE1201ELNS1_3gpuE5ELNS1_3repE0EEENS1_36merge_oddeven_config_static_selectorELNS0_4arch9wavefront6targetE1EEEvSM_
    .private_segment_fixed_size: 0
    .sgpr_count:     6
    .sgpr_spill_count: 0
    .symbol:         _ZN7rocprim17ROCPRIM_400000_NS6detail17trampoline_kernelINS0_14default_configENS1_38merge_sort_block_merge_config_selectorIlNS0_10empty_typeEEEZZNS1_27merge_sort_block_merge_implIS3_PlPS5_mZN2at6native12_GLOBAL__N_124unique_dim_cuda_templateIfEESt5tupleIJNSA_6TensorESF_SF_EERKSF_lbbbEUlllE_EE10hipError_tT0_T1_T2_jT3_P12ihipStream_tbPNSt15iterator_traitsISL_E10value_typeEPNSR_ISM_E10value_typeEPSN_NS1_7vsmem_tEENKUlT_SL_SM_SN_E_clIS8_S8_S9_S9_EESK_S10_SL_SM_SN_EUlS10_E1_NS1_11comp_targetILNS1_3genE10ELNS1_11target_archE1201ELNS1_3gpuE5ELNS1_3repE0EEENS1_36merge_oddeven_config_static_selectorELNS0_4arch9wavefront6targetE1EEEvSM_.kd
    .uniform_work_group_size: 1
    .uses_dynamic_stack: false
    .vgpr_count:     0
    .vgpr_spill_count: 0
    .wavefront_size: 64
  - .agpr_count:     0
    .args:
      - .offset:         0
        .size:           64
        .value_kind:     by_value
    .group_segment_fixed_size: 0
    .kernarg_segment_align: 8
    .kernarg_segment_size: 64
    .language:       OpenCL C
    .language_version:
      - 2
      - 0
    .max_flat_workgroup_size: 256
    .name:           _ZN7rocprim17ROCPRIM_400000_NS6detail17trampoline_kernelINS0_14default_configENS1_38merge_sort_block_merge_config_selectorIlNS0_10empty_typeEEEZZNS1_27merge_sort_block_merge_implIS3_PlPS5_mZN2at6native12_GLOBAL__N_124unique_dim_cuda_templateIfEESt5tupleIJNSA_6TensorESF_SF_EERKSF_lbbbEUlllE_EE10hipError_tT0_T1_T2_jT3_P12ihipStream_tbPNSt15iterator_traitsISL_E10value_typeEPNSR_ISM_E10value_typeEPSN_NS1_7vsmem_tEENKUlT_SL_SM_SN_E_clIS8_S8_S9_S9_EESK_S10_SL_SM_SN_EUlS10_E1_NS1_11comp_targetILNS1_3genE5ELNS1_11target_archE942ELNS1_3gpuE9ELNS1_3repE0EEENS1_36merge_oddeven_config_static_selectorELNS0_4arch9wavefront6targetE1EEEvSM_
    .private_segment_fixed_size: 0
    .sgpr_count:     52
    .sgpr_spill_count: 0
    .symbol:         _ZN7rocprim17ROCPRIM_400000_NS6detail17trampoline_kernelINS0_14default_configENS1_38merge_sort_block_merge_config_selectorIlNS0_10empty_typeEEEZZNS1_27merge_sort_block_merge_implIS3_PlPS5_mZN2at6native12_GLOBAL__N_124unique_dim_cuda_templateIfEESt5tupleIJNSA_6TensorESF_SF_EERKSF_lbbbEUlllE_EE10hipError_tT0_T1_T2_jT3_P12ihipStream_tbPNSt15iterator_traitsISL_E10value_typeEPNSR_ISM_E10value_typeEPSN_NS1_7vsmem_tEENKUlT_SL_SM_SN_E_clIS8_S8_S9_S9_EESK_S10_SL_SM_SN_EUlS10_E1_NS1_11comp_targetILNS1_3genE5ELNS1_11target_archE942ELNS1_3gpuE9ELNS1_3repE0EEENS1_36merge_oddeven_config_static_selectorELNS0_4arch9wavefront6targetE1EEEvSM_.kd
    .uniform_work_group_size: 1
    .uses_dynamic_stack: false
    .vgpr_count:     19
    .vgpr_spill_count: 0
    .wavefront_size: 64
  - .agpr_count:     0
    .args:
      - .offset:         0
        .size:           64
        .value_kind:     by_value
    .group_segment_fixed_size: 0
    .kernarg_segment_align: 8
    .kernarg_segment_size: 64
    .language:       OpenCL C
    .language_version:
      - 2
      - 0
    .max_flat_workgroup_size: 256
    .name:           _ZN7rocprim17ROCPRIM_400000_NS6detail17trampoline_kernelINS0_14default_configENS1_38merge_sort_block_merge_config_selectorIlNS0_10empty_typeEEEZZNS1_27merge_sort_block_merge_implIS3_PlPS5_mZN2at6native12_GLOBAL__N_124unique_dim_cuda_templateIfEESt5tupleIJNSA_6TensorESF_SF_EERKSF_lbbbEUlllE_EE10hipError_tT0_T1_T2_jT3_P12ihipStream_tbPNSt15iterator_traitsISL_E10value_typeEPNSR_ISM_E10value_typeEPSN_NS1_7vsmem_tEENKUlT_SL_SM_SN_E_clIS8_S8_S9_S9_EESK_S10_SL_SM_SN_EUlS10_E1_NS1_11comp_targetILNS1_3genE4ELNS1_11target_archE910ELNS1_3gpuE8ELNS1_3repE0EEENS1_36merge_oddeven_config_static_selectorELNS0_4arch9wavefront6targetE1EEEvSM_
    .private_segment_fixed_size: 0
    .sgpr_count:     6
    .sgpr_spill_count: 0
    .symbol:         _ZN7rocprim17ROCPRIM_400000_NS6detail17trampoline_kernelINS0_14default_configENS1_38merge_sort_block_merge_config_selectorIlNS0_10empty_typeEEEZZNS1_27merge_sort_block_merge_implIS3_PlPS5_mZN2at6native12_GLOBAL__N_124unique_dim_cuda_templateIfEESt5tupleIJNSA_6TensorESF_SF_EERKSF_lbbbEUlllE_EE10hipError_tT0_T1_T2_jT3_P12ihipStream_tbPNSt15iterator_traitsISL_E10value_typeEPNSR_ISM_E10value_typeEPSN_NS1_7vsmem_tEENKUlT_SL_SM_SN_E_clIS8_S8_S9_S9_EESK_S10_SL_SM_SN_EUlS10_E1_NS1_11comp_targetILNS1_3genE4ELNS1_11target_archE910ELNS1_3gpuE8ELNS1_3repE0EEENS1_36merge_oddeven_config_static_selectorELNS0_4arch9wavefront6targetE1EEEvSM_.kd
    .uniform_work_group_size: 1
    .uses_dynamic_stack: false
    .vgpr_count:     0
    .vgpr_spill_count: 0
    .wavefront_size: 64
  - .agpr_count:     0
    .args:
      - .offset:         0
        .size:           64
        .value_kind:     by_value
    .group_segment_fixed_size: 0
    .kernarg_segment_align: 8
    .kernarg_segment_size: 64
    .language:       OpenCL C
    .language_version:
      - 2
      - 0
    .max_flat_workgroup_size: 256
    .name:           _ZN7rocprim17ROCPRIM_400000_NS6detail17trampoline_kernelINS0_14default_configENS1_38merge_sort_block_merge_config_selectorIlNS0_10empty_typeEEEZZNS1_27merge_sort_block_merge_implIS3_PlPS5_mZN2at6native12_GLOBAL__N_124unique_dim_cuda_templateIfEESt5tupleIJNSA_6TensorESF_SF_EERKSF_lbbbEUlllE_EE10hipError_tT0_T1_T2_jT3_P12ihipStream_tbPNSt15iterator_traitsISL_E10value_typeEPNSR_ISM_E10value_typeEPSN_NS1_7vsmem_tEENKUlT_SL_SM_SN_E_clIS8_S8_S9_S9_EESK_S10_SL_SM_SN_EUlS10_E1_NS1_11comp_targetILNS1_3genE3ELNS1_11target_archE908ELNS1_3gpuE7ELNS1_3repE0EEENS1_36merge_oddeven_config_static_selectorELNS0_4arch9wavefront6targetE1EEEvSM_
    .private_segment_fixed_size: 0
    .sgpr_count:     6
    .sgpr_spill_count: 0
    .symbol:         _ZN7rocprim17ROCPRIM_400000_NS6detail17trampoline_kernelINS0_14default_configENS1_38merge_sort_block_merge_config_selectorIlNS0_10empty_typeEEEZZNS1_27merge_sort_block_merge_implIS3_PlPS5_mZN2at6native12_GLOBAL__N_124unique_dim_cuda_templateIfEESt5tupleIJNSA_6TensorESF_SF_EERKSF_lbbbEUlllE_EE10hipError_tT0_T1_T2_jT3_P12ihipStream_tbPNSt15iterator_traitsISL_E10value_typeEPNSR_ISM_E10value_typeEPSN_NS1_7vsmem_tEENKUlT_SL_SM_SN_E_clIS8_S8_S9_S9_EESK_S10_SL_SM_SN_EUlS10_E1_NS1_11comp_targetILNS1_3genE3ELNS1_11target_archE908ELNS1_3gpuE7ELNS1_3repE0EEENS1_36merge_oddeven_config_static_selectorELNS0_4arch9wavefront6targetE1EEEvSM_.kd
    .uniform_work_group_size: 1
    .uses_dynamic_stack: false
    .vgpr_count:     0
    .vgpr_spill_count: 0
    .wavefront_size: 64
  - .agpr_count:     0
    .args:
      - .offset:         0
        .size:           64
        .value_kind:     by_value
    .group_segment_fixed_size: 0
    .kernarg_segment_align: 8
    .kernarg_segment_size: 64
    .language:       OpenCL C
    .language_version:
      - 2
      - 0
    .max_flat_workgroup_size: 256
    .name:           _ZN7rocprim17ROCPRIM_400000_NS6detail17trampoline_kernelINS0_14default_configENS1_38merge_sort_block_merge_config_selectorIlNS0_10empty_typeEEEZZNS1_27merge_sort_block_merge_implIS3_PlPS5_mZN2at6native12_GLOBAL__N_124unique_dim_cuda_templateIfEESt5tupleIJNSA_6TensorESF_SF_EERKSF_lbbbEUlllE_EE10hipError_tT0_T1_T2_jT3_P12ihipStream_tbPNSt15iterator_traitsISL_E10value_typeEPNSR_ISM_E10value_typeEPSN_NS1_7vsmem_tEENKUlT_SL_SM_SN_E_clIS8_S8_S9_S9_EESK_S10_SL_SM_SN_EUlS10_E1_NS1_11comp_targetILNS1_3genE2ELNS1_11target_archE906ELNS1_3gpuE6ELNS1_3repE0EEENS1_36merge_oddeven_config_static_selectorELNS0_4arch9wavefront6targetE1EEEvSM_
    .private_segment_fixed_size: 0
    .sgpr_count:     6
    .sgpr_spill_count: 0
    .symbol:         _ZN7rocprim17ROCPRIM_400000_NS6detail17trampoline_kernelINS0_14default_configENS1_38merge_sort_block_merge_config_selectorIlNS0_10empty_typeEEEZZNS1_27merge_sort_block_merge_implIS3_PlPS5_mZN2at6native12_GLOBAL__N_124unique_dim_cuda_templateIfEESt5tupleIJNSA_6TensorESF_SF_EERKSF_lbbbEUlllE_EE10hipError_tT0_T1_T2_jT3_P12ihipStream_tbPNSt15iterator_traitsISL_E10value_typeEPNSR_ISM_E10value_typeEPSN_NS1_7vsmem_tEENKUlT_SL_SM_SN_E_clIS8_S8_S9_S9_EESK_S10_SL_SM_SN_EUlS10_E1_NS1_11comp_targetILNS1_3genE2ELNS1_11target_archE906ELNS1_3gpuE6ELNS1_3repE0EEENS1_36merge_oddeven_config_static_selectorELNS0_4arch9wavefront6targetE1EEEvSM_.kd
    .uniform_work_group_size: 1
    .uses_dynamic_stack: false
    .vgpr_count:     0
    .vgpr_spill_count: 0
    .wavefront_size: 64
  - .agpr_count:     0
    .args:
      - .offset:         0
        .size:           64
        .value_kind:     by_value
    .group_segment_fixed_size: 0
    .kernarg_segment_align: 8
    .kernarg_segment_size: 64
    .language:       OpenCL C
    .language_version:
      - 2
      - 0
    .max_flat_workgroup_size: 256
    .name:           _ZN7rocprim17ROCPRIM_400000_NS6detail17trampoline_kernelINS0_14default_configENS1_38merge_sort_block_merge_config_selectorIlNS0_10empty_typeEEEZZNS1_27merge_sort_block_merge_implIS3_PlPS5_mZN2at6native12_GLOBAL__N_124unique_dim_cuda_templateIfEESt5tupleIJNSA_6TensorESF_SF_EERKSF_lbbbEUlllE_EE10hipError_tT0_T1_T2_jT3_P12ihipStream_tbPNSt15iterator_traitsISL_E10value_typeEPNSR_ISM_E10value_typeEPSN_NS1_7vsmem_tEENKUlT_SL_SM_SN_E_clIS8_S8_S9_S9_EESK_S10_SL_SM_SN_EUlS10_E1_NS1_11comp_targetILNS1_3genE9ELNS1_11target_archE1100ELNS1_3gpuE3ELNS1_3repE0EEENS1_36merge_oddeven_config_static_selectorELNS0_4arch9wavefront6targetE1EEEvSM_
    .private_segment_fixed_size: 0
    .sgpr_count:     6
    .sgpr_spill_count: 0
    .symbol:         _ZN7rocprim17ROCPRIM_400000_NS6detail17trampoline_kernelINS0_14default_configENS1_38merge_sort_block_merge_config_selectorIlNS0_10empty_typeEEEZZNS1_27merge_sort_block_merge_implIS3_PlPS5_mZN2at6native12_GLOBAL__N_124unique_dim_cuda_templateIfEESt5tupleIJNSA_6TensorESF_SF_EERKSF_lbbbEUlllE_EE10hipError_tT0_T1_T2_jT3_P12ihipStream_tbPNSt15iterator_traitsISL_E10value_typeEPNSR_ISM_E10value_typeEPSN_NS1_7vsmem_tEENKUlT_SL_SM_SN_E_clIS8_S8_S9_S9_EESK_S10_SL_SM_SN_EUlS10_E1_NS1_11comp_targetILNS1_3genE9ELNS1_11target_archE1100ELNS1_3gpuE3ELNS1_3repE0EEENS1_36merge_oddeven_config_static_selectorELNS0_4arch9wavefront6targetE1EEEvSM_.kd
    .uniform_work_group_size: 1
    .uses_dynamic_stack: false
    .vgpr_count:     0
    .vgpr_spill_count: 0
    .wavefront_size: 64
  - .agpr_count:     0
    .args:
      - .offset:         0
        .size:           64
        .value_kind:     by_value
    .group_segment_fixed_size: 0
    .kernarg_segment_align: 8
    .kernarg_segment_size: 64
    .language:       OpenCL C
    .language_version:
      - 2
      - 0
    .max_flat_workgroup_size: 256
    .name:           _ZN7rocprim17ROCPRIM_400000_NS6detail17trampoline_kernelINS0_14default_configENS1_38merge_sort_block_merge_config_selectorIlNS0_10empty_typeEEEZZNS1_27merge_sort_block_merge_implIS3_PlPS5_mZN2at6native12_GLOBAL__N_124unique_dim_cuda_templateIfEESt5tupleIJNSA_6TensorESF_SF_EERKSF_lbbbEUlllE_EE10hipError_tT0_T1_T2_jT3_P12ihipStream_tbPNSt15iterator_traitsISL_E10value_typeEPNSR_ISM_E10value_typeEPSN_NS1_7vsmem_tEENKUlT_SL_SM_SN_E_clIS8_S8_S9_S9_EESK_S10_SL_SM_SN_EUlS10_E1_NS1_11comp_targetILNS1_3genE8ELNS1_11target_archE1030ELNS1_3gpuE2ELNS1_3repE0EEENS1_36merge_oddeven_config_static_selectorELNS0_4arch9wavefront6targetE1EEEvSM_
    .private_segment_fixed_size: 0
    .sgpr_count:     6
    .sgpr_spill_count: 0
    .symbol:         _ZN7rocprim17ROCPRIM_400000_NS6detail17trampoline_kernelINS0_14default_configENS1_38merge_sort_block_merge_config_selectorIlNS0_10empty_typeEEEZZNS1_27merge_sort_block_merge_implIS3_PlPS5_mZN2at6native12_GLOBAL__N_124unique_dim_cuda_templateIfEESt5tupleIJNSA_6TensorESF_SF_EERKSF_lbbbEUlllE_EE10hipError_tT0_T1_T2_jT3_P12ihipStream_tbPNSt15iterator_traitsISL_E10value_typeEPNSR_ISM_E10value_typeEPSN_NS1_7vsmem_tEENKUlT_SL_SM_SN_E_clIS8_S8_S9_S9_EESK_S10_SL_SM_SN_EUlS10_E1_NS1_11comp_targetILNS1_3genE8ELNS1_11target_archE1030ELNS1_3gpuE2ELNS1_3repE0EEENS1_36merge_oddeven_config_static_selectorELNS0_4arch9wavefront6targetE1EEEvSM_.kd
    .uniform_work_group_size: 1
    .uses_dynamic_stack: false
    .vgpr_count:     0
    .vgpr_spill_count: 0
    .wavefront_size: 64
  - .agpr_count:     0
    .args:
      - .offset:         0
        .size:           64
        .value_kind:     by_value
    .group_segment_fixed_size: 0
    .kernarg_segment_align: 8
    .kernarg_segment_size: 64
    .language:       OpenCL C
    .language_version:
      - 2
      - 0
    .max_flat_workgroup_size: 128
    .name:           _ZN7rocprim17ROCPRIM_400000_NS6detail17trampoline_kernelINS0_14default_configENS1_35adjacent_difference_config_selectorILb0ElEEZNS1_24adjacent_difference_implIS3_Lb0ELb0EPlS7_ZN2at6native12_GLOBAL__N_124unique_dim_cuda_templateIfEESt5tupleIJNS8_6TensorESD_SD_EERKSD_lbbbEUlllE1_EE10hipError_tPvRmT2_T3_mT4_P12ihipStream_tbEUlT_E_NS1_11comp_targetILNS1_3genE0ELNS1_11target_archE4294967295ELNS1_3gpuE0ELNS1_3repE0EEENS1_30default_config_static_selectorELNS0_4arch9wavefront6targetE1EEEvT1_
    .private_segment_fixed_size: 0
    .sgpr_count:     6
    .sgpr_spill_count: 0
    .symbol:         _ZN7rocprim17ROCPRIM_400000_NS6detail17trampoline_kernelINS0_14default_configENS1_35adjacent_difference_config_selectorILb0ElEEZNS1_24adjacent_difference_implIS3_Lb0ELb0EPlS7_ZN2at6native12_GLOBAL__N_124unique_dim_cuda_templateIfEESt5tupleIJNS8_6TensorESD_SD_EERKSD_lbbbEUlllE1_EE10hipError_tPvRmT2_T3_mT4_P12ihipStream_tbEUlT_E_NS1_11comp_targetILNS1_3genE0ELNS1_11target_archE4294967295ELNS1_3gpuE0ELNS1_3repE0EEENS1_30default_config_static_selectorELNS0_4arch9wavefront6targetE1EEEvT1_.kd
    .uniform_work_group_size: 1
    .uses_dynamic_stack: false
    .vgpr_count:     0
    .vgpr_spill_count: 0
    .wavefront_size: 64
  - .agpr_count:     0
    .args:
      - .offset:         0
        .size:           64
        .value_kind:     by_value
    .group_segment_fixed_size: 0
    .kernarg_segment_align: 8
    .kernarg_segment_size: 64
    .language:       OpenCL C
    .language_version:
      - 2
      - 0
    .max_flat_workgroup_size: 128
    .name:           _ZN7rocprim17ROCPRIM_400000_NS6detail17trampoline_kernelINS0_14default_configENS1_35adjacent_difference_config_selectorILb0ElEEZNS1_24adjacent_difference_implIS3_Lb0ELb0EPlS7_ZN2at6native12_GLOBAL__N_124unique_dim_cuda_templateIfEESt5tupleIJNS8_6TensorESD_SD_EERKSD_lbbbEUlllE1_EE10hipError_tPvRmT2_T3_mT4_P12ihipStream_tbEUlT_E_NS1_11comp_targetILNS1_3genE10ELNS1_11target_archE1201ELNS1_3gpuE5ELNS1_3repE0EEENS1_30default_config_static_selectorELNS0_4arch9wavefront6targetE1EEEvT1_
    .private_segment_fixed_size: 0
    .sgpr_count:     6
    .sgpr_spill_count: 0
    .symbol:         _ZN7rocprim17ROCPRIM_400000_NS6detail17trampoline_kernelINS0_14default_configENS1_35adjacent_difference_config_selectorILb0ElEEZNS1_24adjacent_difference_implIS3_Lb0ELb0EPlS7_ZN2at6native12_GLOBAL__N_124unique_dim_cuda_templateIfEESt5tupleIJNS8_6TensorESD_SD_EERKSD_lbbbEUlllE1_EE10hipError_tPvRmT2_T3_mT4_P12ihipStream_tbEUlT_E_NS1_11comp_targetILNS1_3genE10ELNS1_11target_archE1201ELNS1_3gpuE5ELNS1_3repE0EEENS1_30default_config_static_selectorELNS0_4arch9wavefront6targetE1EEEvT1_.kd
    .uniform_work_group_size: 1
    .uses_dynamic_stack: false
    .vgpr_count:     0
    .vgpr_spill_count: 0
    .wavefront_size: 64
  - .agpr_count:     0
    .args:
      - .offset:         0
        .size:           64
        .value_kind:     by_value
    .group_segment_fixed_size: 6656
    .kernarg_segment_align: 8
    .kernarg_segment_size: 64
    .language:       OpenCL C
    .language_version:
      - 2
      - 0
    .max_flat_workgroup_size: 64
    .name:           _ZN7rocprim17ROCPRIM_400000_NS6detail17trampoline_kernelINS0_14default_configENS1_35adjacent_difference_config_selectorILb0ElEEZNS1_24adjacent_difference_implIS3_Lb0ELb0EPlS7_ZN2at6native12_GLOBAL__N_124unique_dim_cuda_templateIfEESt5tupleIJNS8_6TensorESD_SD_EERKSD_lbbbEUlllE1_EE10hipError_tPvRmT2_T3_mT4_P12ihipStream_tbEUlT_E_NS1_11comp_targetILNS1_3genE5ELNS1_11target_archE942ELNS1_3gpuE9ELNS1_3repE0EEENS1_30default_config_static_selectorELNS0_4arch9wavefront6targetE1EEEvT1_
    .private_segment_fixed_size: 0
    .sgpr_count:     44
    .sgpr_spill_count: 0
    .symbol:         _ZN7rocprim17ROCPRIM_400000_NS6detail17trampoline_kernelINS0_14default_configENS1_35adjacent_difference_config_selectorILb0ElEEZNS1_24adjacent_difference_implIS3_Lb0ELb0EPlS7_ZN2at6native12_GLOBAL__N_124unique_dim_cuda_templateIfEESt5tupleIJNS8_6TensorESD_SD_EERKSD_lbbbEUlllE1_EE10hipError_tPvRmT2_T3_mT4_P12ihipStream_tbEUlT_E_NS1_11comp_targetILNS1_3genE5ELNS1_11target_archE942ELNS1_3gpuE9ELNS1_3repE0EEENS1_30default_config_static_selectorELNS0_4arch9wavefront6targetE1EEEvT1_.kd
    .uniform_work_group_size: 1
    .uses_dynamic_stack: false
    .vgpr_count:     84
    .vgpr_spill_count: 0
    .wavefront_size: 64
  - .agpr_count:     0
    .args:
      - .offset:         0
        .size:           64
        .value_kind:     by_value
    .group_segment_fixed_size: 0
    .kernarg_segment_align: 8
    .kernarg_segment_size: 64
    .language:       OpenCL C
    .language_version:
      - 2
      - 0
    .max_flat_workgroup_size: 256
    .name:           _ZN7rocprim17ROCPRIM_400000_NS6detail17trampoline_kernelINS0_14default_configENS1_35adjacent_difference_config_selectorILb0ElEEZNS1_24adjacent_difference_implIS3_Lb0ELb0EPlS7_ZN2at6native12_GLOBAL__N_124unique_dim_cuda_templateIfEESt5tupleIJNS8_6TensorESD_SD_EERKSD_lbbbEUlllE1_EE10hipError_tPvRmT2_T3_mT4_P12ihipStream_tbEUlT_E_NS1_11comp_targetILNS1_3genE4ELNS1_11target_archE910ELNS1_3gpuE8ELNS1_3repE0EEENS1_30default_config_static_selectorELNS0_4arch9wavefront6targetE1EEEvT1_
    .private_segment_fixed_size: 0
    .sgpr_count:     6
    .sgpr_spill_count: 0
    .symbol:         _ZN7rocprim17ROCPRIM_400000_NS6detail17trampoline_kernelINS0_14default_configENS1_35adjacent_difference_config_selectorILb0ElEEZNS1_24adjacent_difference_implIS3_Lb0ELb0EPlS7_ZN2at6native12_GLOBAL__N_124unique_dim_cuda_templateIfEESt5tupleIJNS8_6TensorESD_SD_EERKSD_lbbbEUlllE1_EE10hipError_tPvRmT2_T3_mT4_P12ihipStream_tbEUlT_E_NS1_11comp_targetILNS1_3genE4ELNS1_11target_archE910ELNS1_3gpuE8ELNS1_3repE0EEENS1_30default_config_static_selectorELNS0_4arch9wavefront6targetE1EEEvT1_.kd
    .uniform_work_group_size: 1
    .uses_dynamic_stack: false
    .vgpr_count:     0
    .vgpr_spill_count: 0
    .wavefront_size: 64
  - .agpr_count:     0
    .args:
      - .offset:         0
        .size:           64
        .value_kind:     by_value
    .group_segment_fixed_size: 0
    .kernarg_segment_align: 8
    .kernarg_segment_size: 64
    .language:       OpenCL C
    .language_version:
      - 2
      - 0
    .max_flat_workgroup_size: 128
    .name:           _ZN7rocprim17ROCPRIM_400000_NS6detail17trampoline_kernelINS0_14default_configENS1_35adjacent_difference_config_selectorILb0ElEEZNS1_24adjacent_difference_implIS3_Lb0ELb0EPlS7_ZN2at6native12_GLOBAL__N_124unique_dim_cuda_templateIfEESt5tupleIJNS8_6TensorESD_SD_EERKSD_lbbbEUlllE1_EE10hipError_tPvRmT2_T3_mT4_P12ihipStream_tbEUlT_E_NS1_11comp_targetILNS1_3genE3ELNS1_11target_archE908ELNS1_3gpuE7ELNS1_3repE0EEENS1_30default_config_static_selectorELNS0_4arch9wavefront6targetE1EEEvT1_
    .private_segment_fixed_size: 0
    .sgpr_count:     6
    .sgpr_spill_count: 0
    .symbol:         _ZN7rocprim17ROCPRIM_400000_NS6detail17trampoline_kernelINS0_14default_configENS1_35adjacent_difference_config_selectorILb0ElEEZNS1_24adjacent_difference_implIS3_Lb0ELb0EPlS7_ZN2at6native12_GLOBAL__N_124unique_dim_cuda_templateIfEESt5tupleIJNS8_6TensorESD_SD_EERKSD_lbbbEUlllE1_EE10hipError_tPvRmT2_T3_mT4_P12ihipStream_tbEUlT_E_NS1_11comp_targetILNS1_3genE3ELNS1_11target_archE908ELNS1_3gpuE7ELNS1_3repE0EEENS1_30default_config_static_selectorELNS0_4arch9wavefront6targetE1EEEvT1_.kd
    .uniform_work_group_size: 1
    .uses_dynamic_stack: false
    .vgpr_count:     0
    .vgpr_spill_count: 0
    .wavefront_size: 64
  - .agpr_count:     0
    .args:
      - .offset:         0
        .size:           64
        .value_kind:     by_value
    .group_segment_fixed_size: 0
    .kernarg_segment_align: 8
    .kernarg_segment_size: 64
    .language:       OpenCL C
    .language_version:
      - 2
      - 0
    .max_flat_workgroup_size: 128
    .name:           _ZN7rocprim17ROCPRIM_400000_NS6detail17trampoline_kernelINS0_14default_configENS1_35adjacent_difference_config_selectorILb0ElEEZNS1_24adjacent_difference_implIS3_Lb0ELb0EPlS7_ZN2at6native12_GLOBAL__N_124unique_dim_cuda_templateIfEESt5tupleIJNS8_6TensorESD_SD_EERKSD_lbbbEUlllE1_EE10hipError_tPvRmT2_T3_mT4_P12ihipStream_tbEUlT_E_NS1_11comp_targetILNS1_3genE2ELNS1_11target_archE906ELNS1_3gpuE6ELNS1_3repE0EEENS1_30default_config_static_selectorELNS0_4arch9wavefront6targetE1EEEvT1_
    .private_segment_fixed_size: 0
    .sgpr_count:     6
    .sgpr_spill_count: 0
    .symbol:         _ZN7rocprim17ROCPRIM_400000_NS6detail17trampoline_kernelINS0_14default_configENS1_35adjacent_difference_config_selectorILb0ElEEZNS1_24adjacent_difference_implIS3_Lb0ELb0EPlS7_ZN2at6native12_GLOBAL__N_124unique_dim_cuda_templateIfEESt5tupleIJNS8_6TensorESD_SD_EERKSD_lbbbEUlllE1_EE10hipError_tPvRmT2_T3_mT4_P12ihipStream_tbEUlT_E_NS1_11comp_targetILNS1_3genE2ELNS1_11target_archE906ELNS1_3gpuE6ELNS1_3repE0EEENS1_30default_config_static_selectorELNS0_4arch9wavefront6targetE1EEEvT1_.kd
    .uniform_work_group_size: 1
    .uses_dynamic_stack: false
    .vgpr_count:     0
    .vgpr_spill_count: 0
    .wavefront_size: 64
  - .agpr_count:     0
    .args:
      - .offset:         0
        .size:           64
        .value_kind:     by_value
    .group_segment_fixed_size: 0
    .kernarg_segment_align: 8
    .kernarg_segment_size: 64
    .language:       OpenCL C
    .language_version:
      - 2
      - 0
    .max_flat_workgroup_size: 512
    .name:           _ZN7rocprim17ROCPRIM_400000_NS6detail17trampoline_kernelINS0_14default_configENS1_35adjacent_difference_config_selectorILb0ElEEZNS1_24adjacent_difference_implIS3_Lb0ELb0EPlS7_ZN2at6native12_GLOBAL__N_124unique_dim_cuda_templateIfEESt5tupleIJNS8_6TensorESD_SD_EERKSD_lbbbEUlllE1_EE10hipError_tPvRmT2_T3_mT4_P12ihipStream_tbEUlT_E_NS1_11comp_targetILNS1_3genE9ELNS1_11target_archE1100ELNS1_3gpuE3ELNS1_3repE0EEENS1_30default_config_static_selectorELNS0_4arch9wavefront6targetE1EEEvT1_
    .private_segment_fixed_size: 0
    .sgpr_count:     6
    .sgpr_spill_count: 0
    .symbol:         _ZN7rocprim17ROCPRIM_400000_NS6detail17trampoline_kernelINS0_14default_configENS1_35adjacent_difference_config_selectorILb0ElEEZNS1_24adjacent_difference_implIS3_Lb0ELb0EPlS7_ZN2at6native12_GLOBAL__N_124unique_dim_cuda_templateIfEESt5tupleIJNS8_6TensorESD_SD_EERKSD_lbbbEUlllE1_EE10hipError_tPvRmT2_T3_mT4_P12ihipStream_tbEUlT_E_NS1_11comp_targetILNS1_3genE9ELNS1_11target_archE1100ELNS1_3gpuE3ELNS1_3repE0EEENS1_30default_config_static_selectorELNS0_4arch9wavefront6targetE1EEEvT1_.kd
    .uniform_work_group_size: 1
    .uses_dynamic_stack: false
    .vgpr_count:     0
    .vgpr_spill_count: 0
    .wavefront_size: 64
  - .agpr_count:     0
    .args:
      - .offset:         0
        .size:           64
        .value_kind:     by_value
    .group_segment_fixed_size: 0
    .kernarg_segment_align: 8
    .kernarg_segment_size: 64
    .language:       OpenCL C
    .language_version:
      - 2
      - 0
    .max_flat_workgroup_size: 1024
    .name:           _ZN7rocprim17ROCPRIM_400000_NS6detail17trampoline_kernelINS0_14default_configENS1_35adjacent_difference_config_selectorILb0ElEEZNS1_24adjacent_difference_implIS3_Lb0ELb0EPlS7_ZN2at6native12_GLOBAL__N_124unique_dim_cuda_templateIfEESt5tupleIJNS8_6TensorESD_SD_EERKSD_lbbbEUlllE1_EE10hipError_tPvRmT2_T3_mT4_P12ihipStream_tbEUlT_E_NS1_11comp_targetILNS1_3genE8ELNS1_11target_archE1030ELNS1_3gpuE2ELNS1_3repE0EEENS1_30default_config_static_selectorELNS0_4arch9wavefront6targetE1EEEvT1_
    .private_segment_fixed_size: 0
    .sgpr_count:     6
    .sgpr_spill_count: 0
    .symbol:         _ZN7rocprim17ROCPRIM_400000_NS6detail17trampoline_kernelINS0_14default_configENS1_35adjacent_difference_config_selectorILb0ElEEZNS1_24adjacent_difference_implIS3_Lb0ELb0EPlS7_ZN2at6native12_GLOBAL__N_124unique_dim_cuda_templateIfEESt5tupleIJNS8_6TensorESD_SD_EERKSD_lbbbEUlllE1_EE10hipError_tPvRmT2_T3_mT4_P12ihipStream_tbEUlT_E_NS1_11comp_targetILNS1_3genE8ELNS1_11target_archE1030ELNS1_3gpuE2ELNS1_3repE0EEENS1_30default_config_static_selectorELNS0_4arch9wavefront6targetE1EEEvT1_.kd
    .uniform_work_group_size: 1
    .uses_dynamic_stack: false
    .vgpr_count:     0
    .vgpr_spill_count: 0
    .wavefront_size: 64
  - .agpr_count:     0
    .args:
      - .offset:         0
        .size:           56
        .value_kind:     by_value
    .group_segment_fixed_size: 0
    .kernarg_segment_align: 8
    .kernarg_segment_size: 56
    .language:       OpenCL C
    .language_version:
      - 2
      - 0
    .max_flat_workgroup_size: 128
    .name:           _ZN7rocprim17ROCPRIM_400000_NS6detail17trampoline_kernelINS0_14default_configENS1_25transform_config_selectorIlLb0EEEZNS1_14transform_implILb0ES3_S5_NS0_18transform_iteratorINS0_17counting_iteratorImlEEZNS1_24adjacent_difference_implIS3_Lb1ELb0EPlSB_ZN2at6native12_GLOBAL__N_124unique_dim_cuda_templateIfEESt5tupleIJNSC_6TensorESH_SH_EERKSH_lbbbEUlllE1_EE10hipError_tPvRmT2_T3_mT4_P12ihipStream_tbEUlmE_lEESB_NS0_8identityIvEEEESM_SP_SQ_mSR_ST_bEUlT_E_NS1_11comp_targetILNS1_3genE0ELNS1_11target_archE4294967295ELNS1_3gpuE0ELNS1_3repE0EEENS1_30default_config_static_selectorELNS0_4arch9wavefront6targetE1EEEvT1_
    .private_segment_fixed_size: 0
    .sgpr_count:     6
    .sgpr_spill_count: 0
    .symbol:         _ZN7rocprim17ROCPRIM_400000_NS6detail17trampoline_kernelINS0_14default_configENS1_25transform_config_selectorIlLb0EEEZNS1_14transform_implILb0ES3_S5_NS0_18transform_iteratorINS0_17counting_iteratorImlEEZNS1_24adjacent_difference_implIS3_Lb1ELb0EPlSB_ZN2at6native12_GLOBAL__N_124unique_dim_cuda_templateIfEESt5tupleIJNSC_6TensorESH_SH_EERKSH_lbbbEUlllE1_EE10hipError_tPvRmT2_T3_mT4_P12ihipStream_tbEUlmE_lEESB_NS0_8identityIvEEEESM_SP_SQ_mSR_ST_bEUlT_E_NS1_11comp_targetILNS1_3genE0ELNS1_11target_archE4294967295ELNS1_3gpuE0ELNS1_3repE0EEENS1_30default_config_static_selectorELNS0_4arch9wavefront6targetE1EEEvT1_.kd
    .uniform_work_group_size: 1
    .uses_dynamic_stack: false
    .vgpr_count:     0
    .vgpr_spill_count: 0
    .wavefront_size: 64
  - .agpr_count:     0
    .args:
      - .offset:         0
        .size:           56
        .value_kind:     by_value
      - .offset:         56
        .size:           4
        .value_kind:     hidden_block_count_x
      - .offset:         60
        .size:           4
        .value_kind:     hidden_block_count_y
      - .offset:         64
        .size:           4
        .value_kind:     hidden_block_count_z
      - .offset:         68
        .size:           2
        .value_kind:     hidden_group_size_x
      - .offset:         70
        .size:           2
        .value_kind:     hidden_group_size_y
      - .offset:         72
        .size:           2
        .value_kind:     hidden_group_size_z
      - .offset:         74
        .size:           2
        .value_kind:     hidden_remainder_x
      - .offset:         76
        .size:           2
        .value_kind:     hidden_remainder_y
      - .offset:         78
        .size:           2
        .value_kind:     hidden_remainder_z
      - .offset:         96
        .size:           8
        .value_kind:     hidden_global_offset_x
      - .offset:         104
        .size:           8
        .value_kind:     hidden_global_offset_y
      - .offset:         112
        .size:           8
        .value_kind:     hidden_global_offset_z
      - .offset:         120
        .size:           2
        .value_kind:     hidden_grid_dims
    .group_segment_fixed_size: 0
    .kernarg_segment_align: 8
    .kernarg_segment_size: 312
    .language:       OpenCL C
    .language_version:
      - 2
      - 0
    .max_flat_workgroup_size: 512
    .name:           _ZN7rocprim17ROCPRIM_400000_NS6detail17trampoline_kernelINS0_14default_configENS1_25transform_config_selectorIlLb0EEEZNS1_14transform_implILb0ES3_S5_NS0_18transform_iteratorINS0_17counting_iteratorImlEEZNS1_24adjacent_difference_implIS3_Lb1ELb0EPlSB_ZN2at6native12_GLOBAL__N_124unique_dim_cuda_templateIfEESt5tupleIJNSC_6TensorESH_SH_EERKSH_lbbbEUlllE1_EE10hipError_tPvRmT2_T3_mT4_P12ihipStream_tbEUlmE_lEESB_NS0_8identityIvEEEESM_SP_SQ_mSR_ST_bEUlT_E_NS1_11comp_targetILNS1_3genE5ELNS1_11target_archE942ELNS1_3gpuE9ELNS1_3repE0EEENS1_30default_config_static_selectorELNS0_4arch9wavefront6targetE1EEEvT1_
    .private_segment_fixed_size: 0
    .sgpr_count:     26
    .sgpr_spill_count: 0
    .symbol:         _ZN7rocprim17ROCPRIM_400000_NS6detail17trampoline_kernelINS0_14default_configENS1_25transform_config_selectorIlLb0EEEZNS1_14transform_implILb0ES3_S5_NS0_18transform_iteratorINS0_17counting_iteratorImlEEZNS1_24adjacent_difference_implIS3_Lb1ELb0EPlSB_ZN2at6native12_GLOBAL__N_124unique_dim_cuda_templateIfEESt5tupleIJNSC_6TensorESH_SH_EERKSH_lbbbEUlllE1_EE10hipError_tPvRmT2_T3_mT4_P12ihipStream_tbEUlmE_lEESB_NS0_8identityIvEEEESM_SP_SQ_mSR_ST_bEUlT_E_NS1_11comp_targetILNS1_3genE5ELNS1_11target_archE942ELNS1_3gpuE9ELNS1_3repE0EEENS1_30default_config_static_selectorELNS0_4arch9wavefront6targetE1EEEvT1_.kd
    .uniform_work_group_size: 1
    .uses_dynamic_stack: false
    .vgpr_count:     12
    .vgpr_spill_count: 0
    .wavefront_size: 64
  - .agpr_count:     0
    .args:
      - .offset:         0
        .size:           56
        .value_kind:     by_value
    .group_segment_fixed_size: 0
    .kernarg_segment_align: 8
    .kernarg_segment_size: 56
    .language:       OpenCL C
    .language_version:
      - 2
      - 0
    .max_flat_workgroup_size: 256
    .name:           _ZN7rocprim17ROCPRIM_400000_NS6detail17trampoline_kernelINS0_14default_configENS1_25transform_config_selectorIlLb0EEEZNS1_14transform_implILb0ES3_S5_NS0_18transform_iteratorINS0_17counting_iteratorImlEEZNS1_24adjacent_difference_implIS3_Lb1ELb0EPlSB_ZN2at6native12_GLOBAL__N_124unique_dim_cuda_templateIfEESt5tupleIJNSC_6TensorESH_SH_EERKSH_lbbbEUlllE1_EE10hipError_tPvRmT2_T3_mT4_P12ihipStream_tbEUlmE_lEESB_NS0_8identityIvEEEESM_SP_SQ_mSR_ST_bEUlT_E_NS1_11comp_targetILNS1_3genE4ELNS1_11target_archE910ELNS1_3gpuE8ELNS1_3repE0EEENS1_30default_config_static_selectorELNS0_4arch9wavefront6targetE1EEEvT1_
    .private_segment_fixed_size: 0
    .sgpr_count:     6
    .sgpr_spill_count: 0
    .symbol:         _ZN7rocprim17ROCPRIM_400000_NS6detail17trampoline_kernelINS0_14default_configENS1_25transform_config_selectorIlLb0EEEZNS1_14transform_implILb0ES3_S5_NS0_18transform_iteratorINS0_17counting_iteratorImlEEZNS1_24adjacent_difference_implIS3_Lb1ELb0EPlSB_ZN2at6native12_GLOBAL__N_124unique_dim_cuda_templateIfEESt5tupleIJNSC_6TensorESH_SH_EERKSH_lbbbEUlllE1_EE10hipError_tPvRmT2_T3_mT4_P12ihipStream_tbEUlmE_lEESB_NS0_8identityIvEEEESM_SP_SQ_mSR_ST_bEUlT_E_NS1_11comp_targetILNS1_3genE4ELNS1_11target_archE910ELNS1_3gpuE8ELNS1_3repE0EEENS1_30default_config_static_selectorELNS0_4arch9wavefront6targetE1EEEvT1_.kd
    .uniform_work_group_size: 1
    .uses_dynamic_stack: false
    .vgpr_count:     0
    .vgpr_spill_count: 0
    .wavefront_size: 64
  - .agpr_count:     0
    .args:
      - .offset:         0
        .size:           56
        .value_kind:     by_value
    .group_segment_fixed_size: 0
    .kernarg_segment_align: 8
    .kernarg_segment_size: 56
    .language:       OpenCL C
    .language_version:
      - 2
      - 0
    .max_flat_workgroup_size: 128
    .name:           _ZN7rocprim17ROCPRIM_400000_NS6detail17trampoline_kernelINS0_14default_configENS1_25transform_config_selectorIlLb0EEEZNS1_14transform_implILb0ES3_S5_NS0_18transform_iteratorINS0_17counting_iteratorImlEEZNS1_24adjacent_difference_implIS3_Lb1ELb0EPlSB_ZN2at6native12_GLOBAL__N_124unique_dim_cuda_templateIfEESt5tupleIJNSC_6TensorESH_SH_EERKSH_lbbbEUlllE1_EE10hipError_tPvRmT2_T3_mT4_P12ihipStream_tbEUlmE_lEESB_NS0_8identityIvEEEESM_SP_SQ_mSR_ST_bEUlT_E_NS1_11comp_targetILNS1_3genE3ELNS1_11target_archE908ELNS1_3gpuE7ELNS1_3repE0EEENS1_30default_config_static_selectorELNS0_4arch9wavefront6targetE1EEEvT1_
    .private_segment_fixed_size: 0
    .sgpr_count:     6
    .sgpr_spill_count: 0
    .symbol:         _ZN7rocprim17ROCPRIM_400000_NS6detail17trampoline_kernelINS0_14default_configENS1_25transform_config_selectorIlLb0EEEZNS1_14transform_implILb0ES3_S5_NS0_18transform_iteratorINS0_17counting_iteratorImlEEZNS1_24adjacent_difference_implIS3_Lb1ELb0EPlSB_ZN2at6native12_GLOBAL__N_124unique_dim_cuda_templateIfEESt5tupleIJNSC_6TensorESH_SH_EERKSH_lbbbEUlllE1_EE10hipError_tPvRmT2_T3_mT4_P12ihipStream_tbEUlmE_lEESB_NS0_8identityIvEEEESM_SP_SQ_mSR_ST_bEUlT_E_NS1_11comp_targetILNS1_3genE3ELNS1_11target_archE908ELNS1_3gpuE7ELNS1_3repE0EEENS1_30default_config_static_selectorELNS0_4arch9wavefront6targetE1EEEvT1_.kd
    .uniform_work_group_size: 1
    .uses_dynamic_stack: false
    .vgpr_count:     0
    .vgpr_spill_count: 0
    .wavefront_size: 64
  - .agpr_count:     0
    .args:
      - .offset:         0
        .size:           56
        .value_kind:     by_value
    .group_segment_fixed_size: 0
    .kernarg_segment_align: 8
    .kernarg_segment_size: 56
    .language:       OpenCL C
    .language_version:
      - 2
      - 0
    .max_flat_workgroup_size: 512
    .name:           _ZN7rocprim17ROCPRIM_400000_NS6detail17trampoline_kernelINS0_14default_configENS1_25transform_config_selectorIlLb0EEEZNS1_14transform_implILb0ES3_S5_NS0_18transform_iteratorINS0_17counting_iteratorImlEEZNS1_24adjacent_difference_implIS3_Lb1ELb0EPlSB_ZN2at6native12_GLOBAL__N_124unique_dim_cuda_templateIfEESt5tupleIJNSC_6TensorESH_SH_EERKSH_lbbbEUlllE1_EE10hipError_tPvRmT2_T3_mT4_P12ihipStream_tbEUlmE_lEESB_NS0_8identityIvEEEESM_SP_SQ_mSR_ST_bEUlT_E_NS1_11comp_targetILNS1_3genE2ELNS1_11target_archE906ELNS1_3gpuE6ELNS1_3repE0EEENS1_30default_config_static_selectorELNS0_4arch9wavefront6targetE1EEEvT1_
    .private_segment_fixed_size: 0
    .sgpr_count:     6
    .sgpr_spill_count: 0
    .symbol:         _ZN7rocprim17ROCPRIM_400000_NS6detail17trampoline_kernelINS0_14default_configENS1_25transform_config_selectorIlLb0EEEZNS1_14transform_implILb0ES3_S5_NS0_18transform_iteratorINS0_17counting_iteratorImlEEZNS1_24adjacent_difference_implIS3_Lb1ELb0EPlSB_ZN2at6native12_GLOBAL__N_124unique_dim_cuda_templateIfEESt5tupleIJNSC_6TensorESH_SH_EERKSH_lbbbEUlllE1_EE10hipError_tPvRmT2_T3_mT4_P12ihipStream_tbEUlmE_lEESB_NS0_8identityIvEEEESM_SP_SQ_mSR_ST_bEUlT_E_NS1_11comp_targetILNS1_3genE2ELNS1_11target_archE906ELNS1_3gpuE6ELNS1_3repE0EEENS1_30default_config_static_selectorELNS0_4arch9wavefront6targetE1EEEvT1_.kd
    .uniform_work_group_size: 1
    .uses_dynamic_stack: false
    .vgpr_count:     0
    .vgpr_spill_count: 0
    .wavefront_size: 64
  - .agpr_count:     0
    .args:
      - .offset:         0
        .size:           56
        .value_kind:     by_value
    .group_segment_fixed_size: 0
    .kernarg_segment_align: 8
    .kernarg_segment_size: 56
    .language:       OpenCL C
    .language_version:
      - 2
      - 0
    .max_flat_workgroup_size: 1024
    .name:           _ZN7rocprim17ROCPRIM_400000_NS6detail17trampoline_kernelINS0_14default_configENS1_25transform_config_selectorIlLb0EEEZNS1_14transform_implILb0ES3_S5_NS0_18transform_iteratorINS0_17counting_iteratorImlEEZNS1_24adjacent_difference_implIS3_Lb1ELb0EPlSB_ZN2at6native12_GLOBAL__N_124unique_dim_cuda_templateIfEESt5tupleIJNSC_6TensorESH_SH_EERKSH_lbbbEUlllE1_EE10hipError_tPvRmT2_T3_mT4_P12ihipStream_tbEUlmE_lEESB_NS0_8identityIvEEEESM_SP_SQ_mSR_ST_bEUlT_E_NS1_11comp_targetILNS1_3genE10ELNS1_11target_archE1201ELNS1_3gpuE5ELNS1_3repE0EEENS1_30default_config_static_selectorELNS0_4arch9wavefront6targetE1EEEvT1_
    .private_segment_fixed_size: 0
    .sgpr_count:     6
    .sgpr_spill_count: 0
    .symbol:         _ZN7rocprim17ROCPRIM_400000_NS6detail17trampoline_kernelINS0_14default_configENS1_25transform_config_selectorIlLb0EEEZNS1_14transform_implILb0ES3_S5_NS0_18transform_iteratorINS0_17counting_iteratorImlEEZNS1_24adjacent_difference_implIS3_Lb1ELb0EPlSB_ZN2at6native12_GLOBAL__N_124unique_dim_cuda_templateIfEESt5tupleIJNSC_6TensorESH_SH_EERKSH_lbbbEUlllE1_EE10hipError_tPvRmT2_T3_mT4_P12ihipStream_tbEUlmE_lEESB_NS0_8identityIvEEEESM_SP_SQ_mSR_ST_bEUlT_E_NS1_11comp_targetILNS1_3genE10ELNS1_11target_archE1201ELNS1_3gpuE5ELNS1_3repE0EEENS1_30default_config_static_selectorELNS0_4arch9wavefront6targetE1EEEvT1_.kd
    .uniform_work_group_size: 1
    .uses_dynamic_stack: false
    .vgpr_count:     0
    .vgpr_spill_count: 0
    .wavefront_size: 64
  - .agpr_count:     0
    .args:
      - .offset:         0
        .size:           56
        .value_kind:     by_value
    .group_segment_fixed_size: 0
    .kernarg_segment_align: 8
    .kernarg_segment_size: 56
    .language:       OpenCL C
    .language_version:
      - 2
      - 0
    .max_flat_workgroup_size: 512
    .name:           _ZN7rocprim17ROCPRIM_400000_NS6detail17trampoline_kernelINS0_14default_configENS1_25transform_config_selectorIlLb0EEEZNS1_14transform_implILb0ES3_S5_NS0_18transform_iteratorINS0_17counting_iteratorImlEEZNS1_24adjacent_difference_implIS3_Lb1ELb0EPlSB_ZN2at6native12_GLOBAL__N_124unique_dim_cuda_templateIfEESt5tupleIJNSC_6TensorESH_SH_EERKSH_lbbbEUlllE1_EE10hipError_tPvRmT2_T3_mT4_P12ihipStream_tbEUlmE_lEESB_NS0_8identityIvEEEESM_SP_SQ_mSR_ST_bEUlT_E_NS1_11comp_targetILNS1_3genE10ELNS1_11target_archE1200ELNS1_3gpuE4ELNS1_3repE0EEENS1_30default_config_static_selectorELNS0_4arch9wavefront6targetE1EEEvT1_
    .private_segment_fixed_size: 0
    .sgpr_count:     6
    .sgpr_spill_count: 0
    .symbol:         _ZN7rocprim17ROCPRIM_400000_NS6detail17trampoline_kernelINS0_14default_configENS1_25transform_config_selectorIlLb0EEEZNS1_14transform_implILb0ES3_S5_NS0_18transform_iteratorINS0_17counting_iteratorImlEEZNS1_24adjacent_difference_implIS3_Lb1ELb0EPlSB_ZN2at6native12_GLOBAL__N_124unique_dim_cuda_templateIfEESt5tupleIJNSC_6TensorESH_SH_EERKSH_lbbbEUlllE1_EE10hipError_tPvRmT2_T3_mT4_P12ihipStream_tbEUlmE_lEESB_NS0_8identityIvEEEESM_SP_SQ_mSR_ST_bEUlT_E_NS1_11comp_targetILNS1_3genE10ELNS1_11target_archE1200ELNS1_3gpuE4ELNS1_3repE0EEENS1_30default_config_static_selectorELNS0_4arch9wavefront6targetE1EEEvT1_.kd
    .uniform_work_group_size: 1
    .uses_dynamic_stack: false
    .vgpr_count:     0
    .vgpr_spill_count: 0
    .wavefront_size: 64
  - .agpr_count:     0
    .args:
      - .offset:         0
        .size:           56
        .value_kind:     by_value
    .group_segment_fixed_size: 0
    .kernarg_segment_align: 8
    .kernarg_segment_size: 56
    .language:       OpenCL C
    .language_version:
      - 2
      - 0
    .max_flat_workgroup_size: 512
    .name:           _ZN7rocprim17ROCPRIM_400000_NS6detail17trampoline_kernelINS0_14default_configENS1_25transform_config_selectorIlLb0EEEZNS1_14transform_implILb0ES3_S5_NS0_18transform_iteratorINS0_17counting_iteratorImlEEZNS1_24adjacent_difference_implIS3_Lb1ELb0EPlSB_ZN2at6native12_GLOBAL__N_124unique_dim_cuda_templateIfEESt5tupleIJNSC_6TensorESH_SH_EERKSH_lbbbEUlllE1_EE10hipError_tPvRmT2_T3_mT4_P12ihipStream_tbEUlmE_lEESB_NS0_8identityIvEEEESM_SP_SQ_mSR_ST_bEUlT_E_NS1_11comp_targetILNS1_3genE9ELNS1_11target_archE1100ELNS1_3gpuE3ELNS1_3repE0EEENS1_30default_config_static_selectorELNS0_4arch9wavefront6targetE1EEEvT1_
    .private_segment_fixed_size: 0
    .sgpr_count:     6
    .sgpr_spill_count: 0
    .symbol:         _ZN7rocprim17ROCPRIM_400000_NS6detail17trampoline_kernelINS0_14default_configENS1_25transform_config_selectorIlLb0EEEZNS1_14transform_implILb0ES3_S5_NS0_18transform_iteratorINS0_17counting_iteratorImlEEZNS1_24adjacent_difference_implIS3_Lb1ELb0EPlSB_ZN2at6native12_GLOBAL__N_124unique_dim_cuda_templateIfEESt5tupleIJNSC_6TensorESH_SH_EERKSH_lbbbEUlllE1_EE10hipError_tPvRmT2_T3_mT4_P12ihipStream_tbEUlmE_lEESB_NS0_8identityIvEEEESM_SP_SQ_mSR_ST_bEUlT_E_NS1_11comp_targetILNS1_3genE9ELNS1_11target_archE1100ELNS1_3gpuE3ELNS1_3repE0EEENS1_30default_config_static_selectorELNS0_4arch9wavefront6targetE1EEEvT1_.kd
    .uniform_work_group_size: 1
    .uses_dynamic_stack: false
    .vgpr_count:     0
    .vgpr_spill_count: 0
    .wavefront_size: 64
  - .agpr_count:     0
    .args:
      - .offset:         0
        .size:           56
        .value_kind:     by_value
    .group_segment_fixed_size: 0
    .kernarg_segment_align: 8
    .kernarg_segment_size: 56
    .language:       OpenCL C
    .language_version:
      - 2
      - 0
    .max_flat_workgroup_size: 512
    .name:           _ZN7rocprim17ROCPRIM_400000_NS6detail17trampoline_kernelINS0_14default_configENS1_25transform_config_selectorIlLb0EEEZNS1_14transform_implILb0ES3_S5_NS0_18transform_iteratorINS0_17counting_iteratorImlEEZNS1_24adjacent_difference_implIS3_Lb1ELb0EPlSB_ZN2at6native12_GLOBAL__N_124unique_dim_cuda_templateIfEESt5tupleIJNSC_6TensorESH_SH_EERKSH_lbbbEUlllE1_EE10hipError_tPvRmT2_T3_mT4_P12ihipStream_tbEUlmE_lEESB_NS0_8identityIvEEEESM_SP_SQ_mSR_ST_bEUlT_E_NS1_11comp_targetILNS1_3genE8ELNS1_11target_archE1030ELNS1_3gpuE2ELNS1_3repE0EEENS1_30default_config_static_selectorELNS0_4arch9wavefront6targetE1EEEvT1_
    .private_segment_fixed_size: 0
    .sgpr_count:     6
    .sgpr_spill_count: 0
    .symbol:         _ZN7rocprim17ROCPRIM_400000_NS6detail17trampoline_kernelINS0_14default_configENS1_25transform_config_selectorIlLb0EEEZNS1_14transform_implILb0ES3_S5_NS0_18transform_iteratorINS0_17counting_iteratorImlEEZNS1_24adjacent_difference_implIS3_Lb1ELb0EPlSB_ZN2at6native12_GLOBAL__N_124unique_dim_cuda_templateIfEESt5tupleIJNSC_6TensorESH_SH_EERKSH_lbbbEUlllE1_EE10hipError_tPvRmT2_T3_mT4_P12ihipStream_tbEUlmE_lEESB_NS0_8identityIvEEEESM_SP_SQ_mSR_ST_bEUlT_E_NS1_11comp_targetILNS1_3genE8ELNS1_11target_archE1030ELNS1_3gpuE2ELNS1_3repE0EEENS1_30default_config_static_selectorELNS0_4arch9wavefront6targetE1EEEvT1_.kd
    .uniform_work_group_size: 1
    .uses_dynamic_stack: false
    .vgpr_count:     0
    .vgpr_spill_count: 0
    .wavefront_size: 64
  - .agpr_count:     0
    .args:
      - .offset:         0
        .size:           64
        .value_kind:     by_value
    .group_segment_fixed_size: 0
    .kernarg_segment_align: 8
    .kernarg_segment_size: 64
    .language:       OpenCL C
    .language_version:
      - 2
      - 0
    .max_flat_workgroup_size: 512
    .name:           _ZN7rocprim17ROCPRIM_400000_NS6detail17trampoline_kernelINS0_14default_configENS1_35adjacent_difference_config_selectorILb1ElEEZNS1_24adjacent_difference_implIS3_Lb1ELb0EPlS7_ZN2at6native12_GLOBAL__N_124unique_dim_cuda_templateIfEESt5tupleIJNS8_6TensorESD_SD_EERKSD_lbbbEUlllE1_EE10hipError_tPvRmT2_T3_mT4_P12ihipStream_tbEUlT_E_NS1_11comp_targetILNS1_3genE0ELNS1_11target_archE4294967295ELNS1_3gpuE0ELNS1_3repE0EEENS1_30default_config_static_selectorELNS0_4arch9wavefront6targetE1EEEvT1_
    .private_segment_fixed_size: 0
    .sgpr_count:     6
    .sgpr_spill_count: 0
    .symbol:         _ZN7rocprim17ROCPRIM_400000_NS6detail17trampoline_kernelINS0_14default_configENS1_35adjacent_difference_config_selectorILb1ElEEZNS1_24adjacent_difference_implIS3_Lb1ELb0EPlS7_ZN2at6native12_GLOBAL__N_124unique_dim_cuda_templateIfEESt5tupleIJNS8_6TensorESD_SD_EERKSD_lbbbEUlllE1_EE10hipError_tPvRmT2_T3_mT4_P12ihipStream_tbEUlT_E_NS1_11comp_targetILNS1_3genE0ELNS1_11target_archE4294967295ELNS1_3gpuE0ELNS1_3repE0EEENS1_30default_config_static_selectorELNS0_4arch9wavefront6targetE1EEEvT1_.kd
    .uniform_work_group_size: 1
    .uses_dynamic_stack: false
    .vgpr_count:     0
    .vgpr_spill_count: 0
    .wavefront_size: 64
  - .agpr_count:     0
    .args:
      - .offset:         0
        .size:           64
        .value_kind:     by_value
    .group_segment_fixed_size: 0
    .kernarg_segment_align: 8
    .kernarg_segment_size: 64
    .language:       OpenCL C
    .language_version:
      - 2
      - 0
    .max_flat_workgroup_size: 32
    .name:           _ZN7rocprim17ROCPRIM_400000_NS6detail17trampoline_kernelINS0_14default_configENS1_35adjacent_difference_config_selectorILb1ElEEZNS1_24adjacent_difference_implIS3_Lb1ELb0EPlS7_ZN2at6native12_GLOBAL__N_124unique_dim_cuda_templateIfEESt5tupleIJNS8_6TensorESD_SD_EERKSD_lbbbEUlllE1_EE10hipError_tPvRmT2_T3_mT4_P12ihipStream_tbEUlT_E_NS1_11comp_targetILNS1_3genE10ELNS1_11target_archE1201ELNS1_3gpuE5ELNS1_3repE0EEENS1_30default_config_static_selectorELNS0_4arch9wavefront6targetE1EEEvT1_
    .private_segment_fixed_size: 0
    .sgpr_count:     6
    .sgpr_spill_count: 0
    .symbol:         _ZN7rocprim17ROCPRIM_400000_NS6detail17trampoline_kernelINS0_14default_configENS1_35adjacent_difference_config_selectorILb1ElEEZNS1_24adjacent_difference_implIS3_Lb1ELb0EPlS7_ZN2at6native12_GLOBAL__N_124unique_dim_cuda_templateIfEESt5tupleIJNS8_6TensorESD_SD_EERKSD_lbbbEUlllE1_EE10hipError_tPvRmT2_T3_mT4_P12ihipStream_tbEUlT_E_NS1_11comp_targetILNS1_3genE10ELNS1_11target_archE1201ELNS1_3gpuE5ELNS1_3repE0EEENS1_30default_config_static_selectorELNS0_4arch9wavefront6targetE1EEEvT1_.kd
    .uniform_work_group_size: 1
    .uses_dynamic_stack: false
    .vgpr_count:     0
    .vgpr_spill_count: 0
    .wavefront_size: 64
  - .agpr_count:     0
    .args:
      - .offset:         0
        .size:           64
        .value_kind:     by_value
    .group_segment_fixed_size: 22528
    .kernarg_segment_align: 8
    .kernarg_segment_size: 64
    .language:       OpenCL C
    .language_version:
      - 2
      - 0
    .max_flat_workgroup_size: 256
    .name:           _ZN7rocprim17ROCPRIM_400000_NS6detail17trampoline_kernelINS0_14default_configENS1_35adjacent_difference_config_selectorILb1ElEEZNS1_24adjacent_difference_implIS3_Lb1ELb0EPlS7_ZN2at6native12_GLOBAL__N_124unique_dim_cuda_templateIfEESt5tupleIJNS8_6TensorESD_SD_EERKSD_lbbbEUlllE1_EE10hipError_tPvRmT2_T3_mT4_P12ihipStream_tbEUlT_E_NS1_11comp_targetILNS1_3genE5ELNS1_11target_archE942ELNS1_3gpuE9ELNS1_3repE0EEENS1_30default_config_static_selectorELNS0_4arch9wavefront6targetE1EEEvT1_
    .private_segment_fixed_size: 0
    .sgpr_count:     44
    .sgpr_spill_count: 0
    .symbol:         _ZN7rocprim17ROCPRIM_400000_NS6detail17trampoline_kernelINS0_14default_configENS1_35adjacent_difference_config_selectorILb1ElEEZNS1_24adjacent_difference_implIS3_Lb1ELb0EPlS7_ZN2at6native12_GLOBAL__N_124unique_dim_cuda_templateIfEESt5tupleIJNS8_6TensorESD_SD_EERKSD_lbbbEUlllE1_EE10hipError_tPvRmT2_T3_mT4_P12ihipStream_tbEUlT_E_NS1_11comp_targetILNS1_3genE5ELNS1_11target_archE942ELNS1_3gpuE9ELNS1_3repE0EEENS1_30default_config_static_selectorELNS0_4arch9wavefront6targetE1EEEvT1_.kd
    .uniform_work_group_size: 1
    .uses_dynamic_stack: false
    .vgpr_count:     70
    .vgpr_spill_count: 0
    .wavefront_size: 64
  - .agpr_count:     0
    .args:
      - .offset:         0
        .size:           64
        .value_kind:     by_value
    .group_segment_fixed_size: 0
    .kernarg_segment_align: 8
    .kernarg_segment_size: 64
    .language:       OpenCL C
    .language_version:
      - 2
      - 0
    .max_flat_workgroup_size: 512
    .name:           _ZN7rocprim17ROCPRIM_400000_NS6detail17trampoline_kernelINS0_14default_configENS1_35adjacent_difference_config_selectorILb1ElEEZNS1_24adjacent_difference_implIS3_Lb1ELb0EPlS7_ZN2at6native12_GLOBAL__N_124unique_dim_cuda_templateIfEESt5tupleIJNS8_6TensorESD_SD_EERKSD_lbbbEUlllE1_EE10hipError_tPvRmT2_T3_mT4_P12ihipStream_tbEUlT_E_NS1_11comp_targetILNS1_3genE4ELNS1_11target_archE910ELNS1_3gpuE8ELNS1_3repE0EEENS1_30default_config_static_selectorELNS0_4arch9wavefront6targetE1EEEvT1_
    .private_segment_fixed_size: 0
    .sgpr_count:     6
    .sgpr_spill_count: 0
    .symbol:         _ZN7rocprim17ROCPRIM_400000_NS6detail17trampoline_kernelINS0_14default_configENS1_35adjacent_difference_config_selectorILb1ElEEZNS1_24adjacent_difference_implIS3_Lb1ELb0EPlS7_ZN2at6native12_GLOBAL__N_124unique_dim_cuda_templateIfEESt5tupleIJNS8_6TensorESD_SD_EERKSD_lbbbEUlllE1_EE10hipError_tPvRmT2_T3_mT4_P12ihipStream_tbEUlT_E_NS1_11comp_targetILNS1_3genE4ELNS1_11target_archE910ELNS1_3gpuE8ELNS1_3repE0EEENS1_30default_config_static_selectorELNS0_4arch9wavefront6targetE1EEEvT1_.kd
    .uniform_work_group_size: 1
    .uses_dynamic_stack: false
    .vgpr_count:     0
    .vgpr_spill_count: 0
    .wavefront_size: 64
  - .agpr_count:     0
    .args:
      - .offset:         0
        .size:           64
        .value_kind:     by_value
    .group_segment_fixed_size: 0
    .kernarg_segment_align: 8
    .kernarg_segment_size: 64
    .language:       OpenCL C
    .language_version:
      - 2
      - 0
    .max_flat_workgroup_size: 512
    .name:           _ZN7rocprim17ROCPRIM_400000_NS6detail17trampoline_kernelINS0_14default_configENS1_35adjacent_difference_config_selectorILb1ElEEZNS1_24adjacent_difference_implIS3_Lb1ELb0EPlS7_ZN2at6native12_GLOBAL__N_124unique_dim_cuda_templateIfEESt5tupleIJNS8_6TensorESD_SD_EERKSD_lbbbEUlllE1_EE10hipError_tPvRmT2_T3_mT4_P12ihipStream_tbEUlT_E_NS1_11comp_targetILNS1_3genE3ELNS1_11target_archE908ELNS1_3gpuE7ELNS1_3repE0EEENS1_30default_config_static_selectorELNS0_4arch9wavefront6targetE1EEEvT1_
    .private_segment_fixed_size: 0
    .sgpr_count:     6
    .sgpr_spill_count: 0
    .symbol:         _ZN7rocprim17ROCPRIM_400000_NS6detail17trampoline_kernelINS0_14default_configENS1_35adjacent_difference_config_selectorILb1ElEEZNS1_24adjacent_difference_implIS3_Lb1ELb0EPlS7_ZN2at6native12_GLOBAL__N_124unique_dim_cuda_templateIfEESt5tupleIJNS8_6TensorESD_SD_EERKSD_lbbbEUlllE1_EE10hipError_tPvRmT2_T3_mT4_P12ihipStream_tbEUlT_E_NS1_11comp_targetILNS1_3genE3ELNS1_11target_archE908ELNS1_3gpuE7ELNS1_3repE0EEENS1_30default_config_static_selectorELNS0_4arch9wavefront6targetE1EEEvT1_.kd
    .uniform_work_group_size: 1
    .uses_dynamic_stack: false
    .vgpr_count:     0
    .vgpr_spill_count: 0
    .wavefront_size: 64
  - .agpr_count:     0
    .args:
      - .offset:         0
        .size:           64
        .value_kind:     by_value
    .group_segment_fixed_size: 0
    .kernarg_segment_align: 8
    .kernarg_segment_size: 64
    .language:       OpenCL C
    .language_version:
      - 2
      - 0
    .max_flat_workgroup_size: 128
    .name:           _ZN7rocprim17ROCPRIM_400000_NS6detail17trampoline_kernelINS0_14default_configENS1_35adjacent_difference_config_selectorILb1ElEEZNS1_24adjacent_difference_implIS3_Lb1ELb0EPlS7_ZN2at6native12_GLOBAL__N_124unique_dim_cuda_templateIfEESt5tupleIJNS8_6TensorESD_SD_EERKSD_lbbbEUlllE1_EE10hipError_tPvRmT2_T3_mT4_P12ihipStream_tbEUlT_E_NS1_11comp_targetILNS1_3genE2ELNS1_11target_archE906ELNS1_3gpuE6ELNS1_3repE0EEENS1_30default_config_static_selectorELNS0_4arch9wavefront6targetE1EEEvT1_
    .private_segment_fixed_size: 0
    .sgpr_count:     6
    .sgpr_spill_count: 0
    .symbol:         _ZN7rocprim17ROCPRIM_400000_NS6detail17trampoline_kernelINS0_14default_configENS1_35adjacent_difference_config_selectorILb1ElEEZNS1_24adjacent_difference_implIS3_Lb1ELb0EPlS7_ZN2at6native12_GLOBAL__N_124unique_dim_cuda_templateIfEESt5tupleIJNS8_6TensorESD_SD_EERKSD_lbbbEUlllE1_EE10hipError_tPvRmT2_T3_mT4_P12ihipStream_tbEUlT_E_NS1_11comp_targetILNS1_3genE2ELNS1_11target_archE906ELNS1_3gpuE6ELNS1_3repE0EEENS1_30default_config_static_selectorELNS0_4arch9wavefront6targetE1EEEvT1_.kd
    .uniform_work_group_size: 1
    .uses_dynamic_stack: false
    .vgpr_count:     0
    .vgpr_spill_count: 0
    .wavefront_size: 64
  - .agpr_count:     0
    .args:
      - .offset:         0
        .size:           64
        .value_kind:     by_value
    .group_segment_fixed_size: 0
    .kernarg_segment_align: 8
    .kernarg_segment_size: 64
    .language:       OpenCL C
    .language_version:
      - 2
      - 0
    .max_flat_workgroup_size: 128
    .name:           _ZN7rocprim17ROCPRIM_400000_NS6detail17trampoline_kernelINS0_14default_configENS1_35adjacent_difference_config_selectorILb1ElEEZNS1_24adjacent_difference_implIS3_Lb1ELb0EPlS7_ZN2at6native12_GLOBAL__N_124unique_dim_cuda_templateIfEESt5tupleIJNS8_6TensorESD_SD_EERKSD_lbbbEUlllE1_EE10hipError_tPvRmT2_T3_mT4_P12ihipStream_tbEUlT_E_NS1_11comp_targetILNS1_3genE9ELNS1_11target_archE1100ELNS1_3gpuE3ELNS1_3repE0EEENS1_30default_config_static_selectorELNS0_4arch9wavefront6targetE1EEEvT1_
    .private_segment_fixed_size: 0
    .sgpr_count:     6
    .sgpr_spill_count: 0
    .symbol:         _ZN7rocprim17ROCPRIM_400000_NS6detail17trampoline_kernelINS0_14default_configENS1_35adjacent_difference_config_selectorILb1ElEEZNS1_24adjacent_difference_implIS3_Lb1ELb0EPlS7_ZN2at6native12_GLOBAL__N_124unique_dim_cuda_templateIfEESt5tupleIJNS8_6TensorESD_SD_EERKSD_lbbbEUlllE1_EE10hipError_tPvRmT2_T3_mT4_P12ihipStream_tbEUlT_E_NS1_11comp_targetILNS1_3genE9ELNS1_11target_archE1100ELNS1_3gpuE3ELNS1_3repE0EEENS1_30default_config_static_selectorELNS0_4arch9wavefront6targetE1EEEvT1_.kd
    .uniform_work_group_size: 1
    .uses_dynamic_stack: false
    .vgpr_count:     0
    .vgpr_spill_count: 0
    .wavefront_size: 64
  - .agpr_count:     0
    .args:
      - .offset:         0
        .size:           64
        .value_kind:     by_value
    .group_segment_fixed_size: 0
    .kernarg_segment_align: 8
    .kernarg_segment_size: 64
    .language:       OpenCL C
    .language_version:
      - 2
      - 0
    .max_flat_workgroup_size: 32
    .name:           _ZN7rocprim17ROCPRIM_400000_NS6detail17trampoline_kernelINS0_14default_configENS1_35adjacent_difference_config_selectorILb1ElEEZNS1_24adjacent_difference_implIS3_Lb1ELb0EPlS7_ZN2at6native12_GLOBAL__N_124unique_dim_cuda_templateIfEESt5tupleIJNS8_6TensorESD_SD_EERKSD_lbbbEUlllE1_EE10hipError_tPvRmT2_T3_mT4_P12ihipStream_tbEUlT_E_NS1_11comp_targetILNS1_3genE8ELNS1_11target_archE1030ELNS1_3gpuE2ELNS1_3repE0EEENS1_30default_config_static_selectorELNS0_4arch9wavefront6targetE1EEEvT1_
    .private_segment_fixed_size: 0
    .sgpr_count:     6
    .sgpr_spill_count: 0
    .symbol:         _ZN7rocprim17ROCPRIM_400000_NS6detail17trampoline_kernelINS0_14default_configENS1_35adjacent_difference_config_selectorILb1ElEEZNS1_24adjacent_difference_implIS3_Lb1ELb0EPlS7_ZN2at6native12_GLOBAL__N_124unique_dim_cuda_templateIfEESt5tupleIJNS8_6TensorESD_SD_EERKSD_lbbbEUlllE1_EE10hipError_tPvRmT2_T3_mT4_P12ihipStream_tbEUlT_E_NS1_11comp_targetILNS1_3genE8ELNS1_11target_archE1030ELNS1_3gpuE2ELNS1_3repE0EEENS1_30default_config_static_selectorELNS0_4arch9wavefront6targetE1EEEvT1_.kd
    .uniform_work_group_size: 1
    .uses_dynamic_stack: false
    .vgpr_count:     0
    .vgpr_spill_count: 0
    .wavefront_size: 64
  - .agpr_count:     0
    .args:
      - .offset:         0
        .size:           120
        .value_kind:     by_value
    .group_segment_fixed_size: 0
    .kernarg_segment_align: 8
    .kernarg_segment_size: 120
    .language:       OpenCL C
    .language_version:
      - 2
      - 0
    .max_flat_workgroup_size: 512
    .name:           _ZN7rocprim17ROCPRIM_400000_NS6detail17trampoline_kernelINS0_14default_configENS1_25partition_config_selectorILNS1_17partition_subalgoE8ElNS0_10empty_typeEbEEZZNS1_14partition_implILS5_8ELb0ES3_jPlPS6_PKS6_NS0_5tupleIJS9_S6_EEENSD_IJSA_SA_EEENS0_18inequality_wrapperIZN2at6native12_GLOBAL__N_124unique_dim_cuda_templateIfEESt5tupleIJNSH_6TensorESM_SM_EERKSM_lbbbEUlllE0_EEPmJS6_EEE10hipError_tPvRmT3_T4_T5_T6_T7_T9_mT8_P12ihipStream_tbDpT10_ENKUlT_T0_E_clISt17integral_constantIbLb0EES1C_EEDaS17_S18_EUlS17_E_NS1_11comp_targetILNS1_3genE0ELNS1_11target_archE4294967295ELNS1_3gpuE0ELNS1_3repE0EEENS1_30default_config_static_selectorELNS0_4arch9wavefront6targetE1EEEvT1_
    .private_segment_fixed_size: 0
    .sgpr_count:     6
    .sgpr_spill_count: 0
    .symbol:         _ZN7rocprim17ROCPRIM_400000_NS6detail17trampoline_kernelINS0_14default_configENS1_25partition_config_selectorILNS1_17partition_subalgoE8ElNS0_10empty_typeEbEEZZNS1_14partition_implILS5_8ELb0ES3_jPlPS6_PKS6_NS0_5tupleIJS9_S6_EEENSD_IJSA_SA_EEENS0_18inequality_wrapperIZN2at6native12_GLOBAL__N_124unique_dim_cuda_templateIfEESt5tupleIJNSH_6TensorESM_SM_EERKSM_lbbbEUlllE0_EEPmJS6_EEE10hipError_tPvRmT3_T4_T5_T6_T7_T9_mT8_P12ihipStream_tbDpT10_ENKUlT_T0_E_clISt17integral_constantIbLb0EES1C_EEDaS17_S18_EUlS17_E_NS1_11comp_targetILNS1_3genE0ELNS1_11target_archE4294967295ELNS1_3gpuE0ELNS1_3repE0EEENS1_30default_config_static_selectorELNS0_4arch9wavefront6targetE1EEEvT1_.kd
    .uniform_work_group_size: 1
    .uses_dynamic_stack: false
    .vgpr_count:     0
    .vgpr_spill_count: 0
    .wavefront_size: 64
  - .agpr_count:     0
    .args:
      - .offset:         0
        .size:           120
        .value_kind:     by_value
    .group_segment_fixed_size: 28684
    .kernarg_segment_align: 8
    .kernarg_segment_size: 120
    .language:       OpenCL C
    .language_version:
      - 2
      - 0
    .max_flat_workgroup_size: 512
    .name:           _ZN7rocprim17ROCPRIM_400000_NS6detail17trampoline_kernelINS0_14default_configENS1_25partition_config_selectorILNS1_17partition_subalgoE8ElNS0_10empty_typeEbEEZZNS1_14partition_implILS5_8ELb0ES3_jPlPS6_PKS6_NS0_5tupleIJS9_S6_EEENSD_IJSA_SA_EEENS0_18inequality_wrapperIZN2at6native12_GLOBAL__N_124unique_dim_cuda_templateIfEESt5tupleIJNSH_6TensorESM_SM_EERKSM_lbbbEUlllE0_EEPmJS6_EEE10hipError_tPvRmT3_T4_T5_T6_T7_T9_mT8_P12ihipStream_tbDpT10_ENKUlT_T0_E_clISt17integral_constantIbLb0EES1C_EEDaS17_S18_EUlS17_E_NS1_11comp_targetILNS1_3genE5ELNS1_11target_archE942ELNS1_3gpuE9ELNS1_3repE0EEENS1_30default_config_static_selectorELNS0_4arch9wavefront6targetE1EEEvT1_
    .private_segment_fixed_size: 0
    .sgpr_count:     58
    .sgpr_spill_count: 0
    .symbol:         _ZN7rocprim17ROCPRIM_400000_NS6detail17trampoline_kernelINS0_14default_configENS1_25partition_config_selectorILNS1_17partition_subalgoE8ElNS0_10empty_typeEbEEZZNS1_14partition_implILS5_8ELb0ES3_jPlPS6_PKS6_NS0_5tupleIJS9_S6_EEENSD_IJSA_SA_EEENS0_18inequality_wrapperIZN2at6native12_GLOBAL__N_124unique_dim_cuda_templateIfEESt5tupleIJNSH_6TensorESM_SM_EERKSM_lbbbEUlllE0_EEPmJS6_EEE10hipError_tPvRmT3_T4_T5_T6_T7_T9_mT8_P12ihipStream_tbDpT10_ENKUlT_T0_E_clISt17integral_constantIbLb0EES1C_EEDaS17_S18_EUlS17_E_NS1_11comp_targetILNS1_3genE5ELNS1_11target_archE942ELNS1_3gpuE9ELNS1_3repE0EEENS1_30default_config_static_selectorELNS0_4arch9wavefront6targetE1EEEvT1_.kd
    .uniform_work_group_size: 1
    .uses_dynamic_stack: false
    .vgpr_count:     52
    .vgpr_spill_count: 0
    .wavefront_size: 64
  - .agpr_count:     0
    .args:
      - .offset:         0
        .size:           120
        .value_kind:     by_value
    .group_segment_fixed_size: 0
    .kernarg_segment_align: 8
    .kernarg_segment_size: 120
    .language:       OpenCL C
    .language_version:
      - 2
      - 0
    .max_flat_workgroup_size: 256
    .name:           _ZN7rocprim17ROCPRIM_400000_NS6detail17trampoline_kernelINS0_14default_configENS1_25partition_config_selectorILNS1_17partition_subalgoE8ElNS0_10empty_typeEbEEZZNS1_14partition_implILS5_8ELb0ES3_jPlPS6_PKS6_NS0_5tupleIJS9_S6_EEENSD_IJSA_SA_EEENS0_18inequality_wrapperIZN2at6native12_GLOBAL__N_124unique_dim_cuda_templateIfEESt5tupleIJNSH_6TensorESM_SM_EERKSM_lbbbEUlllE0_EEPmJS6_EEE10hipError_tPvRmT3_T4_T5_T6_T7_T9_mT8_P12ihipStream_tbDpT10_ENKUlT_T0_E_clISt17integral_constantIbLb0EES1C_EEDaS17_S18_EUlS17_E_NS1_11comp_targetILNS1_3genE4ELNS1_11target_archE910ELNS1_3gpuE8ELNS1_3repE0EEENS1_30default_config_static_selectorELNS0_4arch9wavefront6targetE1EEEvT1_
    .private_segment_fixed_size: 0
    .sgpr_count:     6
    .sgpr_spill_count: 0
    .symbol:         _ZN7rocprim17ROCPRIM_400000_NS6detail17trampoline_kernelINS0_14default_configENS1_25partition_config_selectorILNS1_17partition_subalgoE8ElNS0_10empty_typeEbEEZZNS1_14partition_implILS5_8ELb0ES3_jPlPS6_PKS6_NS0_5tupleIJS9_S6_EEENSD_IJSA_SA_EEENS0_18inequality_wrapperIZN2at6native12_GLOBAL__N_124unique_dim_cuda_templateIfEESt5tupleIJNSH_6TensorESM_SM_EERKSM_lbbbEUlllE0_EEPmJS6_EEE10hipError_tPvRmT3_T4_T5_T6_T7_T9_mT8_P12ihipStream_tbDpT10_ENKUlT_T0_E_clISt17integral_constantIbLb0EES1C_EEDaS17_S18_EUlS17_E_NS1_11comp_targetILNS1_3genE4ELNS1_11target_archE910ELNS1_3gpuE8ELNS1_3repE0EEENS1_30default_config_static_selectorELNS0_4arch9wavefront6targetE1EEEvT1_.kd
    .uniform_work_group_size: 1
    .uses_dynamic_stack: false
    .vgpr_count:     0
    .vgpr_spill_count: 0
    .wavefront_size: 64
  - .agpr_count:     0
    .args:
      - .offset:         0
        .size:           120
        .value_kind:     by_value
    .group_segment_fixed_size: 0
    .kernarg_segment_align: 8
    .kernarg_segment_size: 120
    .language:       OpenCL C
    .language_version:
      - 2
      - 0
    .max_flat_workgroup_size: 512
    .name:           _ZN7rocprim17ROCPRIM_400000_NS6detail17trampoline_kernelINS0_14default_configENS1_25partition_config_selectorILNS1_17partition_subalgoE8ElNS0_10empty_typeEbEEZZNS1_14partition_implILS5_8ELb0ES3_jPlPS6_PKS6_NS0_5tupleIJS9_S6_EEENSD_IJSA_SA_EEENS0_18inequality_wrapperIZN2at6native12_GLOBAL__N_124unique_dim_cuda_templateIfEESt5tupleIJNSH_6TensorESM_SM_EERKSM_lbbbEUlllE0_EEPmJS6_EEE10hipError_tPvRmT3_T4_T5_T6_T7_T9_mT8_P12ihipStream_tbDpT10_ENKUlT_T0_E_clISt17integral_constantIbLb0EES1C_EEDaS17_S18_EUlS17_E_NS1_11comp_targetILNS1_3genE3ELNS1_11target_archE908ELNS1_3gpuE7ELNS1_3repE0EEENS1_30default_config_static_selectorELNS0_4arch9wavefront6targetE1EEEvT1_
    .private_segment_fixed_size: 0
    .sgpr_count:     6
    .sgpr_spill_count: 0
    .symbol:         _ZN7rocprim17ROCPRIM_400000_NS6detail17trampoline_kernelINS0_14default_configENS1_25partition_config_selectorILNS1_17partition_subalgoE8ElNS0_10empty_typeEbEEZZNS1_14partition_implILS5_8ELb0ES3_jPlPS6_PKS6_NS0_5tupleIJS9_S6_EEENSD_IJSA_SA_EEENS0_18inequality_wrapperIZN2at6native12_GLOBAL__N_124unique_dim_cuda_templateIfEESt5tupleIJNSH_6TensorESM_SM_EERKSM_lbbbEUlllE0_EEPmJS6_EEE10hipError_tPvRmT3_T4_T5_T6_T7_T9_mT8_P12ihipStream_tbDpT10_ENKUlT_T0_E_clISt17integral_constantIbLb0EES1C_EEDaS17_S18_EUlS17_E_NS1_11comp_targetILNS1_3genE3ELNS1_11target_archE908ELNS1_3gpuE7ELNS1_3repE0EEENS1_30default_config_static_selectorELNS0_4arch9wavefront6targetE1EEEvT1_.kd
    .uniform_work_group_size: 1
    .uses_dynamic_stack: false
    .vgpr_count:     0
    .vgpr_spill_count: 0
    .wavefront_size: 64
  - .agpr_count:     0
    .args:
      - .offset:         0
        .size:           120
        .value_kind:     by_value
    .group_segment_fixed_size: 0
    .kernarg_segment_align: 8
    .kernarg_segment_size: 120
    .language:       OpenCL C
    .language_version:
      - 2
      - 0
    .max_flat_workgroup_size: 256
    .name:           _ZN7rocprim17ROCPRIM_400000_NS6detail17trampoline_kernelINS0_14default_configENS1_25partition_config_selectorILNS1_17partition_subalgoE8ElNS0_10empty_typeEbEEZZNS1_14partition_implILS5_8ELb0ES3_jPlPS6_PKS6_NS0_5tupleIJS9_S6_EEENSD_IJSA_SA_EEENS0_18inequality_wrapperIZN2at6native12_GLOBAL__N_124unique_dim_cuda_templateIfEESt5tupleIJNSH_6TensorESM_SM_EERKSM_lbbbEUlllE0_EEPmJS6_EEE10hipError_tPvRmT3_T4_T5_T6_T7_T9_mT8_P12ihipStream_tbDpT10_ENKUlT_T0_E_clISt17integral_constantIbLb0EES1C_EEDaS17_S18_EUlS17_E_NS1_11comp_targetILNS1_3genE2ELNS1_11target_archE906ELNS1_3gpuE6ELNS1_3repE0EEENS1_30default_config_static_selectorELNS0_4arch9wavefront6targetE1EEEvT1_
    .private_segment_fixed_size: 0
    .sgpr_count:     6
    .sgpr_spill_count: 0
    .symbol:         _ZN7rocprim17ROCPRIM_400000_NS6detail17trampoline_kernelINS0_14default_configENS1_25partition_config_selectorILNS1_17partition_subalgoE8ElNS0_10empty_typeEbEEZZNS1_14partition_implILS5_8ELb0ES3_jPlPS6_PKS6_NS0_5tupleIJS9_S6_EEENSD_IJSA_SA_EEENS0_18inequality_wrapperIZN2at6native12_GLOBAL__N_124unique_dim_cuda_templateIfEESt5tupleIJNSH_6TensorESM_SM_EERKSM_lbbbEUlllE0_EEPmJS6_EEE10hipError_tPvRmT3_T4_T5_T6_T7_T9_mT8_P12ihipStream_tbDpT10_ENKUlT_T0_E_clISt17integral_constantIbLb0EES1C_EEDaS17_S18_EUlS17_E_NS1_11comp_targetILNS1_3genE2ELNS1_11target_archE906ELNS1_3gpuE6ELNS1_3repE0EEENS1_30default_config_static_selectorELNS0_4arch9wavefront6targetE1EEEvT1_.kd
    .uniform_work_group_size: 1
    .uses_dynamic_stack: false
    .vgpr_count:     0
    .vgpr_spill_count: 0
    .wavefront_size: 64
  - .agpr_count:     0
    .args:
      - .offset:         0
        .size:           120
        .value_kind:     by_value
    .group_segment_fixed_size: 0
    .kernarg_segment_align: 8
    .kernarg_segment_size: 120
    .language:       OpenCL C
    .language_version:
      - 2
      - 0
    .max_flat_workgroup_size: 384
    .name:           _ZN7rocprim17ROCPRIM_400000_NS6detail17trampoline_kernelINS0_14default_configENS1_25partition_config_selectorILNS1_17partition_subalgoE8ElNS0_10empty_typeEbEEZZNS1_14partition_implILS5_8ELb0ES3_jPlPS6_PKS6_NS0_5tupleIJS9_S6_EEENSD_IJSA_SA_EEENS0_18inequality_wrapperIZN2at6native12_GLOBAL__N_124unique_dim_cuda_templateIfEESt5tupleIJNSH_6TensorESM_SM_EERKSM_lbbbEUlllE0_EEPmJS6_EEE10hipError_tPvRmT3_T4_T5_T6_T7_T9_mT8_P12ihipStream_tbDpT10_ENKUlT_T0_E_clISt17integral_constantIbLb0EES1C_EEDaS17_S18_EUlS17_E_NS1_11comp_targetILNS1_3genE10ELNS1_11target_archE1200ELNS1_3gpuE4ELNS1_3repE0EEENS1_30default_config_static_selectorELNS0_4arch9wavefront6targetE1EEEvT1_
    .private_segment_fixed_size: 0
    .sgpr_count:     6
    .sgpr_spill_count: 0
    .symbol:         _ZN7rocprim17ROCPRIM_400000_NS6detail17trampoline_kernelINS0_14default_configENS1_25partition_config_selectorILNS1_17partition_subalgoE8ElNS0_10empty_typeEbEEZZNS1_14partition_implILS5_8ELb0ES3_jPlPS6_PKS6_NS0_5tupleIJS9_S6_EEENSD_IJSA_SA_EEENS0_18inequality_wrapperIZN2at6native12_GLOBAL__N_124unique_dim_cuda_templateIfEESt5tupleIJNSH_6TensorESM_SM_EERKSM_lbbbEUlllE0_EEPmJS6_EEE10hipError_tPvRmT3_T4_T5_T6_T7_T9_mT8_P12ihipStream_tbDpT10_ENKUlT_T0_E_clISt17integral_constantIbLb0EES1C_EEDaS17_S18_EUlS17_E_NS1_11comp_targetILNS1_3genE10ELNS1_11target_archE1200ELNS1_3gpuE4ELNS1_3repE0EEENS1_30default_config_static_selectorELNS0_4arch9wavefront6targetE1EEEvT1_.kd
    .uniform_work_group_size: 1
    .uses_dynamic_stack: false
    .vgpr_count:     0
    .vgpr_spill_count: 0
    .wavefront_size: 64
  - .agpr_count:     0
    .args:
      - .offset:         0
        .size:           120
        .value_kind:     by_value
    .group_segment_fixed_size: 0
    .kernarg_segment_align: 8
    .kernarg_segment_size: 120
    .language:       OpenCL C
    .language_version:
      - 2
      - 0
    .max_flat_workgroup_size: 512
    .name:           _ZN7rocprim17ROCPRIM_400000_NS6detail17trampoline_kernelINS0_14default_configENS1_25partition_config_selectorILNS1_17partition_subalgoE8ElNS0_10empty_typeEbEEZZNS1_14partition_implILS5_8ELb0ES3_jPlPS6_PKS6_NS0_5tupleIJS9_S6_EEENSD_IJSA_SA_EEENS0_18inequality_wrapperIZN2at6native12_GLOBAL__N_124unique_dim_cuda_templateIfEESt5tupleIJNSH_6TensorESM_SM_EERKSM_lbbbEUlllE0_EEPmJS6_EEE10hipError_tPvRmT3_T4_T5_T6_T7_T9_mT8_P12ihipStream_tbDpT10_ENKUlT_T0_E_clISt17integral_constantIbLb0EES1C_EEDaS17_S18_EUlS17_E_NS1_11comp_targetILNS1_3genE9ELNS1_11target_archE1100ELNS1_3gpuE3ELNS1_3repE0EEENS1_30default_config_static_selectorELNS0_4arch9wavefront6targetE1EEEvT1_
    .private_segment_fixed_size: 0
    .sgpr_count:     6
    .sgpr_spill_count: 0
    .symbol:         _ZN7rocprim17ROCPRIM_400000_NS6detail17trampoline_kernelINS0_14default_configENS1_25partition_config_selectorILNS1_17partition_subalgoE8ElNS0_10empty_typeEbEEZZNS1_14partition_implILS5_8ELb0ES3_jPlPS6_PKS6_NS0_5tupleIJS9_S6_EEENSD_IJSA_SA_EEENS0_18inequality_wrapperIZN2at6native12_GLOBAL__N_124unique_dim_cuda_templateIfEESt5tupleIJNSH_6TensorESM_SM_EERKSM_lbbbEUlllE0_EEPmJS6_EEE10hipError_tPvRmT3_T4_T5_T6_T7_T9_mT8_P12ihipStream_tbDpT10_ENKUlT_T0_E_clISt17integral_constantIbLb0EES1C_EEDaS17_S18_EUlS17_E_NS1_11comp_targetILNS1_3genE9ELNS1_11target_archE1100ELNS1_3gpuE3ELNS1_3repE0EEENS1_30default_config_static_selectorELNS0_4arch9wavefront6targetE1EEEvT1_.kd
    .uniform_work_group_size: 1
    .uses_dynamic_stack: false
    .vgpr_count:     0
    .vgpr_spill_count: 0
    .wavefront_size: 64
  - .agpr_count:     0
    .args:
      - .offset:         0
        .size:           120
        .value_kind:     by_value
    .group_segment_fixed_size: 0
    .kernarg_segment_align: 8
    .kernarg_segment_size: 120
    .language:       OpenCL C
    .language_version:
      - 2
      - 0
    .max_flat_workgroup_size: 512
    .name:           _ZN7rocprim17ROCPRIM_400000_NS6detail17trampoline_kernelINS0_14default_configENS1_25partition_config_selectorILNS1_17partition_subalgoE8ElNS0_10empty_typeEbEEZZNS1_14partition_implILS5_8ELb0ES3_jPlPS6_PKS6_NS0_5tupleIJS9_S6_EEENSD_IJSA_SA_EEENS0_18inequality_wrapperIZN2at6native12_GLOBAL__N_124unique_dim_cuda_templateIfEESt5tupleIJNSH_6TensorESM_SM_EERKSM_lbbbEUlllE0_EEPmJS6_EEE10hipError_tPvRmT3_T4_T5_T6_T7_T9_mT8_P12ihipStream_tbDpT10_ENKUlT_T0_E_clISt17integral_constantIbLb0EES1C_EEDaS17_S18_EUlS17_E_NS1_11comp_targetILNS1_3genE8ELNS1_11target_archE1030ELNS1_3gpuE2ELNS1_3repE0EEENS1_30default_config_static_selectorELNS0_4arch9wavefront6targetE1EEEvT1_
    .private_segment_fixed_size: 0
    .sgpr_count:     6
    .sgpr_spill_count: 0
    .symbol:         _ZN7rocprim17ROCPRIM_400000_NS6detail17trampoline_kernelINS0_14default_configENS1_25partition_config_selectorILNS1_17partition_subalgoE8ElNS0_10empty_typeEbEEZZNS1_14partition_implILS5_8ELb0ES3_jPlPS6_PKS6_NS0_5tupleIJS9_S6_EEENSD_IJSA_SA_EEENS0_18inequality_wrapperIZN2at6native12_GLOBAL__N_124unique_dim_cuda_templateIfEESt5tupleIJNSH_6TensorESM_SM_EERKSM_lbbbEUlllE0_EEPmJS6_EEE10hipError_tPvRmT3_T4_T5_T6_T7_T9_mT8_P12ihipStream_tbDpT10_ENKUlT_T0_E_clISt17integral_constantIbLb0EES1C_EEDaS17_S18_EUlS17_E_NS1_11comp_targetILNS1_3genE8ELNS1_11target_archE1030ELNS1_3gpuE2ELNS1_3repE0EEENS1_30default_config_static_selectorELNS0_4arch9wavefront6targetE1EEEvT1_.kd
    .uniform_work_group_size: 1
    .uses_dynamic_stack: false
    .vgpr_count:     0
    .vgpr_spill_count: 0
    .wavefront_size: 64
  - .agpr_count:     0
    .args:
      - .offset:         0
        .size:           136
        .value_kind:     by_value
    .group_segment_fixed_size: 0
    .kernarg_segment_align: 8
    .kernarg_segment_size: 136
    .language:       OpenCL C
    .language_version:
      - 2
      - 0
    .max_flat_workgroup_size: 512
    .name:           _ZN7rocprim17ROCPRIM_400000_NS6detail17trampoline_kernelINS0_14default_configENS1_25partition_config_selectorILNS1_17partition_subalgoE8ElNS0_10empty_typeEbEEZZNS1_14partition_implILS5_8ELb0ES3_jPlPS6_PKS6_NS0_5tupleIJS9_S6_EEENSD_IJSA_SA_EEENS0_18inequality_wrapperIZN2at6native12_GLOBAL__N_124unique_dim_cuda_templateIfEESt5tupleIJNSH_6TensorESM_SM_EERKSM_lbbbEUlllE0_EEPmJS6_EEE10hipError_tPvRmT3_T4_T5_T6_T7_T9_mT8_P12ihipStream_tbDpT10_ENKUlT_T0_E_clISt17integral_constantIbLb1EES1C_EEDaS17_S18_EUlS17_E_NS1_11comp_targetILNS1_3genE0ELNS1_11target_archE4294967295ELNS1_3gpuE0ELNS1_3repE0EEENS1_30default_config_static_selectorELNS0_4arch9wavefront6targetE1EEEvT1_
    .private_segment_fixed_size: 0
    .sgpr_count:     6
    .sgpr_spill_count: 0
    .symbol:         _ZN7rocprim17ROCPRIM_400000_NS6detail17trampoline_kernelINS0_14default_configENS1_25partition_config_selectorILNS1_17partition_subalgoE8ElNS0_10empty_typeEbEEZZNS1_14partition_implILS5_8ELb0ES3_jPlPS6_PKS6_NS0_5tupleIJS9_S6_EEENSD_IJSA_SA_EEENS0_18inequality_wrapperIZN2at6native12_GLOBAL__N_124unique_dim_cuda_templateIfEESt5tupleIJNSH_6TensorESM_SM_EERKSM_lbbbEUlllE0_EEPmJS6_EEE10hipError_tPvRmT3_T4_T5_T6_T7_T9_mT8_P12ihipStream_tbDpT10_ENKUlT_T0_E_clISt17integral_constantIbLb1EES1C_EEDaS17_S18_EUlS17_E_NS1_11comp_targetILNS1_3genE0ELNS1_11target_archE4294967295ELNS1_3gpuE0ELNS1_3repE0EEENS1_30default_config_static_selectorELNS0_4arch9wavefront6targetE1EEEvT1_.kd
    .uniform_work_group_size: 1
    .uses_dynamic_stack: false
    .vgpr_count:     0
    .vgpr_spill_count: 0
    .wavefront_size: 64
  - .agpr_count:     0
    .args:
      - .offset:         0
        .size:           136
        .value_kind:     by_value
    .group_segment_fixed_size: 28684
    .kernarg_segment_align: 8
    .kernarg_segment_size: 136
    .language:       OpenCL C
    .language_version:
      - 2
      - 0
    .max_flat_workgroup_size: 512
    .name:           _ZN7rocprim17ROCPRIM_400000_NS6detail17trampoline_kernelINS0_14default_configENS1_25partition_config_selectorILNS1_17partition_subalgoE8ElNS0_10empty_typeEbEEZZNS1_14partition_implILS5_8ELb0ES3_jPlPS6_PKS6_NS0_5tupleIJS9_S6_EEENSD_IJSA_SA_EEENS0_18inequality_wrapperIZN2at6native12_GLOBAL__N_124unique_dim_cuda_templateIfEESt5tupleIJNSH_6TensorESM_SM_EERKSM_lbbbEUlllE0_EEPmJS6_EEE10hipError_tPvRmT3_T4_T5_T6_T7_T9_mT8_P12ihipStream_tbDpT10_ENKUlT_T0_E_clISt17integral_constantIbLb1EES1C_EEDaS17_S18_EUlS17_E_NS1_11comp_targetILNS1_3genE5ELNS1_11target_archE942ELNS1_3gpuE9ELNS1_3repE0EEENS1_30default_config_static_selectorELNS0_4arch9wavefront6targetE1EEEvT1_
    .private_segment_fixed_size: 0
    .sgpr_count:     62
    .sgpr_spill_count: 0
    .symbol:         _ZN7rocprim17ROCPRIM_400000_NS6detail17trampoline_kernelINS0_14default_configENS1_25partition_config_selectorILNS1_17partition_subalgoE8ElNS0_10empty_typeEbEEZZNS1_14partition_implILS5_8ELb0ES3_jPlPS6_PKS6_NS0_5tupleIJS9_S6_EEENSD_IJSA_SA_EEENS0_18inequality_wrapperIZN2at6native12_GLOBAL__N_124unique_dim_cuda_templateIfEESt5tupleIJNSH_6TensorESM_SM_EERKSM_lbbbEUlllE0_EEPmJS6_EEE10hipError_tPvRmT3_T4_T5_T6_T7_T9_mT8_P12ihipStream_tbDpT10_ENKUlT_T0_E_clISt17integral_constantIbLb1EES1C_EEDaS17_S18_EUlS17_E_NS1_11comp_targetILNS1_3genE5ELNS1_11target_archE942ELNS1_3gpuE9ELNS1_3repE0EEENS1_30default_config_static_selectorELNS0_4arch9wavefront6targetE1EEEvT1_.kd
    .uniform_work_group_size: 1
    .uses_dynamic_stack: false
    .vgpr_count:     52
    .vgpr_spill_count: 0
    .wavefront_size: 64
  - .agpr_count:     0
    .args:
      - .offset:         0
        .size:           136
        .value_kind:     by_value
    .group_segment_fixed_size: 0
    .kernarg_segment_align: 8
    .kernarg_segment_size: 136
    .language:       OpenCL C
    .language_version:
      - 2
      - 0
    .max_flat_workgroup_size: 256
    .name:           _ZN7rocprim17ROCPRIM_400000_NS6detail17trampoline_kernelINS0_14default_configENS1_25partition_config_selectorILNS1_17partition_subalgoE8ElNS0_10empty_typeEbEEZZNS1_14partition_implILS5_8ELb0ES3_jPlPS6_PKS6_NS0_5tupleIJS9_S6_EEENSD_IJSA_SA_EEENS0_18inequality_wrapperIZN2at6native12_GLOBAL__N_124unique_dim_cuda_templateIfEESt5tupleIJNSH_6TensorESM_SM_EERKSM_lbbbEUlllE0_EEPmJS6_EEE10hipError_tPvRmT3_T4_T5_T6_T7_T9_mT8_P12ihipStream_tbDpT10_ENKUlT_T0_E_clISt17integral_constantIbLb1EES1C_EEDaS17_S18_EUlS17_E_NS1_11comp_targetILNS1_3genE4ELNS1_11target_archE910ELNS1_3gpuE8ELNS1_3repE0EEENS1_30default_config_static_selectorELNS0_4arch9wavefront6targetE1EEEvT1_
    .private_segment_fixed_size: 0
    .sgpr_count:     6
    .sgpr_spill_count: 0
    .symbol:         _ZN7rocprim17ROCPRIM_400000_NS6detail17trampoline_kernelINS0_14default_configENS1_25partition_config_selectorILNS1_17partition_subalgoE8ElNS0_10empty_typeEbEEZZNS1_14partition_implILS5_8ELb0ES3_jPlPS6_PKS6_NS0_5tupleIJS9_S6_EEENSD_IJSA_SA_EEENS0_18inequality_wrapperIZN2at6native12_GLOBAL__N_124unique_dim_cuda_templateIfEESt5tupleIJNSH_6TensorESM_SM_EERKSM_lbbbEUlllE0_EEPmJS6_EEE10hipError_tPvRmT3_T4_T5_T6_T7_T9_mT8_P12ihipStream_tbDpT10_ENKUlT_T0_E_clISt17integral_constantIbLb1EES1C_EEDaS17_S18_EUlS17_E_NS1_11comp_targetILNS1_3genE4ELNS1_11target_archE910ELNS1_3gpuE8ELNS1_3repE0EEENS1_30default_config_static_selectorELNS0_4arch9wavefront6targetE1EEEvT1_.kd
    .uniform_work_group_size: 1
    .uses_dynamic_stack: false
    .vgpr_count:     0
    .vgpr_spill_count: 0
    .wavefront_size: 64
  - .agpr_count:     0
    .args:
      - .offset:         0
        .size:           136
        .value_kind:     by_value
    .group_segment_fixed_size: 0
    .kernarg_segment_align: 8
    .kernarg_segment_size: 136
    .language:       OpenCL C
    .language_version:
      - 2
      - 0
    .max_flat_workgroup_size: 512
    .name:           _ZN7rocprim17ROCPRIM_400000_NS6detail17trampoline_kernelINS0_14default_configENS1_25partition_config_selectorILNS1_17partition_subalgoE8ElNS0_10empty_typeEbEEZZNS1_14partition_implILS5_8ELb0ES3_jPlPS6_PKS6_NS0_5tupleIJS9_S6_EEENSD_IJSA_SA_EEENS0_18inequality_wrapperIZN2at6native12_GLOBAL__N_124unique_dim_cuda_templateIfEESt5tupleIJNSH_6TensorESM_SM_EERKSM_lbbbEUlllE0_EEPmJS6_EEE10hipError_tPvRmT3_T4_T5_T6_T7_T9_mT8_P12ihipStream_tbDpT10_ENKUlT_T0_E_clISt17integral_constantIbLb1EES1C_EEDaS17_S18_EUlS17_E_NS1_11comp_targetILNS1_3genE3ELNS1_11target_archE908ELNS1_3gpuE7ELNS1_3repE0EEENS1_30default_config_static_selectorELNS0_4arch9wavefront6targetE1EEEvT1_
    .private_segment_fixed_size: 0
    .sgpr_count:     6
    .sgpr_spill_count: 0
    .symbol:         _ZN7rocprim17ROCPRIM_400000_NS6detail17trampoline_kernelINS0_14default_configENS1_25partition_config_selectorILNS1_17partition_subalgoE8ElNS0_10empty_typeEbEEZZNS1_14partition_implILS5_8ELb0ES3_jPlPS6_PKS6_NS0_5tupleIJS9_S6_EEENSD_IJSA_SA_EEENS0_18inequality_wrapperIZN2at6native12_GLOBAL__N_124unique_dim_cuda_templateIfEESt5tupleIJNSH_6TensorESM_SM_EERKSM_lbbbEUlllE0_EEPmJS6_EEE10hipError_tPvRmT3_T4_T5_T6_T7_T9_mT8_P12ihipStream_tbDpT10_ENKUlT_T0_E_clISt17integral_constantIbLb1EES1C_EEDaS17_S18_EUlS17_E_NS1_11comp_targetILNS1_3genE3ELNS1_11target_archE908ELNS1_3gpuE7ELNS1_3repE0EEENS1_30default_config_static_selectorELNS0_4arch9wavefront6targetE1EEEvT1_.kd
    .uniform_work_group_size: 1
    .uses_dynamic_stack: false
    .vgpr_count:     0
    .vgpr_spill_count: 0
    .wavefront_size: 64
  - .agpr_count:     0
    .args:
      - .offset:         0
        .size:           136
        .value_kind:     by_value
    .group_segment_fixed_size: 0
    .kernarg_segment_align: 8
    .kernarg_segment_size: 136
    .language:       OpenCL C
    .language_version:
      - 2
      - 0
    .max_flat_workgroup_size: 256
    .name:           _ZN7rocprim17ROCPRIM_400000_NS6detail17trampoline_kernelINS0_14default_configENS1_25partition_config_selectorILNS1_17partition_subalgoE8ElNS0_10empty_typeEbEEZZNS1_14partition_implILS5_8ELb0ES3_jPlPS6_PKS6_NS0_5tupleIJS9_S6_EEENSD_IJSA_SA_EEENS0_18inequality_wrapperIZN2at6native12_GLOBAL__N_124unique_dim_cuda_templateIfEESt5tupleIJNSH_6TensorESM_SM_EERKSM_lbbbEUlllE0_EEPmJS6_EEE10hipError_tPvRmT3_T4_T5_T6_T7_T9_mT8_P12ihipStream_tbDpT10_ENKUlT_T0_E_clISt17integral_constantIbLb1EES1C_EEDaS17_S18_EUlS17_E_NS1_11comp_targetILNS1_3genE2ELNS1_11target_archE906ELNS1_3gpuE6ELNS1_3repE0EEENS1_30default_config_static_selectorELNS0_4arch9wavefront6targetE1EEEvT1_
    .private_segment_fixed_size: 0
    .sgpr_count:     6
    .sgpr_spill_count: 0
    .symbol:         _ZN7rocprim17ROCPRIM_400000_NS6detail17trampoline_kernelINS0_14default_configENS1_25partition_config_selectorILNS1_17partition_subalgoE8ElNS0_10empty_typeEbEEZZNS1_14partition_implILS5_8ELb0ES3_jPlPS6_PKS6_NS0_5tupleIJS9_S6_EEENSD_IJSA_SA_EEENS0_18inequality_wrapperIZN2at6native12_GLOBAL__N_124unique_dim_cuda_templateIfEESt5tupleIJNSH_6TensorESM_SM_EERKSM_lbbbEUlllE0_EEPmJS6_EEE10hipError_tPvRmT3_T4_T5_T6_T7_T9_mT8_P12ihipStream_tbDpT10_ENKUlT_T0_E_clISt17integral_constantIbLb1EES1C_EEDaS17_S18_EUlS17_E_NS1_11comp_targetILNS1_3genE2ELNS1_11target_archE906ELNS1_3gpuE6ELNS1_3repE0EEENS1_30default_config_static_selectorELNS0_4arch9wavefront6targetE1EEEvT1_.kd
    .uniform_work_group_size: 1
    .uses_dynamic_stack: false
    .vgpr_count:     0
    .vgpr_spill_count: 0
    .wavefront_size: 64
  - .agpr_count:     0
    .args:
      - .offset:         0
        .size:           136
        .value_kind:     by_value
    .group_segment_fixed_size: 0
    .kernarg_segment_align: 8
    .kernarg_segment_size: 136
    .language:       OpenCL C
    .language_version:
      - 2
      - 0
    .max_flat_workgroup_size: 384
    .name:           _ZN7rocprim17ROCPRIM_400000_NS6detail17trampoline_kernelINS0_14default_configENS1_25partition_config_selectorILNS1_17partition_subalgoE8ElNS0_10empty_typeEbEEZZNS1_14partition_implILS5_8ELb0ES3_jPlPS6_PKS6_NS0_5tupleIJS9_S6_EEENSD_IJSA_SA_EEENS0_18inequality_wrapperIZN2at6native12_GLOBAL__N_124unique_dim_cuda_templateIfEESt5tupleIJNSH_6TensorESM_SM_EERKSM_lbbbEUlllE0_EEPmJS6_EEE10hipError_tPvRmT3_T4_T5_T6_T7_T9_mT8_P12ihipStream_tbDpT10_ENKUlT_T0_E_clISt17integral_constantIbLb1EES1C_EEDaS17_S18_EUlS17_E_NS1_11comp_targetILNS1_3genE10ELNS1_11target_archE1200ELNS1_3gpuE4ELNS1_3repE0EEENS1_30default_config_static_selectorELNS0_4arch9wavefront6targetE1EEEvT1_
    .private_segment_fixed_size: 0
    .sgpr_count:     6
    .sgpr_spill_count: 0
    .symbol:         _ZN7rocprim17ROCPRIM_400000_NS6detail17trampoline_kernelINS0_14default_configENS1_25partition_config_selectorILNS1_17partition_subalgoE8ElNS0_10empty_typeEbEEZZNS1_14partition_implILS5_8ELb0ES3_jPlPS6_PKS6_NS0_5tupleIJS9_S6_EEENSD_IJSA_SA_EEENS0_18inequality_wrapperIZN2at6native12_GLOBAL__N_124unique_dim_cuda_templateIfEESt5tupleIJNSH_6TensorESM_SM_EERKSM_lbbbEUlllE0_EEPmJS6_EEE10hipError_tPvRmT3_T4_T5_T6_T7_T9_mT8_P12ihipStream_tbDpT10_ENKUlT_T0_E_clISt17integral_constantIbLb1EES1C_EEDaS17_S18_EUlS17_E_NS1_11comp_targetILNS1_3genE10ELNS1_11target_archE1200ELNS1_3gpuE4ELNS1_3repE0EEENS1_30default_config_static_selectorELNS0_4arch9wavefront6targetE1EEEvT1_.kd
    .uniform_work_group_size: 1
    .uses_dynamic_stack: false
    .vgpr_count:     0
    .vgpr_spill_count: 0
    .wavefront_size: 64
  - .agpr_count:     0
    .args:
      - .offset:         0
        .size:           136
        .value_kind:     by_value
    .group_segment_fixed_size: 0
    .kernarg_segment_align: 8
    .kernarg_segment_size: 136
    .language:       OpenCL C
    .language_version:
      - 2
      - 0
    .max_flat_workgroup_size: 512
    .name:           _ZN7rocprim17ROCPRIM_400000_NS6detail17trampoline_kernelINS0_14default_configENS1_25partition_config_selectorILNS1_17partition_subalgoE8ElNS0_10empty_typeEbEEZZNS1_14partition_implILS5_8ELb0ES3_jPlPS6_PKS6_NS0_5tupleIJS9_S6_EEENSD_IJSA_SA_EEENS0_18inequality_wrapperIZN2at6native12_GLOBAL__N_124unique_dim_cuda_templateIfEESt5tupleIJNSH_6TensorESM_SM_EERKSM_lbbbEUlllE0_EEPmJS6_EEE10hipError_tPvRmT3_T4_T5_T6_T7_T9_mT8_P12ihipStream_tbDpT10_ENKUlT_T0_E_clISt17integral_constantIbLb1EES1C_EEDaS17_S18_EUlS17_E_NS1_11comp_targetILNS1_3genE9ELNS1_11target_archE1100ELNS1_3gpuE3ELNS1_3repE0EEENS1_30default_config_static_selectorELNS0_4arch9wavefront6targetE1EEEvT1_
    .private_segment_fixed_size: 0
    .sgpr_count:     6
    .sgpr_spill_count: 0
    .symbol:         _ZN7rocprim17ROCPRIM_400000_NS6detail17trampoline_kernelINS0_14default_configENS1_25partition_config_selectorILNS1_17partition_subalgoE8ElNS0_10empty_typeEbEEZZNS1_14partition_implILS5_8ELb0ES3_jPlPS6_PKS6_NS0_5tupleIJS9_S6_EEENSD_IJSA_SA_EEENS0_18inequality_wrapperIZN2at6native12_GLOBAL__N_124unique_dim_cuda_templateIfEESt5tupleIJNSH_6TensorESM_SM_EERKSM_lbbbEUlllE0_EEPmJS6_EEE10hipError_tPvRmT3_T4_T5_T6_T7_T9_mT8_P12ihipStream_tbDpT10_ENKUlT_T0_E_clISt17integral_constantIbLb1EES1C_EEDaS17_S18_EUlS17_E_NS1_11comp_targetILNS1_3genE9ELNS1_11target_archE1100ELNS1_3gpuE3ELNS1_3repE0EEENS1_30default_config_static_selectorELNS0_4arch9wavefront6targetE1EEEvT1_.kd
    .uniform_work_group_size: 1
    .uses_dynamic_stack: false
    .vgpr_count:     0
    .vgpr_spill_count: 0
    .wavefront_size: 64
  - .agpr_count:     0
    .args:
      - .offset:         0
        .size:           136
        .value_kind:     by_value
    .group_segment_fixed_size: 0
    .kernarg_segment_align: 8
    .kernarg_segment_size: 136
    .language:       OpenCL C
    .language_version:
      - 2
      - 0
    .max_flat_workgroup_size: 512
    .name:           _ZN7rocprim17ROCPRIM_400000_NS6detail17trampoline_kernelINS0_14default_configENS1_25partition_config_selectorILNS1_17partition_subalgoE8ElNS0_10empty_typeEbEEZZNS1_14partition_implILS5_8ELb0ES3_jPlPS6_PKS6_NS0_5tupleIJS9_S6_EEENSD_IJSA_SA_EEENS0_18inequality_wrapperIZN2at6native12_GLOBAL__N_124unique_dim_cuda_templateIfEESt5tupleIJNSH_6TensorESM_SM_EERKSM_lbbbEUlllE0_EEPmJS6_EEE10hipError_tPvRmT3_T4_T5_T6_T7_T9_mT8_P12ihipStream_tbDpT10_ENKUlT_T0_E_clISt17integral_constantIbLb1EES1C_EEDaS17_S18_EUlS17_E_NS1_11comp_targetILNS1_3genE8ELNS1_11target_archE1030ELNS1_3gpuE2ELNS1_3repE0EEENS1_30default_config_static_selectorELNS0_4arch9wavefront6targetE1EEEvT1_
    .private_segment_fixed_size: 0
    .sgpr_count:     6
    .sgpr_spill_count: 0
    .symbol:         _ZN7rocprim17ROCPRIM_400000_NS6detail17trampoline_kernelINS0_14default_configENS1_25partition_config_selectorILNS1_17partition_subalgoE8ElNS0_10empty_typeEbEEZZNS1_14partition_implILS5_8ELb0ES3_jPlPS6_PKS6_NS0_5tupleIJS9_S6_EEENSD_IJSA_SA_EEENS0_18inequality_wrapperIZN2at6native12_GLOBAL__N_124unique_dim_cuda_templateIfEESt5tupleIJNSH_6TensorESM_SM_EERKSM_lbbbEUlllE0_EEPmJS6_EEE10hipError_tPvRmT3_T4_T5_T6_T7_T9_mT8_P12ihipStream_tbDpT10_ENKUlT_T0_E_clISt17integral_constantIbLb1EES1C_EEDaS17_S18_EUlS17_E_NS1_11comp_targetILNS1_3genE8ELNS1_11target_archE1030ELNS1_3gpuE2ELNS1_3repE0EEENS1_30default_config_static_selectorELNS0_4arch9wavefront6targetE1EEEvT1_.kd
    .uniform_work_group_size: 1
    .uses_dynamic_stack: false
    .vgpr_count:     0
    .vgpr_spill_count: 0
    .wavefront_size: 64
  - .agpr_count:     0
    .args:
      - .offset:         0
        .size:           120
        .value_kind:     by_value
    .group_segment_fixed_size: 0
    .kernarg_segment_align: 8
    .kernarg_segment_size: 120
    .language:       OpenCL C
    .language_version:
      - 2
      - 0
    .max_flat_workgroup_size: 512
    .name:           _ZN7rocprim17ROCPRIM_400000_NS6detail17trampoline_kernelINS0_14default_configENS1_25partition_config_selectorILNS1_17partition_subalgoE8ElNS0_10empty_typeEbEEZZNS1_14partition_implILS5_8ELb0ES3_jPlPS6_PKS6_NS0_5tupleIJS9_S6_EEENSD_IJSA_SA_EEENS0_18inequality_wrapperIZN2at6native12_GLOBAL__N_124unique_dim_cuda_templateIfEESt5tupleIJNSH_6TensorESM_SM_EERKSM_lbbbEUlllE0_EEPmJS6_EEE10hipError_tPvRmT3_T4_T5_T6_T7_T9_mT8_P12ihipStream_tbDpT10_ENKUlT_T0_E_clISt17integral_constantIbLb1EES1B_IbLb0EEEEDaS17_S18_EUlS17_E_NS1_11comp_targetILNS1_3genE0ELNS1_11target_archE4294967295ELNS1_3gpuE0ELNS1_3repE0EEENS1_30default_config_static_selectorELNS0_4arch9wavefront6targetE1EEEvT1_
    .private_segment_fixed_size: 0
    .sgpr_count:     6
    .sgpr_spill_count: 0
    .symbol:         _ZN7rocprim17ROCPRIM_400000_NS6detail17trampoline_kernelINS0_14default_configENS1_25partition_config_selectorILNS1_17partition_subalgoE8ElNS0_10empty_typeEbEEZZNS1_14partition_implILS5_8ELb0ES3_jPlPS6_PKS6_NS0_5tupleIJS9_S6_EEENSD_IJSA_SA_EEENS0_18inequality_wrapperIZN2at6native12_GLOBAL__N_124unique_dim_cuda_templateIfEESt5tupleIJNSH_6TensorESM_SM_EERKSM_lbbbEUlllE0_EEPmJS6_EEE10hipError_tPvRmT3_T4_T5_T6_T7_T9_mT8_P12ihipStream_tbDpT10_ENKUlT_T0_E_clISt17integral_constantIbLb1EES1B_IbLb0EEEEDaS17_S18_EUlS17_E_NS1_11comp_targetILNS1_3genE0ELNS1_11target_archE4294967295ELNS1_3gpuE0ELNS1_3repE0EEENS1_30default_config_static_selectorELNS0_4arch9wavefront6targetE1EEEvT1_.kd
    .uniform_work_group_size: 1
    .uses_dynamic_stack: false
    .vgpr_count:     0
    .vgpr_spill_count: 0
    .wavefront_size: 64
  - .agpr_count:     0
    .args:
      - .offset:         0
        .size:           120
        .value_kind:     by_value
    .group_segment_fixed_size: 28684
    .kernarg_segment_align: 8
    .kernarg_segment_size: 120
    .language:       OpenCL C
    .language_version:
      - 2
      - 0
    .max_flat_workgroup_size: 512
    .name:           _ZN7rocprim17ROCPRIM_400000_NS6detail17trampoline_kernelINS0_14default_configENS1_25partition_config_selectorILNS1_17partition_subalgoE8ElNS0_10empty_typeEbEEZZNS1_14partition_implILS5_8ELb0ES3_jPlPS6_PKS6_NS0_5tupleIJS9_S6_EEENSD_IJSA_SA_EEENS0_18inequality_wrapperIZN2at6native12_GLOBAL__N_124unique_dim_cuda_templateIfEESt5tupleIJNSH_6TensorESM_SM_EERKSM_lbbbEUlllE0_EEPmJS6_EEE10hipError_tPvRmT3_T4_T5_T6_T7_T9_mT8_P12ihipStream_tbDpT10_ENKUlT_T0_E_clISt17integral_constantIbLb1EES1B_IbLb0EEEEDaS17_S18_EUlS17_E_NS1_11comp_targetILNS1_3genE5ELNS1_11target_archE942ELNS1_3gpuE9ELNS1_3repE0EEENS1_30default_config_static_selectorELNS0_4arch9wavefront6targetE1EEEvT1_
    .private_segment_fixed_size: 0
    .sgpr_count:     58
    .sgpr_spill_count: 0
    .symbol:         _ZN7rocprim17ROCPRIM_400000_NS6detail17trampoline_kernelINS0_14default_configENS1_25partition_config_selectorILNS1_17partition_subalgoE8ElNS0_10empty_typeEbEEZZNS1_14partition_implILS5_8ELb0ES3_jPlPS6_PKS6_NS0_5tupleIJS9_S6_EEENSD_IJSA_SA_EEENS0_18inequality_wrapperIZN2at6native12_GLOBAL__N_124unique_dim_cuda_templateIfEESt5tupleIJNSH_6TensorESM_SM_EERKSM_lbbbEUlllE0_EEPmJS6_EEE10hipError_tPvRmT3_T4_T5_T6_T7_T9_mT8_P12ihipStream_tbDpT10_ENKUlT_T0_E_clISt17integral_constantIbLb1EES1B_IbLb0EEEEDaS17_S18_EUlS17_E_NS1_11comp_targetILNS1_3genE5ELNS1_11target_archE942ELNS1_3gpuE9ELNS1_3repE0EEENS1_30default_config_static_selectorELNS0_4arch9wavefront6targetE1EEEvT1_.kd
    .uniform_work_group_size: 1
    .uses_dynamic_stack: false
    .vgpr_count:     52
    .vgpr_spill_count: 0
    .wavefront_size: 64
  - .agpr_count:     0
    .args:
      - .offset:         0
        .size:           120
        .value_kind:     by_value
    .group_segment_fixed_size: 0
    .kernarg_segment_align: 8
    .kernarg_segment_size: 120
    .language:       OpenCL C
    .language_version:
      - 2
      - 0
    .max_flat_workgroup_size: 256
    .name:           _ZN7rocprim17ROCPRIM_400000_NS6detail17trampoline_kernelINS0_14default_configENS1_25partition_config_selectorILNS1_17partition_subalgoE8ElNS0_10empty_typeEbEEZZNS1_14partition_implILS5_8ELb0ES3_jPlPS6_PKS6_NS0_5tupleIJS9_S6_EEENSD_IJSA_SA_EEENS0_18inequality_wrapperIZN2at6native12_GLOBAL__N_124unique_dim_cuda_templateIfEESt5tupleIJNSH_6TensorESM_SM_EERKSM_lbbbEUlllE0_EEPmJS6_EEE10hipError_tPvRmT3_T4_T5_T6_T7_T9_mT8_P12ihipStream_tbDpT10_ENKUlT_T0_E_clISt17integral_constantIbLb1EES1B_IbLb0EEEEDaS17_S18_EUlS17_E_NS1_11comp_targetILNS1_3genE4ELNS1_11target_archE910ELNS1_3gpuE8ELNS1_3repE0EEENS1_30default_config_static_selectorELNS0_4arch9wavefront6targetE1EEEvT1_
    .private_segment_fixed_size: 0
    .sgpr_count:     6
    .sgpr_spill_count: 0
    .symbol:         _ZN7rocprim17ROCPRIM_400000_NS6detail17trampoline_kernelINS0_14default_configENS1_25partition_config_selectorILNS1_17partition_subalgoE8ElNS0_10empty_typeEbEEZZNS1_14partition_implILS5_8ELb0ES3_jPlPS6_PKS6_NS0_5tupleIJS9_S6_EEENSD_IJSA_SA_EEENS0_18inequality_wrapperIZN2at6native12_GLOBAL__N_124unique_dim_cuda_templateIfEESt5tupleIJNSH_6TensorESM_SM_EERKSM_lbbbEUlllE0_EEPmJS6_EEE10hipError_tPvRmT3_T4_T5_T6_T7_T9_mT8_P12ihipStream_tbDpT10_ENKUlT_T0_E_clISt17integral_constantIbLb1EES1B_IbLb0EEEEDaS17_S18_EUlS17_E_NS1_11comp_targetILNS1_3genE4ELNS1_11target_archE910ELNS1_3gpuE8ELNS1_3repE0EEENS1_30default_config_static_selectorELNS0_4arch9wavefront6targetE1EEEvT1_.kd
    .uniform_work_group_size: 1
    .uses_dynamic_stack: false
    .vgpr_count:     0
    .vgpr_spill_count: 0
    .wavefront_size: 64
  - .agpr_count:     0
    .args:
      - .offset:         0
        .size:           120
        .value_kind:     by_value
    .group_segment_fixed_size: 0
    .kernarg_segment_align: 8
    .kernarg_segment_size: 120
    .language:       OpenCL C
    .language_version:
      - 2
      - 0
    .max_flat_workgroup_size: 512
    .name:           _ZN7rocprim17ROCPRIM_400000_NS6detail17trampoline_kernelINS0_14default_configENS1_25partition_config_selectorILNS1_17partition_subalgoE8ElNS0_10empty_typeEbEEZZNS1_14partition_implILS5_8ELb0ES3_jPlPS6_PKS6_NS0_5tupleIJS9_S6_EEENSD_IJSA_SA_EEENS0_18inequality_wrapperIZN2at6native12_GLOBAL__N_124unique_dim_cuda_templateIfEESt5tupleIJNSH_6TensorESM_SM_EERKSM_lbbbEUlllE0_EEPmJS6_EEE10hipError_tPvRmT3_T4_T5_T6_T7_T9_mT8_P12ihipStream_tbDpT10_ENKUlT_T0_E_clISt17integral_constantIbLb1EES1B_IbLb0EEEEDaS17_S18_EUlS17_E_NS1_11comp_targetILNS1_3genE3ELNS1_11target_archE908ELNS1_3gpuE7ELNS1_3repE0EEENS1_30default_config_static_selectorELNS0_4arch9wavefront6targetE1EEEvT1_
    .private_segment_fixed_size: 0
    .sgpr_count:     6
    .sgpr_spill_count: 0
    .symbol:         _ZN7rocprim17ROCPRIM_400000_NS6detail17trampoline_kernelINS0_14default_configENS1_25partition_config_selectorILNS1_17partition_subalgoE8ElNS0_10empty_typeEbEEZZNS1_14partition_implILS5_8ELb0ES3_jPlPS6_PKS6_NS0_5tupleIJS9_S6_EEENSD_IJSA_SA_EEENS0_18inequality_wrapperIZN2at6native12_GLOBAL__N_124unique_dim_cuda_templateIfEESt5tupleIJNSH_6TensorESM_SM_EERKSM_lbbbEUlllE0_EEPmJS6_EEE10hipError_tPvRmT3_T4_T5_T6_T7_T9_mT8_P12ihipStream_tbDpT10_ENKUlT_T0_E_clISt17integral_constantIbLb1EES1B_IbLb0EEEEDaS17_S18_EUlS17_E_NS1_11comp_targetILNS1_3genE3ELNS1_11target_archE908ELNS1_3gpuE7ELNS1_3repE0EEENS1_30default_config_static_selectorELNS0_4arch9wavefront6targetE1EEEvT1_.kd
    .uniform_work_group_size: 1
    .uses_dynamic_stack: false
    .vgpr_count:     0
    .vgpr_spill_count: 0
    .wavefront_size: 64
  - .agpr_count:     0
    .args:
      - .offset:         0
        .size:           120
        .value_kind:     by_value
    .group_segment_fixed_size: 0
    .kernarg_segment_align: 8
    .kernarg_segment_size: 120
    .language:       OpenCL C
    .language_version:
      - 2
      - 0
    .max_flat_workgroup_size: 256
    .name:           _ZN7rocprim17ROCPRIM_400000_NS6detail17trampoline_kernelINS0_14default_configENS1_25partition_config_selectorILNS1_17partition_subalgoE8ElNS0_10empty_typeEbEEZZNS1_14partition_implILS5_8ELb0ES3_jPlPS6_PKS6_NS0_5tupleIJS9_S6_EEENSD_IJSA_SA_EEENS0_18inequality_wrapperIZN2at6native12_GLOBAL__N_124unique_dim_cuda_templateIfEESt5tupleIJNSH_6TensorESM_SM_EERKSM_lbbbEUlllE0_EEPmJS6_EEE10hipError_tPvRmT3_T4_T5_T6_T7_T9_mT8_P12ihipStream_tbDpT10_ENKUlT_T0_E_clISt17integral_constantIbLb1EES1B_IbLb0EEEEDaS17_S18_EUlS17_E_NS1_11comp_targetILNS1_3genE2ELNS1_11target_archE906ELNS1_3gpuE6ELNS1_3repE0EEENS1_30default_config_static_selectorELNS0_4arch9wavefront6targetE1EEEvT1_
    .private_segment_fixed_size: 0
    .sgpr_count:     6
    .sgpr_spill_count: 0
    .symbol:         _ZN7rocprim17ROCPRIM_400000_NS6detail17trampoline_kernelINS0_14default_configENS1_25partition_config_selectorILNS1_17partition_subalgoE8ElNS0_10empty_typeEbEEZZNS1_14partition_implILS5_8ELb0ES3_jPlPS6_PKS6_NS0_5tupleIJS9_S6_EEENSD_IJSA_SA_EEENS0_18inequality_wrapperIZN2at6native12_GLOBAL__N_124unique_dim_cuda_templateIfEESt5tupleIJNSH_6TensorESM_SM_EERKSM_lbbbEUlllE0_EEPmJS6_EEE10hipError_tPvRmT3_T4_T5_T6_T7_T9_mT8_P12ihipStream_tbDpT10_ENKUlT_T0_E_clISt17integral_constantIbLb1EES1B_IbLb0EEEEDaS17_S18_EUlS17_E_NS1_11comp_targetILNS1_3genE2ELNS1_11target_archE906ELNS1_3gpuE6ELNS1_3repE0EEENS1_30default_config_static_selectorELNS0_4arch9wavefront6targetE1EEEvT1_.kd
    .uniform_work_group_size: 1
    .uses_dynamic_stack: false
    .vgpr_count:     0
    .vgpr_spill_count: 0
    .wavefront_size: 64
  - .agpr_count:     0
    .args:
      - .offset:         0
        .size:           120
        .value_kind:     by_value
    .group_segment_fixed_size: 0
    .kernarg_segment_align: 8
    .kernarg_segment_size: 120
    .language:       OpenCL C
    .language_version:
      - 2
      - 0
    .max_flat_workgroup_size: 384
    .name:           _ZN7rocprim17ROCPRIM_400000_NS6detail17trampoline_kernelINS0_14default_configENS1_25partition_config_selectorILNS1_17partition_subalgoE8ElNS0_10empty_typeEbEEZZNS1_14partition_implILS5_8ELb0ES3_jPlPS6_PKS6_NS0_5tupleIJS9_S6_EEENSD_IJSA_SA_EEENS0_18inequality_wrapperIZN2at6native12_GLOBAL__N_124unique_dim_cuda_templateIfEESt5tupleIJNSH_6TensorESM_SM_EERKSM_lbbbEUlllE0_EEPmJS6_EEE10hipError_tPvRmT3_T4_T5_T6_T7_T9_mT8_P12ihipStream_tbDpT10_ENKUlT_T0_E_clISt17integral_constantIbLb1EES1B_IbLb0EEEEDaS17_S18_EUlS17_E_NS1_11comp_targetILNS1_3genE10ELNS1_11target_archE1200ELNS1_3gpuE4ELNS1_3repE0EEENS1_30default_config_static_selectorELNS0_4arch9wavefront6targetE1EEEvT1_
    .private_segment_fixed_size: 0
    .sgpr_count:     6
    .sgpr_spill_count: 0
    .symbol:         _ZN7rocprim17ROCPRIM_400000_NS6detail17trampoline_kernelINS0_14default_configENS1_25partition_config_selectorILNS1_17partition_subalgoE8ElNS0_10empty_typeEbEEZZNS1_14partition_implILS5_8ELb0ES3_jPlPS6_PKS6_NS0_5tupleIJS9_S6_EEENSD_IJSA_SA_EEENS0_18inequality_wrapperIZN2at6native12_GLOBAL__N_124unique_dim_cuda_templateIfEESt5tupleIJNSH_6TensorESM_SM_EERKSM_lbbbEUlllE0_EEPmJS6_EEE10hipError_tPvRmT3_T4_T5_T6_T7_T9_mT8_P12ihipStream_tbDpT10_ENKUlT_T0_E_clISt17integral_constantIbLb1EES1B_IbLb0EEEEDaS17_S18_EUlS17_E_NS1_11comp_targetILNS1_3genE10ELNS1_11target_archE1200ELNS1_3gpuE4ELNS1_3repE0EEENS1_30default_config_static_selectorELNS0_4arch9wavefront6targetE1EEEvT1_.kd
    .uniform_work_group_size: 1
    .uses_dynamic_stack: false
    .vgpr_count:     0
    .vgpr_spill_count: 0
    .wavefront_size: 64
  - .agpr_count:     0
    .args:
      - .offset:         0
        .size:           120
        .value_kind:     by_value
    .group_segment_fixed_size: 0
    .kernarg_segment_align: 8
    .kernarg_segment_size: 120
    .language:       OpenCL C
    .language_version:
      - 2
      - 0
    .max_flat_workgroup_size: 512
    .name:           _ZN7rocprim17ROCPRIM_400000_NS6detail17trampoline_kernelINS0_14default_configENS1_25partition_config_selectorILNS1_17partition_subalgoE8ElNS0_10empty_typeEbEEZZNS1_14partition_implILS5_8ELb0ES3_jPlPS6_PKS6_NS0_5tupleIJS9_S6_EEENSD_IJSA_SA_EEENS0_18inequality_wrapperIZN2at6native12_GLOBAL__N_124unique_dim_cuda_templateIfEESt5tupleIJNSH_6TensorESM_SM_EERKSM_lbbbEUlllE0_EEPmJS6_EEE10hipError_tPvRmT3_T4_T5_T6_T7_T9_mT8_P12ihipStream_tbDpT10_ENKUlT_T0_E_clISt17integral_constantIbLb1EES1B_IbLb0EEEEDaS17_S18_EUlS17_E_NS1_11comp_targetILNS1_3genE9ELNS1_11target_archE1100ELNS1_3gpuE3ELNS1_3repE0EEENS1_30default_config_static_selectorELNS0_4arch9wavefront6targetE1EEEvT1_
    .private_segment_fixed_size: 0
    .sgpr_count:     6
    .sgpr_spill_count: 0
    .symbol:         _ZN7rocprim17ROCPRIM_400000_NS6detail17trampoline_kernelINS0_14default_configENS1_25partition_config_selectorILNS1_17partition_subalgoE8ElNS0_10empty_typeEbEEZZNS1_14partition_implILS5_8ELb0ES3_jPlPS6_PKS6_NS0_5tupleIJS9_S6_EEENSD_IJSA_SA_EEENS0_18inequality_wrapperIZN2at6native12_GLOBAL__N_124unique_dim_cuda_templateIfEESt5tupleIJNSH_6TensorESM_SM_EERKSM_lbbbEUlllE0_EEPmJS6_EEE10hipError_tPvRmT3_T4_T5_T6_T7_T9_mT8_P12ihipStream_tbDpT10_ENKUlT_T0_E_clISt17integral_constantIbLb1EES1B_IbLb0EEEEDaS17_S18_EUlS17_E_NS1_11comp_targetILNS1_3genE9ELNS1_11target_archE1100ELNS1_3gpuE3ELNS1_3repE0EEENS1_30default_config_static_selectorELNS0_4arch9wavefront6targetE1EEEvT1_.kd
    .uniform_work_group_size: 1
    .uses_dynamic_stack: false
    .vgpr_count:     0
    .vgpr_spill_count: 0
    .wavefront_size: 64
  - .agpr_count:     0
    .args:
      - .offset:         0
        .size:           120
        .value_kind:     by_value
    .group_segment_fixed_size: 0
    .kernarg_segment_align: 8
    .kernarg_segment_size: 120
    .language:       OpenCL C
    .language_version:
      - 2
      - 0
    .max_flat_workgroup_size: 512
    .name:           _ZN7rocprim17ROCPRIM_400000_NS6detail17trampoline_kernelINS0_14default_configENS1_25partition_config_selectorILNS1_17partition_subalgoE8ElNS0_10empty_typeEbEEZZNS1_14partition_implILS5_8ELb0ES3_jPlPS6_PKS6_NS0_5tupleIJS9_S6_EEENSD_IJSA_SA_EEENS0_18inequality_wrapperIZN2at6native12_GLOBAL__N_124unique_dim_cuda_templateIfEESt5tupleIJNSH_6TensorESM_SM_EERKSM_lbbbEUlllE0_EEPmJS6_EEE10hipError_tPvRmT3_T4_T5_T6_T7_T9_mT8_P12ihipStream_tbDpT10_ENKUlT_T0_E_clISt17integral_constantIbLb1EES1B_IbLb0EEEEDaS17_S18_EUlS17_E_NS1_11comp_targetILNS1_3genE8ELNS1_11target_archE1030ELNS1_3gpuE2ELNS1_3repE0EEENS1_30default_config_static_selectorELNS0_4arch9wavefront6targetE1EEEvT1_
    .private_segment_fixed_size: 0
    .sgpr_count:     6
    .sgpr_spill_count: 0
    .symbol:         _ZN7rocprim17ROCPRIM_400000_NS6detail17trampoline_kernelINS0_14default_configENS1_25partition_config_selectorILNS1_17partition_subalgoE8ElNS0_10empty_typeEbEEZZNS1_14partition_implILS5_8ELb0ES3_jPlPS6_PKS6_NS0_5tupleIJS9_S6_EEENSD_IJSA_SA_EEENS0_18inequality_wrapperIZN2at6native12_GLOBAL__N_124unique_dim_cuda_templateIfEESt5tupleIJNSH_6TensorESM_SM_EERKSM_lbbbEUlllE0_EEPmJS6_EEE10hipError_tPvRmT3_T4_T5_T6_T7_T9_mT8_P12ihipStream_tbDpT10_ENKUlT_T0_E_clISt17integral_constantIbLb1EES1B_IbLb0EEEEDaS17_S18_EUlS17_E_NS1_11comp_targetILNS1_3genE8ELNS1_11target_archE1030ELNS1_3gpuE2ELNS1_3repE0EEENS1_30default_config_static_selectorELNS0_4arch9wavefront6targetE1EEEvT1_.kd
    .uniform_work_group_size: 1
    .uses_dynamic_stack: false
    .vgpr_count:     0
    .vgpr_spill_count: 0
    .wavefront_size: 64
  - .agpr_count:     0
    .args:
      - .offset:         0
        .size:           136
        .value_kind:     by_value
    .group_segment_fixed_size: 0
    .kernarg_segment_align: 8
    .kernarg_segment_size: 136
    .language:       OpenCL C
    .language_version:
      - 2
      - 0
    .max_flat_workgroup_size: 512
    .name:           _ZN7rocprim17ROCPRIM_400000_NS6detail17trampoline_kernelINS0_14default_configENS1_25partition_config_selectorILNS1_17partition_subalgoE8ElNS0_10empty_typeEbEEZZNS1_14partition_implILS5_8ELb0ES3_jPlPS6_PKS6_NS0_5tupleIJS9_S6_EEENSD_IJSA_SA_EEENS0_18inequality_wrapperIZN2at6native12_GLOBAL__N_124unique_dim_cuda_templateIfEESt5tupleIJNSH_6TensorESM_SM_EERKSM_lbbbEUlllE0_EEPmJS6_EEE10hipError_tPvRmT3_T4_T5_T6_T7_T9_mT8_P12ihipStream_tbDpT10_ENKUlT_T0_E_clISt17integral_constantIbLb0EES1B_IbLb1EEEEDaS17_S18_EUlS17_E_NS1_11comp_targetILNS1_3genE0ELNS1_11target_archE4294967295ELNS1_3gpuE0ELNS1_3repE0EEENS1_30default_config_static_selectorELNS0_4arch9wavefront6targetE1EEEvT1_
    .private_segment_fixed_size: 0
    .sgpr_count:     6
    .sgpr_spill_count: 0
    .symbol:         _ZN7rocprim17ROCPRIM_400000_NS6detail17trampoline_kernelINS0_14default_configENS1_25partition_config_selectorILNS1_17partition_subalgoE8ElNS0_10empty_typeEbEEZZNS1_14partition_implILS5_8ELb0ES3_jPlPS6_PKS6_NS0_5tupleIJS9_S6_EEENSD_IJSA_SA_EEENS0_18inequality_wrapperIZN2at6native12_GLOBAL__N_124unique_dim_cuda_templateIfEESt5tupleIJNSH_6TensorESM_SM_EERKSM_lbbbEUlllE0_EEPmJS6_EEE10hipError_tPvRmT3_T4_T5_T6_T7_T9_mT8_P12ihipStream_tbDpT10_ENKUlT_T0_E_clISt17integral_constantIbLb0EES1B_IbLb1EEEEDaS17_S18_EUlS17_E_NS1_11comp_targetILNS1_3genE0ELNS1_11target_archE4294967295ELNS1_3gpuE0ELNS1_3repE0EEENS1_30default_config_static_selectorELNS0_4arch9wavefront6targetE1EEEvT1_.kd
    .uniform_work_group_size: 1
    .uses_dynamic_stack: false
    .vgpr_count:     0
    .vgpr_spill_count: 0
    .wavefront_size: 64
  - .agpr_count:     0
    .args:
      - .offset:         0
        .size:           136
        .value_kind:     by_value
    .group_segment_fixed_size: 28684
    .kernarg_segment_align: 8
    .kernarg_segment_size: 136
    .language:       OpenCL C
    .language_version:
      - 2
      - 0
    .max_flat_workgroup_size: 512
    .name:           _ZN7rocprim17ROCPRIM_400000_NS6detail17trampoline_kernelINS0_14default_configENS1_25partition_config_selectorILNS1_17partition_subalgoE8ElNS0_10empty_typeEbEEZZNS1_14partition_implILS5_8ELb0ES3_jPlPS6_PKS6_NS0_5tupleIJS9_S6_EEENSD_IJSA_SA_EEENS0_18inequality_wrapperIZN2at6native12_GLOBAL__N_124unique_dim_cuda_templateIfEESt5tupleIJNSH_6TensorESM_SM_EERKSM_lbbbEUlllE0_EEPmJS6_EEE10hipError_tPvRmT3_T4_T5_T6_T7_T9_mT8_P12ihipStream_tbDpT10_ENKUlT_T0_E_clISt17integral_constantIbLb0EES1B_IbLb1EEEEDaS17_S18_EUlS17_E_NS1_11comp_targetILNS1_3genE5ELNS1_11target_archE942ELNS1_3gpuE9ELNS1_3repE0EEENS1_30default_config_static_selectorELNS0_4arch9wavefront6targetE1EEEvT1_
    .private_segment_fixed_size: 0
    .sgpr_count:     62
    .sgpr_spill_count: 0
    .symbol:         _ZN7rocprim17ROCPRIM_400000_NS6detail17trampoline_kernelINS0_14default_configENS1_25partition_config_selectorILNS1_17partition_subalgoE8ElNS0_10empty_typeEbEEZZNS1_14partition_implILS5_8ELb0ES3_jPlPS6_PKS6_NS0_5tupleIJS9_S6_EEENSD_IJSA_SA_EEENS0_18inequality_wrapperIZN2at6native12_GLOBAL__N_124unique_dim_cuda_templateIfEESt5tupleIJNSH_6TensorESM_SM_EERKSM_lbbbEUlllE0_EEPmJS6_EEE10hipError_tPvRmT3_T4_T5_T6_T7_T9_mT8_P12ihipStream_tbDpT10_ENKUlT_T0_E_clISt17integral_constantIbLb0EES1B_IbLb1EEEEDaS17_S18_EUlS17_E_NS1_11comp_targetILNS1_3genE5ELNS1_11target_archE942ELNS1_3gpuE9ELNS1_3repE0EEENS1_30default_config_static_selectorELNS0_4arch9wavefront6targetE1EEEvT1_.kd
    .uniform_work_group_size: 1
    .uses_dynamic_stack: false
    .vgpr_count:     52
    .vgpr_spill_count: 0
    .wavefront_size: 64
  - .agpr_count:     0
    .args:
      - .offset:         0
        .size:           136
        .value_kind:     by_value
    .group_segment_fixed_size: 0
    .kernarg_segment_align: 8
    .kernarg_segment_size: 136
    .language:       OpenCL C
    .language_version:
      - 2
      - 0
    .max_flat_workgroup_size: 256
    .name:           _ZN7rocprim17ROCPRIM_400000_NS6detail17trampoline_kernelINS0_14default_configENS1_25partition_config_selectorILNS1_17partition_subalgoE8ElNS0_10empty_typeEbEEZZNS1_14partition_implILS5_8ELb0ES3_jPlPS6_PKS6_NS0_5tupleIJS9_S6_EEENSD_IJSA_SA_EEENS0_18inequality_wrapperIZN2at6native12_GLOBAL__N_124unique_dim_cuda_templateIfEESt5tupleIJNSH_6TensorESM_SM_EERKSM_lbbbEUlllE0_EEPmJS6_EEE10hipError_tPvRmT3_T4_T5_T6_T7_T9_mT8_P12ihipStream_tbDpT10_ENKUlT_T0_E_clISt17integral_constantIbLb0EES1B_IbLb1EEEEDaS17_S18_EUlS17_E_NS1_11comp_targetILNS1_3genE4ELNS1_11target_archE910ELNS1_3gpuE8ELNS1_3repE0EEENS1_30default_config_static_selectorELNS0_4arch9wavefront6targetE1EEEvT1_
    .private_segment_fixed_size: 0
    .sgpr_count:     6
    .sgpr_spill_count: 0
    .symbol:         _ZN7rocprim17ROCPRIM_400000_NS6detail17trampoline_kernelINS0_14default_configENS1_25partition_config_selectorILNS1_17partition_subalgoE8ElNS0_10empty_typeEbEEZZNS1_14partition_implILS5_8ELb0ES3_jPlPS6_PKS6_NS0_5tupleIJS9_S6_EEENSD_IJSA_SA_EEENS0_18inequality_wrapperIZN2at6native12_GLOBAL__N_124unique_dim_cuda_templateIfEESt5tupleIJNSH_6TensorESM_SM_EERKSM_lbbbEUlllE0_EEPmJS6_EEE10hipError_tPvRmT3_T4_T5_T6_T7_T9_mT8_P12ihipStream_tbDpT10_ENKUlT_T0_E_clISt17integral_constantIbLb0EES1B_IbLb1EEEEDaS17_S18_EUlS17_E_NS1_11comp_targetILNS1_3genE4ELNS1_11target_archE910ELNS1_3gpuE8ELNS1_3repE0EEENS1_30default_config_static_selectorELNS0_4arch9wavefront6targetE1EEEvT1_.kd
    .uniform_work_group_size: 1
    .uses_dynamic_stack: false
    .vgpr_count:     0
    .vgpr_spill_count: 0
    .wavefront_size: 64
  - .agpr_count:     0
    .args:
      - .offset:         0
        .size:           136
        .value_kind:     by_value
    .group_segment_fixed_size: 0
    .kernarg_segment_align: 8
    .kernarg_segment_size: 136
    .language:       OpenCL C
    .language_version:
      - 2
      - 0
    .max_flat_workgroup_size: 512
    .name:           _ZN7rocprim17ROCPRIM_400000_NS6detail17trampoline_kernelINS0_14default_configENS1_25partition_config_selectorILNS1_17partition_subalgoE8ElNS0_10empty_typeEbEEZZNS1_14partition_implILS5_8ELb0ES3_jPlPS6_PKS6_NS0_5tupleIJS9_S6_EEENSD_IJSA_SA_EEENS0_18inequality_wrapperIZN2at6native12_GLOBAL__N_124unique_dim_cuda_templateIfEESt5tupleIJNSH_6TensorESM_SM_EERKSM_lbbbEUlllE0_EEPmJS6_EEE10hipError_tPvRmT3_T4_T5_T6_T7_T9_mT8_P12ihipStream_tbDpT10_ENKUlT_T0_E_clISt17integral_constantIbLb0EES1B_IbLb1EEEEDaS17_S18_EUlS17_E_NS1_11comp_targetILNS1_3genE3ELNS1_11target_archE908ELNS1_3gpuE7ELNS1_3repE0EEENS1_30default_config_static_selectorELNS0_4arch9wavefront6targetE1EEEvT1_
    .private_segment_fixed_size: 0
    .sgpr_count:     6
    .sgpr_spill_count: 0
    .symbol:         _ZN7rocprim17ROCPRIM_400000_NS6detail17trampoline_kernelINS0_14default_configENS1_25partition_config_selectorILNS1_17partition_subalgoE8ElNS0_10empty_typeEbEEZZNS1_14partition_implILS5_8ELb0ES3_jPlPS6_PKS6_NS0_5tupleIJS9_S6_EEENSD_IJSA_SA_EEENS0_18inequality_wrapperIZN2at6native12_GLOBAL__N_124unique_dim_cuda_templateIfEESt5tupleIJNSH_6TensorESM_SM_EERKSM_lbbbEUlllE0_EEPmJS6_EEE10hipError_tPvRmT3_T4_T5_T6_T7_T9_mT8_P12ihipStream_tbDpT10_ENKUlT_T0_E_clISt17integral_constantIbLb0EES1B_IbLb1EEEEDaS17_S18_EUlS17_E_NS1_11comp_targetILNS1_3genE3ELNS1_11target_archE908ELNS1_3gpuE7ELNS1_3repE0EEENS1_30default_config_static_selectorELNS0_4arch9wavefront6targetE1EEEvT1_.kd
    .uniform_work_group_size: 1
    .uses_dynamic_stack: false
    .vgpr_count:     0
    .vgpr_spill_count: 0
    .wavefront_size: 64
  - .agpr_count:     0
    .args:
      - .offset:         0
        .size:           136
        .value_kind:     by_value
    .group_segment_fixed_size: 0
    .kernarg_segment_align: 8
    .kernarg_segment_size: 136
    .language:       OpenCL C
    .language_version:
      - 2
      - 0
    .max_flat_workgroup_size: 256
    .name:           _ZN7rocprim17ROCPRIM_400000_NS6detail17trampoline_kernelINS0_14default_configENS1_25partition_config_selectorILNS1_17partition_subalgoE8ElNS0_10empty_typeEbEEZZNS1_14partition_implILS5_8ELb0ES3_jPlPS6_PKS6_NS0_5tupleIJS9_S6_EEENSD_IJSA_SA_EEENS0_18inequality_wrapperIZN2at6native12_GLOBAL__N_124unique_dim_cuda_templateIfEESt5tupleIJNSH_6TensorESM_SM_EERKSM_lbbbEUlllE0_EEPmJS6_EEE10hipError_tPvRmT3_T4_T5_T6_T7_T9_mT8_P12ihipStream_tbDpT10_ENKUlT_T0_E_clISt17integral_constantIbLb0EES1B_IbLb1EEEEDaS17_S18_EUlS17_E_NS1_11comp_targetILNS1_3genE2ELNS1_11target_archE906ELNS1_3gpuE6ELNS1_3repE0EEENS1_30default_config_static_selectorELNS0_4arch9wavefront6targetE1EEEvT1_
    .private_segment_fixed_size: 0
    .sgpr_count:     6
    .sgpr_spill_count: 0
    .symbol:         _ZN7rocprim17ROCPRIM_400000_NS6detail17trampoline_kernelINS0_14default_configENS1_25partition_config_selectorILNS1_17partition_subalgoE8ElNS0_10empty_typeEbEEZZNS1_14partition_implILS5_8ELb0ES3_jPlPS6_PKS6_NS0_5tupleIJS9_S6_EEENSD_IJSA_SA_EEENS0_18inequality_wrapperIZN2at6native12_GLOBAL__N_124unique_dim_cuda_templateIfEESt5tupleIJNSH_6TensorESM_SM_EERKSM_lbbbEUlllE0_EEPmJS6_EEE10hipError_tPvRmT3_T4_T5_T6_T7_T9_mT8_P12ihipStream_tbDpT10_ENKUlT_T0_E_clISt17integral_constantIbLb0EES1B_IbLb1EEEEDaS17_S18_EUlS17_E_NS1_11comp_targetILNS1_3genE2ELNS1_11target_archE906ELNS1_3gpuE6ELNS1_3repE0EEENS1_30default_config_static_selectorELNS0_4arch9wavefront6targetE1EEEvT1_.kd
    .uniform_work_group_size: 1
    .uses_dynamic_stack: false
    .vgpr_count:     0
    .vgpr_spill_count: 0
    .wavefront_size: 64
  - .agpr_count:     0
    .args:
      - .offset:         0
        .size:           136
        .value_kind:     by_value
    .group_segment_fixed_size: 0
    .kernarg_segment_align: 8
    .kernarg_segment_size: 136
    .language:       OpenCL C
    .language_version:
      - 2
      - 0
    .max_flat_workgroup_size: 384
    .name:           _ZN7rocprim17ROCPRIM_400000_NS6detail17trampoline_kernelINS0_14default_configENS1_25partition_config_selectorILNS1_17partition_subalgoE8ElNS0_10empty_typeEbEEZZNS1_14partition_implILS5_8ELb0ES3_jPlPS6_PKS6_NS0_5tupleIJS9_S6_EEENSD_IJSA_SA_EEENS0_18inequality_wrapperIZN2at6native12_GLOBAL__N_124unique_dim_cuda_templateIfEESt5tupleIJNSH_6TensorESM_SM_EERKSM_lbbbEUlllE0_EEPmJS6_EEE10hipError_tPvRmT3_T4_T5_T6_T7_T9_mT8_P12ihipStream_tbDpT10_ENKUlT_T0_E_clISt17integral_constantIbLb0EES1B_IbLb1EEEEDaS17_S18_EUlS17_E_NS1_11comp_targetILNS1_3genE10ELNS1_11target_archE1200ELNS1_3gpuE4ELNS1_3repE0EEENS1_30default_config_static_selectorELNS0_4arch9wavefront6targetE1EEEvT1_
    .private_segment_fixed_size: 0
    .sgpr_count:     6
    .sgpr_spill_count: 0
    .symbol:         _ZN7rocprim17ROCPRIM_400000_NS6detail17trampoline_kernelINS0_14default_configENS1_25partition_config_selectorILNS1_17partition_subalgoE8ElNS0_10empty_typeEbEEZZNS1_14partition_implILS5_8ELb0ES3_jPlPS6_PKS6_NS0_5tupleIJS9_S6_EEENSD_IJSA_SA_EEENS0_18inequality_wrapperIZN2at6native12_GLOBAL__N_124unique_dim_cuda_templateIfEESt5tupleIJNSH_6TensorESM_SM_EERKSM_lbbbEUlllE0_EEPmJS6_EEE10hipError_tPvRmT3_T4_T5_T6_T7_T9_mT8_P12ihipStream_tbDpT10_ENKUlT_T0_E_clISt17integral_constantIbLb0EES1B_IbLb1EEEEDaS17_S18_EUlS17_E_NS1_11comp_targetILNS1_3genE10ELNS1_11target_archE1200ELNS1_3gpuE4ELNS1_3repE0EEENS1_30default_config_static_selectorELNS0_4arch9wavefront6targetE1EEEvT1_.kd
    .uniform_work_group_size: 1
    .uses_dynamic_stack: false
    .vgpr_count:     0
    .vgpr_spill_count: 0
    .wavefront_size: 64
  - .agpr_count:     0
    .args:
      - .offset:         0
        .size:           136
        .value_kind:     by_value
    .group_segment_fixed_size: 0
    .kernarg_segment_align: 8
    .kernarg_segment_size: 136
    .language:       OpenCL C
    .language_version:
      - 2
      - 0
    .max_flat_workgroup_size: 512
    .name:           _ZN7rocprim17ROCPRIM_400000_NS6detail17trampoline_kernelINS0_14default_configENS1_25partition_config_selectorILNS1_17partition_subalgoE8ElNS0_10empty_typeEbEEZZNS1_14partition_implILS5_8ELb0ES3_jPlPS6_PKS6_NS0_5tupleIJS9_S6_EEENSD_IJSA_SA_EEENS0_18inequality_wrapperIZN2at6native12_GLOBAL__N_124unique_dim_cuda_templateIfEESt5tupleIJNSH_6TensorESM_SM_EERKSM_lbbbEUlllE0_EEPmJS6_EEE10hipError_tPvRmT3_T4_T5_T6_T7_T9_mT8_P12ihipStream_tbDpT10_ENKUlT_T0_E_clISt17integral_constantIbLb0EES1B_IbLb1EEEEDaS17_S18_EUlS17_E_NS1_11comp_targetILNS1_3genE9ELNS1_11target_archE1100ELNS1_3gpuE3ELNS1_3repE0EEENS1_30default_config_static_selectorELNS0_4arch9wavefront6targetE1EEEvT1_
    .private_segment_fixed_size: 0
    .sgpr_count:     6
    .sgpr_spill_count: 0
    .symbol:         _ZN7rocprim17ROCPRIM_400000_NS6detail17trampoline_kernelINS0_14default_configENS1_25partition_config_selectorILNS1_17partition_subalgoE8ElNS0_10empty_typeEbEEZZNS1_14partition_implILS5_8ELb0ES3_jPlPS6_PKS6_NS0_5tupleIJS9_S6_EEENSD_IJSA_SA_EEENS0_18inequality_wrapperIZN2at6native12_GLOBAL__N_124unique_dim_cuda_templateIfEESt5tupleIJNSH_6TensorESM_SM_EERKSM_lbbbEUlllE0_EEPmJS6_EEE10hipError_tPvRmT3_T4_T5_T6_T7_T9_mT8_P12ihipStream_tbDpT10_ENKUlT_T0_E_clISt17integral_constantIbLb0EES1B_IbLb1EEEEDaS17_S18_EUlS17_E_NS1_11comp_targetILNS1_3genE9ELNS1_11target_archE1100ELNS1_3gpuE3ELNS1_3repE0EEENS1_30default_config_static_selectorELNS0_4arch9wavefront6targetE1EEEvT1_.kd
    .uniform_work_group_size: 1
    .uses_dynamic_stack: false
    .vgpr_count:     0
    .vgpr_spill_count: 0
    .wavefront_size: 64
  - .agpr_count:     0
    .args:
      - .offset:         0
        .size:           136
        .value_kind:     by_value
    .group_segment_fixed_size: 0
    .kernarg_segment_align: 8
    .kernarg_segment_size: 136
    .language:       OpenCL C
    .language_version:
      - 2
      - 0
    .max_flat_workgroup_size: 512
    .name:           _ZN7rocprim17ROCPRIM_400000_NS6detail17trampoline_kernelINS0_14default_configENS1_25partition_config_selectorILNS1_17partition_subalgoE8ElNS0_10empty_typeEbEEZZNS1_14partition_implILS5_8ELb0ES3_jPlPS6_PKS6_NS0_5tupleIJS9_S6_EEENSD_IJSA_SA_EEENS0_18inequality_wrapperIZN2at6native12_GLOBAL__N_124unique_dim_cuda_templateIfEESt5tupleIJNSH_6TensorESM_SM_EERKSM_lbbbEUlllE0_EEPmJS6_EEE10hipError_tPvRmT3_T4_T5_T6_T7_T9_mT8_P12ihipStream_tbDpT10_ENKUlT_T0_E_clISt17integral_constantIbLb0EES1B_IbLb1EEEEDaS17_S18_EUlS17_E_NS1_11comp_targetILNS1_3genE8ELNS1_11target_archE1030ELNS1_3gpuE2ELNS1_3repE0EEENS1_30default_config_static_selectorELNS0_4arch9wavefront6targetE1EEEvT1_
    .private_segment_fixed_size: 0
    .sgpr_count:     6
    .sgpr_spill_count: 0
    .symbol:         _ZN7rocprim17ROCPRIM_400000_NS6detail17trampoline_kernelINS0_14default_configENS1_25partition_config_selectorILNS1_17partition_subalgoE8ElNS0_10empty_typeEbEEZZNS1_14partition_implILS5_8ELb0ES3_jPlPS6_PKS6_NS0_5tupleIJS9_S6_EEENSD_IJSA_SA_EEENS0_18inequality_wrapperIZN2at6native12_GLOBAL__N_124unique_dim_cuda_templateIfEESt5tupleIJNSH_6TensorESM_SM_EERKSM_lbbbEUlllE0_EEPmJS6_EEE10hipError_tPvRmT3_T4_T5_T6_T7_T9_mT8_P12ihipStream_tbDpT10_ENKUlT_T0_E_clISt17integral_constantIbLb0EES1B_IbLb1EEEEDaS17_S18_EUlS17_E_NS1_11comp_targetILNS1_3genE8ELNS1_11target_archE1030ELNS1_3gpuE2ELNS1_3repE0EEENS1_30default_config_static_selectorELNS0_4arch9wavefront6targetE1EEEvT1_.kd
    .uniform_work_group_size: 1
    .uses_dynamic_stack: false
    .vgpr_count:     0
    .vgpr_spill_count: 0
    .wavefront_size: 64
  - .agpr_count:     0
    .args:
      - .offset:         0
        .size:           120
        .value_kind:     by_value
    .group_segment_fixed_size: 0
    .kernarg_segment_align: 8
    .kernarg_segment_size: 120
    .language:       OpenCL C
    .language_version:
      - 2
      - 0
    .max_flat_workgroup_size: 128
    .name:           _ZN7rocprim17ROCPRIM_400000_NS6detail17trampoline_kernelINS0_14default_configENS1_25partition_config_selectorILNS1_17partition_subalgoE9EllbEEZZNS1_14partition_implILS5_9ELb0ES3_jPlS8_PNS0_10empty_typeENS0_5tupleIJS8_S9_EEENSB_IJS8_SA_EEENS0_18inequality_wrapperIZN2at6native12_GLOBAL__N_124unique_dim_cuda_templateIfEESt5tupleIJNSF_6TensorESK_SK_EERKSK_lbbbEUlllE0_EEPmJS9_EEE10hipError_tPvRmT3_T4_T5_T6_T7_T9_mT8_P12ihipStream_tbDpT10_ENKUlT_T0_E_clISt17integral_constantIbLb0EES1A_EEDaS15_S16_EUlS15_E_NS1_11comp_targetILNS1_3genE0ELNS1_11target_archE4294967295ELNS1_3gpuE0ELNS1_3repE0EEENS1_30default_config_static_selectorELNS0_4arch9wavefront6targetE1EEEvT1_
    .private_segment_fixed_size: 0
    .sgpr_count:     6
    .sgpr_spill_count: 0
    .symbol:         _ZN7rocprim17ROCPRIM_400000_NS6detail17trampoline_kernelINS0_14default_configENS1_25partition_config_selectorILNS1_17partition_subalgoE9EllbEEZZNS1_14partition_implILS5_9ELb0ES3_jPlS8_PNS0_10empty_typeENS0_5tupleIJS8_S9_EEENSB_IJS8_SA_EEENS0_18inequality_wrapperIZN2at6native12_GLOBAL__N_124unique_dim_cuda_templateIfEESt5tupleIJNSF_6TensorESK_SK_EERKSK_lbbbEUlllE0_EEPmJS9_EEE10hipError_tPvRmT3_T4_T5_T6_T7_T9_mT8_P12ihipStream_tbDpT10_ENKUlT_T0_E_clISt17integral_constantIbLb0EES1A_EEDaS15_S16_EUlS15_E_NS1_11comp_targetILNS1_3genE0ELNS1_11target_archE4294967295ELNS1_3gpuE0ELNS1_3repE0EEENS1_30default_config_static_selectorELNS0_4arch9wavefront6targetE1EEEvT1_.kd
    .uniform_work_group_size: 1
    .uses_dynamic_stack: false
    .vgpr_count:     0
    .vgpr_spill_count: 0
    .wavefront_size: 64
  - .agpr_count:     0
    .args:
      - .offset:         0
        .size:           120
        .value_kind:     by_value
    .group_segment_fixed_size: 28684
    .kernarg_segment_align: 8
    .kernarg_segment_size: 120
    .language:       OpenCL C
    .language_version:
      - 2
      - 0
    .max_flat_workgroup_size: 512
    .name:           _ZN7rocprim17ROCPRIM_400000_NS6detail17trampoline_kernelINS0_14default_configENS1_25partition_config_selectorILNS1_17partition_subalgoE9EllbEEZZNS1_14partition_implILS5_9ELb0ES3_jPlS8_PNS0_10empty_typeENS0_5tupleIJS8_S9_EEENSB_IJS8_SA_EEENS0_18inequality_wrapperIZN2at6native12_GLOBAL__N_124unique_dim_cuda_templateIfEESt5tupleIJNSF_6TensorESK_SK_EERKSK_lbbbEUlllE0_EEPmJS9_EEE10hipError_tPvRmT3_T4_T5_T6_T7_T9_mT8_P12ihipStream_tbDpT10_ENKUlT_T0_E_clISt17integral_constantIbLb0EES1A_EEDaS15_S16_EUlS15_E_NS1_11comp_targetILNS1_3genE5ELNS1_11target_archE942ELNS1_3gpuE9ELNS1_3repE0EEENS1_30default_config_static_selectorELNS0_4arch9wavefront6targetE1EEEvT1_
    .private_segment_fixed_size: 0
    .sgpr_count:     58
    .sgpr_spill_count: 0
    .symbol:         _ZN7rocprim17ROCPRIM_400000_NS6detail17trampoline_kernelINS0_14default_configENS1_25partition_config_selectorILNS1_17partition_subalgoE9EllbEEZZNS1_14partition_implILS5_9ELb0ES3_jPlS8_PNS0_10empty_typeENS0_5tupleIJS8_S9_EEENSB_IJS8_SA_EEENS0_18inequality_wrapperIZN2at6native12_GLOBAL__N_124unique_dim_cuda_templateIfEESt5tupleIJNSF_6TensorESK_SK_EERKSK_lbbbEUlllE0_EEPmJS9_EEE10hipError_tPvRmT3_T4_T5_T6_T7_T9_mT8_P12ihipStream_tbDpT10_ENKUlT_T0_E_clISt17integral_constantIbLb0EES1A_EEDaS15_S16_EUlS15_E_NS1_11comp_targetILNS1_3genE5ELNS1_11target_archE942ELNS1_3gpuE9ELNS1_3repE0EEENS1_30default_config_static_selectorELNS0_4arch9wavefront6targetE1EEEvT1_.kd
    .uniform_work_group_size: 1
    .uses_dynamic_stack: false
    .vgpr_count:     66
    .vgpr_spill_count: 0
    .wavefront_size: 64
  - .agpr_count:     0
    .args:
      - .offset:         0
        .size:           120
        .value_kind:     by_value
    .group_segment_fixed_size: 0
    .kernarg_segment_align: 8
    .kernarg_segment_size: 120
    .language:       OpenCL C
    .language_version:
      - 2
      - 0
    .max_flat_workgroup_size: 128
    .name:           _ZN7rocprim17ROCPRIM_400000_NS6detail17trampoline_kernelINS0_14default_configENS1_25partition_config_selectorILNS1_17partition_subalgoE9EllbEEZZNS1_14partition_implILS5_9ELb0ES3_jPlS8_PNS0_10empty_typeENS0_5tupleIJS8_S9_EEENSB_IJS8_SA_EEENS0_18inequality_wrapperIZN2at6native12_GLOBAL__N_124unique_dim_cuda_templateIfEESt5tupleIJNSF_6TensorESK_SK_EERKSK_lbbbEUlllE0_EEPmJS9_EEE10hipError_tPvRmT3_T4_T5_T6_T7_T9_mT8_P12ihipStream_tbDpT10_ENKUlT_T0_E_clISt17integral_constantIbLb0EES1A_EEDaS15_S16_EUlS15_E_NS1_11comp_targetILNS1_3genE4ELNS1_11target_archE910ELNS1_3gpuE8ELNS1_3repE0EEENS1_30default_config_static_selectorELNS0_4arch9wavefront6targetE1EEEvT1_
    .private_segment_fixed_size: 0
    .sgpr_count:     6
    .sgpr_spill_count: 0
    .symbol:         _ZN7rocprim17ROCPRIM_400000_NS6detail17trampoline_kernelINS0_14default_configENS1_25partition_config_selectorILNS1_17partition_subalgoE9EllbEEZZNS1_14partition_implILS5_9ELb0ES3_jPlS8_PNS0_10empty_typeENS0_5tupleIJS8_S9_EEENSB_IJS8_SA_EEENS0_18inequality_wrapperIZN2at6native12_GLOBAL__N_124unique_dim_cuda_templateIfEESt5tupleIJNSF_6TensorESK_SK_EERKSK_lbbbEUlllE0_EEPmJS9_EEE10hipError_tPvRmT3_T4_T5_T6_T7_T9_mT8_P12ihipStream_tbDpT10_ENKUlT_T0_E_clISt17integral_constantIbLb0EES1A_EEDaS15_S16_EUlS15_E_NS1_11comp_targetILNS1_3genE4ELNS1_11target_archE910ELNS1_3gpuE8ELNS1_3repE0EEENS1_30default_config_static_selectorELNS0_4arch9wavefront6targetE1EEEvT1_.kd
    .uniform_work_group_size: 1
    .uses_dynamic_stack: false
    .vgpr_count:     0
    .vgpr_spill_count: 0
    .wavefront_size: 64
  - .agpr_count:     0
    .args:
      - .offset:         0
        .size:           120
        .value_kind:     by_value
    .group_segment_fixed_size: 0
    .kernarg_segment_align: 8
    .kernarg_segment_size: 120
    .language:       OpenCL C
    .language_version:
      - 2
      - 0
    .max_flat_workgroup_size: 128
    .name:           _ZN7rocprim17ROCPRIM_400000_NS6detail17trampoline_kernelINS0_14default_configENS1_25partition_config_selectorILNS1_17partition_subalgoE9EllbEEZZNS1_14partition_implILS5_9ELb0ES3_jPlS8_PNS0_10empty_typeENS0_5tupleIJS8_S9_EEENSB_IJS8_SA_EEENS0_18inequality_wrapperIZN2at6native12_GLOBAL__N_124unique_dim_cuda_templateIfEESt5tupleIJNSF_6TensorESK_SK_EERKSK_lbbbEUlllE0_EEPmJS9_EEE10hipError_tPvRmT3_T4_T5_T6_T7_T9_mT8_P12ihipStream_tbDpT10_ENKUlT_T0_E_clISt17integral_constantIbLb0EES1A_EEDaS15_S16_EUlS15_E_NS1_11comp_targetILNS1_3genE3ELNS1_11target_archE908ELNS1_3gpuE7ELNS1_3repE0EEENS1_30default_config_static_selectorELNS0_4arch9wavefront6targetE1EEEvT1_
    .private_segment_fixed_size: 0
    .sgpr_count:     6
    .sgpr_spill_count: 0
    .symbol:         _ZN7rocprim17ROCPRIM_400000_NS6detail17trampoline_kernelINS0_14default_configENS1_25partition_config_selectorILNS1_17partition_subalgoE9EllbEEZZNS1_14partition_implILS5_9ELb0ES3_jPlS8_PNS0_10empty_typeENS0_5tupleIJS8_S9_EEENSB_IJS8_SA_EEENS0_18inequality_wrapperIZN2at6native12_GLOBAL__N_124unique_dim_cuda_templateIfEESt5tupleIJNSF_6TensorESK_SK_EERKSK_lbbbEUlllE0_EEPmJS9_EEE10hipError_tPvRmT3_T4_T5_T6_T7_T9_mT8_P12ihipStream_tbDpT10_ENKUlT_T0_E_clISt17integral_constantIbLb0EES1A_EEDaS15_S16_EUlS15_E_NS1_11comp_targetILNS1_3genE3ELNS1_11target_archE908ELNS1_3gpuE7ELNS1_3repE0EEENS1_30default_config_static_selectorELNS0_4arch9wavefront6targetE1EEEvT1_.kd
    .uniform_work_group_size: 1
    .uses_dynamic_stack: false
    .vgpr_count:     0
    .vgpr_spill_count: 0
    .wavefront_size: 64
  - .agpr_count:     0
    .args:
      - .offset:         0
        .size:           120
        .value_kind:     by_value
    .group_segment_fixed_size: 0
    .kernarg_segment_align: 8
    .kernarg_segment_size: 120
    .language:       OpenCL C
    .language_version:
      - 2
      - 0
    .max_flat_workgroup_size: 192
    .name:           _ZN7rocprim17ROCPRIM_400000_NS6detail17trampoline_kernelINS0_14default_configENS1_25partition_config_selectorILNS1_17partition_subalgoE9EllbEEZZNS1_14partition_implILS5_9ELb0ES3_jPlS8_PNS0_10empty_typeENS0_5tupleIJS8_S9_EEENSB_IJS8_SA_EEENS0_18inequality_wrapperIZN2at6native12_GLOBAL__N_124unique_dim_cuda_templateIfEESt5tupleIJNSF_6TensorESK_SK_EERKSK_lbbbEUlllE0_EEPmJS9_EEE10hipError_tPvRmT3_T4_T5_T6_T7_T9_mT8_P12ihipStream_tbDpT10_ENKUlT_T0_E_clISt17integral_constantIbLb0EES1A_EEDaS15_S16_EUlS15_E_NS1_11comp_targetILNS1_3genE2ELNS1_11target_archE906ELNS1_3gpuE6ELNS1_3repE0EEENS1_30default_config_static_selectorELNS0_4arch9wavefront6targetE1EEEvT1_
    .private_segment_fixed_size: 0
    .sgpr_count:     6
    .sgpr_spill_count: 0
    .symbol:         _ZN7rocprim17ROCPRIM_400000_NS6detail17trampoline_kernelINS0_14default_configENS1_25partition_config_selectorILNS1_17partition_subalgoE9EllbEEZZNS1_14partition_implILS5_9ELb0ES3_jPlS8_PNS0_10empty_typeENS0_5tupleIJS8_S9_EEENSB_IJS8_SA_EEENS0_18inequality_wrapperIZN2at6native12_GLOBAL__N_124unique_dim_cuda_templateIfEESt5tupleIJNSF_6TensorESK_SK_EERKSK_lbbbEUlllE0_EEPmJS9_EEE10hipError_tPvRmT3_T4_T5_T6_T7_T9_mT8_P12ihipStream_tbDpT10_ENKUlT_T0_E_clISt17integral_constantIbLb0EES1A_EEDaS15_S16_EUlS15_E_NS1_11comp_targetILNS1_3genE2ELNS1_11target_archE906ELNS1_3gpuE6ELNS1_3repE0EEENS1_30default_config_static_selectorELNS0_4arch9wavefront6targetE1EEEvT1_.kd
    .uniform_work_group_size: 1
    .uses_dynamic_stack: false
    .vgpr_count:     0
    .vgpr_spill_count: 0
    .wavefront_size: 64
  - .agpr_count:     0
    .args:
      - .offset:         0
        .size:           120
        .value_kind:     by_value
    .group_segment_fixed_size: 0
    .kernarg_segment_align: 8
    .kernarg_segment_size: 120
    .language:       OpenCL C
    .language_version:
      - 2
      - 0
    .max_flat_workgroup_size: 384
    .name:           _ZN7rocprim17ROCPRIM_400000_NS6detail17trampoline_kernelINS0_14default_configENS1_25partition_config_selectorILNS1_17partition_subalgoE9EllbEEZZNS1_14partition_implILS5_9ELb0ES3_jPlS8_PNS0_10empty_typeENS0_5tupleIJS8_S9_EEENSB_IJS8_SA_EEENS0_18inequality_wrapperIZN2at6native12_GLOBAL__N_124unique_dim_cuda_templateIfEESt5tupleIJNSF_6TensorESK_SK_EERKSK_lbbbEUlllE0_EEPmJS9_EEE10hipError_tPvRmT3_T4_T5_T6_T7_T9_mT8_P12ihipStream_tbDpT10_ENKUlT_T0_E_clISt17integral_constantIbLb0EES1A_EEDaS15_S16_EUlS15_E_NS1_11comp_targetILNS1_3genE10ELNS1_11target_archE1200ELNS1_3gpuE4ELNS1_3repE0EEENS1_30default_config_static_selectorELNS0_4arch9wavefront6targetE1EEEvT1_
    .private_segment_fixed_size: 0
    .sgpr_count:     6
    .sgpr_spill_count: 0
    .symbol:         _ZN7rocprim17ROCPRIM_400000_NS6detail17trampoline_kernelINS0_14default_configENS1_25partition_config_selectorILNS1_17partition_subalgoE9EllbEEZZNS1_14partition_implILS5_9ELb0ES3_jPlS8_PNS0_10empty_typeENS0_5tupleIJS8_S9_EEENSB_IJS8_SA_EEENS0_18inequality_wrapperIZN2at6native12_GLOBAL__N_124unique_dim_cuda_templateIfEESt5tupleIJNSF_6TensorESK_SK_EERKSK_lbbbEUlllE0_EEPmJS9_EEE10hipError_tPvRmT3_T4_T5_T6_T7_T9_mT8_P12ihipStream_tbDpT10_ENKUlT_T0_E_clISt17integral_constantIbLb0EES1A_EEDaS15_S16_EUlS15_E_NS1_11comp_targetILNS1_3genE10ELNS1_11target_archE1200ELNS1_3gpuE4ELNS1_3repE0EEENS1_30default_config_static_selectorELNS0_4arch9wavefront6targetE1EEEvT1_.kd
    .uniform_work_group_size: 1
    .uses_dynamic_stack: false
    .vgpr_count:     0
    .vgpr_spill_count: 0
    .wavefront_size: 64
  - .agpr_count:     0
    .args:
      - .offset:         0
        .size:           120
        .value_kind:     by_value
    .group_segment_fixed_size: 0
    .kernarg_segment_align: 8
    .kernarg_segment_size: 120
    .language:       OpenCL C
    .language_version:
      - 2
      - 0
    .max_flat_workgroup_size: 512
    .name:           _ZN7rocprim17ROCPRIM_400000_NS6detail17trampoline_kernelINS0_14default_configENS1_25partition_config_selectorILNS1_17partition_subalgoE9EllbEEZZNS1_14partition_implILS5_9ELb0ES3_jPlS8_PNS0_10empty_typeENS0_5tupleIJS8_S9_EEENSB_IJS8_SA_EEENS0_18inequality_wrapperIZN2at6native12_GLOBAL__N_124unique_dim_cuda_templateIfEESt5tupleIJNSF_6TensorESK_SK_EERKSK_lbbbEUlllE0_EEPmJS9_EEE10hipError_tPvRmT3_T4_T5_T6_T7_T9_mT8_P12ihipStream_tbDpT10_ENKUlT_T0_E_clISt17integral_constantIbLb0EES1A_EEDaS15_S16_EUlS15_E_NS1_11comp_targetILNS1_3genE9ELNS1_11target_archE1100ELNS1_3gpuE3ELNS1_3repE0EEENS1_30default_config_static_selectorELNS0_4arch9wavefront6targetE1EEEvT1_
    .private_segment_fixed_size: 0
    .sgpr_count:     6
    .sgpr_spill_count: 0
    .symbol:         _ZN7rocprim17ROCPRIM_400000_NS6detail17trampoline_kernelINS0_14default_configENS1_25partition_config_selectorILNS1_17partition_subalgoE9EllbEEZZNS1_14partition_implILS5_9ELb0ES3_jPlS8_PNS0_10empty_typeENS0_5tupleIJS8_S9_EEENSB_IJS8_SA_EEENS0_18inequality_wrapperIZN2at6native12_GLOBAL__N_124unique_dim_cuda_templateIfEESt5tupleIJNSF_6TensorESK_SK_EERKSK_lbbbEUlllE0_EEPmJS9_EEE10hipError_tPvRmT3_T4_T5_T6_T7_T9_mT8_P12ihipStream_tbDpT10_ENKUlT_T0_E_clISt17integral_constantIbLb0EES1A_EEDaS15_S16_EUlS15_E_NS1_11comp_targetILNS1_3genE9ELNS1_11target_archE1100ELNS1_3gpuE3ELNS1_3repE0EEENS1_30default_config_static_selectorELNS0_4arch9wavefront6targetE1EEEvT1_.kd
    .uniform_work_group_size: 1
    .uses_dynamic_stack: false
    .vgpr_count:     0
    .vgpr_spill_count: 0
    .wavefront_size: 64
  - .agpr_count:     0
    .args:
      - .offset:         0
        .size:           120
        .value_kind:     by_value
    .group_segment_fixed_size: 0
    .kernarg_segment_align: 8
    .kernarg_segment_size: 120
    .language:       OpenCL C
    .language_version:
      - 2
      - 0
    .max_flat_workgroup_size: 512
    .name:           _ZN7rocprim17ROCPRIM_400000_NS6detail17trampoline_kernelINS0_14default_configENS1_25partition_config_selectorILNS1_17partition_subalgoE9EllbEEZZNS1_14partition_implILS5_9ELb0ES3_jPlS8_PNS0_10empty_typeENS0_5tupleIJS8_S9_EEENSB_IJS8_SA_EEENS0_18inequality_wrapperIZN2at6native12_GLOBAL__N_124unique_dim_cuda_templateIfEESt5tupleIJNSF_6TensorESK_SK_EERKSK_lbbbEUlllE0_EEPmJS9_EEE10hipError_tPvRmT3_T4_T5_T6_T7_T9_mT8_P12ihipStream_tbDpT10_ENKUlT_T0_E_clISt17integral_constantIbLb0EES1A_EEDaS15_S16_EUlS15_E_NS1_11comp_targetILNS1_3genE8ELNS1_11target_archE1030ELNS1_3gpuE2ELNS1_3repE0EEENS1_30default_config_static_selectorELNS0_4arch9wavefront6targetE1EEEvT1_
    .private_segment_fixed_size: 0
    .sgpr_count:     6
    .sgpr_spill_count: 0
    .symbol:         _ZN7rocprim17ROCPRIM_400000_NS6detail17trampoline_kernelINS0_14default_configENS1_25partition_config_selectorILNS1_17partition_subalgoE9EllbEEZZNS1_14partition_implILS5_9ELb0ES3_jPlS8_PNS0_10empty_typeENS0_5tupleIJS8_S9_EEENSB_IJS8_SA_EEENS0_18inequality_wrapperIZN2at6native12_GLOBAL__N_124unique_dim_cuda_templateIfEESt5tupleIJNSF_6TensorESK_SK_EERKSK_lbbbEUlllE0_EEPmJS9_EEE10hipError_tPvRmT3_T4_T5_T6_T7_T9_mT8_P12ihipStream_tbDpT10_ENKUlT_T0_E_clISt17integral_constantIbLb0EES1A_EEDaS15_S16_EUlS15_E_NS1_11comp_targetILNS1_3genE8ELNS1_11target_archE1030ELNS1_3gpuE2ELNS1_3repE0EEENS1_30default_config_static_selectorELNS0_4arch9wavefront6targetE1EEEvT1_.kd
    .uniform_work_group_size: 1
    .uses_dynamic_stack: false
    .vgpr_count:     0
    .vgpr_spill_count: 0
    .wavefront_size: 64
  - .agpr_count:     0
    .args:
      - .offset:         0
        .size:           136
        .value_kind:     by_value
    .group_segment_fixed_size: 0
    .kernarg_segment_align: 8
    .kernarg_segment_size: 136
    .language:       OpenCL C
    .language_version:
      - 2
      - 0
    .max_flat_workgroup_size: 128
    .name:           _ZN7rocprim17ROCPRIM_400000_NS6detail17trampoline_kernelINS0_14default_configENS1_25partition_config_selectorILNS1_17partition_subalgoE9EllbEEZZNS1_14partition_implILS5_9ELb0ES3_jPlS8_PNS0_10empty_typeENS0_5tupleIJS8_S9_EEENSB_IJS8_SA_EEENS0_18inequality_wrapperIZN2at6native12_GLOBAL__N_124unique_dim_cuda_templateIfEESt5tupleIJNSF_6TensorESK_SK_EERKSK_lbbbEUlllE0_EEPmJS9_EEE10hipError_tPvRmT3_T4_T5_T6_T7_T9_mT8_P12ihipStream_tbDpT10_ENKUlT_T0_E_clISt17integral_constantIbLb1EES1A_EEDaS15_S16_EUlS15_E_NS1_11comp_targetILNS1_3genE0ELNS1_11target_archE4294967295ELNS1_3gpuE0ELNS1_3repE0EEENS1_30default_config_static_selectorELNS0_4arch9wavefront6targetE1EEEvT1_
    .private_segment_fixed_size: 0
    .sgpr_count:     6
    .sgpr_spill_count: 0
    .symbol:         _ZN7rocprim17ROCPRIM_400000_NS6detail17trampoline_kernelINS0_14default_configENS1_25partition_config_selectorILNS1_17partition_subalgoE9EllbEEZZNS1_14partition_implILS5_9ELb0ES3_jPlS8_PNS0_10empty_typeENS0_5tupleIJS8_S9_EEENSB_IJS8_SA_EEENS0_18inequality_wrapperIZN2at6native12_GLOBAL__N_124unique_dim_cuda_templateIfEESt5tupleIJNSF_6TensorESK_SK_EERKSK_lbbbEUlllE0_EEPmJS9_EEE10hipError_tPvRmT3_T4_T5_T6_T7_T9_mT8_P12ihipStream_tbDpT10_ENKUlT_T0_E_clISt17integral_constantIbLb1EES1A_EEDaS15_S16_EUlS15_E_NS1_11comp_targetILNS1_3genE0ELNS1_11target_archE4294967295ELNS1_3gpuE0ELNS1_3repE0EEENS1_30default_config_static_selectorELNS0_4arch9wavefront6targetE1EEEvT1_.kd
    .uniform_work_group_size: 1
    .uses_dynamic_stack: false
    .vgpr_count:     0
    .vgpr_spill_count: 0
    .wavefront_size: 64
  - .agpr_count:     0
    .args:
      - .offset:         0
        .size:           136
        .value_kind:     by_value
    .group_segment_fixed_size: 28684
    .kernarg_segment_align: 8
    .kernarg_segment_size: 136
    .language:       OpenCL C
    .language_version:
      - 2
      - 0
    .max_flat_workgroup_size: 512
    .name:           _ZN7rocprim17ROCPRIM_400000_NS6detail17trampoline_kernelINS0_14default_configENS1_25partition_config_selectorILNS1_17partition_subalgoE9EllbEEZZNS1_14partition_implILS5_9ELb0ES3_jPlS8_PNS0_10empty_typeENS0_5tupleIJS8_S9_EEENSB_IJS8_SA_EEENS0_18inequality_wrapperIZN2at6native12_GLOBAL__N_124unique_dim_cuda_templateIfEESt5tupleIJNSF_6TensorESK_SK_EERKSK_lbbbEUlllE0_EEPmJS9_EEE10hipError_tPvRmT3_T4_T5_T6_T7_T9_mT8_P12ihipStream_tbDpT10_ENKUlT_T0_E_clISt17integral_constantIbLb1EES1A_EEDaS15_S16_EUlS15_E_NS1_11comp_targetILNS1_3genE5ELNS1_11target_archE942ELNS1_3gpuE9ELNS1_3repE0EEENS1_30default_config_static_selectorELNS0_4arch9wavefront6targetE1EEEvT1_
    .private_segment_fixed_size: 0
    .sgpr_count:     64
    .sgpr_spill_count: 0
    .symbol:         _ZN7rocprim17ROCPRIM_400000_NS6detail17trampoline_kernelINS0_14default_configENS1_25partition_config_selectorILNS1_17partition_subalgoE9EllbEEZZNS1_14partition_implILS5_9ELb0ES3_jPlS8_PNS0_10empty_typeENS0_5tupleIJS8_S9_EEENSB_IJS8_SA_EEENS0_18inequality_wrapperIZN2at6native12_GLOBAL__N_124unique_dim_cuda_templateIfEESt5tupleIJNSF_6TensorESK_SK_EERKSK_lbbbEUlllE0_EEPmJS9_EEE10hipError_tPvRmT3_T4_T5_T6_T7_T9_mT8_P12ihipStream_tbDpT10_ENKUlT_T0_E_clISt17integral_constantIbLb1EES1A_EEDaS15_S16_EUlS15_E_NS1_11comp_targetILNS1_3genE5ELNS1_11target_archE942ELNS1_3gpuE9ELNS1_3repE0EEENS1_30default_config_static_selectorELNS0_4arch9wavefront6targetE1EEEvT1_.kd
    .uniform_work_group_size: 1
    .uses_dynamic_stack: false
    .vgpr_count:     66
    .vgpr_spill_count: 0
    .wavefront_size: 64
  - .agpr_count:     0
    .args:
      - .offset:         0
        .size:           136
        .value_kind:     by_value
    .group_segment_fixed_size: 0
    .kernarg_segment_align: 8
    .kernarg_segment_size: 136
    .language:       OpenCL C
    .language_version:
      - 2
      - 0
    .max_flat_workgroup_size: 128
    .name:           _ZN7rocprim17ROCPRIM_400000_NS6detail17trampoline_kernelINS0_14default_configENS1_25partition_config_selectorILNS1_17partition_subalgoE9EllbEEZZNS1_14partition_implILS5_9ELb0ES3_jPlS8_PNS0_10empty_typeENS0_5tupleIJS8_S9_EEENSB_IJS8_SA_EEENS0_18inequality_wrapperIZN2at6native12_GLOBAL__N_124unique_dim_cuda_templateIfEESt5tupleIJNSF_6TensorESK_SK_EERKSK_lbbbEUlllE0_EEPmJS9_EEE10hipError_tPvRmT3_T4_T5_T6_T7_T9_mT8_P12ihipStream_tbDpT10_ENKUlT_T0_E_clISt17integral_constantIbLb1EES1A_EEDaS15_S16_EUlS15_E_NS1_11comp_targetILNS1_3genE4ELNS1_11target_archE910ELNS1_3gpuE8ELNS1_3repE0EEENS1_30default_config_static_selectorELNS0_4arch9wavefront6targetE1EEEvT1_
    .private_segment_fixed_size: 0
    .sgpr_count:     6
    .sgpr_spill_count: 0
    .symbol:         _ZN7rocprim17ROCPRIM_400000_NS6detail17trampoline_kernelINS0_14default_configENS1_25partition_config_selectorILNS1_17partition_subalgoE9EllbEEZZNS1_14partition_implILS5_9ELb0ES3_jPlS8_PNS0_10empty_typeENS0_5tupleIJS8_S9_EEENSB_IJS8_SA_EEENS0_18inequality_wrapperIZN2at6native12_GLOBAL__N_124unique_dim_cuda_templateIfEESt5tupleIJNSF_6TensorESK_SK_EERKSK_lbbbEUlllE0_EEPmJS9_EEE10hipError_tPvRmT3_T4_T5_T6_T7_T9_mT8_P12ihipStream_tbDpT10_ENKUlT_T0_E_clISt17integral_constantIbLb1EES1A_EEDaS15_S16_EUlS15_E_NS1_11comp_targetILNS1_3genE4ELNS1_11target_archE910ELNS1_3gpuE8ELNS1_3repE0EEENS1_30default_config_static_selectorELNS0_4arch9wavefront6targetE1EEEvT1_.kd
    .uniform_work_group_size: 1
    .uses_dynamic_stack: false
    .vgpr_count:     0
    .vgpr_spill_count: 0
    .wavefront_size: 64
  - .agpr_count:     0
    .args:
      - .offset:         0
        .size:           136
        .value_kind:     by_value
    .group_segment_fixed_size: 0
    .kernarg_segment_align: 8
    .kernarg_segment_size: 136
    .language:       OpenCL C
    .language_version:
      - 2
      - 0
    .max_flat_workgroup_size: 128
    .name:           _ZN7rocprim17ROCPRIM_400000_NS6detail17trampoline_kernelINS0_14default_configENS1_25partition_config_selectorILNS1_17partition_subalgoE9EllbEEZZNS1_14partition_implILS5_9ELb0ES3_jPlS8_PNS0_10empty_typeENS0_5tupleIJS8_S9_EEENSB_IJS8_SA_EEENS0_18inequality_wrapperIZN2at6native12_GLOBAL__N_124unique_dim_cuda_templateIfEESt5tupleIJNSF_6TensorESK_SK_EERKSK_lbbbEUlllE0_EEPmJS9_EEE10hipError_tPvRmT3_T4_T5_T6_T7_T9_mT8_P12ihipStream_tbDpT10_ENKUlT_T0_E_clISt17integral_constantIbLb1EES1A_EEDaS15_S16_EUlS15_E_NS1_11comp_targetILNS1_3genE3ELNS1_11target_archE908ELNS1_3gpuE7ELNS1_3repE0EEENS1_30default_config_static_selectorELNS0_4arch9wavefront6targetE1EEEvT1_
    .private_segment_fixed_size: 0
    .sgpr_count:     6
    .sgpr_spill_count: 0
    .symbol:         _ZN7rocprim17ROCPRIM_400000_NS6detail17trampoline_kernelINS0_14default_configENS1_25partition_config_selectorILNS1_17partition_subalgoE9EllbEEZZNS1_14partition_implILS5_9ELb0ES3_jPlS8_PNS0_10empty_typeENS0_5tupleIJS8_S9_EEENSB_IJS8_SA_EEENS0_18inequality_wrapperIZN2at6native12_GLOBAL__N_124unique_dim_cuda_templateIfEESt5tupleIJNSF_6TensorESK_SK_EERKSK_lbbbEUlllE0_EEPmJS9_EEE10hipError_tPvRmT3_T4_T5_T6_T7_T9_mT8_P12ihipStream_tbDpT10_ENKUlT_T0_E_clISt17integral_constantIbLb1EES1A_EEDaS15_S16_EUlS15_E_NS1_11comp_targetILNS1_3genE3ELNS1_11target_archE908ELNS1_3gpuE7ELNS1_3repE0EEENS1_30default_config_static_selectorELNS0_4arch9wavefront6targetE1EEEvT1_.kd
    .uniform_work_group_size: 1
    .uses_dynamic_stack: false
    .vgpr_count:     0
    .vgpr_spill_count: 0
    .wavefront_size: 64
  - .agpr_count:     0
    .args:
      - .offset:         0
        .size:           136
        .value_kind:     by_value
    .group_segment_fixed_size: 0
    .kernarg_segment_align: 8
    .kernarg_segment_size: 136
    .language:       OpenCL C
    .language_version:
      - 2
      - 0
    .max_flat_workgroup_size: 192
    .name:           _ZN7rocprim17ROCPRIM_400000_NS6detail17trampoline_kernelINS0_14default_configENS1_25partition_config_selectorILNS1_17partition_subalgoE9EllbEEZZNS1_14partition_implILS5_9ELb0ES3_jPlS8_PNS0_10empty_typeENS0_5tupleIJS8_S9_EEENSB_IJS8_SA_EEENS0_18inequality_wrapperIZN2at6native12_GLOBAL__N_124unique_dim_cuda_templateIfEESt5tupleIJNSF_6TensorESK_SK_EERKSK_lbbbEUlllE0_EEPmJS9_EEE10hipError_tPvRmT3_T4_T5_T6_T7_T9_mT8_P12ihipStream_tbDpT10_ENKUlT_T0_E_clISt17integral_constantIbLb1EES1A_EEDaS15_S16_EUlS15_E_NS1_11comp_targetILNS1_3genE2ELNS1_11target_archE906ELNS1_3gpuE6ELNS1_3repE0EEENS1_30default_config_static_selectorELNS0_4arch9wavefront6targetE1EEEvT1_
    .private_segment_fixed_size: 0
    .sgpr_count:     6
    .sgpr_spill_count: 0
    .symbol:         _ZN7rocprim17ROCPRIM_400000_NS6detail17trampoline_kernelINS0_14default_configENS1_25partition_config_selectorILNS1_17partition_subalgoE9EllbEEZZNS1_14partition_implILS5_9ELb0ES3_jPlS8_PNS0_10empty_typeENS0_5tupleIJS8_S9_EEENSB_IJS8_SA_EEENS0_18inequality_wrapperIZN2at6native12_GLOBAL__N_124unique_dim_cuda_templateIfEESt5tupleIJNSF_6TensorESK_SK_EERKSK_lbbbEUlllE0_EEPmJS9_EEE10hipError_tPvRmT3_T4_T5_T6_T7_T9_mT8_P12ihipStream_tbDpT10_ENKUlT_T0_E_clISt17integral_constantIbLb1EES1A_EEDaS15_S16_EUlS15_E_NS1_11comp_targetILNS1_3genE2ELNS1_11target_archE906ELNS1_3gpuE6ELNS1_3repE0EEENS1_30default_config_static_selectorELNS0_4arch9wavefront6targetE1EEEvT1_.kd
    .uniform_work_group_size: 1
    .uses_dynamic_stack: false
    .vgpr_count:     0
    .vgpr_spill_count: 0
    .wavefront_size: 64
  - .agpr_count:     0
    .args:
      - .offset:         0
        .size:           136
        .value_kind:     by_value
    .group_segment_fixed_size: 0
    .kernarg_segment_align: 8
    .kernarg_segment_size: 136
    .language:       OpenCL C
    .language_version:
      - 2
      - 0
    .max_flat_workgroup_size: 384
    .name:           _ZN7rocprim17ROCPRIM_400000_NS6detail17trampoline_kernelINS0_14default_configENS1_25partition_config_selectorILNS1_17partition_subalgoE9EllbEEZZNS1_14partition_implILS5_9ELb0ES3_jPlS8_PNS0_10empty_typeENS0_5tupleIJS8_S9_EEENSB_IJS8_SA_EEENS0_18inequality_wrapperIZN2at6native12_GLOBAL__N_124unique_dim_cuda_templateIfEESt5tupleIJNSF_6TensorESK_SK_EERKSK_lbbbEUlllE0_EEPmJS9_EEE10hipError_tPvRmT3_T4_T5_T6_T7_T9_mT8_P12ihipStream_tbDpT10_ENKUlT_T0_E_clISt17integral_constantIbLb1EES1A_EEDaS15_S16_EUlS15_E_NS1_11comp_targetILNS1_3genE10ELNS1_11target_archE1200ELNS1_3gpuE4ELNS1_3repE0EEENS1_30default_config_static_selectorELNS0_4arch9wavefront6targetE1EEEvT1_
    .private_segment_fixed_size: 0
    .sgpr_count:     6
    .sgpr_spill_count: 0
    .symbol:         _ZN7rocprim17ROCPRIM_400000_NS6detail17trampoline_kernelINS0_14default_configENS1_25partition_config_selectorILNS1_17partition_subalgoE9EllbEEZZNS1_14partition_implILS5_9ELb0ES3_jPlS8_PNS0_10empty_typeENS0_5tupleIJS8_S9_EEENSB_IJS8_SA_EEENS0_18inequality_wrapperIZN2at6native12_GLOBAL__N_124unique_dim_cuda_templateIfEESt5tupleIJNSF_6TensorESK_SK_EERKSK_lbbbEUlllE0_EEPmJS9_EEE10hipError_tPvRmT3_T4_T5_T6_T7_T9_mT8_P12ihipStream_tbDpT10_ENKUlT_T0_E_clISt17integral_constantIbLb1EES1A_EEDaS15_S16_EUlS15_E_NS1_11comp_targetILNS1_3genE10ELNS1_11target_archE1200ELNS1_3gpuE4ELNS1_3repE0EEENS1_30default_config_static_selectorELNS0_4arch9wavefront6targetE1EEEvT1_.kd
    .uniform_work_group_size: 1
    .uses_dynamic_stack: false
    .vgpr_count:     0
    .vgpr_spill_count: 0
    .wavefront_size: 64
  - .agpr_count:     0
    .args:
      - .offset:         0
        .size:           136
        .value_kind:     by_value
    .group_segment_fixed_size: 0
    .kernarg_segment_align: 8
    .kernarg_segment_size: 136
    .language:       OpenCL C
    .language_version:
      - 2
      - 0
    .max_flat_workgroup_size: 512
    .name:           _ZN7rocprim17ROCPRIM_400000_NS6detail17trampoline_kernelINS0_14default_configENS1_25partition_config_selectorILNS1_17partition_subalgoE9EllbEEZZNS1_14partition_implILS5_9ELb0ES3_jPlS8_PNS0_10empty_typeENS0_5tupleIJS8_S9_EEENSB_IJS8_SA_EEENS0_18inequality_wrapperIZN2at6native12_GLOBAL__N_124unique_dim_cuda_templateIfEESt5tupleIJNSF_6TensorESK_SK_EERKSK_lbbbEUlllE0_EEPmJS9_EEE10hipError_tPvRmT3_T4_T5_T6_T7_T9_mT8_P12ihipStream_tbDpT10_ENKUlT_T0_E_clISt17integral_constantIbLb1EES1A_EEDaS15_S16_EUlS15_E_NS1_11comp_targetILNS1_3genE9ELNS1_11target_archE1100ELNS1_3gpuE3ELNS1_3repE0EEENS1_30default_config_static_selectorELNS0_4arch9wavefront6targetE1EEEvT1_
    .private_segment_fixed_size: 0
    .sgpr_count:     6
    .sgpr_spill_count: 0
    .symbol:         _ZN7rocprim17ROCPRIM_400000_NS6detail17trampoline_kernelINS0_14default_configENS1_25partition_config_selectorILNS1_17partition_subalgoE9EllbEEZZNS1_14partition_implILS5_9ELb0ES3_jPlS8_PNS0_10empty_typeENS0_5tupleIJS8_S9_EEENSB_IJS8_SA_EEENS0_18inequality_wrapperIZN2at6native12_GLOBAL__N_124unique_dim_cuda_templateIfEESt5tupleIJNSF_6TensorESK_SK_EERKSK_lbbbEUlllE0_EEPmJS9_EEE10hipError_tPvRmT3_T4_T5_T6_T7_T9_mT8_P12ihipStream_tbDpT10_ENKUlT_T0_E_clISt17integral_constantIbLb1EES1A_EEDaS15_S16_EUlS15_E_NS1_11comp_targetILNS1_3genE9ELNS1_11target_archE1100ELNS1_3gpuE3ELNS1_3repE0EEENS1_30default_config_static_selectorELNS0_4arch9wavefront6targetE1EEEvT1_.kd
    .uniform_work_group_size: 1
    .uses_dynamic_stack: false
    .vgpr_count:     0
    .vgpr_spill_count: 0
    .wavefront_size: 64
  - .agpr_count:     0
    .args:
      - .offset:         0
        .size:           136
        .value_kind:     by_value
    .group_segment_fixed_size: 0
    .kernarg_segment_align: 8
    .kernarg_segment_size: 136
    .language:       OpenCL C
    .language_version:
      - 2
      - 0
    .max_flat_workgroup_size: 512
    .name:           _ZN7rocprim17ROCPRIM_400000_NS6detail17trampoline_kernelINS0_14default_configENS1_25partition_config_selectorILNS1_17partition_subalgoE9EllbEEZZNS1_14partition_implILS5_9ELb0ES3_jPlS8_PNS0_10empty_typeENS0_5tupleIJS8_S9_EEENSB_IJS8_SA_EEENS0_18inequality_wrapperIZN2at6native12_GLOBAL__N_124unique_dim_cuda_templateIfEESt5tupleIJNSF_6TensorESK_SK_EERKSK_lbbbEUlllE0_EEPmJS9_EEE10hipError_tPvRmT3_T4_T5_T6_T7_T9_mT8_P12ihipStream_tbDpT10_ENKUlT_T0_E_clISt17integral_constantIbLb1EES1A_EEDaS15_S16_EUlS15_E_NS1_11comp_targetILNS1_3genE8ELNS1_11target_archE1030ELNS1_3gpuE2ELNS1_3repE0EEENS1_30default_config_static_selectorELNS0_4arch9wavefront6targetE1EEEvT1_
    .private_segment_fixed_size: 0
    .sgpr_count:     6
    .sgpr_spill_count: 0
    .symbol:         _ZN7rocprim17ROCPRIM_400000_NS6detail17trampoline_kernelINS0_14default_configENS1_25partition_config_selectorILNS1_17partition_subalgoE9EllbEEZZNS1_14partition_implILS5_9ELb0ES3_jPlS8_PNS0_10empty_typeENS0_5tupleIJS8_S9_EEENSB_IJS8_SA_EEENS0_18inequality_wrapperIZN2at6native12_GLOBAL__N_124unique_dim_cuda_templateIfEESt5tupleIJNSF_6TensorESK_SK_EERKSK_lbbbEUlllE0_EEPmJS9_EEE10hipError_tPvRmT3_T4_T5_T6_T7_T9_mT8_P12ihipStream_tbDpT10_ENKUlT_T0_E_clISt17integral_constantIbLb1EES1A_EEDaS15_S16_EUlS15_E_NS1_11comp_targetILNS1_3genE8ELNS1_11target_archE1030ELNS1_3gpuE2ELNS1_3repE0EEENS1_30default_config_static_selectorELNS0_4arch9wavefront6targetE1EEEvT1_.kd
    .uniform_work_group_size: 1
    .uses_dynamic_stack: false
    .vgpr_count:     0
    .vgpr_spill_count: 0
    .wavefront_size: 64
  - .agpr_count:     0
    .args:
      - .offset:         0
        .size:           120
        .value_kind:     by_value
    .group_segment_fixed_size: 0
    .kernarg_segment_align: 8
    .kernarg_segment_size: 120
    .language:       OpenCL C
    .language_version:
      - 2
      - 0
    .max_flat_workgroup_size: 128
    .name:           _ZN7rocprim17ROCPRIM_400000_NS6detail17trampoline_kernelINS0_14default_configENS1_25partition_config_selectorILNS1_17partition_subalgoE9EllbEEZZNS1_14partition_implILS5_9ELb0ES3_jPlS8_PNS0_10empty_typeENS0_5tupleIJS8_S9_EEENSB_IJS8_SA_EEENS0_18inequality_wrapperIZN2at6native12_GLOBAL__N_124unique_dim_cuda_templateIfEESt5tupleIJNSF_6TensorESK_SK_EERKSK_lbbbEUlllE0_EEPmJS9_EEE10hipError_tPvRmT3_T4_T5_T6_T7_T9_mT8_P12ihipStream_tbDpT10_ENKUlT_T0_E_clISt17integral_constantIbLb1EES19_IbLb0EEEEDaS15_S16_EUlS15_E_NS1_11comp_targetILNS1_3genE0ELNS1_11target_archE4294967295ELNS1_3gpuE0ELNS1_3repE0EEENS1_30default_config_static_selectorELNS0_4arch9wavefront6targetE1EEEvT1_
    .private_segment_fixed_size: 0
    .sgpr_count:     6
    .sgpr_spill_count: 0
    .symbol:         _ZN7rocprim17ROCPRIM_400000_NS6detail17trampoline_kernelINS0_14default_configENS1_25partition_config_selectorILNS1_17partition_subalgoE9EllbEEZZNS1_14partition_implILS5_9ELb0ES3_jPlS8_PNS0_10empty_typeENS0_5tupleIJS8_S9_EEENSB_IJS8_SA_EEENS0_18inequality_wrapperIZN2at6native12_GLOBAL__N_124unique_dim_cuda_templateIfEESt5tupleIJNSF_6TensorESK_SK_EERKSK_lbbbEUlllE0_EEPmJS9_EEE10hipError_tPvRmT3_T4_T5_T6_T7_T9_mT8_P12ihipStream_tbDpT10_ENKUlT_T0_E_clISt17integral_constantIbLb1EES19_IbLb0EEEEDaS15_S16_EUlS15_E_NS1_11comp_targetILNS1_3genE0ELNS1_11target_archE4294967295ELNS1_3gpuE0ELNS1_3repE0EEENS1_30default_config_static_selectorELNS0_4arch9wavefront6targetE1EEEvT1_.kd
    .uniform_work_group_size: 1
    .uses_dynamic_stack: false
    .vgpr_count:     0
    .vgpr_spill_count: 0
    .wavefront_size: 64
  - .agpr_count:     0
    .args:
      - .offset:         0
        .size:           120
        .value_kind:     by_value
    .group_segment_fixed_size: 28684
    .kernarg_segment_align: 8
    .kernarg_segment_size: 120
    .language:       OpenCL C
    .language_version:
      - 2
      - 0
    .max_flat_workgroup_size: 512
    .name:           _ZN7rocprim17ROCPRIM_400000_NS6detail17trampoline_kernelINS0_14default_configENS1_25partition_config_selectorILNS1_17partition_subalgoE9EllbEEZZNS1_14partition_implILS5_9ELb0ES3_jPlS8_PNS0_10empty_typeENS0_5tupleIJS8_S9_EEENSB_IJS8_SA_EEENS0_18inequality_wrapperIZN2at6native12_GLOBAL__N_124unique_dim_cuda_templateIfEESt5tupleIJNSF_6TensorESK_SK_EERKSK_lbbbEUlllE0_EEPmJS9_EEE10hipError_tPvRmT3_T4_T5_T6_T7_T9_mT8_P12ihipStream_tbDpT10_ENKUlT_T0_E_clISt17integral_constantIbLb1EES19_IbLb0EEEEDaS15_S16_EUlS15_E_NS1_11comp_targetILNS1_3genE5ELNS1_11target_archE942ELNS1_3gpuE9ELNS1_3repE0EEENS1_30default_config_static_selectorELNS0_4arch9wavefront6targetE1EEEvT1_
    .private_segment_fixed_size: 0
    .sgpr_count:     58
    .sgpr_spill_count: 0
    .symbol:         _ZN7rocprim17ROCPRIM_400000_NS6detail17trampoline_kernelINS0_14default_configENS1_25partition_config_selectorILNS1_17partition_subalgoE9EllbEEZZNS1_14partition_implILS5_9ELb0ES3_jPlS8_PNS0_10empty_typeENS0_5tupleIJS8_S9_EEENSB_IJS8_SA_EEENS0_18inequality_wrapperIZN2at6native12_GLOBAL__N_124unique_dim_cuda_templateIfEESt5tupleIJNSF_6TensorESK_SK_EERKSK_lbbbEUlllE0_EEPmJS9_EEE10hipError_tPvRmT3_T4_T5_T6_T7_T9_mT8_P12ihipStream_tbDpT10_ENKUlT_T0_E_clISt17integral_constantIbLb1EES19_IbLb0EEEEDaS15_S16_EUlS15_E_NS1_11comp_targetILNS1_3genE5ELNS1_11target_archE942ELNS1_3gpuE9ELNS1_3repE0EEENS1_30default_config_static_selectorELNS0_4arch9wavefront6targetE1EEEvT1_.kd
    .uniform_work_group_size: 1
    .uses_dynamic_stack: false
    .vgpr_count:     66
    .vgpr_spill_count: 0
    .wavefront_size: 64
  - .agpr_count:     0
    .args:
      - .offset:         0
        .size:           120
        .value_kind:     by_value
    .group_segment_fixed_size: 0
    .kernarg_segment_align: 8
    .kernarg_segment_size: 120
    .language:       OpenCL C
    .language_version:
      - 2
      - 0
    .max_flat_workgroup_size: 128
    .name:           _ZN7rocprim17ROCPRIM_400000_NS6detail17trampoline_kernelINS0_14default_configENS1_25partition_config_selectorILNS1_17partition_subalgoE9EllbEEZZNS1_14partition_implILS5_9ELb0ES3_jPlS8_PNS0_10empty_typeENS0_5tupleIJS8_S9_EEENSB_IJS8_SA_EEENS0_18inequality_wrapperIZN2at6native12_GLOBAL__N_124unique_dim_cuda_templateIfEESt5tupleIJNSF_6TensorESK_SK_EERKSK_lbbbEUlllE0_EEPmJS9_EEE10hipError_tPvRmT3_T4_T5_T6_T7_T9_mT8_P12ihipStream_tbDpT10_ENKUlT_T0_E_clISt17integral_constantIbLb1EES19_IbLb0EEEEDaS15_S16_EUlS15_E_NS1_11comp_targetILNS1_3genE4ELNS1_11target_archE910ELNS1_3gpuE8ELNS1_3repE0EEENS1_30default_config_static_selectorELNS0_4arch9wavefront6targetE1EEEvT1_
    .private_segment_fixed_size: 0
    .sgpr_count:     6
    .sgpr_spill_count: 0
    .symbol:         _ZN7rocprim17ROCPRIM_400000_NS6detail17trampoline_kernelINS0_14default_configENS1_25partition_config_selectorILNS1_17partition_subalgoE9EllbEEZZNS1_14partition_implILS5_9ELb0ES3_jPlS8_PNS0_10empty_typeENS0_5tupleIJS8_S9_EEENSB_IJS8_SA_EEENS0_18inequality_wrapperIZN2at6native12_GLOBAL__N_124unique_dim_cuda_templateIfEESt5tupleIJNSF_6TensorESK_SK_EERKSK_lbbbEUlllE0_EEPmJS9_EEE10hipError_tPvRmT3_T4_T5_T6_T7_T9_mT8_P12ihipStream_tbDpT10_ENKUlT_T0_E_clISt17integral_constantIbLb1EES19_IbLb0EEEEDaS15_S16_EUlS15_E_NS1_11comp_targetILNS1_3genE4ELNS1_11target_archE910ELNS1_3gpuE8ELNS1_3repE0EEENS1_30default_config_static_selectorELNS0_4arch9wavefront6targetE1EEEvT1_.kd
    .uniform_work_group_size: 1
    .uses_dynamic_stack: false
    .vgpr_count:     0
    .vgpr_spill_count: 0
    .wavefront_size: 64
  - .agpr_count:     0
    .args:
      - .offset:         0
        .size:           120
        .value_kind:     by_value
    .group_segment_fixed_size: 0
    .kernarg_segment_align: 8
    .kernarg_segment_size: 120
    .language:       OpenCL C
    .language_version:
      - 2
      - 0
    .max_flat_workgroup_size: 128
    .name:           _ZN7rocprim17ROCPRIM_400000_NS6detail17trampoline_kernelINS0_14default_configENS1_25partition_config_selectorILNS1_17partition_subalgoE9EllbEEZZNS1_14partition_implILS5_9ELb0ES3_jPlS8_PNS0_10empty_typeENS0_5tupleIJS8_S9_EEENSB_IJS8_SA_EEENS0_18inequality_wrapperIZN2at6native12_GLOBAL__N_124unique_dim_cuda_templateIfEESt5tupleIJNSF_6TensorESK_SK_EERKSK_lbbbEUlllE0_EEPmJS9_EEE10hipError_tPvRmT3_T4_T5_T6_T7_T9_mT8_P12ihipStream_tbDpT10_ENKUlT_T0_E_clISt17integral_constantIbLb1EES19_IbLb0EEEEDaS15_S16_EUlS15_E_NS1_11comp_targetILNS1_3genE3ELNS1_11target_archE908ELNS1_3gpuE7ELNS1_3repE0EEENS1_30default_config_static_selectorELNS0_4arch9wavefront6targetE1EEEvT1_
    .private_segment_fixed_size: 0
    .sgpr_count:     6
    .sgpr_spill_count: 0
    .symbol:         _ZN7rocprim17ROCPRIM_400000_NS6detail17trampoline_kernelINS0_14default_configENS1_25partition_config_selectorILNS1_17partition_subalgoE9EllbEEZZNS1_14partition_implILS5_9ELb0ES3_jPlS8_PNS0_10empty_typeENS0_5tupleIJS8_S9_EEENSB_IJS8_SA_EEENS0_18inequality_wrapperIZN2at6native12_GLOBAL__N_124unique_dim_cuda_templateIfEESt5tupleIJNSF_6TensorESK_SK_EERKSK_lbbbEUlllE0_EEPmJS9_EEE10hipError_tPvRmT3_T4_T5_T6_T7_T9_mT8_P12ihipStream_tbDpT10_ENKUlT_T0_E_clISt17integral_constantIbLb1EES19_IbLb0EEEEDaS15_S16_EUlS15_E_NS1_11comp_targetILNS1_3genE3ELNS1_11target_archE908ELNS1_3gpuE7ELNS1_3repE0EEENS1_30default_config_static_selectorELNS0_4arch9wavefront6targetE1EEEvT1_.kd
    .uniform_work_group_size: 1
    .uses_dynamic_stack: false
    .vgpr_count:     0
    .vgpr_spill_count: 0
    .wavefront_size: 64
  - .agpr_count:     0
    .args:
      - .offset:         0
        .size:           120
        .value_kind:     by_value
    .group_segment_fixed_size: 0
    .kernarg_segment_align: 8
    .kernarg_segment_size: 120
    .language:       OpenCL C
    .language_version:
      - 2
      - 0
    .max_flat_workgroup_size: 192
    .name:           _ZN7rocprim17ROCPRIM_400000_NS6detail17trampoline_kernelINS0_14default_configENS1_25partition_config_selectorILNS1_17partition_subalgoE9EllbEEZZNS1_14partition_implILS5_9ELb0ES3_jPlS8_PNS0_10empty_typeENS0_5tupleIJS8_S9_EEENSB_IJS8_SA_EEENS0_18inequality_wrapperIZN2at6native12_GLOBAL__N_124unique_dim_cuda_templateIfEESt5tupleIJNSF_6TensorESK_SK_EERKSK_lbbbEUlllE0_EEPmJS9_EEE10hipError_tPvRmT3_T4_T5_T6_T7_T9_mT8_P12ihipStream_tbDpT10_ENKUlT_T0_E_clISt17integral_constantIbLb1EES19_IbLb0EEEEDaS15_S16_EUlS15_E_NS1_11comp_targetILNS1_3genE2ELNS1_11target_archE906ELNS1_3gpuE6ELNS1_3repE0EEENS1_30default_config_static_selectorELNS0_4arch9wavefront6targetE1EEEvT1_
    .private_segment_fixed_size: 0
    .sgpr_count:     6
    .sgpr_spill_count: 0
    .symbol:         _ZN7rocprim17ROCPRIM_400000_NS6detail17trampoline_kernelINS0_14default_configENS1_25partition_config_selectorILNS1_17partition_subalgoE9EllbEEZZNS1_14partition_implILS5_9ELb0ES3_jPlS8_PNS0_10empty_typeENS0_5tupleIJS8_S9_EEENSB_IJS8_SA_EEENS0_18inequality_wrapperIZN2at6native12_GLOBAL__N_124unique_dim_cuda_templateIfEESt5tupleIJNSF_6TensorESK_SK_EERKSK_lbbbEUlllE0_EEPmJS9_EEE10hipError_tPvRmT3_T4_T5_T6_T7_T9_mT8_P12ihipStream_tbDpT10_ENKUlT_T0_E_clISt17integral_constantIbLb1EES19_IbLb0EEEEDaS15_S16_EUlS15_E_NS1_11comp_targetILNS1_3genE2ELNS1_11target_archE906ELNS1_3gpuE6ELNS1_3repE0EEENS1_30default_config_static_selectorELNS0_4arch9wavefront6targetE1EEEvT1_.kd
    .uniform_work_group_size: 1
    .uses_dynamic_stack: false
    .vgpr_count:     0
    .vgpr_spill_count: 0
    .wavefront_size: 64
  - .agpr_count:     0
    .args:
      - .offset:         0
        .size:           120
        .value_kind:     by_value
    .group_segment_fixed_size: 0
    .kernarg_segment_align: 8
    .kernarg_segment_size: 120
    .language:       OpenCL C
    .language_version:
      - 2
      - 0
    .max_flat_workgroup_size: 384
    .name:           _ZN7rocprim17ROCPRIM_400000_NS6detail17trampoline_kernelINS0_14default_configENS1_25partition_config_selectorILNS1_17partition_subalgoE9EllbEEZZNS1_14partition_implILS5_9ELb0ES3_jPlS8_PNS0_10empty_typeENS0_5tupleIJS8_S9_EEENSB_IJS8_SA_EEENS0_18inequality_wrapperIZN2at6native12_GLOBAL__N_124unique_dim_cuda_templateIfEESt5tupleIJNSF_6TensorESK_SK_EERKSK_lbbbEUlllE0_EEPmJS9_EEE10hipError_tPvRmT3_T4_T5_T6_T7_T9_mT8_P12ihipStream_tbDpT10_ENKUlT_T0_E_clISt17integral_constantIbLb1EES19_IbLb0EEEEDaS15_S16_EUlS15_E_NS1_11comp_targetILNS1_3genE10ELNS1_11target_archE1200ELNS1_3gpuE4ELNS1_3repE0EEENS1_30default_config_static_selectorELNS0_4arch9wavefront6targetE1EEEvT1_
    .private_segment_fixed_size: 0
    .sgpr_count:     6
    .sgpr_spill_count: 0
    .symbol:         _ZN7rocprim17ROCPRIM_400000_NS6detail17trampoline_kernelINS0_14default_configENS1_25partition_config_selectorILNS1_17partition_subalgoE9EllbEEZZNS1_14partition_implILS5_9ELb0ES3_jPlS8_PNS0_10empty_typeENS0_5tupleIJS8_S9_EEENSB_IJS8_SA_EEENS0_18inequality_wrapperIZN2at6native12_GLOBAL__N_124unique_dim_cuda_templateIfEESt5tupleIJNSF_6TensorESK_SK_EERKSK_lbbbEUlllE0_EEPmJS9_EEE10hipError_tPvRmT3_T4_T5_T6_T7_T9_mT8_P12ihipStream_tbDpT10_ENKUlT_T0_E_clISt17integral_constantIbLb1EES19_IbLb0EEEEDaS15_S16_EUlS15_E_NS1_11comp_targetILNS1_3genE10ELNS1_11target_archE1200ELNS1_3gpuE4ELNS1_3repE0EEENS1_30default_config_static_selectorELNS0_4arch9wavefront6targetE1EEEvT1_.kd
    .uniform_work_group_size: 1
    .uses_dynamic_stack: false
    .vgpr_count:     0
    .vgpr_spill_count: 0
    .wavefront_size: 64
  - .agpr_count:     0
    .args:
      - .offset:         0
        .size:           120
        .value_kind:     by_value
    .group_segment_fixed_size: 0
    .kernarg_segment_align: 8
    .kernarg_segment_size: 120
    .language:       OpenCL C
    .language_version:
      - 2
      - 0
    .max_flat_workgroup_size: 512
    .name:           _ZN7rocprim17ROCPRIM_400000_NS6detail17trampoline_kernelINS0_14default_configENS1_25partition_config_selectorILNS1_17partition_subalgoE9EllbEEZZNS1_14partition_implILS5_9ELb0ES3_jPlS8_PNS0_10empty_typeENS0_5tupleIJS8_S9_EEENSB_IJS8_SA_EEENS0_18inequality_wrapperIZN2at6native12_GLOBAL__N_124unique_dim_cuda_templateIfEESt5tupleIJNSF_6TensorESK_SK_EERKSK_lbbbEUlllE0_EEPmJS9_EEE10hipError_tPvRmT3_T4_T5_T6_T7_T9_mT8_P12ihipStream_tbDpT10_ENKUlT_T0_E_clISt17integral_constantIbLb1EES19_IbLb0EEEEDaS15_S16_EUlS15_E_NS1_11comp_targetILNS1_3genE9ELNS1_11target_archE1100ELNS1_3gpuE3ELNS1_3repE0EEENS1_30default_config_static_selectorELNS0_4arch9wavefront6targetE1EEEvT1_
    .private_segment_fixed_size: 0
    .sgpr_count:     6
    .sgpr_spill_count: 0
    .symbol:         _ZN7rocprim17ROCPRIM_400000_NS6detail17trampoline_kernelINS0_14default_configENS1_25partition_config_selectorILNS1_17partition_subalgoE9EllbEEZZNS1_14partition_implILS5_9ELb0ES3_jPlS8_PNS0_10empty_typeENS0_5tupleIJS8_S9_EEENSB_IJS8_SA_EEENS0_18inequality_wrapperIZN2at6native12_GLOBAL__N_124unique_dim_cuda_templateIfEESt5tupleIJNSF_6TensorESK_SK_EERKSK_lbbbEUlllE0_EEPmJS9_EEE10hipError_tPvRmT3_T4_T5_T6_T7_T9_mT8_P12ihipStream_tbDpT10_ENKUlT_T0_E_clISt17integral_constantIbLb1EES19_IbLb0EEEEDaS15_S16_EUlS15_E_NS1_11comp_targetILNS1_3genE9ELNS1_11target_archE1100ELNS1_3gpuE3ELNS1_3repE0EEENS1_30default_config_static_selectorELNS0_4arch9wavefront6targetE1EEEvT1_.kd
    .uniform_work_group_size: 1
    .uses_dynamic_stack: false
    .vgpr_count:     0
    .vgpr_spill_count: 0
    .wavefront_size: 64
  - .agpr_count:     0
    .args:
      - .offset:         0
        .size:           120
        .value_kind:     by_value
    .group_segment_fixed_size: 0
    .kernarg_segment_align: 8
    .kernarg_segment_size: 120
    .language:       OpenCL C
    .language_version:
      - 2
      - 0
    .max_flat_workgroup_size: 512
    .name:           _ZN7rocprim17ROCPRIM_400000_NS6detail17trampoline_kernelINS0_14default_configENS1_25partition_config_selectorILNS1_17partition_subalgoE9EllbEEZZNS1_14partition_implILS5_9ELb0ES3_jPlS8_PNS0_10empty_typeENS0_5tupleIJS8_S9_EEENSB_IJS8_SA_EEENS0_18inequality_wrapperIZN2at6native12_GLOBAL__N_124unique_dim_cuda_templateIfEESt5tupleIJNSF_6TensorESK_SK_EERKSK_lbbbEUlllE0_EEPmJS9_EEE10hipError_tPvRmT3_T4_T5_T6_T7_T9_mT8_P12ihipStream_tbDpT10_ENKUlT_T0_E_clISt17integral_constantIbLb1EES19_IbLb0EEEEDaS15_S16_EUlS15_E_NS1_11comp_targetILNS1_3genE8ELNS1_11target_archE1030ELNS1_3gpuE2ELNS1_3repE0EEENS1_30default_config_static_selectorELNS0_4arch9wavefront6targetE1EEEvT1_
    .private_segment_fixed_size: 0
    .sgpr_count:     6
    .sgpr_spill_count: 0
    .symbol:         _ZN7rocprim17ROCPRIM_400000_NS6detail17trampoline_kernelINS0_14default_configENS1_25partition_config_selectorILNS1_17partition_subalgoE9EllbEEZZNS1_14partition_implILS5_9ELb0ES3_jPlS8_PNS0_10empty_typeENS0_5tupleIJS8_S9_EEENSB_IJS8_SA_EEENS0_18inequality_wrapperIZN2at6native12_GLOBAL__N_124unique_dim_cuda_templateIfEESt5tupleIJNSF_6TensorESK_SK_EERKSK_lbbbEUlllE0_EEPmJS9_EEE10hipError_tPvRmT3_T4_T5_T6_T7_T9_mT8_P12ihipStream_tbDpT10_ENKUlT_T0_E_clISt17integral_constantIbLb1EES19_IbLb0EEEEDaS15_S16_EUlS15_E_NS1_11comp_targetILNS1_3genE8ELNS1_11target_archE1030ELNS1_3gpuE2ELNS1_3repE0EEENS1_30default_config_static_selectorELNS0_4arch9wavefront6targetE1EEEvT1_.kd
    .uniform_work_group_size: 1
    .uses_dynamic_stack: false
    .vgpr_count:     0
    .vgpr_spill_count: 0
    .wavefront_size: 64
  - .agpr_count:     0
    .args:
      - .offset:         0
        .size:           136
        .value_kind:     by_value
    .group_segment_fixed_size: 0
    .kernarg_segment_align: 8
    .kernarg_segment_size: 136
    .language:       OpenCL C
    .language_version:
      - 2
      - 0
    .max_flat_workgroup_size: 128
    .name:           _ZN7rocprim17ROCPRIM_400000_NS6detail17trampoline_kernelINS0_14default_configENS1_25partition_config_selectorILNS1_17partition_subalgoE9EllbEEZZNS1_14partition_implILS5_9ELb0ES3_jPlS8_PNS0_10empty_typeENS0_5tupleIJS8_S9_EEENSB_IJS8_SA_EEENS0_18inequality_wrapperIZN2at6native12_GLOBAL__N_124unique_dim_cuda_templateIfEESt5tupleIJNSF_6TensorESK_SK_EERKSK_lbbbEUlllE0_EEPmJS9_EEE10hipError_tPvRmT3_T4_T5_T6_T7_T9_mT8_P12ihipStream_tbDpT10_ENKUlT_T0_E_clISt17integral_constantIbLb0EES19_IbLb1EEEEDaS15_S16_EUlS15_E_NS1_11comp_targetILNS1_3genE0ELNS1_11target_archE4294967295ELNS1_3gpuE0ELNS1_3repE0EEENS1_30default_config_static_selectorELNS0_4arch9wavefront6targetE1EEEvT1_
    .private_segment_fixed_size: 0
    .sgpr_count:     6
    .sgpr_spill_count: 0
    .symbol:         _ZN7rocprim17ROCPRIM_400000_NS6detail17trampoline_kernelINS0_14default_configENS1_25partition_config_selectorILNS1_17partition_subalgoE9EllbEEZZNS1_14partition_implILS5_9ELb0ES3_jPlS8_PNS0_10empty_typeENS0_5tupleIJS8_S9_EEENSB_IJS8_SA_EEENS0_18inequality_wrapperIZN2at6native12_GLOBAL__N_124unique_dim_cuda_templateIfEESt5tupleIJNSF_6TensorESK_SK_EERKSK_lbbbEUlllE0_EEPmJS9_EEE10hipError_tPvRmT3_T4_T5_T6_T7_T9_mT8_P12ihipStream_tbDpT10_ENKUlT_T0_E_clISt17integral_constantIbLb0EES19_IbLb1EEEEDaS15_S16_EUlS15_E_NS1_11comp_targetILNS1_3genE0ELNS1_11target_archE4294967295ELNS1_3gpuE0ELNS1_3repE0EEENS1_30default_config_static_selectorELNS0_4arch9wavefront6targetE1EEEvT1_.kd
    .uniform_work_group_size: 1
    .uses_dynamic_stack: false
    .vgpr_count:     0
    .vgpr_spill_count: 0
    .wavefront_size: 64
  - .agpr_count:     0
    .args:
      - .offset:         0
        .size:           136
        .value_kind:     by_value
    .group_segment_fixed_size: 28684
    .kernarg_segment_align: 8
    .kernarg_segment_size: 136
    .language:       OpenCL C
    .language_version:
      - 2
      - 0
    .max_flat_workgroup_size: 512
    .name:           _ZN7rocprim17ROCPRIM_400000_NS6detail17trampoline_kernelINS0_14default_configENS1_25partition_config_selectorILNS1_17partition_subalgoE9EllbEEZZNS1_14partition_implILS5_9ELb0ES3_jPlS8_PNS0_10empty_typeENS0_5tupleIJS8_S9_EEENSB_IJS8_SA_EEENS0_18inequality_wrapperIZN2at6native12_GLOBAL__N_124unique_dim_cuda_templateIfEESt5tupleIJNSF_6TensorESK_SK_EERKSK_lbbbEUlllE0_EEPmJS9_EEE10hipError_tPvRmT3_T4_T5_T6_T7_T9_mT8_P12ihipStream_tbDpT10_ENKUlT_T0_E_clISt17integral_constantIbLb0EES19_IbLb1EEEEDaS15_S16_EUlS15_E_NS1_11comp_targetILNS1_3genE5ELNS1_11target_archE942ELNS1_3gpuE9ELNS1_3repE0EEENS1_30default_config_static_selectorELNS0_4arch9wavefront6targetE1EEEvT1_
    .private_segment_fixed_size: 0
    .sgpr_count:     64
    .sgpr_spill_count: 0
    .symbol:         _ZN7rocprim17ROCPRIM_400000_NS6detail17trampoline_kernelINS0_14default_configENS1_25partition_config_selectorILNS1_17partition_subalgoE9EllbEEZZNS1_14partition_implILS5_9ELb0ES3_jPlS8_PNS0_10empty_typeENS0_5tupleIJS8_S9_EEENSB_IJS8_SA_EEENS0_18inequality_wrapperIZN2at6native12_GLOBAL__N_124unique_dim_cuda_templateIfEESt5tupleIJNSF_6TensorESK_SK_EERKSK_lbbbEUlllE0_EEPmJS9_EEE10hipError_tPvRmT3_T4_T5_T6_T7_T9_mT8_P12ihipStream_tbDpT10_ENKUlT_T0_E_clISt17integral_constantIbLb0EES19_IbLb1EEEEDaS15_S16_EUlS15_E_NS1_11comp_targetILNS1_3genE5ELNS1_11target_archE942ELNS1_3gpuE9ELNS1_3repE0EEENS1_30default_config_static_selectorELNS0_4arch9wavefront6targetE1EEEvT1_.kd
    .uniform_work_group_size: 1
    .uses_dynamic_stack: false
    .vgpr_count:     66
    .vgpr_spill_count: 0
    .wavefront_size: 64
  - .agpr_count:     0
    .args:
      - .offset:         0
        .size:           136
        .value_kind:     by_value
    .group_segment_fixed_size: 0
    .kernarg_segment_align: 8
    .kernarg_segment_size: 136
    .language:       OpenCL C
    .language_version:
      - 2
      - 0
    .max_flat_workgroup_size: 128
    .name:           _ZN7rocprim17ROCPRIM_400000_NS6detail17trampoline_kernelINS0_14default_configENS1_25partition_config_selectorILNS1_17partition_subalgoE9EllbEEZZNS1_14partition_implILS5_9ELb0ES3_jPlS8_PNS0_10empty_typeENS0_5tupleIJS8_S9_EEENSB_IJS8_SA_EEENS0_18inequality_wrapperIZN2at6native12_GLOBAL__N_124unique_dim_cuda_templateIfEESt5tupleIJNSF_6TensorESK_SK_EERKSK_lbbbEUlllE0_EEPmJS9_EEE10hipError_tPvRmT3_T4_T5_T6_T7_T9_mT8_P12ihipStream_tbDpT10_ENKUlT_T0_E_clISt17integral_constantIbLb0EES19_IbLb1EEEEDaS15_S16_EUlS15_E_NS1_11comp_targetILNS1_3genE4ELNS1_11target_archE910ELNS1_3gpuE8ELNS1_3repE0EEENS1_30default_config_static_selectorELNS0_4arch9wavefront6targetE1EEEvT1_
    .private_segment_fixed_size: 0
    .sgpr_count:     6
    .sgpr_spill_count: 0
    .symbol:         _ZN7rocprim17ROCPRIM_400000_NS6detail17trampoline_kernelINS0_14default_configENS1_25partition_config_selectorILNS1_17partition_subalgoE9EllbEEZZNS1_14partition_implILS5_9ELb0ES3_jPlS8_PNS0_10empty_typeENS0_5tupleIJS8_S9_EEENSB_IJS8_SA_EEENS0_18inequality_wrapperIZN2at6native12_GLOBAL__N_124unique_dim_cuda_templateIfEESt5tupleIJNSF_6TensorESK_SK_EERKSK_lbbbEUlllE0_EEPmJS9_EEE10hipError_tPvRmT3_T4_T5_T6_T7_T9_mT8_P12ihipStream_tbDpT10_ENKUlT_T0_E_clISt17integral_constantIbLb0EES19_IbLb1EEEEDaS15_S16_EUlS15_E_NS1_11comp_targetILNS1_3genE4ELNS1_11target_archE910ELNS1_3gpuE8ELNS1_3repE0EEENS1_30default_config_static_selectorELNS0_4arch9wavefront6targetE1EEEvT1_.kd
    .uniform_work_group_size: 1
    .uses_dynamic_stack: false
    .vgpr_count:     0
    .vgpr_spill_count: 0
    .wavefront_size: 64
  - .agpr_count:     0
    .args:
      - .offset:         0
        .size:           136
        .value_kind:     by_value
    .group_segment_fixed_size: 0
    .kernarg_segment_align: 8
    .kernarg_segment_size: 136
    .language:       OpenCL C
    .language_version:
      - 2
      - 0
    .max_flat_workgroup_size: 128
    .name:           _ZN7rocprim17ROCPRIM_400000_NS6detail17trampoline_kernelINS0_14default_configENS1_25partition_config_selectorILNS1_17partition_subalgoE9EllbEEZZNS1_14partition_implILS5_9ELb0ES3_jPlS8_PNS0_10empty_typeENS0_5tupleIJS8_S9_EEENSB_IJS8_SA_EEENS0_18inequality_wrapperIZN2at6native12_GLOBAL__N_124unique_dim_cuda_templateIfEESt5tupleIJNSF_6TensorESK_SK_EERKSK_lbbbEUlllE0_EEPmJS9_EEE10hipError_tPvRmT3_T4_T5_T6_T7_T9_mT8_P12ihipStream_tbDpT10_ENKUlT_T0_E_clISt17integral_constantIbLb0EES19_IbLb1EEEEDaS15_S16_EUlS15_E_NS1_11comp_targetILNS1_3genE3ELNS1_11target_archE908ELNS1_3gpuE7ELNS1_3repE0EEENS1_30default_config_static_selectorELNS0_4arch9wavefront6targetE1EEEvT1_
    .private_segment_fixed_size: 0
    .sgpr_count:     6
    .sgpr_spill_count: 0
    .symbol:         _ZN7rocprim17ROCPRIM_400000_NS6detail17trampoline_kernelINS0_14default_configENS1_25partition_config_selectorILNS1_17partition_subalgoE9EllbEEZZNS1_14partition_implILS5_9ELb0ES3_jPlS8_PNS0_10empty_typeENS0_5tupleIJS8_S9_EEENSB_IJS8_SA_EEENS0_18inequality_wrapperIZN2at6native12_GLOBAL__N_124unique_dim_cuda_templateIfEESt5tupleIJNSF_6TensorESK_SK_EERKSK_lbbbEUlllE0_EEPmJS9_EEE10hipError_tPvRmT3_T4_T5_T6_T7_T9_mT8_P12ihipStream_tbDpT10_ENKUlT_T0_E_clISt17integral_constantIbLb0EES19_IbLb1EEEEDaS15_S16_EUlS15_E_NS1_11comp_targetILNS1_3genE3ELNS1_11target_archE908ELNS1_3gpuE7ELNS1_3repE0EEENS1_30default_config_static_selectorELNS0_4arch9wavefront6targetE1EEEvT1_.kd
    .uniform_work_group_size: 1
    .uses_dynamic_stack: false
    .vgpr_count:     0
    .vgpr_spill_count: 0
    .wavefront_size: 64
  - .agpr_count:     0
    .args:
      - .offset:         0
        .size:           136
        .value_kind:     by_value
    .group_segment_fixed_size: 0
    .kernarg_segment_align: 8
    .kernarg_segment_size: 136
    .language:       OpenCL C
    .language_version:
      - 2
      - 0
    .max_flat_workgroup_size: 192
    .name:           _ZN7rocprim17ROCPRIM_400000_NS6detail17trampoline_kernelINS0_14default_configENS1_25partition_config_selectorILNS1_17partition_subalgoE9EllbEEZZNS1_14partition_implILS5_9ELb0ES3_jPlS8_PNS0_10empty_typeENS0_5tupleIJS8_S9_EEENSB_IJS8_SA_EEENS0_18inequality_wrapperIZN2at6native12_GLOBAL__N_124unique_dim_cuda_templateIfEESt5tupleIJNSF_6TensorESK_SK_EERKSK_lbbbEUlllE0_EEPmJS9_EEE10hipError_tPvRmT3_T4_T5_T6_T7_T9_mT8_P12ihipStream_tbDpT10_ENKUlT_T0_E_clISt17integral_constantIbLb0EES19_IbLb1EEEEDaS15_S16_EUlS15_E_NS1_11comp_targetILNS1_3genE2ELNS1_11target_archE906ELNS1_3gpuE6ELNS1_3repE0EEENS1_30default_config_static_selectorELNS0_4arch9wavefront6targetE1EEEvT1_
    .private_segment_fixed_size: 0
    .sgpr_count:     6
    .sgpr_spill_count: 0
    .symbol:         _ZN7rocprim17ROCPRIM_400000_NS6detail17trampoline_kernelINS0_14default_configENS1_25partition_config_selectorILNS1_17partition_subalgoE9EllbEEZZNS1_14partition_implILS5_9ELb0ES3_jPlS8_PNS0_10empty_typeENS0_5tupleIJS8_S9_EEENSB_IJS8_SA_EEENS0_18inequality_wrapperIZN2at6native12_GLOBAL__N_124unique_dim_cuda_templateIfEESt5tupleIJNSF_6TensorESK_SK_EERKSK_lbbbEUlllE0_EEPmJS9_EEE10hipError_tPvRmT3_T4_T5_T6_T7_T9_mT8_P12ihipStream_tbDpT10_ENKUlT_T0_E_clISt17integral_constantIbLb0EES19_IbLb1EEEEDaS15_S16_EUlS15_E_NS1_11comp_targetILNS1_3genE2ELNS1_11target_archE906ELNS1_3gpuE6ELNS1_3repE0EEENS1_30default_config_static_selectorELNS0_4arch9wavefront6targetE1EEEvT1_.kd
    .uniform_work_group_size: 1
    .uses_dynamic_stack: false
    .vgpr_count:     0
    .vgpr_spill_count: 0
    .wavefront_size: 64
  - .agpr_count:     0
    .args:
      - .offset:         0
        .size:           136
        .value_kind:     by_value
    .group_segment_fixed_size: 0
    .kernarg_segment_align: 8
    .kernarg_segment_size: 136
    .language:       OpenCL C
    .language_version:
      - 2
      - 0
    .max_flat_workgroup_size: 384
    .name:           _ZN7rocprim17ROCPRIM_400000_NS6detail17trampoline_kernelINS0_14default_configENS1_25partition_config_selectorILNS1_17partition_subalgoE9EllbEEZZNS1_14partition_implILS5_9ELb0ES3_jPlS8_PNS0_10empty_typeENS0_5tupleIJS8_S9_EEENSB_IJS8_SA_EEENS0_18inequality_wrapperIZN2at6native12_GLOBAL__N_124unique_dim_cuda_templateIfEESt5tupleIJNSF_6TensorESK_SK_EERKSK_lbbbEUlllE0_EEPmJS9_EEE10hipError_tPvRmT3_T4_T5_T6_T7_T9_mT8_P12ihipStream_tbDpT10_ENKUlT_T0_E_clISt17integral_constantIbLb0EES19_IbLb1EEEEDaS15_S16_EUlS15_E_NS1_11comp_targetILNS1_3genE10ELNS1_11target_archE1200ELNS1_3gpuE4ELNS1_3repE0EEENS1_30default_config_static_selectorELNS0_4arch9wavefront6targetE1EEEvT1_
    .private_segment_fixed_size: 0
    .sgpr_count:     6
    .sgpr_spill_count: 0
    .symbol:         _ZN7rocprim17ROCPRIM_400000_NS6detail17trampoline_kernelINS0_14default_configENS1_25partition_config_selectorILNS1_17partition_subalgoE9EllbEEZZNS1_14partition_implILS5_9ELb0ES3_jPlS8_PNS0_10empty_typeENS0_5tupleIJS8_S9_EEENSB_IJS8_SA_EEENS0_18inequality_wrapperIZN2at6native12_GLOBAL__N_124unique_dim_cuda_templateIfEESt5tupleIJNSF_6TensorESK_SK_EERKSK_lbbbEUlllE0_EEPmJS9_EEE10hipError_tPvRmT3_T4_T5_T6_T7_T9_mT8_P12ihipStream_tbDpT10_ENKUlT_T0_E_clISt17integral_constantIbLb0EES19_IbLb1EEEEDaS15_S16_EUlS15_E_NS1_11comp_targetILNS1_3genE10ELNS1_11target_archE1200ELNS1_3gpuE4ELNS1_3repE0EEENS1_30default_config_static_selectorELNS0_4arch9wavefront6targetE1EEEvT1_.kd
    .uniform_work_group_size: 1
    .uses_dynamic_stack: false
    .vgpr_count:     0
    .vgpr_spill_count: 0
    .wavefront_size: 64
  - .agpr_count:     0
    .args:
      - .offset:         0
        .size:           136
        .value_kind:     by_value
    .group_segment_fixed_size: 0
    .kernarg_segment_align: 8
    .kernarg_segment_size: 136
    .language:       OpenCL C
    .language_version:
      - 2
      - 0
    .max_flat_workgroup_size: 512
    .name:           _ZN7rocprim17ROCPRIM_400000_NS6detail17trampoline_kernelINS0_14default_configENS1_25partition_config_selectorILNS1_17partition_subalgoE9EllbEEZZNS1_14partition_implILS5_9ELb0ES3_jPlS8_PNS0_10empty_typeENS0_5tupleIJS8_S9_EEENSB_IJS8_SA_EEENS0_18inequality_wrapperIZN2at6native12_GLOBAL__N_124unique_dim_cuda_templateIfEESt5tupleIJNSF_6TensorESK_SK_EERKSK_lbbbEUlllE0_EEPmJS9_EEE10hipError_tPvRmT3_T4_T5_T6_T7_T9_mT8_P12ihipStream_tbDpT10_ENKUlT_T0_E_clISt17integral_constantIbLb0EES19_IbLb1EEEEDaS15_S16_EUlS15_E_NS1_11comp_targetILNS1_3genE9ELNS1_11target_archE1100ELNS1_3gpuE3ELNS1_3repE0EEENS1_30default_config_static_selectorELNS0_4arch9wavefront6targetE1EEEvT1_
    .private_segment_fixed_size: 0
    .sgpr_count:     6
    .sgpr_spill_count: 0
    .symbol:         _ZN7rocprim17ROCPRIM_400000_NS6detail17trampoline_kernelINS0_14default_configENS1_25partition_config_selectorILNS1_17partition_subalgoE9EllbEEZZNS1_14partition_implILS5_9ELb0ES3_jPlS8_PNS0_10empty_typeENS0_5tupleIJS8_S9_EEENSB_IJS8_SA_EEENS0_18inequality_wrapperIZN2at6native12_GLOBAL__N_124unique_dim_cuda_templateIfEESt5tupleIJNSF_6TensorESK_SK_EERKSK_lbbbEUlllE0_EEPmJS9_EEE10hipError_tPvRmT3_T4_T5_T6_T7_T9_mT8_P12ihipStream_tbDpT10_ENKUlT_T0_E_clISt17integral_constantIbLb0EES19_IbLb1EEEEDaS15_S16_EUlS15_E_NS1_11comp_targetILNS1_3genE9ELNS1_11target_archE1100ELNS1_3gpuE3ELNS1_3repE0EEENS1_30default_config_static_selectorELNS0_4arch9wavefront6targetE1EEEvT1_.kd
    .uniform_work_group_size: 1
    .uses_dynamic_stack: false
    .vgpr_count:     0
    .vgpr_spill_count: 0
    .wavefront_size: 64
  - .agpr_count:     0
    .args:
      - .offset:         0
        .size:           136
        .value_kind:     by_value
    .group_segment_fixed_size: 0
    .kernarg_segment_align: 8
    .kernarg_segment_size: 136
    .language:       OpenCL C
    .language_version:
      - 2
      - 0
    .max_flat_workgroup_size: 512
    .name:           _ZN7rocprim17ROCPRIM_400000_NS6detail17trampoline_kernelINS0_14default_configENS1_25partition_config_selectorILNS1_17partition_subalgoE9EllbEEZZNS1_14partition_implILS5_9ELb0ES3_jPlS8_PNS0_10empty_typeENS0_5tupleIJS8_S9_EEENSB_IJS8_SA_EEENS0_18inequality_wrapperIZN2at6native12_GLOBAL__N_124unique_dim_cuda_templateIfEESt5tupleIJNSF_6TensorESK_SK_EERKSK_lbbbEUlllE0_EEPmJS9_EEE10hipError_tPvRmT3_T4_T5_T6_T7_T9_mT8_P12ihipStream_tbDpT10_ENKUlT_T0_E_clISt17integral_constantIbLb0EES19_IbLb1EEEEDaS15_S16_EUlS15_E_NS1_11comp_targetILNS1_3genE8ELNS1_11target_archE1030ELNS1_3gpuE2ELNS1_3repE0EEENS1_30default_config_static_selectorELNS0_4arch9wavefront6targetE1EEEvT1_
    .private_segment_fixed_size: 0
    .sgpr_count:     6
    .sgpr_spill_count: 0
    .symbol:         _ZN7rocprim17ROCPRIM_400000_NS6detail17trampoline_kernelINS0_14default_configENS1_25partition_config_selectorILNS1_17partition_subalgoE9EllbEEZZNS1_14partition_implILS5_9ELb0ES3_jPlS8_PNS0_10empty_typeENS0_5tupleIJS8_S9_EEENSB_IJS8_SA_EEENS0_18inequality_wrapperIZN2at6native12_GLOBAL__N_124unique_dim_cuda_templateIfEESt5tupleIJNSF_6TensorESK_SK_EERKSK_lbbbEUlllE0_EEPmJS9_EEE10hipError_tPvRmT3_T4_T5_T6_T7_T9_mT8_P12ihipStream_tbDpT10_ENKUlT_T0_E_clISt17integral_constantIbLb0EES19_IbLb1EEEEDaS15_S16_EUlS15_E_NS1_11comp_targetILNS1_3genE8ELNS1_11target_archE1030ELNS1_3gpuE2ELNS1_3repE0EEENS1_30default_config_static_selectorELNS0_4arch9wavefront6targetE1EEEvT1_.kd
    .uniform_work_group_size: 1
    .uses_dynamic_stack: false
    .vgpr_count:     0
    .vgpr_spill_count: 0
    .wavefront_size: 64
  - .agpr_count:     0
    .args:
      - .offset:         0
        .size:           72
        .value_kind:     by_value
    .group_segment_fixed_size: 0
    .kernarg_segment_align: 8
    .kernarg_segment_size: 72
    .language:       OpenCL C
    .language_version:
      - 2
      - 0
    .max_flat_workgroup_size: 256
    .name:           _ZN7rocprim17ROCPRIM_400000_NS6detail17trampoline_kernelINS0_14default_configENS1_37merge_sort_block_sort_config_selectorIlNS0_10empty_typeEEEZNS1_21merge_sort_block_sortIS3_PlS8_PS5_S9_ZN2at6native12_GLOBAL__N_124unique_dim_cuda_templateIbEESt5tupleIJNSA_6TensorESF_SF_EERKSF_lbbbEUlllE_EE10hipError_tT0_T1_T2_T3_mRjT4_P12ihipStream_tbNS1_7vsmem_tEEUlT_E_NS1_11comp_targetILNS1_3genE0ELNS1_11target_archE4294967295ELNS1_3gpuE0ELNS1_3repE0EEENS1_30default_config_static_selectorELNS0_4arch9wavefront6targetE1EEEvSM_
    .private_segment_fixed_size: 0
    .sgpr_count:     6
    .sgpr_spill_count: 0
    .symbol:         _ZN7rocprim17ROCPRIM_400000_NS6detail17trampoline_kernelINS0_14default_configENS1_37merge_sort_block_sort_config_selectorIlNS0_10empty_typeEEEZNS1_21merge_sort_block_sortIS3_PlS8_PS5_S9_ZN2at6native12_GLOBAL__N_124unique_dim_cuda_templateIbEESt5tupleIJNSA_6TensorESF_SF_EERKSF_lbbbEUlllE_EE10hipError_tT0_T1_T2_T3_mRjT4_P12ihipStream_tbNS1_7vsmem_tEEUlT_E_NS1_11comp_targetILNS1_3genE0ELNS1_11target_archE4294967295ELNS1_3gpuE0ELNS1_3repE0EEENS1_30default_config_static_selectorELNS0_4arch9wavefront6targetE1EEEvSM_.kd
    .uniform_work_group_size: 1
    .uses_dynamic_stack: false
    .vgpr_count:     0
    .vgpr_spill_count: 0
    .wavefront_size: 64
  - .agpr_count:     0
    .args:
      - .offset:         0
        .size:           72
        .value_kind:     by_value
      - .offset:         72
        .size:           4
        .value_kind:     hidden_block_count_x
      - .offset:         76
        .size:           4
        .value_kind:     hidden_block_count_y
      - .offset:         80
        .size:           4
        .value_kind:     hidden_block_count_z
      - .offset:         84
        .size:           2
        .value_kind:     hidden_group_size_x
      - .offset:         86
        .size:           2
        .value_kind:     hidden_group_size_y
      - .offset:         88
        .size:           2
        .value_kind:     hidden_group_size_z
      - .offset:         90
        .size:           2
        .value_kind:     hidden_remainder_x
      - .offset:         92
        .size:           2
        .value_kind:     hidden_remainder_y
      - .offset:         94
        .size:           2
        .value_kind:     hidden_remainder_z
      - .offset:         112
        .size:           8
        .value_kind:     hidden_global_offset_x
      - .offset:         120
        .size:           8
        .value_kind:     hidden_global_offset_y
      - .offset:         128
        .size:           8
        .value_kind:     hidden_global_offset_z
      - .offset:         136
        .size:           2
        .value_kind:     hidden_grid_dims
      - .offset:         152
        .size:           8
        .value_kind:     hidden_hostcall_buffer
      - .offset:         160
        .size:           8
        .value_kind:     hidden_multigrid_sync_arg
      - .offset:         168
        .size:           8
        .value_kind:     hidden_heap_v1
      - .offset:         176
        .size:           8
        .value_kind:     hidden_default_queue
      - .offset:         184
        .size:           8
        .value_kind:     hidden_completion_action
      - .offset:         272
        .size:           8
        .value_kind:     hidden_queue_ptr
    .group_segment_fixed_size: 16896
    .kernarg_segment_align: 8
    .kernarg_segment_size: 328
    .language:       OpenCL C
    .language_version:
      - 2
      - 0
    .max_flat_workgroup_size: 256
    .name:           _ZN7rocprim17ROCPRIM_400000_NS6detail17trampoline_kernelINS0_14default_configENS1_37merge_sort_block_sort_config_selectorIlNS0_10empty_typeEEEZNS1_21merge_sort_block_sortIS3_PlS8_PS5_S9_ZN2at6native12_GLOBAL__N_124unique_dim_cuda_templateIbEESt5tupleIJNSA_6TensorESF_SF_EERKSF_lbbbEUlllE_EE10hipError_tT0_T1_T2_T3_mRjT4_P12ihipStream_tbNS1_7vsmem_tEEUlT_E_NS1_11comp_targetILNS1_3genE5ELNS1_11target_archE942ELNS1_3gpuE9ELNS1_3repE0EEENS1_30default_config_static_selectorELNS0_4arch9wavefront6targetE1EEEvSM_
    .private_segment_fixed_size: 8
    .sgpr_count:     78
    .sgpr_spill_count: 0
    .symbol:         _ZN7rocprim17ROCPRIM_400000_NS6detail17trampoline_kernelINS0_14default_configENS1_37merge_sort_block_sort_config_selectorIlNS0_10empty_typeEEEZNS1_21merge_sort_block_sortIS3_PlS8_PS5_S9_ZN2at6native12_GLOBAL__N_124unique_dim_cuda_templateIbEESt5tupleIJNSA_6TensorESF_SF_EERKSF_lbbbEUlllE_EE10hipError_tT0_T1_T2_T3_mRjT4_P12ihipStream_tbNS1_7vsmem_tEEUlT_E_NS1_11comp_targetILNS1_3genE5ELNS1_11target_archE942ELNS1_3gpuE9ELNS1_3repE0EEENS1_30default_config_static_selectorELNS0_4arch9wavefront6targetE1EEEvSM_.kd
    .uniform_work_group_size: 1
    .uses_dynamic_stack: false
    .vgpr_count:     119
    .vgpr_spill_count: 0
    .wavefront_size: 64
  - .agpr_count:     0
    .args:
      - .offset:         0
        .size:           72
        .value_kind:     by_value
    .group_segment_fixed_size: 0
    .kernarg_segment_align: 8
    .kernarg_segment_size: 72
    .language:       OpenCL C
    .language_version:
      - 2
      - 0
    .max_flat_workgroup_size: 256
    .name:           _ZN7rocprim17ROCPRIM_400000_NS6detail17trampoline_kernelINS0_14default_configENS1_37merge_sort_block_sort_config_selectorIlNS0_10empty_typeEEEZNS1_21merge_sort_block_sortIS3_PlS8_PS5_S9_ZN2at6native12_GLOBAL__N_124unique_dim_cuda_templateIbEESt5tupleIJNSA_6TensorESF_SF_EERKSF_lbbbEUlllE_EE10hipError_tT0_T1_T2_T3_mRjT4_P12ihipStream_tbNS1_7vsmem_tEEUlT_E_NS1_11comp_targetILNS1_3genE4ELNS1_11target_archE910ELNS1_3gpuE8ELNS1_3repE0EEENS1_30default_config_static_selectorELNS0_4arch9wavefront6targetE1EEEvSM_
    .private_segment_fixed_size: 0
    .sgpr_count:     6
    .sgpr_spill_count: 0
    .symbol:         _ZN7rocprim17ROCPRIM_400000_NS6detail17trampoline_kernelINS0_14default_configENS1_37merge_sort_block_sort_config_selectorIlNS0_10empty_typeEEEZNS1_21merge_sort_block_sortIS3_PlS8_PS5_S9_ZN2at6native12_GLOBAL__N_124unique_dim_cuda_templateIbEESt5tupleIJNSA_6TensorESF_SF_EERKSF_lbbbEUlllE_EE10hipError_tT0_T1_T2_T3_mRjT4_P12ihipStream_tbNS1_7vsmem_tEEUlT_E_NS1_11comp_targetILNS1_3genE4ELNS1_11target_archE910ELNS1_3gpuE8ELNS1_3repE0EEENS1_30default_config_static_selectorELNS0_4arch9wavefront6targetE1EEEvSM_.kd
    .uniform_work_group_size: 1
    .uses_dynamic_stack: false
    .vgpr_count:     0
    .vgpr_spill_count: 0
    .wavefront_size: 64
  - .agpr_count:     0
    .args:
      - .offset:         0
        .size:           72
        .value_kind:     by_value
    .group_segment_fixed_size: 0
    .kernarg_segment_align: 8
    .kernarg_segment_size: 72
    .language:       OpenCL C
    .language_version:
      - 2
      - 0
    .max_flat_workgroup_size: 256
    .name:           _ZN7rocprim17ROCPRIM_400000_NS6detail17trampoline_kernelINS0_14default_configENS1_37merge_sort_block_sort_config_selectorIlNS0_10empty_typeEEEZNS1_21merge_sort_block_sortIS3_PlS8_PS5_S9_ZN2at6native12_GLOBAL__N_124unique_dim_cuda_templateIbEESt5tupleIJNSA_6TensorESF_SF_EERKSF_lbbbEUlllE_EE10hipError_tT0_T1_T2_T3_mRjT4_P12ihipStream_tbNS1_7vsmem_tEEUlT_E_NS1_11comp_targetILNS1_3genE3ELNS1_11target_archE908ELNS1_3gpuE7ELNS1_3repE0EEENS1_30default_config_static_selectorELNS0_4arch9wavefront6targetE1EEEvSM_
    .private_segment_fixed_size: 0
    .sgpr_count:     6
    .sgpr_spill_count: 0
    .symbol:         _ZN7rocprim17ROCPRIM_400000_NS6detail17trampoline_kernelINS0_14default_configENS1_37merge_sort_block_sort_config_selectorIlNS0_10empty_typeEEEZNS1_21merge_sort_block_sortIS3_PlS8_PS5_S9_ZN2at6native12_GLOBAL__N_124unique_dim_cuda_templateIbEESt5tupleIJNSA_6TensorESF_SF_EERKSF_lbbbEUlllE_EE10hipError_tT0_T1_T2_T3_mRjT4_P12ihipStream_tbNS1_7vsmem_tEEUlT_E_NS1_11comp_targetILNS1_3genE3ELNS1_11target_archE908ELNS1_3gpuE7ELNS1_3repE0EEENS1_30default_config_static_selectorELNS0_4arch9wavefront6targetE1EEEvSM_.kd
    .uniform_work_group_size: 1
    .uses_dynamic_stack: false
    .vgpr_count:     0
    .vgpr_spill_count: 0
    .wavefront_size: 64
  - .agpr_count:     0
    .args:
      - .offset:         0
        .size:           72
        .value_kind:     by_value
    .group_segment_fixed_size: 0
    .kernarg_segment_align: 8
    .kernarg_segment_size: 72
    .language:       OpenCL C
    .language_version:
      - 2
      - 0
    .max_flat_workgroup_size: 256
    .name:           _ZN7rocprim17ROCPRIM_400000_NS6detail17trampoline_kernelINS0_14default_configENS1_37merge_sort_block_sort_config_selectorIlNS0_10empty_typeEEEZNS1_21merge_sort_block_sortIS3_PlS8_PS5_S9_ZN2at6native12_GLOBAL__N_124unique_dim_cuda_templateIbEESt5tupleIJNSA_6TensorESF_SF_EERKSF_lbbbEUlllE_EE10hipError_tT0_T1_T2_T3_mRjT4_P12ihipStream_tbNS1_7vsmem_tEEUlT_E_NS1_11comp_targetILNS1_3genE2ELNS1_11target_archE906ELNS1_3gpuE6ELNS1_3repE0EEENS1_30default_config_static_selectorELNS0_4arch9wavefront6targetE1EEEvSM_
    .private_segment_fixed_size: 0
    .sgpr_count:     6
    .sgpr_spill_count: 0
    .symbol:         _ZN7rocprim17ROCPRIM_400000_NS6detail17trampoline_kernelINS0_14default_configENS1_37merge_sort_block_sort_config_selectorIlNS0_10empty_typeEEEZNS1_21merge_sort_block_sortIS3_PlS8_PS5_S9_ZN2at6native12_GLOBAL__N_124unique_dim_cuda_templateIbEESt5tupleIJNSA_6TensorESF_SF_EERKSF_lbbbEUlllE_EE10hipError_tT0_T1_T2_T3_mRjT4_P12ihipStream_tbNS1_7vsmem_tEEUlT_E_NS1_11comp_targetILNS1_3genE2ELNS1_11target_archE906ELNS1_3gpuE6ELNS1_3repE0EEENS1_30default_config_static_selectorELNS0_4arch9wavefront6targetE1EEEvSM_.kd
    .uniform_work_group_size: 1
    .uses_dynamic_stack: false
    .vgpr_count:     0
    .vgpr_spill_count: 0
    .wavefront_size: 64
  - .agpr_count:     0
    .args:
      - .offset:         0
        .size:           72
        .value_kind:     by_value
    .group_segment_fixed_size: 0
    .kernarg_segment_align: 8
    .kernarg_segment_size: 72
    .language:       OpenCL C
    .language_version:
      - 2
      - 0
    .max_flat_workgroup_size: 256
    .name:           _ZN7rocprim17ROCPRIM_400000_NS6detail17trampoline_kernelINS0_14default_configENS1_37merge_sort_block_sort_config_selectorIlNS0_10empty_typeEEEZNS1_21merge_sort_block_sortIS3_PlS8_PS5_S9_ZN2at6native12_GLOBAL__N_124unique_dim_cuda_templateIbEESt5tupleIJNSA_6TensorESF_SF_EERKSF_lbbbEUlllE_EE10hipError_tT0_T1_T2_T3_mRjT4_P12ihipStream_tbNS1_7vsmem_tEEUlT_E_NS1_11comp_targetILNS1_3genE10ELNS1_11target_archE1201ELNS1_3gpuE5ELNS1_3repE0EEENS1_30default_config_static_selectorELNS0_4arch9wavefront6targetE1EEEvSM_
    .private_segment_fixed_size: 0
    .sgpr_count:     6
    .sgpr_spill_count: 0
    .symbol:         _ZN7rocprim17ROCPRIM_400000_NS6detail17trampoline_kernelINS0_14default_configENS1_37merge_sort_block_sort_config_selectorIlNS0_10empty_typeEEEZNS1_21merge_sort_block_sortIS3_PlS8_PS5_S9_ZN2at6native12_GLOBAL__N_124unique_dim_cuda_templateIbEESt5tupleIJNSA_6TensorESF_SF_EERKSF_lbbbEUlllE_EE10hipError_tT0_T1_T2_T3_mRjT4_P12ihipStream_tbNS1_7vsmem_tEEUlT_E_NS1_11comp_targetILNS1_3genE10ELNS1_11target_archE1201ELNS1_3gpuE5ELNS1_3repE0EEENS1_30default_config_static_selectorELNS0_4arch9wavefront6targetE1EEEvSM_.kd
    .uniform_work_group_size: 1
    .uses_dynamic_stack: false
    .vgpr_count:     0
    .vgpr_spill_count: 0
    .wavefront_size: 64
  - .agpr_count:     0
    .args:
      - .offset:         0
        .size:           72
        .value_kind:     by_value
    .group_segment_fixed_size: 0
    .kernarg_segment_align: 8
    .kernarg_segment_size: 72
    .language:       OpenCL C
    .language_version:
      - 2
      - 0
    .max_flat_workgroup_size: 512
    .name:           _ZN7rocprim17ROCPRIM_400000_NS6detail17trampoline_kernelINS0_14default_configENS1_37merge_sort_block_sort_config_selectorIlNS0_10empty_typeEEEZNS1_21merge_sort_block_sortIS3_PlS8_PS5_S9_ZN2at6native12_GLOBAL__N_124unique_dim_cuda_templateIbEESt5tupleIJNSA_6TensorESF_SF_EERKSF_lbbbEUlllE_EE10hipError_tT0_T1_T2_T3_mRjT4_P12ihipStream_tbNS1_7vsmem_tEEUlT_E_NS1_11comp_targetILNS1_3genE10ELNS1_11target_archE1200ELNS1_3gpuE4ELNS1_3repE0EEENS1_30default_config_static_selectorELNS0_4arch9wavefront6targetE1EEEvSM_
    .private_segment_fixed_size: 0
    .sgpr_count:     6
    .sgpr_spill_count: 0
    .symbol:         _ZN7rocprim17ROCPRIM_400000_NS6detail17trampoline_kernelINS0_14default_configENS1_37merge_sort_block_sort_config_selectorIlNS0_10empty_typeEEEZNS1_21merge_sort_block_sortIS3_PlS8_PS5_S9_ZN2at6native12_GLOBAL__N_124unique_dim_cuda_templateIbEESt5tupleIJNSA_6TensorESF_SF_EERKSF_lbbbEUlllE_EE10hipError_tT0_T1_T2_T3_mRjT4_P12ihipStream_tbNS1_7vsmem_tEEUlT_E_NS1_11comp_targetILNS1_3genE10ELNS1_11target_archE1200ELNS1_3gpuE4ELNS1_3repE0EEENS1_30default_config_static_selectorELNS0_4arch9wavefront6targetE1EEEvSM_.kd
    .uniform_work_group_size: 1
    .uses_dynamic_stack: false
    .vgpr_count:     0
    .vgpr_spill_count: 0
    .wavefront_size: 64
  - .agpr_count:     0
    .args:
      - .offset:         0
        .size:           72
        .value_kind:     by_value
    .group_segment_fixed_size: 0
    .kernarg_segment_align: 8
    .kernarg_segment_size: 72
    .language:       OpenCL C
    .language_version:
      - 2
      - 0
    .max_flat_workgroup_size: 256
    .name:           _ZN7rocprim17ROCPRIM_400000_NS6detail17trampoline_kernelINS0_14default_configENS1_37merge_sort_block_sort_config_selectorIlNS0_10empty_typeEEEZNS1_21merge_sort_block_sortIS3_PlS8_PS5_S9_ZN2at6native12_GLOBAL__N_124unique_dim_cuda_templateIbEESt5tupleIJNSA_6TensorESF_SF_EERKSF_lbbbEUlllE_EE10hipError_tT0_T1_T2_T3_mRjT4_P12ihipStream_tbNS1_7vsmem_tEEUlT_E_NS1_11comp_targetILNS1_3genE9ELNS1_11target_archE1100ELNS1_3gpuE3ELNS1_3repE0EEENS1_30default_config_static_selectorELNS0_4arch9wavefront6targetE1EEEvSM_
    .private_segment_fixed_size: 0
    .sgpr_count:     6
    .sgpr_spill_count: 0
    .symbol:         _ZN7rocprim17ROCPRIM_400000_NS6detail17trampoline_kernelINS0_14default_configENS1_37merge_sort_block_sort_config_selectorIlNS0_10empty_typeEEEZNS1_21merge_sort_block_sortIS3_PlS8_PS5_S9_ZN2at6native12_GLOBAL__N_124unique_dim_cuda_templateIbEESt5tupleIJNSA_6TensorESF_SF_EERKSF_lbbbEUlllE_EE10hipError_tT0_T1_T2_T3_mRjT4_P12ihipStream_tbNS1_7vsmem_tEEUlT_E_NS1_11comp_targetILNS1_3genE9ELNS1_11target_archE1100ELNS1_3gpuE3ELNS1_3repE0EEENS1_30default_config_static_selectorELNS0_4arch9wavefront6targetE1EEEvSM_.kd
    .uniform_work_group_size: 1
    .uses_dynamic_stack: false
    .vgpr_count:     0
    .vgpr_spill_count: 0
    .wavefront_size: 64
  - .agpr_count:     0
    .args:
      - .offset:         0
        .size:           72
        .value_kind:     by_value
    .group_segment_fixed_size: 0
    .kernarg_segment_align: 8
    .kernarg_segment_size: 72
    .language:       OpenCL C
    .language_version:
      - 2
      - 0
    .max_flat_workgroup_size: 256
    .name:           _ZN7rocprim17ROCPRIM_400000_NS6detail17trampoline_kernelINS0_14default_configENS1_37merge_sort_block_sort_config_selectorIlNS0_10empty_typeEEEZNS1_21merge_sort_block_sortIS3_PlS8_PS5_S9_ZN2at6native12_GLOBAL__N_124unique_dim_cuda_templateIbEESt5tupleIJNSA_6TensorESF_SF_EERKSF_lbbbEUlllE_EE10hipError_tT0_T1_T2_T3_mRjT4_P12ihipStream_tbNS1_7vsmem_tEEUlT_E_NS1_11comp_targetILNS1_3genE8ELNS1_11target_archE1030ELNS1_3gpuE2ELNS1_3repE0EEENS1_30default_config_static_selectorELNS0_4arch9wavefront6targetE1EEEvSM_
    .private_segment_fixed_size: 0
    .sgpr_count:     6
    .sgpr_spill_count: 0
    .symbol:         _ZN7rocprim17ROCPRIM_400000_NS6detail17trampoline_kernelINS0_14default_configENS1_37merge_sort_block_sort_config_selectorIlNS0_10empty_typeEEEZNS1_21merge_sort_block_sortIS3_PlS8_PS5_S9_ZN2at6native12_GLOBAL__N_124unique_dim_cuda_templateIbEESt5tupleIJNSA_6TensorESF_SF_EERKSF_lbbbEUlllE_EE10hipError_tT0_T1_T2_T3_mRjT4_P12ihipStream_tbNS1_7vsmem_tEEUlT_E_NS1_11comp_targetILNS1_3genE8ELNS1_11target_archE1030ELNS1_3gpuE2ELNS1_3repE0EEENS1_30default_config_static_selectorELNS0_4arch9wavefront6targetE1EEEvSM_.kd
    .uniform_work_group_size: 1
    .uses_dynamic_stack: false
    .vgpr_count:     0
    .vgpr_spill_count: 0
    .wavefront_size: 64
  - .agpr_count:     0
    .args:
      - .offset:         0
        .size:           56
        .value_kind:     by_value
    .group_segment_fixed_size: 0
    .kernarg_segment_align: 8
    .kernarg_segment_size: 56
    .language:       OpenCL C
    .language_version:
      - 2
      - 0
    .max_flat_workgroup_size: 128
    .name:           _ZN7rocprim17ROCPRIM_400000_NS6detail17trampoline_kernelINS0_14default_configENS1_38merge_sort_block_merge_config_selectorIlNS0_10empty_typeEEEZZNS1_27merge_sort_block_merge_implIS3_PlPS5_mZN2at6native12_GLOBAL__N_124unique_dim_cuda_templateIbEESt5tupleIJNSA_6TensorESF_SF_EERKSF_lbbbEUlllE_EE10hipError_tT0_T1_T2_jT3_P12ihipStream_tbPNSt15iterator_traitsISL_E10value_typeEPNSR_ISM_E10value_typeEPSN_NS1_7vsmem_tEENKUlT_SL_SM_SN_E_clIS8_S8_S9_S9_EESK_S10_SL_SM_SN_EUlS10_E_NS1_11comp_targetILNS1_3genE0ELNS1_11target_archE4294967295ELNS1_3gpuE0ELNS1_3repE0EEENS1_48merge_mergepath_partition_config_static_selectorELNS0_4arch9wavefront6targetE1EEEvSM_
    .private_segment_fixed_size: 0
    .sgpr_count:     6
    .sgpr_spill_count: 0
    .symbol:         _ZN7rocprim17ROCPRIM_400000_NS6detail17trampoline_kernelINS0_14default_configENS1_38merge_sort_block_merge_config_selectorIlNS0_10empty_typeEEEZZNS1_27merge_sort_block_merge_implIS3_PlPS5_mZN2at6native12_GLOBAL__N_124unique_dim_cuda_templateIbEESt5tupleIJNSA_6TensorESF_SF_EERKSF_lbbbEUlllE_EE10hipError_tT0_T1_T2_jT3_P12ihipStream_tbPNSt15iterator_traitsISL_E10value_typeEPNSR_ISM_E10value_typeEPSN_NS1_7vsmem_tEENKUlT_SL_SM_SN_E_clIS8_S8_S9_S9_EESK_S10_SL_SM_SN_EUlS10_E_NS1_11comp_targetILNS1_3genE0ELNS1_11target_archE4294967295ELNS1_3gpuE0ELNS1_3repE0EEENS1_48merge_mergepath_partition_config_static_selectorELNS0_4arch9wavefront6targetE1EEEvSM_.kd
    .uniform_work_group_size: 1
    .uses_dynamic_stack: false
    .vgpr_count:     0
    .vgpr_spill_count: 0
    .wavefront_size: 64
  - .agpr_count:     0
    .args:
      - .offset:         0
        .size:           56
        .value_kind:     by_value
    .group_segment_fixed_size: 0
    .kernarg_segment_align: 8
    .kernarg_segment_size: 56
    .language:       OpenCL C
    .language_version:
      - 2
      - 0
    .max_flat_workgroup_size: 128
    .name:           _ZN7rocprim17ROCPRIM_400000_NS6detail17trampoline_kernelINS0_14default_configENS1_38merge_sort_block_merge_config_selectorIlNS0_10empty_typeEEEZZNS1_27merge_sort_block_merge_implIS3_PlPS5_mZN2at6native12_GLOBAL__N_124unique_dim_cuda_templateIbEESt5tupleIJNSA_6TensorESF_SF_EERKSF_lbbbEUlllE_EE10hipError_tT0_T1_T2_jT3_P12ihipStream_tbPNSt15iterator_traitsISL_E10value_typeEPNSR_ISM_E10value_typeEPSN_NS1_7vsmem_tEENKUlT_SL_SM_SN_E_clIS8_S8_S9_S9_EESK_S10_SL_SM_SN_EUlS10_E_NS1_11comp_targetILNS1_3genE10ELNS1_11target_archE1201ELNS1_3gpuE5ELNS1_3repE0EEENS1_48merge_mergepath_partition_config_static_selectorELNS0_4arch9wavefront6targetE1EEEvSM_
    .private_segment_fixed_size: 0
    .sgpr_count:     6
    .sgpr_spill_count: 0
    .symbol:         _ZN7rocprim17ROCPRIM_400000_NS6detail17trampoline_kernelINS0_14default_configENS1_38merge_sort_block_merge_config_selectorIlNS0_10empty_typeEEEZZNS1_27merge_sort_block_merge_implIS3_PlPS5_mZN2at6native12_GLOBAL__N_124unique_dim_cuda_templateIbEESt5tupleIJNSA_6TensorESF_SF_EERKSF_lbbbEUlllE_EE10hipError_tT0_T1_T2_jT3_P12ihipStream_tbPNSt15iterator_traitsISL_E10value_typeEPNSR_ISM_E10value_typeEPSN_NS1_7vsmem_tEENKUlT_SL_SM_SN_E_clIS8_S8_S9_S9_EESK_S10_SL_SM_SN_EUlS10_E_NS1_11comp_targetILNS1_3genE10ELNS1_11target_archE1201ELNS1_3gpuE5ELNS1_3repE0EEENS1_48merge_mergepath_partition_config_static_selectorELNS0_4arch9wavefront6targetE1EEEvSM_.kd
    .uniform_work_group_size: 1
    .uses_dynamic_stack: false
    .vgpr_count:     0
    .vgpr_spill_count: 0
    .wavefront_size: 64
  - .agpr_count:     0
    .args:
      - .offset:         0
        .size:           56
        .value_kind:     by_value
    .group_segment_fixed_size: 0
    .kernarg_segment_align: 8
    .kernarg_segment_size: 56
    .language:       OpenCL C
    .language_version:
      - 2
      - 0
    .max_flat_workgroup_size: 128
    .name:           _ZN7rocprim17ROCPRIM_400000_NS6detail17trampoline_kernelINS0_14default_configENS1_38merge_sort_block_merge_config_selectorIlNS0_10empty_typeEEEZZNS1_27merge_sort_block_merge_implIS3_PlPS5_mZN2at6native12_GLOBAL__N_124unique_dim_cuda_templateIbEESt5tupleIJNSA_6TensorESF_SF_EERKSF_lbbbEUlllE_EE10hipError_tT0_T1_T2_jT3_P12ihipStream_tbPNSt15iterator_traitsISL_E10value_typeEPNSR_ISM_E10value_typeEPSN_NS1_7vsmem_tEENKUlT_SL_SM_SN_E_clIS8_S8_S9_S9_EESK_S10_SL_SM_SN_EUlS10_E_NS1_11comp_targetILNS1_3genE5ELNS1_11target_archE942ELNS1_3gpuE9ELNS1_3repE0EEENS1_48merge_mergepath_partition_config_static_selectorELNS0_4arch9wavefront6targetE1EEEvSM_
    .private_segment_fixed_size: 0
    .sgpr_count:     42
    .sgpr_spill_count: 0
    .symbol:         _ZN7rocprim17ROCPRIM_400000_NS6detail17trampoline_kernelINS0_14default_configENS1_38merge_sort_block_merge_config_selectorIlNS0_10empty_typeEEEZZNS1_27merge_sort_block_merge_implIS3_PlPS5_mZN2at6native12_GLOBAL__N_124unique_dim_cuda_templateIbEESt5tupleIJNSA_6TensorESF_SF_EERKSF_lbbbEUlllE_EE10hipError_tT0_T1_T2_jT3_P12ihipStream_tbPNSt15iterator_traitsISL_E10value_typeEPNSR_ISM_E10value_typeEPSN_NS1_7vsmem_tEENKUlT_SL_SM_SN_E_clIS8_S8_S9_S9_EESK_S10_SL_SM_SN_EUlS10_E_NS1_11comp_targetILNS1_3genE5ELNS1_11target_archE942ELNS1_3gpuE9ELNS1_3repE0EEENS1_48merge_mergepath_partition_config_static_selectorELNS0_4arch9wavefront6targetE1EEEvSM_.kd
    .uniform_work_group_size: 1
    .uses_dynamic_stack: false
    .vgpr_count:     23
    .vgpr_spill_count: 0
    .wavefront_size: 64
  - .agpr_count:     0
    .args:
      - .offset:         0
        .size:           56
        .value_kind:     by_value
    .group_segment_fixed_size: 0
    .kernarg_segment_align: 8
    .kernarg_segment_size: 56
    .language:       OpenCL C
    .language_version:
      - 2
      - 0
    .max_flat_workgroup_size: 128
    .name:           _ZN7rocprim17ROCPRIM_400000_NS6detail17trampoline_kernelINS0_14default_configENS1_38merge_sort_block_merge_config_selectorIlNS0_10empty_typeEEEZZNS1_27merge_sort_block_merge_implIS3_PlPS5_mZN2at6native12_GLOBAL__N_124unique_dim_cuda_templateIbEESt5tupleIJNSA_6TensorESF_SF_EERKSF_lbbbEUlllE_EE10hipError_tT0_T1_T2_jT3_P12ihipStream_tbPNSt15iterator_traitsISL_E10value_typeEPNSR_ISM_E10value_typeEPSN_NS1_7vsmem_tEENKUlT_SL_SM_SN_E_clIS8_S8_S9_S9_EESK_S10_SL_SM_SN_EUlS10_E_NS1_11comp_targetILNS1_3genE4ELNS1_11target_archE910ELNS1_3gpuE8ELNS1_3repE0EEENS1_48merge_mergepath_partition_config_static_selectorELNS0_4arch9wavefront6targetE1EEEvSM_
    .private_segment_fixed_size: 0
    .sgpr_count:     6
    .sgpr_spill_count: 0
    .symbol:         _ZN7rocprim17ROCPRIM_400000_NS6detail17trampoline_kernelINS0_14default_configENS1_38merge_sort_block_merge_config_selectorIlNS0_10empty_typeEEEZZNS1_27merge_sort_block_merge_implIS3_PlPS5_mZN2at6native12_GLOBAL__N_124unique_dim_cuda_templateIbEESt5tupleIJNSA_6TensorESF_SF_EERKSF_lbbbEUlllE_EE10hipError_tT0_T1_T2_jT3_P12ihipStream_tbPNSt15iterator_traitsISL_E10value_typeEPNSR_ISM_E10value_typeEPSN_NS1_7vsmem_tEENKUlT_SL_SM_SN_E_clIS8_S8_S9_S9_EESK_S10_SL_SM_SN_EUlS10_E_NS1_11comp_targetILNS1_3genE4ELNS1_11target_archE910ELNS1_3gpuE8ELNS1_3repE0EEENS1_48merge_mergepath_partition_config_static_selectorELNS0_4arch9wavefront6targetE1EEEvSM_.kd
    .uniform_work_group_size: 1
    .uses_dynamic_stack: false
    .vgpr_count:     0
    .vgpr_spill_count: 0
    .wavefront_size: 64
  - .agpr_count:     0
    .args:
      - .offset:         0
        .size:           56
        .value_kind:     by_value
    .group_segment_fixed_size: 0
    .kernarg_segment_align: 8
    .kernarg_segment_size: 56
    .language:       OpenCL C
    .language_version:
      - 2
      - 0
    .max_flat_workgroup_size: 128
    .name:           _ZN7rocprim17ROCPRIM_400000_NS6detail17trampoline_kernelINS0_14default_configENS1_38merge_sort_block_merge_config_selectorIlNS0_10empty_typeEEEZZNS1_27merge_sort_block_merge_implIS3_PlPS5_mZN2at6native12_GLOBAL__N_124unique_dim_cuda_templateIbEESt5tupleIJNSA_6TensorESF_SF_EERKSF_lbbbEUlllE_EE10hipError_tT0_T1_T2_jT3_P12ihipStream_tbPNSt15iterator_traitsISL_E10value_typeEPNSR_ISM_E10value_typeEPSN_NS1_7vsmem_tEENKUlT_SL_SM_SN_E_clIS8_S8_S9_S9_EESK_S10_SL_SM_SN_EUlS10_E_NS1_11comp_targetILNS1_3genE3ELNS1_11target_archE908ELNS1_3gpuE7ELNS1_3repE0EEENS1_48merge_mergepath_partition_config_static_selectorELNS0_4arch9wavefront6targetE1EEEvSM_
    .private_segment_fixed_size: 0
    .sgpr_count:     6
    .sgpr_spill_count: 0
    .symbol:         _ZN7rocprim17ROCPRIM_400000_NS6detail17trampoline_kernelINS0_14default_configENS1_38merge_sort_block_merge_config_selectorIlNS0_10empty_typeEEEZZNS1_27merge_sort_block_merge_implIS3_PlPS5_mZN2at6native12_GLOBAL__N_124unique_dim_cuda_templateIbEESt5tupleIJNSA_6TensorESF_SF_EERKSF_lbbbEUlllE_EE10hipError_tT0_T1_T2_jT3_P12ihipStream_tbPNSt15iterator_traitsISL_E10value_typeEPNSR_ISM_E10value_typeEPSN_NS1_7vsmem_tEENKUlT_SL_SM_SN_E_clIS8_S8_S9_S9_EESK_S10_SL_SM_SN_EUlS10_E_NS1_11comp_targetILNS1_3genE3ELNS1_11target_archE908ELNS1_3gpuE7ELNS1_3repE0EEENS1_48merge_mergepath_partition_config_static_selectorELNS0_4arch9wavefront6targetE1EEEvSM_.kd
    .uniform_work_group_size: 1
    .uses_dynamic_stack: false
    .vgpr_count:     0
    .vgpr_spill_count: 0
    .wavefront_size: 64
  - .agpr_count:     0
    .args:
      - .offset:         0
        .size:           56
        .value_kind:     by_value
    .group_segment_fixed_size: 0
    .kernarg_segment_align: 8
    .kernarg_segment_size: 56
    .language:       OpenCL C
    .language_version:
      - 2
      - 0
    .max_flat_workgroup_size: 128
    .name:           _ZN7rocprim17ROCPRIM_400000_NS6detail17trampoline_kernelINS0_14default_configENS1_38merge_sort_block_merge_config_selectorIlNS0_10empty_typeEEEZZNS1_27merge_sort_block_merge_implIS3_PlPS5_mZN2at6native12_GLOBAL__N_124unique_dim_cuda_templateIbEESt5tupleIJNSA_6TensorESF_SF_EERKSF_lbbbEUlllE_EE10hipError_tT0_T1_T2_jT3_P12ihipStream_tbPNSt15iterator_traitsISL_E10value_typeEPNSR_ISM_E10value_typeEPSN_NS1_7vsmem_tEENKUlT_SL_SM_SN_E_clIS8_S8_S9_S9_EESK_S10_SL_SM_SN_EUlS10_E_NS1_11comp_targetILNS1_3genE2ELNS1_11target_archE906ELNS1_3gpuE6ELNS1_3repE0EEENS1_48merge_mergepath_partition_config_static_selectorELNS0_4arch9wavefront6targetE1EEEvSM_
    .private_segment_fixed_size: 0
    .sgpr_count:     6
    .sgpr_spill_count: 0
    .symbol:         _ZN7rocprim17ROCPRIM_400000_NS6detail17trampoline_kernelINS0_14default_configENS1_38merge_sort_block_merge_config_selectorIlNS0_10empty_typeEEEZZNS1_27merge_sort_block_merge_implIS3_PlPS5_mZN2at6native12_GLOBAL__N_124unique_dim_cuda_templateIbEESt5tupleIJNSA_6TensorESF_SF_EERKSF_lbbbEUlllE_EE10hipError_tT0_T1_T2_jT3_P12ihipStream_tbPNSt15iterator_traitsISL_E10value_typeEPNSR_ISM_E10value_typeEPSN_NS1_7vsmem_tEENKUlT_SL_SM_SN_E_clIS8_S8_S9_S9_EESK_S10_SL_SM_SN_EUlS10_E_NS1_11comp_targetILNS1_3genE2ELNS1_11target_archE906ELNS1_3gpuE6ELNS1_3repE0EEENS1_48merge_mergepath_partition_config_static_selectorELNS0_4arch9wavefront6targetE1EEEvSM_.kd
    .uniform_work_group_size: 1
    .uses_dynamic_stack: false
    .vgpr_count:     0
    .vgpr_spill_count: 0
    .wavefront_size: 64
  - .agpr_count:     0
    .args:
      - .offset:         0
        .size:           56
        .value_kind:     by_value
    .group_segment_fixed_size: 0
    .kernarg_segment_align: 8
    .kernarg_segment_size: 56
    .language:       OpenCL C
    .language_version:
      - 2
      - 0
    .max_flat_workgroup_size: 128
    .name:           _ZN7rocprim17ROCPRIM_400000_NS6detail17trampoline_kernelINS0_14default_configENS1_38merge_sort_block_merge_config_selectorIlNS0_10empty_typeEEEZZNS1_27merge_sort_block_merge_implIS3_PlPS5_mZN2at6native12_GLOBAL__N_124unique_dim_cuda_templateIbEESt5tupleIJNSA_6TensorESF_SF_EERKSF_lbbbEUlllE_EE10hipError_tT0_T1_T2_jT3_P12ihipStream_tbPNSt15iterator_traitsISL_E10value_typeEPNSR_ISM_E10value_typeEPSN_NS1_7vsmem_tEENKUlT_SL_SM_SN_E_clIS8_S8_S9_S9_EESK_S10_SL_SM_SN_EUlS10_E_NS1_11comp_targetILNS1_3genE9ELNS1_11target_archE1100ELNS1_3gpuE3ELNS1_3repE0EEENS1_48merge_mergepath_partition_config_static_selectorELNS0_4arch9wavefront6targetE1EEEvSM_
    .private_segment_fixed_size: 0
    .sgpr_count:     6
    .sgpr_spill_count: 0
    .symbol:         _ZN7rocprim17ROCPRIM_400000_NS6detail17trampoline_kernelINS0_14default_configENS1_38merge_sort_block_merge_config_selectorIlNS0_10empty_typeEEEZZNS1_27merge_sort_block_merge_implIS3_PlPS5_mZN2at6native12_GLOBAL__N_124unique_dim_cuda_templateIbEESt5tupleIJNSA_6TensorESF_SF_EERKSF_lbbbEUlllE_EE10hipError_tT0_T1_T2_jT3_P12ihipStream_tbPNSt15iterator_traitsISL_E10value_typeEPNSR_ISM_E10value_typeEPSN_NS1_7vsmem_tEENKUlT_SL_SM_SN_E_clIS8_S8_S9_S9_EESK_S10_SL_SM_SN_EUlS10_E_NS1_11comp_targetILNS1_3genE9ELNS1_11target_archE1100ELNS1_3gpuE3ELNS1_3repE0EEENS1_48merge_mergepath_partition_config_static_selectorELNS0_4arch9wavefront6targetE1EEEvSM_.kd
    .uniform_work_group_size: 1
    .uses_dynamic_stack: false
    .vgpr_count:     0
    .vgpr_spill_count: 0
    .wavefront_size: 64
  - .agpr_count:     0
    .args:
      - .offset:         0
        .size:           56
        .value_kind:     by_value
    .group_segment_fixed_size: 0
    .kernarg_segment_align: 8
    .kernarg_segment_size: 56
    .language:       OpenCL C
    .language_version:
      - 2
      - 0
    .max_flat_workgroup_size: 128
    .name:           _ZN7rocprim17ROCPRIM_400000_NS6detail17trampoline_kernelINS0_14default_configENS1_38merge_sort_block_merge_config_selectorIlNS0_10empty_typeEEEZZNS1_27merge_sort_block_merge_implIS3_PlPS5_mZN2at6native12_GLOBAL__N_124unique_dim_cuda_templateIbEESt5tupleIJNSA_6TensorESF_SF_EERKSF_lbbbEUlllE_EE10hipError_tT0_T1_T2_jT3_P12ihipStream_tbPNSt15iterator_traitsISL_E10value_typeEPNSR_ISM_E10value_typeEPSN_NS1_7vsmem_tEENKUlT_SL_SM_SN_E_clIS8_S8_S9_S9_EESK_S10_SL_SM_SN_EUlS10_E_NS1_11comp_targetILNS1_3genE8ELNS1_11target_archE1030ELNS1_3gpuE2ELNS1_3repE0EEENS1_48merge_mergepath_partition_config_static_selectorELNS0_4arch9wavefront6targetE1EEEvSM_
    .private_segment_fixed_size: 0
    .sgpr_count:     6
    .sgpr_spill_count: 0
    .symbol:         _ZN7rocprim17ROCPRIM_400000_NS6detail17trampoline_kernelINS0_14default_configENS1_38merge_sort_block_merge_config_selectorIlNS0_10empty_typeEEEZZNS1_27merge_sort_block_merge_implIS3_PlPS5_mZN2at6native12_GLOBAL__N_124unique_dim_cuda_templateIbEESt5tupleIJNSA_6TensorESF_SF_EERKSF_lbbbEUlllE_EE10hipError_tT0_T1_T2_jT3_P12ihipStream_tbPNSt15iterator_traitsISL_E10value_typeEPNSR_ISM_E10value_typeEPSN_NS1_7vsmem_tEENKUlT_SL_SM_SN_E_clIS8_S8_S9_S9_EESK_S10_SL_SM_SN_EUlS10_E_NS1_11comp_targetILNS1_3genE8ELNS1_11target_archE1030ELNS1_3gpuE2ELNS1_3repE0EEENS1_48merge_mergepath_partition_config_static_selectorELNS0_4arch9wavefront6targetE1EEEvSM_.kd
    .uniform_work_group_size: 1
    .uses_dynamic_stack: false
    .vgpr_count:     0
    .vgpr_spill_count: 0
    .wavefront_size: 64
  - .agpr_count:     0
    .args:
      - .offset:         0
        .size:           88
        .value_kind:     by_value
    .group_segment_fixed_size: 0
    .kernarg_segment_align: 8
    .kernarg_segment_size: 88
    .language:       OpenCL C
    .language_version:
      - 2
      - 0
    .max_flat_workgroup_size: 128
    .name:           _ZN7rocprim17ROCPRIM_400000_NS6detail17trampoline_kernelINS0_14default_configENS1_38merge_sort_block_merge_config_selectorIlNS0_10empty_typeEEEZZNS1_27merge_sort_block_merge_implIS3_PlPS5_mZN2at6native12_GLOBAL__N_124unique_dim_cuda_templateIbEESt5tupleIJNSA_6TensorESF_SF_EERKSF_lbbbEUlllE_EE10hipError_tT0_T1_T2_jT3_P12ihipStream_tbPNSt15iterator_traitsISL_E10value_typeEPNSR_ISM_E10value_typeEPSN_NS1_7vsmem_tEENKUlT_SL_SM_SN_E_clIS8_S8_S9_S9_EESK_S10_SL_SM_SN_EUlS10_E0_NS1_11comp_targetILNS1_3genE0ELNS1_11target_archE4294967295ELNS1_3gpuE0ELNS1_3repE0EEENS1_38merge_mergepath_config_static_selectorELNS0_4arch9wavefront6targetE1EEEvSM_
    .private_segment_fixed_size: 0
    .sgpr_count:     6
    .sgpr_spill_count: 0
    .symbol:         _ZN7rocprim17ROCPRIM_400000_NS6detail17trampoline_kernelINS0_14default_configENS1_38merge_sort_block_merge_config_selectorIlNS0_10empty_typeEEEZZNS1_27merge_sort_block_merge_implIS3_PlPS5_mZN2at6native12_GLOBAL__N_124unique_dim_cuda_templateIbEESt5tupleIJNSA_6TensorESF_SF_EERKSF_lbbbEUlllE_EE10hipError_tT0_T1_T2_jT3_P12ihipStream_tbPNSt15iterator_traitsISL_E10value_typeEPNSR_ISM_E10value_typeEPSN_NS1_7vsmem_tEENKUlT_SL_SM_SN_E_clIS8_S8_S9_S9_EESK_S10_SL_SM_SN_EUlS10_E0_NS1_11comp_targetILNS1_3genE0ELNS1_11target_archE4294967295ELNS1_3gpuE0ELNS1_3repE0EEENS1_38merge_mergepath_config_static_selectorELNS0_4arch9wavefront6targetE1EEEvSM_.kd
    .uniform_work_group_size: 1
    .uses_dynamic_stack: false
    .vgpr_count:     0
    .vgpr_spill_count: 0
    .wavefront_size: 64
  - .agpr_count:     0
    .args:
      - .offset:         0
        .size:           88
        .value_kind:     by_value
    .group_segment_fixed_size: 0
    .kernarg_segment_align: 8
    .kernarg_segment_size: 88
    .language:       OpenCL C
    .language_version:
      - 2
      - 0
    .max_flat_workgroup_size: 512
    .name:           _ZN7rocprim17ROCPRIM_400000_NS6detail17trampoline_kernelINS0_14default_configENS1_38merge_sort_block_merge_config_selectorIlNS0_10empty_typeEEEZZNS1_27merge_sort_block_merge_implIS3_PlPS5_mZN2at6native12_GLOBAL__N_124unique_dim_cuda_templateIbEESt5tupleIJNSA_6TensorESF_SF_EERKSF_lbbbEUlllE_EE10hipError_tT0_T1_T2_jT3_P12ihipStream_tbPNSt15iterator_traitsISL_E10value_typeEPNSR_ISM_E10value_typeEPSN_NS1_7vsmem_tEENKUlT_SL_SM_SN_E_clIS8_S8_S9_S9_EESK_S10_SL_SM_SN_EUlS10_E0_NS1_11comp_targetILNS1_3genE10ELNS1_11target_archE1201ELNS1_3gpuE5ELNS1_3repE0EEENS1_38merge_mergepath_config_static_selectorELNS0_4arch9wavefront6targetE1EEEvSM_
    .private_segment_fixed_size: 0
    .sgpr_count:     6
    .sgpr_spill_count: 0
    .symbol:         _ZN7rocprim17ROCPRIM_400000_NS6detail17trampoline_kernelINS0_14default_configENS1_38merge_sort_block_merge_config_selectorIlNS0_10empty_typeEEEZZNS1_27merge_sort_block_merge_implIS3_PlPS5_mZN2at6native12_GLOBAL__N_124unique_dim_cuda_templateIbEESt5tupleIJNSA_6TensorESF_SF_EERKSF_lbbbEUlllE_EE10hipError_tT0_T1_T2_jT3_P12ihipStream_tbPNSt15iterator_traitsISL_E10value_typeEPNSR_ISM_E10value_typeEPSN_NS1_7vsmem_tEENKUlT_SL_SM_SN_E_clIS8_S8_S9_S9_EESK_S10_SL_SM_SN_EUlS10_E0_NS1_11comp_targetILNS1_3genE10ELNS1_11target_archE1201ELNS1_3gpuE5ELNS1_3repE0EEENS1_38merge_mergepath_config_static_selectorELNS0_4arch9wavefront6targetE1EEEvSM_.kd
    .uniform_work_group_size: 1
    .uses_dynamic_stack: false
    .vgpr_count:     0
    .vgpr_spill_count: 0
    .wavefront_size: 64
  - .agpr_count:     0
    .args:
      - .offset:         0
        .size:           88
        .value_kind:     by_value
      - .offset:         88
        .size:           4
        .value_kind:     hidden_block_count_x
      - .offset:         92
        .size:           4
        .value_kind:     hidden_block_count_y
      - .offset:         96
        .size:           4
        .value_kind:     hidden_block_count_z
      - .offset:         100
        .size:           2
        .value_kind:     hidden_group_size_x
      - .offset:         102
        .size:           2
        .value_kind:     hidden_group_size_y
      - .offset:         104
        .size:           2
        .value_kind:     hidden_group_size_z
      - .offset:         106
        .size:           2
        .value_kind:     hidden_remainder_x
      - .offset:         108
        .size:           2
        .value_kind:     hidden_remainder_y
      - .offset:         110
        .size:           2
        .value_kind:     hidden_remainder_z
      - .offset:         128
        .size:           8
        .value_kind:     hidden_global_offset_x
      - .offset:         136
        .size:           8
        .value_kind:     hidden_global_offset_y
      - .offset:         144
        .size:           8
        .value_kind:     hidden_global_offset_z
      - .offset:         152
        .size:           2
        .value_kind:     hidden_grid_dims
    .group_segment_fixed_size: 8448
    .kernarg_segment_align: 8
    .kernarg_segment_size: 344
    .language:       OpenCL C
    .language_version:
      - 2
      - 0
    .max_flat_workgroup_size: 128
    .name:           _ZN7rocprim17ROCPRIM_400000_NS6detail17trampoline_kernelINS0_14default_configENS1_38merge_sort_block_merge_config_selectorIlNS0_10empty_typeEEEZZNS1_27merge_sort_block_merge_implIS3_PlPS5_mZN2at6native12_GLOBAL__N_124unique_dim_cuda_templateIbEESt5tupleIJNSA_6TensorESF_SF_EERKSF_lbbbEUlllE_EE10hipError_tT0_T1_T2_jT3_P12ihipStream_tbPNSt15iterator_traitsISL_E10value_typeEPNSR_ISM_E10value_typeEPSN_NS1_7vsmem_tEENKUlT_SL_SM_SN_E_clIS8_S8_S9_S9_EESK_S10_SL_SM_SN_EUlS10_E0_NS1_11comp_targetILNS1_3genE5ELNS1_11target_archE942ELNS1_3gpuE9ELNS1_3repE0EEENS1_38merge_mergepath_config_static_selectorELNS0_4arch9wavefront6targetE1EEEvSM_
    .private_segment_fixed_size: 0
    .sgpr_count:     64
    .sgpr_spill_count: 0
    .symbol:         _ZN7rocprim17ROCPRIM_400000_NS6detail17trampoline_kernelINS0_14default_configENS1_38merge_sort_block_merge_config_selectorIlNS0_10empty_typeEEEZZNS1_27merge_sort_block_merge_implIS3_PlPS5_mZN2at6native12_GLOBAL__N_124unique_dim_cuda_templateIbEESt5tupleIJNSA_6TensorESF_SF_EERKSF_lbbbEUlllE_EE10hipError_tT0_T1_T2_jT3_P12ihipStream_tbPNSt15iterator_traitsISL_E10value_typeEPNSR_ISM_E10value_typeEPSN_NS1_7vsmem_tEENKUlT_SL_SM_SN_E_clIS8_S8_S9_S9_EESK_S10_SL_SM_SN_EUlS10_E0_NS1_11comp_targetILNS1_3genE5ELNS1_11target_archE942ELNS1_3gpuE9ELNS1_3repE0EEENS1_38merge_mergepath_config_static_selectorELNS0_4arch9wavefront6targetE1EEEvSM_.kd
    .uniform_work_group_size: 1
    .uses_dynamic_stack: false
    .vgpr_count:     42
    .vgpr_spill_count: 0
    .wavefront_size: 64
  - .agpr_count:     0
    .args:
      - .offset:         0
        .size:           88
        .value_kind:     by_value
    .group_segment_fixed_size: 0
    .kernarg_segment_align: 8
    .kernarg_segment_size: 88
    .language:       OpenCL C
    .language_version:
      - 2
      - 0
    .max_flat_workgroup_size: 256
    .name:           _ZN7rocprim17ROCPRIM_400000_NS6detail17trampoline_kernelINS0_14default_configENS1_38merge_sort_block_merge_config_selectorIlNS0_10empty_typeEEEZZNS1_27merge_sort_block_merge_implIS3_PlPS5_mZN2at6native12_GLOBAL__N_124unique_dim_cuda_templateIbEESt5tupleIJNSA_6TensorESF_SF_EERKSF_lbbbEUlllE_EE10hipError_tT0_T1_T2_jT3_P12ihipStream_tbPNSt15iterator_traitsISL_E10value_typeEPNSR_ISM_E10value_typeEPSN_NS1_7vsmem_tEENKUlT_SL_SM_SN_E_clIS8_S8_S9_S9_EESK_S10_SL_SM_SN_EUlS10_E0_NS1_11comp_targetILNS1_3genE4ELNS1_11target_archE910ELNS1_3gpuE8ELNS1_3repE0EEENS1_38merge_mergepath_config_static_selectorELNS0_4arch9wavefront6targetE1EEEvSM_
    .private_segment_fixed_size: 0
    .sgpr_count:     6
    .sgpr_spill_count: 0
    .symbol:         _ZN7rocprim17ROCPRIM_400000_NS6detail17trampoline_kernelINS0_14default_configENS1_38merge_sort_block_merge_config_selectorIlNS0_10empty_typeEEEZZNS1_27merge_sort_block_merge_implIS3_PlPS5_mZN2at6native12_GLOBAL__N_124unique_dim_cuda_templateIbEESt5tupleIJNSA_6TensorESF_SF_EERKSF_lbbbEUlllE_EE10hipError_tT0_T1_T2_jT3_P12ihipStream_tbPNSt15iterator_traitsISL_E10value_typeEPNSR_ISM_E10value_typeEPSN_NS1_7vsmem_tEENKUlT_SL_SM_SN_E_clIS8_S8_S9_S9_EESK_S10_SL_SM_SN_EUlS10_E0_NS1_11comp_targetILNS1_3genE4ELNS1_11target_archE910ELNS1_3gpuE8ELNS1_3repE0EEENS1_38merge_mergepath_config_static_selectorELNS0_4arch9wavefront6targetE1EEEvSM_.kd
    .uniform_work_group_size: 1
    .uses_dynamic_stack: false
    .vgpr_count:     0
    .vgpr_spill_count: 0
    .wavefront_size: 64
  - .agpr_count:     0
    .args:
      - .offset:         0
        .size:           88
        .value_kind:     by_value
    .group_segment_fixed_size: 0
    .kernarg_segment_align: 8
    .kernarg_segment_size: 88
    .language:       OpenCL C
    .language_version:
      - 2
      - 0
    .max_flat_workgroup_size: 128
    .name:           _ZN7rocprim17ROCPRIM_400000_NS6detail17trampoline_kernelINS0_14default_configENS1_38merge_sort_block_merge_config_selectorIlNS0_10empty_typeEEEZZNS1_27merge_sort_block_merge_implIS3_PlPS5_mZN2at6native12_GLOBAL__N_124unique_dim_cuda_templateIbEESt5tupleIJNSA_6TensorESF_SF_EERKSF_lbbbEUlllE_EE10hipError_tT0_T1_T2_jT3_P12ihipStream_tbPNSt15iterator_traitsISL_E10value_typeEPNSR_ISM_E10value_typeEPSN_NS1_7vsmem_tEENKUlT_SL_SM_SN_E_clIS8_S8_S9_S9_EESK_S10_SL_SM_SN_EUlS10_E0_NS1_11comp_targetILNS1_3genE3ELNS1_11target_archE908ELNS1_3gpuE7ELNS1_3repE0EEENS1_38merge_mergepath_config_static_selectorELNS0_4arch9wavefront6targetE1EEEvSM_
    .private_segment_fixed_size: 0
    .sgpr_count:     6
    .sgpr_spill_count: 0
    .symbol:         _ZN7rocprim17ROCPRIM_400000_NS6detail17trampoline_kernelINS0_14default_configENS1_38merge_sort_block_merge_config_selectorIlNS0_10empty_typeEEEZZNS1_27merge_sort_block_merge_implIS3_PlPS5_mZN2at6native12_GLOBAL__N_124unique_dim_cuda_templateIbEESt5tupleIJNSA_6TensorESF_SF_EERKSF_lbbbEUlllE_EE10hipError_tT0_T1_T2_jT3_P12ihipStream_tbPNSt15iterator_traitsISL_E10value_typeEPNSR_ISM_E10value_typeEPSN_NS1_7vsmem_tEENKUlT_SL_SM_SN_E_clIS8_S8_S9_S9_EESK_S10_SL_SM_SN_EUlS10_E0_NS1_11comp_targetILNS1_3genE3ELNS1_11target_archE908ELNS1_3gpuE7ELNS1_3repE0EEENS1_38merge_mergepath_config_static_selectorELNS0_4arch9wavefront6targetE1EEEvSM_.kd
    .uniform_work_group_size: 1
    .uses_dynamic_stack: false
    .vgpr_count:     0
    .vgpr_spill_count: 0
    .wavefront_size: 64
  - .agpr_count:     0
    .args:
      - .offset:         0
        .size:           88
        .value_kind:     by_value
    .group_segment_fixed_size: 0
    .kernarg_segment_align: 8
    .kernarg_segment_size: 88
    .language:       OpenCL C
    .language_version:
      - 2
      - 0
    .max_flat_workgroup_size: 256
    .name:           _ZN7rocprim17ROCPRIM_400000_NS6detail17trampoline_kernelINS0_14default_configENS1_38merge_sort_block_merge_config_selectorIlNS0_10empty_typeEEEZZNS1_27merge_sort_block_merge_implIS3_PlPS5_mZN2at6native12_GLOBAL__N_124unique_dim_cuda_templateIbEESt5tupleIJNSA_6TensorESF_SF_EERKSF_lbbbEUlllE_EE10hipError_tT0_T1_T2_jT3_P12ihipStream_tbPNSt15iterator_traitsISL_E10value_typeEPNSR_ISM_E10value_typeEPSN_NS1_7vsmem_tEENKUlT_SL_SM_SN_E_clIS8_S8_S9_S9_EESK_S10_SL_SM_SN_EUlS10_E0_NS1_11comp_targetILNS1_3genE2ELNS1_11target_archE906ELNS1_3gpuE6ELNS1_3repE0EEENS1_38merge_mergepath_config_static_selectorELNS0_4arch9wavefront6targetE1EEEvSM_
    .private_segment_fixed_size: 0
    .sgpr_count:     6
    .sgpr_spill_count: 0
    .symbol:         _ZN7rocprim17ROCPRIM_400000_NS6detail17trampoline_kernelINS0_14default_configENS1_38merge_sort_block_merge_config_selectorIlNS0_10empty_typeEEEZZNS1_27merge_sort_block_merge_implIS3_PlPS5_mZN2at6native12_GLOBAL__N_124unique_dim_cuda_templateIbEESt5tupleIJNSA_6TensorESF_SF_EERKSF_lbbbEUlllE_EE10hipError_tT0_T1_T2_jT3_P12ihipStream_tbPNSt15iterator_traitsISL_E10value_typeEPNSR_ISM_E10value_typeEPSN_NS1_7vsmem_tEENKUlT_SL_SM_SN_E_clIS8_S8_S9_S9_EESK_S10_SL_SM_SN_EUlS10_E0_NS1_11comp_targetILNS1_3genE2ELNS1_11target_archE906ELNS1_3gpuE6ELNS1_3repE0EEENS1_38merge_mergepath_config_static_selectorELNS0_4arch9wavefront6targetE1EEEvSM_.kd
    .uniform_work_group_size: 1
    .uses_dynamic_stack: false
    .vgpr_count:     0
    .vgpr_spill_count: 0
    .wavefront_size: 64
  - .agpr_count:     0
    .args:
      - .offset:         0
        .size:           88
        .value_kind:     by_value
    .group_segment_fixed_size: 0
    .kernarg_segment_align: 8
    .kernarg_segment_size: 88
    .language:       OpenCL C
    .language_version:
      - 2
      - 0
    .max_flat_workgroup_size: 512
    .name:           _ZN7rocprim17ROCPRIM_400000_NS6detail17trampoline_kernelINS0_14default_configENS1_38merge_sort_block_merge_config_selectorIlNS0_10empty_typeEEEZZNS1_27merge_sort_block_merge_implIS3_PlPS5_mZN2at6native12_GLOBAL__N_124unique_dim_cuda_templateIbEESt5tupleIJNSA_6TensorESF_SF_EERKSF_lbbbEUlllE_EE10hipError_tT0_T1_T2_jT3_P12ihipStream_tbPNSt15iterator_traitsISL_E10value_typeEPNSR_ISM_E10value_typeEPSN_NS1_7vsmem_tEENKUlT_SL_SM_SN_E_clIS8_S8_S9_S9_EESK_S10_SL_SM_SN_EUlS10_E0_NS1_11comp_targetILNS1_3genE9ELNS1_11target_archE1100ELNS1_3gpuE3ELNS1_3repE0EEENS1_38merge_mergepath_config_static_selectorELNS0_4arch9wavefront6targetE1EEEvSM_
    .private_segment_fixed_size: 0
    .sgpr_count:     6
    .sgpr_spill_count: 0
    .symbol:         _ZN7rocprim17ROCPRIM_400000_NS6detail17trampoline_kernelINS0_14default_configENS1_38merge_sort_block_merge_config_selectorIlNS0_10empty_typeEEEZZNS1_27merge_sort_block_merge_implIS3_PlPS5_mZN2at6native12_GLOBAL__N_124unique_dim_cuda_templateIbEESt5tupleIJNSA_6TensorESF_SF_EERKSF_lbbbEUlllE_EE10hipError_tT0_T1_T2_jT3_P12ihipStream_tbPNSt15iterator_traitsISL_E10value_typeEPNSR_ISM_E10value_typeEPSN_NS1_7vsmem_tEENKUlT_SL_SM_SN_E_clIS8_S8_S9_S9_EESK_S10_SL_SM_SN_EUlS10_E0_NS1_11comp_targetILNS1_3genE9ELNS1_11target_archE1100ELNS1_3gpuE3ELNS1_3repE0EEENS1_38merge_mergepath_config_static_selectorELNS0_4arch9wavefront6targetE1EEEvSM_.kd
    .uniform_work_group_size: 1
    .uses_dynamic_stack: false
    .vgpr_count:     0
    .vgpr_spill_count: 0
    .wavefront_size: 64
  - .agpr_count:     0
    .args:
      - .offset:         0
        .size:           88
        .value_kind:     by_value
    .group_segment_fixed_size: 0
    .kernarg_segment_align: 8
    .kernarg_segment_size: 88
    .language:       OpenCL C
    .language_version:
      - 2
      - 0
    .max_flat_workgroup_size: 1024
    .name:           _ZN7rocprim17ROCPRIM_400000_NS6detail17trampoline_kernelINS0_14default_configENS1_38merge_sort_block_merge_config_selectorIlNS0_10empty_typeEEEZZNS1_27merge_sort_block_merge_implIS3_PlPS5_mZN2at6native12_GLOBAL__N_124unique_dim_cuda_templateIbEESt5tupleIJNSA_6TensorESF_SF_EERKSF_lbbbEUlllE_EE10hipError_tT0_T1_T2_jT3_P12ihipStream_tbPNSt15iterator_traitsISL_E10value_typeEPNSR_ISM_E10value_typeEPSN_NS1_7vsmem_tEENKUlT_SL_SM_SN_E_clIS8_S8_S9_S9_EESK_S10_SL_SM_SN_EUlS10_E0_NS1_11comp_targetILNS1_3genE8ELNS1_11target_archE1030ELNS1_3gpuE2ELNS1_3repE0EEENS1_38merge_mergepath_config_static_selectorELNS0_4arch9wavefront6targetE1EEEvSM_
    .private_segment_fixed_size: 0
    .sgpr_count:     6
    .sgpr_spill_count: 0
    .symbol:         _ZN7rocprim17ROCPRIM_400000_NS6detail17trampoline_kernelINS0_14default_configENS1_38merge_sort_block_merge_config_selectorIlNS0_10empty_typeEEEZZNS1_27merge_sort_block_merge_implIS3_PlPS5_mZN2at6native12_GLOBAL__N_124unique_dim_cuda_templateIbEESt5tupleIJNSA_6TensorESF_SF_EERKSF_lbbbEUlllE_EE10hipError_tT0_T1_T2_jT3_P12ihipStream_tbPNSt15iterator_traitsISL_E10value_typeEPNSR_ISM_E10value_typeEPSN_NS1_7vsmem_tEENKUlT_SL_SM_SN_E_clIS8_S8_S9_S9_EESK_S10_SL_SM_SN_EUlS10_E0_NS1_11comp_targetILNS1_3genE8ELNS1_11target_archE1030ELNS1_3gpuE2ELNS1_3repE0EEENS1_38merge_mergepath_config_static_selectorELNS0_4arch9wavefront6targetE1EEEvSM_.kd
    .uniform_work_group_size: 1
    .uses_dynamic_stack: false
    .vgpr_count:     0
    .vgpr_spill_count: 0
    .wavefront_size: 64
  - .agpr_count:     0
    .args:
      - .offset:         0
        .size:           64
        .value_kind:     by_value
    .group_segment_fixed_size: 0
    .kernarg_segment_align: 8
    .kernarg_segment_size: 64
    .language:       OpenCL C
    .language_version:
      - 2
      - 0
    .max_flat_workgroup_size: 256
    .name:           _ZN7rocprim17ROCPRIM_400000_NS6detail17trampoline_kernelINS0_14default_configENS1_38merge_sort_block_merge_config_selectorIlNS0_10empty_typeEEEZZNS1_27merge_sort_block_merge_implIS3_PlPS5_mZN2at6native12_GLOBAL__N_124unique_dim_cuda_templateIbEESt5tupleIJNSA_6TensorESF_SF_EERKSF_lbbbEUlllE_EE10hipError_tT0_T1_T2_jT3_P12ihipStream_tbPNSt15iterator_traitsISL_E10value_typeEPNSR_ISM_E10value_typeEPSN_NS1_7vsmem_tEENKUlT_SL_SM_SN_E_clIS8_S8_S9_S9_EESK_S10_SL_SM_SN_EUlS10_E1_NS1_11comp_targetILNS1_3genE0ELNS1_11target_archE4294967295ELNS1_3gpuE0ELNS1_3repE0EEENS1_36merge_oddeven_config_static_selectorELNS0_4arch9wavefront6targetE1EEEvSM_
    .private_segment_fixed_size: 0
    .sgpr_count:     6
    .sgpr_spill_count: 0
    .symbol:         _ZN7rocprim17ROCPRIM_400000_NS6detail17trampoline_kernelINS0_14default_configENS1_38merge_sort_block_merge_config_selectorIlNS0_10empty_typeEEEZZNS1_27merge_sort_block_merge_implIS3_PlPS5_mZN2at6native12_GLOBAL__N_124unique_dim_cuda_templateIbEESt5tupleIJNSA_6TensorESF_SF_EERKSF_lbbbEUlllE_EE10hipError_tT0_T1_T2_jT3_P12ihipStream_tbPNSt15iterator_traitsISL_E10value_typeEPNSR_ISM_E10value_typeEPSN_NS1_7vsmem_tEENKUlT_SL_SM_SN_E_clIS8_S8_S9_S9_EESK_S10_SL_SM_SN_EUlS10_E1_NS1_11comp_targetILNS1_3genE0ELNS1_11target_archE4294967295ELNS1_3gpuE0ELNS1_3repE0EEENS1_36merge_oddeven_config_static_selectorELNS0_4arch9wavefront6targetE1EEEvSM_.kd
    .uniform_work_group_size: 1
    .uses_dynamic_stack: false
    .vgpr_count:     0
    .vgpr_spill_count: 0
    .wavefront_size: 64
  - .agpr_count:     0
    .args:
      - .offset:         0
        .size:           64
        .value_kind:     by_value
    .group_segment_fixed_size: 0
    .kernarg_segment_align: 8
    .kernarg_segment_size: 64
    .language:       OpenCL C
    .language_version:
      - 2
      - 0
    .max_flat_workgroup_size: 256
    .name:           _ZN7rocprim17ROCPRIM_400000_NS6detail17trampoline_kernelINS0_14default_configENS1_38merge_sort_block_merge_config_selectorIlNS0_10empty_typeEEEZZNS1_27merge_sort_block_merge_implIS3_PlPS5_mZN2at6native12_GLOBAL__N_124unique_dim_cuda_templateIbEESt5tupleIJNSA_6TensorESF_SF_EERKSF_lbbbEUlllE_EE10hipError_tT0_T1_T2_jT3_P12ihipStream_tbPNSt15iterator_traitsISL_E10value_typeEPNSR_ISM_E10value_typeEPSN_NS1_7vsmem_tEENKUlT_SL_SM_SN_E_clIS8_S8_S9_S9_EESK_S10_SL_SM_SN_EUlS10_E1_NS1_11comp_targetILNS1_3genE10ELNS1_11target_archE1201ELNS1_3gpuE5ELNS1_3repE0EEENS1_36merge_oddeven_config_static_selectorELNS0_4arch9wavefront6targetE1EEEvSM_
    .private_segment_fixed_size: 0
    .sgpr_count:     6
    .sgpr_spill_count: 0
    .symbol:         _ZN7rocprim17ROCPRIM_400000_NS6detail17trampoline_kernelINS0_14default_configENS1_38merge_sort_block_merge_config_selectorIlNS0_10empty_typeEEEZZNS1_27merge_sort_block_merge_implIS3_PlPS5_mZN2at6native12_GLOBAL__N_124unique_dim_cuda_templateIbEESt5tupleIJNSA_6TensorESF_SF_EERKSF_lbbbEUlllE_EE10hipError_tT0_T1_T2_jT3_P12ihipStream_tbPNSt15iterator_traitsISL_E10value_typeEPNSR_ISM_E10value_typeEPSN_NS1_7vsmem_tEENKUlT_SL_SM_SN_E_clIS8_S8_S9_S9_EESK_S10_SL_SM_SN_EUlS10_E1_NS1_11comp_targetILNS1_3genE10ELNS1_11target_archE1201ELNS1_3gpuE5ELNS1_3repE0EEENS1_36merge_oddeven_config_static_selectorELNS0_4arch9wavefront6targetE1EEEvSM_.kd
    .uniform_work_group_size: 1
    .uses_dynamic_stack: false
    .vgpr_count:     0
    .vgpr_spill_count: 0
    .wavefront_size: 64
  - .agpr_count:     0
    .args:
      - .offset:         0
        .size:           64
        .value_kind:     by_value
    .group_segment_fixed_size: 0
    .kernarg_segment_align: 8
    .kernarg_segment_size: 64
    .language:       OpenCL C
    .language_version:
      - 2
      - 0
    .max_flat_workgroup_size: 256
    .name:           _ZN7rocprim17ROCPRIM_400000_NS6detail17trampoline_kernelINS0_14default_configENS1_38merge_sort_block_merge_config_selectorIlNS0_10empty_typeEEEZZNS1_27merge_sort_block_merge_implIS3_PlPS5_mZN2at6native12_GLOBAL__N_124unique_dim_cuda_templateIbEESt5tupleIJNSA_6TensorESF_SF_EERKSF_lbbbEUlllE_EE10hipError_tT0_T1_T2_jT3_P12ihipStream_tbPNSt15iterator_traitsISL_E10value_typeEPNSR_ISM_E10value_typeEPSN_NS1_7vsmem_tEENKUlT_SL_SM_SN_E_clIS8_S8_S9_S9_EESK_S10_SL_SM_SN_EUlS10_E1_NS1_11comp_targetILNS1_3genE5ELNS1_11target_archE942ELNS1_3gpuE9ELNS1_3repE0EEENS1_36merge_oddeven_config_static_selectorELNS0_4arch9wavefront6targetE1EEEvSM_
    .private_segment_fixed_size: 0
    .sgpr_count:     52
    .sgpr_spill_count: 0
    .symbol:         _ZN7rocprim17ROCPRIM_400000_NS6detail17trampoline_kernelINS0_14default_configENS1_38merge_sort_block_merge_config_selectorIlNS0_10empty_typeEEEZZNS1_27merge_sort_block_merge_implIS3_PlPS5_mZN2at6native12_GLOBAL__N_124unique_dim_cuda_templateIbEESt5tupleIJNSA_6TensorESF_SF_EERKSF_lbbbEUlllE_EE10hipError_tT0_T1_T2_jT3_P12ihipStream_tbPNSt15iterator_traitsISL_E10value_typeEPNSR_ISM_E10value_typeEPSN_NS1_7vsmem_tEENKUlT_SL_SM_SN_E_clIS8_S8_S9_S9_EESK_S10_SL_SM_SN_EUlS10_E1_NS1_11comp_targetILNS1_3genE5ELNS1_11target_archE942ELNS1_3gpuE9ELNS1_3repE0EEENS1_36merge_oddeven_config_static_selectorELNS0_4arch9wavefront6targetE1EEEvSM_.kd
    .uniform_work_group_size: 1
    .uses_dynamic_stack: false
    .vgpr_count:     19
    .vgpr_spill_count: 0
    .wavefront_size: 64
  - .agpr_count:     0
    .args:
      - .offset:         0
        .size:           64
        .value_kind:     by_value
    .group_segment_fixed_size: 0
    .kernarg_segment_align: 8
    .kernarg_segment_size: 64
    .language:       OpenCL C
    .language_version:
      - 2
      - 0
    .max_flat_workgroup_size: 256
    .name:           _ZN7rocprim17ROCPRIM_400000_NS6detail17trampoline_kernelINS0_14default_configENS1_38merge_sort_block_merge_config_selectorIlNS0_10empty_typeEEEZZNS1_27merge_sort_block_merge_implIS3_PlPS5_mZN2at6native12_GLOBAL__N_124unique_dim_cuda_templateIbEESt5tupleIJNSA_6TensorESF_SF_EERKSF_lbbbEUlllE_EE10hipError_tT0_T1_T2_jT3_P12ihipStream_tbPNSt15iterator_traitsISL_E10value_typeEPNSR_ISM_E10value_typeEPSN_NS1_7vsmem_tEENKUlT_SL_SM_SN_E_clIS8_S8_S9_S9_EESK_S10_SL_SM_SN_EUlS10_E1_NS1_11comp_targetILNS1_3genE4ELNS1_11target_archE910ELNS1_3gpuE8ELNS1_3repE0EEENS1_36merge_oddeven_config_static_selectorELNS0_4arch9wavefront6targetE1EEEvSM_
    .private_segment_fixed_size: 0
    .sgpr_count:     6
    .sgpr_spill_count: 0
    .symbol:         _ZN7rocprim17ROCPRIM_400000_NS6detail17trampoline_kernelINS0_14default_configENS1_38merge_sort_block_merge_config_selectorIlNS0_10empty_typeEEEZZNS1_27merge_sort_block_merge_implIS3_PlPS5_mZN2at6native12_GLOBAL__N_124unique_dim_cuda_templateIbEESt5tupleIJNSA_6TensorESF_SF_EERKSF_lbbbEUlllE_EE10hipError_tT0_T1_T2_jT3_P12ihipStream_tbPNSt15iterator_traitsISL_E10value_typeEPNSR_ISM_E10value_typeEPSN_NS1_7vsmem_tEENKUlT_SL_SM_SN_E_clIS8_S8_S9_S9_EESK_S10_SL_SM_SN_EUlS10_E1_NS1_11comp_targetILNS1_3genE4ELNS1_11target_archE910ELNS1_3gpuE8ELNS1_3repE0EEENS1_36merge_oddeven_config_static_selectorELNS0_4arch9wavefront6targetE1EEEvSM_.kd
    .uniform_work_group_size: 1
    .uses_dynamic_stack: false
    .vgpr_count:     0
    .vgpr_spill_count: 0
    .wavefront_size: 64
  - .agpr_count:     0
    .args:
      - .offset:         0
        .size:           64
        .value_kind:     by_value
    .group_segment_fixed_size: 0
    .kernarg_segment_align: 8
    .kernarg_segment_size: 64
    .language:       OpenCL C
    .language_version:
      - 2
      - 0
    .max_flat_workgroup_size: 256
    .name:           _ZN7rocprim17ROCPRIM_400000_NS6detail17trampoline_kernelINS0_14default_configENS1_38merge_sort_block_merge_config_selectorIlNS0_10empty_typeEEEZZNS1_27merge_sort_block_merge_implIS3_PlPS5_mZN2at6native12_GLOBAL__N_124unique_dim_cuda_templateIbEESt5tupleIJNSA_6TensorESF_SF_EERKSF_lbbbEUlllE_EE10hipError_tT0_T1_T2_jT3_P12ihipStream_tbPNSt15iterator_traitsISL_E10value_typeEPNSR_ISM_E10value_typeEPSN_NS1_7vsmem_tEENKUlT_SL_SM_SN_E_clIS8_S8_S9_S9_EESK_S10_SL_SM_SN_EUlS10_E1_NS1_11comp_targetILNS1_3genE3ELNS1_11target_archE908ELNS1_3gpuE7ELNS1_3repE0EEENS1_36merge_oddeven_config_static_selectorELNS0_4arch9wavefront6targetE1EEEvSM_
    .private_segment_fixed_size: 0
    .sgpr_count:     6
    .sgpr_spill_count: 0
    .symbol:         _ZN7rocprim17ROCPRIM_400000_NS6detail17trampoline_kernelINS0_14default_configENS1_38merge_sort_block_merge_config_selectorIlNS0_10empty_typeEEEZZNS1_27merge_sort_block_merge_implIS3_PlPS5_mZN2at6native12_GLOBAL__N_124unique_dim_cuda_templateIbEESt5tupleIJNSA_6TensorESF_SF_EERKSF_lbbbEUlllE_EE10hipError_tT0_T1_T2_jT3_P12ihipStream_tbPNSt15iterator_traitsISL_E10value_typeEPNSR_ISM_E10value_typeEPSN_NS1_7vsmem_tEENKUlT_SL_SM_SN_E_clIS8_S8_S9_S9_EESK_S10_SL_SM_SN_EUlS10_E1_NS1_11comp_targetILNS1_3genE3ELNS1_11target_archE908ELNS1_3gpuE7ELNS1_3repE0EEENS1_36merge_oddeven_config_static_selectorELNS0_4arch9wavefront6targetE1EEEvSM_.kd
    .uniform_work_group_size: 1
    .uses_dynamic_stack: false
    .vgpr_count:     0
    .vgpr_spill_count: 0
    .wavefront_size: 64
  - .agpr_count:     0
    .args:
      - .offset:         0
        .size:           64
        .value_kind:     by_value
    .group_segment_fixed_size: 0
    .kernarg_segment_align: 8
    .kernarg_segment_size: 64
    .language:       OpenCL C
    .language_version:
      - 2
      - 0
    .max_flat_workgroup_size: 256
    .name:           _ZN7rocprim17ROCPRIM_400000_NS6detail17trampoline_kernelINS0_14default_configENS1_38merge_sort_block_merge_config_selectorIlNS0_10empty_typeEEEZZNS1_27merge_sort_block_merge_implIS3_PlPS5_mZN2at6native12_GLOBAL__N_124unique_dim_cuda_templateIbEESt5tupleIJNSA_6TensorESF_SF_EERKSF_lbbbEUlllE_EE10hipError_tT0_T1_T2_jT3_P12ihipStream_tbPNSt15iterator_traitsISL_E10value_typeEPNSR_ISM_E10value_typeEPSN_NS1_7vsmem_tEENKUlT_SL_SM_SN_E_clIS8_S8_S9_S9_EESK_S10_SL_SM_SN_EUlS10_E1_NS1_11comp_targetILNS1_3genE2ELNS1_11target_archE906ELNS1_3gpuE6ELNS1_3repE0EEENS1_36merge_oddeven_config_static_selectorELNS0_4arch9wavefront6targetE1EEEvSM_
    .private_segment_fixed_size: 0
    .sgpr_count:     6
    .sgpr_spill_count: 0
    .symbol:         _ZN7rocprim17ROCPRIM_400000_NS6detail17trampoline_kernelINS0_14default_configENS1_38merge_sort_block_merge_config_selectorIlNS0_10empty_typeEEEZZNS1_27merge_sort_block_merge_implIS3_PlPS5_mZN2at6native12_GLOBAL__N_124unique_dim_cuda_templateIbEESt5tupleIJNSA_6TensorESF_SF_EERKSF_lbbbEUlllE_EE10hipError_tT0_T1_T2_jT3_P12ihipStream_tbPNSt15iterator_traitsISL_E10value_typeEPNSR_ISM_E10value_typeEPSN_NS1_7vsmem_tEENKUlT_SL_SM_SN_E_clIS8_S8_S9_S9_EESK_S10_SL_SM_SN_EUlS10_E1_NS1_11comp_targetILNS1_3genE2ELNS1_11target_archE906ELNS1_3gpuE6ELNS1_3repE0EEENS1_36merge_oddeven_config_static_selectorELNS0_4arch9wavefront6targetE1EEEvSM_.kd
    .uniform_work_group_size: 1
    .uses_dynamic_stack: false
    .vgpr_count:     0
    .vgpr_spill_count: 0
    .wavefront_size: 64
  - .agpr_count:     0
    .args:
      - .offset:         0
        .size:           64
        .value_kind:     by_value
    .group_segment_fixed_size: 0
    .kernarg_segment_align: 8
    .kernarg_segment_size: 64
    .language:       OpenCL C
    .language_version:
      - 2
      - 0
    .max_flat_workgroup_size: 256
    .name:           _ZN7rocprim17ROCPRIM_400000_NS6detail17trampoline_kernelINS0_14default_configENS1_38merge_sort_block_merge_config_selectorIlNS0_10empty_typeEEEZZNS1_27merge_sort_block_merge_implIS3_PlPS5_mZN2at6native12_GLOBAL__N_124unique_dim_cuda_templateIbEESt5tupleIJNSA_6TensorESF_SF_EERKSF_lbbbEUlllE_EE10hipError_tT0_T1_T2_jT3_P12ihipStream_tbPNSt15iterator_traitsISL_E10value_typeEPNSR_ISM_E10value_typeEPSN_NS1_7vsmem_tEENKUlT_SL_SM_SN_E_clIS8_S8_S9_S9_EESK_S10_SL_SM_SN_EUlS10_E1_NS1_11comp_targetILNS1_3genE9ELNS1_11target_archE1100ELNS1_3gpuE3ELNS1_3repE0EEENS1_36merge_oddeven_config_static_selectorELNS0_4arch9wavefront6targetE1EEEvSM_
    .private_segment_fixed_size: 0
    .sgpr_count:     6
    .sgpr_spill_count: 0
    .symbol:         _ZN7rocprim17ROCPRIM_400000_NS6detail17trampoline_kernelINS0_14default_configENS1_38merge_sort_block_merge_config_selectorIlNS0_10empty_typeEEEZZNS1_27merge_sort_block_merge_implIS3_PlPS5_mZN2at6native12_GLOBAL__N_124unique_dim_cuda_templateIbEESt5tupleIJNSA_6TensorESF_SF_EERKSF_lbbbEUlllE_EE10hipError_tT0_T1_T2_jT3_P12ihipStream_tbPNSt15iterator_traitsISL_E10value_typeEPNSR_ISM_E10value_typeEPSN_NS1_7vsmem_tEENKUlT_SL_SM_SN_E_clIS8_S8_S9_S9_EESK_S10_SL_SM_SN_EUlS10_E1_NS1_11comp_targetILNS1_3genE9ELNS1_11target_archE1100ELNS1_3gpuE3ELNS1_3repE0EEENS1_36merge_oddeven_config_static_selectorELNS0_4arch9wavefront6targetE1EEEvSM_.kd
    .uniform_work_group_size: 1
    .uses_dynamic_stack: false
    .vgpr_count:     0
    .vgpr_spill_count: 0
    .wavefront_size: 64
  - .agpr_count:     0
    .args:
      - .offset:         0
        .size:           64
        .value_kind:     by_value
    .group_segment_fixed_size: 0
    .kernarg_segment_align: 8
    .kernarg_segment_size: 64
    .language:       OpenCL C
    .language_version:
      - 2
      - 0
    .max_flat_workgroup_size: 256
    .name:           _ZN7rocprim17ROCPRIM_400000_NS6detail17trampoline_kernelINS0_14default_configENS1_38merge_sort_block_merge_config_selectorIlNS0_10empty_typeEEEZZNS1_27merge_sort_block_merge_implIS3_PlPS5_mZN2at6native12_GLOBAL__N_124unique_dim_cuda_templateIbEESt5tupleIJNSA_6TensorESF_SF_EERKSF_lbbbEUlllE_EE10hipError_tT0_T1_T2_jT3_P12ihipStream_tbPNSt15iterator_traitsISL_E10value_typeEPNSR_ISM_E10value_typeEPSN_NS1_7vsmem_tEENKUlT_SL_SM_SN_E_clIS8_S8_S9_S9_EESK_S10_SL_SM_SN_EUlS10_E1_NS1_11comp_targetILNS1_3genE8ELNS1_11target_archE1030ELNS1_3gpuE2ELNS1_3repE0EEENS1_36merge_oddeven_config_static_selectorELNS0_4arch9wavefront6targetE1EEEvSM_
    .private_segment_fixed_size: 0
    .sgpr_count:     6
    .sgpr_spill_count: 0
    .symbol:         _ZN7rocprim17ROCPRIM_400000_NS6detail17trampoline_kernelINS0_14default_configENS1_38merge_sort_block_merge_config_selectorIlNS0_10empty_typeEEEZZNS1_27merge_sort_block_merge_implIS3_PlPS5_mZN2at6native12_GLOBAL__N_124unique_dim_cuda_templateIbEESt5tupleIJNSA_6TensorESF_SF_EERKSF_lbbbEUlllE_EE10hipError_tT0_T1_T2_jT3_P12ihipStream_tbPNSt15iterator_traitsISL_E10value_typeEPNSR_ISM_E10value_typeEPSN_NS1_7vsmem_tEENKUlT_SL_SM_SN_E_clIS8_S8_S9_S9_EESK_S10_SL_SM_SN_EUlS10_E1_NS1_11comp_targetILNS1_3genE8ELNS1_11target_archE1030ELNS1_3gpuE2ELNS1_3repE0EEENS1_36merge_oddeven_config_static_selectorELNS0_4arch9wavefront6targetE1EEEvSM_.kd
    .uniform_work_group_size: 1
    .uses_dynamic_stack: false
    .vgpr_count:     0
    .vgpr_spill_count: 0
    .wavefront_size: 64
  - .agpr_count:     0
    .args:
      - .offset:         0
        .size:           64
        .value_kind:     by_value
    .group_segment_fixed_size: 0
    .kernarg_segment_align: 8
    .kernarg_segment_size: 64
    .language:       OpenCL C
    .language_version:
      - 2
      - 0
    .max_flat_workgroup_size: 128
    .name:           _ZN7rocprim17ROCPRIM_400000_NS6detail17trampoline_kernelINS0_14default_configENS1_35adjacent_difference_config_selectorILb0ElEEZNS1_24adjacent_difference_implIS3_Lb0ELb0EPlS7_ZN2at6native12_GLOBAL__N_124unique_dim_cuda_templateIbEESt5tupleIJNS8_6TensorESD_SD_EERKSD_lbbbEUlllE1_EE10hipError_tPvRmT2_T3_mT4_P12ihipStream_tbEUlT_E_NS1_11comp_targetILNS1_3genE0ELNS1_11target_archE4294967295ELNS1_3gpuE0ELNS1_3repE0EEENS1_30default_config_static_selectorELNS0_4arch9wavefront6targetE1EEEvT1_
    .private_segment_fixed_size: 0
    .sgpr_count:     6
    .sgpr_spill_count: 0
    .symbol:         _ZN7rocprim17ROCPRIM_400000_NS6detail17trampoline_kernelINS0_14default_configENS1_35adjacent_difference_config_selectorILb0ElEEZNS1_24adjacent_difference_implIS3_Lb0ELb0EPlS7_ZN2at6native12_GLOBAL__N_124unique_dim_cuda_templateIbEESt5tupleIJNS8_6TensorESD_SD_EERKSD_lbbbEUlllE1_EE10hipError_tPvRmT2_T3_mT4_P12ihipStream_tbEUlT_E_NS1_11comp_targetILNS1_3genE0ELNS1_11target_archE4294967295ELNS1_3gpuE0ELNS1_3repE0EEENS1_30default_config_static_selectorELNS0_4arch9wavefront6targetE1EEEvT1_.kd
    .uniform_work_group_size: 1
    .uses_dynamic_stack: false
    .vgpr_count:     0
    .vgpr_spill_count: 0
    .wavefront_size: 64
  - .agpr_count:     0
    .args:
      - .offset:         0
        .size:           64
        .value_kind:     by_value
    .group_segment_fixed_size: 0
    .kernarg_segment_align: 8
    .kernarg_segment_size: 64
    .language:       OpenCL C
    .language_version:
      - 2
      - 0
    .max_flat_workgroup_size: 128
    .name:           _ZN7rocprim17ROCPRIM_400000_NS6detail17trampoline_kernelINS0_14default_configENS1_35adjacent_difference_config_selectorILb0ElEEZNS1_24adjacent_difference_implIS3_Lb0ELb0EPlS7_ZN2at6native12_GLOBAL__N_124unique_dim_cuda_templateIbEESt5tupleIJNS8_6TensorESD_SD_EERKSD_lbbbEUlllE1_EE10hipError_tPvRmT2_T3_mT4_P12ihipStream_tbEUlT_E_NS1_11comp_targetILNS1_3genE10ELNS1_11target_archE1201ELNS1_3gpuE5ELNS1_3repE0EEENS1_30default_config_static_selectorELNS0_4arch9wavefront6targetE1EEEvT1_
    .private_segment_fixed_size: 0
    .sgpr_count:     6
    .sgpr_spill_count: 0
    .symbol:         _ZN7rocprim17ROCPRIM_400000_NS6detail17trampoline_kernelINS0_14default_configENS1_35adjacent_difference_config_selectorILb0ElEEZNS1_24adjacent_difference_implIS3_Lb0ELb0EPlS7_ZN2at6native12_GLOBAL__N_124unique_dim_cuda_templateIbEESt5tupleIJNS8_6TensorESD_SD_EERKSD_lbbbEUlllE1_EE10hipError_tPvRmT2_T3_mT4_P12ihipStream_tbEUlT_E_NS1_11comp_targetILNS1_3genE10ELNS1_11target_archE1201ELNS1_3gpuE5ELNS1_3repE0EEENS1_30default_config_static_selectorELNS0_4arch9wavefront6targetE1EEEvT1_.kd
    .uniform_work_group_size: 1
    .uses_dynamic_stack: false
    .vgpr_count:     0
    .vgpr_spill_count: 0
    .wavefront_size: 64
  - .agpr_count:     0
    .args:
      - .offset:         0
        .size:           64
        .value_kind:     by_value
    .group_segment_fixed_size: 6656
    .kernarg_segment_align: 8
    .kernarg_segment_size: 64
    .language:       OpenCL C
    .language_version:
      - 2
      - 0
    .max_flat_workgroup_size: 64
    .name:           _ZN7rocprim17ROCPRIM_400000_NS6detail17trampoline_kernelINS0_14default_configENS1_35adjacent_difference_config_selectorILb0ElEEZNS1_24adjacent_difference_implIS3_Lb0ELb0EPlS7_ZN2at6native12_GLOBAL__N_124unique_dim_cuda_templateIbEESt5tupleIJNS8_6TensorESD_SD_EERKSD_lbbbEUlllE1_EE10hipError_tPvRmT2_T3_mT4_P12ihipStream_tbEUlT_E_NS1_11comp_targetILNS1_3genE5ELNS1_11target_archE942ELNS1_3gpuE9ELNS1_3repE0EEENS1_30default_config_static_selectorELNS0_4arch9wavefront6targetE1EEEvT1_
    .private_segment_fixed_size: 0
    .sgpr_count:     46
    .sgpr_spill_count: 0
    .symbol:         _ZN7rocprim17ROCPRIM_400000_NS6detail17trampoline_kernelINS0_14default_configENS1_35adjacent_difference_config_selectorILb0ElEEZNS1_24adjacent_difference_implIS3_Lb0ELb0EPlS7_ZN2at6native12_GLOBAL__N_124unique_dim_cuda_templateIbEESt5tupleIJNS8_6TensorESD_SD_EERKSD_lbbbEUlllE1_EE10hipError_tPvRmT2_T3_mT4_P12ihipStream_tbEUlT_E_NS1_11comp_targetILNS1_3genE5ELNS1_11target_archE942ELNS1_3gpuE9ELNS1_3repE0EEENS1_30default_config_static_selectorELNS0_4arch9wavefront6targetE1EEEvT1_.kd
    .uniform_work_group_size: 1
    .uses_dynamic_stack: false
    .vgpr_count:     64
    .vgpr_spill_count: 0
    .wavefront_size: 64
  - .agpr_count:     0
    .args:
      - .offset:         0
        .size:           64
        .value_kind:     by_value
    .group_segment_fixed_size: 0
    .kernarg_segment_align: 8
    .kernarg_segment_size: 64
    .language:       OpenCL C
    .language_version:
      - 2
      - 0
    .max_flat_workgroup_size: 256
    .name:           _ZN7rocprim17ROCPRIM_400000_NS6detail17trampoline_kernelINS0_14default_configENS1_35adjacent_difference_config_selectorILb0ElEEZNS1_24adjacent_difference_implIS3_Lb0ELb0EPlS7_ZN2at6native12_GLOBAL__N_124unique_dim_cuda_templateIbEESt5tupleIJNS8_6TensorESD_SD_EERKSD_lbbbEUlllE1_EE10hipError_tPvRmT2_T3_mT4_P12ihipStream_tbEUlT_E_NS1_11comp_targetILNS1_3genE4ELNS1_11target_archE910ELNS1_3gpuE8ELNS1_3repE0EEENS1_30default_config_static_selectorELNS0_4arch9wavefront6targetE1EEEvT1_
    .private_segment_fixed_size: 0
    .sgpr_count:     6
    .sgpr_spill_count: 0
    .symbol:         _ZN7rocprim17ROCPRIM_400000_NS6detail17trampoline_kernelINS0_14default_configENS1_35adjacent_difference_config_selectorILb0ElEEZNS1_24adjacent_difference_implIS3_Lb0ELb0EPlS7_ZN2at6native12_GLOBAL__N_124unique_dim_cuda_templateIbEESt5tupleIJNS8_6TensorESD_SD_EERKSD_lbbbEUlllE1_EE10hipError_tPvRmT2_T3_mT4_P12ihipStream_tbEUlT_E_NS1_11comp_targetILNS1_3genE4ELNS1_11target_archE910ELNS1_3gpuE8ELNS1_3repE0EEENS1_30default_config_static_selectorELNS0_4arch9wavefront6targetE1EEEvT1_.kd
    .uniform_work_group_size: 1
    .uses_dynamic_stack: false
    .vgpr_count:     0
    .vgpr_spill_count: 0
    .wavefront_size: 64
  - .agpr_count:     0
    .args:
      - .offset:         0
        .size:           64
        .value_kind:     by_value
    .group_segment_fixed_size: 0
    .kernarg_segment_align: 8
    .kernarg_segment_size: 64
    .language:       OpenCL C
    .language_version:
      - 2
      - 0
    .max_flat_workgroup_size: 128
    .name:           _ZN7rocprim17ROCPRIM_400000_NS6detail17trampoline_kernelINS0_14default_configENS1_35adjacent_difference_config_selectorILb0ElEEZNS1_24adjacent_difference_implIS3_Lb0ELb0EPlS7_ZN2at6native12_GLOBAL__N_124unique_dim_cuda_templateIbEESt5tupleIJNS8_6TensorESD_SD_EERKSD_lbbbEUlllE1_EE10hipError_tPvRmT2_T3_mT4_P12ihipStream_tbEUlT_E_NS1_11comp_targetILNS1_3genE3ELNS1_11target_archE908ELNS1_3gpuE7ELNS1_3repE0EEENS1_30default_config_static_selectorELNS0_4arch9wavefront6targetE1EEEvT1_
    .private_segment_fixed_size: 0
    .sgpr_count:     6
    .sgpr_spill_count: 0
    .symbol:         _ZN7rocprim17ROCPRIM_400000_NS6detail17trampoline_kernelINS0_14default_configENS1_35adjacent_difference_config_selectorILb0ElEEZNS1_24adjacent_difference_implIS3_Lb0ELb0EPlS7_ZN2at6native12_GLOBAL__N_124unique_dim_cuda_templateIbEESt5tupleIJNS8_6TensorESD_SD_EERKSD_lbbbEUlllE1_EE10hipError_tPvRmT2_T3_mT4_P12ihipStream_tbEUlT_E_NS1_11comp_targetILNS1_3genE3ELNS1_11target_archE908ELNS1_3gpuE7ELNS1_3repE0EEENS1_30default_config_static_selectorELNS0_4arch9wavefront6targetE1EEEvT1_.kd
    .uniform_work_group_size: 1
    .uses_dynamic_stack: false
    .vgpr_count:     0
    .vgpr_spill_count: 0
    .wavefront_size: 64
  - .agpr_count:     0
    .args:
      - .offset:         0
        .size:           64
        .value_kind:     by_value
    .group_segment_fixed_size: 0
    .kernarg_segment_align: 8
    .kernarg_segment_size: 64
    .language:       OpenCL C
    .language_version:
      - 2
      - 0
    .max_flat_workgroup_size: 128
    .name:           _ZN7rocprim17ROCPRIM_400000_NS6detail17trampoline_kernelINS0_14default_configENS1_35adjacent_difference_config_selectorILb0ElEEZNS1_24adjacent_difference_implIS3_Lb0ELb0EPlS7_ZN2at6native12_GLOBAL__N_124unique_dim_cuda_templateIbEESt5tupleIJNS8_6TensorESD_SD_EERKSD_lbbbEUlllE1_EE10hipError_tPvRmT2_T3_mT4_P12ihipStream_tbEUlT_E_NS1_11comp_targetILNS1_3genE2ELNS1_11target_archE906ELNS1_3gpuE6ELNS1_3repE0EEENS1_30default_config_static_selectorELNS0_4arch9wavefront6targetE1EEEvT1_
    .private_segment_fixed_size: 0
    .sgpr_count:     6
    .sgpr_spill_count: 0
    .symbol:         _ZN7rocprim17ROCPRIM_400000_NS6detail17trampoline_kernelINS0_14default_configENS1_35adjacent_difference_config_selectorILb0ElEEZNS1_24adjacent_difference_implIS3_Lb0ELb0EPlS7_ZN2at6native12_GLOBAL__N_124unique_dim_cuda_templateIbEESt5tupleIJNS8_6TensorESD_SD_EERKSD_lbbbEUlllE1_EE10hipError_tPvRmT2_T3_mT4_P12ihipStream_tbEUlT_E_NS1_11comp_targetILNS1_3genE2ELNS1_11target_archE906ELNS1_3gpuE6ELNS1_3repE0EEENS1_30default_config_static_selectorELNS0_4arch9wavefront6targetE1EEEvT1_.kd
    .uniform_work_group_size: 1
    .uses_dynamic_stack: false
    .vgpr_count:     0
    .vgpr_spill_count: 0
    .wavefront_size: 64
  - .agpr_count:     0
    .args:
      - .offset:         0
        .size:           64
        .value_kind:     by_value
    .group_segment_fixed_size: 0
    .kernarg_segment_align: 8
    .kernarg_segment_size: 64
    .language:       OpenCL C
    .language_version:
      - 2
      - 0
    .max_flat_workgroup_size: 512
    .name:           _ZN7rocprim17ROCPRIM_400000_NS6detail17trampoline_kernelINS0_14default_configENS1_35adjacent_difference_config_selectorILb0ElEEZNS1_24adjacent_difference_implIS3_Lb0ELb0EPlS7_ZN2at6native12_GLOBAL__N_124unique_dim_cuda_templateIbEESt5tupleIJNS8_6TensorESD_SD_EERKSD_lbbbEUlllE1_EE10hipError_tPvRmT2_T3_mT4_P12ihipStream_tbEUlT_E_NS1_11comp_targetILNS1_3genE9ELNS1_11target_archE1100ELNS1_3gpuE3ELNS1_3repE0EEENS1_30default_config_static_selectorELNS0_4arch9wavefront6targetE1EEEvT1_
    .private_segment_fixed_size: 0
    .sgpr_count:     6
    .sgpr_spill_count: 0
    .symbol:         _ZN7rocprim17ROCPRIM_400000_NS6detail17trampoline_kernelINS0_14default_configENS1_35adjacent_difference_config_selectorILb0ElEEZNS1_24adjacent_difference_implIS3_Lb0ELb0EPlS7_ZN2at6native12_GLOBAL__N_124unique_dim_cuda_templateIbEESt5tupleIJNS8_6TensorESD_SD_EERKSD_lbbbEUlllE1_EE10hipError_tPvRmT2_T3_mT4_P12ihipStream_tbEUlT_E_NS1_11comp_targetILNS1_3genE9ELNS1_11target_archE1100ELNS1_3gpuE3ELNS1_3repE0EEENS1_30default_config_static_selectorELNS0_4arch9wavefront6targetE1EEEvT1_.kd
    .uniform_work_group_size: 1
    .uses_dynamic_stack: false
    .vgpr_count:     0
    .vgpr_spill_count: 0
    .wavefront_size: 64
  - .agpr_count:     0
    .args:
      - .offset:         0
        .size:           64
        .value_kind:     by_value
    .group_segment_fixed_size: 0
    .kernarg_segment_align: 8
    .kernarg_segment_size: 64
    .language:       OpenCL C
    .language_version:
      - 2
      - 0
    .max_flat_workgroup_size: 1024
    .name:           _ZN7rocprim17ROCPRIM_400000_NS6detail17trampoline_kernelINS0_14default_configENS1_35adjacent_difference_config_selectorILb0ElEEZNS1_24adjacent_difference_implIS3_Lb0ELb0EPlS7_ZN2at6native12_GLOBAL__N_124unique_dim_cuda_templateIbEESt5tupleIJNS8_6TensorESD_SD_EERKSD_lbbbEUlllE1_EE10hipError_tPvRmT2_T3_mT4_P12ihipStream_tbEUlT_E_NS1_11comp_targetILNS1_3genE8ELNS1_11target_archE1030ELNS1_3gpuE2ELNS1_3repE0EEENS1_30default_config_static_selectorELNS0_4arch9wavefront6targetE1EEEvT1_
    .private_segment_fixed_size: 0
    .sgpr_count:     6
    .sgpr_spill_count: 0
    .symbol:         _ZN7rocprim17ROCPRIM_400000_NS6detail17trampoline_kernelINS0_14default_configENS1_35adjacent_difference_config_selectorILb0ElEEZNS1_24adjacent_difference_implIS3_Lb0ELb0EPlS7_ZN2at6native12_GLOBAL__N_124unique_dim_cuda_templateIbEESt5tupleIJNS8_6TensorESD_SD_EERKSD_lbbbEUlllE1_EE10hipError_tPvRmT2_T3_mT4_P12ihipStream_tbEUlT_E_NS1_11comp_targetILNS1_3genE8ELNS1_11target_archE1030ELNS1_3gpuE2ELNS1_3repE0EEENS1_30default_config_static_selectorELNS0_4arch9wavefront6targetE1EEEvT1_.kd
    .uniform_work_group_size: 1
    .uses_dynamic_stack: false
    .vgpr_count:     0
    .vgpr_spill_count: 0
    .wavefront_size: 64
  - .agpr_count:     0
    .args:
      - .offset:         0
        .size:           56
        .value_kind:     by_value
    .group_segment_fixed_size: 0
    .kernarg_segment_align: 8
    .kernarg_segment_size: 56
    .language:       OpenCL C
    .language_version:
      - 2
      - 0
    .max_flat_workgroup_size: 128
    .name:           _ZN7rocprim17ROCPRIM_400000_NS6detail17trampoline_kernelINS0_14default_configENS1_25transform_config_selectorIlLb0EEEZNS1_14transform_implILb0ES3_S5_NS0_18transform_iteratorINS0_17counting_iteratorImlEEZNS1_24adjacent_difference_implIS3_Lb1ELb0EPlSB_ZN2at6native12_GLOBAL__N_124unique_dim_cuda_templateIbEESt5tupleIJNSC_6TensorESH_SH_EERKSH_lbbbEUlllE1_EE10hipError_tPvRmT2_T3_mT4_P12ihipStream_tbEUlmE_lEESB_NS0_8identityIvEEEESM_SP_SQ_mSR_ST_bEUlT_E_NS1_11comp_targetILNS1_3genE0ELNS1_11target_archE4294967295ELNS1_3gpuE0ELNS1_3repE0EEENS1_30default_config_static_selectorELNS0_4arch9wavefront6targetE1EEEvT1_
    .private_segment_fixed_size: 0
    .sgpr_count:     6
    .sgpr_spill_count: 0
    .symbol:         _ZN7rocprim17ROCPRIM_400000_NS6detail17trampoline_kernelINS0_14default_configENS1_25transform_config_selectorIlLb0EEEZNS1_14transform_implILb0ES3_S5_NS0_18transform_iteratorINS0_17counting_iteratorImlEEZNS1_24adjacent_difference_implIS3_Lb1ELb0EPlSB_ZN2at6native12_GLOBAL__N_124unique_dim_cuda_templateIbEESt5tupleIJNSC_6TensorESH_SH_EERKSH_lbbbEUlllE1_EE10hipError_tPvRmT2_T3_mT4_P12ihipStream_tbEUlmE_lEESB_NS0_8identityIvEEEESM_SP_SQ_mSR_ST_bEUlT_E_NS1_11comp_targetILNS1_3genE0ELNS1_11target_archE4294967295ELNS1_3gpuE0ELNS1_3repE0EEENS1_30default_config_static_selectorELNS0_4arch9wavefront6targetE1EEEvT1_.kd
    .uniform_work_group_size: 1
    .uses_dynamic_stack: false
    .vgpr_count:     0
    .vgpr_spill_count: 0
    .wavefront_size: 64
  - .agpr_count:     0
    .args:
      - .offset:         0
        .size:           56
        .value_kind:     by_value
      - .offset:         56
        .size:           4
        .value_kind:     hidden_block_count_x
      - .offset:         60
        .size:           4
        .value_kind:     hidden_block_count_y
      - .offset:         64
        .size:           4
        .value_kind:     hidden_block_count_z
      - .offset:         68
        .size:           2
        .value_kind:     hidden_group_size_x
      - .offset:         70
        .size:           2
        .value_kind:     hidden_group_size_y
      - .offset:         72
        .size:           2
        .value_kind:     hidden_group_size_z
      - .offset:         74
        .size:           2
        .value_kind:     hidden_remainder_x
      - .offset:         76
        .size:           2
        .value_kind:     hidden_remainder_y
      - .offset:         78
        .size:           2
        .value_kind:     hidden_remainder_z
      - .offset:         96
        .size:           8
        .value_kind:     hidden_global_offset_x
      - .offset:         104
        .size:           8
        .value_kind:     hidden_global_offset_y
      - .offset:         112
        .size:           8
        .value_kind:     hidden_global_offset_z
      - .offset:         120
        .size:           2
        .value_kind:     hidden_grid_dims
    .group_segment_fixed_size: 0
    .kernarg_segment_align: 8
    .kernarg_segment_size: 312
    .language:       OpenCL C
    .language_version:
      - 2
      - 0
    .max_flat_workgroup_size: 512
    .name:           _ZN7rocprim17ROCPRIM_400000_NS6detail17trampoline_kernelINS0_14default_configENS1_25transform_config_selectorIlLb0EEEZNS1_14transform_implILb0ES3_S5_NS0_18transform_iteratorINS0_17counting_iteratorImlEEZNS1_24adjacent_difference_implIS3_Lb1ELb0EPlSB_ZN2at6native12_GLOBAL__N_124unique_dim_cuda_templateIbEESt5tupleIJNSC_6TensorESH_SH_EERKSH_lbbbEUlllE1_EE10hipError_tPvRmT2_T3_mT4_P12ihipStream_tbEUlmE_lEESB_NS0_8identityIvEEEESM_SP_SQ_mSR_ST_bEUlT_E_NS1_11comp_targetILNS1_3genE5ELNS1_11target_archE942ELNS1_3gpuE9ELNS1_3repE0EEENS1_30default_config_static_selectorELNS0_4arch9wavefront6targetE1EEEvT1_
    .private_segment_fixed_size: 0
    .sgpr_count:     26
    .sgpr_spill_count: 0
    .symbol:         _ZN7rocprim17ROCPRIM_400000_NS6detail17trampoline_kernelINS0_14default_configENS1_25transform_config_selectorIlLb0EEEZNS1_14transform_implILb0ES3_S5_NS0_18transform_iteratorINS0_17counting_iteratorImlEEZNS1_24adjacent_difference_implIS3_Lb1ELb0EPlSB_ZN2at6native12_GLOBAL__N_124unique_dim_cuda_templateIbEESt5tupleIJNSC_6TensorESH_SH_EERKSH_lbbbEUlllE1_EE10hipError_tPvRmT2_T3_mT4_P12ihipStream_tbEUlmE_lEESB_NS0_8identityIvEEEESM_SP_SQ_mSR_ST_bEUlT_E_NS1_11comp_targetILNS1_3genE5ELNS1_11target_archE942ELNS1_3gpuE9ELNS1_3repE0EEENS1_30default_config_static_selectorELNS0_4arch9wavefront6targetE1EEEvT1_.kd
    .uniform_work_group_size: 1
    .uses_dynamic_stack: false
    .vgpr_count:     12
    .vgpr_spill_count: 0
    .wavefront_size: 64
  - .agpr_count:     0
    .args:
      - .offset:         0
        .size:           56
        .value_kind:     by_value
    .group_segment_fixed_size: 0
    .kernarg_segment_align: 8
    .kernarg_segment_size: 56
    .language:       OpenCL C
    .language_version:
      - 2
      - 0
    .max_flat_workgroup_size: 256
    .name:           _ZN7rocprim17ROCPRIM_400000_NS6detail17trampoline_kernelINS0_14default_configENS1_25transform_config_selectorIlLb0EEEZNS1_14transform_implILb0ES3_S5_NS0_18transform_iteratorINS0_17counting_iteratorImlEEZNS1_24adjacent_difference_implIS3_Lb1ELb0EPlSB_ZN2at6native12_GLOBAL__N_124unique_dim_cuda_templateIbEESt5tupleIJNSC_6TensorESH_SH_EERKSH_lbbbEUlllE1_EE10hipError_tPvRmT2_T3_mT4_P12ihipStream_tbEUlmE_lEESB_NS0_8identityIvEEEESM_SP_SQ_mSR_ST_bEUlT_E_NS1_11comp_targetILNS1_3genE4ELNS1_11target_archE910ELNS1_3gpuE8ELNS1_3repE0EEENS1_30default_config_static_selectorELNS0_4arch9wavefront6targetE1EEEvT1_
    .private_segment_fixed_size: 0
    .sgpr_count:     6
    .sgpr_spill_count: 0
    .symbol:         _ZN7rocprim17ROCPRIM_400000_NS6detail17trampoline_kernelINS0_14default_configENS1_25transform_config_selectorIlLb0EEEZNS1_14transform_implILb0ES3_S5_NS0_18transform_iteratorINS0_17counting_iteratorImlEEZNS1_24adjacent_difference_implIS3_Lb1ELb0EPlSB_ZN2at6native12_GLOBAL__N_124unique_dim_cuda_templateIbEESt5tupleIJNSC_6TensorESH_SH_EERKSH_lbbbEUlllE1_EE10hipError_tPvRmT2_T3_mT4_P12ihipStream_tbEUlmE_lEESB_NS0_8identityIvEEEESM_SP_SQ_mSR_ST_bEUlT_E_NS1_11comp_targetILNS1_3genE4ELNS1_11target_archE910ELNS1_3gpuE8ELNS1_3repE0EEENS1_30default_config_static_selectorELNS0_4arch9wavefront6targetE1EEEvT1_.kd
    .uniform_work_group_size: 1
    .uses_dynamic_stack: false
    .vgpr_count:     0
    .vgpr_spill_count: 0
    .wavefront_size: 64
  - .agpr_count:     0
    .args:
      - .offset:         0
        .size:           56
        .value_kind:     by_value
    .group_segment_fixed_size: 0
    .kernarg_segment_align: 8
    .kernarg_segment_size: 56
    .language:       OpenCL C
    .language_version:
      - 2
      - 0
    .max_flat_workgroup_size: 128
    .name:           _ZN7rocprim17ROCPRIM_400000_NS6detail17trampoline_kernelINS0_14default_configENS1_25transform_config_selectorIlLb0EEEZNS1_14transform_implILb0ES3_S5_NS0_18transform_iteratorINS0_17counting_iteratorImlEEZNS1_24adjacent_difference_implIS3_Lb1ELb0EPlSB_ZN2at6native12_GLOBAL__N_124unique_dim_cuda_templateIbEESt5tupleIJNSC_6TensorESH_SH_EERKSH_lbbbEUlllE1_EE10hipError_tPvRmT2_T3_mT4_P12ihipStream_tbEUlmE_lEESB_NS0_8identityIvEEEESM_SP_SQ_mSR_ST_bEUlT_E_NS1_11comp_targetILNS1_3genE3ELNS1_11target_archE908ELNS1_3gpuE7ELNS1_3repE0EEENS1_30default_config_static_selectorELNS0_4arch9wavefront6targetE1EEEvT1_
    .private_segment_fixed_size: 0
    .sgpr_count:     6
    .sgpr_spill_count: 0
    .symbol:         _ZN7rocprim17ROCPRIM_400000_NS6detail17trampoline_kernelINS0_14default_configENS1_25transform_config_selectorIlLb0EEEZNS1_14transform_implILb0ES3_S5_NS0_18transform_iteratorINS0_17counting_iteratorImlEEZNS1_24adjacent_difference_implIS3_Lb1ELb0EPlSB_ZN2at6native12_GLOBAL__N_124unique_dim_cuda_templateIbEESt5tupleIJNSC_6TensorESH_SH_EERKSH_lbbbEUlllE1_EE10hipError_tPvRmT2_T3_mT4_P12ihipStream_tbEUlmE_lEESB_NS0_8identityIvEEEESM_SP_SQ_mSR_ST_bEUlT_E_NS1_11comp_targetILNS1_3genE3ELNS1_11target_archE908ELNS1_3gpuE7ELNS1_3repE0EEENS1_30default_config_static_selectorELNS0_4arch9wavefront6targetE1EEEvT1_.kd
    .uniform_work_group_size: 1
    .uses_dynamic_stack: false
    .vgpr_count:     0
    .vgpr_spill_count: 0
    .wavefront_size: 64
  - .agpr_count:     0
    .args:
      - .offset:         0
        .size:           56
        .value_kind:     by_value
    .group_segment_fixed_size: 0
    .kernarg_segment_align: 8
    .kernarg_segment_size: 56
    .language:       OpenCL C
    .language_version:
      - 2
      - 0
    .max_flat_workgroup_size: 512
    .name:           _ZN7rocprim17ROCPRIM_400000_NS6detail17trampoline_kernelINS0_14default_configENS1_25transform_config_selectorIlLb0EEEZNS1_14transform_implILb0ES3_S5_NS0_18transform_iteratorINS0_17counting_iteratorImlEEZNS1_24adjacent_difference_implIS3_Lb1ELb0EPlSB_ZN2at6native12_GLOBAL__N_124unique_dim_cuda_templateIbEESt5tupleIJNSC_6TensorESH_SH_EERKSH_lbbbEUlllE1_EE10hipError_tPvRmT2_T3_mT4_P12ihipStream_tbEUlmE_lEESB_NS0_8identityIvEEEESM_SP_SQ_mSR_ST_bEUlT_E_NS1_11comp_targetILNS1_3genE2ELNS1_11target_archE906ELNS1_3gpuE6ELNS1_3repE0EEENS1_30default_config_static_selectorELNS0_4arch9wavefront6targetE1EEEvT1_
    .private_segment_fixed_size: 0
    .sgpr_count:     6
    .sgpr_spill_count: 0
    .symbol:         _ZN7rocprim17ROCPRIM_400000_NS6detail17trampoline_kernelINS0_14default_configENS1_25transform_config_selectorIlLb0EEEZNS1_14transform_implILb0ES3_S5_NS0_18transform_iteratorINS0_17counting_iteratorImlEEZNS1_24adjacent_difference_implIS3_Lb1ELb0EPlSB_ZN2at6native12_GLOBAL__N_124unique_dim_cuda_templateIbEESt5tupleIJNSC_6TensorESH_SH_EERKSH_lbbbEUlllE1_EE10hipError_tPvRmT2_T3_mT4_P12ihipStream_tbEUlmE_lEESB_NS0_8identityIvEEEESM_SP_SQ_mSR_ST_bEUlT_E_NS1_11comp_targetILNS1_3genE2ELNS1_11target_archE906ELNS1_3gpuE6ELNS1_3repE0EEENS1_30default_config_static_selectorELNS0_4arch9wavefront6targetE1EEEvT1_.kd
    .uniform_work_group_size: 1
    .uses_dynamic_stack: false
    .vgpr_count:     0
    .vgpr_spill_count: 0
    .wavefront_size: 64
  - .agpr_count:     0
    .args:
      - .offset:         0
        .size:           56
        .value_kind:     by_value
    .group_segment_fixed_size: 0
    .kernarg_segment_align: 8
    .kernarg_segment_size: 56
    .language:       OpenCL C
    .language_version:
      - 2
      - 0
    .max_flat_workgroup_size: 1024
    .name:           _ZN7rocprim17ROCPRIM_400000_NS6detail17trampoline_kernelINS0_14default_configENS1_25transform_config_selectorIlLb0EEEZNS1_14transform_implILb0ES3_S5_NS0_18transform_iteratorINS0_17counting_iteratorImlEEZNS1_24adjacent_difference_implIS3_Lb1ELb0EPlSB_ZN2at6native12_GLOBAL__N_124unique_dim_cuda_templateIbEESt5tupleIJNSC_6TensorESH_SH_EERKSH_lbbbEUlllE1_EE10hipError_tPvRmT2_T3_mT4_P12ihipStream_tbEUlmE_lEESB_NS0_8identityIvEEEESM_SP_SQ_mSR_ST_bEUlT_E_NS1_11comp_targetILNS1_3genE10ELNS1_11target_archE1201ELNS1_3gpuE5ELNS1_3repE0EEENS1_30default_config_static_selectorELNS0_4arch9wavefront6targetE1EEEvT1_
    .private_segment_fixed_size: 0
    .sgpr_count:     6
    .sgpr_spill_count: 0
    .symbol:         _ZN7rocprim17ROCPRIM_400000_NS6detail17trampoline_kernelINS0_14default_configENS1_25transform_config_selectorIlLb0EEEZNS1_14transform_implILb0ES3_S5_NS0_18transform_iteratorINS0_17counting_iteratorImlEEZNS1_24adjacent_difference_implIS3_Lb1ELb0EPlSB_ZN2at6native12_GLOBAL__N_124unique_dim_cuda_templateIbEESt5tupleIJNSC_6TensorESH_SH_EERKSH_lbbbEUlllE1_EE10hipError_tPvRmT2_T3_mT4_P12ihipStream_tbEUlmE_lEESB_NS0_8identityIvEEEESM_SP_SQ_mSR_ST_bEUlT_E_NS1_11comp_targetILNS1_3genE10ELNS1_11target_archE1201ELNS1_3gpuE5ELNS1_3repE0EEENS1_30default_config_static_selectorELNS0_4arch9wavefront6targetE1EEEvT1_.kd
    .uniform_work_group_size: 1
    .uses_dynamic_stack: false
    .vgpr_count:     0
    .vgpr_spill_count: 0
    .wavefront_size: 64
  - .agpr_count:     0
    .args:
      - .offset:         0
        .size:           56
        .value_kind:     by_value
    .group_segment_fixed_size: 0
    .kernarg_segment_align: 8
    .kernarg_segment_size: 56
    .language:       OpenCL C
    .language_version:
      - 2
      - 0
    .max_flat_workgroup_size: 512
    .name:           _ZN7rocprim17ROCPRIM_400000_NS6detail17trampoline_kernelINS0_14default_configENS1_25transform_config_selectorIlLb0EEEZNS1_14transform_implILb0ES3_S5_NS0_18transform_iteratorINS0_17counting_iteratorImlEEZNS1_24adjacent_difference_implIS3_Lb1ELb0EPlSB_ZN2at6native12_GLOBAL__N_124unique_dim_cuda_templateIbEESt5tupleIJNSC_6TensorESH_SH_EERKSH_lbbbEUlllE1_EE10hipError_tPvRmT2_T3_mT4_P12ihipStream_tbEUlmE_lEESB_NS0_8identityIvEEEESM_SP_SQ_mSR_ST_bEUlT_E_NS1_11comp_targetILNS1_3genE10ELNS1_11target_archE1200ELNS1_3gpuE4ELNS1_3repE0EEENS1_30default_config_static_selectorELNS0_4arch9wavefront6targetE1EEEvT1_
    .private_segment_fixed_size: 0
    .sgpr_count:     6
    .sgpr_spill_count: 0
    .symbol:         _ZN7rocprim17ROCPRIM_400000_NS6detail17trampoline_kernelINS0_14default_configENS1_25transform_config_selectorIlLb0EEEZNS1_14transform_implILb0ES3_S5_NS0_18transform_iteratorINS0_17counting_iteratorImlEEZNS1_24adjacent_difference_implIS3_Lb1ELb0EPlSB_ZN2at6native12_GLOBAL__N_124unique_dim_cuda_templateIbEESt5tupleIJNSC_6TensorESH_SH_EERKSH_lbbbEUlllE1_EE10hipError_tPvRmT2_T3_mT4_P12ihipStream_tbEUlmE_lEESB_NS0_8identityIvEEEESM_SP_SQ_mSR_ST_bEUlT_E_NS1_11comp_targetILNS1_3genE10ELNS1_11target_archE1200ELNS1_3gpuE4ELNS1_3repE0EEENS1_30default_config_static_selectorELNS0_4arch9wavefront6targetE1EEEvT1_.kd
    .uniform_work_group_size: 1
    .uses_dynamic_stack: false
    .vgpr_count:     0
    .vgpr_spill_count: 0
    .wavefront_size: 64
  - .agpr_count:     0
    .args:
      - .offset:         0
        .size:           56
        .value_kind:     by_value
    .group_segment_fixed_size: 0
    .kernarg_segment_align: 8
    .kernarg_segment_size: 56
    .language:       OpenCL C
    .language_version:
      - 2
      - 0
    .max_flat_workgroup_size: 512
    .name:           _ZN7rocprim17ROCPRIM_400000_NS6detail17trampoline_kernelINS0_14default_configENS1_25transform_config_selectorIlLb0EEEZNS1_14transform_implILb0ES3_S5_NS0_18transform_iteratorINS0_17counting_iteratorImlEEZNS1_24adjacent_difference_implIS3_Lb1ELb0EPlSB_ZN2at6native12_GLOBAL__N_124unique_dim_cuda_templateIbEESt5tupleIJNSC_6TensorESH_SH_EERKSH_lbbbEUlllE1_EE10hipError_tPvRmT2_T3_mT4_P12ihipStream_tbEUlmE_lEESB_NS0_8identityIvEEEESM_SP_SQ_mSR_ST_bEUlT_E_NS1_11comp_targetILNS1_3genE9ELNS1_11target_archE1100ELNS1_3gpuE3ELNS1_3repE0EEENS1_30default_config_static_selectorELNS0_4arch9wavefront6targetE1EEEvT1_
    .private_segment_fixed_size: 0
    .sgpr_count:     6
    .sgpr_spill_count: 0
    .symbol:         _ZN7rocprim17ROCPRIM_400000_NS6detail17trampoline_kernelINS0_14default_configENS1_25transform_config_selectorIlLb0EEEZNS1_14transform_implILb0ES3_S5_NS0_18transform_iteratorINS0_17counting_iteratorImlEEZNS1_24adjacent_difference_implIS3_Lb1ELb0EPlSB_ZN2at6native12_GLOBAL__N_124unique_dim_cuda_templateIbEESt5tupleIJNSC_6TensorESH_SH_EERKSH_lbbbEUlllE1_EE10hipError_tPvRmT2_T3_mT4_P12ihipStream_tbEUlmE_lEESB_NS0_8identityIvEEEESM_SP_SQ_mSR_ST_bEUlT_E_NS1_11comp_targetILNS1_3genE9ELNS1_11target_archE1100ELNS1_3gpuE3ELNS1_3repE0EEENS1_30default_config_static_selectorELNS0_4arch9wavefront6targetE1EEEvT1_.kd
    .uniform_work_group_size: 1
    .uses_dynamic_stack: false
    .vgpr_count:     0
    .vgpr_spill_count: 0
    .wavefront_size: 64
  - .agpr_count:     0
    .args:
      - .offset:         0
        .size:           56
        .value_kind:     by_value
    .group_segment_fixed_size: 0
    .kernarg_segment_align: 8
    .kernarg_segment_size: 56
    .language:       OpenCL C
    .language_version:
      - 2
      - 0
    .max_flat_workgroup_size: 512
    .name:           _ZN7rocprim17ROCPRIM_400000_NS6detail17trampoline_kernelINS0_14default_configENS1_25transform_config_selectorIlLb0EEEZNS1_14transform_implILb0ES3_S5_NS0_18transform_iteratorINS0_17counting_iteratorImlEEZNS1_24adjacent_difference_implIS3_Lb1ELb0EPlSB_ZN2at6native12_GLOBAL__N_124unique_dim_cuda_templateIbEESt5tupleIJNSC_6TensorESH_SH_EERKSH_lbbbEUlllE1_EE10hipError_tPvRmT2_T3_mT4_P12ihipStream_tbEUlmE_lEESB_NS0_8identityIvEEEESM_SP_SQ_mSR_ST_bEUlT_E_NS1_11comp_targetILNS1_3genE8ELNS1_11target_archE1030ELNS1_3gpuE2ELNS1_3repE0EEENS1_30default_config_static_selectorELNS0_4arch9wavefront6targetE1EEEvT1_
    .private_segment_fixed_size: 0
    .sgpr_count:     6
    .sgpr_spill_count: 0
    .symbol:         _ZN7rocprim17ROCPRIM_400000_NS6detail17trampoline_kernelINS0_14default_configENS1_25transform_config_selectorIlLb0EEEZNS1_14transform_implILb0ES3_S5_NS0_18transform_iteratorINS0_17counting_iteratorImlEEZNS1_24adjacent_difference_implIS3_Lb1ELb0EPlSB_ZN2at6native12_GLOBAL__N_124unique_dim_cuda_templateIbEESt5tupleIJNSC_6TensorESH_SH_EERKSH_lbbbEUlllE1_EE10hipError_tPvRmT2_T3_mT4_P12ihipStream_tbEUlmE_lEESB_NS0_8identityIvEEEESM_SP_SQ_mSR_ST_bEUlT_E_NS1_11comp_targetILNS1_3genE8ELNS1_11target_archE1030ELNS1_3gpuE2ELNS1_3repE0EEENS1_30default_config_static_selectorELNS0_4arch9wavefront6targetE1EEEvT1_.kd
    .uniform_work_group_size: 1
    .uses_dynamic_stack: false
    .vgpr_count:     0
    .vgpr_spill_count: 0
    .wavefront_size: 64
  - .agpr_count:     0
    .args:
      - .offset:         0
        .size:           64
        .value_kind:     by_value
    .group_segment_fixed_size: 0
    .kernarg_segment_align: 8
    .kernarg_segment_size: 64
    .language:       OpenCL C
    .language_version:
      - 2
      - 0
    .max_flat_workgroup_size: 512
    .name:           _ZN7rocprim17ROCPRIM_400000_NS6detail17trampoline_kernelINS0_14default_configENS1_35adjacent_difference_config_selectorILb1ElEEZNS1_24adjacent_difference_implIS3_Lb1ELb0EPlS7_ZN2at6native12_GLOBAL__N_124unique_dim_cuda_templateIbEESt5tupleIJNS8_6TensorESD_SD_EERKSD_lbbbEUlllE1_EE10hipError_tPvRmT2_T3_mT4_P12ihipStream_tbEUlT_E_NS1_11comp_targetILNS1_3genE0ELNS1_11target_archE4294967295ELNS1_3gpuE0ELNS1_3repE0EEENS1_30default_config_static_selectorELNS0_4arch9wavefront6targetE1EEEvT1_
    .private_segment_fixed_size: 0
    .sgpr_count:     6
    .sgpr_spill_count: 0
    .symbol:         _ZN7rocprim17ROCPRIM_400000_NS6detail17trampoline_kernelINS0_14default_configENS1_35adjacent_difference_config_selectorILb1ElEEZNS1_24adjacent_difference_implIS3_Lb1ELb0EPlS7_ZN2at6native12_GLOBAL__N_124unique_dim_cuda_templateIbEESt5tupleIJNS8_6TensorESD_SD_EERKSD_lbbbEUlllE1_EE10hipError_tPvRmT2_T3_mT4_P12ihipStream_tbEUlT_E_NS1_11comp_targetILNS1_3genE0ELNS1_11target_archE4294967295ELNS1_3gpuE0ELNS1_3repE0EEENS1_30default_config_static_selectorELNS0_4arch9wavefront6targetE1EEEvT1_.kd
    .uniform_work_group_size: 1
    .uses_dynamic_stack: false
    .vgpr_count:     0
    .vgpr_spill_count: 0
    .wavefront_size: 64
  - .agpr_count:     0
    .args:
      - .offset:         0
        .size:           64
        .value_kind:     by_value
    .group_segment_fixed_size: 0
    .kernarg_segment_align: 8
    .kernarg_segment_size: 64
    .language:       OpenCL C
    .language_version:
      - 2
      - 0
    .max_flat_workgroup_size: 32
    .name:           _ZN7rocprim17ROCPRIM_400000_NS6detail17trampoline_kernelINS0_14default_configENS1_35adjacent_difference_config_selectorILb1ElEEZNS1_24adjacent_difference_implIS3_Lb1ELb0EPlS7_ZN2at6native12_GLOBAL__N_124unique_dim_cuda_templateIbEESt5tupleIJNS8_6TensorESD_SD_EERKSD_lbbbEUlllE1_EE10hipError_tPvRmT2_T3_mT4_P12ihipStream_tbEUlT_E_NS1_11comp_targetILNS1_3genE10ELNS1_11target_archE1201ELNS1_3gpuE5ELNS1_3repE0EEENS1_30default_config_static_selectorELNS0_4arch9wavefront6targetE1EEEvT1_
    .private_segment_fixed_size: 0
    .sgpr_count:     6
    .sgpr_spill_count: 0
    .symbol:         _ZN7rocprim17ROCPRIM_400000_NS6detail17trampoline_kernelINS0_14default_configENS1_35adjacent_difference_config_selectorILb1ElEEZNS1_24adjacent_difference_implIS3_Lb1ELb0EPlS7_ZN2at6native12_GLOBAL__N_124unique_dim_cuda_templateIbEESt5tupleIJNS8_6TensorESD_SD_EERKSD_lbbbEUlllE1_EE10hipError_tPvRmT2_T3_mT4_P12ihipStream_tbEUlT_E_NS1_11comp_targetILNS1_3genE10ELNS1_11target_archE1201ELNS1_3gpuE5ELNS1_3repE0EEENS1_30default_config_static_selectorELNS0_4arch9wavefront6targetE1EEEvT1_.kd
    .uniform_work_group_size: 1
    .uses_dynamic_stack: false
    .vgpr_count:     0
    .vgpr_spill_count: 0
    .wavefront_size: 64
  - .agpr_count:     0
    .args:
      - .offset:         0
        .size:           64
        .value_kind:     by_value
    .group_segment_fixed_size: 22528
    .kernarg_segment_align: 8
    .kernarg_segment_size: 64
    .language:       OpenCL C
    .language_version:
      - 2
      - 0
    .max_flat_workgroup_size: 256
    .name:           _ZN7rocprim17ROCPRIM_400000_NS6detail17trampoline_kernelINS0_14default_configENS1_35adjacent_difference_config_selectorILb1ElEEZNS1_24adjacent_difference_implIS3_Lb1ELb0EPlS7_ZN2at6native12_GLOBAL__N_124unique_dim_cuda_templateIbEESt5tupleIJNS8_6TensorESD_SD_EERKSD_lbbbEUlllE1_EE10hipError_tPvRmT2_T3_mT4_P12ihipStream_tbEUlT_E_NS1_11comp_targetILNS1_3genE5ELNS1_11target_archE942ELNS1_3gpuE9ELNS1_3repE0EEENS1_30default_config_static_selectorELNS0_4arch9wavefront6targetE1EEEvT1_
    .private_segment_fixed_size: 0
    .sgpr_count:     46
    .sgpr_spill_count: 0
    .symbol:         _ZN7rocprim17ROCPRIM_400000_NS6detail17trampoline_kernelINS0_14default_configENS1_35adjacent_difference_config_selectorILb1ElEEZNS1_24adjacent_difference_implIS3_Lb1ELb0EPlS7_ZN2at6native12_GLOBAL__N_124unique_dim_cuda_templateIbEESt5tupleIJNS8_6TensorESD_SD_EERKSD_lbbbEUlllE1_EE10hipError_tPvRmT2_T3_mT4_P12ihipStream_tbEUlT_E_NS1_11comp_targetILNS1_3genE5ELNS1_11target_archE942ELNS1_3gpuE9ELNS1_3repE0EEENS1_30default_config_static_selectorELNS0_4arch9wavefront6targetE1EEEvT1_.kd
    .uniform_work_group_size: 1
    .uses_dynamic_stack: false
    .vgpr_count:     54
    .vgpr_spill_count: 0
    .wavefront_size: 64
  - .agpr_count:     0
    .args:
      - .offset:         0
        .size:           64
        .value_kind:     by_value
    .group_segment_fixed_size: 0
    .kernarg_segment_align: 8
    .kernarg_segment_size: 64
    .language:       OpenCL C
    .language_version:
      - 2
      - 0
    .max_flat_workgroup_size: 512
    .name:           _ZN7rocprim17ROCPRIM_400000_NS6detail17trampoline_kernelINS0_14default_configENS1_35adjacent_difference_config_selectorILb1ElEEZNS1_24adjacent_difference_implIS3_Lb1ELb0EPlS7_ZN2at6native12_GLOBAL__N_124unique_dim_cuda_templateIbEESt5tupleIJNS8_6TensorESD_SD_EERKSD_lbbbEUlllE1_EE10hipError_tPvRmT2_T3_mT4_P12ihipStream_tbEUlT_E_NS1_11comp_targetILNS1_3genE4ELNS1_11target_archE910ELNS1_3gpuE8ELNS1_3repE0EEENS1_30default_config_static_selectorELNS0_4arch9wavefront6targetE1EEEvT1_
    .private_segment_fixed_size: 0
    .sgpr_count:     6
    .sgpr_spill_count: 0
    .symbol:         _ZN7rocprim17ROCPRIM_400000_NS6detail17trampoline_kernelINS0_14default_configENS1_35adjacent_difference_config_selectorILb1ElEEZNS1_24adjacent_difference_implIS3_Lb1ELb0EPlS7_ZN2at6native12_GLOBAL__N_124unique_dim_cuda_templateIbEESt5tupleIJNS8_6TensorESD_SD_EERKSD_lbbbEUlllE1_EE10hipError_tPvRmT2_T3_mT4_P12ihipStream_tbEUlT_E_NS1_11comp_targetILNS1_3genE4ELNS1_11target_archE910ELNS1_3gpuE8ELNS1_3repE0EEENS1_30default_config_static_selectorELNS0_4arch9wavefront6targetE1EEEvT1_.kd
    .uniform_work_group_size: 1
    .uses_dynamic_stack: false
    .vgpr_count:     0
    .vgpr_spill_count: 0
    .wavefront_size: 64
  - .agpr_count:     0
    .args:
      - .offset:         0
        .size:           64
        .value_kind:     by_value
    .group_segment_fixed_size: 0
    .kernarg_segment_align: 8
    .kernarg_segment_size: 64
    .language:       OpenCL C
    .language_version:
      - 2
      - 0
    .max_flat_workgroup_size: 512
    .name:           _ZN7rocprim17ROCPRIM_400000_NS6detail17trampoline_kernelINS0_14default_configENS1_35adjacent_difference_config_selectorILb1ElEEZNS1_24adjacent_difference_implIS3_Lb1ELb0EPlS7_ZN2at6native12_GLOBAL__N_124unique_dim_cuda_templateIbEESt5tupleIJNS8_6TensorESD_SD_EERKSD_lbbbEUlllE1_EE10hipError_tPvRmT2_T3_mT4_P12ihipStream_tbEUlT_E_NS1_11comp_targetILNS1_3genE3ELNS1_11target_archE908ELNS1_3gpuE7ELNS1_3repE0EEENS1_30default_config_static_selectorELNS0_4arch9wavefront6targetE1EEEvT1_
    .private_segment_fixed_size: 0
    .sgpr_count:     6
    .sgpr_spill_count: 0
    .symbol:         _ZN7rocprim17ROCPRIM_400000_NS6detail17trampoline_kernelINS0_14default_configENS1_35adjacent_difference_config_selectorILb1ElEEZNS1_24adjacent_difference_implIS3_Lb1ELb0EPlS7_ZN2at6native12_GLOBAL__N_124unique_dim_cuda_templateIbEESt5tupleIJNS8_6TensorESD_SD_EERKSD_lbbbEUlllE1_EE10hipError_tPvRmT2_T3_mT4_P12ihipStream_tbEUlT_E_NS1_11comp_targetILNS1_3genE3ELNS1_11target_archE908ELNS1_3gpuE7ELNS1_3repE0EEENS1_30default_config_static_selectorELNS0_4arch9wavefront6targetE1EEEvT1_.kd
    .uniform_work_group_size: 1
    .uses_dynamic_stack: false
    .vgpr_count:     0
    .vgpr_spill_count: 0
    .wavefront_size: 64
  - .agpr_count:     0
    .args:
      - .offset:         0
        .size:           64
        .value_kind:     by_value
    .group_segment_fixed_size: 0
    .kernarg_segment_align: 8
    .kernarg_segment_size: 64
    .language:       OpenCL C
    .language_version:
      - 2
      - 0
    .max_flat_workgroup_size: 128
    .name:           _ZN7rocprim17ROCPRIM_400000_NS6detail17trampoline_kernelINS0_14default_configENS1_35adjacent_difference_config_selectorILb1ElEEZNS1_24adjacent_difference_implIS3_Lb1ELb0EPlS7_ZN2at6native12_GLOBAL__N_124unique_dim_cuda_templateIbEESt5tupleIJNS8_6TensorESD_SD_EERKSD_lbbbEUlllE1_EE10hipError_tPvRmT2_T3_mT4_P12ihipStream_tbEUlT_E_NS1_11comp_targetILNS1_3genE2ELNS1_11target_archE906ELNS1_3gpuE6ELNS1_3repE0EEENS1_30default_config_static_selectorELNS0_4arch9wavefront6targetE1EEEvT1_
    .private_segment_fixed_size: 0
    .sgpr_count:     6
    .sgpr_spill_count: 0
    .symbol:         _ZN7rocprim17ROCPRIM_400000_NS6detail17trampoline_kernelINS0_14default_configENS1_35adjacent_difference_config_selectorILb1ElEEZNS1_24adjacent_difference_implIS3_Lb1ELb0EPlS7_ZN2at6native12_GLOBAL__N_124unique_dim_cuda_templateIbEESt5tupleIJNS8_6TensorESD_SD_EERKSD_lbbbEUlllE1_EE10hipError_tPvRmT2_T3_mT4_P12ihipStream_tbEUlT_E_NS1_11comp_targetILNS1_3genE2ELNS1_11target_archE906ELNS1_3gpuE6ELNS1_3repE0EEENS1_30default_config_static_selectorELNS0_4arch9wavefront6targetE1EEEvT1_.kd
    .uniform_work_group_size: 1
    .uses_dynamic_stack: false
    .vgpr_count:     0
    .vgpr_spill_count: 0
    .wavefront_size: 64
  - .agpr_count:     0
    .args:
      - .offset:         0
        .size:           64
        .value_kind:     by_value
    .group_segment_fixed_size: 0
    .kernarg_segment_align: 8
    .kernarg_segment_size: 64
    .language:       OpenCL C
    .language_version:
      - 2
      - 0
    .max_flat_workgroup_size: 128
    .name:           _ZN7rocprim17ROCPRIM_400000_NS6detail17trampoline_kernelINS0_14default_configENS1_35adjacent_difference_config_selectorILb1ElEEZNS1_24adjacent_difference_implIS3_Lb1ELb0EPlS7_ZN2at6native12_GLOBAL__N_124unique_dim_cuda_templateIbEESt5tupleIJNS8_6TensorESD_SD_EERKSD_lbbbEUlllE1_EE10hipError_tPvRmT2_T3_mT4_P12ihipStream_tbEUlT_E_NS1_11comp_targetILNS1_3genE9ELNS1_11target_archE1100ELNS1_3gpuE3ELNS1_3repE0EEENS1_30default_config_static_selectorELNS0_4arch9wavefront6targetE1EEEvT1_
    .private_segment_fixed_size: 0
    .sgpr_count:     6
    .sgpr_spill_count: 0
    .symbol:         _ZN7rocprim17ROCPRIM_400000_NS6detail17trampoline_kernelINS0_14default_configENS1_35adjacent_difference_config_selectorILb1ElEEZNS1_24adjacent_difference_implIS3_Lb1ELb0EPlS7_ZN2at6native12_GLOBAL__N_124unique_dim_cuda_templateIbEESt5tupleIJNS8_6TensorESD_SD_EERKSD_lbbbEUlllE1_EE10hipError_tPvRmT2_T3_mT4_P12ihipStream_tbEUlT_E_NS1_11comp_targetILNS1_3genE9ELNS1_11target_archE1100ELNS1_3gpuE3ELNS1_3repE0EEENS1_30default_config_static_selectorELNS0_4arch9wavefront6targetE1EEEvT1_.kd
    .uniform_work_group_size: 1
    .uses_dynamic_stack: false
    .vgpr_count:     0
    .vgpr_spill_count: 0
    .wavefront_size: 64
  - .agpr_count:     0
    .args:
      - .offset:         0
        .size:           64
        .value_kind:     by_value
    .group_segment_fixed_size: 0
    .kernarg_segment_align: 8
    .kernarg_segment_size: 64
    .language:       OpenCL C
    .language_version:
      - 2
      - 0
    .max_flat_workgroup_size: 32
    .name:           _ZN7rocprim17ROCPRIM_400000_NS6detail17trampoline_kernelINS0_14default_configENS1_35adjacent_difference_config_selectorILb1ElEEZNS1_24adjacent_difference_implIS3_Lb1ELb0EPlS7_ZN2at6native12_GLOBAL__N_124unique_dim_cuda_templateIbEESt5tupleIJNS8_6TensorESD_SD_EERKSD_lbbbEUlllE1_EE10hipError_tPvRmT2_T3_mT4_P12ihipStream_tbEUlT_E_NS1_11comp_targetILNS1_3genE8ELNS1_11target_archE1030ELNS1_3gpuE2ELNS1_3repE0EEENS1_30default_config_static_selectorELNS0_4arch9wavefront6targetE1EEEvT1_
    .private_segment_fixed_size: 0
    .sgpr_count:     6
    .sgpr_spill_count: 0
    .symbol:         _ZN7rocprim17ROCPRIM_400000_NS6detail17trampoline_kernelINS0_14default_configENS1_35adjacent_difference_config_selectorILb1ElEEZNS1_24adjacent_difference_implIS3_Lb1ELb0EPlS7_ZN2at6native12_GLOBAL__N_124unique_dim_cuda_templateIbEESt5tupleIJNS8_6TensorESD_SD_EERKSD_lbbbEUlllE1_EE10hipError_tPvRmT2_T3_mT4_P12ihipStream_tbEUlT_E_NS1_11comp_targetILNS1_3genE8ELNS1_11target_archE1030ELNS1_3gpuE2ELNS1_3repE0EEENS1_30default_config_static_selectorELNS0_4arch9wavefront6targetE1EEEvT1_.kd
    .uniform_work_group_size: 1
    .uses_dynamic_stack: false
    .vgpr_count:     0
    .vgpr_spill_count: 0
    .wavefront_size: 64
  - .agpr_count:     0
    .args:
      - .offset:         0
        .size:           120
        .value_kind:     by_value
    .group_segment_fixed_size: 0
    .kernarg_segment_align: 8
    .kernarg_segment_size: 120
    .language:       OpenCL C
    .language_version:
      - 2
      - 0
    .max_flat_workgroup_size: 512
    .name:           _ZN7rocprim17ROCPRIM_400000_NS6detail17trampoline_kernelINS0_14default_configENS1_25partition_config_selectorILNS1_17partition_subalgoE8ElNS0_10empty_typeEbEEZZNS1_14partition_implILS5_8ELb0ES3_jPlPS6_PKS6_NS0_5tupleIJS9_S6_EEENSD_IJSA_SA_EEENS0_18inequality_wrapperIZN2at6native12_GLOBAL__N_124unique_dim_cuda_templateIbEESt5tupleIJNSH_6TensorESM_SM_EERKSM_lbbbEUlllE0_EEPmJS6_EEE10hipError_tPvRmT3_T4_T5_T6_T7_T9_mT8_P12ihipStream_tbDpT10_ENKUlT_T0_E_clISt17integral_constantIbLb0EES1C_EEDaS17_S18_EUlS17_E_NS1_11comp_targetILNS1_3genE0ELNS1_11target_archE4294967295ELNS1_3gpuE0ELNS1_3repE0EEENS1_30default_config_static_selectorELNS0_4arch9wavefront6targetE1EEEvT1_
    .private_segment_fixed_size: 0
    .sgpr_count:     6
    .sgpr_spill_count: 0
    .symbol:         _ZN7rocprim17ROCPRIM_400000_NS6detail17trampoline_kernelINS0_14default_configENS1_25partition_config_selectorILNS1_17partition_subalgoE8ElNS0_10empty_typeEbEEZZNS1_14partition_implILS5_8ELb0ES3_jPlPS6_PKS6_NS0_5tupleIJS9_S6_EEENSD_IJSA_SA_EEENS0_18inequality_wrapperIZN2at6native12_GLOBAL__N_124unique_dim_cuda_templateIbEESt5tupleIJNSH_6TensorESM_SM_EERKSM_lbbbEUlllE0_EEPmJS6_EEE10hipError_tPvRmT3_T4_T5_T6_T7_T9_mT8_P12ihipStream_tbDpT10_ENKUlT_T0_E_clISt17integral_constantIbLb0EES1C_EEDaS17_S18_EUlS17_E_NS1_11comp_targetILNS1_3genE0ELNS1_11target_archE4294967295ELNS1_3gpuE0ELNS1_3repE0EEENS1_30default_config_static_selectorELNS0_4arch9wavefront6targetE1EEEvT1_.kd
    .uniform_work_group_size: 1
    .uses_dynamic_stack: false
    .vgpr_count:     0
    .vgpr_spill_count: 0
    .wavefront_size: 64
  - .agpr_count:     0
    .args:
      - .offset:         0
        .size:           120
        .value_kind:     by_value
    .group_segment_fixed_size: 28684
    .kernarg_segment_align: 8
    .kernarg_segment_size: 120
    .language:       OpenCL C
    .language_version:
      - 2
      - 0
    .max_flat_workgroup_size: 512
    .name:           _ZN7rocprim17ROCPRIM_400000_NS6detail17trampoline_kernelINS0_14default_configENS1_25partition_config_selectorILNS1_17partition_subalgoE8ElNS0_10empty_typeEbEEZZNS1_14partition_implILS5_8ELb0ES3_jPlPS6_PKS6_NS0_5tupleIJS9_S6_EEENSD_IJSA_SA_EEENS0_18inequality_wrapperIZN2at6native12_GLOBAL__N_124unique_dim_cuda_templateIbEESt5tupleIJNSH_6TensorESM_SM_EERKSM_lbbbEUlllE0_EEPmJS6_EEE10hipError_tPvRmT3_T4_T5_T6_T7_T9_mT8_P12ihipStream_tbDpT10_ENKUlT_T0_E_clISt17integral_constantIbLb0EES1C_EEDaS17_S18_EUlS17_E_NS1_11comp_targetILNS1_3genE5ELNS1_11target_archE942ELNS1_3gpuE9ELNS1_3repE0EEENS1_30default_config_static_selectorELNS0_4arch9wavefront6targetE1EEEvT1_
    .private_segment_fixed_size: 0
    .sgpr_count:     58
    .sgpr_spill_count: 0
    .symbol:         _ZN7rocprim17ROCPRIM_400000_NS6detail17trampoline_kernelINS0_14default_configENS1_25partition_config_selectorILNS1_17partition_subalgoE8ElNS0_10empty_typeEbEEZZNS1_14partition_implILS5_8ELb0ES3_jPlPS6_PKS6_NS0_5tupleIJS9_S6_EEENSD_IJSA_SA_EEENS0_18inequality_wrapperIZN2at6native12_GLOBAL__N_124unique_dim_cuda_templateIbEESt5tupleIJNSH_6TensorESM_SM_EERKSM_lbbbEUlllE0_EEPmJS6_EEE10hipError_tPvRmT3_T4_T5_T6_T7_T9_mT8_P12ihipStream_tbDpT10_ENKUlT_T0_E_clISt17integral_constantIbLb0EES1C_EEDaS17_S18_EUlS17_E_NS1_11comp_targetILNS1_3genE5ELNS1_11target_archE942ELNS1_3gpuE9ELNS1_3repE0EEENS1_30default_config_static_selectorELNS0_4arch9wavefront6targetE1EEEvT1_.kd
    .uniform_work_group_size: 1
    .uses_dynamic_stack: false
    .vgpr_count:     52
    .vgpr_spill_count: 0
    .wavefront_size: 64
  - .agpr_count:     0
    .args:
      - .offset:         0
        .size:           120
        .value_kind:     by_value
    .group_segment_fixed_size: 0
    .kernarg_segment_align: 8
    .kernarg_segment_size: 120
    .language:       OpenCL C
    .language_version:
      - 2
      - 0
    .max_flat_workgroup_size: 256
    .name:           _ZN7rocprim17ROCPRIM_400000_NS6detail17trampoline_kernelINS0_14default_configENS1_25partition_config_selectorILNS1_17partition_subalgoE8ElNS0_10empty_typeEbEEZZNS1_14partition_implILS5_8ELb0ES3_jPlPS6_PKS6_NS0_5tupleIJS9_S6_EEENSD_IJSA_SA_EEENS0_18inequality_wrapperIZN2at6native12_GLOBAL__N_124unique_dim_cuda_templateIbEESt5tupleIJNSH_6TensorESM_SM_EERKSM_lbbbEUlllE0_EEPmJS6_EEE10hipError_tPvRmT3_T4_T5_T6_T7_T9_mT8_P12ihipStream_tbDpT10_ENKUlT_T0_E_clISt17integral_constantIbLb0EES1C_EEDaS17_S18_EUlS17_E_NS1_11comp_targetILNS1_3genE4ELNS1_11target_archE910ELNS1_3gpuE8ELNS1_3repE0EEENS1_30default_config_static_selectorELNS0_4arch9wavefront6targetE1EEEvT1_
    .private_segment_fixed_size: 0
    .sgpr_count:     6
    .sgpr_spill_count: 0
    .symbol:         _ZN7rocprim17ROCPRIM_400000_NS6detail17trampoline_kernelINS0_14default_configENS1_25partition_config_selectorILNS1_17partition_subalgoE8ElNS0_10empty_typeEbEEZZNS1_14partition_implILS5_8ELb0ES3_jPlPS6_PKS6_NS0_5tupleIJS9_S6_EEENSD_IJSA_SA_EEENS0_18inequality_wrapperIZN2at6native12_GLOBAL__N_124unique_dim_cuda_templateIbEESt5tupleIJNSH_6TensorESM_SM_EERKSM_lbbbEUlllE0_EEPmJS6_EEE10hipError_tPvRmT3_T4_T5_T6_T7_T9_mT8_P12ihipStream_tbDpT10_ENKUlT_T0_E_clISt17integral_constantIbLb0EES1C_EEDaS17_S18_EUlS17_E_NS1_11comp_targetILNS1_3genE4ELNS1_11target_archE910ELNS1_3gpuE8ELNS1_3repE0EEENS1_30default_config_static_selectorELNS0_4arch9wavefront6targetE1EEEvT1_.kd
    .uniform_work_group_size: 1
    .uses_dynamic_stack: false
    .vgpr_count:     0
    .vgpr_spill_count: 0
    .wavefront_size: 64
  - .agpr_count:     0
    .args:
      - .offset:         0
        .size:           120
        .value_kind:     by_value
    .group_segment_fixed_size: 0
    .kernarg_segment_align: 8
    .kernarg_segment_size: 120
    .language:       OpenCL C
    .language_version:
      - 2
      - 0
    .max_flat_workgroup_size: 512
    .name:           _ZN7rocprim17ROCPRIM_400000_NS6detail17trampoline_kernelINS0_14default_configENS1_25partition_config_selectorILNS1_17partition_subalgoE8ElNS0_10empty_typeEbEEZZNS1_14partition_implILS5_8ELb0ES3_jPlPS6_PKS6_NS0_5tupleIJS9_S6_EEENSD_IJSA_SA_EEENS0_18inequality_wrapperIZN2at6native12_GLOBAL__N_124unique_dim_cuda_templateIbEESt5tupleIJNSH_6TensorESM_SM_EERKSM_lbbbEUlllE0_EEPmJS6_EEE10hipError_tPvRmT3_T4_T5_T6_T7_T9_mT8_P12ihipStream_tbDpT10_ENKUlT_T0_E_clISt17integral_constantIbLb0EES1C_EEDaS17_S18_EUlS17_E_NS1_11comp_targetILNS1_3genE3ELNS1_11target_archE908ELNS1_3gpuE7ELNS1_3repE0EEENS1_30default_config_static_selectorELNS0_4arch9wavefront6targetE1EEEvT1_
    .private_segment_fixed_size: 0
    .sgpr_count:     6
    .sgpr_spill_count: 0
    .symbol:         _ZN7rocprim17ROCPRIM_400000_NS6detail17trampoline_kernelINS0_14default_configENS1_25partition_config_selectorILNS1_17partition_subalgoE8ElNS0_10empty_typeEbEEZZNS1_14partition_implILS5_8ELb0ES3_jPlPS6_PKS6_NS0_5tupleIJS9_S6_EEENSD_IJSA_SA_EEENS0_18inequality_wrapperIZN2at6native12_GLOBAL__N_124unique_dim_cuda_templateIbEESt5tupleIJNSH_6TensorESM_SM_EERKSM_lbbbEUlllE0_EEPmJS6_EEE10hipError_tPvRmT3_T4_T5_T6_T7_T9_mT8_P12ihipStream_tbDpT10_ENKUlT_T0_E_clISt17integral_constantIbLb0EES1C_EEDaS17_S18_EUlS17_E_NS1_11comp_targetILNS1_3genE3ELNS1_11target_archE908ELNS1_3gpuE7ELNS1_3repE0EEENS1_30default_config_static_selectorELNS0_4arch9wavefront6targetE1EEEvT1_.kd
    .uniform_work_group_size: 1
    .uses_dynamic_stack: false
    .vgpr_count:     0
    .vgpr_spill_count: 0
    .wavefront_size: 64
  - .agpr_count:     0
    .args:
      - .offset:         0
        .size:           120
        .value_kind:     by_value
    .group_segment_fixed_size: 0
    .kernarg_segment_align: 8
    .kernarg_segment_size: 120
    .language:       OpenCL C
    .language_version:
      - 2
      - 0
    .max_flat_workgroup_size: 256
    .name:           _ZN7rocprim17ROCPRIM_400000_NS6detail17trampoline_kernelINS0_14default_configENS1_25partition_config_selectorILNS1_17partition_subalgoE8ElNS0_10empty_typeEbEEZZNS1_14partition_implILS5_8ELb0ES3_jPlPS6_PKS6_NS0_5tupleIJS9_S6_EEENSD_IJSA_SA_EEENS0_18inequality_wrapperIZN2at6native12_GLOBAL__N_124unique_dim_cuda_templateIbEESt5tupleIJNSH_6TensorESM_SM_EERKSM_lbbbEUlllE0_EEPmJS6_EEE10hipError_tPvRmT3_T4_T5_T6_T7_T9_mT8_P12ihipStream_tbDpT10_ENKUlT_T0_E_clISt17integral_constantIbLb0EES1C_EEDaS17_S18_EUlS17_E_NS1_11comp_targetILNS1_3genE2ELNS1_11target_archE906ELNS1_3gpuE6ELNS1_3repE0EEENS1_30default_config_static_selectorELNS0_4arch9wavefront6targetE1EEEvT1_
    .private_segment_fixed_size: 0
    .sgpr_count:     6
    .sgpr_spill_count: 0
    .symbol:         _ZN7rocprim17ROCPRIM_400000_NS6detail17trampoline_kernelINS0_14default_configENS1_25partition_config_selectorILNS1_17partition_subalgoE8ElNS0_10empty_typeEbEEZZNS1_14partition_implILS5_8ELb0ES3_jPlPS6_PKS6_NS0_5tupleIJS9_S6_EEENSD_IJSA_SA_EEENS0_18inequality_wrapperIZN2at6native12_GLOBAL__N_124unique_dim_cuda_templateIbEESt5tupleIJNSH_6TensorESM_SM_EERKSM_lbbbEUlllE0_EEPmJS6_EEE10hipError_tPvRmT3_T4_T5_T6_T7_T9_mT8_P12ihipStream_tbDpT10_ENKUlT_T0_E_clISt17integral_constantIbLb0EES1C_EEDaS17_S18_EUlS17_E_NS1_11comp_targetILNS1_3genE2ELNS1_11target_archE906ELNS1_3gpuE6ELNS1_3repE0EEENS1_30default_config_static_selectorELNS0_4arch9wavefront6targetE1EEEvT1_.kd
    .uniform_work_group_size: 1
    .uses_dynamic_stack: false
    .vgpr_count:     0
    .vgpr_spill_count: 0
    .wavefront_size: 64
  - .agpr_count:     0
    .args:
      - .offset:         0
        .size:           120
        .value_kind:     by_value
    .group_segment_fixed_size: 0
    .kernarg_segment_align: 8
    .kernarg_segment_size: 120
    .language:       OpenCL C
    .language_version:
      - 2
      - 0
    .max_flat_workgroup_size: 384
    .name:           _ZN7rocprim17ROCPRIM_400000_NS6detail17trampoline_kernelINS0_14default_configENS1_25partition_config_selectorILNS1_17partition_subalgoE8ElNS0_10empty_typeEbEEZZNS1_14partition_implILS5_8ELb0ES3_jPlPS6_PKS6_NS0_5tupleIJS9_S6_EEENSD_IJSA_SA_EEENS0_18inequality_wrapperIZN2at6native12_GLOBAL__N_124unique_dim_cuda_templateIbEESt5tupleIJNSH_6TensorESM_SM_EERKSM_lbbbEUlllE0_EEPmJS6_EEE10hipError_tPvRmT3_T4_T5_T6_T7_T9_mT8_P12ihipStream_tbDpT10_ENKUlT_T0_E_clISt17integral_constantIbLb0EES1C_EEDaS17_S18_EUlS17_E_NS1_11comp_targetILNS1_3genE10ELNS1_11target_archE1200ELNS1_3gpuE4ELNS1_3repE0EEENS1_30default_config_static_selectorELNS0_4arch9wavefront6targetE1EEEvT1_
    .private_segment_fixed_size: 0
    .sgpr_count:     6
    .sgpr_spill_count: 0
    .symbol:         _ZN7rocprim17ROCPRIM_400000_NS6detail17trampoline_kernelINS0_14default_configENS1_25partition_config_selectorILNS1_17partition_subalgoE8ElNS0_10empty_typeEbEEZZNS1_14partition_implILS5_8ELb0ES3_jPlPS6_PKS6_NS0_5tupleIJS9_S6_EEENSD_IJSA_SA_EEENS0_18inequality_wrapperIZN2at6native12_GLOBAL__N_124unique_dim_cuda_templateIbEESt5tupleIJNSH_6TensorESM_SM_EERKSM_lbbbEUlllE0_EEPmJS6_EEE10hipError_tPvRmT3_T4_T5_T6_T7_T9_mT8_P12ihipStream_tbDpT10_ENKUlT_T0_E_clISt17integral_constantIbLb0EES1C_EEDaS17_S18_EUlS17_E_NS1_11comp_targetILNS1_3genE10ELNS1_11target_archE1200ELNS1_3gpuE4ELNS1_3repE0EEENS1_30default_config_static_selectorELNS0_4arch9wavefront6targetE1EEEvT1_.kd
    .uniform_work_group_size: 1
    .uses_dynamic_stack: false
    .vgpr_count:     0
    .vgpr_spill_count: 0
    .wavefront_size: 64
  - .agpr_count:     0
    .args:
      - .offset:         0
        .size:           120
        .value_kind:     by_value
    .group_segment_fixed_size: 0
    .kernarg_segment_align: 8
    .kernarg_segment_size: 120
    .language:       OpenCL C
    .language_version:
      - 2
      - 0
    .max_flat_workgroup_size: 512
    .name:           _ZN7rocprim17ROCPRIM_400000_NS6detail17trampoline_kernelINS0_14default_configENS1_25partition_config_selectorILNS1_17partition_subalgoE8ElNS0_10empty_typeEbEEZZNS1_14partition_implILS5_8ELb0ES3_jPlPS6_PKS6_NS0_5tupleIJS9_S6_EEENSD_IJSA_SA_EEENS0_18inequality_wrapperIZN2at6native12_GLOBAL__N_124unique_dim_cuda_templateIbEESt5tupleIJNSH_6TensorESM_SM_EERKSM_lbbbEUlllE0_EEPmJS6_EEE10hipError_tPvRmT3_T4_T5_T6_T7_T9_mT8_P12ihipStream_tbDpT10_ENKUlT_T0_E_clISt17integral_constantIbLb0EES1C_EEDaS17_S18_EUlS17_E_NS1_11comp_targetILNS1_3genE9ELNS1_11target_archE1100ELNS1_3gpuE3ELNS1_3repE0EEENS1_30default_config_static_selectorELNS0_4arch9wavefront6targetE1EEEvT1_
    .private_segment_fixed_size: 0
    .sgpr_count:     6
    .sgpr_spill_count: 0
    .symbol:         _ZN7rocprim17ROCPRIM_400000_NS6detail17trampoline_kernelINS0_14default_configENS1_25partition_config_selectorILNS1_17partition_subalgoE8ElNS0_10empty_typeEbEEZZNS1_14partition_implILS5_8ELb0ES3_jPlPS6_PKS6_NS0_5tupleIJS9_S6_EEENSD_IJSA_SA_EEENS0_18inequality_wrapperIZN2at6native12_GLOBAL__N_124unique_dim_cuda_templateIbEESt5tupleIJNSH_6TensorESM_SM_EERKSM_lbbbEUlllE0_EEPmJS6_EEE10hipError_tPvRmT3_T4_T5_T6_T7_T9_mT8_P12ihipStream_tbDpT10_ENKUlT_T0_E_clISt17integral_constantIbLb0EES1C_EEDaS17_S18_EUlS17_E_NS1_11comp_targetILNS1_3genE9ELNS1_11target_archE1100ELNS1_3gpuE3ELNS1_3repE0EEENS1_30default_config_static_selectorELNS0_4arch9wavefront6targetE1EEEvT1_.kd
    .uniform_work_group_size: 1
    .uses_dynamic_stack: false
    .vgpr_count:     0
    .vgpr_spill_count: 0
    .wavefront_size: 64
  - .agpr_count:     0
    .args:
      - .offset:         0
        .size:           120
        .value_kind:     by_value
    .group_segment_fixed_size: 0
    .kernarg_segment_align: 8
    .kernarg_segment_size: 120
    .language:       OpenCL C
    .language_version:
      - 2
      - 0
    .max_flat_workgroup_size: 512
    .name:           _ZN7rocprim17ROCPRIM_400000_NS6detail17trampoline_kernelINS0_14default_configENS1_25partition_config_selectorILNS1_17partition_subalgoE8ElNS0_10empty_typeEbEEZZNS1_14partition_implILS5_8ELb0ES3_jPlPS6_PKS6_NS0_5tupleIJS9_S6_EEENSD_IJSA_SA_EEENS0_18inequality_wrapperIZN2at6native12_GLOBAL__N_124unique_dim_cuda_templateIbEESt5tupleIJNSH_6TensorESM_SM_EERKSM_lbbbEUlllE0_EEPmJS6_EEE10hipError_tPvRmT3_T4_T5_T6_T7_T9_mT8_P12ihipStream_tbDpT10_ENKUlT_T0_E_clISt17integral_constantIbLb0EES1C_EEDaS17_S18_EUlS17_E_NS1_11comp_targetILNS1_3genE8ELNS1_11target_archE1030ELNS1_3gpuE2ELNS1_3repE0EEENS1_30default_config_static_selectorELNS0_4arch9wavefront6targetE1EEEvT1_
    .private_segment_fixed_size: 0
    .sgpr_count:     6
    .sgpr_spill_count: 0
    .symbol:         _ZN7rocprim17ROCPRIM_400000_NS6detail17trampoline_kernelINS0_14default_configENS1_25partition_config_selectorILNS1_17partition_subalgoE8ElNS0_10empty_typeEbEEZZNS1_14partition_implILS5_8ELb0ES3_jPlPS6_PKS6_NS0_5tupleIJS9_S6_EEENSD_IJSA_SA_EEENS0_18inequality_wrapperIZN2at6native12_GLOBAL__N_124unique_dim_cuda_templateIbEESt5tupleIJNSH_6TensorESM_SM_EERKSM_lbbbEUlllE0_EEPmJS6_EEE10hipError_tPvRmT3_T4_T5_T6_T7_T9_mT8_P12ihipStream_tbDpT10_ENKUlT_T0_E_clISt17integral_constantIbLb0EES1C_EEDaS17_S18_EUlS17_E_NS1_11comp_targetILNS1_3genE8ELNS1_11target_archE1030ELNS1_3gpuE2ELNS1_3repE0EEENS1_30default_config_static_selectorELNS0_4arch9wavefront6targetE1EEEvT1_.kd
    .uniform_work_group_size: 1
    .uses_dynamic_stack: false
    .vgpr_count:     0
    .vgpr_spill_count: 0
    .wavefront_size: 64
  - .agpr_count:     0
    .args:
      - .offset:         0
        .size:           136
        .value_kind:     by_value
    .group_segment_fixed_size: 0
    .kernarg_segment_align: 8
    .kernarg_segment_size: 136
    .language:       OpenCL C
    .language_version:
      - 2
      - 0
    .max_flat_workgroup_size: 512
    .name:           _ZN7rocprim17ROCPRIM_400000_NS6detail17trampoline_kernelINS0_14default_configENS1_25partition_config_selectorILNS1_17partition_subalgoE8ElNS0_10empty_typeEbEEZZNS1_14partition_implILS5_8ELb0ES3_jPlPS6_PKS6_NS0_5tupleIJS9_S6_EEENSD_IJSA_SA_EEENS0_18inequality_wrapperIZN2at6native12_GLOBAL__N_124unique_dim_cuda_templateIbEESt5tupleIJNSH_6TensorESM_SM_EERKSM_lbbbEUlllE0_EEPmJS6_EEE10hipError_tPvRmT3_T4_T5_T6_T7_T9_mT8_P12ihipStream_tbDpT10_ENKUlT_T0_E_clISt17integral_constantIbLb1EES1C_EEDaS17_S18_EUlS17_E_NS1_11comp_targetILNS1_3genE0ELNS1_11target_archE4294967295ELNS1_3gpuE0ELNS1_3repE0EEENS1_30default_config_static_selectorELNS0_4arch9wavefront6targetE1EEEvT1_
    .private_segment_fixed_size: 0
    .sgpr_count:     6
    .sgpr_spill_count: 0
    .symbol:         _ZN7rocprim17ROCPRIM_400000_NS6detail17trampoline_kernelINS0_14default_configENS1_25partition_config_selectorILNS1_17partition_subalgoE8ElNS0_10empty_typeEbEEZZNS1_14partition_implILS5_8ELb0ES3_jPlPS6_PKS6_NS0_5tupleIJS9_S6_EEENSD_IJSA_SA_EEENS0_18inequality_wrapperIZN2at6native12_GLOBAL__N_124unique_dim_cuda_templateIbEESt5tupleIJNSH_6TensorESM_SM_EERKSM_lbbbEUlllE0_EEPmJS6_EEE10hipError_tPvRmT3_T4_T5_T6_T7_T9_mT8_P12ihipStream_tbDpT10_ENKUlT_T0_E_clISt17integral_constantIbLb1EES1C_EEDaS17_S18_EUlS17_E_NS1_11comp_targetILNS1_3genE0ELNS1_11target_archE4294967295ELNS1_3gpuE0ELNS1_3repE0EEENS1_30default_config_static_selectorELNS0_4arch9wavefront6targetE1EEEvT1_.kd
    .uniform_work_group_size: 1
    .uses_dynamic_stack: false
    .vgpr_count:     0
    .vgpr_spill_count: 0
    .wavefront_size: 64
  - .agpr_count:     0
    .args:
      - .offset:         0
        .size:           136
        .value_kind:     by_value
    .group_segment_fixed_size: 28684
    .kernarg_segment_align: 8
    .kernarg_segment_size: 136
    .language:       OpenCL C
    .language_version:
      - 2
      - 0
    .max_flat_workgroup_size: 512
    .name:           _ZN7rocprim17ROCPRIM_400000_NS6detail17trampoline_kernelINS0_14default_configENS1_25partition_config_selectorILNS1_17partition_subalgoE8ElNS0_10empty_typeEbEEZZNS1_14partition_implILS5_8ELb0ES3_jPlPS6_PKS6_NS0_5tupleIJS9_S6_EEENSD_IJSA_SA_EEENS0_18inequality_wrapperIZN2at6native12_GLOBAL__N_124unique_dim_cuda_templateIbEESt5tupleIJNSH_6TensorESM_SM_EERKSM_lbbbEUlllE0_EEPmJS6_EEE10hipError_tPvRmT3_T4_T5_T6_T7_T9_mT8_P12ihipStream_tbDpT10_ENKUlT_T0_E_clISt17integral_constantIbLb1EES1C_EEDaS17_S18_EUlS17_E_NS1_11comp_targetILNS1_3genE5ELNS1_11target_archE942ELNS1_3gpuE9ELNS1_3repE0EEENS1_30default_config_static_selectorELNS0_4arch9wavefront6targetE1EEEvT1_
    .private_segment_fixed_size: 0
    .sgpr_count:     62
    .sgpr_spill_count: 0
    .symbol:         _ZN7rocprim17ROCPRIM_400000_NS6detail17trampoline_kernelINS0_14default_configENS1_25partition_config_selectorILNS1_17partition_subalgoE8ElNS0_10empty_typeEbEEZZNS1_14partition_implILS5_8ELb0ES3_jPlPS6_PKS6_NS0_5tupleIJS9_S6_EEENSD_IJSA_SA_EEENS0_18inequality_wrapperIZN2at6native12_GLOBAL__N_124unique_dim_cuda_templateIbEESt5tupleIJNSH_6TensorESM_SM_EERKSM_lbbbEUlllE0_EEPmJS6_EEE10hipError_tPvRmT3_T4_T5_T6_T7_T9_mT8_P12ihipStream_tbDpT10_ENKUlT_T0_E_clISt17integral_constantIbLb1EES1C_EEDaS17_S18_EUlS17_E_NS1_11comp_targetILNS1_3genE5ELNS1_11target_archE942ELNS1_3gpuE9ELNS1_3repE0EEENS1_30default_config_static_selectorELNS0_4arch9wavefront6targetE1EEEvT1_.kd
    .uniform_work_group_size: 1
    .uses_dynamic_stack: false
    .vgpr_count:     52
    .vgpr_spill_count: 0
    .wavefront_size: 64
  - .agpr_count:     0
    .args:
      - .offset:         0
        .size:           136
        .value_kind:     by_value
    .group_segment_fixed_size: 0
    .kernarg_segment_align: 8
    .kernarg_segment_size: 136
    .language:       OpenCL C
    .language_version:
      - 2
      - 0
    .max_flat_workgroup_size: 256
    .name:           _ZN7rocprim17ROCPRIM_400000_NS6detail17trampoline_kernelINS0_14default_configENS1_25partition_config_selectorILNS1_17partition_subalgoE8ElNS0_10empty_typeEbEEZZNS1_14partition_implILS5_8ELb0ES3_jPlPS6_PKS6_NS0_5tupleIJS9_S6_EEENSD_IJSA_SA_EEENS0_18inequality_wrapperIZN2at6native12_GLOBAL__N_124unique_dim_cuda_templateIbEESt5tupleIJNSH_6TensorESM_SM_EERKSM_lbbbEUlllE0_EEPmJS6_EEE10hipError_tPvRmT3_T4_T5_T6_T7_T9_mT8_P12ihipStream_tbDpT10_ENKUlT_T0_E_clISt17integral_constantIbLb1EES1C_EEDaS17_S18_EUlS17_E_NS1_11comp_targetILNS1_3genE4ELNS1_11target_archE910ELNS1_3gpuE8ELNS1_3repE0EEENS1_30default_config_static_selectorELNS0_4arch9wavefront6targetE1EEEvT1_
    .private_segment_fixed_size: 0
    .sgpr_count:     6
    .sgpr_spill_count: 0
    .symbol:         _ZN7rocprim17ROCPRIM_400000_NS6detail17trampoline_kernelINS0_14default_configENS1_25partition_config_selectorILNS1_17partition_subalgoE8ElNS0_10empty_typeEbEEZZNS1_14partition_implILS5_8ELb0ES3_jPlPS6_PKS6_NS0_5tupleIJS9_S6_EEENSD_IJSA_SA_EEENS0_18inequality_wrapperIZN2at6native12_GLOBAL__N_124unique_dim_cuda_templateIbEESt5tupleIJNSH_6TensorESM_SM_EERKSM_lbbbEUlllE0_EEPmJS6_EEE10hipError_tPvRmT3_T4_T5_T6_T7_T9_mT8_P12ihipStream_tbDpT10_ENKUlT_T0_E_clISt17integral_constantIbLb1EES1C_EEDaS17_S18_EUlS17_E_NS1_11comp_targetILNS1_3genE4ELNS1_11target_archE910ELNS1_3gpuE8ELNS1_3repE0EEENS1_30default_config_static_selectorELNS0_4arch9wavefront6targetE1EEEvT1_.kd
    .uniform_work_group_size: 1
    .uses_dynamic_stack: false
    .vgpr_count:     0
    .vgpr_spill_count: 0
    .wavefront_size: 64
  - .agpr_count:     0
    .args:
      - .offset:         0
        .size:           136
        .value_kind:     by_value
    .group_segment_fixed_size: 0
    .kernarg_segment_align: 8
    .kernarg_segment_size: 136
    .language:       OpenCL C
    .language_version:
      - 2
      - 0
    .max_flat_workgroup_size: 512
    .name:           _ZN7rocprim17ROCPRIM_400000_NS6detail17trampoline_kernelINS0_14default_configENS1_25partition_config_selectorILNS1_17partition_subalgoE8ElNS0_10empty_typeEbEEZZNS1_14partition_implILS5_8ELb0ES3_jPlPS6_PKS6_NS0_5tupleIJS9_S6_EEENSD_IJSA_SA_EEENS0_18inequality_wrapperIZN2at6native12_GLOBAL__N_124unique_dim_cuda_templateIbEESt5tupleIJNSH_6TensorESM_SM_EERKSM_lbbbEUlllE0_EEPmJS6_EEE10hipError_tPvRmT3_T4_T5_T6_T7_T9_mT8_P12ihipStream_tbDpT10_ENKUlT_T0_E_clISt17integral_constantIbLb1EES1C_EEDaS17_S18_EUlS17_E_NS1_11comp_targetILNS1_3genE3ELNS1_11target_archE908ELNS1_3gpuE7ELNS1_3repE0EEENS1_30default_config_static_selectorELNS0_4arch9wavefront6targetE1EEEvT1_
    .private_segment_fixed_size: 0
    .sgpr_count:     6
    .sgpr_spill_count: 0
    .symbol:         _ZN7rocprim17ROCPRIM_400000_NS6detail17trampoline_kernelINS0_14default_configENS1_25partition_config_selectorILNS1_17partition_subalgoE8ElNS0_10empty_typeEbEEZZNS1_14partition_implILS5_8ELb0ES3_jPlPS6_PKS6_NS0_5tupleIJS9_S6_EEENSD_IJSA_SA_EEENS0_18inequality_wrapperIZN2at6native12_GLOBAL__N_124unique_dim_cuda_templateIbEESt5tupleIJNSH_6TensorESM_SM_EERKSM_lbbbEUlllE0_EEPmJS6_EEE10hipError_tPvRmT3_T4_T5_T6_T7_T9_mT8_P12ihipStream_tbDpT10_ENKUlT_T0_E_clISt17integral_constantIbLb1EES1C_EEDaS17_S18_EUlS17_E_NS1_11comp_targetILNS1_3genE3ELNS1_11target_archE908ELNS1_3gpuE7ELNS1_3repE0EEENS1_30default_config_static_selectorELNS0_4arch9wavefront6targetE1EEEvT1_.kd
    .uniform_work_group_size: 1
    .uses_dynamic_stack: false
    .vgpr_count:     0
    .vgpr_spill_count: 0
    .wavefront_size: 64
  - .agpr_count:     0
    .args:
      - .offset:         0
        .size:           136
        .value_kind:     by_value
    .group_segment_fixed_size: 0
    .kernarg_segment_align: 8
    .kernarg_segment_size: 136
    .language:       OpenCL C
    .language_version:
      - 2
      - 0
    .max_flat_workgroup_size: 256
    .name:           _ZN7rocprim17ROCPRIM_400000_NS6detail17trampoline_kernelINS0_14default_configENS1_25partition_config_selectorILNS1_17partition_subalgoE8ElNS0_10empty_typeEbEEZZNS1_14partition_implILS5_8ELb0ES3_jPlPS6_PKS6_NS0_5tupleIJS9_S6_EEENSD_IJSA_SA_EEENS0_18inequality_wrapperIZN2at6native12_GLOBAL__N_124unique_dim_cuda_templateIbEESt5tupleIJNSH_6TensorESM_SM_EERKSM_lbbbEUlllE0_EEPmJS6_EEE10hipError_tPvRmT3_T4_T5_T6_T7_T9_mT8_P12ihipStream_tbDpT10_ENKUlT_T0_E_clISt17integral_constantIbLb1EES1C_EEDaS17_S18_EUlS17_E_NS1_11comp_targetILNS1_3genE2ELNS1_11target_archE906ELNS1_3gpuE6ELNS1_3repE0EEENS1_30default_config_static_selectorELNS0_4arch9wavefront6targetE1EEEvT1_
    .private_segment_fixed_size: 0
    .sgpr_count:     6
    .sgpr_spill_count: 0
    .symbol:         _ZN7rocprim17ROCPRIM_400000_NS6detail17trampoline_kernelINS0_14default_configENS1_25partition_config_selectorILNS1_17partition_subalgoE8ElNS0_10empty_typeEbEEZZNS1_14partition_implILS5_8ELb0ES3_jPlPS6_PKS6_NS0_5tupleIJS9_S6_EEENSD_IJSA_SA_EEENS0_18inequality_wrapperIZN2at6native12_GLOBAL__N_124unique_dim_cuda_templateIbEESt5tupleIJNSH_6TensorESM_SM_EERKSM_lbbbEUlllE0_EEPmJS6_EEE10hipError_tPvRmT3_T4_T5_T6_T7_T9_mT8_P12ihipStream_tbDpT10_ENKUlT_T0_E_clISt17integral_constantIbLb1EES1C_EEDaS17_S18_EUlS17_E_NS1_11comp_targetILNS1_3genE2ELNS1_11target_archE906ELNS1_3gpuE6ELNS1_3repE0EEENS1_30default_config_static_selectorELNS0_4arch9wavefront6targetE1EEEvT1_.kd
    .uniform_work_group_size: 1
    .uses_dynamic_stack: false
    .vgpr_count:     0
    .vgpr_spill_count: 0
    .wavefront_size: 64
  - .agpr_count:     0
    .args:
      - .offset:         0
        .size:           136
        .value_kind:     by_value
    .group_segment_fixed_size: 0
    .kernarg_segment_align: 8
    .kernarg_segment_size: 136
    .language:       OpenCL C
    .language_version:
      - 2
      - 0
    .max_flat_workgroup_size: 384
    .name:           _ZN7rocprim17ROCPRIM_400000_NS6detail17trampoline_kernelINS0_14default_configENS1_25partition_config_selectorILNS1_17partition_subalgoE8ElNS0_10empty_typeEbEEZZNS1_14partition_implILS5_8ELb0ES3_jPlPS6_PKS6_NS0_5tupleIJS9_S6_EEENSD_IJSA_SA_EEENS0_18inequality_wrapperIZN2at6native12_GLOBAL__N_124unique_dim_cuda_templateIbEESt5tupleIJNSH_6TensorESM_SM_EERKSM_lbbbEUlllE0_EEPmJS6_EEE10hipError_tPvRmT3_T4_T5_T6_T7_T9_mT8_P12ihipStream_tbDpT10_ENKUlT_T0_E_clISt17integral_constantIbLb1EES1C_EEDaS17_S18_EUlS17_E_NS1_11comp_targetILNS1_3genE10ELNS1_11target_archE1200ELNS1_3gpuE4ELNS1_3repE0EEENS1_30default_config_static_selectorELNS0_4arch9wavefront6targetE1EEEvT1_
    .private_segment_fixed_size: 0
    .sgpr_count:     6
    .sgpr_spill_count: 0
    .symbol:         _ZN7rocprim17ROCPRIM_400000_NS6detail17trampoline_kernelINS0_14default_configENS1_25partition_config_selectorILNS1_17partition_subalgoE8ElNS0_10empty_typeEbEEZZNS1_14partition_implILS5_8ELb0ES3_jPlPS6_PKS6_NS0_5tupleIJS9_S6_EEENSD_IJSA_SA_EEENS0_18inequality_wrapperIZN2at6native12_GLOBAL__N_124unique_dim_cuda_templateIbEESt5tupleIJNSH_6TensorESM_SM_EERKSM_lbbbEUlllE0_EEPmJS6_EEE10hipError_tPvRmT3_T4_T5_T6_T7_T9_mT8_P12ihipStream_tbDpT10_ENKUlT_T0_E_clISt17integral_constantIbLb1EES1C_EEDaS17_S18_EUlS17_E_NS1_11comp_targetILNS1_3genE10ELNS1_11target_archE1200ELNS1_3gpuE4ELNS1_3repE0EEENS1_30default_config_static_selectorELNS0_4arch9wavefront6targetE1EEEvT1_.kd
    .uniform_work_group_size: 1
    .uses_dynamic_stack: false
    .vgpr_count:     0
    .vgpr_spill_count: 0
    .wavefront_size: 64
  - .agpr_count:     0
    .args:
      - .offset:         0
        .size:           136
        .value_kind:     by_value
    .group_segment_fixed_size: 0
    .kernarg_segment_align: 8
    .kernarg_segment_size: 136
    .language:       OpenCL C
    .language_version:
      - 2
      - 0
    .max_flat_workgroup_size: 512
    .name:           _ZN7rocprim17ROCPRIM_400000_NS6detail17trampoline_kernelINS0_14default_configENS1_25partition_config_selectorILNS1_17partition_subalgoE8ElNS0_10empty_typeEbEEZZNS1_14partition_implILS5_8ELb0ES3_jPlPS6_PKS6_NS0_5tupleIJS9_S6_EEENSD_IJSA_SA_EEENS0_18inequality_wrapperIZN2at6native12_GLOBAL__N_124unique_dim_cuda_templateIbEESt5tupleIJNSH_6TensorESM_SM_EERKSM_lbbbEUlllE0_EEPmJS6_EEE10hipError_tPvRmT3_T4_T5_T6_T7_T9_mT8_P12ihipStream_tbDpT10_ENKUlT_T0_E_clISt17integral_constantIbLb1EES1C_EEDaS17_S18_EUlS17_E_NS1_11comp_targetILNS1_3genE9ELNS1_11target_archE1100ELNS1_3gpuE3ELNS1_3repE0EEENS1_30default_config_static_selectorELNS0_4arch9wavefront6targetE1EEEvT1_
    .private_segment_fixed_size: 0
    .sgpr_count:     6
    .sgpr_spill_count: 0
    .symbol:         _ZN7rocprim17ROCPRIM_400000_NS6detail17trampoline_kernelINS0_14default_configENS1_25partition_config_selectorILNS1_17partition_subalgoE8ElNS0_10empty_typeEbEEZZNS1_14partition_implILS5_8ELb0ES3_jPlPS6_PKS6_NS0_5tupleIJS9_S6_EEENSD_IJSA_SA_EEENS0_18inequality_wrapperIZN2at6native12_GLOBAL__N_124unique_dim_cuda_templateIbEESt5tupleIJNSH_6TensorESM_SM_EERKSM_lbbbEUlllE0_EEPmJS6_EEE10hipError_tPvRmT3_T4_T5_T6_T7_T9_mT8_P12ihipStream_tbDpT10_ENKUlT_T0_E_clISt17integral_constantIbLb1EES1C_EEDaS17_S18_EUlS17_E_NS1_11comp_targetILNS1_3genE9ELNS1_11target_archE1100ELNS1_3gpuE3ELNS1_3repE0EEENS1_30default_config_static_selectorELNS0_4arch9wavefront6targetE1EEEvT1_.kd
    .uniform_work_group_size: 1
    .uses_dynamic_stack: false
    .vgpr_count:     0
    .vgpr_spill_count: 0
    .wavefront_size: 64
  - .agpr_count:     0
    .args:
      - .offset:         0
        .size:           136
        .value_kind:     by_value
    .group_segment_fixed_size: 0
    .kernarg_segment_align: 8
    .kernarg_segment_size: 136
    .language:       OpenCL C
    .language_version:
      - 2
      - 0
    .max_flat_workgroup_size: 512
    .name:           _ZN7rocprim17ROCPRIM_400000_NS6detail17trampoline_kernelINS0_14default_configENS1_25partition_config_selectorILNS1_17partition_subalgoE8ElNS0_10empty_typeEbEEZZNS1_14partition_implILS5_8ELb0ES3_jPlPS6_PKS6_NS0_5tupleIJS9_S6_EEENSD_IJSA_SA_EEENS0_18inequality_wrapperIZN2at6native12_GLOBAL__N_124unique_dim_cuda_templateIbEESt5tupleIJNSH_6TensorESM_SM_EERKSM_lbbbEUlllE0_EEPmJS6_EEE10hipError_tPvRmT3_T4_T5_T6_T7_T9_mT8_P12ihipStream_tbDpT10_ENKUlT_T0_E_clISt17integral_constantIbLb1EES1C_EEDaS17_S18_EUlS17_E_NS1_11comp_targetILNS1_3genE8ELNS1_11target_archE1030ELNS1_3gpuE2ELNS1_3repE0EEENS1_30default_config_static_selectorELNS0_4arch9wavefront6targetE1EEEvT1_
    .private_segment_fixed_size: 0
    .sgpr_count:     6
    .sgpr_spill_count: 0
    .symbol:         _ZN7rocprim17ROCPRIM_400000_NS6detail17trampoline_kernelINS0_14default_configENS1_25partition_config_selectorILNS1_17partition_subalgoE8ElNS0_10empty_typeEbEEZZNS1_14partition_implILS5_8ELb0ES3_jPlPS6_PKS6_NS0_5tupleIJS9_S6_EEENSD_IJSA_SA_EEENS0_18inequality_wrapperIZN2at6native12_GLOBAL__N_124unique_dim_cuda_templateIbEESt5tupleIJNSH_6TensorESM_SM_EERKSM_lbbbEUlllE0_EEPmJS6_EEE10hipError_tPvRmT3_T4_T5_T6_T7_T9_mT8_P12ihipStream_tbDpT10_ENKUlT_T0_E_clISt17integral_constantIbLb1EES1C_EEDaS17_S18_EUlS17_E_NS1_11comp_targetILNS1_3genE8ELNS1_11target_archE1030ELNS1_3gpuE2ELNS1_3repE0EEENS1_30default_config_static_selectorELNS0_4arch9wavefront6targetE1EEEvT1_.kd
    .uniform_work_group_size: 1
    .uses_dynamic_stack: false
    .vgpr_count:     0
    .vgpr_spill_count: 0
    .wavefront_size: 64
  - .agpr_count:     0
    .args:
      - .offset:         0
        .size:           120
        .value_kind:     by_value
    .group_segment_fixed_size: 0
    .kernarg_segment_align: 8
    .kernarg_segment_size: 120
    .language:       OpenCL C
    .language_version:
      - 2
      - 0
    .max_flat_workgroup_size: 512
    .name:           _ZN7rocprim17ROCPRIM_400000_NS6detail17trampoline_kernelINS0_14default_configENS1_25partition_config_selectorILNS1_17partition_subalgoE8ElNS0_10empty_typeEbEEZZNS1_14partition_implILS5_8ELb0ES3_jPlPS6_PKS6_NS0_5tupleIJS9_S6_EEENSD_IJSA_SA_EEENS0_18inequality_wrapperIZN2at6native12_GLOBAL__N_124unique_dim_cuda_templateIbEESt5tupleIJNSH_6TensorESM_SM_EERKSM_lbbbEUlllE0_EEPmJS6_EEE10hipError_tPvRmT3_T4_T5_T6_T7_T9_mT8_P12ihipStream_tbDpT10_ENKUlT_T0_E_clISt17integral_constantIbLb1EES1B_IbLb0EEEEDaS17_S18_EUlS17_E_NS1_11comp_targetILNS1_3genE0ELNS1_11target_archE4294967295ELNS1_3gpuE0ELNS1_3repE0EEENS1_30default_config_static_selectorELNS0_4arch9wavefront6targetE1EEEvT1_
    .private_segment_fixed_size: 0
    .sgpr_count:     6
    .sgpr_spill_count: 0
    .symbol:         _ZN7rocprim17ROCPRIM_400000_NS6detail17trampoline_kernelINS0_14default_configENS1_25partition_config_selectorILNS1_17partition_subalgoE8ElNS0_10empty_typeEbEEZZNS1_14partition_implILS5_8ELb0ES3_jPlPS6_PKS6_NS0_5tupleIJS9_S6_EEENSD_IJSA_SA_EEENS0_18inequality_wrapperIZN2at6native12_GLOBAL__N_124unique_dim_cuda_templateIbEESt5tupleIJNSH_6TensorESM_SM_EERKSM_lbbbEUlllE0_EEPmJS6_EEE10hipError_tPvRmT3_T4_T5_T6_T7_T9_mT8_P12ihipStream_tbDpT10_ENKUlT_T0_E_clISt17integral_constantIbLb1EES1B_IbLb0EEEEDaS17_S18_EUlS17_E_NS1_11comp_targetILNS1_3genE0ELNS1_11target_archE4294967295ELNS1_3gpuE0ELNS1_3repE0EEENS1_30default_config_static_selectorELNS0_4arch9wavefront6targetE1EEEvT1_.kd
    .uniform_work_group_size: 1
    .uses_dynamic_stack: false
    .vgpr_count:     0
    .vgpr_spill_count: 0
    .wavefront_size: 64
  - .agpr_count:     0
    .args:
      - .offset:         0
        .size:           120
        .value_kind:     by_value
    .group_segment_fixed_size: 28684
    .kernarg_segment_align: 8
    .kernarg_segment_size: 120
    .language:       OpenCL C
    .language_version:
      - 2
      - 0
    .max_flat_workgroup_size: 512
    .name:           _ZN7rocprim17ROCPRIM_400000_NS6detail17trampoline_kernelINS0_14default_configENS1_25partition_config_selectorILNS1_17partition_subalgoE8ElNS0_10empty_typeEbEEZZNS1_14partition_implILS5_8ELb0ES3_jPlPS6_PKS6_NS0_5tupleIJS9_S6_EEENSD_IJSA_SA_EEENS0_18inequality_wrapperIZN2at6native12_GLOBAL__N_124unique_dim_cuda_templateIbEESt5tupleIJNSH_6TensorESM_SM_EERKSM_lbbbEUlllE0_EEPmJS6_EEE10hipError_tPvRmT3_T4_T5_T6_T7_T9_mT8_P12ihipStream_tbDpT10_ENKUlT_T0_E_clISt17integral_constantIbLb1EES1B_IbLb0EEEEDaS17_S18_EUlS17_E_NS1_11comp_targetILNS1_3genE5ELNS1_11target_archE942ELNS1_3gpuE9ELNS1_3repE0EEENS1_30default_config_static_selectorELNS0_4arch9wavefront6targetE1EEEvT1_
    .private_segment_fixed_size: 0
    .sgpr_count:     58
    .sgpr_spill_count: 0
    .symbol:         _ZN7rocprim17ROCPRIM_400000_NS6detail17trampoline_kernelINS0_14default_configENS1_25partition_config_selectorILNS1_17partition_subalgoE8ElNS0_10empty_typeEbEEZZNS1_14partition_implILS5_8ELb0ES3_jPlPS6_PKS6_NS0_5tupleIJS9_S6_EEENSD_IJSA_SA_EEENS0_18inequality_wrapperIZN2at6native12_GLOBAL__N_124unique_dim_cuda_templateIbEESt5tupleIJNSH_6TensorESM_SM_EERKSM_lbbbEUlllE0_EEPmJS6_EEE10hipError_tPvRmT3_T4_T5_T6_T7_T9_mT8_P12ihipStream_tbDpT10_ENKUlT_T0_E_clISt17integral_constantIbLb1EES1B_IbLb0EEEEDaS17_S18_EUlS17_E_NS1_11comp_targetILNS1_3genE5ELNS1_11target_archE942ELNS1_3gpuE9ELNS1_3repE0EEENS1_30default_config_static_selectorELNS0_4arch9wavefront6targetE1EEEvT1_.kd
    .uniform_work_group_size: 1
    .uses_dynamic_stack: false
    .vgpr_count:     52
    .vgpr_spill_count: 0
    .wavefront_size: 64
  - .agpr_count:     0
    .args:
      - .offset:         0
        .size:           120
        .value_kind:     by_value
    .group_segment_fixed_size: 0
    .kernarg_segment_align: 8
    .kernarg_segment_size: 120
    .language:       OpenCL C
    .language_version:
      - 2
      - 0
    .max_flat_workgroup_size: 256
    .name:           _ZN7rocprim17ROCPRIM_400000_NS6detail17trampoline_kernelINS0_14default_configENS1_25partition_config_selectorILNS1_17partition_subalgoE8ElNS0_10empty_typeEbEEZZNS1_14partition_implILS5_8ELb0ES3_jPlPS6_PKS6_NS0_5tupleIJS9_S6_EEENSD_IJSA_SA_EEENS0_18inequality_wrapperIZN2at6native12_GLOBAL__N_124unique_dim_cuda_templateIbEESt5tupleIJNSH_6TensorESM_SM_EERKSM_lbbbEUlllE0_EEPmJS6_EEE10hipError_tPvRmT3_T4_T5_T6_T7_T9_mT8_P12ihipStream_tbDpT10_ENKUlT_T0_E_clISt17integral_constantIbLb1EES1B_IbLb0EEEEDaS17_S18_EUlS17_E_NS1_11comp_targetILNS1_3genE4ELNS1_11target_archE910ELNS1_3gpuE8ELNS1_3repE0EEENS1_30default_config_static_selectorELNS0_4arch9wavefront6targetE1EEEvT1_
    .private_segment_fixed_size: 0
    .sgpr_count:     6
    .sgpr_spill_count: 0
    .symbol:         _ZN7rocprim17ROCPRIM_400000_NS6detail17trampoline_kernelINS0_14default_configENS1_25partition_config_selectorILNS1_17partition_subalgoE8ElNS0_10empty_typeEbEEZZNS1_14partition_implILS5_8ELb0ES3_jPlPS6_PKS6_NS0_5tupleIJS9_S6_EEENSD_IJSA_SA_EEENS0_18inequality_wrapperIZN2at6native12_GLOBAL__N_124unique_dim_cuda_templateIbEESt5tupleIJNSH_6TensorESM_SM_EERKSM_lbbbEUlllE0_EEPmJS6_EEE10hipError_tPvRmT3_T4_T5_T6_T7_T9_mT8_P12ihipStream_tbDpT10_ENKUlT_T0_E_clISt17integral_constantIbLb1EES1B_IbLb0EEEEDaS17_S18_EUlS17_E_NS1_11comp_targetILNS1_3genE4ELNS1_11target_archE910ELNS1_3gpuE8ELNS1_3repE0EEENS1_30default_config_static_selectorELNS0_4arch9wavefront6targetE1EEEvT1_.kd
    .uniform_work_group_size: 1
    .uses_dynamic_stack: false
    .vgpr_count:     0
    .vgpr_spill_count: 0
    .wavefront_size: 64
  - .agpr_count:     0
    .args:
      - .offset:         0
        .size:           120
        .value_kind:     by_value
    .group_segment_fixed_size: 0
    .kernarg_segment_align: 8
    .kernarg_segment_size: 120
    .language:       OpenCL C
    .language_version:
      - 2
      - 0
    .max_flat_workgroup_size: 512
    .name:           _ZN7rocprim17ROCPRIM_400000_NS6detail17trampoline_kernelINS0_14default_configENS1_25partition_config_selectorILNS1_17partition_subalgoE8ElNS0_10empty_typeEbEEZZNS1_14partition_implILS5_8ELb0ES3_jPlPS6_PKS6_NS0_5tupleIJS9_S6_EEENSD_IJSA_SA_EEENS0_18inequality_wrapperIZN2at6native12_GLOBAL__N_124unique_dim_cuda_templateIbEESt5tupleIJNSH_6TensorESM_SM_EERKSM_lbbbEUlllE0_EEPmJS6_EEE10hipError_tPvRmT3_T4_T5_T6_T7_T9_mT8_P12ihipStream_tbDpT10_ENKUlT_T0_E_clISt17integral_constantIbLb1EES1B_IbLb0EEEEDaS17_S18_EUlS17_E_NS1_11comp_targetILNS1_3genE3ELNS1_11target_archE908ELNS1_3gpuE7ELNS1_3repE0EEENS1_30default_config_static_selectorELNS0_4arch9wavefront6targetE1EEEvT1_
    .private_segment_fixed_size: 0
    .sgpr_count:     6
    .sgpr_spill_count: 0
    .symbol:         _ZN7rocprim17ROCPRIM_400000_NS6detail17trampoline_kernelINS0_14default_configENS1_25partition_config_selectorILNS1_17partition_subalgoE8ElNS0_10empty_typeEbEEZZNS1_14partition_implILS5_8ELb0ES3_jPlPS6_PKS6_NS0_5tupleIJS9_S6_EEENSD_IJSA_SA_EEENS0_18inequality_wrapperIZN2at6native12_GLOBAL__N_124unique_dim_cuda_templateIbEESt5tupleIJNSH_6TensorESM_SM_EERKSM_lbbbEUlllE0_EEPmJS6_EEE10hipError_tPvRmT3_T4_T5_T6_T7_T9_mT8_P12ihipStream_tbDpT10_ENKUlT_T0_E_clISt17integral_constantIbLb1EES1B_IbLb0EEEEDaS17_S18_EUlS17_E_NS1_11comp_targetILNS1_3genE3ELNS1_11target_archE908ELNS1_3gpuE7ELNS1_3repE0EEENS1_30default_config_static_selectorELNS0_4arch9wavefront6targetE1EEEvT1_.kd
    .uniform_work_group_size: 1
    .uses_dynamic_stack: false
    .vgpr_count:     0
    .vgpr_spill_count: 0
    .wavefront_size: 64
  - .agpr_count:     0
    .args:
      - .offset:         0
        .size:           120
        .value_kind:     by_value
    .group_segment_fixed_size: 0
    .kernarg_segment_align: 8
    .kernarg_segment_size: 120
    .language:       OpenCL C
    .language_version:
      - 2
      - 0
    .max_flat_workgroup_size: 256
    .name:           _ZN7rocprim17ROCPRIM_400000_NS6detail17trampoline_kernelINS0_14default_configENS1_25partition_config_selectorILNS1_17partition_subalgoE8ElNS0_10empty_typeEbEEZZNS1_14partition_implILS5_8ELb0ES3_jPlPS6_PKS6_NS0_5tupleIJS9_S6_EEENSD_IJSA_SA_EEENS0_18inequality_wrapperIZN2at6native12_GLOBAL__N_124unique_dim_cuda_templateIbEESt5tupleIJNSH_6TensorESM_SM_EERKSM_lbbbEUlllE0_EEPmJS6_EEE10hipError_tPvRmT3_T4_T5_T6_T7_T9_mT8_P12ihipStream_tbDpT10_ENKUlT_T0_E_clISt17integral_constantIbLb1EES1B_IbLb0EEEEDaS17_S18_EUlS17_E_NS1_11comp_targetILNS1_3genE2ELNS1_11target_archE906ELNS1_3gpuE6ELNS1_3repE0EEENS1_30default_config_static_selectorELNS0_4arch9wavefront6targetE1EEEvT1_
    .private_segment_fixed_size: 0
    .sgpr_count:     6
    .sgpr_spill_count: 0
    .symbol:         _ZN7rocprim17ROCPRIM_400000_NS6detail17trampoline_kernelINS0_14default_configENS1_25partition_config_selectorILNS1_17partition_subalgoE8ElNS0_10empty_typeEbEEZZNS1_14partition_implILS5_8ELb0ES3_jPlPS6_PKS6_NS0_5tupleIJS9_S6_EEENSD_IJSA_SA_EEENS0_18inequality_wrapperIZN2at6native12_GLOBAL__N_124unique_dim_cuda_templateIbEESt5tupleIJNSH_6TensorESM_SM_EERKSM_lbbbEUlllE0_EEPmJS6_EEE10hipError_tPvRmT3_T4_T5_T6_T7_T9_mT8_P12ihipStream_tbDpT10_ENKUlT_T0_E_clISt17integral_constantIbLb1EES1B_IbLb0EEEEDaS17_S18_EUlS17_E_NS1_11comp_targetILNS1_3genE2ELNS1_11target_archE906ELNS1_3gpuE6ELNS1_3repE0EEENS1_30default_config_static_selectorELNS0_4arch9wavefront6targetE1EEEvT1_.kd
    .uniform_work_group_size: 1
    .uses_dynamic_stack: false
    .vgpr_count:     0
    .vgpr_spill_count: 0
    .wavefront_size: 64
  - .agpr_count:     0
    .args:
      - .offset:         0
        .size:           120
        .value_kind:     by_value
    .group_segment_fixed_size: 0
    .kernarg_segment_align: 8
    .kernarg_segment_size: 120
    .language:       OpenCL C
    .language_version:
      - 2
      - 0
    .max_flat_workgroup_size: 384
    .name:           _ZN7rocprim17ROCPRIM_400000_NS6detail17trampoline_kernelINS0_14default_configENS1_25partition_config_selectorILNS1_17partition_subalgoE8ElNS0_10empty_typeEbEEZZNS1_14partition_implILS5_8ELb0ES3_jPlPS6_PKS6_NS0_5tupleIJS9_S6_EEENSD_IJSA_SA_EEENS0_18inequality_wrapperIZN2at6native12_GLOBAL__N_124unique_dim_cuda_templateIbEESt5tupleIJNSH_6TensorESM_SM_EERKSM_lbbbEUlllE0_EEPmJS6_EEE10hipError_tPvRmT3_T4_T5_T6_T7_T9_mT8_P12ihipStream_tbDpT10_ENKUlT_T0_E_clISt17integral_constantIbLb1EES1B_IbLb0EEEEDaS17_S18_EUlS17_E_NS1_11comp_targetILNS1_3genE10ELNS1_11target_archE1200ELNS1_3gpuE4ELNS1_3repE0EEENS1_30default_config_static_selectorELNS0_4arch9wavefront6targetE1EEEvT1_
    .private_segment_fixed_size: 0
    .sgpr_count:     6
    .sgpr_spill_count: 0
    .symbol:         _ZN7rocprim17ROCPRIM_400000_NS6detail17trampoline_kernelINS0_14default_configENS1_25partition_config_selectorILNS1_17partition_subalgoE8ElNS0_10empty_typeEbEEZZNS1_14partition_implILS5_8ELb0ES3_jPlPS6_PKS6_NS0_5tupleIJS9_S6_EEENSD_IJSA_SA_EEENS0_18inequality_wrapperIZN2at6native12_GLOBAL__N_124unique_dim_cuda_templateIbEESt5tupleIJNSH_6TensorESM_SM_EERKSM_lbbbEUlllE0_EEPmJS6_EEE10hipError_tPvRmT3_T4_T5_T6_T7_T9_mT8_P12ihipStream_tbDpT10_ENKUlT_T0_E_clISt17integral_constantIbLb1EES1B_IbLb0EEEEDaS17_S18_EUlS17_E_NS1_11comp_targetILNS1_3genE10ELNS1_11target_archE1200ELNS1_3gpuE4ELNS1_3repE0EEENS1_30default_config_static_selectorELNS0_4arch9wavefront6targetE1EEEvT1_.kd
    .uniform_work_group_size: 1
    .uses_dynamic_stack: false
    .vgpr_count:     0
    .vgpr_spill_count: 0
    .wavefront_size: 64
  - .agpr_count:     0
    .args:
      - .offset:         0
        .size:           120
        .value_kind:     by_value
    .group_segment_fixed_size: 0
    .kernarg_segment_align: 8
    .kernarg_segment_size: 120
    .language:       OpenCL C
    .language_version:
      - 2
      - 0
    .max_flat_workgroup_size: 512
    .name:           _ZN7rocprim17ROCPRIM_400000_NS6detail17trampoline_kernelINS0_14default_configENS1_25partition_config_selectorILNS1_17partition_subalgoE8ElNS0_10empty_typeEbEEZZNS1_14partition_implILS5_8ELb0ES3_jPlPS6_PKS6_NS0_5tupleIJS9_S6_EEENSD_IJSA_SA_EEENS0_18inequality_wrapperIZN2at6native12_GLOBAL__N_124unique_dim_cuda_templateIbEESt5tupleIJNSH_6TensorESM_SM_EERKSM_lbbbEUlllE0_EEPmJS6_EEE10hipError_tPvRmT3_T4_T5_T6_T7_T9_mT8_P12ihipStream_tbDpT10_ENKUlT_T0_E_clISt17integral_constantIbLb1EES1B_IbLb0EEEEDaS17_S18_EUlS17_E_NS1_11comp_targetILNS1_3genE9ELNS1_11target_archE1100ELNS1_3gpuE3ELNS1_3repE0EEENS1_30default_config_static_selectorELNS0_4arch9wavefront6targetE1EEEvT1_
    .private_segment_fixed_size: 0
    .sgpr_count:     6
    .sgpr_spill_count: 0
    .symbol:         _ZN7rocprim17ROCPRIM_400000_NS6detail17trampoline_kernelINS0_14default_configENS1_25partition_config_selectorILNS1_17partition_subalgoE8ElNS0_10empty_typeEbEEZZNS1_14partition_implILS5_8ELb0ES3_jPlPS6_PKS6_NS0_5tupleIJS9_S6_EEENSD_IJSA_SA_EEENS0_18inequality_wrapperIZN2at6native12_GLOBAL__N_124unique_dim_cuda_templateIbEESt5tupleIJNSH_6TensorESM_SM_EERKSM_lbbbEUlllE0_EEPmJS6_EEE10hipError_tPvRmT3_T4_T5_T6_T7_T9_mT8_P12ihipStream_tbDpT10_ENKUlT_T0_E_clISt17integral_constantIbLb1EES1B_IbLb0EEEEDaS17_S18_EUlS17_E_NS1_11comp_targetILNS1_3genE9ELNS1_11target_archE1100ELNS1_3gpuE3ELNS1_3repE0EEENS1_30default_config_static_selectorELNS0_4arch9wavefront6targetE1EEEvT1_.kd
    .uniform_work_group_size: 1
    .uses_dynamic_stack: false
    .vgpr_count:     0
    .vgpr_spill_count: 0
    .wavefront_size: 64
  - .agpr_count:     0
    .args:
      - .offset:         0
        .size:           120
        .value_kind:     by_value
    .group_segment_fixed_size: 0
    .kernarg_segment_align: 8
    .kernarg_segment_size: 120
    .language:       OpenCL C
    .language_version:
      - 2
      - 0
    .max_flat_workgroup_size: 512
    .name:           _ZN7rocprim17ROCPRIM_400000_NS6detail17trampoline_kernelINS0_14default_configENS1_25partition_config_selectorILNS1_17partition_subalgoE8ElNS0_10empty_typeEbEEZZNS1_14partition_implILS5_8ELb0ES3_jPlPS6_PKS6_NS0_5tupleIJS9_S6_EEENSD_IJSA_SA_EEENS0_18inequality_wrapperIZN2at6native12_GLOBAL__N_124unique_dim_cuda_templateIbEESt5tupleIJNSH_6TensorESM_SM_EERKSM_lbbbEUlllE0_EEPmJS6_EEE10hipError_tPvRmT3_T4_T5_T6_T7_T9_mT8_P12ihipStream_tbDpT10_ENKUlT_T0_E_clISt17integral_constantIbLb1EES1B_IbLb0EEEEDaS17_S18_EUlS17_E_NS1_11comp_targetILNS1_3genE8ELNS1_11target_archE1030ELNS1_3gpuE2ELNS1_3repE0EEENS1_30default_config_static_selectorELNS0_4arch9wavefront6targetE1EEEvT1_
    .private_segment_fixed_size: 0
    .sgpr_count:     6
    .sgpr_spill_count: 0
    .symbol:         _ZN7rocprim17ROCPRIM_400000_NS6detail17trampoline_kernelINS0_14default_configENS1_25partition_config_selectorILNS1_17partition_subalgoE8ElNS0_10empty_typeEbEEZZNS1_14partition_implILS5_8ELb0ES3_jPlPS6_PKS6_NS0_5tupleIJS9_S6_EEENSD_IJSA_SA_EEENS0_18inequality_wrapperIZN2at6native12_GLOBAL__N_124unique_dim_cuda_templateIbEESt5tupleIJNSH_6TensorESM_SM_EERKSM_lbbbEUlllE0_EEPmJS6_EEE10hipError_tPvRmT3_T4_T5_T6_T7_T9_mT8_P12ihipStream_tbDpT10_ENKUlT_T0_E_clISt17integral_constantIbLb1EES1B_IbLb0EEEEDaS17_S18_EUlS17_E_NS1_11comp_targetILNS1_3genE8ELNS1_11target_archE1030ELNS1_3gpuE2ELNS1_3repE0EEENS1_30default_config_static_selectorELNS0_4arch9wavefront6targetE1EEEvT1_.kd
    .uniform_work_group_size: 1
    .uses_dynamic_stack: false
    .vgpr_count:     0
    .vgpr_spill_count: 0
    .wavefront_size: 64
  - .agpr_count:     0
    .args:
      - .offset:         0
        .size:           136
        .value_kind:     by_value
    .group_segment_fixed_size: 0
    .kernarg_segment_align: 8
    .kernarg_segment_size: 136
    .language:       OpenCL C
    .language_version:
      - 2
      - 0
    .max_flat_workgroup_size: 512
    .name:           _ZN7rocprim17ROCPRIM_400000_NS6detail17trampoline_kernelINS0_14default_configENS1_25partition_config_selectorILNS1_17partition_subalgoE8ElNS0_10empty_typeEbEEZZNS1_14partition_implILS5_8ELb0ES3_jPlPS6_PKS6_NS0_5tupleIJS9_S6_EEENSD_IJSA_SA_EEENS0_18inequality_wrapperIZN2at6native12_GLOBAL__N_124unique_dim_cuda_templateIbEESt5tupleIJNSH_6TensorESM_SM_EERKSM_lbbbEUlllE0_EEPmJS6_EEE10hipError_tPvRmT3_T4_T5_T6_T7_T9_mT8_P12ihipStream_tbDpT10_ENKUlT_T0_E_clISt17integral_constantIbLb0EES1B_IbLb1EEEEDaS17_S18_EUlS17_E_NS1_11comp_targetILNS1_3genE0ELNS1_11target_archE4294967295ELNS1_3gpuE0ELNS1_3repE0EEENS1_30default_config_static_selectorELNS0_4arch9wavefront6targetE1EEEvT1_
    .private_segment_fixed_size: 0
    .sgpr_count:     6
    .sgpr_spill_count: 0
    .symbol:         _ZN7rocprim17ROCPRIM_400000_NS6detail17trampoline_kernelINS0_14default_configENS1_25partition_config_selectorILNS1_17partition_subalgoE8ElNS0_10empty_typeEbEEZZNS1_14partition_implILS5_8ELb0ES3_jPlPS6_PKS6_NS0_5tupleIJS9_S6_EEENSD_IJSA_SA_EEENS0_18inequality_wrapperIZN2at6native12_GLOBAL__N_124unique_dim_cuda_templateIbEESt5tupleIJNSH_6TensorESM_SM_EERKSM_lbbbEUlllE0_EEPmJS6_EEE10hipError_tPvRmT3_T4_T5_T6_T7_T9_mT8_P12ihipStream_tbDpT10_ENKUlT_T0_E_clISt17integral_constantIbLb0EES1B_IbLb1EEEEDaS17_S18_EUlS17_E_NS1_11comp_targetILNS1_3genE0ELNS1_11target_archE4294967295ELNS1_3gpuE0ELNS1_3repE0EEENS1_30default_config_static_selectorELNS0_4arch9wavefront6targetE1EEEvT1_.kd
    .uniform_work_group_size: 1
    .uses_dynamic_stack: false
    .vgpr_count:     0
    .vgpr_spill_count: 0
    .wavefront_size: 64
  - .agpr_count:     0
    .args:
      - .offset:         0
        .size:           136
        .value_kind:     by_value
    .group_segment_fixed_size: 28684
    .kernarg_segment_align: 8
    .kernarg_segment_size: 136
    .language:       OpenCL C
    .language_version:
      - 2
      - 0
    .max_flat_workgroup_size: 512
    .name:           _ZN7rocprim17ROCPRIM_400000_NS6detail17trampoline_kernelINS0_14default_configENS1_25partition_config_selectorILNS1_17partition_subalgoE8ElNS0_10empty_typeEbEEZZNS1_14partition_implILS5_8ELb0ES3_jPlPS6_PKS6_NS0_5tupleIJS9_S6_EEENSD_IJSA_SA_EEENS0_18inequality_wrapperIZN2at6native12_GLOBAL__N_124unique_dim_cuda_templateIbEESt5tupleIJNSH_6TensorESM_SM_EERKSM_lbbbEUlllE0_EEPmJS6_EEE10hipError_tPvRmT3_T4_T5_T6_T7_T9_mT8_P12ihipStream_tbDpT10_ENKUlT_T0_E_clISt17integral_constantIbLb0EES1B_IbLb1EEEEDaS17_S18_EUlS17_E_NS1_11comp_targetILNS1_3genE5ELNS1_11target_archE942ELNS1_3gpuE9ELNS1_3repE0EEENS1_30default_config_static_selectorELNS0_4arch9wavefront6targetE1EEEvT1_
    .private_segment_fixed_size: 0
    .sgpr_count:     62
    .sgpr_spill_count: 0
    .symbol:         _ZN7rocprim17ROCPRIM_400000_NS6detail17trampoline_kernelINS0_14default_configENS1_25partition_config_selectorILNS1_17partition_subalgoE8ElNS0_10empty_typeEbEEZZNS1_14partition_implILS5_8ELb0ES3_jPlPS6_PKS6_NS0_5tupleIJS9_S6_EEENSD_IJSA_SA_EEENS0_18inequality_wrapperIZN2at6native12_GLOBAL__N_124unique_dim_cuda_templateIbEESt5tupleIJNSH_6TensorESM_SM_EERKSM_lbbbEUlllE0_EEPmJS6_EEE10hipError_tPvRmT3_T4_T5_T6_T7_T9_mT8_P12ihipStream_tbDpT10_ENKUlT_T0_E_clISt17integral_constantIbLb0EES1B_IbLb1EEEEDaS17_S18_EUlS17_E_NS1_11comp_targetILNS1_3genE5ELNS1_11target_archE942ELNS1_3gpuE9ELNS1_3repE0EEENS1_30default_config_static_selectorELNS0_4arch9wavefront6targetE1EEEvT1_.kd
    .uniform_work_group_size: 1
    .uses_dynamic_stack: false
    .vgpr_count:     52
    .vgpr_spill_count: 0
    .wavefront_size: 64
  - .agpr_count:     0
    .args:
      - .offset:         0
        .size:           136
        .value_kind:     by_value
    .group_segment_fixed_size: 0
    .kernarg_segment_align: 8
    .kernarg_segment_size: 136
    .language:       OpenCL C
    .language_version:
      - 2
      - 0
    .max_flat_workgroup_size: 256
    .name:           _ZN7rocprim17ROCPRIM_400000_NS6detail17trampoline_kernelINS0_14default_configENS1_25partition_config_selectorILNS1_17partition_subalgoE8ElNS0_10empty_typeEbEEZZNS1_14partition_implILS5_8ELb0ES3_jPlPS6_PKS6_NS0_5tupleIJS9_S6_EEENSD_IJSA_SA_EEENS0_18inequality_wrapperIZN2at6native12_GLOBAL__N_124unique_dim_cuda_templateIbEESt5tupleIJNSH_6TensorESM_SM_EERKSM_lbbbEUlllE0_EEPmJS6_EEE10hipError_tPvRmT3_T4_T5_T6_T7_T9_mT8_P12ihipStream_tbDpT10_ENKUlT_T0_E_clISt17integral_constantIbLb0EES1B_IbLb1EEEEDaS17_S18_EUlS17_E_NS1_11comp_targetILNS1_3genE4ELNS1_11target_archE910ELNS1_3gpuE8ELNS1_3repE0EEENS1_30default_config_static_selectorELNS0_4arch9wavefront6targetE1EEEvT1_
    .private_segment_fixed_size: 0
    .sgpr_count:     6
    .sgpr_spill_count: 0
    .symbol:         _ZN7rocprim17ROCPRIM_400000_NS6detail17trampoline_kernelINS0_14default_configENS1_25partition_config_selectorILNS1_17partition_subalgoE8ElNS0_10empty_typeEbEEZZNS1_14partition_implILS5_8ELb0ES3_jPlPS6_PKS6_NS0_5tupleIJS9_S6_EEENSD_IJSA_SA_EEENS0_18inequality_wrapperIZN2at6native12_GLOBAL__N_124unique_dim_cuda_templateIbEESt5tupleIJNSH_6TensorESM_SM_EERKSM_lbbbEUlllE0_EEPmJS6_EEE10hipError_tPvRmT3_T4_T5_T6_T7_T9_mT8_P12ihipStream_tbDpT10_ENKUlT_T0_E_clISt17integral_constantIbLb0EES1B_IbLb1EEEEDaS17_S18_EUlS17_E_NS1_11comp_targetILNS1_3genE4ELNS1_11target_archE910ELNS1_3gpuE8ELNS1_3repE0EEENS1_30default_config_static_selectorELNS0_4arch9wavefront6targetE1EEEvT1_.kd
    .uniform_work_group_size: 1
    .uses_dynamic_stack: false
    .vgpr_count:     0
    .vgpr_spill_count: 0
    .wavefront_size: 64
  - .agpr_count:     0
    .args:
      - .offset:         0
        .size:           136
        .value_kind:     by_value
    .group_segment_fixed_size: 0
    .kernarg_segment_align: 8
    .kernarg_segment_size: 136
    .language:       OpenCL C
    .language_version:
      - 2
      - 0
    .max_flat_workgroup_size: 512
    .name:           _ZN7rocprim17ROCPRIM_400000_NS6detail17trampoline_kernelINS0_14default_configENS1_25partition_config_selectorILNS1_17partition_subalgoE8ElNS0_10empty_typeEbEEZZNS1_14partition_implILS5_8ELb0ES3_jPlPS6_PKS6_NS0_5tupleIJS9_S6_EEENSD_IJSA_SA_EEENS0_18inequality_wrapperIZN2at6native12_GLOBAL__N_124unique_dim_cuda_templateIbEESt5tupleIJNSH_6TensorESM_SM_EERKSM_lbbbEUlllE0_EEPmJS6_EEE10hipError_tPvRmT3_T4_T5_T6_T7_T9_mT8_P12ihipStream_tbDpT10_ENKUlT_T0_E_clISt17integral_constantIbLb0EES1B_IbLb1EEEEDaS17_S18_EUlS17_E_NS1_11comp_targetILNS1_3genE3ELNS1_11target_archE908ELNS1_3gpuE7ELNS1_3repE0EEENS1_30default_config_static_selectorELNS0_4arch9wavefront6targetE1EEEvT1_
    .private_segment_fixed_size: 0
    .sgpr_count:     6
    .sgpr_spill_count: 0
    .symbol:         _ZN7rocprim17ROCPRIM_400000_NS6detail17trampoline_kernelINS0_14default_configENS1_25partition_config_selectorILNS1_17partition_subalgoE8ElNS0_10empty_typeEbEEZZNS1_14partition_implILS5_8ELb0ES3_jPlPS6_PKS6_NS0_5tupleIJS9_S6_EEENSD_IJSA_SA_EEENS0_18inequality_wrapperIZN2at6native12_GLOBAL__N_124unique_dim_cuda_templateIbEESt5tupleIJNSH_6TensorESM_SM_EERKSM_lbbbEUlllE0_EEPmJS6_EEE10hipError_tPvRmT3_T4_T5_T6_T7_T9_mT8_P12ihipStream_tbDpT10_ENKUlT_T0_E_clISt17integral_constantIbLb0EES1B_IbLb1EEEEDaS17_S18_EUlS17_E_NS1_11comp_targetILNS1_3genE3ELNS1_11target_archE908ELNS1_3gpuE7ELNS1_3repE0EEENS1_30default_config_static_selectorELNS0_4arch9wavefront6targetE1EEEvT1_.kd
    .uniform_work_group_size: 1
    .uses_dynamic_stack: false
    .vgpr_count:     0
    .vgpr_spill_count: 0
    .wavefront_size: 64
  - .agpr_count:     0
    .args:
      - .offset:         0
        .size:           136
        .value_kind:     by_value
    .group_segment_fixed_size: 0
    .kernarg_segment_align: 8
    .kernarg_segment_size: 136
    .language:       OpenCL C
    .language_version:
      - 2
      - 0
    .max_flat_workgroup_size: 256
    .name:           _ZN7rocprim17ROCPRIM_400000_NS6detail17trampoline_kernelINS0_14default_configENS1_25partition_config_selectorILNS1_17partition_subalgoE8ElNS0_10empty_typeEbEEZZNS1_14partition_implILS5_8ELb0ES3_jPlPS6_PKS6_NS0_5tupleIJS9_S6_EEENSD_IJSA_SA_EEENS0_18inequality_wrapperIZN2at6native12_GLOBAL__N_124unique_dim_cuda_templateIbEESt5tupleIJNSH_6TensorESM_SM_EERKSM_lbbbEUlllE0_EEPmJS6_EEE10hipError_tPvRmT3_T4_T5_T6_T7_T9_mT8_P12ihipStream_tbDpT10_ENKUlT_T0_E_clISt17integral_constantIbLb0EES1B_IbLb1EEEEDaS17_S18_EUlS17_E_NS1_11comp_targetILNS1_3genE2ELNS1_11target_archE906ELNS1_3gpuE6ELNS1_3repE0EEENS1_30default_config_static_selectorELNS0_4arch9wavefront6targetE1EEEvT1_
    .private_segment_fixed_size: 0
    .sgpr_count:     6
    .sgpr_spill_count: 0
    .symbol:         _ZN7rocprim17ROCPRIM_400000_NS6detail17trampoline_kernelINS0_14default_configENS1_25partition_config_selectorILNS1_17partition_subalgoE8ElNS0_10empty_typeEbEEZZNS1_14partition_implILS5_8ELb0ES3_jPlPS6_PKS6_NS0_5tupleIJS9_S6_EEENSD_IJSA_SA_EEENS0_18inequality_wrapperIZN2at6native12_GLOBAL__N_124unique_dim_cuda_templateIbEESt5tupleIJNSH_6TensorESM_SM_EERKSM_lbbbEUlllE0_EEPmJS6_EEE10hipError_tPvRmT3_T4_T5_T6_T7_T9_mT8_P12ihipStream_tbDpT10_ENKUlT_T0_E_clISt17integral_constantIbLb0EES1B_IbLb1EEEEDaS17_S18_EUlS17_E_NS1_11comp_targetILNS1_3genE2ELNS1_11target_archE906ELNS1_3gpuE6ELNS1_3repE0EEENS1_30default_config_static_selectorELNS0_4arch9wavefront6targetE1EEEvT1_.kd
    .uniform_work_group_size: 1
    .uses_dynamic_stack: false
    .vgpr_count:     0
    .vgpr_spill_count: 0
    .wavefront_size: 64
  - .agpr_count:     0
    .args:
      - .offset:         0
        .size:           136
        .value_kind:     by_value
    .group_segment_fixed_size: 0
    .kernarg_segment_align: 8
    .kernarg_segment_size: 136
    .language:       OpenCL C
    .language_version:
      - 2
      - 0
    .max_flat_workgroup_size: 384
    .name:           _ZN7rocprim17ROCPRIM_400000_NS6detail17trampoline_kernelINS0_14default_configENS1_25partition_config_selectorILNS1_17partition_subalgoE8ElNS0_10empty_typeEbEEZZNS1_14partition_implILS5_8ELb0ES3_jPlPS6_PKS6_NS0_5tupleIJS9_S6_EEENSD_IJSA_SA_EEENS0_18inequality_wrapperIZN2at6native12_GLOBAL__N_124unique_dim_cuda_templateIbEESt5tupleIJNSH_6TensorESM_SM_EERKSM_lbbbEUlllE0_EEPmJS6_EEE10hipError_tPvRmT3_T4_T5_T6_T7_T9_mT8_P12ihipStream_tbDpT10_ENKUlT_T0_E_clISt17integral_constantIbLb0EES1B_IbLb1EEEEDaS17_S18_EUlS17_E_NS1_11comp_targetILNS1_3genE10ELNS1_11target_archE1200ELNS1_3gpuE4ELNS1_3repE0EEENS1_30default_config_static_selectorELNS0_4arch9wavefront6targetE1EEEvT1_
    .private_segment_fixed_size: 0
    .sgpr_count:     6
    .sgpr_spill_count: 0
    .symbol:         _ZN7rocprim17ROCPRIM_400000_NS6detail17trampoline_kernelINS0_14default_configENS1_25partition_config_selectorILNS1_17partition_subalgoE8ElNS0_10empty_typeEbEEZZNS1_14partition_implILS5_8ELb0ES3_jPlPS6_PKS6_NS0_5tupleIJS9_S6_EEENSD_IJSA_SA_EEENS0_18inequality_wrapperIZN2at6native12_GLOBAL__N_124unique_dim_cuda_templateIbEESt5tupleIJNSH_6TensorESM_SM_EERKSM_lbbbEUlllE0_EEPmJS6_EEE10hipError_tPvRmT3_T4_T5_T6_T7_T9_mT8_P12ihipStream_tbDpT10_ENKUlT_T0_E_clISt17integral_constantIbLb0EES1B_IbLb1EEEEDaS17_S18_EUlS17_E_NS1_11comp_targetILNS1_3genE10ELNS1_11target_archE1200ELNS1_3gpuE4ELNS1_3repE0EEENS1_30default_config_static_selectorELNS0_4arch9wavefront6targetE1EEEvT1_.kd
    .uniform_work_group_size: 1
    .uses_dynamic_stack: false
    .vgpr_count:     0
    .vgpr_spill_count: 0
    .wavefront_size: 64
  - .agpr_count:     0
    .args:
      - .offset:         0
        .size:           136
        .value_kind:     by_value
    .group_segment_fixed_size: 0
    .kernarg_segment_align: 8
    .kernarg_segment_size: 136
    .language:       OpenCL C
    .language_version:
      - 2
      - 0
    .max_flat_workgroup_size: 512
    .name:           _ZN7rocprim17ROCPRIM_400000_NS6detail17trampoline_kernelINS0_14default_configENS1_25partition_config_selectorILNS1_17partition_subalgoE8ElNS0_10empty_typeEbEEZZNS1_14partition_implILS5_8ELb0ES3_jPlPS6_PKS6_NS0_5tupleIJS9_S6_EEENSD_IJSA_SA_EEENS0_18inequality_wrapperIZN2at6native12_GLOBAL__N_124unique_dim_cuda_templateIbEESt5tupleIJNSH_6TensorESM_SM_EERKSM_lbbbEUlllE0_EEPmJS6_EEE10hipError_tPvRmT3_T4_T5_T6_T7_T9_mT8_P12ihipStream_tbDpT10_ENKUlT_T0_E_clISt17integral_constantIbLb0EES1B_IbLb1EEEEDaS17_S18_EUlS17_E_NS1_11comp_targetILNS1_3genE9ELNS1_11target_archE1100ELNS1_3gpuE3ELNS1_3repE0EEENS1_30default_config_static_selectorELNS0_4arch9wavefront6targetE1EEEvT1_
    .private_segment_fixed_size: 0
    .sgpr_count:     6
    .sgpr_spill_count: 0
    .symbol:         _ZN7rocprim17ROCPRIM_400000_NS6detail17trampoline_kernelINS0_14default_configENS1_25partition_config_selectorILNS1_17partition_subalgoE8ElNS0_10empty_typeEbEEZZNS1_14partition_implILS5_8ELb0ES3_jPlPS6_PKS6_NS0_5tupleIJS9_S6_EEENSD_IJSA_SA_EEENS0_18inequality_wrapperIZN2at6native12_GLOBAL__N_124unique_dim_cuda_templateIbEESt5tupleIJNSH_6TensorESM_SM_EERKSM_lbbbEUlllE0_EEPmJS6_EEE10hipError_tPvRmT3_T4_T5_T6_T7_T9_mT8_P12ihipStream_tbDpT10_ENKUlT_T0_E_clISt17integral_constantIbLb0EES1B_IbLb1EEEEDaS17_S18_EUlS17_E_NS1_11comp_targetILNS1_3genE9ELNS1_11target_archE1100ELNS1_3gpuE3ELNS1_3repE0EEENS1_30default_config_static_selectorELNS0_4arch9wavefront6targetE1EEEvT1_.kd
    .uniform_work_group_size: 1
    .uses_dynamic_stack: false
    .vgpr_count:     0
    .vgpr_spill_count: 0
    .wavefront_size: 64
  - .agpr_count:     0
    .args:
      - .offset:         0
        .size:           136
        .value_kind:     by_value
    .group_segment_fixed_size: 0
    .kernarg_segment_align: 8
    .kernarg_segment_size: 136
    .language:       OpenCL C
    .language_version:
      - 2
      - 0
    .max_flat_workgroup_size: 512
    .name:           _ZN7rocprim17ROCPRIM_400000_NS6detail17trampoline_kernelINS0_14default_configENS1_25partition_config_selectorILNS1_17partition_subalgoE8ElNS0_10empty_typeEbEEZZNS1_14partition_implILS5_8ELb0ES3_jPlPS6_PKS6_NS0_5tupleIJS9_S6_EEENSD_IJSA_SA_EEENS0_18inequality_wrapperIZN2at6native12_GLOBAL__N_124unique_dim_cuda_templateIbEESt5tupleIJNSH_6TensorESM_SM_EERKSM_lbbbEUlllE0_EEPmJS6_EEE10hipError_tPvRmT3_T4_T5_T6_T7_T9_mT8_P12ihipStream_tbDpT10_ENKUlT_T0_E_clISt17integral_constantIbLb0EES1B_IbLb1EEEEDaS17_S18_EUlS17_E_NS1_11comp_targetILNS1_3genE8ELNS1_11target_archE1030ELNS1_3gpuE2ELNS1_3repE0EEENS1_30default_config_static_selectorELNS0_4arch9wavefront6targetE1EEEvT1_
    .private_segment_fixed_size: 0
    .sgpr_count:     6
    .sgpr_spill_count: 0
    .symbol:         _ZN7rocprim17ROCPRIM_400000_NS6detail17trampoline_kernelINS0_14default_configENS1_25partition_config_selectorILNS1_17partition_subalgoE8ElNS0_10empty_typeEbEEZZNS1_14partition_implILS5_8ELb0ES3_jPlPS6_PKS6_NS0_5tupleIJS9_S6_EEENSD_IJSA_SA_EEENS0_18inequality_wrapperIZN2at6native12_GLOBAL__N_124unique_dim_cuda_templateIbEESt5tupleIJNSH_6TensorESM_SM_EERKSM_lbbbEUlllE0_EEPmJS6_EEE10hipError_tPvRmT3_T4_T5_T6_T7_T9_mT8_P12ihipStream_tbDpT10_ENKUlT_T0_E_clISt17integral_constantIbLb0EES1B_IbLb1EEEEDaS17_S18_EUlS17_E_NS1_11comp_targetILNS1_3genE8ELNS1_11target_archE1030ELNS1_3gpuE2ELNS1_3repE0EEENS1_30default_config_static_selectorELNS0_4arch9wavefront6targetE1EEEvT1_.kd
    .uniform_work_group_size: 1
    .uses_dynamic_stack: false
    .vgpr_count:     0
    .vgpr_spill_count: 0
    .wavefront_size: 64
  - .agpr_count:     0
    .args:
      - .offset:         0
        .size:           120
        .value_kind:     by_value
    .group_segment_fixed_size: 0
    .kernarg_segment_align: 8
    .kernarg_segment_size: 120
    .language:       OpenCL C
    .language_version:
      - 2
      - 0
    .max_flat_workgroup_size: 128
    .name:           _ZN7rocprim17ROCPRIM_400000_NS6detail17trampoline_kernelINS0_14default_configENS1_25partition_config_selectorILNS1_17partition_subalgoE9EllbEEZZNS1_14partition_implILS5_9ELb0ES3_jPlS8_PNS0_10empty_typeENS0_5tupleIJS8_S9_EEENSB_IJS8_SA_EEENS0_18inequality_wrapperIZN2at6native12_GLOBAL__N_124unique_dim_cuda_templateIbEESt5tupleIJNSF_6TensorESK_SK_EERKSK_lbbbEUlllE0_EEPmJS9_EEE10hipError_tPvRmT3_T4_T5_T6_T7_T9_mT8_P12ihipStream_tbDpT10_ENKUlT_T0_E_clISt17integral_constantIbLb0EES1A_EEDaS15_S16_EUlS15_E_NS1_11comp_targetILNS1_3genE0ELNS1_11target_archE4294967295ELNS1_3gpuE0ELNS1_3repE0EEENS1_30default_config_static_selectorELNS0_4arch9wavefront6targetE1EEEvT1_
    .private_segment_fixed_size: 0
    .sgpr_count:     6
    .sgpr_spill_count: 0
    .symbol:         _ZN7rocprim17ROCPRIM_400000_NS6detail17trampoline_kernelINS0_14default_configENS1_25partition_config_selectorILNS1_17partition_subalgoE9EllbEEZZNS1_14partition_implILS5_9ELb0ES3_jPlS8_PNS0_10empty_typeENS0_5tupleIJS8_S9_EEENSB_IJS8_SA_EEENS0_18inequality_wrapperIZN2at6native12_GLOBAL__N_124unique_dim_cuda_templateIbEESt5tupleIJNSF_6TensorESK_SK_EERKSK_lbbbEUlllE0_EEPmJS9_EEE10hipError_tPvRmT3_T4_T5_T6_T7_T9_mT8_P12ihipStream_tbDpT10_ENKUlT_T0_E_clISt17integral_constantIbLb0EES1A_EEDaS15_S16_EUlS15_E_NS1_11comp_targetILNS1_3genE0ELNS1_11target_archE4294967295ELNS1_3gpuE0ELNS1_3repE0EEENS1_30default_config_static_selectorELNS0_4arch9wavefront6targetE1EEEvT1_.kd
    .uniform_work_group_size: 1
    .uses_dynamic_stack: false
    .vgpr_count:     0
    .vgpr_spill_count: 0
    .wavefront_size: 64
  - .agpr_count:     0
    .args:
      - .offset:         0
        .size:           120
        .value_kind:     by_value
    .group_segment_fixed_size: 28684
    .kernarg_segment_align: 8
    .kernarg_segment_size: 120
    .language:       OpenCL C
    .language_version:
      - 2
      - 0
    .max_flat_workgroup_size: 512
    .name:           _ZN7rocprim17ROCPRIM_400000_NS6detail17trampoline_kernelINS0_14default_configENS1_25partition_config_selectorILNS1_17partition_subalgoE9EllbEEZZNS1_14partition_implILS5_9ELb0ES3_jPlS8_PNS0_10empty_typeENS0_5tupleIJS8_S9_EEENSB_IJS8_SA_EEENS0_18inequality_wrapperIZN2at6native12_GLOBAL__N_124unique_dim_cuda_templateIbEESt5tupleIJNSF_6TensorESK_SK_EERKSK_lbbbEUlllE0_EEPmJS9_EEE10hipError_tPvRmT3_T4_T5_T6_T7_T9_mT8_P12ihipStream_tbDpT10_ENKUlT_T0_E_clISt17integral_constantIbLb0EES1A_EEDaS15_S16_EUlS15_E_NS1_11comp_targetILNS1_3genE5ELNS1_11target_archE942ELNS1_3gpuE9ELNS1_3repE0EEENS1_30default_config_static_selectorELNS0_4arch9wavefront6targetE1EEEvT1_
    .private_segment_fixed_size: 0
    .sgpr_count:     58
    .sgpr_spill_count: 0
    .symbol:         _ZN7rocprim17ROCPRIM_400000_NS6detail17trampoline_kernelINS0_14default_configENS1_25partition_config_selectorILNS1_17partition_subalgoE9EllbEEZZNS1_14partition_implILS5_9ELb0ES3_jPlS8_PNS0_10empty_typeENS0_5tupleIJS8_S9_EEENSB_IJS8_SA_EEENS0_18inequality_wrapperIZN2at6native12_GLOBAL__N_124unique_dim_cuda_templateIbEESt5tupleIJNSF_6TensorESK_SK_EERKSK_lbbbEUlllE0_EEPmJS9_EEE10hipError_tPvRmT3_T4_T5_T6_T7_T9_mT8_P12ihipStream_tbDpT10_ENKUlT_T0_E_clISt17integral_constantIbLb0EES1A_EEDaS15_S16_EUlS15_E_NS1_11comp_targetILNS1_3genE5ELNS1_11target_archE942ELNS1_3gpuE9ELNS1_3repE0EEENS1_30default_config_static_selectorELNS0_4arch9wavefront6targetE1EEEvT1_.kd
    .uniform_work_group_size: 1
    .uses_dynamic_stack: false
    .vgpr_count:     66
    .vgpr_spill_count: 0
    .wavefront_size: 64
  - .agpr_count:     0
    .args:
      - .offset:         0
        .size:           120
        .value_kind:     by_value
    .group_segment_fixed_size: 0
    .kernarg_segment_align: 8
    .kernarg_segment_size: 120
    .language:       OpenCL C
    .language_version:
      - 2
      - 0
    .max_flat_workgroup_size: 128
    .name:           _ZN7rocprim17ROCPRIM_400000_NS6detail17trampoline_kernelINS0_14default_configENS1_25partition_config_selectorILNS1_17partition_subalgoE9EllbEEZZNS1_14partition_implILS5_9ELb0ES3_jPlS8_PNS0_10empty_typeENS0_5tupleIJS8_S9_EEENSB_IJS8_SA_EEENS0_18inequality_wrapperIZN2at6native12_GLOBAL__N_124unique_dim_cuda_templateIbEESt5tupleIJNSF_6TensorESK_SK_EERKSK_lbbbEUlllE0_EEPmJS9_EEE10hipError_tPvRmT3_T4_T5_T6_T7_T9_mT8_P12ihipStream_tbDpT10_ENKUlT_T0_E_clISt17integral_constantIbLb0EES1A_EEDaS15_S16_EUlS15_E_NS1_11comp_targetILNS1_3genE4ELNS1_11target_archE910ELNS1_3gpuE8ELNS1_3repE0EEENS1_30default_config_static_selectorELNS0_4arch9wavefront6targetE1EEEvT1_
    .private_segment_fixed_size: 0
    .sgpr_count:     6
    .sgpr_spill_count: 0
    .symbol:         _ZN7rocprim17ROCPRIM_400000_NS6detail17trampoline_kernelINS0_14default_configENS1_25partition_config_selectorILNS1_17partition_subalgoE9EllbEEZZNS1_14partition_implILS5_9ELb0ES3_jPlS8_PNS0_10empty_typeENS0_5tupleIJS8_S9_EEENSB_IJS8_SA_EEENS0_18inequality_wrapperIZN2at6native12_GLOBAL__N_124unique_dim_cuda_templateIbEESt5tupleIJNSF_6TensorESK_SK_EERKSK_lbbbEUlllE0_EEPmJS9_EEE10hipError_tPvRmT3_T4_T5_T6_T7_T9_mT8_P12ihipStream_tbDpT10_ENKUlT_T0_E_clISt17integral_constantIbLb0EES1A_EEDaS15_S16_EUlS15_E_NS1_11comp_targetILNS1_3genE4ELNS1_11target_archE910ELNS1_3gpuE8ELNS1_3repE0EEENS1_30default_config_static_selectorELNS0_4arch9wavefront6targetE1EEEvT1_.kd
    .uniform_work_group_size: 1
    .uses_dynamic_stack: false
    .vgpr_count:     0
    .vgpr_spill_count: 0
    .wavefront_size: 64
  - .agpr_count:     0
    .args:
      - .offset:         0
        .size:           120
        .value_kind:     by_value
    .group_segment_fixed_size: 0
    .kernarg_segment_align: 8
    .kernarg_segment_size: 120
    .language:       OpenCL C
    .language_version:
      - 2
      - 0
    .max_flat_workgroup_size: 128
    .name:           _ZN7rocprim17ROCPRIM_400000_NS6detail17trampoline_kernelINS0_14default_configENS1_25partition_config_selectorILNS1_17partition_subalgoE9EllbEEZZNS1_14partition_implILS5_9ELb0ES3_jPlS8_PNS0_10empty_typeENS0_5tupleIJS8_S9_EEENSB_IJS8_SA_EEENS0_18inequality_wrapperIZN2at6native12_GLOBAL__N_124unique_dim_cuda_templateIbEESt5tupleIJNSF_6TensorESK_SK_EERKSK_lbbbEUlllE0_EEPmJS9_EEE10hipError_tPvRmT3_T4_T5_T6_T7_T9_mT8_P12ihipStream_tbDpT10_ENKUlT_T0_E_clISt17integral_constantIbLb0EES1A_EEDaS15_S16_EUlS15_E_NS1_11comp_targetILNS1_3genE3ELNS1_11target_archE908ELNS1_3gpuE7ELNS1_3repE0EEENS1_30default_config_static_selectorELNS0_4arch9wavefront6targetE1EEEvT1_
    .private_segment_fixed_size: 0
    .sgpr_count:     6
    .sgpr_spill_count: 0
    .symbol:         _ZN7rocprim17ROCPRIM_400000_NS6detail17trampoline_kernelINS0_14default_configENS1_25partition_config_selectorILNS1_17partition_subalgoE9EllbEEZZNS1_14partition_implILS5_9ELb0ES3_jPlS8_PNS0_10empty_typeENS0_5tupleIJS8_S9_EEENSB_IJS8_SA_EEENS0_18inequality_wrapperIZN2at6native12_GLOBAL__N_124unique_dim_cuda_templateIbEESt5tupleIJNSF_6TensorESK_SK_EERKSK_lbbbEUlllE0_EEPmJS9_EEE10hipError_tPvRmT3_T4_T5_T6_T7_T9_mT8_P12ihipStream_tbDpT10_ENKUlT_T0_E_clISt17integral_constantIbLb0EES1A_EEDaS15_S16_EUlS15_E_NS1_11comp_targetILNS1_3genE3ELNS1_11target_archE908ELNS1_3gpuE7ELNS1_3repE0EEENS1_30default_config_static_selectorELNS0_4arch9wavefront6targetE1EEEvT1_.kd
    .uniform_work_group_size: 1
    .uses_dynamic_stack: false
    .vgpr_count:     0
    .vgpr_spill_count: 0
    .wavefront_size: 64
  - .agpr_count:     0
    .args:
      - .offset:         0
        .size:           120
        .value_kind:     by_value
    .group_segment_fixed_size: 0
    .kernarg_segment_align: 8
    .kernarg_segment_size: 120
    .language:       OpenCL C
    .language_version:
      - 2
      - 0
    .max_flat_workgroup_size: 192
    .name:           _ZN7rocprim17ROCPRIM_400000_NS6detail17trampoline_kernelINS0_14default_configENS1_25partition_config_selectorILNS1_17partition_subalgoE9EllbEEZZNS1_14partition_implILS5_9ELb0ES3_jPlS8_PNS0_10empty_typeENS0_5tupleIJS8_S9_EEENSB_IJS8_SA_EEENS0_18inequality_wrapperIZN2at6native12_GLOBAL__N_124unique_dim_cuda_templateIbEESt5tupleIJNSF_6TensorESK_SK_EERKSK_lbbbEUlllE0_EEPmJS9_EEE10hipError_tPvRmT3_T4_T5_T6_T7_T9_mT8_P12ihipStream_tbDpT10_ENKUlT_T0_E_clISt17integral_constantIbLb0EES1A_EEDaS15_S16_EUlS15_E_NS1_11comp_targetILNS1_3genE2ELNS1_11target_archE906ELNS1_3gpuE6ELNS1_3repE0EEENS1_30default_config_static_selectorELNS0_4arch9wavefront6targetE1EEEvT1_
    .private_segment_fixed_size: 0
    .sgpr_count:     6
    .sgpr_spill_count: 0
    .symbol:         _ZN7rocprim17ROCPRIM_400000_NS6detail17trampoline_kernelINS0_14default_configENS1_25partition_config_selectorILNS1_17partition_subalgoE9EllbEEZZNS1_14partition_implILS5_9ELb0ES3_jPlS8_PNS0_10empty_typeENS0_5tupleIJS8_S9_EEENSB_IJS8_SA_EEENS0_18inequality_wrapperIZN2at6native12_GLOBAL__N_124unique_dim_cuda_templateIbEESt5tupleIJNSF_6TensorESK_SK_EERKSK_lbbbEUlllE0_EEPmJS9_EEE10hipError_tPvRmT3_T4_T5_T6_T7_T9_mT8_P12ihipStream_tbDpT10_ENKUlT_T0_E_clISt17integral_constantIbLb0EES1A_EEDaS15_S16_EUlS15_E_NS1_11comp_targetILNS1_3genE2ELNS1_11target_archE906ELNS1_3gpuE6ELNS1_3repE0EEENS1_30default_config_static_selectorELNS0_4arch9wavefront6targetE1EEEvT1_.kd
    .uniform_work_group_size: 1
    .uses_dynamic_stack: false
    .vgpr_count:     0
    .vgpr_spill_count: 0
    .wavefront_size: 64
  - .agpr_count:     0
    .args:
      - .offset:         0
        .size:           120
        .value_kind:     by_value
    .group_segment_fixed_size: 0
    .kernarg_segment_align: 8
    .kernarg_segment_size: 120
    .language:       OpenCL C
    .language_version:
      - 2
      - 0
    .max_flat_workgroup_size: 384
    .name:           _ZN7rocprim17ROCPRIM_400000_NS6detail17trampoline_kernelINS0_14default_configENS1_25partition_config_selectorILNS1_17partition_subalgoE9EllbEEZZNS1_14partition_implILS5_9ELb0ES3_jPlS8_PNS0_10empty_typeENS0_5tupleIJS8_S9_EEENSB_IJS8_SA_EEENS0_18inequality_wrapperIZN2at6native12_GLOBAL__N_124unique_dim_cuda_templateIbEESt5tupleIJNSF_6TensorESK_SK_EERKSK_lbbbEUlllE0_EEPmJS9_EEE10hipError_tPvRmT3_T4_T5_T6_T7_T9_mT8_P12ihipStream_tbDpT10_ENKUlT_T0_E_clISt17integral_constantIbLb0EES1A_EEDaS15_S16_EUlS15_E_NS1_11comp_targetILNS1_3genE10ELNS1_11target_archE1200ELNS1_3gpuE4ELNS1_3repE0EEENS1_30default_config_static_selectorELNS0_4arch9wavefront6targetE1EEEvT1_
    .private_segment_fixed_size: 0
    .sgpr_count:     6
    .sgpr_spill_count: 0
    .symbol:         _ZN7rocprim17ROCPRIM_400000_NS6detail17trampoline_kernelINS0_14default_configENS1_25partition_config_selectorILNS1_17partition_subalgoE9EllbEEZZNS1_14partition_implILS5_9ELb0ES3_jPlS8_PNS0_10empty_typeENS0_5tupleIJS8_S9_EEENSB_IJS8_SA_EEENS0_18inequality_wrapperIZN2at6native12_GLOBAL__N_124unique_dim_cuda_templateIbEESt5tupleIJNSF_6TensorESK_SK_EERKSK_lbbbEUlllE0_EEPmJS9_EEE10hipError_tPvRmT3_T4_T5_T6_T7_T9_mT8_P12ihipStream_tbDpT10_ENKUlT_T0_E_clISt17integral_constantIbLb0EES1A_EEDaS15_S16_EUlS15_E_NS1_11comp_targetILNS1_3genE10ELNS1_11target_archE1200ELNS1_3gpuE4ELNS1_3repE0EEENS1_30default_config_static_selectorELNS0_4arch9wavefront6targetE1EEEvT1_.kd
    .uniform_work_group_size: 1
    .uses_dynamic_stack: false
    .vgpr_count:     0
    .vgpr_spill_count: 0
    .wavefront_size: 64
  - .agpr_count:     0
    .args:
      - .offset:         0
        .size:           120
        .value_kind:     by_value
    .group_segment_fixed_size: 0
    .kernarg_segment_align: 8
    .kernarg_segment_size: 120
    .language:       OpenCL C
    .language_version:
      - 2
      - 0
    .max_flat_workgroup_size: 512
    .name:           _ZN7rocprim17ROCPRIM_400000_NS6detail17trampoline_kernelINS0_14default_configENS1_25partition_config_selectorILNS1_17partition_subalgoE9EllbEEZZNS1_14partition_implILS5_9ELb0ES3_jPlS8_PNS0_10empty_typeENS0_5tupleIJS8_S9_EEENSB_IJS8_SA_EEENS0_18inequality_wrapperIZN2at6native12_GLOBAL__N_124unique_dim_cuda_templateIbEESt5tupleIJNSF_6TensorESK_SK_EERKSK_lbbbEUlllE0_EEPmJS9_EEE10hipError_tPvRmT3_T4_T5_T6_T7_T9_mT8_P12ihipStream_tbDpT10_ENKUlT_T0_E_clISt17integral_constantIbLb0EES1A_EEDaS15_S16_EUlS15_E_NS1_11comp_targetILNS1_3genE9ELNS1_11target_archE1100ELNS1_3gpuE3ELNS1_3repE0EEENS1_30default_config_static_selectorELNS0_4arch9wavefront6targetE1EEEvT1_
    .private_segment_fixed_size: 0
    .sgpr_count:     6
    .sgpr_spill_count: 0
    .symbol:         _ZN7rocprim17ROCPRIM_400000_NS6detail17trampoline_kernelINS0_14default_configENS1_25partition_config_selectorILNS1_17partition_subalgoE9EllbEEZZNS1_14partition_implILS5_9ELb0ES3_jPlS8_PNS0_10empty_typeENS0_5tupleIJS8_S9_EEENSB_IJS8_SA_EEENS0_18inequality_wrapperIZN2at6native12_GLOBAL__N_124unique_dim_cuda_templateIbEESt5tupleIJNSF_6TensorESK_SK_EERKSK_lbbbEUlllE0_EEPmJS9_EEE10hipError_tPvRmT3_T4_T5_T6_T7_T9_mT8_P12ihipStream_tbDpT10_ENKUlT_T0_E_clISt17integral_constantIbLb0EES1A_EEDaS15_S16_EUlS15_E_NS1_11comp_targetILNS1_3genE9ELNS1_11target_archE1100ELNS1_3gpuE3ELNS1_3repE0EEENS1_30default_config_static_selectorELNS0_4arch9wavefront6targetE1EEEvT1_.kd
    .uniform_work_group_size: 1
    .uses_dynamic_stack: false
    .vgpr_count:     0
    .vgpr_spill_count: 0
    .wavefront_size: 64
  - .agpr_count:     0
    .args:
      - .offset:         0
        .size:           120
        .value_kind:     by_value
    .group_segment_fixed_size: 0
    .kernarg_segment_align: 8
    .kernarg_segment_size: 120
    .language:       OpenCL C
    .language_version:
      - 2
      - 0
    .max_flat_workgroup_size: 512
    .name:           _ZN7rocprim17ROCPRIM_400000_NS6detail17trampoline_kernelINS0_14default_configENS1_25partition_config_selectorILNS1_17partition_subalgoE9EllbEEZZNS1_14partition_implILS5_9ELb0ES3_jPlS8_PNS0_10empty_typeENS0_5tupleIJS8_S9_EEENSB_IJS8_SA_EEENS0_18inequality_wrapperIZN2at6native12_GLOBAL__N_124unique_dim_cuda_templateIbEESt5tupleIJNSF_6TensorESK_SK_EERKSK_lbbbEUlllE0_EEPmJS9_EEE10hipError_tPvRmT3_T4_T5_T6_T7_T9_mT8_P12ihipStream_tbDpT10_ENKUlT_T0_E_clISt17integral_constantIbLb0EES1A_EEDaS15_S16_EUlS15_E_NS1_11comp_targetILNS1_3genE8ELNS1_11target_archE1030ELNS1_3gpuE2ELNS1_3repE0EEENS1_30default_config_static_selectorELNS0_4arch9wavefront6targetE1EEEvT1_
    .private_segment_fixed_size: 0
    .sgpr_count:     6
    .sgpr_spill_count: 0
    .symbol:         _ZN7rocprim17ROCPRIM_400000_NS6detail17trampoline_kernelINS0_14default_configENS1_25partition_config_selectorILNS1_17partition_subalgoE9EllbEEZZNS1_14partition_implILS5_9ELb0ES3_jPlS8_PNS0_10empty_typeENS0_5tupleIJS8_S9_EEENSB_IJS8_SA_EEENS0_18inequality_wrapperIZN2at6native12_GLOBAL__N_124unique_dim_cuda_templateIbEESt5tupleIJNSF_6TensorESK_SK_EERKSK_lbbbEUlllE0_EEPmJS9_EEE10hipError_tPvRmT3_T4_T5_T6_T7_T9_mT8_P12ihipStream_tbDpT10_ENKUlT_T0_E_clISt17integral_constantIbLb0EES1A_EEDaS15_S16_EUlS15_E_NS1_11comp_targetILNS1_3genE8ELNS1_11target_archE1030ELNS1_3gpuE2ELNS1_3repE0EEENS1_30default_config_static_selectorELNS0_4arch9wavefront6targetE1EEEvT1_.kd
    .uniform_work_group_size: 1
    .uses_dynamic_stack: false
    .vgpr_count:     0
    .vgpr_spill_count: 0
    .wavefront_size: 64
  - .agpr_count:     0
    .args:
      - .offset:         0
        .size:           136
        .value_kind:     by_value
    .group_segment_fixed_size: 0
    .kernarg_segment_align: 8
    .kernarg_segment_size: 136
    .language:       OpenCL C
    .language_version:
      - 2
      - 0
    .max_flat_workgroup_size: 128
    .name:           _ZN7rocprim17ROCPRIM_400000_NS6detail17trampoline_kernelINS0_14default_configENS1_25partition_config_selectorILNS1_17partition_subalgoE9EllbEEZZNS1_14partition_implILS5_9ELb0ES3_jPlS8_PNS0_10empty_typeENS0_5tupleIJS8_S9_EEENSB_IJS8_SA_EEENS0_18inequality_wrapperIZN2at6native12_GLOBAL__N_124unique_dim_cuda_templateIbEESt5tupleIJNSF_6TensorESK_SK_EERKSK_lbbbEUlllE0_EEPmJS9_EEE10hipError_tPvRmT3_T4_T5_T6_T7_T9_mT8_P12ihipStream_tbDpT10_ENKUlT_T0_E_clISt17integral_constantIbLb1EES1A_EEDaS15_S16_EUlS15_E_NS1_11comp_targetILNS1_3genE0ELNS1_11target_archE4294967295ELNS1_3gpuE0ELNS1_3repE0EEENS1_30default_config_static_selectorELNS0_4arch9wavefront6targetE1EEEvT1_
    .private_segment_fixed_size: 0
    .sgpr_count:     6
    .sgpr_spill_count: 0
    .symbol:         _ZN7rocprim17ROCPRIM_400000_NS6detail17trampoline_kernelINS0_14default_configENS1_25partition_config_selectorILNS1_17partition_subalgoE9EllbEEZZNS1_14partition_implILS5_9ELb0ES3_jPlS8_PNS0_10empty_typeENS0_5tupleIJS8_S9_EEENSB_IJS8_SA_EEENS0_18inequality_wrapperIZN2at6native12_GLOBAL__N_124unique_dim_cuda_templateIbEESt5tupleIJNSF_6TensorESK_SK_EERKSK_lbbbEUlllE0_EEPmJS9_EEE10hipError_tPvRmT3_T4_T5_T6_T7_T9_mT8_P12ihipStream_tbDpT10_ENKUlT_T0_E_clISt17integral_constantIbLb1EES1A_EEDaS15_S16_EUlS15_E_NS1_11comp_targetILNS1_3genE0ELNS1_11target_archE4294967295ELNS1_3gpuE0ELNS1_3repE0EEENS1_30default_config_static_selectorELNS0_4arch9wavefront6targetE1EEEvT1_.kd
    .uniform_work_group_size: 1
    .uses_dynamic_stack: false
    .vgpr_count:     0
    .vgpr_spill_count: 0
    .wavefront_size: 64
  - .agpr_count:     0
    .args:
      - .offset:         0
        .size:           136
        .value_kind:     by_value
    .group_segment_fixed_size: 28684
    .kernarg_segment_align: 8
    .kernarg_segment_size: 136
    .language:       OpenCL C
    .language_version:
      - 2
      - 0
    .max_flat_workgroup_size: 512
    .name:           _ZN7rocprim17ROCPRIM_400000_NS6detail17trampoline_kernelINS0_14default_configENS1_25partition_config_selectorILNS1_17partition_subalgoE9EllbEEZZNS1_14partition_implILS5_9ELb0ES3_jPlS8_PNS0_10empty_typeENS0_5tupleIJS8_S9_EEENSB_IJS8_SA_EEENS0_18inequality_wrapperIZN2at6native12_GLOBAL__N_124unique_dim_cuda_templateIbEESt5tupleIJNSF_6TensorESK_SK_EERKSK_lbbbEUlllE0_EEPmJS9_EEE10hipError_tPvRmT3_T4_T5_T6_T7_T9_mT8_P12ihipStream_tbDpT10_ENKUlT_T0_E_clISt17integral_constantIbLb1EES1A_EEDaS15_S16_EUlS15_E_NS1_11comp_targetILNS1_3genE5ELNS1_11target_archE942ELNS1_3gpuE9ELNS1_3repE0EEENS1_30default_config_static_selectorELNS0_4arch9wavefront6targetE1EEEvT1_
    .private_segment_fixed_size: 0
    .sgpr_count:     64
    .sgpr_spill_count: 0
    .symbol:         _ZN7rocprim17ROCPRIM_400000_NS6detail17trampoline_kernelINS0_14default_configENS1_25partition_config_selectorILNS1_17partition_subalgoE9EllbEEZZNS1_14partition_implILS5_9ELb0ES3_jPlS8_PNS0_10empty_typeENS0_5tupleIJS8_S9_EEENSB_IJS8_SA_EEENS0_18inequality_wrapperIZN2at6native12_GLOBAL__N_124unique_dim_cuda_templateIbEESt5tupleIJNSF_6TensorESK_SK_EERKSK_lbbbEUlllE0_EEPmJS9_EEE10hipError_tPvRmT3_T4_T5_T6_T7_T9_mT8_P12ihipStream_tbDpT10_ENKUlT_T0_E_clISt17integral_constantIbLb1EES1A_EEDaS15_S16_EUlS15_E_NS1_11comp_targetILNS1_3genE5ELNS1_11target_archE942ELNS1_3gpuE9ELNS1_3repE0EEENS1_30default_config_static_selectorELNS0_4arch9wavefront6targetE1EEEvT1_.kd
    .uniform_work_group_size: 1
    .uses_dynamic_stack: false
    .vgpr_count:     66
    .vgpr_spill_count: 0
    .wavefront_size: 64
  - .agpr_count:     0
    .args:
      - .offset:         0
        .size:           136
        .value_kind:     by_value
    .group_segment_fixed_size: 0
    .kernarg_segment_align: 8
    .kernarg_segment_size: 136
    .language:       OpenCL C
    .language_version:
      - 2
      - 0
    .max_flat_workgroup_size: 128
    .name:           _ZN7rocprim17ROCPRIM_400000_NS6detail17trampoline_kernelINS0_14default_configENS1_25partition_config_selectorILNS1_17partition_subalgoE9EllbEEZZNS1_14partition_implILS5_9ELb0ES3_jPlS8_PNS0_10empty_typeENS0_5tupleIJS8_S9_EEENSB_IJS8_SA_EEENS0_18inequality_wrapperIZN2at6native12_GLOBAL__N_124unique_dim_cuda_templateIbEESt5tupleIJNSF_6TensorESK_SK_EERKSK_lbbbEUlllE0_EEPmJS9_EEE10hipError_tPvRmT3_T4_T5_T6_T7_T9_mT8_P12ihipStream_tbDpT10_ENKUlT_T0_E_clISt17integral_constantIbLb1EES1A_EEDaS15_S16_EUlS15_E_NS1_11comp_targetILNS1_3genE4ELNS1_11target_archE910ELNS1_3gpuE8ELNS1_3repE0EEENS1_30default_config_static_selectorELNS0_4arch9wavefront6targetE1EEEvT1_
    .private_segment_fixed_size: 0
    .sgpr_count:     6
    .sgpr_spill_count: 0
    .symbol:         _ZN7rocprim17ROCPRIM_400000_NS6detail17trampoline_kernelINS0_14default_configENS1_25partition_config_selectorILNS1_17partition_subalgoE9EllbEEZZNS1_14partition_implILS5_9ELb0ES3_jPlS8_PNS0_10empty_typeENS0_5tupleIJS8_S9_EEENSB_IJS8_SA_EEENS0_18inequality_wrapperIZN2at6native12_GLOBAL__N_124unique_dim_cuda_templateIbEESt5tupleIJNSF_6TensorESK_SK_EERKSK_lbbbEUlllE0_EEPmJS9_EEE10hipError_tPvRmT3_T4_T5_T6_T7_T9_mT8_P12ihipStream_tbDpT10_ENKUlT_T0_E_clISt17integral_constantIbLb1EES1A_EEDaS15_S16_EUlS15_E_NS1_11comp_targetILNS1_3genE4ELNS1_11target_archE910ELNS1_3gpuE8ELNS1_3repE0EEENS1_30default_config_static_selectorELNS0_4arch9wavefront6targetE1EEEvT1_.kd
    .uniform_work_group_size: 1
    .uses_dynamic_stack: false
    .vgpr_count:     0
    .vgpr_spill_count: 0
    .wavefront_size: 64
  - .agpr_count:     0
    .args:
      - .offset:         0
        .size:           136
        .value_kind:     by_value
    .group_segment_fixed_size: 0
    .kernarg_segment_align: 8
    .kernarg_segment_size: 136
    .language:       OpenCL C
    .language_version:
      - 2
      - 0
    .max_flat_workgroup_size: 128
    .name:           _ZN7rocprim17ROCPRIM_400000_NS6detail17trampoline_kernelINS0_14default_configENS1_25partition_config_selectorILNS1_17partition_subalgoE9EllbEEZZNS1_14partition_implILS5_9ELb0ES3_jPlS8_PNS0_10empty_typeENS0_5tupleIJS8_S9_EEENSB_IJS8_SA_EEENS0_18inequality_wrapperIZN2at6native12_GLOBAL__N_124unique_dim_cuda_templateIbEESt5tupleIJNSF_6TensorESK_SK_EERKSK_lbbbEUlllE0_EEPmJS9_EEE10hipError_tPvRmT3_T4_T5_T6_T7_T9_mT8_P12ihipStream_tbDpT10_ENKUlT_T0_E_clISt17integral_constantIbLb1EES1A_EEDaS15_S16_EUlS15_E_NS1_11comp_targetILNS1_3genE3ELNS1_11target_archE908ELNS1_3gpuE7ELNS1_3repE0EEENS1_30default_config_static_selectorELNS0_4arch9wavefront6targetE1EEEvT1_
    .private_segment_fixed_size: 0
    .sgpr_count:     6
    .sgpr_spill_count: 0
    .symbol:         _ZN7rocprim17ROCPRIM_400000_NS6detail17trampoline_kernelINS0_14default_configENS1_25partition_config_selectorILNS1_17partition_subalgoE9EllbEEZZNS1_14partition_implILS5_9ELb0ES3_jPlS8_PNS0_10empty_typeENS0_5tupleIJS8_S9_EEENSB_IJS8_SA_EEENS0_18inequality_wrapperIZN2at6native12_GLOBAL__N_124unique_dim_cuda_templateIbEESt5tupleIJNSF_6TensorESK_SK_EERKSK_lbbbEUlllE0_EEPmJS9_EEE10hipError_tPvRmT3_T4_T5_T6_T7_T9_mT8_P12ihipStream_tbDpT10_ENKUlT_T0_E_clISt17integral_constantIbLb1EES1A_EEDaS15_S16_EUlS15_E_NS1_11comp_targetILNS1_3genE3ELNS1_11target_archE908ELNS1_3gpuE7ELNS1_3repE0EEENS1_30default_config_static_selectorELNS0_4arch9wavefront6targetE1EEEvT1_.kd
    .uniform_work_group_size: 1
    .uses_dynamic_stack: false
    .vgpr_count:     0
    .vgpr_spill_count: 0
    .wavefront_size: 64
  - .agpr_count:     0
    .args:
      - .offset:         0
        .size:           136
        .value_kind:     by_value
    .group_segment_fixed_size: 0
    .kernarg_segment_align: 8
    .kernarg_segment_size: 136
    .language:       OpenCL C
    .language_version:
      - 2
      - 0
    .max_flat_workgroup_size: 192
    .name:           _ZN7rocprim17ROCPRIM_400000_NS6detail17trampoline_kernelINS0_14default_configENS1_25partition_config_selectorILNS1_17partition_subalgoE9EllbEEZZNS1_14partition_implILS5_9ELb0ES3_jPlS8_PNS0_10empty_typeENS0_5tupleIJS8_S9_EEENSB_IJS8_SA_EEENS0_18inequality_wrapperIZN2at6native12_GLOBAL__N_124unique_dim_cuda_templateIbEESt5tupleIJNSF_6TensorESK_SK_EERKSK_lbbbEUlllE0_EEPmJS9_EEE10hipError_tPvRmT3_T4_T5_T6_T7_T9_mT8_P12ihipStream_tbDpT10_ENKUlT_T0_E_clISt17integral_constantIbLb1EES1A_EEDaS15_S16_EUlS15_E_NS1_11comp_targetILNS1_3genE2ELNS1_11target_archE906ELNS1_3gpuE6ELNS1_3repE0EEENS1_30default_config_static_selectorELNS0_4arch9wavefront6targetE1EEEvT1_
    .private_segment_fixed_size: 0
    .sgpr_count:     6
    .sgpr_spill_count: 0
    .symbol:         _ZN7rocprim17ROCPRIM_400000_NS6detail17trampoline_kernelINS0_14default_configENS1_25partition_config_selectorILNS1_17partition_subalgoE9EllbEEZZNS1_14partition_implILS5_9ELb0ES3_jPlS8_PNS0_10empty_typeENS0_5tupleIJS8_S9_EEENSB_IJS8_SA_EEENS0_18inequality_wrapperIZN2at6native12_GLOBAL__N_124unique_dim_cuda_templateIbEESt5tupleIJNSF_6TensorESK_SK_EERKSK_lbbbEUlllE0_EEPmJS9_EEE10hipError_tPvRmT3_T4_T5_T6_T7_T9_mT8_P12ihipStream_tbDpT10_ENKUlT_T0_E_clISt17integral_constantIbLb1EES1A_EEDaS15_S16_EUlS15_E_NS1_11comp_targetILNS1_3genE2ELNS1_11target_archE906ELNS1_3gpuE6ELNS1_3repE0EEENS1_30default_config_static_selectorELNS0_4arch9wavefront6targetE1EEEvT1_.kd
    .uniform_work_group_size: 1
    .uses_dynamic_stack: false
    .vgpr_count:     0
    .vgpr_spill_count: 0
    .wavefront_size: 64
  - .agpr_count:     0
    .args:
      - .offset:         0
        .size:           136
        .value_kind:     by_value
    .group_segment_fixed_size: 0
    .kernarg_segment_align: 8
    .kernarg_segment_size: 136
    .language:       OpenCL C
    .language_version:
      - 2
      - 0
    .max_flat_workgroup_size: 384
    .name:           _ZN7rocprim17ROCPRIM_400000_NS6detail17trampoline_kernelINS0_14default_configENS1_25partition_config_selectorILNS1_17partition_subalgoE9EllbEEZZNS1_14partition_implILS5_9ELb0ES3_jPlS8_PNS0_10empty_typeENS0_5tupleIJS8_S9_EEENSB_IJS8_SA_EEENS0_18inequality_wrapperIZN2at6native12_GLOBAL__N_124unique_dim_cuda_templateIbEESt5tupleIJNSF_6TensorESK_SK_EERKSK_lbbbEUlllE0_EEPmJS9_EEE10hipError_tPvRmT3_T4_T5_T6_T7_T9_mT8_P12ihipStream_tbDpT10_ENKUlT_T0_E_clISt17integral_constantIbLb1EES1A_EEDaS15_S16_EUlS15_E_NS1_11comp_targetILNS1_3genE10ELNS1_11target_archE1200ELNS1_3gpuE4ELNS1_3repE0EEENS1_30default_config_static_selectorELNS0_4arch9wavefront6targetE1EEEvT1_
    .private_segment_fixed_size: 0
    .sgpr_count:     6
    .sgpr_spill_count: 0
    .symbol:         _ZN7rocprim17ROCPRIM_400000_NS6detail17trampoline_kernelINS0_14default_configENS1_25partition_config_selectorILNS1_17partition_subalgoE9EllbEEZZNS1_14partition_implILS5_9ELb0ES3_jPlS8_PNS0_10empty_typeENS0_5tupleIJS8_S9_EEENSB_IJS8_SA_EEENS0_18inequality_wrapperIZN2at6native12_GLOBAL__N_124unique_dim_cuda_templateIbEESt5tupleIJNSF_6TensorESK_SK_EERKSK_lbbbEUlllE0_EEPmJS9_EEE10hipError_tPvRmT3_T4_T5_T6_T7_T9_mT8_P12ihipStream_tbDpT10_ENKUlT_T0_E_clISt17integral_constantIbLb1EES1A_EEDaS15_S16_EUlS15_E_NS1_11comp_targetILNS1_3genE10ELNS1_11target_archE1200ELNS1_3gpuE4ELNS1_3repE0EEENS1_30default_config_static_selectorELNS0_4arch9wavefront6targetE1EEEvT1_.kd
    .uniform_work_group_size: 1
    .uses_dynamic_stack: false
    .vgpr_count:     0
    .vgpr_spill_count: 0
    .wavefront_size: 64
  - .agpr_count:     0
    .args:
      - .offset:         0
        .size:           136
        .value_kind:     by_value
    .group_segment_fixed_size: 0
    .kernarg_segment_align: 8
    .kernarg_segment_size: 136
    .language:       OpenCL C
    .language_version:
      - 2
      - 0
    .max_flat_workgroup_size: 512
    .name:           _ZN7rocprim17ROCPRIM_400000_NS6detail17trampoline_kernelINS0_14default_configENS1_25partition_config_selectorILNS1_17partition_subalgoE9EllbEEZZNS1_14partition_implILS5_9ELb0ES3_jPlS8_PNS0_10empty_typeENS0_5tupleIJS8_S9_EEENSB_IJS8_SA_EEENS0_18inequality_wrapperIZN2at6native12_GLOBAL__N_124unique_dim_cuda_templateIbEESt5tupleIJNSF_6TensorESK_SK_EERKSK_lbbbEUlllE0_EEPmJS9_EEE10hipError_tPvRmT3_T4_T5_T6_T7_T9_mT8_P12ihipStream_tbDpT10_ENKUlT_T0_E_clISt17integral_constantIbLb1EES1A_EEDaS15_S16_EUlS15_E_NS1_11comp_targetILNS1_3genE9ELNS1_11target_archE1100ELNS1_3gpuE3ELNS1_3repE0EEENS1_30default_config_static_selectorELNS0_4arch9wavefront6targetE1EEEvT1_
    .private_segment_fixed_size: 0
    .sgpr_count:     6
    .sgpr_spill_count: 0
    .symbol:         _ZN7rocprim17ROCPRIM_400000_NS6detail17trampoline_kernelINS0_14default_configENS1_25partition_config_selectorILNS1_17partition_subalgoE9EllbEEZZNS1_14partition_implILS5_9ELb0ES3_jPlS8_PNS0_10empty_typeENS0_5tupleIJS8_S9_EEENSB_IJS8_SA_EEENS0_18inequality_wrapperIZN2at6native12_GLOBAL__N_124unique_dim_cuda_templateIbEESt5tupleIJNSF_6TensorESK_SK_EERKSK_lbbbEUlllE0_EEPmJS9_EEE10hipError_tPvRmT3_T4_T5_T6_T7_T9_mT8_P12ihipStream_tbDpT10_ENKUlT_T0_E_clISt17integral_constantIbLb1EES1A_EEDaS15_S16_EUlS15_E_NS1_11comp_targetILNS1_3genE9ELNS1_11target_archE1100ELNS1_3gpuE3ELNS1_3repE0EEENS1_30default_config_static_selectorELNS0_4arch9wavefront6targetE1EEEvT1_.kd
    .uniform_work_group_size: 1
    .uses_dynamic_stack: false
    .vgpr_count:     0
    .vgpr_spill_count: 0
    .wavefront_size: 64
  - .agpr_count:     0
    .args:
      - .offset:         0
        .size:           136
        .value_kind:     by_value
    .group_segment_fixed_size: 0
    .kernarg_segment_align: 8
    .kernarg_segment_size: 136
    .language:       OpenCL C
    .language_version:
      - 2
      - 0
    .max_flat_workgroup_size: 512
    .name:           _ZN7rocprim17ROCPRIM_400000_NS6detail17trampoline_kernelINS0_14default_configENS1_25partition_config_selectorILNS1_17partition_subalgoE9EllbEEZZNS1_14partition_implILS5_9ELb0ES3_jPlS8_PNS0_10empty_typeENS0_5tupleIJS8_S9_EEENSB_IJS8_SA_EEENS0_18inequality_wrapperIZN2at6native12_GLOBAL__N_124unique_dim_cuda_templateIbEESt5tupleIJNSF_6TensorESK_SK_EERKSK_lbbbEUlllE0_EEPmJS9_EEE10hipError_tPvRmT3_T4_T5_T6_T7_T9_mT8_P12ihipStream_tbDpT10_ENKUlT_T0_E_clISt17integral_constantIbLb1EES1A_EEDaS15_S16_EUlS15_E_NS1_11comp_targetILNS1_3genE8ELNS1_11target_archE1030ELNS1_3gpuE2ELNS1_3repE0EEENS1_30default_config_static_selectorELNS0_4arch9wavefront6targetE1EEEvT1_
    .private_segment_fixed_size: 0
    .sgpr_count:     6
    .sgpr_spill_count: 0
    .symbol:         _ZN7rocprim17ROCPRIM_400000_NS6detail17trampoline_kernelINS0_14default_configENS1_25partition_config_selectorILNS1_17partition_subalgoE9EllbEEZZNS1_14partition_implILS5_9ELb0ES3_jPlS8_PNS0_10empty_typeENS0_5tupleIJS8_S9_EEENSB_IJS8_SA_EEENS0_18inequality_wrapperIZN2at6native12_GLOBAL__N_124unique_dim_cuda_templateIbEESt5tupleIJNSF_6TensorESK_SK_EERKSK_lbbbEUlllE0_EEPmJS9_EEE10hipError_tPvRmT3_T4_T5_T6_T7_T9_mT8_P12ihipStream_tbDpT10_ENKUlT_T0_E_clISt17integral_constantIbLb1EES1A_EEDaS15_S16_EUlS15_E_NS1_11comp_targetILNS1_3genE8ELNS1_11target_archE1030ELNS1_3gpuE2ELNS1_3repE0EEENS1_30default_config_static_selectorELNS0_4arch9wavefront6targetE1EEEvT1_.kd
    .uniform_work_group_size: 1
    .uses_dynamic_stack: false
    .vgpr_count:     0
    .vgpr_spill_count: 0
    .wavefront_size: 64
  - .agpr_count:     0
    .args:
      - .offset:         0
        .size:           120
        .value_kind:     by_value
    .group_segment_fixed_size: 0
    .kernarg_segment_align: 8
    .kernarg_segment_size: 120
    .language:       OpenCL C
    .language_version:
      - 2
      - 0
    .max_flat_workgroup_size: 128
    .name:           _ZN7rocprim17ROCPRIM_400000_NS6detail17trampoline_kernelINS0_14default_configENS1_25partition_config_selectorILNS1_17partition_subalgoE9EllbEEZZNS1_14partition_implILS5_9ELb0ES3_jPlS8_PNS0_10empty_typeENS0_5tupleIJS8_S9_EEENSB_IJS8_SA_EEENS0_18inequality_wrapperIZN2at6native12_GLOBAL__N_124unique_dim_cuda_templateIbEESt5tupleIJNSF_6TensorESK_SK_EERKSK_lbbbEUlllE0_EEPmJS9_EEE10hipError_tPvRmT3_T4_T5_T6_T7_T9_mT8_P12ihipStream_tbDpT10_ENKUlT_T0_E_clISt17integral_constantIbLb1EES19_IbLb0EEEEDaS15_S16_EUlS15_E_NS1_11comp_targetILNS1_3genE0ELNS1_11target_archE4294967295ELNS1_3gpuE0ELNS1_3repE0EEENS1_30default_config_static_selectorELNS0_4arch9wavefront6targetE1EEEvT1_
    .private_segment_fixed_size: 0
    .sgpr_count:     6
    .sgpr_spill_count: 0
    .symbol:         _ZN7rocprim17ROCPRIM_400000_NS6detail17trampoline_kernelINS0_14default_configENS1_25partition_config_selectorILNS1_17partition_subalgoE9EllbEEZZNS1_14partition_implILS5_9ELb0ES3_jPlS8_PNS0_10empty_typeENS0_5tupleIJS8_S9_EEENSB_IJS8_SA_EEENS0_18inequality_wrapperIZN2at6native12_GLOBAL__N_124unique_dim_cuda_templateIbEESt5tupleIJNSF_6TensorESK_SK_EERKSK_lbbbEUlllE0_EEPmJS9_EEE10hipError_tPvRmT3_T4_T5_T6_T7_T9_mT8_P12ihipStream_tbDpT10_ENKUlT_T0_E_clISt17integral_constantIbLb1EES19_IbLb0EEEEDaS15_S16_EUlS15_E_NS1_11comp_targetILNS1_3genE0ELNS1_11target_archE4294967295ELNS1_3gpuE0ELNS1_3repE0EEENS1_30default_config_static_selectorELNS0_4arch9wavefront6targetE1EEEvT1_.kd
    .uniform_work_group_size: 1
    .uses_dynamic_stack: false
    .vgpr_count:     0
    .vgpr_spill_count: 0
    .wavefront_size: 64
  - .agpr_count:     0
    .args:
      - .offset:         0
        .size:           120
        .value_kind:     by_value
    .group_segment_fixed_size: 28684
    .kernarg_segment_align: 8
    .kernarg_segment_size: 120
    .language:       OpenCL C
    .language_version:
      - 2
      - 0
    .max_flat_workgroup_size: 512
    .name:           _ZN7rocprim17ROCPRIM_400000_NS6detail17trampoline_kernelINS0_14default_configENS1_25partition_config_selectorILNS1_17partition_subalgoE9EllbEEZZNS1_14partition_implILS5_9ELb0ES3_jPlS8_PNS0_10empty_typeENS0_5tupleIJS8_S9_EEENSB_IJS8_SA_EEENS0_18inequality_wrapperIZN2at6native12_GLOBAL__N_124unique_dim_cuda_templateIbEESt5tupleIJNSF_6TensorESK_SK_EERKSK_lbbbEUlllE0_EEPmJS9_EEE10hipError_tPvRmT3_T4_T5_T6_T7_T9_mT8_P12ihipStream_tbDpT10_ENKUlT_T0_E_clISt17integral_constantIbLb1EES19_IbLb0EEEEDaS15_S16_EUlS15_E_NS1_11comp_targetILNS1_3genE5ELNS1_11target_archE942ELNS1_3gpuE9ELNS1_3repE0EEENS1_30default_config_static_selectorELNS0_4arch9wavefront6targetE1EEEvT1_
    .private_segment_fixed_size: 0
    .sgpr_count:     58
    .sgpr_spill_count: 0
    .symbol:         _ZN7rocprim17ROCPRIM_400000_NS6detail17trampoline_kernelINS0_14default_configENS1_25partition_config_selectorILNS1_17partition_subalgoE9EllbEEZZNS1_14partition_implILS5_9ELb0ES3_jPlS8_PNS0_10empty_typeENS0_5tupleIJS8_S9_EEENSB_IJS8_SA_EEENS0_18inequality_wrapperIZN2at6native12_GLOBAL__N_124unique_dim_cuda_templateIbEESt5tupleIJNSF_6TensorESK_SK_EERKSK_lbbbEUlllE0_EEPmJS9_EEE10hipError_tPvRmT3_T4_T5_T6_T7_T9_mT8_P12ihipStream_tbDpT10_ENKUlT_T0_E_clISt17integral_constantIbLb1EES19_IbLb0EEEEDaS15_S16_EUlS15_E_NS1_11comp_targetILNS1_3genE5ELNS1_11target_archE942ELNS1_3gpuE9ELNS1_3repE0EEENS1_30default_config_static_selectorELNS0_4arch9wavefront6targetE1EEEvT1_.kd
    .uniform_work_group_size: 1
    .uses_dynamic_stack: false
    .vgpr_count:     66
    .vgpr_spill_count: 0
    .wavefront_size: 64
  - .agpr_count:     0
    .args:
      - .offset:         0
        .size:           120
        .value_kind:     by_value
    .group_segment_fixed_size: 0
    .kernarg_segment_align: 8
    .kernarg_segment_size: 120
    .language:       OpenCL C
    .language_version:
      - 2
      - 0
    .max_flat_workgroup_size: 128
    .name:           _ZN7rocprim17ROCPRIM_400000_NS6detail17trampoline_kernelINS0_14default_configENS1_25partition_config_selectorILNS1_17partition_subalgoE9EllbEEZZNS1_14partition_implILS5_9ELb0ES3_jPlS8_PNS0_10empty_typeENS0_5tupleIJS8_S9_EEENSB_IJS8_SA_EEENS0_18inequality_wrapperIZN2at6native12_GLOBAL__N_124unique_dim_cuda_templateIbEESt5tupleIJNSF_6TensorESK_SK_EERKSK_lbbbEUlllE0_EEPmJS9_EEE10hipError_tPvRmT3_T4_T5_T6_T7_T9_mT8_P12ihipStream_tbDpT10_ENKUlT_T0_E_clISt17integral_constantIbLb1EES19_IbLb0EEEEDaS15_S16_EUlS15_E_NS1_11comp_targetILNS1_3genE4ELNS1_11target_archE910ELNS1_3gpuE8ELNS1_3repE0EEENS1_30default_config_static_selectorELNS0_4arch9wavefront6targetE1EEEvT1_
    .private_segment_fixed_size: 0
    .sgpr_count:     6
    .sgpr_spill_count: 0
    .symbol:         _ZN7rocprim17ROCPRIM_400000_NS6detail17trampoline_kernelINS0_14default_configENS1_25partition_config_selectorILNS1_17partition_subalgoE9EllbEEZZNS1_14partition_implILS5_9ELb0ES3_jPlS8_PNS0_10empty_typeENS0_5tupleIJS8_S9_EEENSB_IJS8_SA_EEENS0_18inequality_wrapperIZN2at6native12_GLOBAL__N_124unique_dim_cuda_templateIbEESt5tupleIJNSF_6TensorESK_SK_EERKSK_lbbbEUlllE0_EEPmJS9_EEE10hipError_tPvRmT3_T4_T5_T6_T7_T9_mT8_P12ihipStream_tbDpT10_ENKUlT_T0_E_clISt17integral_constantIbLb1EES19_IbLb0EEEEDaS15_S16_EUlS15_E_NS1_11comp_targetILNS1_3genE4ELNS1_11target_archE910ELNS1_3gpuE8ELNS1_3repE0EEENS1_30default_config_static_selectorELNS0_4arch9wavefront6targetE1EEEvT1_.kd
    .uniform_work_group_size: 1
    .uses_dynamic_stack: false
    .vgpr_count:     0
    .vgpr_spill_count: 0
    .wavefront_size: 64
  - .agpr_count:     0
    .args:
      - .offset:         0
        .size:           120
        .value_kind:     by_value
    .group_segment_fixed_size: 0
    .kernarg_segment_align: 8
    .kernarg_segment_size: 120
    .language:       OpenCL C
    .language_version:
      - 2
      - 0
    .max_flat_workgroup_size: 128
    .name:           _ZN7rocprim17ROCPRIM_400000_NS6detail17trampoline_kernelINS0_14default_configENS1_25partition_config_selectorILNS1_17partition_subalgoE9EllbEEZZNS1_14partition_implILS5_9ELb0ES3_jPlS8_PNS0_10empty_typeENS0_5tupleIJS8_S9_EEENSB_IJS8_SA_EEENS0_18inequality_wrapperIZN2at6native12_GLOBAL__N_124unique_dim_cuda_templateIbEESt5tupleIJNSF_6TensorESK_SK_EERKSK_lbbbEUlllE0_EEPmJS9_EEE10hipError_tPvRmT3_T4_T5_T6_T7_T9_mT8_P12ihipStream_tbDpT10_ENKUlT_T0_E_clISt17integral_constantIbLb1EES19_IbLb0EEEEDaS15_S16_EUlS15_E_NS1_11comp_targetILNS1_3genE3ELNS1_11target_archE908ELNS1_3gpuE7ELNS1_3repE0EEENS1_30default_config_static_selectorELNS0_4arch9wavefront6targetE1EEEvT1_
    .private_segment_fixed_size: 0
    .sgpr_count:     6
    .sgpr_spill_count: 0
    .symbol:         _ZN7rocprim17ROCPRIM_400000_NS6detail17trampoline_kernelINS0_14default_configENS1_25partition_config_selectorILNS1_17partition_subalgoE9EllbEEZZNS1_14partition_implILS5_9ELb0ES3_jPlS8_PNS0_10empty_typeENS0_5tupleIJS8_S9_EEENSB_IJS8_SA_EEENS0_18inequality_wrapperIZN2at6native12_GLOBAL__N_124unique_dim_cuda_templateIbEESt5tupleIJNSF_6TensorESK_SK_EERKSK_lbbbEUlllE0_EEPmJS9_EEE10hipError_tPvRmT3_T4_T5_T6_T7_T9_mT8_P12ihipStream_tbDpT10_ENKUlT_T0_E_clISt17integral_constantIbLb1EES19_IbLb0EEEEDaS15_S16_EUlS15_E_NS1_11comp_targetILNS1_3genE3ELNS1_11target_archE908ELNS1_3gpuE7ELNS1_3repE0EEENS1_30default_config_static_selectorELNS0_4arch9wavefront6targetE1EEEvT1_.kd
    .uniform_work_group_size: 1
    .uses_dynamic_stack: false
    .vgpr_count:     0
    .vgpr_spill_count: 0
    .wavefront_size: 64
  - .agpr_count:     0
    .args:
      - .offset:         0
        .size:           120
        .value_kind:     by_value
    .group_segment_fixed_size: 0
    .kernarg_segment_align: 8
    .kernarg_segment_size: 120
    .language:       OpenCL C
    .language_version:
      - 2
      - 0
    .max_flat_workgroup_size: 192
    .name:           _ZN7rocprim17ROCPRIM_400000_NS6detail17trampoline_kernelINS0_14default_configENS1_25partition_config_selectorILNS1_17partition_subalgoE9EllbEEZZNS1_14partition_implILS5_9ELb0ES3_jPlS8_PNS0_10empty_typeENS0_5tupleIJS8_S9_EEENSB_IJS8_SA_EEENS0_18inequality_wrapperIZN2at6native12_GLOBAL__N_124unique_dim_cuda_templateIbEESt5tupleIJNSF_6TensorESK_SK_EERKSK_lbbbEUlllE0_EEPmJS9_EEE10hipError_tPvRmT3_T4_T5_T6_T7_T9_mT8_P12ihipStream_tbDpT10_ENKUlT_T0_E_clISt17integral_constantIbLb1EES19_IbLb0EEEEDaS15_S16_EUlS15_E_NS1_11comp_targetILNS1_3genE2ELNS1_11target_archE906ELNS1_3gpuE6ELNS1_3repE0EEENS1_30default_config_static_selectorELNS0_4arch9wavefront6targetE1EEEvT1_
    .private_segment_fixed_size: 0
    .sgpr_count:     6
    .sgpr_spill_count: 0
    .symbol:         _ZN7rocprim17ROCPRIM_400000_NS6detail17trampoline_kernelINS0_14default_configENS1_25partition_config_selectorILNS1_17partition_subalgoE9EllbEEZZNS1_14partition_implILS5_9ELb0ES3_jPlS8_PNS0_10empty_typeENS0_5tupleIJS8_S9_EEENSB_IJS8_SA_EEENS0_18inequality_wrapperIZN2at6native12_GLOBAL__N_124unique_dim_cuda_templateIbEESt5tupleIJNSF_6TensorESK_SK_EERKSK_lbbbEUlllE0_EEPmJS9_EEE10hipError_tPvRmT3_T4_T5_T6_T7_T9_mT8_P12ihipStream_tbDpT10_ENKUlT_T0_E_clISt17integral_constantIbLb1EES19_IbLb0EEEEDaS15_S16_EUlS15_E_NS1_11comp_targetILNS1_3genE2ELNS1_11target_archE906ELNS1_3gpuE6ELNS1_3repE0EEENS1_30default_config_static_selectorELNS0_4arch9wavefront6targetE1EEEvT1_.kd
    .uniform_work_group_size: 1
    .uses_dynamic_stack: false
    .vgpr_count:     0
    .vgpr_spill_count: 0
    .wavefront_size: 64
  - .agpr_count:     0
    .args:
      - .offset:         0
        .size:           120
        .value_kind:     by_value
    .group_segment_fixed_size: 0
    .kernarg_segment_align: 8
    .kernarg_segment_size: 120
    .language:       OpenCL C
    .language_version:
      - 2
      - 0
    .max_flat_workgroup_size: 384
    .name:           _ZN7rocprim17ROCPRIM_400000_NS6detail17trampoline_kernelINS0_14default_configENS1_25partition_config_selectorILNS1_17partition_subalgoE9EllbEEZZNS1_14partition_implILS5_9ELb0ES3_jPlS8_PNS0_10empty_typeENS0_5tupleIJS8_S9_EEENSB_IJS8_SA_EEENS0_18inequality_wrapperIZN2at6native12_GLOBAL__N_124unique_dim_cuda_templateIbEESt5tupleIJNSF_6TensorESK_SK_EERKSK_lbbbEUlllE0_EEPmJS9_EEE10hipError_tPvRmT3_T4_T5_T6_T7_T9_mT8_P12ihipStream_tbDpT10_ENKUlT_T0_E_clISt17integral_constantIbLb1EES19_IbLb0EEEEDaS15_S16_EUlS15_E_NS1_11comp_targetILNS1_3genE10ELNS1_11target_archE1200ELNS1_3gpuE4ELNS1_3repE0EEENS1_30default_config_static_selectorELNS0_4arch9wavefront6targetE1EEEvT1_
    .private_segment_fixed_size: 0
    .sgpr_count:     6
    .sgpr_spill_count: 0
    .symbol:         _ZN7rocprim17ROCPRIM_400000_NS6detail17trampoline_kernelINS0_14default_configENS1_25partition_config_selectorILNS1_17partition_subalgoE9EllbEEZZNS1_14partition_implILS5_9ELb0ES3_jPlS8_PNS0_10empty_typeENS0_5tupleIJS8_S9_EEENSB_IJS8_SA_EEENS0_18inequality_wrapperIZN2at6native12_GLOBAL__N_124unique_dim_cuda_templateIbEESt5tupleIJNSF_6TensorESK_SK_EERKSK_lbbbEUlllE0_EEPmJS9_EEE10hipError_tPvRmT3_T4_T5_T6_T7_T9_mT8_P12ihipStream_tbDpT10_ENKUlT_T0_E_clISt17integral_constantIbLb1EES19_IbLb0EEEEDaS15_S16_EUlS15_E_NS1_11comp_targetILNS1_3genE10ELNS1_11target_archE1200ELNS1_3gpuE4ELNS1_3repE0EEENS1_30default_config_static_selectorELNS0_4arch9wavefront6targetE1EEEvT1_.kd
    .uniform_work_group_size: 1
    .uses_dynamic_stack: false
    .vgpr_count:     0
    .vgpr_spill_count: 0
    .wavefront_size: 64
  - .agpr_count:     0
    .args:
      - .offset:         0
        .size:           120
        .value_kind:     by_value
    .group_segment_fixed_size: 0
    .kernarg_segment_align: 8
    .kernarg_segment_size: 120
    .language:       OpenCL C
    .language_version:
      - 2
      - 0
    .max_flat_workgroup_size: 512
    .name:           _ZN7rocprim17ROCPRIM_400000_NS6detail17trampoline_kernelINS0_14default_configENS1_25partition_config_selectorILNS1_17partition_subalgoE9EllbEEZZNS1_14partition_implILS5_9ELb0ES3_jPlS8_PNS0_10empty_typeENS0_5tupleIJS8_S9_EEENSB_IJS8_SA_EEENS0_18inequality_wrapperIZN2at6native12_GLOBAL__N_124unique_dim_cuda_templateIbEESt5tupleIJNSF_6TensorESK_SK_EERKSK_lbbbEUlllE0_EEPmJS9_EEE10hipError_tPvRmT3_T4_T5_T6_T7_T9_mT8_P12ihipStream_tbDpT10_ENKUlT_T0_E_clISt17integral_constantIbLb1EES19_IbLb0EEEEDaS15_S16_EUlS15_E_NS1_11comp_targetILNS1_3genE9ELNS1_11target_archE1100ELNS1_3gpuE3ELNS1_3repE0EEENS1_30default_config_static_selectorELNS0_4arch9wavefront6targetE1EEEvT1_
    .private_segment_fixed_size: 0
    .sgpr_count:     6
    .sgpr_spill_count: 0
    .symbol:         _ZN7rocprim17ROCPRIM_400000_NS6detail17trampoline_kernelINS0_14default_configENS1_25partition_config_selectorILNS1_17partition_subalgoE9EllbEEZZNS1_14partition_implILS5_9ELb0ES3_jPlS8_PNS0_10empty_typeENS0_5tupleIJS8_S9_EEENSB_IJS8_SA_EEENS0_18inequality_wrapperIZN2at6native12_GLOBAL__N_124unique_dim_cuda_templateIbEESt5tupleIJNSF_6TensorESK_SK_EERKSK_lbbbEUlllE0_EEPmJS9_EEE10hipError_tPvRmT3_T4_T5_T6_T7_T9_mT8_P12ihipStream_tbDpT10_ENKUlT_T0_E_clISt17integral_constantIbLb1EES19_IbLb0EEEEDaS15_S16_EUlS15_E_NS1_11comp_targetILNS1_3genE9ELNS1_11target_archE1100ELNS1_3gpuE3ELNS1_3repE0EEENS1_30default_config_static_selectorELNS0_4arch9wavefront6targetE1EEEvT1_.kd
    .uniform_work_group_size: 1
    .uses_dynamic_stack: false
    .vgpr_count:     0
    .vgpr_spill_count: 0
    .wavefront_size: 64
  - .agpr_count:     0
    .args:
      - .offset:         0
        .size:           120
        .value_kind:     by_value
    .group_segment_fixed_size: 0
    .kernarg_segment_align: 8
    .kernarg_segment_size: 120
    .language:       OpenCL C
    .language_version:
      - 2
      - 0
    .max_flat_workgroup_size: 512
    .name:           _ZN7rocprim17ROCPRIM_400000_NS6detail17trampoline_kernelINS0_14default_configENS1_25partition_config_selectorILNS1_17partition_subalgoE9EllbEEZZNS1_14partition_implILS5_9ELb0ES3_jPlS8_PNS0_10empty_typeENS0_5tupleIJS8_S9_EEENSB_IJS8_SA_EEENS0_18inequality_wrapperIZN2at6native12_GLOBAL__N_124unique_dim_cuda_templateIbEESt5tupleIJNSF_6TensorESK_SK_EERKSK_lbbbEUlllE0_EEPmJS9_EEE10hipError_tPvRmT3_T4_T5_T6_T7_T9_mT8_P12ihipStream_tbDpT10_ENKUlT_T0_E_clISt17integral_constantIbLb1EES19_IbLb0EEEEDaS15_S16_EUlS15_E_NS1_11comp_targetILNS1_3genE8ELNS1_11target_archE1030ELNS1_3gpuE2ELNS1_3repE0EEENS1_30default_config_static_selectorELNS0_4arch9wavefront6targetE1EEEvT1_
    .private_segment_fixed_size: 0
    .sgpr_count:     6
    .sgpr_spill_count: 0
    .symbol:         _ZN7rocprim17ROCPRIM_400000_NS6detail17trampoline_kernelINS0_14default_configENS1_25partition_config_selectorILNS1_17partition_subalgoE9EllbEEZZNS1_14partition_implILS5_9ELb0ES3_jPlS8_PNS0_10empty_typeENS0_5tupleIJS8_S9_EEENSB_IJS8_SA_EEENS0_18inequality_wrapperIZN2at6native12_GLOBAL__N_124unique_dim_cuda_templateIbEESt5tupleIJNSF_6TensorESK_SK_EERKSK_lbbbEUlllE0_EEPmJS9_EEE10hipError_tPvRmT3_T4_T5_T6_T7_T9_mT8_P12ihipStream_tbDpT10_ENKUlT_T0_E_clISt17integral_constantIbLb1EES19_IbLb0EEEEDaS15_S16_EUlS15_E_NS1_11comp_targetILNS1_3genE8ELNS1_11target_archE1030ELNS1_3gpuE2ELNS1_3repE0EEENS1_30default_config_static_selectorELNS0_4arch9wavefront6targetE1EEEvT1_.kd
    .uniform_work_group_size: 1
    .uses_dynamic_stack: false
    .vgpr_count:     0
    .vgpr_spill_count: 0
    .wavefront_size: 64
  - .agpr_count:     0
    .args:
      - .offset:         0
        .size:           136
        .value_kind:     by_value
    .group_segment_fixed_size: 0
    .kernarg_segment_align: 8
    .kernarg_segment_size: 136
    .language:       OpenCL C
    .language_version:
      - 2
      - 0
    .max_flat_workgroup_size: 128
    .name:           _ZN7rocprim17ROCPRIM_400000_NS6detail17trampoline_kernelINS0_14default_configENS1_25partition_config_selectorILNS1_17partition_subalgoE9EllbEEZZNS1_14partition_implILS5_9ELb0ES3_jPlS8_PNS0_10empty_typeENS0_5tupleIJS8_S9_EEENSB_IJS8_SA_EEENS0_18inequality_wrapperIZN2at6native12_GLOBAL__N_124unique_dim_cuda_templateIbEESt5tupleIJNSF_6TensorESK_SK_EERKSK_lbbbEUlllE0_EEPmJS9_EEE10hipError_tPvRmT3_T4_T5_T6_T7_T9_mT8_P12ihipStream_tbDpT10_ENKUlT_T0_E_clISt17integral_constantIbLb0EES19_IbLb1EEEEDaS15_S16_EUlS15_E_NS1_11comp_targetILNS1_3genE0ELNS1_11target_archE4294967295ELNS1_3gpuE0ELNS1_3repE0EEENS1_30default_config_static_selectorELNS0_4arch9wavefront6targetE1EEEvT1_
    .private_segment_fixed_size: 0
    .sgpr_count:     6
    .sgpr_spill_count: 0
    .symbol:         _ZN7rocprim17ROCPRIM_400000_NS6detail17trampoline_kernelINS0_14default_configENS1_25partition_config_selectorILNS1_17partition_subalgoE9EllbEEZZNS1_14partition_implILS5_9ELb0ES3_jPlS8_PNS0_10empty_typeENS0_5tupleIJS8_S9_EEENSB_IJS8_SA_EEENS0_18inequality_wrapperIZN2at6native12_GLOBAL__N_124unique_dim_cuda_templateIbEESt5tupleIJNSF_6TensorESK_SK_EERKSK_lbbbEUlllE0_EEPmJS9_EEE10hipError_tPvRmT3_T4_T5_T6_T7_T9_mT8_P12ihipStream_tbDpT10_ENKUlT_T0_E_clISt17integral_constantIbLb0EES19_IbLb1EEEEDaS15_S16_EUlS15_E_NS1_11comp_targetILNS1_3genE0ELNS1_11target_archE4294967295ELNS1_3gpuE0ELNS1_3repE0EEENS1_30default_config_static_selectorELNS0_4arch9wavefront6targetE1EEEvT1_.kd
    .uniform_work_group_size: 1
    .uses_dynamic_stack: false
    .vgpr_count:     0
    .vgpr_spill_count: 0
    .wavefront_size: 64
  - .agpr_count:     0
    .args:
      - .offset:         0
        .size:           136
        .value_kind:     by_value
    .group_segment_fixed_size: 28684
    .kernarg_segment_align: 8
    .kernarg_segment_size: 136
    .language:       OpenCL C
    .language_version:
      - 2
      - 0
    .max_flat_workgroup_size: 512
    .name:           _ZN7rocprim17ROCPRIM_400000_NS6detail17trampoline_kernelINS0_14default_configENS1_25partition_config_selectorILNS1_17partition_subalgoE9EllbEEZZNS1_14partition_implILS5_9ELb0ES3_jPlS8_PNS0_10empty_typeENS0_5tupleIJS8_S9_EEENSB_IJS8_SA_EEENS0_18inequality_wrapperIZN2at6native12_GLOBAL__N_124unique_dim_cuda_templateIbEESt5tupleIJNSF_6TensorESK_SK_EERKSK_lbbbEUlllE0_EEPmJS9_EEE10hipError_tPvRmT3_T4_T5_T6_T7_T9_mT8_P12ihipStream_tbDpT10_ENKUlT_T0_E_clISt17integral_constantIbLb0EES19_IbLb1EEEEDaS15_S16_EUlS15_E_NS1_11comp_targetILNS1_3genE5ELNS1_11target_archE942ELNS1_3gpuE9ELNS1_3repE0EEENS1_30default_config_static_selectorELNS0_4arch9wavefront6targetE1EEEvT1_
    .private_segment_fixed_size: 0
    .sgpr_count:     64
    .sgpr_spill_count: 0
    .symbol:         _ZN7rocprim17ROCPRIM_400000_NS6detail17trampoline_kernelINS0_14default_configENS1_25partition_config_selectorILNS1_17partition_subalgoE9EllbEEZZNS1_14partition_implILS5_9ELb0ES3_jPlS8_PNS0_10empty_typeENS0_5tupleIJS8_S9_EEENSB_IJS8_SA_EEENS0_18inequality_wrapperIZN2at6native12_GLOBAL__N_124unique_dim_cuda_templateIbEESt5tupleIJNSF_6TensorESK_SK_EERKSK_lbbbEUlllE0_EEPmJS9_EEE10hipError_tPvRmT3_T4_T5_T6_T7_T9_mT8_P12ihipStream_tbDpT10_ENKUlT_T0_E_clISt17integral_constantIbLb0EES19_IbLb1EEEEDaS15_S16_EUlS15_E_NS1_11comp_targetILNS1_3genE5ELNS1_11target_archE942ELNS1_3gpuE9ELNS1_3repE0EEENS1_30default_config_static_selectorELNS0_4arch9wavefront6targetE1EEEvT1_.kd
    .uniform_work_group_size: 1
    .uses_dynamic_stack: false
    .vgpr_count:     66
    .vgpr_spill_count: 0
    .wavefront_size: 64
  - .agpr_count:     0
    .args:
      - .offset:         0
        .size:           136
        .value_kind:     by_value
    .group_segment_fixed_size: 0
    .kernarg_segment_align: 8
    .kernarg_segment_size: 136
    .language:       OpenCL C
    .language_version:
      - 2
      - 0
    .max_flat_workgroup_size: 128
    .name:           _ZN7rocprim17ROCPRIM_400000_NS6detail17trampoline_kernelINS0_14default_configENS1_25partition_config_selectorILNS1_17partition_subalgoE9EllbEEZZNS1_14partition_implILS5_9ELb0ES3_jPlS8_PNS0_10empty_typeENS0_5tupleIJS8_S9_EEENSB_IJS8_SA_EEENS0_18inequality_wrapperIZN2at6native12_GLOBAL__N_124unique_dim_cuda_templateIbEESt5tupleIJNSF_6TensorESK_SK_EERKSK_lbbbEUlllE0_EEPmJS9_EEE10hipError_tPvRmT3_T4_T5_T6_T7_T9_mT8_P12ihipStream_tbDpT10_ENKUlT_T0_E_clISt17integral_constantIbLb0EES19_IbLb1EEEEDaS15_S16_EUlS15_E_NS1_11comp_targetILNS1_3genE4ELNS1_11target_archE910ELNS1_3gpuE8ELNS1_3repE0EEENS1_30default_config_static_selectorELNS0_4arch9wavefront6targetE1EEEvT1_
    .private_segment_fixed_size: 0
    .sgpr_count:     6
    .sgpr_spill_count: 0
    .symbol:         _ZN7rocprim17ROCPRIM_400000_NS6detail17trampoline_kernelINS0_14default_configENS1_25partition_config_selectorILNS1_17partition_subalgoE9EllbEEZZNS1_14partition_implILS5_9ELb0ES3_jPlS8_PNS0_10empty_typeENS0_5tupleIJS8_S9_EEENSB_IJS8_SA_EEENS0_18inequality_wrapperIZN2at6native12_GLOBAL__N_124unique_dim_cuda_templateIbEESt5tupleIJNSF_6TensorESK_SK_EERKSK_lbbbEUlllE0_EEPmJS9_EEE10hipError_tPvRmT3_T4_T5_T6_T7_T9_mT8_P12ihipStream_tbDpT10_ENKUlT_T0_E_clISt17integral_constantIbLb0EES19_IbLb1EEEEDaS15_S16_EUlS15_E_NS1_11comp_targetILNS1_3genE4ELNS1_11target_archE910ELNS1_3gpuE8ELNS1_3repE0EEENS1_30default_config_static_selectorELNS0_4arch9wavefront6targetE1EEEvT1_.kd
    .uniform_work_group_size: 1
    .uses_dynamic_stack: false
    .vgpr_count:     0
    .vgpr_spill_count: 0
    .wavefront_size: 64
  - .agpr_count:     0
    .args:
      - .offset:         0
        .size:           136
        .value_kind:     by_value
    .group_segment_fixed_size: 0
    .kernarg_segment_align: 8
    .kernarg_segment_size: 136
    .language:       OpenCL C
    .language_version:
      - 2
      - 0
    .max_flat_workgroup_size: 128
    .name:           _ZN7rocprim17ROCPRIM_400000_NS6detail17trampoline_kernelINS0_14default_configENS1_25partition_config_selectorILNS1_17partition_subalgoE9EllbEEZZNS1_14partition_implILS5_9ELb0ES3_jPlS8_PNS0_10empty_typeENS0_5tupleIJS8_S9_EEENSB_IJS8_SA_EEENS0_18inequality_wrapperIZN2at6native12_GLOBAL__N_124unique_dim_cuda_templateIbEESt5tupleIJNSF_6TensorESK_SK_EERKSK_lbbbEUlllE0_EEPmJS9_EEE10hipError_tPvRmT3_T4_T5_T6_T7_T9_mT8_P12ihipStream_tbDpT10_ENKUlT_T0_E_clISt17integral_constantIbLb0EES19_IbLb1EEEEDaS15_S16_EUlS15_E_NS1_11comp_targetILNS1_3genE3ELNS1_11target_archE908ELNS1_3gpuE7ELNS1_3repE0EEENS1_30default_config_static_selectorELNS0_4arch9wavefront6targetE1EEEvT1_
    .private_segment_fixed_size: 0
    .sgpr_count:     6
    .sgpr_spill_count: 0
    .symbol:         _ZN7rocprim17ROCPRIM_400000_NS6detail17trampoline_kernelINS0_14default_configENS1_25partition_config_selectorILNS1_17partition_subalgoE9EllbEEZZNS1_14partition_implILS5_9ELb0ES3_jPlS8_PNS0_10empty_typeENS0_5tupleIJS8_S9_EEENSB_IJS8_SA_EEENS0_18inequality_wrapperIZN2at6native12_GLOBAL__N_124unique_dim_cuda_templateIbEESt5tupleIJNSF_6TensorESK_SK_EERKSK_lbbbEUlllE0_EEPmJS9_EEE10hipError_tPvRmT3_T4_T5_T6_T7_T9_mT8_P12ihipStream_tbDpT10_ENKUlT_T0_E_clISt17integral_constantIbLb0EES19_IbLb1EEEEDaS15_S16_EUlS15_E_NS1_11comp_targetILNS1_3genE3ELNS1_11target_archE908ELNS1_3gpuE7ELNS1_3repE0EEENS1_30default_config_static_selectorELNS0_4arch9wavefront6targetE1EEEvT1_.kd
    .uniform_work_group_size: 1
    .uses_dynamic_stack: false
    .vgpr_count:     0
    .vgpr_spill_count: 0
    .wavefront_size: 64
  - .agpr_count:     0
    .args:
      - .offset:         0
        .size:           136
        .value_kind:     by_value
    .group_segment_fixed_size: 0
    .kernarg_segment_align: 8
    .kernarg_segment_size: 136
    .language:       OpenCL C
    .language_version:
      - 2
      - 0
    .max_flat_workgroup_size: 192
    .name:           _ZN7rocprim17ROCPRIM_400000_NS6detail17trampoline_kernelINS0_14default_configENS1_25partition_config_selectorILNS1_17partition_subalgoE9EllbEEZZNS1_14partition_implILS5_9ELb0ES3_jPlS8_PNS0_10empty_typeENS0_5tupleIJS8_S9_EEENSB_IJS8_SA_EEENS0_18inequality_wrapperIZN2at6native12_GLOBAL__N_124unique_dim_cuda_templateIbEESt5tupleIJNSF_6TensorESK_SK_EERKSK_lbbbEUlllE0_EEPmJS9_EEE10hipError_tPvRmT3_T4_T5_T6_T7_T9_mT8_P12ihipStream_tbDpT10_ENKUlT_T0_E_clISt17integral_constantIbLb0EES19_IbLb1EEEEDaS15_S16_EUlS15_E_NS1_11comp_targetILNS1_3genE2ELNS1_11target_archE906ELNS1_3gpuE6ELNS1_3repE0EEENS1_30default_config_static_selectorELNS0_4arch9wavefront6targetE1EEEvT1_
    .private_segment_fixed_size: 0
    .sgpr_count:     6
    .sgpr_spill_count: 0
    .symbol:         _ZN7rocprim17ROCPRIM_400000_NS6detail17trampoline_kernelINS0_14default_configENS1_25partition_config_selectorILNS1_17partition_subalgoE9EllbEEZZNS1_14partition_implILS5_9ELb0ES3_jPlS8_PNS0_10empty_typeENS0_5tupleIJS8_S9_EEENSB_IJS8_SA_EEENS0_18inequality_wrapperIZN2at6native12_GLOBAL__N_124unique_dim_cuda_templateIbEESt5tupleIJNSF_6TensorESK_SK_EERKSK_lbbbEUlllE0_EEPmJS9_EEE10hipError_tPvRmT3_T4_T5_T6_T7_T9_mT8_P12ihipStream_tbDpT10_ENKUlT_T0_E_clISt17integral_constantIbLb0EES19_IbLb1EEEEDaS15_S16_EUlS15_E_NS1_11comp_targetILNS1_3genE2ELNS1_11target_archE906ELNS1_3gpuE6ELNS1_3repE0EEENS1_30default_config_static_selectorELNS0_4arch9wavefront6targetE1EEEvT1_.kd
    .uniform_work_group_size: 1
    .uses_dynamic_stack: false
    .vgpr_count:     0
    .vgpr_spill_count: 0
    .wavefront_size: 64
  - .agpr_count:     0
    .args:
      - .offset:         0
        .size:           136
        .value_kind:     by_value
    .group_segment_fixed_size: 0
    .kernarg_segment_align: 8
    .kernarg_segment_size: 136
    .language:       OpenCL C
    .language_version:
      - 2
      - 0
    .max_flat_workgroup_size: 384
    .name:           _ZN7rocprim17ROCPRIM_400000_NS6detail17trampoline_kernelINS0_14default_configENS1_25partition_config_selectorILNS1_17partition_subalgoE9EllbEEZZNS1_14partition_implILS5_9ELb0ES3_jPlS8_PNS0_10empty_typeENS0_5tupleIJS8_S9_EEENSB_IJS8_SA_EEENS0_18inequality_wrapperIZN2at6native12_GLOBAL__N_124unique_dim_cuda_templateIbEESt5tupleIJNSF_6TensorESK_SK_EERKSK_lbbbEUlllE0_EEPmJS9_EEE10hipError_tPvRmT3_T4_T5_T6_T7_T9_mT8_P12ihipStream_tbDpT10_ENKUlT_T0_E_clISt17integral_constantIbLb0EES19_IbLb1EEEEDaS15_S16_EUlS15_E_NS1_11comp_targetILNS1_3genE10ELNS1_11target_archE1200ELNS1_3gpuE4ELNS1_3repE0EEENS1_30default_config_static_selectorELNS0_4arch9wavefront6targetE1EEEvT1_
    .private_segment_fixed_size: 0
    .sgpr_count:     6
    .sgpr_spill_count: 0
    .symbol:         _ZN7rocprim17ROCPRIM_400000_NS6detail17trampoline_kernelINS0_14default_configENS1_25partition_config_selectorILNS1_17partition_subalgoE9EllbEEZZNS1_14partition_implILS5_9ELb0ES3_jPlS8_PNS0_10empty_typeENS0_5tupleIJS8_S9_EEENSB_IJS8_SA_EEENS0_18inequality_wrapperIZN2at6native12_GLOBAL__N_124unique_dim_cuda_templateIbEESt5tupleIJNSF_6TensorESK_SK_EERKSK_lbbbEUlllE0_EEPmJS9_EEE10hipError_tPvRmT3_T4_T5_T6_T7_T9_mT8_P12ihipStream_tbDpT10_ENKUlT_T0_E_clISt17integral_constantIbLb0EES19_IbLb1EEEEDaS15_S16_EUlS15_E_NS1_11comp_targetILNS1_3genE10ELNS1_11target_archE1200ELNS1_3gpuE4ELNS1_3repE0EEENS1_30default_config_static_selectorELNS0_4arch9wavefront6targetE1EEEvT1_.kd
    .uniform_work_group_size: 1
    .uses_dynamic_stack: false
    .vgpr_count:     0
    .vgpr_spill_count: 0
    .wavefront_size: 64
  - .agpr_count:     0
    .args:
      - .offset:         0
        .size:           136
        .value_kind:     by_value
    .group_segment_fixed_size: 0
    .kernarg_segment_align: 8
    .kernarg_segment_size: 136
    .language:       OpenCL C
    .language_version:
      - 2
      - 0
    .max_flat_workgroup_size: 512
    .name:           _ZN7rocprim17ROCPRIM_400000_NS6detail17trampoline_kernelINS0_14default_configENS1_25partition_config_selectorILNS1_17partition_subalgoE9EllbEEZZNS1_14partition_implILS5_9ELb0ES3_jPlS8_PNS0_10empty_typeENS0_5tupleIJS8_S9_EEENSB_IJS8_SA_EEENS0_18inequality_wrapperIZN2at6native12_GLOBAL__N_124unique_dim_cuda_templateIbEESt5tupleIJNSF_6TensorESK_SK_EERKSK_lbbbEUlllE0_EEPmJS9_EEE10hipError_tPvRmT3_T4_T5_T6_T7_T9_mT8_P12ihipStream_tbDpT10_ENKUlT_T0_E_clISt17integral_constantIbLb0EES19_IbLb1EEEEDaS15_S16_EUlS15_E_NS1_11comp_targetILNS1_3genE9ELNS1_11target_archE1100ELNS1_3gpuE3ELNS1_3repE0EEENS1_30default_config_static_selectorELNS0_4arch9wavefront6targetE1EEEvT1_
    .private_segment_fixed_size: 0
    .sgpr_count:     6
    .sgpr_spill_count: 0
    .symbol:         _ZN7rocprim17ROCPRIM_400000_NS6detail17trampoline_kernelINS0_14default_configENS1_25partition_config_selectorILNS1_17partition_subalgoE9EllbEEZZNS1_14partition_implILS5_9ELb0ES3_jPlS8_PNS0_10empty_typeENS0_5tupleIJS8_S9_EEENSB_IJS8_SA_EEENS0_18inequality_wrapperIZN2at6native12_GLOBAL__N_124unique_dim_cuda_templateIbEESt5tupleIJNSF_6TensorESK_SK_EERKSK_lbbbEUlllE0_EEPmJS9_EEE10hipError_tPvRmT3_T4_T5_T6_T7_T9_mT8_P12ihipStream_tbDpT10_ENKUlT_T0_E_clISt17integral_constantIbLb0EES19_IbLb1EEEEDaS15_S16_EUlS15_E_NS1_11comp_targetILNS1_3genE9ELNS1_11target_archE1100ELNS1_3gpuE3ELNS1_3repE0EEENS1_30default_config_static_selectorELNS0_4arch9wavefront6targetE1EEEvT1_.kd
    .uniform_work_group_size: 1
    .uses_dynamic_stack: false
    .vgpr_count:     0
    .vgpr_spill_count: 0
    .wavefront_size: 64
  - .agpr_count:     0
    .args:
      - .offset:         0
        .size:           136
        .value_kind:     by_value
    .group_segment_fixed_size: 0
    .kernarg_segment_align: 8
    .kernarg_segment_size: 136
    .language:       OpenCL C
    .language_version:
      - 2
      - 0
    .max_flat_workgroup_size: 512
    .name:           _ZN7rocprim17ROCPRIM_400000_NS6detail17trampoline_kernelINS0_14default_configENS1_25partition_config_selectorILNS1_17partition_subalgoE9EllbEEZZNS1_14partition_implILS5_9ELb0ES3_jPlS8_PNS0_10empty_typeENS0_5tupleIJS8_S9_EEENSB_IJS8_SA_EEENS0_18inequality_wrapperIZN2at6native12_GLOBAL__N_124unique_dim_cuda_templateIbEESt5tupleIJNSF_6TensorESK_SK_EERKSK_lbbbEUlllE0_EEPmJS9_EEE10hipError_tPvRmT3_T4_T5_T6_T7_T9_mT8_P12ihipStream_tbDpT10_ENKUlT_T0_E_clISt17integral_constantIbLb0EES19_IbLb1EEEEDaS15_S16_EUlS15_E_NS1_11comp_targetILNS1_3genE8ELNS1_11target_archE1030ELNS1_3gpuE2ELNS1_3repE0EEENS1_30default_config_static_selectorELNS0_4arch9wavefront6targetE1EEEvT1_
    .private_segment_fixed_size: 0
    .sgpr_count:     6
    .sgpr_spill_count: 0
    .symbol:         _ZN7rocprim17ROCPRIM_400000_NS6detail17trampoline_kernelINS0_14default_configENS1_25partition_config_selectorILNS1_17partition_subalgoE9EllbEEZZNS1_14partition_implILS5_9ELb0ES3_jPlS8_PNS0_10empty_typeENS0_5tupleIJS8_S9_EEENSB_IJS8_SA_EEENS0_18inequality_wrapperIZN2at6native12_GLOBAL__N_124unique_dim_cuda_templateIbEESt5tupleIJNSF_6TensorESK_SK_EERKSK_lbbbEUlllE0_EEPmJS9_EEE10hipError_tPvRmT3_T4_T5_T6_T7_T9_mT8_P12ihipStream_tbDpT10_ENKUlT_T0_E_clISt17integral_constantIbLb0EES19_IbLb1EEEEDaS15_S16_EUlS15_E_NS1_11comp_targetILNS1_3genE8ELNS1_11target_archE1030ELNS1_3gpuE2ELNS1_3repE0EEENS1_30default_config_static_selectorELNS0_4arch9wavefront6targetE1EEEvT1_.kd
    .uniform_work_group_size: 1
    .uses_dynamic_stack: false
    .vgpr_count:     0
    .vgpr_spill_count: 0
    .wavefront_size: 64
  - .agpr_count:     0
    .args:
      - .offset:         0
        .size:           72
        .value_kind:     by_value
    .group_segment_fixed_size: 0
    .kernarg_segment_align: 8
    .kernarg_segment_size: 72
    .language:       OpenCL C
    .language_version:
      - 2
      - 0
    .max_flat_workgroup_size: 256
    .name:           _ZN7rocprim17ROCPRIM_400000_NS6detail17trampoline_kernelINS0_14default_configENS1_37merge_sort_block_sort_config_selectorIlNS0_10empty_typeEEEZNS1_21merge_sort_block_sortIS3_PlS8_PS5_S9_ZN2at6native12_GLOBAL__N_124unique_dim_cuda_templateIN3c108BFloat16EEESt5tupleIJNSA_6TensorESH_SH_EERKSH_lbbbEUlllE_EE10hipError_tT0_T1_T2_T3_mRjT4_P12ihipStream_tbNS1_7vsmem_tEEUlT_E_NS1_11comp_targetILNS1_3genE0ELNS1_11target_archE4294967295ELNS1_3gpuE0ELNS1_3repE0EEENS1_30default_config_static_selectorELNS0_4arch9wavefront6targetE1EEEvSO_
    .private_segment_fixed_size: 0
    .sgpr_count:     6
    .sgpr_spill_count: 0
    .symbol:         _ZN7rocprim17ROCPRIM_400000_NS6detail17trampoline_kernelINS0_14default_configENS1_37merge_sort_block_sort_config_selectorIlNS0_10empty_typeEEEZNS1_21merge_sort_block_sortIS3_PlS8_PS5_S9_ZN2at6native12_GLOBAL__N_124unique_dim_cuda_templateIN3c108BFloat16EEESt5tupleIJNSA_6TensorESH_SH_EERKSH_lbbbEUlllE_EE10hipError_tT0_T1_T2_T3_mRjT4_P12ihipStream_tbNS1_7vsmem_tEEUlT_E_NS1_11comp_targetILNS1_3genE0ELNS1_11target_archE4294967295ELNS1_3gpuE0ELNS1_3repE0EEENS1_30default_config_static_selectorELNS0_4arch9wavefront6targetE1EEEvSO_.kd
    .uniform_work_group_size: 1
    .uses_dynamic_stack: false
    .vgpr_count:     0
    .vgpr_spill_count: 0
    .wavefront_size: 64
  - .agpr_count:     0
    .args:
      - .offset:         0
        .size:           72
        .value_kind:     by_value
      - .offset:         72
        .size:           4
        .value_kind:     hidden_block_count_x
      - .offset:         76
        .size:           4
        .value_kind:     hidden_block_count_y
      - .offset:         80
        .size:           4
        .value_kind:     hidden_block_count_z
      - .offset:         84
        .size:           2
        .value_kind:     hidden_group_size_x
      - .offset:         86
        .size:           2
        .value_kind:     hidden_group_size_y
      - .offset:         88
        .size:           2
        .value_kind:     hidden_group_size_z
      - .offset:         90
        .size:           2
        .value_kind:     hidden_remainder_x
      - .offset:         92
        .size:           2
        .value_kind:     hidden_remainder_y
      - .offset:         94
        .size:           2
        .value_kind:     hidden_remainder_z
      - .offset:         112
        .size:           8
        .value_kind:     hidden_global_offset_x
      - .offset:         120
        .size:           8
        .value_kind:     hidden_global_offset_y
      - .offset:         128
        .size:           8
        .value_kind:     hidden_global_offset_z
      - .offset:         136
        .size:           2
        .value_kind:     hidden_grid_dims
      - .offset:         152
        .size:           8
        .value_kind:     hidden_hostcall_buffer
      - .offset:         160
        .size:           8
        .value_kind:     hidden_multigrid_sync_arg
      - .offset:         168
        .size:           8
        .value_kind:     hidden_heap_v1
      - .offset:         176
        .size:           8
        .value_kind:     hidden_default_queue
      - .offset:         184
        .size:           8
        .value_kind:     hidden_completion_action
      - .offset:         272
        .size:           8
        .value_kind:     hidden_queue_ptr
    .group_segment_fixed_size: 16896
    .kernarg_segment_align: 8
    .kernarg_segment_size: 328
    .language:       OpenCL C
    .language_version:
      - 2
      - 0
    .max_flat_workgroup_size: 256
    .name:           _ZN7rocprim17ROCPRIM_400000_NS6detail17trampoline_kernelINS0_14default_configENS1_37merge_sort_block_sort_config_selectorIlNS0_10empty_typeEEEZNS1_21merge_sort_block_sortIS3_PlS8_PS5_S9_ZN2at6native12_GLOBAL__N_124unique_dim_cuda_templateIN3c108BFloat16EEESt5tupleIJNSA_6TensorESH_SH_EERKSH_lbbbEUlllE_EE10hipError_tT0_T1_T2_T3_mRjT4_P12ihipStream_tbNS1_7vsmem_tEEUlT_E_NS1_11comp_targetILNS1_3genE5ELNS1_11target_archE942ELNS1_3gpuE9ELNS1_3repE0EEENS1_30default_config_static_selectorELNS0_4arch9wavefront6targetE1EEEvSO_
    .private_segment_fixed_size: 8
    .sgpr_count:     75
    .sgpr_spill_count: 0
    .symbol:         _ZN7rocprim17ROCPRIM_400000_NS6detail17trampoline_kernelINS0_14default_configENS1_37merge_sort_block_sort_config_selectorIlNS0_10empty_typeEEEZNS1_21merge_sort_block_sortIS3_PlS8_PS5_S9_ZN2at6native12_GLOBAL__N_124unique_dim_cuda_templateIN3c108BFloat16EEESt5tupleIJNSA_6TensorESH_SH_EERKSH_lbbbEUlllE_EE10hipError_tT0_T1_T2_T3_mRjT4_P12ihipStream_tbNS1_7vsmem_tEEUlT_E_NS1_11comp_targetILNS1_3genE5ELNS1_11target_archE942ELNS1_3gpuE9ELNS1_3repE0EEENS1_30default_config_static_selectorELNS0_4arch9wavefront6targetE1EEEvSO_.kd
    .uniform_work_group_size: 1
    .uses_dynamic_stack: false
    .vgpr_count:     129
    .vgpr_spill_count: 0
    .wavefront_size: 64
  - .agpr_count:     0
    .args:
      - .offset:         0
        .size:           72
        .value_kind:     by_value
    .group_segment_fixed_size: 0
    .kernarg_segment_align: 8
    .kernarg_segment_size: 72
    .language:       OpenCL C
    .language_version:
      - 2
      - 0
    .max_flat_workgroup_size: 256
    .name:           _ZN7rocprim17ROCPRIM_400000_NS6detail17trampoline_kernelINS0_14default_configENS1_37merge_sort_block_sort_config_selectorIlNS0_10empty_typeEEEZNS1_21merge_sort_block_sortIS3_PlS8_PS5_S9_ZN2at6native12_GLOBAL__N_124unique_dim_cuda_templateIN3c108BFloat16EEESt5tupleIJNSA_6TensorESH_SH_EERKSH_lbbbEUlllE_EE10hipError_tT0_T1_T2_T3_mRjT4_P12ihipStream_tbNS1_7vsmem_tEEUlT_E_NS1_11comp_targetILNS1_3genE4ELNS1_11target_archE910ELNS1_3gpuE8ELNS1_3repE0EEENS1_30default_config_static_selectorELNS0_4arch9wavefront6targetE1EEEvSO_
    .private_segment_fixed_size: 0
    .sgpr_count:     6
    .sgpr_spill_count: 0
    .symbol:         _ZN7rocprim17ROCPRIM_400000_NS6detail17trampoline_kernelINS0_14default_configENS1_37merge_sort_block_sort_config_selectorIlNS0_10empty_typeEEEZNS1_21merge_sort_block_sortIS3_PlS8_PS5_S9_ZN2at6native12_GLOBAL__N_124unique_dim_cuda_templateIN3c108BFloat16EEESt5tupleIJNSA_6TensorESH_SH_EERKSH_lbbbEUlllE_EE10hipError_tT0_T1_T2_T3_mRjT4_P12ihipStream_tbNS1_7vsmem_tEEUlT_E_NS1_11comp_targetILNS1_3genE4ELNS1_11target_archE910ELNS1_3gpuE8ELNS1_3repE0EEENS1_30default_config_static_selectorELNS0_4arch9wavefront6targetE1EEEvSO_.kd
    .uniform_work_group_size: 1
    .uses_dynamic_stack: false
    .vgpr_count:     0
    .vgpr_spill_count: 0
    .wavefront_size: 64
  - .agpr_count:     0
    .args:
      - .offset:         0
        .size:           72
        .value_kind:     by_value
    .group_segment_fixed_size: 0
    .kernarg_segment_align: 8
    .kernarg_segment_size: 72
    .language:       OpenCL C
    .language_version:
      - 2
      - 0
    .max_flat_workgroup_size: 256
    .name:           _ZN7rocprim17ROCPRIM_400000_NS6detail17trampoline_kernelINS0_14default_configENS1_37merge_sort_block_sort_config_selectorIlNS0_10empty_typeEEEZNS1_21merge_sort_block_sortIS3_PlS8_PS5_S9_ZN2at6native12_GLOBAL__N_124unique_dim_cuda_templateIN3c108BFloat16EEESt5tupleIJNSA_6TensorESH_SH_EERKSH_lbbbEUlllE_EE10hipError_tT0_T1_T2_T3_mRjT4_P12ihipStream_tbNS1_7vsmem_tEEUlT_E_NS1_11comp_targetILNS1_3genE3ELNS1_11target_archE908ELNS1_3gpuE7ELNS1_3repE0EEENS1_30default_config_static_selectorELNS0_4arch9wavefront6targetE1EEEvSO_
    .private_segment_fixed_size: 0
    .sgpr_count:     6
    .sgpr_spill_count: 0
    .symbol:         _ZN7rocprim17ROCPRIM_400000_NS6detail17trampoline_kernelINS0_14default_configENS1_37merge_sort_block_sort_config_selectorIlNS0_10empty_typeEEEZNS1_21merge_sort_block_sortIS3_PlS8_PS5_S9_ZN2at6native12_GLOBAL__N_124unique_dim_cuda_templateIN3c108BFloat16EEESt5tupleIJNSA_6TensorESH_SH_EERKSH_lbbbEUlllE_EE10hipError_tT0_T1_T2_T3_mRjT4_P12ihipStream_tbNS1_7vsmem_tEEUlT_E_NS1_11comp_targetILNS1_3genE3ELNS1_11target_archE908ELNS1_3gpuE7ELNS1_3repE0EEENS1_30default_config_static_selectorELNS0_4arch9wavefront6targetE1EEEvSO_.kd
    .uniform_work_group_size: 1
    .uses_dynamic_stack: false
    .vgpr_count:     0
    .vgpr_spill_count: 0
    .wavefront_size: 64
  - .agpr_count:     0
    .args:
      - .offset:         0
        .size:           72
        .value_kind:     by_value
    .group_segment_fixed_size: 0
    .kernarg_segment_align: 8
    .kernarg_segment_size: 72
    .language:       OpenCL C
    .language_version:
      - 2
      - 0
    .max_flat_workgroup_size: 256
    .name:           _ZN7rocprim17ROCPRIM_400000_NS6detail17trampoline_kernelINS0_14default_configENS1_37merge_sort_block_sort_config_selectorIlNS0_10empty_typeEEEZNS1_21merge_sort_block_sortIS3_PlS8_PS5_S9_ZN2at6native12_GLOBAL__N_124unique_dim_cuda_templateIN3c108BFloat16EEESt5tupleIJNSA_6TensorESH_SH_EERKSH_lbbbEUlllE_EE10hipError_tT0_T1_T2_T3_mRjT4_P12ihipStream_tbNS1_7vsmem_tEEUlT_E_NS1_11comp_targetILNS1_3genE2ELNS1_11target_archE906ELNS1_3gpuE6ELNS1_3repE0EEENS1_30default_config_static_selectorELNS0_4arch9wavefront6targetE1EEEvSO_
    .private_segment_fixed_size: 0
    .sgpr_count:     6
    .sgpr_spill_count: 0
    .symbol:         _ZN7rocprim17ROCPRIM_400000_NS6detail17trampoline_kernelINS0_14default_configENS1_37merge_sort_block_sort_config_selectorIlNS0_10empty_typeEEEZNS1_21merge_sort_block_sortIS3_PlS8_PS5_S9_ZN2at6native12_GLOBAL__N_124unique_dim_cuda_templateIN3c108BFloat16EEESt5tupleIJNSA_6TensorESH_SH_EERKSH_lbbbEUlllE_EE10hipError_tT0_T1_T2_T3_mRjT4_P12ihipStream_tbNS1_7vsmem_tEEUlT_E_NS1_11comp_targetILNS1_3genE2ELNS1_11target_archE906ELNS1_3gpuE6ELNS1_3repE0EEENS1_30default_config_static_selectorELNS0_4arch9wavefront6targetE1EEEvSO_.kd
    .uniform_work_group_size: 1
    .uses_dynamic_stack: false
    .vgpr_count:     0
    .vgpr_spill_count: 0
    .wavefront_size: 64
  - .agpr_count:     0
    .args:
      - .offset:         0
        .size:           72
        .value_kind:     by_value
    .group_segment_fixed_size: 0
    .kernarg_segment_align: 8
    .kernarg_segment_size: 72
    .language:       OpenCL C
    .language_version:
      - 2
      - 0
    .max_flat_workgroup_size: 256
    .name:           _ZN7rocprim17ROCPRIM_400000_NS6detail17trampoline_kernelINS0_14default_configENS1_37merge_sort_block_sort_config_selectorIlNS0_10empty_typeEEEZNS1_21merge_sort_block_sortIS3_PlS8_PS5_S9_ZN2at6native12_GLOBAL__N_124unique_dim_cuda_templateIN3c108BFloat16EEESt5tupleIJNSA_6TensorESH_SH_EERKSH_lbbbEUlllE_EE10hipError_tT0_T1_T2_T3_mRjT4_P12ihipStream_tbNS1_7vsmem_tEEUlT_E_NS1_11comp_targetILNS1_3genE10ELNS1_11target_archE1201ELNS1_3gpuE5ELNS1_3repE0EEENS1_30default_config_static_selectorELNS0_4arch9wavefront6targetE1EEEvSO_
    .private_segment_fixed_size: 0
    .sgpr_count:     6
    .sgpr_spill_count: 0
    .symbol:         _ZN7rocprim17ROCPRIM_400000_NS6detail17trampoline_kernelINS0_14default_configENS1_37merge_sort_block_sort_config_selectorIlNS0_10empty_typeEEEZNS1_21merge_sort_block_sortIS3_PlS8_PS5_S9_ZN2at6native12_GLOBAL__N_124unique_dim_cuda_templateIN3c108BFloat16EEESt5tupleIJNSA_6TensorESH_SH_EERKSH_lbbbEUlllE_EE10hipError_tT0_T1_T2_T3_mRjT4_P12ihipStream_tbNS1_7vsmem_tEEUlT_E_NS1_11comp_targetILNS1_3genE10ELNS1_11target_archE1201ELNS1_3gpuE5ELNS1_3repE0EEENS1_30default_config_static_selectorELNS0_4arch9wavefront6targetE1EEEvSO_.kd
    .uniform_work_group_size: 1
    .uses_dynamic_stack: false
    .vgpr_count:     0
    .vgpr_spill_count: 0
    .wavefront_size: 64
  - .agpr_count:     0
    .args:
      - .offset:         0
        .size:           72
        .value_kind:     by_value
    .group_segment_fixed_size: 0
    .kernarg_segment_align: 8
    .kernarg_segment_size: 72
    .language:       OpenCL C
    .language_version:
      - 2
      - 0
    .max_flat_workgroup_size: 512
    .name:           _ZN7rocprim17ROCPRIM_400000_NS6detail17trampoline_kernelINS0_14default_configENS1_37merge_sort_block_sort_config_selectorIlNS0_10empty_typeEEEZNS1_21merge_sort_block_sortIS3_PlS8_PS5_S9_ZN2at6native12_GLOBAL__N_124unique_dim_cuda_templateIN3c108BFloat16EEESt5tupleIJNSA_6TensorESH_SH_EERKSH_lbbbEUlllE_EE10hipError_tT0_T1_T2_T3_mRjT4_P12ihipStream_tbNS1_7vsmem_tEEUlT_E_NS1_11comp_targetILNS1_3genE10ELNS1_11target_archE1200ELNS1_3gpuE4ELNS1_3repE0EEENS1_30default_config_static_selectorELNS0_4arch9wavefront6targetE1EEEvSO_
    .private_segment_fixed_size: 0
    .sgpr_count:     6
    .sgpr_spill_count: 0
    .symbol:         _ZN7rocprim17ROCPRIM_400000_NS6detail17trampoline_kernelINS0_14default_configENS1_37merge_sort_block_sort_config_selectorIlNS0_10empty_typeEEEZNS1_21merge_sort_block_sortIS3_PlS8_PS5_S9_ZN2at6native12_GLOBAL__N_124unique_dim_cuda_templateIN3c108BFloat16EEESt5tupleIJNSA_6TensorESH_SH_EERKSH_lbbbEUlllE_EE10hipError_tT0_T1_T2_T3_mRjT4_P12ihipStream_tbNS1_7vsmem_tEEUlT_E_NS1_11comp_targetILNS1_3genE10ELNS1_11target_archE1200ELNS1_3gpuE4ELNS1_3repE0EEENS1_30default_config_static_selectorELNS0_4arch9wavefront6targetE1EEEvSO_.kd
    .uniform_work_group_size: 1
    .uses_dynamic_stack: false
    .vgpr_count:     0
    .vgpr_spill_count: 0
    .wavefront_size: 64
  - .agpr_count:     0
    .args:
      - .offset:         0
        .size:           72
        .value_kind:     by_value
    .group_segment_fixed_size: 0
    .kernarg_segment_align: 8
    .kernarg_segment_size: 72
    .language:       OpenCL C
    .language_version:
      - 2
      - 0
    .max_flat_workgroup_size: 256
    .name:           _ZN7rocprim17ROCPRIM_400000_NS6detail17trampoline_kernelINS0_14default_configENS1_37merge_sort_block_sort_config_selectorIlNS0_10empty_typeEEEZNS1_21merge_sort_block_sortIS3_PlS8_PS5_S9_ZN2at6native12_GLOBAL__N_124unique_dim_cuda_templateIN3c108BFloat16EEESt5tupleIJNSA_6TensorESH_SH_EERKSH_lbbbEUlllE_EE10hipError_tT0_T1_T2_T3_mRjT4_P12ihipStream_tbNS1_7vsmem_tEEUlT_E_NS1_11comp_targetILNS1_3genE9ELNS1_11target_archE1100ELNS1_3gpuE3ELNS1_3repE0EEENS1_30default_config_static_selectorELNS0_4arch9wavefront6targetE1EEEvSO_
    .private_segment_fixed_size: 0
    .sgpr_count:     6
    .sgpr_spill_count: 0
    .symbol:         _ZN7rocprim17ROCPRIM_400000_NS6detail17trampoline_kernelINS0_14default_configENS1_37merge_sort_block_sort_config_selectorIlNS0_10empty_typeEEEZNS1_21merge_sort_block_sortIS3_PlS8_PS5_S9_ZN2at6native12_GLOBAL__N_124unique_dim_cuda_templateIN3c108BFloat16EEESt5tupleIJNSA_6TensorESH_SH_EERKSH_lbbbEUlllE_EE10hipError_tT0_T1_T2_T3_mRjT4_P12ihipStream_tbNS1_7vsmem_tEEUlT_E_NS1_11comp_targetILNS1_3genE9ELNS1_11target_archE1100ELNS1_3gpuE3ELNS1_3repE0EEENS1_30default_config_static_selectorELNS0_4arch9wavefront6targetE1EEEvSO_.kd
    .uniform_work_group_size: 1
    .uses_dynamic_stack: false
    .vgpr_count:     0
    .vgpr_spill_count: 0
    .wavefront_size: 64
  - .agpr_count:     0
    .args:
      - .offset:         0
        .size:           72
        .value_kind:     by_value
    .group_segment_fixed_size: 0
    .kernarg_segment_align: 8
    .kernarg_segment_size: 72
    .language:       OpenCL C
    .language_version:
      - 2
      - 0
    .max_flat_workgroup_size: 256
    .name:           _ZN7rocprim17ROCPRIM_400000_NS6detail17trampoline_kernelINS0_14default_configENS1_37merge_sort_block_sort_config_selectorIlNS0_10empty_typeEEEZNS1_21merge_sort_block_sortIS3_PlS8_PS5_S9_ZN2at6native12_GLOBAL__N_124unique_dim_cuda_templateIN3c108BFloat16EEESt5tupleIJNSA_6TensorESH_SH_EERKSH_lbbbEUlllE_EE10hipError_tT0_T1_T2_T3_mRjT4_P12ihipStream_tbNS1_7vsmem_tEEUlT_E_NS1_11comp_targetILNS1_3genE8ELNS1_11target_archE1030ELNS1_3gpuE2ELNS1_3repE0EEENS1_30default_config_static_selectorELNS0_4arch9wavefront6targetE1EEEvSO_
    .private_segment_fixed_size: 0
    .sgpr_count:     6
    .sgpr_spill_count: 0
    .symbol:         _ZN7rocprim17ROCPRIM_400000_NS6detail17trampoline_kernelINS0_14default_configENS1_37merge_sort_block_sort_config_selectorIlNS0_10empty_typeEEEZNS1_21merge_sort_block_sortIS3_PlS8_PS5_S9_ZN2at6native12_GLOBAL__N_124unique_dim_cuda_templateIN3c108BFloat16EEESt5tupleIJNSA_6TensorESH_SH_EERKSH_lbbbEUlllE_EE10hipError_tT0_T1_T2_T3_mRjT4_P12ihipStream_tbNS1_7vsmem_tEEUlT_E_NS1_11comp_targetILNS1_3genE8ELNS1_11target_archE1030ELNS1_3gpuE2ELNS1_3repE0EEENS1_30default_config_static_selectorELNS0_4arch9wavefront6targetE1EEEvSO_.kd
    .uniform_work_group_size: 1
    .uses_dynamic_stack: false
    .vgpr_count:     0
    .vgpr_spill_count: 0
    .wavefront_size: 64
  - .agpr_count:     0
    .args:
      - .offset:         0
        .size:           56
        .value_kind:     by_value
    .group_segment_fixed_size: 0
    .kernarg_segment_align: 8
    .kernarg_segment_size: 56
    .language:       OpenCL C
    .language_version:
      - 2
      - 0
    .max_flat_workgroup_size: 128
    .name:           _ZN7rocprim17ROCPRIM_400000_NS6detail17trampoline_kernelINS0_14default_configENS1_38merge_sort_block_merge_config_selectorIlNS0_10empty_typeEEEZZNS1_27merge_sort_block_merge_implIS3_PlPS5_mZN2at6native12_GLOBAL__N_124unique_dim_cuda_templateIN3c108BFloat16EEESt5tupleIJNSA_6TensorESH_SH_EERKSH_lbbbEUlllE_EE10hipError_tT0_T1_T2_jT3_P12ihipStream_tbPNSt15iterator_traitsISN_E10value_typeEPNST_ISO_E10value_typeEPSP_NS1_7vsmem_tEENKUlT_SN_SO_SP_E_clIS8_S8_S9_S9_EESM_S12_SN_SO_SP_EUlS12_E_NS1_11comp_targetILNS1_3genE0ELNS1_11target_archE4294967295ELNS1_3gpuE0ELNS1_3repE0EEENS1_48merge_mergepath_partition_config_static_selectorELNS0_4arch9wavefront6targetE1EEEvSO_
    .private_segment_fixed_size: 0
    .sgpr_count:     6
    .sgpr_spill_count: 0
    .symbol:         _ZN7rocprim17ROCPRIM_400000_NS6detail17trampoline_kernelINS0_14default_configENS1_38merge_sort_block_merge_config_selectorIlNS0_10empty_typeEEEZZNS1_27merge_sort_block_merge_implIS3_PlPS5_mZN2at6native12_GLOBAL__N_124unique_dim_cuda_templateIN3c108BFloat16EEESt5tupleIJNSA_6TensorESH_SH_EERKSH_lbbbEUlllE_EE10hipError_tT0_T1_T2_jT3_P12ihipStream_tbPNSt15iterator_traitsISN_E10value_typeEPNST_ISO_E10value_typeEPSP_NS1_7vsmem_tEENKUlT_SN_SO_SP_E_clIS8_S8_S9_S9_EESM_S12_SN_SO_SP_EUlS12_E_NS1_11comp_targetILNS1_3genE0ELNS1_11target_archE4294967295ELNS1_3gpuE0ELNS1_3repE0EEENS1_48merge_mergepath_partition_config_static_selectorELNS0_4arch9wavefront6targetE1EEEvSO_.kd
    .uniform_work_group_size: 1
    .uses_dynamic_stack: false
    .vgpr_count:     0
    .vgpr_spill_count: 0
    .wavefront_size: 64
  - .agpr_count:     0
    .args:
      - .offset:         0
        .size:           56
        .value_kind:     by_value
    .group_segment_fixed_size: 0
    .kernarg_segment_align: 8
    .kernarg_segment_size: 56
    .language:       OpenCL C
    .language_version:
      - 2
      - 0
    .max_flat_workgroup_size: 128
    .name:           _ZN7rocprim17ROCPRIM_400000_NS6detail17trampoline_kernelINS0_14default_configENS1_38merge_sort_block_merge_config_selectorIlNS0_10empty_typeEEEZZNS1_27merge_sort_block_merge_implIS3_PlPS5_mZN2at6native12_GLOBAL__N_124unique_dim_cuda_templateIN3c108BFloat16EEESt5tupleIJNSA_6TensorESH_SH_EERKSH_lbbbEUlllE_EE10hipError_tT0_T1_T2_jT3_P12ihipStream_tbPNSt15iterator_traitsISN_E10value_typeEPNST_ISO_E10value_typeEPSP_NS1_7vsmem_tEENKUlT_SN_SO_SP_E_clIS8_S8_S9_S9_EESM_S12_SN_SO_SP_EUlS12_E_NS1_11comp_targetILNS1_3genE10ELNS1_11target_archE1201ELNS1_3gpuE5ELNS1_3repE0EEENS1_48merge_mergepath_partition_config_static_selectorELNS0_4arch9wavefront6targetE1EEEvSO_
    .private_segment_fixed_size: 0
    .sgpr_count:     6
    .sgpr_spill_count: 0
    .symbol:         _ZN7rocprim17ROCPRIM_400000_NS6detail17trampoline_kernelINS0_14default_configENS1_38merge_sort_block_merge_config_selectorIlNS0_10empty_typeEEEZZNS1_27merge_sort_block_merge_implIS3_PlPS5_mZN2at6native12_GLOBAL__N_124unique_dim_cuda_templateIN3c108BFloat16EEESt5tupleIJNSA_6TensorESH_SH_EERKSH_lbbbEUlllE_EE10hipError_tT0_T1_T2_jT3_P12ihipStream_tbPNSt15iterator_traitsISN_E10value_typeEPNST_ISO_E10value_typeEPSP_NS1_7vsmem_tEENKUlT_SN_SO_SP_E_clIS8_S8_S9_S9_EESM_S12_SN_SO_SP_EUlS12_E_NS1_11comp_targetILNS1_3genE10ELNS1_11target_archE1201ELNS1_3gpuE5ELNS1_3repE0EEENS1_48merge_mergepath_partition_config_static_selectorELNS0_4arch9wavefront6targetE1EEEvSO_.kd
    .uniform_work_group_size: 1
    .uses_dynamic_stack: false
    .vgpr_count:     0
    .vgpr_spill_count: 0
    .wavefront_size: 64
  - .agpr_count:     0
    .args:
      - .offset:         0
        .size:           56
        .value_kind:     by_value
    .group_segment_fixed_size: 0
    .kernarg_segment_align: 8
    .kernarg_segment_size: 56
    .language:       OpenCL C
    .language_version:
      - 2
      - 0
    .max_flat_workgroup_size: 128
    .name:           _ZN7rocprim17ROCPRIM_400000_NS6detail17trampoline_kernelINS0_14default_configENS1_38merge_sort_block_merge_config_selectorIlNS0_10empty_typeEEEZZNS1_27merge_sort_block_merge_implIS3_PlPS5_mZN2at6native12_GLOBAL__N_124unique_dim_cuda_templateIN3c108BFloat16EEESt5tupleIJNSA_6TensorESH_SH_EERKSH_lbbbEUlllE_EE10hipError_tT0_T1_T2_jT3_P12ihipStream_tbPNSt15iterator_traitsISN_E10value_typeEPNST_ISO_E10value_typeEPSP_NS1_7vsmem_tEENKUlT_SN_SO_SP_E_clIS8_S8_S9_S9_EESM_S12_SN_SO_SP_EUlS12_E_NS1_11comp_targetILNS1_3genE5ELNS1_11target_archE942ELNS1_3gpuE9ELNS1_3repE0EEENS1_48merge_mergepath_partition_config_static_selectorELNS0_4arch9wavefront6targetE1EEEvSO_
    .private_segment_fixed_size: 0
    .sgpr_count:     38
    .sgpr_spill_count: 0
    .symbol:         _ZN7rocprim17ROCPRIM_400000_NS6detail17trampoline_kernelINS0_14default_configENS1_38merge_sort_block_merge_config_selectorIlNS0_10empty_typeEEEZZNS1_27merge_sort_block_merge_implIS3_PlPS5_mZN2at6native12_GLOBAL__N_124unique_dim_cuda_templateIN3c108BFloat16EEESt5tupleIJNSA_6TensorESH_SH_EERKSH_lbbbEUlllE_EE10hipError_tT0_T1_T2_jT3_P12ihipStream_tbPNSt15iterator_traitsISN_E10value_typeEPNST_ISO_E10value_typeEPSP_NS1_7vsmem_tEENKUlT_SN_SO_SP_E_clIS8_S8_S9_S9_EESM_S12_SN_SO_SP_EUlS12_E_NS1_11comp_targetILNS1_3genE5ELNS1_11target_archE942ELNS1_3gpuE9ELNS1_3repE0EEENS1_48merge_mergepath_partition_config_static_selectorELNS0_4arch9wavefront6targetE1EEEvSO_.kd
    .uniform_work_group_size: 1
    .uses_dynamic_stack: false
    .vgpr_count:     23
    .vgpr_spill_count: 0
    .wavefront_size: 64
  - .agpr_count:     0
    .args:
      - .offset:         0
        .size:           56
        .value_kind:     by_value
    .group_segment_fixed_size: 0
    .kernarg_segment_align: 8
    .kernarg_segment_size: 56
    .language:       OpenCL C
    .language_version:
      - 2
      - 0
    .max_flat_workgroup_size: 128
    .name:           _ZN7rocprim17ROCPRIM_400000_NS6detail17trampoline_kernelINS0_14default_configENS1_38merge_sort_block_merge_config_selectorIlNS0_10empty_typeEEEZZNS1_27merge_sort_block_merge_implIS3_PlPS5_mZN2at6native12_GLOBAL__N_124unique_dim_cuda_templateIN3c108BFloat16EEESt5tupleIJNSA_6TensorESH_SH_EERKSH_lbbbEUlllE_EE10hipError_tT0_T1_T2_jT3_P12ihipStream_tbPNSt15iterator_traitsISN_E10value_typeEPNST_ISO_E10value_typeEPSP_NS1_7vsmem_tEENKUlT_SN_SO_SP_E_clIS8_S8_S9_S9_EESM_S12_SN_SO_SP_EUlS12_E_NS1_11comp_targetILNS1_3genE4ELNS1_11target_archE910ELNS1_3gpuE8ELNS1_3repE0EEENS1_48merge_mergepath_partition_config_static_selectorELNS0_4arch9wavefront6targetE1EEEvSO_
    .private_segment_fixed_size: 0
    .sgpr_count:     6
    .sgpr_spill_count: 0
    .symbol:         _ZN7rocprim17ROCPRIM_400000_NS6detail17trampoline_kernelINS0_14default_configENS1_38merge_sort_block_merge_config_selectorIlNS0_10empty_typeEEEZZNS1_27merge_sort_block_merge_implIS3_PlPS5_mZN2at6native12_GLOBAL__N_124unique_dim_cuda_templateIN3c108BFloat16EEESt5tupleIJNSA_6TensorESH_SH_EERKSH_lbbbEUlllE_EE10hipError_tT0_T1_T2_jT3_P12ihipStream_tbPNSt15iterator_traitsISN_E10value_typeEPNST_ISO_E10value_typeEPSP_NS1_7vsmem_tEENKUlT_SN_SO_SP_E_clIS8_S8_S9_S9_EESM_S12_SN_SO_SP_EUlS12_E_NS1_11comp_targetILNS1_3genE4ELNS1_11target_archE910ELNS1_3gpuE8ELNS1_3repE0EEENS1_48merge_mergepath_partition_config_static_selectorELNS0_4arch9wavefront6targetE1EEEvSO_.kd
    .uniform_work_group_size: 1
    .uses_dynamic_stack: false
    .vgpr_count:     0
    .vgpr_spill_count: 0
    .wavefront_size: 64
  - .agpr_count:     0
    .args:
      - .offset:         0
        .size:           56
        .value_kind:     by_value
    .group_segment_fixed_size: 0
    .kernarg_segment_align: 8
    .kernarg_segment_size: 56
    .language:       OpenCL C
    .language_version:
      - 2
      - 0
    .max_flat_workgroup_size: 128
    .name:           _ZN7rocprim17ROCPRIM_400000_NS6detail17trampoline_kernelINS0_14default_configENS1_38merge_sort_block_merge_config_selectorIlNS0_10empty_typeEEEZZNS1_27merge_sort_block_merge_implIS3_PlPS5_mZN2at6native12_GLOBAL__N_124unique_dim_cuda_templateIN3c108BFloat16EEESt5tupleIJNSA_6TensorESH_SH_EERKSH_lbbbEUlllE_EE10hipError_tT0_T1_T2_jT3_P12ihipStream_tbPNSt15iterator_traitsISN_E10value_typeEPNST_ISO_E10value_typeEPSP_NS1_7vsmem_tEENKUlT_SN_SO_SP_E_clIS8_S8_S9_S9_EESM_S12_SN_SO_SP_EUlS12_E_NS1_11comp_targetILNS1_3genE3ELNS1_11target_archE908ELNS1_3gpuE7ELNS1_3repE0EEENS1_48merge_mergepath_partition_config_static_selectorELNS0_4arch9wavefront6targetE1EEEvSO_
    .private_segment_fixed_size: 0
    .sgpr_count:     6
    .sgpr_spill_count: 0
    .symbol:         _ZN7rocprim17ROCPRIM_400000_NS6detail17trampoline_kernelINS0_14default_configENS1_38merge_sort_block_merge_config_selectorIlNS0_10empty_typeEEEZZNS1_27merge_sort_block_merge_implIS3_PlPS5_mZN2at6native12_GLOBAL__N_124unique_dim_cuda_templateIN3c108BFloat16EEESt5tupleIJNSA_6TensorESH_SH_EERKSH_lbbbEUlllE_EE10hipError_tT0_T1_T2_jT3_P12ihipStream_tbPNSt15iterator_traitsISN_E10value_typeEPNST_ISO_E10value_typeEPSP_NS1_7vsmem_tEENKUlT_SN_SO_SP_E_clIS8_S8_S9_S9_EESM_S12_SN_SO_SP_EUlS12_E_NS1_11comp_targetILNS1_3genE3ELNS1_11target_archE908ELNS1_3gpuE7ELNS1_3repE0EEENS1_48merge_mergepath_partition_config_static_selectorELNS0_4arch9wavefront6targetE1EEEvSO_.kd
    .uniform_work_group_size: 1
    .uses_dynamic_stack: false
    .vgpr_count:     0
    .vgpr_spill_count: 0
    .wavefront_size: 64
  - .agpr_count:     0
    .args:
      - .offset:         0
        .size:           56
        .value_kind:     by_value
    .group_segment_fixed_size: 0
    .kernarg_segment_align: 8
    .kernarg_segment_size: 56
    .language:       OpenCL C
    .language_version:
      - 2
      - 0
    .max_flat_workgroup_size: 128
    .name:           _ZN7rocprim17ROCPRIM_400000_NS6detail17trampoline_kernelINS0_14default_configENS1_38merge_sort_block_merge_config_selectorIlNS0_10empty_typeEEEZZNS1_27merge_sort_block_merge_implIS3_PlPS5_mZN2at6native12_GLOBAL__N_124unique_dim_cuda_templateIN3c108BFloat16EEESt5tupleIJNSA_6TensorESH_SH_EERKSH_lbbbEUlllE_EE10hipError_tT0_T1_T2_jT3_P12ihipStream_tbPNSt15iterator_traitsISN_E10value_typeEPNST_ISO_E10value_typeEPSP_NS1_7vsmem_tEENKUlT_SN_SO_SP_E_clIS8_S8_S9_S9_EESM_S12_SN_SO_SP_EUlS12_E_NS1_11comp_targetILNS1_3genE2ELNS1_11target_archE906ELNS1_3gpuE6ELNS1_3repE0EEENS1_48merge_mergepath_partition_config_static_selectorELNS0_4arch9wavefront6targetE1EEEvSO_
    .private_segment_fixed_size: 0
    .sgpr_count:     6
    .sgpr_spill_count: 0
    .symbol:         _ZN7rocprim17ROCPRIM_400000_NS6detail17trampoline_kernelINS0_14default_configENS1_38merge_sort_block_merge_config_selectorIlNS0_10empty_typeEEEZZNS1_27merge_sort_block_merge_implIS3_PlPS5_mZN2at6native12_GLOBAL__N_124unique_dim_cuda_templateIN3c108BFloat16EEESt5tupleIJNSA_6TensorESH_SH_EERKSH_lbbbEUlllE_EE10hipError_tT0_T1_T2_jT3_P12ihipStream_tbPNSt15iterator_traitsISN_E10value_typeEPNST_ISO_E10value_typeEPSP_NS1_7vsmem_tEENKUlT_SN_SO_SP_E_clIS8_S8_S9_S9_EESM_S12_SN_SO_SP_EUlS12_E_NS1_11comp_targetILNS1_3genE2ELNS1_11target_archE906ELNS1_3gpuE6ELNS1_3repE0EEENS1_48merge_mergepath_partition_config_static_selectorELNS0_4arch9wavefront6targetE1EEEvSO_.kd
    .uniform_work_group_size: 1
    .uses_dynamic_stack: false
    .vgpr_count:     0
    .vgpr_spill_count: 0
    .wavefront_size: 64
  - .agpr_count:     0
    .args:
      - .offset:         0
        .size:           56
        .value_kind:     by_value
    .group_segment_fixed_size: 0
    .kernarg_segment_align: 8
    .kernarg_segment_size: 56
    .language:       OpenCL C
    .language_version:
      - 2
      - 0
    .max_flat_workgroup_size: 128
    .name:           _ZN7rocprim17ROCPRIM_400000_NS6detail17trampoline_kernelINS0_14default_configENS1_38merge_sort_block_merge_config_selectorIlNS0_10empty_typeEEEZZNS1_27merge_sort_block_merge_implIS3_PlPS5_mZN2at6native12_GLOBAL__N_124unique_dim_cuda_templateIN3c108BFloat16EEESt5tupleIJNSA_6TensorESH_SH_EERKSH_lbbbEUlllE_EE10hipError_tT0_T1_T2_jT3_P12ihipStream_tbPNSt15iterator_traitsISN_E10value_typeEPNST_ISO_E10value_typeEPSP_NS1_7vsmem_tEENKUlT_SN_SO_SP_E_clIS8_S8_S9_S9_EESM_S12_SN_SO_SP_EUlS12_E_NS1_11comp_targetILNS1_3genE9ELNS1_11target_archE1100ELNS1_3gpuE3ELNS1_3repE0EEENS1_48merge_mergepath_partition_config_static_selectorELNS0_4arch9wavefront6targetE1EEEvSO_
    .private_segment_fixed_size: 0
    .sgpr_count:     6
    .sgpr_spill_count: 0
    .symbol:         _ZN7rocprim17ROCPRIM_400000_NS6detail17trampoline_kernelINS0_14default_configENS1_38merge_sort_block_merge_config_selectorIlNS0_10empty_typeEEEZZNS1_27merge_sort_block_merge_implIS3_PlPS5_mZN2at6native12_GLOBAL__N_124unique_dim_cuda_templateIN3c108BFloat16EEESt5tupleIJNSA_6TensorESH_SH_EERKSH_lbbbEUlllE_EE10hipError_tT0_T1_T2_jT3_P12ihipStream_tbPNSt15iterator_traitsISN_E10value_typeEPNST_ISO_E10value_typeEPSP_NS1_7vsmem_tEENKUlT_SN_SO_SP_E_clIS8_S8_S9_S9_EESM_S12_SN_SO_SP_EUlS12_E_NS1_11comp_targetILNS1_3genE9ELNS1_11target_archE1100ELNS1_3gpuE3ELNS1_3repE0EEENS1_48merge_mergepath_partition_config_static_selectorELNS0_4arch9wavefront6targetE1EEEvSO_.kd
    .uniform_work_group_size: 1
    .uses_dynamic_stack: false
    .vgpr_count:     0
    .vgpr_spill_count: 0
    .wavefront_size: 64
  - .agpr_count:     0
    .args:
      - .offset:         0
        .size:           56
        .value_kind:     by_value
    .group_segment_fixed_size: 0
    .kernarg_segment_align: 8
    .kernarg_segment_size: 56
    .language:       OpenCL C
    .language_version:
      - 2
      - 0
    .max_flat_workgroup_size: 128
    .name:           _ZN7rocprim17ROCPRIM_400000_NS6detail17trampoline_kernelINS0_14default_configENS1_38merge_sort_block_merge_config_selectorIlNS0_10empty_typeEEEZZNS1_27merge_sort_block_merge_implIS3_PlPS5_mZN2at6native12_GLOBAL__N_124unique_dim_cuda_templateIN3c108BFloat16EEESt5tupleIJNSA_6TensorESH_SH_EERKSH_lbbbEUlllE_EE10hipError_tT0_T1_T2_jT3_P12ihipStream_tbPNSt15iterator_traitsISN_E10value_typeEPNST_ISO_E10value_typeEPSP_NS1_7vsmem_tEENKUlT_SN_SO_SP_E_clIS8_S8_S9_S9_EESM_S12_SN_SO_SP_EUlS12_E_NS1_11comp_targetILNS1_3genE8ELNS1_11target_archE1030ELNS1_3gpuE2ELNS1_3repE0EEENS1_48merge_mergepath_partition_config_static_selectorELNS0_4arch9wavefront6targetE1EEEvSO_
    .private_segment_fixed_size: 0
    .sgpr_count:     6
    .sgpr_spill_count: 0
    .symbol:         _ZN7rocprim17ROCPRIM_400000_NS6detail17trampoline_kernelINS0_14default_configENS1_38merge_sort_block_merge_config_selectorIlNS0_10empty_typeEEEZZNS1_27merge_sort_block_merge_implIS3_PlPS5_mZN2at6native12_GLOBAL__N_124unique_dim_cuda_templateIN3c108BFloat16EEESt5tupleIJNSA_6TensorESH_SH_EERKSH_lbbbEUlllE_EE10hipError_tT0_T1_T2_jT3_P12ihipStream_tbPNSt15iterator_traitsISN_E10value_typeEPNST_ISO_E10value_typeEPSP_NS1_7vsmem_tEENKUlT_SN_SO_SP_E_clIS8_S8_S9_S9_EESM_S12_SN_SO_SP_EUlS12_E_NS1_11comp_targetILNS1_3genE8ELNS1_11target_archE1030ELNS1_3gpuE2ELNS1_3repE0EEENS1_48merge_mergepath_partition_config_static_selectorELNS0_4arch9wavefront6targetE1EEEvSO_.kd
    .uniform_work_group_size: 1
    .uses_dynamic_stack: false
    .vgpr_count:     0
    .vgpr_spill_count: 0
    .wavefront_size: 64
  - .agpr_count:     0
    .args:
      - .offset:         0
        .size:           88
        .value_kind:     by_value
    .group_segment_fixed_size: 0
    .kernarg_segment_align: 8
    .kernarg_segment_size: 88
    .language:       OpenCL C
    .language_version:
      - 2
      - 0
    .max_flat_workgroup_size: 128
    .name:           _ZN7rocprim17ROCPRIM_400000_NS6detail17trampoline_kernelINS0_14default_configENS1_38merge_sort_block_merge_config_selectorIlNS0_10empty_typeEEEZZNS1_27merge_sort_block_merge_implIS3_PlPS5_mZN2at6native12_GLOBAL__N_124unique_dim_cuda_templateIN3c108BFloat16EEESt5tupleIJNSA_6TensorESH_SH_EERKSH_lbbbEUlllE_EE10hipError_tT0_T1_T2_jT3_P12ihipStream_tbPNSt15iterator_traitsISN_E10value_typeEPNST_ISO_E10value_typeEPSP_NS1_7vsmem_tEENKUlT_SN_SO_SP_E_clIS8_S8_S9_S9_EESM_S12_SN_SO_SP_EUlS12_E0_NS1_11comp_targetILNS1_3genE0ELNS1_11target_archE4294967295ELNS1_3gpuE0ELNS1_3repE0EEENS1_38merge_mergepath_config_static_selectorELNS0_4arch9wavefront6targetE1EEEvSO_
    .private_segment_fixed_size: 0
    .sgpr_count:     6
    .sgpr_spill_count: 0
    .symbol:         _ZN7rocprim17ROCPRIM_400000_NS6detail17trampoline_kernelINS0_14default_configENS1_38merge_sort_block_merge_config_selectorIlNS0_10empty_typeEEEZZNS1_27merge_sort_block_merge_implIS3_PlPS5_mZN2at6native12_GLOBAL__N_124unique_dim_cuda_templateIN3c108BFloat16EEESt5tupleIJNSA_6TensorESH_SH_EERKSH_lbbbEUlllE_EE10hipError_tT0_T1_T2_jT3_P12ihipStream_tbPNSt15iterator_traitsISN_E10value_typeEPNST_ISO_E10value_typeEPSP_NS1_7vsmem_tEENKUlT_SN_SO_SP_E_clIS8_S8_S9_S9_EESM_S12_SN_SO_SP_EUlS12_E0_NS1_11comp_targetILNS1_3genE0ELNS1_11target_archE4294967295ELNS1_3gpuE0ELNS1_3repE0EEENS1_38merge_mergepath_config_static_selectorELNS0_4arch9wavefront6targetE1EEEvSO_.kd
    .uniform_work_group_size: 1
    .uses_dynamic_stack: false
    .vgpr_count:     0
    .vgpr_spill_count: 0
    .wavefront_size: 64
  - .agpr_count:     0
    .args:
      - .offset:         0
        .size:           88
        .value_kind:     by_value
    .group_segment_fixed_size: 0
    .kernarg_segment_align: 8
    .kernarg_segment_size: 88
    .language:       OpenCL C
    .language_version:
      - 2
      - 0
    .max_flat_workgroup_size: 512
    .name:           _ZN7rocprim17ROCPRIM_400000_NS6detail17trampoline_kernelINS0_14default_configENS1_38merge_sort_block_merge_config_selectorIlNS0_10empty_typeEEEZZNS1_27merge_sort_block_merge_implIS3_PlPS5_mZN2at6native12_GLOBAL__N_124unique_dim_cuda_templateIN3c108BFloat16EEESt5tupleIJNSA_6TensorESH_SH_EERKSH_lbbbEUlllE_EE10hipError_tT0_T1_T2_jT3_P12ihipStream_tbPNSt15iterator_traitsISN_E10value_typeEPNST_ISO_E10value_typeEPSP_NS1_7vsmem_tEENKUlT_SN_SO_SP_E_clIS8_S8_S9_S9_EESM_S12_SN_SO_SP_EUlS12_E0_NS1_11comp_targetILNS1_3genE10ELNS1_11target_archE1201ELNS1_3gpuE5ELNS1_3repE0EEENS1_38merge_mergepath_config_static_selectorELNS0_4arch9wavefront6targetE1EEEvSO_
    .private_segment_fixed_size: 0
    .sgpr_count:     6
    .sgpr_spill_count: 0
    .symbol:         _ZN7rocprim17ROCPRIM_400000_NS6detail17trampoline_kernelINS0_14default_configENS1_38merge_sort_block_merge_config_selectorIlNS0_10empty_typeEEEZZNS1_27merge_sort_block_merge_implIS3_PlPS5_mZN2at6native12_GLOBAL__N_124unique_dim_cuda_templateIN3c108BFloat16EEESt5tupleIJNSA_6TensorESH_SH_EERKSH_lbbbEUlllE_EE10hipError_tT0_T1_T2_jT3_P12ihipStream_tbPNSt15iterator_traitsISN_E10value_typeEPNST_ISO_E10value_typeEPSP_NS1_7vsmem_tEENKUlT_SN_SO_SP_E_clIS8_S8_S9_S9_EESM_S12_SN_SO_SP_EUlS12_E0_NS1_11comp_targetILNS1_3genE10ELNS1_11target_archE1201ELNS1_3gpuE5ELNS1_3repE0EEENS1_38merge_mergepath_config_static_selectorELNS0_4arch9wavefront6targetE1EEEvSO_.kd
    .uniform_work_group_size: 1
    .uses_dynamic_stack: false
    .vgpr_count:     0
    .vgpr_spill_count: 0
    .wavefront_size: 64
  - .agpr_count:     0
    .args:
      - .offset:         0
        .size:           88
        .value_kind:     by_value
      - .offset:         88
        .size:           4
        .value_kind:     hidden_block_count_x
      - .offset:         92
        .size:           4
        .value_kind:     hidden_block_count_y
      - .offset:         96
        .size:           4
        .value_kind:     hidden_block_count_z
      - .offset:         100
        .size:           2
        .value_kind:     hidden_group_size_x
      - .offset:         102
        .size:           2
        .value_kind:     hidden_group_size_y
      - .offset:         104
        .size:           2
        .value_kind:     hidden_group_size_z
      - .offset:         106
        .size:           2
        .value_kind:     hidden_remainder_x
      - .offset:         108
        .size:           2
        .value_kind:     hidden_remainder_y
      - .offset:         110
        .size:           2
        .value_kind:     hidden_remainder_z
      - .offset:         128
        .size:           8
        .value_kind:     hidden_global_offset_x
      - .offset:         136
        .size:           8
        .value_kind:     hidden_global_offset_y
      - .offset:         144
        .size:           8
        .value_kind:     hidden_global_offset_z
      - .offset:         152
        .size:           2
        .value_kind:     hidden_grid_dims
    .group_segment_fixed_size: 8448
    .kernarg_segment_align: 8
    .kernarg_segment_size: 344
    .language:       OpenCL C
    .language_version:
      - 2
      - 0
    .max_flat_workgroup_size: 128
    .name:           _ZN7rocprim17ROCPRIM_400000_NS6detail17trampoline_kernelINS0_14default_configENS1_38merge_sort_block_merge_config_selectorIlNS0_10empty_typeEEEZZNS1_27merge_sort_block_merge_implIS3_PlPS5_mZN2at6native12_GLOBAL__N_124unique_dim_cuda_templateIN3c108BFloat16EEESt5tupleIJNSA_6TensorESH_SH_EERKSH_lbbbEUlllE_EE10hipError_tT0_T1_T2_jT3_P12ihipStream_tbPNSt15iterator_traitsISN_E10value_typeEPNST_ISO_E10value_typeEPSP_NS1_7vsmem_tEENKUlT_SN_SO_SP_E_clIS8_S8_S9_S9_EESM_S12_SN_SO_SP_EUlS12_E0_NS1_11comp_targetILNS1_3genE5ELNS1_11target_archE942ELNS1_3gpuE9ELNS1_3repE0EEENS1_38merge_mergepath_config_static_selectorELNS0_4arch9wavefront6targetE1EEEvSO_
    .private_segment_fixed_size: 0
    .sgpr_count:     60
    .sgpr_spill_count: 0
    .symbol:         _ZN7rocprim17ROCPRIM_400000_NS6detail17trampoline_kernelINS0_14default_configENS1_38merge_sort_block_merge_config_selectorIlNS0_10empty_typeEEEZZNS1_27merge_sort_block_merge_implIS3_PlPS5_mZN2at6native12_GLOBAL__N_124unique_dim_cuda_templateIN3c108BFloat16EEESt5tupleIJNSA_6TensorESH_SH_EERKSH_lbbbEUlllE_EE10hipError_tT0_T1_T2_jT3_P12ihipStream_tbPNSt15iterator_traitsISN_E10value_typeEPNST_ISO_E10value_typeEPSP_NS1_7vsmem_tEENKUlT_SN_SO_SP_E_clIS8_S8_S9_S9_EESM_S12_SN_SO_SP_EUlS12_E0_NS1_11comp_targetILNS1_3genE5ELNS1_11target_archE942ELNS1_3gpuE9ELNS1_3repE0EEENS1_38merge_mergepath_config_static_selectorELNS0_4arch9wavefront6targetE1EEEvSO_.kd
    .uniform_work_group_size: 1
    .uses_dynamic_stack: false
    .vgpr_count:     42
    .vgpr_spill_count: 0
    .wavefront_size: 64
  - .agpr_count:     0
    .args:
      - .offset:         0
        .size:           88
        .value_kind:     by_value
    .group_segment_fixed_size: 0
    .kernarg_segment_align: 8
    .kernarg_segment_size: 88
    .language:       OpenCL C
    .language_version:
      - 2
      - 0
    .max_flat_workgroup_size: 256
    .name:           _ZN7rocprim17ROCPRIM_400000_NS6detail17trampoline_kernelINS0_14default_configENS1_38merge_sort_block_merge_config_selectorIlNS0_10empty_typeEEEZZNS1_27merge_sort_block_merge_implIS3_PlPS5_mZN2at6native12_GLOBAL__N_124unique_dim_cuda_templateIN3c108BFloat16EEESt5tupleIJNSA_6TensorESH_SH_EERKSH_lbbbEUlllE_EE10hipError_tT0_T1_T2_jT3_P12ihipStream_tbPNSt15iterator_traitsISN_E10value_typeEPNST_ISO_E10value_typeEPSP_NS1_7vsmem_tEENKUlT_SN_SO_SP_E_clIS8_S8_S9_S9_EESM_S12_SN_SO_SP_EUlS12_E0_NS1_11comp_targetILNS1_3genE4ELNS1_11target_archE910ELNS1_3gpuE8ELNS1_3repE0EEENS1_38merge_mergepath_config_static_selectorELNS0_4arch9wavefront6targetE1EEEvSO_
    .private_segment_fixed_size: 0
    .sgpr_count:     6
    .sgpr_spill_count: 0
    .symbol:         _ZN7rocprim17ROCPRIM_400000_NS6detail17trampoline_kernelINS0_14default_configENS1_38merge_sort_block_merge_config_selectorIlNS0_10empty_typeEEEZZNS1_27merge_sort_block_merge_implIS3_PlPS5_mZN2at6native12_GLOBAL__N_124unique_dim_cuda_templateIN3c108BFloat16EEESt5tupleIJNSA_6TensorESH_SH_EERKSH_lbbbEUlllE_EE10hipError_tT0_T1_T2_jT3_P12ihipStream_tbPNSt15iterator_traitsISN_E10value_typeEPNST_ISO_E10value_typeEPSP_NS1_7vsmem_tEENKUlT_SN_SO_SP_E_clIS8_S8_S9_S9_EESM_S12_SN_SO_SP_EUlS12_E0_NS1_11comp_targetILNS1_3genE4ELNS1_11target_archE910ELNS1_3gpuE8ELNS1_3repE0EEENS1_38merge_mergepath_config_static_selectorELNS0_4arch9wavefront6targetE1EEEvSO_.kd
    .uniform_work_group_size: 1
    .uses_dynamic_stack: false
    .vgpr_count:     0
    .vgpr_spill_count: 0
    .wavefront_size: 64
  - .agpr_count:     0
    .args:
      - .offset:         0
        .size:           88
        .value_kind:     by_value
    .group_segment_fixed_size: 0
    .kernarg_segment_align: 8
    .kernarg_segment_size: 88
    .language:       OpenCL C
    .language_version:
      - 2
      - 0
    .max_flat_workgroup_size: 128
    .name:           _ZN7rocprim17ROCPRIM_400000_NS6detail17trampoline_kernelINS0_14default_configENS1_38merge_sort_block_merge_config_selectorIlNS0_10empty_typeEEEZZNS1_27merge_sort_block_merge_implIS3_PlPS5_mZN2at6native12_GLOBAL__N_124unique_dim_cuda_templateIN3c108BFloat16EEESt5tupleIJNSA_6TensorESH_SH_EERKSH_lbbbEUlllE_EE10hipError_tT0_T1_T2_jT3_P12ihipStream_tbPNSt15iterator_traitsISN_E10value_typeEPNST_ISO_E10value_typeEPSP_NS1_7vsmem_tEENKUlT_SN_SO_SP_E_clIS8_S8_S9_S9_EESM_S12_SN_SO_SP_EUlS12_E0_NS1_11comp_targetILNS1_3genE3ELNS1_11target_archE908ELNS1_3gpuE7ELNS1_3repE0EEENS1_38merge_mergepath_config_static_selectorELNS0_4arch9wavefront6targetE1EEEvSO_
    .private_segment_fixed_size: 0
    .sgpr_count:     6
    .sgpr_spill_count: 0
    .symbol:         _ZN7rocprim17ROCPRIM_400000_NS6detail17trampoline_kernelINS0_14default_configENS1_38merge_sort_block_merge_config_selectorIlNS0_10empty_typeEEEZZNS1_27merge_sort_block_merge_implIS3_PlPS5_mZN2at6native12_GLOBAL__N_124unique_dim_cuda_templateIN3c108BFloat16EEESt5tupleIJNSA_6TensorESH_SH_EERKSH_lbbbEUlllE_EE10hipError_tT0_T1_T2_jT3_P12ihipStream_tbPNSt15iterator_traitsISN_E10value_typeEPNST_ISO_E10value_typeEPSP_NS1_7vsmem_tEENKUlT_SN_SO_SP_E_clIS8_S8_S9_S9_EESM_S12_SN_SO_SP_EUlS12_E0_NS1_11comp_targetILNS1_3genE3ELNS1_11target_archE908ELNS1_3gpuE7ELNS1_3repE0EEENS1_38merge_mergepath_config_static_selectorELNS0_4arch9wavefront6targetE1EEEvSO_.kd
    .uniform_work_group_size: 1
    .uses_dynamic_stack: false
    .vgpr_count:     0
    .vgpr_spill_count: 0
    .wavefront_size: 64
  - .agpr_count:     0
    .args:
      - .offset:         0
        .size:           88
        .value_kind:     by_value
    .group_segment_fixed_size: 0
    .kernarg_segment_align: 8
    .kernarg_segment_size: 88
    .language:       OpenCL C
    .language_version:
      - 2
      - 0
    .max_flat_workgroup_size: 256
    .name:           _ZN7rocprim17ROCPRIM_400000_NS6detail17trampoline_kernelINS0_14default_configENS1_38merge_sort_block_merge_config_selectorIlNS0_10empty_typeEEEZZNS1_27merge_sort_block_merge_implIS3_PlPS5_mZN2at6native12_GLOBAL__N_124unique_dim_cuda_templateIN3c108BFloat16EEESt5tupleIJNSA_6TensorESH_SH_EERKSH_lbbbEUlllE_EE10hipError_tT0_T1_T2_jT3_P12ihipStream_tbPNSt15iterator_traitsISN_E10value_typeEPNST_ISO_E10value_typeEPSP_NS1_7vsmem_tEENKUlT_SN_SO_SP_E_clIS8_S8_S9_S9_EESM_S12_SN_SO_SP_EUlS12_E0_NS1_11comp_targetILNS1_3genE2ELNS1_11target_archE906ELNS1_3gpuE6ELNS1_3repE0EEENS1_38merge_mergepath_config_static_selectorELNS0_4arch9wavefront6targetE1EEEvSO_
    .private_segment_fixed_size: 0
    .sgpr_count:     6
    .sgpr_spill_count: 0
    .symbol:         _ZN7rocprim17ROCPRIM_400000_NS6detail17trampoline_kernelINS0_14default_configENS1_38merge_sort_block_merge_config_selectorIlNS0_10empty_typeEEEZZNS1_27merge_sort_block_merge_implIS3_PlPS5_mZN2at6native12_GLOBAL__N_124unique_dim_cuda_templateIN3c108BFloat16EEESt5tupleIJNSA_6TensorESH_SH_EERKSH_lbbbEUlllE_EE10hipError_tT0_T1_T2_jT3_P12ihipStream_tbPNSt15iterator_traitsISN_E10value_typeEPNST_ISO_E10value_typeEPSP_NS1_7vsmem_tEENKUlT_SN_SO_SP_E_clIS8_S8_S9_S9_EESM_S12_SN_SO_SP_EUlS12_E0_NS1_11comp_targetILNS1_3genE2ELNS1_11target_archE906ELNS1_3gpuE6ELNS1_3repE0EEENS1_38merge_mergepath_config_static_selectorELNS0_4arch9wavefront6targetE1EEEvSO_.kd
    .uniform_work_group_size: 1
    .uses_dynamic_stack: false
    .vgpr_count:     0
    .vgpr_spill_count: 0
    .wavefront_size: 64
  - .agpr_count:     0
    .args:
      - .offset:         0
        .size:           88
        .value_kind:     by_value
    .group_segment_fixed_size: 0
    .kernarg_segment_align: 8
    .kernarg_segment_size: 88
    .language:       OpenCL C
    .language_version:
      - 2
      - 0
    .max_flat_workgroup_size: 512
    .name:           _ZN7rocprim17ROCPRIM_400000_NS6detail17trampoline_kernelINS0_14default_configENS1_38merge_sort_block_merge_config_selectorIlNS0_10empty_typeEEEZZNS1_27merge_sort_block_merge_implIS3_PlPS5_mZN2at6native12_GLOBAL__N_124unique_dim_cuda_templateIN3c108BFloat16EEESt5tupleIJNSA_6TensorESH_SH_EERKSH_lbbbEUlllE_EE10hipError_tT0_T1_T2_jT3_P12ihipStream_tbPNSt15iterator_traitsISN_E10value_typeEPNST_ISO_E10value_typeEPSP_NS1_7vsmem_tEENKUlT_SN_SO_SP_E_clIS8_S8_S9_S9_EESM_S12_SN_SO_SP_EUlS12_E0_NS1_11comp_targetILNS1_3genE9ELNS1_11target_archE1100ELNS1_3gpuE3ELNS1_3repE0EEENS1_38merge_mergepath_config_static_selectorELNS0_4arch9wavefront6targetE1EEEvSO_
    .private_segment_fixed_size: 0
    .sgpr_count:     6
    .sgpr_spill_count: 0
    .symbol:         _ZN7rocprim17ROCPRIM_400000_NS6detail17trampoline_kernelINS0_14default_configENS1_38merge_sort_block_merge_config_selectorIlNS0_10empty_typeEEEZZNS1_27merge_sort_block_merge_implIS3_PlPS5_mZN2at6native12_GLOBAL__N_124unique_dim_cuda_templateIN3c108BFloat16EEESt5tupleIJNSA_6TensorESH_SH_EERKSH_lbbbEUlllE_EE10hipError_tT0_T1_T2_jT3_P12ihipStream_tbPNSt15iterator_traitsISN_E10value_typeEPNST_ISO_E10value_typeEPSP_NS1_7vsmem_tEENKUlT_SN_SO_SP_E_clIS8_S8_S9_S9_EESM_S12_SN_SO_SP_EUlS12_E0_NS1_11comp_targetILNS1_3genE9ELNS1_11target_archE1100ELNS1_3gpuE3ELNS1_3repE0EEENS1_38merge_mergepath_config_static_selectorELNS0_4arch9wavefront6targetE1EEEvSO_.kd
    .uniform_work_group_size: 1
    .uses_dynamic_stack: false
    .vgpr_count:     0
    .vgpr_spill_count: 0
    .wavefront_size: 64
  - .agpr_count:     0
    .args:
      - .offset:         0
        .size:           88
        .value_kind:     by_value
    .group_segment_fixed_size: 0
    .kernarg_segment_align: 8
    .kernarg_segment_size: 88
    .language:       OpenCL C
    .language_version:
      - 2
      - 0
    .max_flat_workgroup_size: 1024
    .name:           _ZN7rocprim17ROCPRIM_400000_NS6detail17trampoline_kernelINS0_14default_configENS1_38merge_sort_block_merge_config_selectorIlNS0_10empty_typeEEEZZNS1_27merge_sort_block_merge_implIS3_PlPS5_mZN2at6native12_GLOBAL__N_124unique_dim_cuda_templateIN3c108BFloat16EEESt5tupleIJNSA_6TensorESH_SH_EERKSH_lbbbEUlllE_EE10hipError_tT0_T1_T2_jT3_P12ihipStream_tbPNSt15iterator_traitsISN_E10value_typeEPNST_ISO_E10value_typeEPSP_NS1_7vsmem_tEENKUlT_SN_SO_SP_E_clIS8_S8_S9_S9_EESM_S12_SN_SO_SP_EUlS12_E0_NS1_11comp_targetILNS1_3genE8ELNS1_11target_archE1030ELNS1_3gpuE2ELNS1_3repE0EEENS1_38merge_mergepath_config_static_selectorELNS0_4arch9wavefront6targetE1EEEvSO_
    .private_segment_fixed_size: 0
    .sgpr_count:     6
    .sgpr_spill_count: 0
    .symbol:         _ZN7rocprim17ROCPRIM_400000_NS6detail17trampoline_kernelINS0_14default_configENS1_38merge_sort_block_merge_config_selectorIlNS0_10empty_typeEEEZZNS1_27merge_sort_block_merge_implIS3_PlPS5_mZN2at6native12_GLOBAL__N_124unique_dim_cuda_templateIN3c108BFloat16EEESt5tupleIJNSA_6TensorESH_SH_EERKSH_lbbbEUlllE_EE10hipError_tT0_T1_T2_jT3_P12ihipStream_tbPNSt15iterator_traitsISN_E10value_typeEPNST_ISO_E10value_typeEPSP_NS1_7vsmem_tEENKUlT_SN_SO_SP_E_clIS8_S8_S9_S9_EESM_S12_SN_SO_SP_EUlS12_E0_NS1_11comp_targetILNS1_3genE8ELNS1_11target_archE1030ELNS1_3gpuE2ELNS1_3repE0EEENS1_38merge_mergepath_config_static_selectorELNS0_4arch9wavefront6targetE1EEEvSO_.kd
    .uniform_work_group_size: 1
    .uses_dynamic_stack: false
    .vgpr_count:     0
    .vgpr_spill_count: 0
    .wavefront_size: 64
  - .agpr_count:     0
    .args:
      - .offset:         0
        .size:           64
        .value_kind:     by_value
    .group_segment_fixed_size: 0
    .kernarg_segment_align: 8
    .kernarg_segment_size: 64
    .language:       OpenCL C
    .language_version:
      - 2
      - 0
    .max_flat_workgroup_size: 256
    .name:           _ZN7rocprim17ROCPRIM_400000_NS6detail17trampoline_kernelINS0_14default_configENS1_38merge_sort_block_merge_config_selectorIlNS0_10empty_typeEEEZZNS1_27merge_sort_block_merge_implIS3_PlPS5_mZN2at6native12_GLOBAL__N_124unique_dim_cuda_templateIN3c108BFloat16EEESt5tupleIJNSA_6TensorESH_SH_EERKSH_lbbbEUlllE_EE10hipError_tT0_T1_T2_jT3_P12ihipStream_tbPNSt15iterator_traitsISN_E10value_typeEPNST_ISO_E10value_typeEPSP_NS1_7vsmem_tEENKUlT_SN_SO_SP_E_clIS8_S8_S9_S9_EESM_S12_SN_SO_SP_EUlS12_E1_NS1_11comp_targetILNS1_3genE0ELNS1_11target_archE4294967295ELNS1_3gpuE0ELNS1_3repE0EEENS1_36merge_oddeven_config_static_selectorELNS0_4arch9wavefront6targetE1EEEvSO_
    .private_segment_fixed_size: 0
    .sgpr_count:     6
    .sgpr_spill_count: 0
    .symbol:         _ZN7rocprim17ROCPRIM_400000_NS6detail17trampoline_kernelINS0_14default_configENS1_38merge_sort_block_merge_config_selectorIlNS0_10empty_typeEEEZZNS1_27merge_sort_block_merge_implIS3_PlPS5_mZN2at6native12_GLOBAL__N_124unique_dim_cuda_templateIN3c108BFloat16EEESt5tupleIJNSA_6TensorESH_SH_EERKSH_lbbbEUlllE_EE10hipError_tT0_T1_T2_jT3_P12ihipStream_tbPNSt15iterator_traitsISN_E10value_typeEPNST_ISO_E10value_typeEPSP_NS1_7vsmem_tEENKUlT_SN_SO_SP_E_clIS8_S8_S9_S9_EESM_S12_SN_SO_SP_EUlS12_E1_NS1_11comp_targetILNS1_3genE0ELNS1_11target_archE4294967295ELNS1_3gpuE0ELNS1_3repE0EEENS1_36merge_oddeven_config_static_selectorELNS0_4arch9wavefront6targetE1EEEvSO_.kd
    .uniform_work_group_size: 1
    .uses_dynamic_stack: false
    .vgpr_count:     0
    .vgpr_spill_count: 0
    .wavefront_size: 64
  - .agpr_count:     0
    .args:
      - .offset:         0
        .size:           64
        .value_kind:     by_value
    .group_segment_fixed_size: 0
    .kernarg_segment_align: 8
    .kernarg_segment_size: 64
    .language:       OpenCL C
    .language_version:
      - 2
      - 0
    .max_flat_workgroup_size: 256
    .name:           _ZN7rocprim17ROCPRIM_400000_NS6detail17trampoline_kernelINS0_14default_configENS1_38merge_sort_block_merge_config_selectorIlNS0_10empty_typeEEEZZNS1_27merge_sort_block_merge_implIS3_PlPS5_mZN2at6native12_GLOBAL__N_124unique_dim_cuda_templateIN3c108BFloat16EEESt5tupleIJNSA_6TensorESH_SH_EERKSH_lbbbEUlllE_EE10hipError_tT0_T1_T2_jT3_P12ihipStream_tbPNSt15iterator_traitsISN_E10value_typeEPNST_ISO_E10value_typeEPSP_NS1_7vsmem_tEENKUlT_SN_SO_SP_E_clIS8_S8_S9_S9_EESM_S12_SN_SO_SP_EUlS12_E1_NS1_11comp_targetILNS1_3genE10ELNS1_11target_archE1201ELNS1_3gpuE5ELNS1_3repE0EEENS1_36merge_oddeven_config_static_selectorELNS0_4arch9wavefront6targetE1EEEvSO_
    .private_segment_fixed_size: 0
    .sgpr_count:     6
    .sgpr_spill_count: 0
    .symbol:         _ZN7rocprim17ROCPRIM_400000_NS6detail17trampoline_kernelINS0_14default_configENS1_38merge_sort_block_merge_config_selectorIlNS0_10empty_typeEEEZZNS1_27merge_sort_block_merge_implIS3_PlPS5_mZN2at6native12_GLOBAL__N_124unique_dim_cuda_templateIN3c108BFloat16EEESt5tupleIJNSA_6TensorESH_SH_EERKSH_lbbbEUlllE_EE10hipError_tT0_T1_T2_jT3_P12ihipStream_tbPNSt15iterator_traitsISN_E10value_typeEPNST_ISO_E10value_typeEPSP_NS1_7vsmem_tEENKUlT_SN_SO_SP_E_clIS8_S8_S9_S9_EESM_S12_SN_SO_SP_EUlS12_E1_NS1_11comp_targetILNS1_3genE10ELNS1_11target_archE1201ELNS1_3gpuE5ELNS1_3repE0EEENS1_36merge_oddeven_config_static_selectorELNS0_4arch9wavefront6targetE1EEEvSO_.kd
    .uniform_work_group_size: 1
    .uses_dynamic_stack: false
    .vgpr_count:     0
    .vgpr_spill_count: 0
    .wavefront_size: 64
  - .agpr_count:     0
    .args:
      - .offset:         0
        .size:           64
        .value_kind:     by_value
    .group_segment_fixed_size: 0
    .kernarg_segment_align: 8
    .kernarg_segment_size: 64
    .language:       OpenCL C
    .language_version:
      - 2
      - 0
    .max_flat_workgroup_size: 256
    .name:           _ZN7rocprim17ROCPRIM_400000_NS6detail17trampoline_kernelINS0_14default_configENS1_38merge_sort_block_merge_config_selectorIlNS0_10empty_typeEEEZZNS1_27merge_sort_block_merge_implIS3_PlPS5_mZN2at6native12_GLOBAL__N_124unique_dim_cuda_templateIN3c108BFloat16EEESt5tupleIJNSA_6TensorESH_SH_EERKSH_lbbbEUlllE_EE10hipError_tT0_T1_T2_jT3_P12ihipStream_tbPNSt15iterator_traitsISN_E10value_typeEPNST_ISO_E10value_typeEPSP_NS1_7vsmem_tEENKUlT_SN_SO_SP_E_clIS8_S8_S9_S9_EESM_S12_SN_SO_SP_EUlS12_E1_NS1_11comp_targetILNS1_3genE5ELNS1_11target_archE942ELNS1_3gpuE9ELNS1_3repE0EEENS1_36merge_oddeven_config_static_selectorELNS0_4arch9wavefront6targetE1EEEvSO_
    .private_segment_fixed_size: 0
    .sgpr_count:     50
    .sgpr_spill_count: 0
    .symbol:         _ZN7rocprim17ROCPRIM_400000_NS6detail17trampoline_kernelINS0_14default_configENS1_38merge_sort_block_merge_config_selectorIlNS0_10empty_typeEEEZZNS1_27merge_sort_block_merge_implIS3_PlPS5_mZN2at6native12_GLOBAL__N_124unique_dim_cuda_templateIN3c108BFloat16EEESt5tupleIJNSA_6TensorESH_SH_EERKSH_lbbbEUlllE_EE10hipError_tT0_T1_T2_jT3_P12ihipStream_tbPNSt15iterator_traitsISN_E10value_typeEPNST_ISO_E10value_typeEPSP_NS1_7vsmem_tEENKUlT_SN_SO_SP_E_clIS8_S8_S9_S9_EESM_S12_SN_SO_SP_EUlS12_E1_NS1_11comp_targetILNS1_3genE5ELNS1_11target_archE942ELNS1_3gpuE9ELNS1_3repE0EEENS1_36merge_oddeven_config_static_selectorELNS0_4arch9wavefront6targetE1EEEvSO_.kd
    .uniform_work_group_size: 1
    .uses_dynamic_stack: false
    .vgpr_count:     19
    .vgpr_spill_count: 0
    .wavefront_size: 64
  - .agpr_count:     0
    .args:
      - .offset:         0
        .size:           64
        .value_kind:     by_value
    .group_segment_fixed_size: 0
    .kernarg_segment_align: 8
    .kernarg_segment_size: 64
    .language:       OpenCL C
    .language_version:
      - 2
      - 0
    .max_flat_workgroup_size: 256
    .name:           _ZN7rocprim17ROCPRIM_400000_NS6detail17trampoline_kernelINS0_14default_configENS1_38merge_sort_block_merge_config_selectorIlNS0_10empty_typeEEEZZNS1_27merge_sort_block_merge_implIS3_PlPS5_mZN2at6native12_GLOBAL__N_124unique_dim_cuda_templateIN3c108BFloat16EEESt5tupleIJNSA_6TensorESH_SH_EERKSH_lbbbEUlllE_EE10hipError_tT0_T1_T2_jT3_P12ihipStream_tbPNSt15iterator_traitsISN_E10value_typeEPNST_ISO_E10value_typeEPSP_NS1_7vsmem_tEENKUlT_SN_SO_SP_E_clIS8_S8_S9_S9_EESM_S12_SN_SO_SP_EUlS12_E1_NS1_11comp_targetILNS1_3genE4ELNS1_11target_archE910ELNS1_3gpuE8ELNS1_3repE0EEENS1_36merge_oddeven_config_static_selectorELNS0_4arch9wavefront6targetE1EEEvSO_
    .private_segment_fixed_size: 0
    .sgpr_count:     6
    .sgpr_spill_count: 0
    .symbol:         _ZN7rocprim17ROCPRIM_400000_NS6detail17trampoline_kernelINS0_14default_configENS1_38merge_sort_block_merge_config_selectorIlNS0_10empty_typeEEEZZNS1_27merge_sort_block_merge_implIS3_PlPS5_mZN2at6native12_GLOBAL__N_124unique_dim_cuda_templateIN3c108BFloat16EEESt5tupleIJNSA_6TensorESH_SH_EERKSH_lbbbEUlllE_EE10hipError_tT0_T1_T2_jT3_P12ihipStream_tbPNSt15iterator_traitsISN_E10value_typeEPNST_ISO_E10value_typeEPSP_NS1_7vsmem_tEENKUlT_SN_SO_SP_E_clIS8_S8_S9_S9_EESM_S12_SN_SO_SP_EUlS12_E1_NS1_11comp_targetILNS1_3genE4ELNS1_11target_archE910ELNS1_3gpuE8ELNS1_3repE0EEENS1_36merge_oddeven_config_static_selectorELNS0_4arch9wavefront6targetE1EEEvSO_.kd
    .uniform_work_group_size: 1
    .uses_dynamic_stack: false
    .vgpr_count:     0
    .vgpr_spill_count: 0
    .wavefront_size: 64
  - .agpr_count:     0
    .args:
      - .offset:         0
        .size:           64
        .value_kind:     by_value
    .group_segment_fixed_size: 0
    .kernarg_segment_align: 8
    .kernarg_segment_size: 64
    .language:       OpenCL C
    .language_version:
      - 2
      - 0
    .max_flat_workgroup_size: 256
    .name:           _ZN7rocprim17ROCPRIM_400000_NS6detail17trampoline_kernelINS0_14default_configENS1_38merge_sort_block_merge_config_selectorIlNS0_10empty_typeEEEZZNS1_27merge_sort_block_merge_implIS3_PlPS5_mZN2at6native12_GLOBAL__N_124unique_dim_cuda_templateIN3c108BFloat16EEESt5tupleIJNSA_6TensorESH_SH_EERKSH_lbbbEUlllE_EE10hipError_tT0_T1_T2_jT3_P12ihipStream_tbPNSt15iterator_traitsISN_E10value_typeEPNST_ISO_E10value_typeEPSP_NS1_7vsmem_tEENKUlT_SN_SO_SP_E_clIS8_S8_S9_S9_EESM_S12_SN_SO_SP_EUlS12_E1_NS1_11comp_targetILNS1_3genE3ELNS1_11target_archE908ELNS1_3gpuE7ELNS1_3repE0EEENS1_36merge_oddeven_config_static_selectorELNS0_4arch9wavefront6targetE1EEEvSO_
    .private_segment_fixed_size: 0
    .sgpr_count:     6
    .sgpr_spill_count: 0
    .symbol:         _ZN7rocprim17ROCPRIM_400000_NS6detail17trampoline_kernelINS0_14default_configENS1_38merge_sort_block_merge_config_selectorIlNS0_10empty_typeEEEZZNS1_27merge_sort_block_merge_implIS3_PlPS5_mZN2at6native12_GLOBAL__N_124unique_dim_cuda_templateIN3c108BFloat16EEESt5tupleIJNSA_6TensorESH_SH_EERKSH_lbbbEUlllE_EE10hipError_tT0_T1_T2_jT3_P12ihipStream_tbPNSt15iterator_traitsISN_E10value_typeEPNST_ISO_E10value_typeEPSP_NS1_7vsmem_tEENKUlT_SN_SO_SP_E_clIS8_S8_S9_S9_EESM_S12_SN_SO_SP_EUlS12_E1_NS1_11comp_targetILNS1_3genE3ELNS1_11target_archE908ELNS1_3gpuE7ELNS1_3repE0EEENS1_36merge_oddeven_config_static_selectorELNS0_4arch9wavefront6targetE1EEEvSO_.kd
    .uniform_work_group_size: 1
    .uses_dynamic_stack: false
    .vgpr_count:     0
    .vgpr_spill_count: 0
    .wavefront_size: 64
  - .agpr_count:     0
    .args:
      - .offset:         0
        .size:           64
        .value_kind:     by_value
    .group_segment_fixed_size: 0
    .kernarg_segment_align: 8
    .kernarg_segment_size: 64
    .language:       OpenCL C
    .language_version:
      - 2
      - 0
    .max_flat_workgroup_size: 256
    .name:           _ZN7rocprim17ROCPRIM_400000_NS6detail17trampoline_kernelINS0_14default_configENS1_38merge_sort_block_merge_config_selectorIlNS0_10empty_typeEEEZZNS1_27merge_sort_block_merge_implIS3_PlPS5_mZN2at6native12_GLOBAL__N_124unique_dim_cuda_templateIN3c108BFloat16EEESt5tupleIJNSA_6TensorESH_SH_EERKSH_lbbbEUlllE_EE10hipError_tT0_T1_T2_jT3_P12ihipStream_tbPNSt15iterator_traitsISN_E10value_typeEPNST_ISO_E10value_typeEPSP_NS1_7vsmem_tEENKUlT_SN_SO_SP_E_clIS8_S8_S9_S9_EESM_S12_SN_SO_SP_EUlS12_E1_NS1_11comp_targetILNS1_3genE2ELNS1_11target_archE906ELNS1_3gpuE6ELNS1_3repE0EEENS1_36merge_oddeven_config_static_selectorELNS0_4arch9wavefront6targetE1EEEvSO_
    .private_segment_fixed_size: 0
    .sgpr_count:     6
    .sgpr_spill_count: 0
    .symbol:         _ZN7rocprim17ROCPRIM_400000_NS6detail17trampoline_kernelINS0_14default_configENS1_38merge_sort_block_merge_config_selectorIlNS0_10empty_typeEEEZZNS1_27merge_sort_block_merge_implIS3_PlPS5_mZN2at6native12_GLOBAL__N_124unique_dim_cuda_templateIN3c108BFloat16EEESt5tupleIJNSA_6TensorESH_SH_EERKSH_lbbbEUlllE_EE10hipError_tT0_T1_T2_jT3_P12ihipStream_tbPNSt15iterator_traitsISN_E10value_typeEPNST_ISO_E10value_typeEPSP_NS1_7vsmem_tEENKUlT_SN_SO_SP_E_clIS8_S8_S9_S9_EESM_S12_SN_SO_SP_EUlS12_E1_NS1_11comp_targetILNS1_3genE2ELNS1_11target_archE906ELNS1_3gpuE6ELNS1_3repE0EEENS1_36merge_oddeven_config_static_selectorELNS0_4arch9wavefront6targetE1EEEvSO_.kd
    .uniform_work_group_size: 1
    .uses_dynamic_stack: false
    .vgpr_count:     0
    .vgpr_spill_count: 0
    .wavefront_size: 64
  - .agpr_count:     0
    .args:
      - .offset:         0
        .size:           64
        .value_kind:     by_value
    .group_segment_fixed_size: 0
    .kernarg_segment_align: 8
    .kernarg_segment_size: 64
    .language:       OpenCL C
    .language_version:
      - 2
      - 0
    .max_flat_workgroup_size: 256
    .name:           _ZN7rocprim17ROCPRIM_400000_NS6detail17trampoline_kernelINS0_14default_configENS1_38merge_sort_block_merge_config_selectorIlNS0_10empty_typeEEEZZNS1_27merge_sort_block_merge_implIS3_PlPS5_mZN2at6native12_GLOBAL__N_124unique_dim_cuda_templateIN3c108BFloat16EEESt5tupleIJNSA_6TensorESH_SH_EERKSH_lbbbEUlllE_EE10hipError_tT0_T1_T2_jT3_P12ihipStream_tbPNSt15iterator_traitsISN_E10value_typeEPNST_ISO_E10value_typeEPSP_NS1_7vsmem_tEENKUlT_SN_SO_SP_E_clIS8_S8_S9_S9_EESM_S12_SN_SO_SP_EUlS12_E1_NS1_11comp_targetILNS1_3genE9ELNS1_11target_archE1100ELNS1_3gpuE3ELNS1_3repE0EEENS1_36merge_oddeven_config_static_selectorELNS0_4arch9wavefront6targetE1EEEvSO_
    .private_segment_fixed_size: 0
    .sgpr_count:     6
    .sgpr_spill_count: 0
    .symbol:         _ZN7rocprim17ROCPRIM_400000_NS6detail17trampoline_kernelINS0_14default_configENS1_38merge_sort_block_merge_config_selectorIlNS0_10empty_typeEEEZZNS1_27merge_sort_block_merge_implIS3_PlPS5_mZN2at6native12_GLOBAL__N_124unique_dim_cuda_templateIN3c108BFloat16EEESt5tupleIJNSA_6TensorESH_SH_EERKSH_lbbbEUlllE_EE10hipError_tT0_T1_T2_jT3_P12ihipStream_tbPNSt15iterator_traitsISN_E10value_typeEPNST_ISO_E10value_typeEPSP_NS1_7vsmem_tEENKUlT_SN_SO_SP_E_clIS8_S8_S9_S9_EESM_S12_SN_SO_SP_EUlS12_E1_NS1_11comp_targetILNS1_3genE9ELNS1_11target_archE1100ELNS1_3gpuE3ELNS1_3repE0EEENS1_36merge_oddeven_config_static_selectorELNS0_4arch9wavefront6targetE1EEEvSO_.kd
    .uniform_work_group_size: 1
    .uses_dynamic_stack: false
    .vgpr_count:     0
    .vgpr_spill_count: 0
    .wavefront_size: 64
  - .agpr_count:     0
    .args:
      - .offset:         0
        .size:           64
        .value_kind:     by_value
    .group_segment_fixed_size: 0
    .kernarg_segment_align: 8
    .kernarg_segment_size: 64
    .language:       OpenCL C
    .language_version:
      - 2
      - 0
    .max_flat_workgroup_size: 256
    .name:           _ZN7rocprim17ROCPRIM_400000_NS6detail17trampoline_kernelINS0_14default_configENS1_38merge_sort_block_merge_config_selectorIlNS0_10empty_typeEEEZZNS1_27merge_sort_block_merge_implIS3_PlPS5_mZN2at6native12_GLOBAL__N_124unique_dim_cuda_templateIN3c108BFloat16EEESt5tupleIJNSA_6TensorESH_SH_EERKSH_lbbbEUlllE_EE10hipError_tT0_T1_T2_jT3_P12ihipStream_tbPNSt15iterator_traitsISN_E10value_typeEPNST_ISO_E10value_typeEPSP_NS1_7vsmem_tEENKUlT_SN_SO_SP_E_clIS8_S8_S9_S9_EESM_S12_SN_SO_SP_EUlS12_E1_NS1_11comp_targetILNS1_3genE8ELNS1_11target_archE1030ELNS1_3gpuE2ELNS1_3repE0EEENS1_36merge_oddeven_config_static_selectorELNS0_4arch9wavefront6targetE1EEEvSO_
    .private_segment_fixed_size: 0
    .sgpr_count:     6
    .sgpr_spill_count: 0
    .symbol:         _ZN7rocprim17ROCPRIM_400000_NS6detail17trampoline_kernelINS0_14default_configENS1_38merge_sort_block_merge_config_selectorIlNS0_10empty_typeEEEZZNS1_27merge_sort_block_merge_implIS3_PlPS5_mZN2at6native12_GLOBAL__N_124unique_dim_cuda_templateIN3c108BFloat16EEESt5tupleIJNSA_6TensorESH_SH_EERKSH_lbbbEUlllE_EE10hipError_tT0_T1_T2_jT3_P12ihipStream_tbPNSt15iterator_traitsISN_E10value_typeEPNST_ISO_E10value_typeEPSP_NS1_7vsmem_tEENKUlT_SN_SO_SP_E_clIS8_S8_S9_S9_EESM_S12_SN_SO_SP_EUlS12_E1_NS1_11comp_targetILNS1_3genE8ELNS1_11target_archE1030ELNS1_3gpuE2ELNS1_3repE0EEENS1_36merge_oddeven_config_static_selectorELNS0_4arch9wavefront6targetE1EEEvSO_.kd
    .uniform_work_group_size: 1
    .uses_dynamic_stack: false
    .vgpr_count:     0
    .vgpr_spill_count: 0
    .wavefront_size: 64
  - .agpr_count:     0
    .args:
      - .offset:         0
        .size:           64
        .value_kind:     by_value
    .group_segment_fixed_size: 0
    .kernarg_segment_align: 8
    .kernarg_segment_size: 64
    .language:       OpenCL C
    .language_version:
      - 2
      - 0
    .max_flat_workgroup_size: 128
    .name:           _ZN7rocprim17ROCPRIM_400000_NS6detail17trampoline_kernelINS0_14default_configENS1_35adjacent_difference_config_selectorILb0ElEEZNS1_24adjacent_difference_implIS3_Lb0ELb0EPlS7_ZN2at6native12_GLOBAL__N_124unique_dim_cuda_templateIN3c108BFloat16EEESt5tupleIJNS8_6TensorESF_SF_EERKSF_lbbbEUlllE1_EE10hipError_tPvRmT2_T3_mT4_P12ihipStream_tbEUlT_E_NS1_11comp_targetILNS1_3genE0ELNS1_11target_archE4294967295ELNS1_3gpuE0ELNS1_3repE0EEENS1_30default_config_static_selectorELNS0_4arch9wavefront6targetE1EEEvT1_
    .private_segment_fixed_size: 0
    .sgpr_count:     6
    .sgpr_spill_count: 0
    .symbol:         _ZN7rocprim17ROCPRIM_400000_NS6detail17trampoline_kernelINS0_14default_configENS1_35adjacent_difference_config_selectorILb0ElEEZNS1_24adjacent_difference_implIS3_Lb0ELb0EPlS7_ZN2at6native12_GLOBAL__N_124unique_dim_cuda_templateIN3c108BFloat16EEESt5tupleIJNS8_6TensorESF_SF_EERKSF_lbbbEUlllE1_EE10hipError_tPvRmT2_T3_mT4_P12ihipStream_tbEUlT_E_NS1_11comp_targetILNS1_3genE0ELNS1_11target_archE4294967295ELNS1_3gpuE0ELNS1_3repE0EEENS1_30default_config_static_selectorELNS0_4arch9wavefront6targetE1EEEvT1_.kd
    .uniform_work_group_size: 1
    .uses_dynamic_stack: false
    .vgpr_count:     0
    .vgpr_spill_count: 0
    .wavefront_size: 64
  - .agpr_count:     0
    .args:
      - .offset:         0
        .size:           64
        .value_kind:     by_value
    .group_segment_fixed_size: 0
    .kernarg_segment_align: 8
    .kernarg_segment_size: 64
    .language:       OpenCL C
    .language_version:
      - 2
      - 0
    .max_flat_workgroup_size: 128
    .name:           _ZN7rocprim17ROCPRIM_400000_NS6detail17trampoline_kernelINS0_14default_configENS1_35adjacent_difference_config_selectorILb0ElEEZNS1_24adjacent_difference_implIS3_Lb0ELb0EPlS7_ZN2at6native12_GLOBAL__N_124unique_dim_cuda_templateIN3c108BFloat16EEESt5tupleIJNS8_6TensorESF_SF_EERKSF_lbbbEUlllE1_EE10hipError_tPvRmT2_T3_mT4_P12ihipStream_tbEUlT_E_NS1_11comp_targetILNS1_3genE10ELNS1_11target_archE1201ELNS1_3gpuE5ELNS1_3repE0EEENS1_30default_config_static_selectorELNS0_4arch9wavefront6targetE1EEEvT1_
    .private_segment_fixed_size: 0
    .sgpr_count:     6
    .sgpr_spill_count: 0
    .symbol:         _ZN7rocprim17ROCPRIM_400000_NS6detail17trampoline_kernelINS0_14default_configENS1_35adjacent_difference_config_selectorILb0ElEEZNS1_24adjacent_difference_implIS3_Lb0ELb0EPlS7_ZN2at6native12_GLOBAL__N_124unique_dim_cuda_templateIN3c108BFloat16EEESt5tupleIJNS8_6TensorESF_SF_EERKSF_lbbbEUlllE1_EE10hipError_tPvRmT2_T3_mT4_P12ihipStream_tbEUlT_E_NS1_11comp_targetILNS1_3genE10ELNS1_11target_archE1201ELNS1_3gpuE5ELNS1_3repE0EEENS1_30default_config_static_selectorELNS0_4arch9wavefront6targetE1EEEvT1_.kd
    .uniform_work_group_size: 1
    .uses_dynamic_stack: false
    .vgpr_count:     0
    .vgpr_spill_count: 0
    .wavefront_size: 64
  - .agpr_count:     0
    .args:
      - .offset:         0
        .size:           64
        .value_kind:     by_value
    .group_segment_fixed_size: 6656
    .kernarg_segment_align: 8
    .kernarg_segment_size: 64
    .language:       OpenCL C
    .language_version:
      - 2
      - 0
    .max_flat_workgroup_size: 64
    .name:           _ZN7rocprim17ROCPRIM_400000_NS6detail17trampoline_kernelINS0_14default_configENS1_35adjacent_difference_config_selectorILb0ElEEZNS1_24adjacent_difference_implIS3_Lb0ELb0EPlS7_ZN2at6native12_GLOBAL__N_124unique_dim_cuda_templateIN3c108BFloat16EEESt5tupleIJNS8_6TensorESF_SF_EERKSF_lbbbEUlllE1_EE10hipError_tPvRmT2_T3_mT4_P12ihipStream_tbEUlT_E_NS1_11comp_targetILNS1_3genE5ELNS1_11target_archE942ELNS1_3gpuE9ELNS1_3repE0EEENS1_30default_config_static_selectorELNS0_4arch9wavefront6targetE1EEEvT1_
    .private_segment_fixed_size: 0
    .sgpr_count:     44
    .sgpr_spill_count: 0
    .symbol:         _ZN7rocprim17ROCPRIM_400000_NS6detail17trampoline_kernelINS0_14default_configENS1_35adjacent_difference_config_selectorILb0ElEEZNS1_24adjacent_difference_implIS3_Lb0ELb0EPlS7_ZN2at6native12_GLOBAL__N_124unique_dim_cuda_templateIN3c108BFloat16EEESt5tupleIJNS8_6TensorESF_SF_EERKSF_lbbbEUlllE1_EE10hipError_tPvRmT2_T3_mT4_P12ihipStream_tbEUlT_E_NS1_11comp_targetILNS1_3genE5ELNS1_11target_archE942ELNS1_3gpuE9ELNS1_3repE0EEENS1_30default_config_static_selectorELNS0_4arch9wavefront6targetE1EEEvT1_.kd
    .uniform_work_group_size: 1
    .uses_dynamic_stack: false
    .vgpr_count:     84
    .vgpr_spill_count: 0
    .wavefront_size: 64
  - .agpr_count:     0
    .args:
      - .offset:         0
        .size:           64
        .value_kind:     by_value
    .group_segment_fixed_size: 0
    .kernarg_segment_align: 8
    .kernarg_segment_size: 64
    .language:       OpenCL C
    .language_version:
      - 2
      - 0
    .max_flat_workgroup_size: 256
    .name:           _ZN7rocprim17ROCPRIM_400000_NS6detail17trampoline_kernelINS0_14default_configENS1_35adjacent_difference_config_selectorILb0ElEEZNS1_24adjacent_difference_implIS3_Lb0ELb0EPlS7_ZN2at6native12_GLOBAL__N_124unique_dim_cuda_templateIN3c108BFloat16EEESt5tupleIJNS8_6TensorESF_SF_EERKSF_lbbbEUlllE1_EE10hipError_tPvRmT2_T3_mT4_P12ihipStream_tbEUlT_E_NS1_11comp_targetILNS1_3genE4ELNS1_11target_archE910ELNS1_3gpuE8ELNS1_3repE0EEENS1_30default_config_static_selectorELNS0_4arch9wavefront6targetE1EEEvT1_
    .private_segment_fixed_size: 0
    .sgpr_count:     6
    .sgpr_spill_count: 0
    .symbol:         _ZN7rocprim17ROCPRIM_400000_NS6detail17trampoline_kernelINS0_14default_configENS1_35adjacent_difference_config_selectorILb0ElEEZNS1_24adjacent_difference_implIS3_Lb0ELb0EPlS7_ZN2at6native12_GLOBAL__N_124unique_dim_cuda_templateIN3c108BFloat16EEESt5tupleIJNS8_6TensorESF_SF_EERKSF_lbbbEUlllE1_EE10hipError_tPvRmT2_T3_mT4_P12ihipStream_tbEUlT_E_NS1_11comp_targetILNS1_3genE4ELNS1_11target_archE910ELNS1_3gpuE8ELNS1_3repE0EEENS1_30default_config_static_selectorELNS0_4arch9wavefront6targetE1EEEvT1_.kd
    .uniform_work_group_size: 1
    .uses_dynamic_stack: false
    .vgpr_count:     0
    .vgpr_spill_count: 0
    .wavefront_size: 64
  - .agpr_count:     0
    .args:
      - .offset:         0
        .size:           64
        .value_kind:     by_value
    .group_segment_fixed_size: 0
    .kernarg_segment_align: 8
    .kernarg_segment_size: 64
    .language:       OpenCL C
    .language_version:
      - 2
      - 0
    .max_flat_workgroup_size: 128
    .name:           _ZN7rocprim17ROCPRIM_400000_NS6detail17trampoline_kernelINS0_14default_configENS1_35adjacent_difference_config_selectorILb0ElEEZNS1_24adjacent_difference_implIS3_Lb0ELb0EPlS7_ZN2at6native12_GLOBAL__N_124unique_dim_cuda_templateIN3c108BFloat16EEESt5tupleIJNS8_6TensorESF_SF_EERKSF_lbbbEUlllE1_EE10hipError_tPvRmT2_T3_mT4_P12ihipStream_tbEUlT_E_NS1_11comp_targetILNS1_3genE3ELNS1_11target_archE908ELNS1_3gpuE7ELNS1_3repE0EEENS1_30default_config_static_selectorELNS0_4arch9wavefront6targetE1EEEvT1_
    .private_segment_fixed_size: 0
    .sgpr_count:     6
    .sgpr_spill_count: 0
    .symbol:         _ZN7rocprim17ROCPRIM_400000_NS6detail17trampoline_kernelINS0_14default_configENS1_35adjacent_difference_config_selectorILb0ElEEZNS1_24adjacent_difference_implIS3_Lb0ELb0EPlS7_ZN2at6native12_GLOBAL__N_124unique_dim_cuda_templateIN3c108BFloat16EEESt5tupleIJNS8_6TensorESF_SF_EERKSF_lbbbEUlllE1_EE10hipError_tPvRmT2_T3_mT4_P12ihipStream_tbEUlT_E_NS1_11comp_targetILNS1_3genE3ELNS1_11target_archE908ELNS1_3gpuE7ELNS1_3repE0EEENS1_30default_config_static_selectorELNS0_4arch9wavefront6targetE1EEEvT1_.kd
    .uniform_work_group_size: 1
    .uses_dynamic_stack: false
    .vgpr_count:     0
    .vgpr_spill_count: 0
    .wavefront_size: 64
  - .agpr_count:     0
    .args:
      - .offset:         0
        .size:           64
        .value_kind:     by_value
    .group_segment_fixed_size: 0
    .kernarg_segment_align: 8
    .kernarg_segment_size: 64
    .language:       OpenCL C
    .language_version:
      - 2
      - 0
    .max_flat_workgroup_size: 128
    .name:           _ZN7rocprim17ROCPRIM_400000_NS6detail17trampoline_kernelINS0_14default_configENS1_35adjacent_difference_config_selectorILb0ElEEZNS1_24adjacent_difference_implIS3_Lb0ELb0EPlS7_ZN2at6native12_GLOBAL__N_124unique_dim_cuda_templateIN3c108BFloat16EEESt5tupleIJNS8_6TensorESF_SF_EERKSF_lbbbEUlllE1_EE10hipError_tPvRmT2_T3_mT4_P12ihipStream_tbEUlT_E_NS1_11comp_targetILNS1_3genE2ELNS1_11target_archE906ELNS1_3gpuE6ELNS1_3repE0EEENS1_30default_config_static_selectorELNS0_4arch9wavefront6targetE1EEEvT1_
    .private_segment_fixed_size: 0
    .sgpr_count:     6
    .sgpr_spill_count: 0
    .symbol:         _ZN7rocprim17ROCPRIM_400000_NS6detail17trampoline_kernelINS0_14default_configENS1_35adjacent_difference_config_selectorILb0ElEEZNS1_24adjacent_difference_implIS3_Lb0ELb0EPlS7_ZN2at6native12_GLOBAL__N_124unique_dim_cuda_templateIN3c108BFloat16EEESt5tupleIJNS8_6TensorESF_SF_EERKSF_lbbbEUlllE1_EE10hipError_tPvRmT2_T3_mT4_P12ihipStream_tbEUlT_E_NS1_11comp_targetILNS1_3genE2ELNS1_11target_archE906ELNS1_3gpuE6ELNS1_3repE0EEENS1_30default_config_static_selectorELNS0_4arch9wavefront6targetE1EEEvT1_.kd
    .uniform_work_group_size: 1
    .uses_dynamic_stack: false
    .vgpr_count:     0
    .vgpr_spill_count: 0
    .wavefront_size: 64
  - .agpr_count:     0
    .args:
      - .offset:         0
        .size:           64
        .value_kind:     by_value
    .group_segment_fixed_size: 0
    .kernarg_segment_align: 8
    .kernarg_segment_size: 64
    .language:       OpenCL C
    .language_version:
      - 2
      - 0
    .max_flat_workgroup_size: 512
    .name:           _ZN7rocprim17ROCPRIM_400000_NS6detail17trampoline_kernelINS0_14default_configENS1_35adjacent_difference_config_selectorILb0ElEEZNS1_24adjacent_difference_implIS3_Lb0ELb0EPlS7_ZN2at6native12_GLOBAL__N_124unique_dim_cuda_templateIN3c108BFloat16EEESt5tupleIJNS8_6TensorESF_SF_EERKSF_lbbbEUlllE1_EE10hipError_tPvRmT2_T3_mT4_P12ihipStream_tbEUlT_E_NS1_11comp_targetILNS1_3genE9ELNS1_11target_archE1100ELNS1_3gpuE3ELNS1_3repE0EEENS1_30default_config_static_selectorELNS0_4arch9wavefront6targetE1EEEvT1_
    .private_segment_fixed_size: 0
    .sgpr_count:     6
    .sgpr_spill_count: 0
    .symbol:         _ZN7rocprim17ROCPRIM_400000_NS6detail17trampoline_kernelINS0_14default_configENS1_35adjacent_difference_config_selectorILb0ElEEZNS1_24adjacent_difference_implIS3_Lb0ELb0EPlS7_ZN2at6native12_GLOBAL__N_124unique_dim_cuda_templateIN3c108BFloat16EEESt5tupleIJNS8_6TensorESF_SF_EERKSF_lbbbEUlllE1_EE10hipError_tPvRmT2_T3_mT4_P12ihipStream_tbEUlT_E_NS1_11comp_targetILNS1_3genE9ELNS1_11target_archE1100ELNS1_3gpuE3ELNS1_3repE0EEENS1_30default_config_static_selectorELNS0_4arch9wavefront6targetE1EEEvT1_.kd
    .uniform_work_group_size: 1
    .uses_dynamic_stack: false
    .vgpr_count:     0
    .vgpr_spill_count: 0
    .wavefront_size: 64
  - .agpr_count:     0
    .args:
      - .offset:         0
        .size:           64
        .value_kind:     by_value
    .group_segment_fixed_size: 0
    .kernarg_segment_align: 8
    .kernarg_segment_size: 64
    .language:       OpenCL C
    .language_version:
      - 2
      - 0
    .max_flat_workgroup_size: 1024
    .name:           _ZN7rocprim17ROCPRIM_400000_NS6detail17trampoline_kernelINS0_14default_configENS1_35adjacent_difference_config_selectorILb0ElEEZNS1_24adjacent_difference_implIS3_Lb0ELb0EPlS7_ZN2at6native12_GLOBAL__N_124unique_dim_cuda_templateIN3c108BFloat16EEESt5tupleIJNS8_6TensorESF_SF_EERKSF_lbbbEUlllE1_EE10hipError_tPvRmT2_T3_mT4_P12ihipStream_tbEUlT_E_NS1_11comp_targetILNS1_3genE8ELNS1_11target_archE1030ELNS1_3gpuE2ELNS1_3repE0EEENS1_30default_config_static_selectorELNS0_4arch9wavefront6targetE1EEEvT1_
    .private_segment_fixed_size: 0
    .sgpr_count:     6
    .sgpr_spill_count: 0
    .symbol:         _ZN7rocprim17ROCPRIM_400000_NS6detail17trampoline_kernelINS0_14default_configENS1_35adjacent_difference_config_selectorILb0ElEEZNS1_24adjacent_difference_implIS3_Lb0ELb0EPlS7_ZN2at6native12_GLOBAL__N_124unique_dim_cuda_templateIN3c108BFloat16EEESt5tupleIJNS8_6TensorESF_SF_EERKSF_lbbbEUlllE1_EE10hipError_tPvRmT2_T3_mT4_P12ihipStream_tbEUlT_E_NS1_11comp_targetILNS1_3genE8ELNS1_11target_archE1030ELNS1_3gpuE2ELNS1_3repE0EEENS1_30default_config_static_selectorELNS0_4arch9wavefront6targetE1EEEvT1_.kd
    .uniform_work_group_size: 1
    .uses_dynamic_stack: false
    .vgpr_count:     0
    .vgpr_spill_count: 0
    .wavefront_size: 64
  - .agpr_count:     0
    .args:
      - .offset:         0
        .size:           56
        .value_kind:     by_value
    .group_segment_fixed_size: 0
    .kernarg_segment_align: 8
    .kernarg_segment_size: 56
    .language:       OpenCL C
    .language_version:
      - 2
      - 0
    .max_flat_workgroup_size: 128
    .name:           _ZN7rocprim17ROCPRIM_400000_NS6detail17trampoline_kernelINS0_14default_configENS1_25transform_config_selectorIlLb0EEEZNS1_14transform_implILb0ES3_S5_NS0_18transform_iteratorINS0_17counting_iteratorImlEEZNS1_24adjacent_difference_implIS3_Lb1ELb0EPlSB_ZN2at6native12_GLOBAL__N_124unique_dim_cuda_templateIN3c108BFloat16EEESt5tupleIJNSC_6TensorESJ_SJ_EERKSJ_lbbbEUlllE1_EE10hipError_tPvRmT2_T3_mT4_P12ihipStream_tbEUlmE_lEESB_NS0_8identityIvEEEESO_SR_SS_mST_SV_bEUlT_E_NS1_11comp_targetILNS1_3genE0ELNS1_11target_archE4294967295ELNS1_3gpuE0ELNS1_3repE0EEENS1_30default_config_static_selectorELNS0_4arch9wavefront6targetE1EEEvT1_
    .private_segment_fixed_size: 0
    .sgpr_count:     6
    .sgpr_spill_count: 0
    .symbol:         _ZN7rocprim17ROCPRIM_400000_NS6detail17trampoline_kernelINS0_14default_configENS1_25transform_config_selectorIlLb0EEEZNS1_14transform_implILb0ES3_S5_NS0_18transform_iteratorINS0_17counting_iteratorImlEEZNS1_24adjacent_difference_implIS3_Lb1ELb0EPlSB_ZN2at6native12_GLOBAL__N_124unique_dim_cuda_templateIN3c108BFloat16EEESt5tupleIJNSC_6TensorESJ_SJ_EERKSJ_lbbbEUlllE1_EE10hipError_tPvRmT2_T3_mT4_P12ihipStream_tbEUlmE_lEESB_NS0_8identityIvEEEESO_SR_SS_mST_SV_bEUlT_E_NS1_11comp_targetILNS1_3genE0ELNS1_11target_archE4294967295ELNS1_3gpuE0ELNS1_3repE0EEENS1_30default_config_static_selectorELNS0_4arch9wavefront6targetE1EEEvT1_.kd
    .uniform_work_group_size: 1
    .uses_dynamic_stack: false
    .vgpr_count:     0
    .vgpr_spill_count: 0
    .wavefront_size: 64
  - .agpr_count:     0
    .args:
      - .offset:         0
        .size:           56
        .value_kind:     by_value
      - .offset:         56
        .size:           4
        .value_kind:     hidden_block_count_x
      - .offset:         60
        .size:           4
        .value_kind:     hidden_block_count_y
      - .offset:         64
        .size:           4
        .value_kind:     hidden_block_count_z
      - .offset:         68
        .size:           2
        .value_kind:     hidden_group_size_x
      - .offset:         70
        .size:           2
        .value_kind:     hidden_group_size_y
      - .offset:         72
        .size:           2
        .value_kind:     hidden_group_size_z
      - .offset:         74
        .size:           2
        .value_kind:     hidden_remainder_x
      - .offset:         76
        .size:           2
        .value_kind:     hidden_remainder_y
      - .offset:         78
        .size:           2
        .value_kind:     hidden_remainder_z
      - .offset:         96
        .size:           8
        .value_kind:     hidden_global_offset_x
      - .offset:         104
        .size:           8
        .value_kind:     hidden_global_offset_y
      - .offset:         112
        .size:           8
        .value_kind:     hidden_global_offset_z
      - .offset:         120
        .size:           2
        .value_kind:     hidden_grid_dims
    .group_segment_fixed_size: 0
    .kernarg_segment_align: 8
    .kernarg_segment_size: 312
    .language:       OpenCL C
    .language_version:
      - 2
      - 0
    .max_flat_workgroup_size: 512
    .name:           _ZN7rocprim17ROCPRIM_400000_NS6detail17trampoline_kernelINS0_14default_configENS1_25transform_config_selectorIlLb0EEEZNS1_14transform_implILb0ES3_S5_NS0_18transform_iteratorINS0_17counting_iteratorImlEEZNS1_24adjacent_difference_implIS3_Lb1ELb0EPlSB_ZN2at6native12_GLOBAL__N_124unique_dim_cuda_templateIN3c108BFloat16EEESt5tupleIJNSC_6TensorESJ_SJ_EERKSJ_lbbbEUlllE1_EE10hipError_tPvRmT2_T3_mT4_P12ihipStream_tbEUlmE_lEESB_NS0_8identityIvEEEESO_SR_SS_mST_SV_bEUlT_E_NS1_11comp_targetILNS1_3genE5ELNS1_11target_archE942ELNS1_3gpuE9ELNS1_3repE0EEENS1_30default_config_static_selectorELNS0_4arch9wavefront6targetE1EEEvT1_
    .private_segment_fixed_size: 0
    .sgpr_count:     26
    .sgpr_spill_count: 0
    .symbol:         _ZN7rocprim17ROCPRIM_400000_NS6detail17trampoline_kernelINS0_14default_configENS1_25transform_config_selectorIlLb0EEEZNS1_14transform_implILb0ES3_S5_NS0_18transform_iteratorINS0_17counting_iteratorImlEEZNS1_24adjacent_difference_implIS3_Lb1ELb0EPlSB_ZN2at6native12_GLOBAL__N_124unique_dim_cuda_templateIN3c108BFloat16EEESt5tupleIJNSC_6TensorESJ_SJ_EERKSJ_lbbbEUlllE1_EE10hipError_tPvRmT2_T3_mT4_P12ihipStream_tbEUlmE_lEESB_NS0_8identityIvEEEESO_SR_SS_mST_SV_bEUlT_E_NS1_11comp_targetILNS1_3genE5ELNS1_11target_archE942ELNS1_3gpuE9ELNS1_3repE0EEENS1_30default_config_static_selectorELNS0_4arch9wavefront6targetE1EEEvT1_.kd
    .uniform_work_group_size: 1
    .uses_dynamic_stack: false
    .vgpr_count:     12
    .vgpr_spill_count: 0
    .wavefront_size: 64
  - .agpr_count:     0
    .args:
      - .offset:         0
        .size:           56
        .value_kind:     by_value
    .group_segment_fixed_size: 0
    .kernarg_segment_align: 8
    .kernarg_segment_size: 56
    .language:       OpenCL C
    .language_version:
      - 2
      - 0
    .max_flat_workgroup_size: 256
    .name:           _ZN7rocprim17ROCPRIM_400000_NS6detail17trampoline_kernelINS0_14default_configENS1_25transform_config_selectorIlLb0EEEZNS1_14transform_implILb0ES3_S5_NS0_18transform_iteratorINS0_17counting_iteratorImlEEZNS1_24adjacent_difference_implIS3_Lb1ELb0EPlSB_ZN2at6native12_GLOBAL__N_124unique_dim_cuda_templateIN3c108BFloat16EEESt5tupleIJNSC_6TensorESJ_SJ_EERKSJ_lbbbEUlllE1_EE10hipError_tPvRmT2_T3_mT4_P12ihipStream_tbEUlmE_lEESB_NS0_8identityIvEEEESO_SR_SS_mST_SV_bEUlT_E_NS1_11comp_targetILNS1_3genE4ELNS1_11target_archE910ELNS1_3gpuE8ELNS1_3repE0EEENS1_30default_config_static_selectorELNS0_4arch9wavefront6targetE1EEEvT1_
    .private_segment_fixed_size: 0
    .sgpr_count:     6
    .sgpr_spill_count: 0
    .symbol:         _ZN7rocprim17ROCPRIM_400000_NS6detail17trampoline_kernelINS0_14default_configENS1_25transform_config_selectorIlLb0EEEZNS1_14transform_implILb0ES3_S5_NS0_18transform_iteratorINS0_17counting_iteratorImlEEZNS1_24adjacent_difference_implIS3_Lb1ELb0EPlSB_ZN2at6native12_GLOBAL__N_124unique_dim_cuda_templateIN3c108BFloat16EEESt5tupleIJNSC_6TensorESJ_SJ_EERKSJ_lbbbEUlllE1_EE10hipError_tPvRmT2_T3_mT4_P12ihipStream_tbEUlmE_lEESB_NS0_8identityIvEEEESO_SR_SS_mST_SV_bEUlT_E_NS1_11comp_targetILNS1_3genE4ELNS1_11target_archE910ELNS1_3gpuE8ELNS1_3repE0EEENS1_30default_config_static_selectorELNS0_4arch9wavefront6targetE1EEEvT1_.kd
    .uniform_work_group_size: 1
    .uses_dynamic_stack: false
    .vgpr_count:     0
    .vgpr_spill_count: 0
    .wavefront_size: 64
  - .agpr_count:     0
    .args:
      - .offset:         0
        .size:           56
        .value_kind:     by_value
    .group_segment_fixed_size: 0
    .kernarg_segment_align: 8
    .kernarg_segment_size: 56
    .language:       OpenCL C
    .language_version:
      - 2
      - 0
    .max_flat_workgroup_size: 128
    .name:           _ZN7rocprim17ROCPRIM_400000_NS6detail17trampoline_kernelINS0_14default_configENS1_25transform_config_selectorIlLb0EEEZNS1_14transform_implILb0ES3_S5_NS0_18transform_iteratorINS0_17counting_iteratorImlEEZNS1_24adjacent_difference_implIS3_Lb1ELb0EPlSB_ZN2at6native12_GLOBAL__N_124unique_dim_cuda_templateIN3c108BFloat16EEESt5tupleIJNSC_6TensorESJ_SJ_EERKSJ_lbbbEUlllE1_EE10hipError_tPvRmT2_T3_mT4_P12ihipStream_tbEUlmE_lEESB_NS0_8identityIvEEEESO_SR_SS_mST_SV_bEUlT_E_NS1_11comp_targetILNS1_3genE3ELNS1_11target_archE908ELNS1_3gpuE7ELNS1_3repE0EEENS1_30default_config_static_selectorELNS0_4arch9wavefront6targetE1EEEvT1_
    .private_segment_fixed_size: 0
    .sgpr_count:     6
    .sgpr_spill_count: 0
    .symbol:         _ZN7rocprim17ROCPRIM_400000_NS6detail17trampoline_kernelINS0_14default_configENS1_25transform_config_selectorIlLb0EEEZNS1_14transform_implILb0ES3_S5_NS0_18transform_iteratorINS0_17counting_iteratorImlEEZNS1_24adjacent_difference_implIS3_Lb1ELb0EPlSB_ZN2at6native12_GLOBAL__N_124unique_dim_cuda_templateIN3c108BFloat16EEESt5tupleIJNSC_6TensorESJ_SJ_EERKSJ_lbbbEUlllE1_EE10hipError_tPvRmT2_T3_mT4_P12ihipStream_tbEUlmE_lEESB_NS0_8identityIvEEEESO_SR_SS_mST_SV_bEUlT_E_NS1_11comp_targetILNS1_3genE3ELNS1_11target_archE908ELNS1_3gpuE7ELNS1_3repE0EEENS1_30default_config_static_selectorELNS0_4arch9wavefront6targetE1EEEvT1_.kd
    .uniform_work_group_size: 1
    .uses_dynamic_stack: false
    .vgpr_count:     0
    .vgpr_spill_count: 0
    .wavefront_size: 64
  - .agpr_count:     0
    .args:
      - .offset:         0
        .size:           56
        .value_kind:     by_value
    .group_segment_fixed_size: 0
    .kernarg_segment_align: 8
    .kernarg_segment_size: 56
    .language:       OpenCL C
    .language_version:
      - 2
      - 0
    .max_flat_workgroup_size: 512
    .name:           _ZN7rocprim17ROCPRIM_400000_NS6detail17trampoline_kernelINS0_14default_configENS1_25transform_config_selectorIlLb0EEEZNS1_14transform_implILb0ES3_S5_NS0_18transform_iteratorINS0_17counting_iteratorImlEEZNS1_24adjacent_difference_implIS3_Lb1ELb0EPlSB_ZN2at6native12_GLOBAL__N_124unique_dim_cuda_templateIN3c108BFloat16EEESt5tupleIJNSC_6TensorESJ_SJ_EERKSJ_lbbbEUlllE1_EE10hipError_tPvRmT2_T3_mT4_P12ihipStream_tbEUlmE_lEESB_NS0_8identityIvEEEESO_SR_SS_mST_SV_bEUlT_E_NS1_11comp_targetILNS1_3genE2ELNS1_11target_archE906ELNS1_3gpuE6ELNS1_3repE0EEENS1_30default_config_static_selectorELNS0_4arch9wavefront6targetE1EEEvT1_
    .private_segment_fixed_size: 0
    .sgpr_count:     6
    .sgpr_spill_count: 0
    .symbol:         _ZN7rocprim17ROCPRIM_400000_NS6detail17trampoline_kernelINS0_14default_configENS1_25transform_config_selectorIlLb0EEEZNS1_14transform_implILb0ES3_S5_NS0_18transform_iteratorINS0_17counting_iteratorImlEEZNS1_24adjacent_difference_implIS3_Lb1ELb0EPlSB_ZN2at6native12_GLOBAL__N_124unique_dim_cuda_templateIN3c108BFloat16EEESt5tupleIJNSC_6TensorESJ_SJ_EERKSJ_lbbbEUlllE1_EE10hipError_tPvRmT2_T3_mT4_P12ihipStream_tbEUlmE_lEESB_NS0_8identityIvEEEESO_SR_SS_mST_SV_bEUlT_E_NS1_11comp_targetILNS1_3genE2ELNS1_11target_archE906ELNS1_3gpuE6ELNS1_3repE0EEENS1_30default_config_static_selectorELNS0_4arch9wavefront6targetE1EEEvT1_.kd
    .uniform_work_group_size: 1
    .uses_dynamic_stack: false
    .vgpr_count:     0
    .vgpr_spill_count: 0
    .wavefront_size: 64
  - .agpr_count:     0
    .args:
      - .offset:         0
        .size:           56
        .value_kind:     by_value
    .group_segment_fixed_size: 0
    .kernarg_segment_align: 8
    .kernarg_segment_size: 56
    .language:       OpenCL C
    .language_version:
      - 2
      - 0
    .max_flat_workgroup_size: 1024
    .name:           _ZN7rocprim17ROCPRIM_400000_NS6detail17trampoline_kernelINS0_14default_configENS1_25transform_config_selectorIlLb0EEEZNS1_14transform_implILb0ES3_S5_NS0_18transform_iteratorINS0_17counting_iteratorImlEEZNS1_24adjacent_difference_implIS3_Lb1ELb0EPlSB_ZN2at6native12_GLOBAL__N_124unique_dim_cuda_templateIN3c108BFloat16EEESt5tupleIJNSC_6TensorESJ_SJ_EERKSJ_lbbbEUlllE1_EE10hipError_tPvRmT2_T3_mT4_P12ihipStream_tbEUlmE_lEESB_NS0_8identityIvEEEESO_SR_SS_mST_SV_bEUlT_E_NS1_11comp_targetILNS1_3genE10ELNS1_11target_archE1201ELNS1_3gpuE5ELNS1_3repE0EEENS1_30default_config_static_selectorELNS0_4arch9wavefront6targetE1EEEvT1_
    .private_segment_fixed_size: 0
    .sgpr_count:     6
    .sgpr_spill_count: 0
    .symbol:         _ZN7rocprim17ROCPRIM_400000_NS6detail17trampoline_kernelINS0_14default_configENS1_25transform_config_selectorIlLb0EEEZNS1_14transform_implILb0ES3_S5_NS0_18transform_iteratorINS0_17counting_iteratorImlEEZNS1_24adjacent_difference_implIS3_Lb1ELb0EPlSB_ZN2at6native12_GLOBAL__N_124unique_dim_cuda_templateIN3c108BFloat16EEESt5tupleIJNSC_6TensorESJ_SJ_EERKSJ_lbbbEUlllE1_EE10hipError_tPvRmT2_T3_mT4_P12ihipStream_tbEUlmE_lEESB_NS0_8identityIvEEEESO_SR_SS_mST_SV_bEUlT_E_NS1_11comp_targetILNS1_3genE10ELNS1_11target_archE1201ELNS1_3gpuE5ELNS1_3repE0EEENS1_30default_config_static_selectorELNS0_4arch9wavefront6targetE1EEEvT1_.kd
    .uniform_work_group_size: 1
    .uses_dynamic_stack: false
    .vgpr_count:     0
    .vgpr_spill_count: 0
    .wavefront_size: 64
  - .agpr_count:     0
    .args:
      - .offset:         0
        .size:           56
        .value_kind:     by_value
    .group_segment_fixed_size: 0
    .kernarg_segment_align: 8
    .kernarg_segment_size: 56
    .language:       OpenCL C
    .language_version:
      - 2
      - 0
    .max_flat_workgroup_size: 512
    .name:           _ZN7rocprim17ROCPRIM_400000_NS6detail17trampoline_kernelINS0_14default_configENS1_25transform_config_selectorIlLb0EEEZNS1_14transform_implILb0ES3_S5_NS0_18transform_iteratorINS0_17counting_iteratorImlEEZNS1_24adjacent_difference_implIS3_Lb1ELb0EPlSB_ZN2at6native12_GLOBAL__N_124unique_dim_cuda_templateIN3c108BFloat16EEESt5tupleIJNSC_6TensorESJ_SJ_EERKSJ_lbbbEUlllE1_EE10hipError_tPvRmT2_T3_mT4_P12ihipStream_tbEUlmE_lEESB_NS0_8identityIvEEEESO_SR_SS_mST_SV_bEUlT_E_NS1_11comp_targetILNS1_3genE10ELNS1_11target_archE1200ELNS1_3gpuE4ELNS1_3repE0EEENS1_30default_config_static_selectorELNS0_4arch9wavefront6targetE1EEEvT1_
    .private_segment_fixed_size: 0
    .sgpr_count:     6
    .sgpr_spill_count: 0
    .symbol:         _ZN7rocprim17ROCPRIM_400000_NS6detail17trampoline_kernelINS0_14default_configENS1_25transform_config_selectorIlLb0EEEZNS1_14transform_implILb0ES3_S5_NS0_18transform_iteratorINS0_17counting_iteratorImlEEZNS1_24adjacent_difference_implIS3_Lb1ELb0EPlSB_ZN2at6native12_GLOBAL__N_124unique_dim_cuda_templateIN3c108BFloat16EEESt5tupleIJNSC_6TensorESJ_SJ_EERKSJ_lbbbEUlllE1_EE10hipError_tPvRmT2_T3_mT4_P12ihipStream_tbEUlmE_lEESB_NS0_8identityIvEEEESO_SR_SS_mST_SV_bEUlT_E_NS1_11comp_targetILNS1_3genE10ELNS1_11target_archE1200ELNS1_3gpuE4ELNS1_3repE0EEENS1_30default_config_static_selectorELNS0_4arch9wavefront6targetE1EEEvT1_.kd
    .uniform_work_group_size: 1
    .uses_dynamic_stack: false
    .vgpr_count:     0
    .vgpr_spill_count: 0
    .wavefront_size: 64
  - .agpr_count:     0
    .args:
      - .offset:         0
        .size:           56
        .value_kind:     by_value
    .group_segment_fixed_size: 0
    .kernarg_segment_align: 8
    .kernarg_segment_size: 56
    .language:       OpenCL C
    .language_version:
      - 2
      - 0
    .max_flat_workgroup_size: 512
    .name:           _ZN7rocprim17ROCPRIM_400000_NS6detail17trampoline_kernelINS0_14default_configENS1_25transform_config_selectorIlLb0EEEZNS1_14transform_implILb0ES3_S5_NS0_18transform_iteratorINS0_17counting_iteratorImlEEZNS1_24adjacent_difference_implIS3_Lb1ELb0EPlSB_ZN2at6native12_GLOBAL__N_124unique_dim_cuda_templateIN3c108BFloat16EEESt5tupleIJNSC_6TensorESJ_SJ_EERKSJ_lbbbEUlllE1_EE10hipError_tPvRmT2_T3_mT4_P12ihipStream_tbEUlmE_lEESB_NS0_8identityIvEEEESO_SR_SS_mST_SV_bEUlT_E_NS1_11comp_targetILNS1_3genE9ELNS1_11target_archE1100ELNS1_3gpuE3ELNS1_3repE0EEENS1_30default_config_static_selectorELNS0_4arch9wavefront6targetE1EEEvT1_
    .private_segment_fixed_size: 0
    .sgpr_count:     6
    .sgpr_spill_count: 0
    .symbol:         _ZN7rocprim17ROCPRIM_400000_NS6detail17trampoline_kernelINS0_14default_configENS1_25transform_config_selectorIlLb0EEEZNS1_14transform_implILb0ES3_S5_NS0_18transform_iteratorINS0_17counting_iteratorImlEEZNS1_24adjacent_difference_implIS3_Lb1ELb0EPlSB_ZN2at6native12_GLOBAL__N_124unique_dim_cuda_templateIN3c108BFloat16EEESt5tupleIJNSC_6TensorESJ_SJ_EERKSJ_lbbbEUlllE1_EE10hipError_tPvRmT2_T3_mT4_P12ihipStream_tbEUlmE_lEESB_NS0_8identityIvEEEESO_SR_SS_mST_SV_bEUlT_E_NS1_11comp_targetILNS1_3genE9ELNS1_11target_archE1100ELNS1_3gpuE3ELNS1_3repE0EEENS1_30default_config_static_selectorELNS0_4arch9wavefront6targetE1EEEvT1_.kd
    .uniform_work_group_size: 1
    .uses_dynamic_stack: false
    .vgpr_count:     0
    .vgpr_spill_count: 0
    .wavefront_size: 64
  - .agpr_count:     0
    .args:
      - .offset:         0
        .size:           56
        .value_kind:     by_value
    .group_segment_fixed_size: 0
    .kernarg_segment_align: 8
    .kernarg_segment_size: 56
    .language:       OpenCL C
    .language_version:
      - 2
      - 0
    .max_flat_workgroup_size: 512
    .name:           _ZN7rocprim17ROCPRIM_400000_NS6detail17trampoline_kernelINS0_14default_configENS1_25transform_config_selectorIlLb0EEEZNS1_14transform_implILb0ES3_S5_NS0_18transform_iteratorINS0_17counting_iteratorImlEEZNS1_24adjacent_difference_implIS3_Lb1ELb0EPlSB_ZN2at6native12_GLOBAL__N_124unique_dim_cuda_templateIN3c108BFloat16EEESt5tupleIJNSC_6TensorESJ_SJ_EERKSJ_lbbbEUlllE1_EE10hipError_tPvRmT2_T3_mT4_P12ihipStream_tbEUlmE_lEESB_NS0_8identityIvEEEESO_SR_SS_mST_SV_bEUlT_E_NS1_11comp_targetILNS1_3genE8ELNS1_11target_archE1030ELNS1_3gpuE2ELNS1_3repE0EEENS1_30default_config_static_selectorELNS0_4arch9wavefront6targetE1EEEvT1_
    .private_segment_fixed_size: 0
    .sgpr_count:     6
    .sgpr_spill_count: 0
    .symbol:         _ZN7rocprim17ROCPRIM_400000_NS6detail17trampoline_kernelINS0_14default_configENS1_25transform_config_selectorIlLb0EEEZNS1_14transform_implILb0ES3_S5_NS0_18transform_iteratorINS0_17counting_iteratorImlEEZNS1_24adjacent_difference_implIS3_Lb1ELb0EPlSB_ZN2at6native12_GLOBAL__N_124unique_dim_cuda_templateIN3c108BFloat16EEESt5tupleIJNSC_6TensorESJ_SJ_EERKSJ_lbbbEUlllE1_EE10hipError_tPvRmT2_T3_mT4_P12ihipStream_tbEUlmE_lEESB_NS0_8identityIvEEEESO_SR_SS_mST_SV_bEUlT_E_NS1_11comp_targetILNS1_3genE8ELNS1_11target_archE1030ELNS1_3gpuE2ELNS1_3repE0EEENS1_30default_config_static_selectorELNS0_4arch9wavefront6targetE1EEEvT1_.kd
    .uniform_work_group_size: 1
    .uses_dynamic_stack: false
    .vgpr_count:     0
    .vgpr_spill_count: 0
    .wavefront_size: 64
  - .agpr_count:     0
    .args:
      - .offset:         0
        .size:           64
        .value_kind:     by_value
    .group_segment_fixed_size: 0
    .kernarg_segment_align: 8
    .kernarg_segment_size: 64
    .language:       OpenCL C
    .language_version:
      - 2
      - 0
    .max_flat_workgroup_size: 512
    .name:           _ZN7rocprim17ROCPRIM_400000_NS6detail17trampoline_kernelINS0_14default_configENS1_35adjacent_difference_config_selectorILb1ElEEZNS1_24adjacent_difference_implIS3_Lb1ELb0EPlS7_ZN2at6native12_GLOBAL__N_124unique_dim_cuda_templateIN3c108BFloat16EEESt5tupleIJNS8_6TensorESF_SF_EERKSF_lbbbEUlllE1_EE10hipError_tPvRmT2_T3_mT4_P12ihipStream_tbEUlT_E_NS1_11comp_targetILNS1_3genE0ELNS1_11target_archE4294967295ELNS1_3gpuE0ELNS1_3repE0EEENS1_30default_config_static_selectorELNS0_4arch9wavefront6targetE1EEEvT1_
    .private_segment_fixed_size: 0
    .sgpr_count:     6
    .sgpr_spill_count: 0
    .symbol:         _ZN7rocprim17ROCPRIM_400000_NS6detail17trampoline_kernelINS0_14default_configENS1_35adjacent_difference_config_selectorILb1ElEEZNS1_24adjacent_difference_implIS3_Lb1ELb0EPlS7_ZN2at6native12_GLOBAL__N_124unique_dim_cuda_templateIN3c108BFloat16EEESt5tupleIJNS8_6TensorESF_SF_EERKSF_lbbbEUlllE1_EE10hipError_tPvRmT2_T3_mT4_P12ihipStream_tbEUlT_E_NS1_11comp_targetILNS1_3genE0ELNS1_11target_archE4294967295ELNS1_3gpuE0ELNS1_3repE0EEENS1_30default_config_static_selectorELNS0_4arch9wavefront6targetE1EEEvT1_.kd
    .uniform_work_group_size: 1
    .uses_dynamic_stack: false
    .vgpr_count:     0
    .vgpr_spill_count: 0
    .wavefront_size: 64
  - .agpr_count:     0
    .args:
      - .offset:         0
        .size:           64
        .value_kind:     by_value
    .group_segment_fixed_size: 0
    .kernarg_segment_align: 8
    .kernarg_segment_size: 64
    .language:       OpenCL C
    .language_version:
      - 2
      - 0
    .max_flat_workgroup_size: 32
    .name:           _ZN7rocprim17ROCPRIM_400000_NS6detail17trampoline_kernelINS0_14default_configENS1_35adjacent_difference_config_selectorILb1ElEEZNS1_24adjacent_difference_implIS3_Lb1ELb0EPlS7_ZN2at6native12_GLOBAL__N_124unique_dim_cuda_templateIN3c108BFloat16EEESt5tupleIJNS8_6TensorESF_SF_EERKSF_lbbbEUlllE1_EE10hipError_tPvRmT2_T3_mT4_P12ihipStream_tbEUlT_E_NS1_11comp_targetILNS1_3genE10ELNS1_11target_archE1201ELNS1_3gpuE5ELNS1_3repE0EEENS1_30default_config_static_selectorELNS0_4arch9wavefront6targetE1EEEvT1_
    .private_segment_fixed_size: 0
    .sgpr_count:     6
    .sgpr_spill_count: 0
    .symbol:         _ZN7rocprim17ROCPRIM_400000_NS6detail17trampoline_kernelINS0_14default_configENS1_35adjacent_difference_config_selectorILb1ElEEZNS1_24adjacent_difference_implIS3_Lb1ELb0EPlS7_ZN2at6native12_GLOBAL__N_124unique_dim_cuda_templateIN3c108BFloat16EEESt5tupleIJNS8_6TensorESF_SF_EERKSF_lbbbEUlllE1_EE10hipError_tPvRmT2_T3_mT4_P12ihipStream_tbEUlT_E_NS1_11comp_targetILNS1_3genE10ELNS1_11target_archE1201ELNS1_3gpuE5ELNS1_3repE0EEENS1_30default_config_static_selectorELNS0_4arch9wavefront6targetE1EEEvT1_.kd
    .uniform_work_group_size: 1
    .uses_dynamic_stack: false
    .vgpr_count:     0
    .vgpr_spill_count: 0
    .wavefront_size: 64
  - .agpr_count:     0
    .args:
      - .offset:         0
        .size:           64
        .value_kind:     by_value
    .group_segment_fixed_size: 22528
    .kernarg_segment_align: 8
    .kernarg_segment_size: 64
    .language:       OpenCL C
    .language_version:
      - 2
      - 0
    .max_flat_workgroup_size: 256
    .name:           _ZN7rocprim17ROCPRIM_400000_NS6detail17trampoline_kernelINS0_14default_configENS1_35adjacent_difference_config_selectorILb1ElEEZNS1_24adjacent_difference_implIS3_Lb1ELb0EPlS7_ZN2at6native12_GLOBAL__N_124unique_dim_cuda_templateIN3c108BFloat16EEESt5tupleIJNS8_6TensorESF_SF_EERKSF_lbbbEUlllE1_EE10hipError_tPvRmT2_T3_mT4_P12ihipStream_tbEUlT_E_NS1_11comp_targetILNS1_3genE5ELNS1_11target_archE942ELNS1_3gpuE9ELNS1_3repE0EEENS1_30default_config_static_selectorELNS0_4arch9wavefront6targetE1EEEvT1_
    .private_segment_fixed_size: 0
    .sgpr_count:     44
    .sgpr_spill_count: 0
    .symbol:         _ZN7rocprim17ROCPRIM_400000_NS6detail17trampoline_kernelINS0_14default_configENS1_35adjacent_difference_config_selectorILb1ElEEZNS1_24adjacent_difference_implIS3_Lb1ELb0EPlS7_ZN2at6native12_GLOBAL__N_124unique_dim_cuda_templateIN3c108BFloat16EEESt5tupleIJNS8_6TensorESF_SF_EERKSF_lbbbEUlllE1_EE10hipError_tPvRmT2_T3_mT4_P12ihipStream_tbEUlT_E_NS1_11comp_targetILNS1_3genE5ELNS1_11target_archE942ELNS1_3gpuE9ELNS1_3repE0EEENS1_30default_config_static_selectorELNS0_4arch9wavefront6targetE1EEEvT1_.kd
    .uniform_work_group_size: 1
    .uses_dynamic_stack: false
    .vgpr_count:     70
    .vgpr_spill_count: 0
    .wavefront_size: 64
  - .agpr_count:     0
    .args:
      - .offset:         0
        .size:           64
        .value_kind:     by_value
    .group_segment_fixed_size: 0
    .kernarg_segment_align: 8
    .kernarg_segment_size: 64
    .language:       OpenCL C
    .language_version:
      - 2
      - 0
    .max_flat_workgroup_size: 512
    .name:           _ZN7rocprim17ROCPRIM_400000_NS6detail17trampoline_kernelINS0_14default_configENS1_35adjacent_difference_config_selectorILb1ElEEZNS1_24adjacent_difference_implIS3_Lb1ELb0EPlS7_ZN2at6native12_GLOBAL__N_124unique_dim_cuda_templateIN3c108BFloat16EEESt5tupleIJNS8_6TensorESF_SF_EERKSF_lbbbEUlllE1_EE10hipError_tPvRmT2_T3_mT4_P12ihipStream_tbEUlT_E_NS1_11comp_targetILNS1_3genE4ELNS1_11target_archE910ELNS1_3gpuE8ELNS1_3repE0EEENS1_30default_config_static_selectorELNS0_4arch9wavefront6targetE1EEEvT1_
    .private_segment_fixed_size: 0
    .sgpr_count:     6
    .sgpr_spill_count: 0
    .symbol:         _ZN7rocprim17ROCPRIM_400000_NS6detail17trampoline_kernelINS0_14default_configENS1_35adjacent_difference_config_selectorILb1ElEEZNS1_24adjacent_difference_implIS3_Lb1ELb0EPlS7_ZN2at6native12_GLOBAL__N_124unique_dim_cuda_templateIN3c108BFloat16EEESt5tupleIJNS8_6TensorESF_SF_EERKSF_lbbbEUlllE1_EE10hipError_tPvRmT2_T3_mT4_P12ihipStream_tbEUlT_E_NS1_11comp_targetILNS1_3genE4ELNS1_11target_archE910ELNS1_3gpuE8ELNS1_3repE0EEENS1_30default_config_static_selectorELNS0_4arch9wavefront6targetE1EEEvT1_.kd
    .uniform_work_group_size: 1
    .uses_dynamic_stack: false
    .vgpr_count:     0
    .vgpr_spill_count: 0
    .wavefront_size: 64
  - .agpr_count:     0
    .args:
      - .offset:         0
        .size:           64
        .value_kind:     by_value
    .group_segment_fixed_size: 0
    .kernarg_segment_align: 8
    .kernarg_segment_size: 64
    .language:       OpenCL C
    .language_version:
      - 2
      - 0
    .max_flat_workgroup_size: 512
    .name:           _ZN7rocprim17ROCPRIM_400000_NS6detail17trampoline_kernelINS0_14default_configENS1_35adjacent_difference_config_selectorILb1ElEEZNS1_24adjacent_difference_implIS3_Lb1ELb0EPlS7_ZN2at6native12_GLOBAL__N_124unique_dim_cuda_templateIN3c108BFloat16EEESt5tupleIJNS8_6TensorESF_SF_EERKSF_lbbbEUlllE1_EE10hipError_tPvRmT2_T3_mT4_P12ihipStream_tbEUlT_E_NS1_11comp_targetILNS1_3genE3ELNS1_11target_archE908ELNS1_3gpuE7ELNS1_3repE0EEENS1_30default_config_static_selectorELNS0_4arch9wavefront6targetE1EEEvT1_
    .private_segment_fixed_size: 0
    .sgpr_count:     6
    .sgpr_spill_count: 0
    .symbol:         _ZN7rocprim17ROCPRIM_400000_NS6detail17trampoline_kernelINS0_14default_configENS1_35adjacent_difference_config_selectorILb1ElEEZNS1_24adjacent_difference_implIS3_Lb1ELb0EPlS7_ZN2at6native12_GLOBAL__N_124unique_dim_cuda_templateIN3c108BFloat16EEESt5tupleIJNS8_6TensorESF_SF_EERKSF_lbbbEUlllE1_EE10hipError_tPvRmT2_T3_mT4_P12ihipStream_tbEUlT_E_NS1_11comp_targetILNS1_3genE3ELNS1_11target_archE908ELNS1_3gpuE7ELNS1_3repE0EEENS1_30default_config_static_selectorELNS0_4arch9wavefront6targetE1EEEvT1_.kd
    .uniform_work_group_size: 1
    .uses_dynamic_stack: false
    .vgpr_count:     0
    .vgpr_spill_count: 0
    .wavefront_size: 64
  - .agpr_count:     0
    .args:
      - .offset:         0
        .size:           64
        .value_kind:     by_value
    .group_segment_fixed_size: 0
    .kernarg_segment_align: 8
    .kernarg_segment_size: 64
    .language:       OpenCL C
    .language_version:
      - 2
      - 0
    .max_flat_workgroup_size: 128
    .name:           _ZN7rocprim17ROCPRIM_400000_NS6detail17trampoline_kernelINS0_14default_configENS1_35adjacent_difference_config_selectorILb1ElEEZNS1_24adjacent_difference_implIS3_Lb1ELb0EPlS7_ZN2at6native12_GLOBAL__N_124unique_dim_cuda_templateIN3c108BFloat16EEESt5tupleIJNS8_6TensorESF_SF_EERKSF_lbbbEUlllE1_EE10hipError_tPvRmT2_T3_mT4_P12ihipStream_tbEUlT_E_NS1_11comp_targetILNS1_3genE2ELNS1_11target_archE906ELNS1_3gpuE6ELNS1_3repE0EEENS1_30default_config_static_selectorELNS0_4arch9wavefront6targetE1EEEvT1_
    .private_segment_fixed_size: 0
    .sgpr_count:     6
    .sgpr_spill_count: 0
    .symbol:         _ZN7rocprim17ROCPRIM_400000_NS6detail17trampoline_kernelINS0_14default_configENS1_35adjacent_difference_config_selectorILb1ElEEZNS1_24adjacent_difference_implIS3_Lb1ELb0EPlS7_ZN2at6native12_GLOBAL__N_124unique_dim_cuda_templateIN3c108BFloat16EEESt5tupleIJNS8_6TensorESF_SF_EERKSF_lbbbEUlllE1_EE10hipError_tPvRmT2_T3_mT4_P12ihipStream_tbEUlT_E_NS1_11comp_targetILNS1_3genE2ELNS1_11target_archE906ELNS1_3gpuE6ELNS1_3repE0EEENS1_30default_config_static_selectorELNS0_4arch9wavefront6targetE1EEEvT1_.kd
    .uniform_work_group_size: 1
    .uses_dynamic_stack: false
    .vgpr_count:     0
    .vgpr_spill_count: 0
    .wavefront_size: 64
  - .agpr_count:     0
    .args:
      - .offset:         0
        .size:           64
        .value_kind:     by_value
    .group_segment_fixed_size: 0
    .kernarg_segment_align: 8
    .kernarg_segment_size: 64
    .language:       OpenCL C
    .language_version:
      - 2
      - 0
    .max_flat_workgroup_size: 128
    .name:           _ZN7rocprim17ROCPRIM_400000_NS6detail17trampoline_kernelINS0_14default_configENS1_35adjacent_difference_config_selectorILb1ElEEZNS1_24adjacent_difference_implIS3_Lb1ELb0EPlS7_ZN2at6native12_GLOBAL__N_124unique_dim_cuda_templateIN3c108BFloat16EEESt5tupleIJNS8_6TensorESF_SF_EERKSF_lbbbEUlllE1_EE10hipError_tPvRmT2_T3_mT4_P12ihipStream_tbEUlT_E_NS1_11comp_targetILNS1_3genE9ELNS1_11target_archE1100ELNS1_3gpuE3ELNS1_3repE0EEENS1_30default_config_static_selectorELNS0_4arch9wavefront6targetE1EEEvT1_
    .private_segment_fixed_size: 0
    .sgpr_count:     6
    .sgpr_spill_count: 0
    .symbol:         _ZN7rocprim17ROCPRIM_400000_NS6detail17trampoline_kernelINS0_14default_configENS1_35adjacent_difference_config_selectorILb1ElEEZNS1_24adjacent_difference_implIS3_Lb1ELb0EPlS7_ZN2at6native12_GLOBAL__N_124unique_dim_cuda_templateIN3c108BFloat16EEESt5tupleIJNS8_6TensorESF_SF_EERKSF_lbbbEUlllE1_EE10hipError_tPvRmT2_T3_mT4_P12ihipStream_tbEUlT_E_NS1_11comp_targetILNS1_3genE9ELNS1_11target_archE1100ELNS1_3gpuE3ELNS1_3repE0EEENS1_30default_config_static_selectorELNS0_4arch9wavefront6targetE1EEEvT1_.kd
    .uniform_work_group_size: 1
    .uses_dynamic_stack: false
    .vgpr_count:     0
    .vgpr_spill_count: 0
    .wavefront_size: 64
  - .agpr_count:     0
    .args:
      - .offset:         0
        .size:           64
        .value_kind:     by_value
    .group_segment_fixed_size: 0
    .kernarg_segment_align: 8
    .kernarg_segment_size: 64
    .language:       OpenCL C
    .language_version:
      - 2
      - 0
    .max_flat_workgroup_size: 32
    .name:           _ZN7rocprim17ROCPRIM_400000_NS6detail17trampoline_kernelINS0_14default_configENS1_35adjacent_difference_config_selectorILb1ElEEZNS1_24adjacent_difference_implIS3_Lb1ELb0EPlS7_ZN2at6native12_GLOBAL__N_124unique_dim_cuda_templateIN3c108BFloat16EEESt5tupleIJNS8_6TensorESF_SF_EERKSF_lbbbEUlllE1_EE10hipError_tPvRmT2_T3_mT4_P12ihipStream_tbEUlT_E_NS1_11comp_targetILNS1_3genE8ELNS1_11target_archE1030ELNS1_3gpuE2ELNS1_3repE0EEENS1_30default_config_static_selectorELNS0_4arch9wavefront6targetE1EEEvT1_
    .private_segment_fixed_size: 0
    .sgpr_count:     6
    .sgpr_spill_count: 0
    .symbol:         _ZN7rocprim17ROCPRIM_400000_NS6detail17trampoline_kernelINS0_14default_configENS1_35adjacent_difference_config_selectorILb1ElEEZNS1_24adjacent_difference_implIS3_Lb1ELb0EPlS7_ZN2at6native12_GLOBAL__N_124unique_dim_cuda_templateIN3c108BFloat16EEESt5tupleIJNS8_6TensorESF_SF_EERKSF_lbbbEUlllE1_EE10hipError_tPvRmT2_T3_mT4_P12ihipStream_tbEUlT_E_NS1_11comp_targetILNS1_3genE8ELNS1_11target_archE1030ELNS1_3gpuE2ELNS1_3repE0EEENS1_30default_config_static_selectorELNS0_4arch9wavefront6targetE1EEEvT1_.kd
    .uniform_work_group_size: 1
    .uses_dynamic_stack: false
    .vgpr_count:     0
    .vgpr_spill_count: 0
    .wavefront_size: 64
  - .agpr_count:     0
    .args:
      - .offset:         0
        .size:           120
        .value_kind:     by_value
    .group_segment_fixed_size: 0
    .kernarg_segment_align: 8
    .kernarg_segment_size: 120
    .language:       OpenCL C
    .language_version:
      - 2
      - 0
    .max_flat_workgroup_size: 512
    .name:           _ZN7rocprim17ROCPRIM_400000_NS6detail17trampoline_kernelINS0_14default_configENS1_25partition_config_selectorILNS1_17partition_subalgoE8ElNS0_10empty_typeEbEEZZNS1_14partition_implILS5_8ELb0ES3_jPlPS6_PKS6_NS0_5tupleIJS9_S6_EEENSD_IJSA_SA_EEENS0_18inequality_wrapperIZN2at6native12_GLOBAL__N_124unique_dim_cuda_templateIN3c108BFloat16EEESt5tupleIJNSH_6TensorESO_SO_EERKSO_lbbbEUlllE0_EEPmJS6_EEE10hipError_tPvRmT3_T4_T5_T6_T7_T9_mT8_P12ihipStream_tbDpT10_ENKUlT_T0_E_clISt17integral_constantIbLb0EES1E_EEDaS19_S1A_EUlS19_E_NS1_11comp_targetILNS1_3genE0ELNS1_11target_archE4294967295ELNS1_3gpuE0ELNS1_3repE0EEENS1_30default_config_static_selectorELNS0_4arch9wavefront6targetE1EEEvT1_
    .private_segment_fixed_size: 0
    .sgpr_count:     6
    .sgpr_spill_count: 0
    .symbol:         _ZN7rocprim17ROCPRIM_400000_NS6detail17trampoline_kernelINS0_14default_configENS1_25partition_config_selectorILNS1_17partition_subalgoE8ElNS0_10empty_typeEbEEZZNS1_14partition_implILS5_8ELb0ES3_jPlPS6_PKS6_NS0_5tupleIJS9_S6_EEENSD_IJSA_SA_EEENS0_18inequality_wrapperIZN2at6native12_GLOBAL__N_124unique_dim_cuda_templateIN3c108BFloat16EEESt5tupleIJNSH_6TensorESO_SO_EERKSO_lbbbEUlllE0_EEPmJS6_EEE10hipError_tPvRmT3_T4_T5_T6_T7_T9_mT8_P12ihipStream_tbDpT10_ENKUlT_T0_E_clISt17integral_constantIbLb0EES1E_EEDaS19_S1A_EUlS19_E_NS1_11comp_targetILNS1_3genE0ELNS1_11target_archE4294967295ELNS1_3gpuE0ELNS1_3repE0EEENS1_30default_config_static_selectorELNS0_4arch9wavefront6targetE1EEEvT1_.kd
    .uniform_work_group_size: 1
    .uses_dynamic_stack: false
    .vgpr_count:     0
    .vgpr_spill_count: 0
    .wavefront_size: 64
  - .agpr_count:     0
    .args:
      - .offset:         0
        .size:           120
        .value_kind:     by_value
    .group_segment_fixed_size: 28684
    .kernarg_segment_align: 8
    .kernarg_segment_size: 120
    .language:       OpenCL C
    .language_version:
      - 2
      - 0
    .max_flat_workgroup_size: 512
    .name:           _ZN7rocprim17ROCPRIM_400000_NS6detail17trampoline_kernelINS0_14default_configENS1_25partition_config_selectorILNS1_17partition_subalgoE8ElNS0_10empty_typeEbEEZZNS1_14partition_implILS5_8ELb0ES3_jPlPS6_PKS6_NS0_5tupleIJS9_S6_EEENSD_IJSA_SA_EEENS0_18inequality_wrapperIZN2at6native12_GLOBAL__N_124unique_dim_cuda_templateIN3c108BFloat16EEESt5tupleIJNSH_6TensorESO_SO_EERKSO_lbbbEUlllE0_EEPmJS6_EEE10hipError_tPvRmT3_T4_T5_T6_T7_T9_mT8_P12ihipStream_tbDpT10_ENKUlT_T0_E_clISt17integral_constantIbLb0EES1E_EEDaS19_S1A_EUlS19_E_NS1_11comp_targetILNS1_3genE5ELNS1_11target_archE942ELNS1_3gpuE9ELNS1_3repE0EEENS1_30default_config_static_selectorELNS0_4arch9wavefront6targetE1EEEvT1_
    .private_segment_fixed_size: 0
    .sgpr_count:     58
    .sgpr_spill_count: 0
    .symbol:         _ZN7rocprim17ROCPRIM_400000_NS6detail17trampoline_kernelINS0_14default_configENS1_25partition_config_selectorILNS1_17partition_subalgoE8ElNS0_10empty_typeEbEEZZNS1_14partition_implILS5_8ELb0ES3_jPlPS6_PKS6_NS0_5tupleIJS9_S6_EEENSD_IJSA_SA_EEENS0_18inequality_wrapperIZN2at6native12_GLOBAL__N_124unique_dim_cuda_templateIN3c108BFloat16EEESt5tupleIJNSH_6TensorESO_SO_EERKSO_lbbbEUlllE0_EEPmJS6_EEE10hipError_tPvRmT3_T4_T5_T6_T7_T9_mT8_P12ihipStream_tbDpT10_ENKUlT_T0_E_clISt17integral_constantIbLb0EES1E_EEDaS19_S1A_EUlS19_E_NS1_11comp_targetILNS1_3genE5ELNS1_11target_archE942ELNS1_3gpuE9ELNS1_3repE0EEENS1_30default_config_static_selectorELNS0_4arch9wavefront6targetE1EEEvT1_.kd
    .uniform_work_group_size: 1
    .uses_dynamic_stack: false
    .vgpr_count:     52
    .vgpr_spill_count: 0
    .wavefront_size: 64
  - .agpr_count:     0
    .args:
      - .offset:         0
        .size:           120
        .value_kind:     by_value
    .group_segment_fixed_size: 0
    .kernarg_segment_align: 8
    .kernarg_segment_size: 120
    .language:       OpenCL C
    .language_version:
      - 2
      - 0
    .max_flat_workgroup_size: 256
    .name:           _ZN7rocprim17ROCPRIM_400000_NS6detail17trampoline_kernelINS0_14default_configENS1_25partition_config_selectorILNS1_17partition_subalgoE8ElNS0_10empty_typeEbEEZZNS1_14partition_implILS5_8ELb0ES3_jPlPS6_PKS6_NS0_5tupleIJS9_S6_EEENSD_IJSA_SA_EEENS0_18inequality_wrapperIZN2at6native12_GLOBAL__N_124unique_dim_cuda_templateIN3c108BFloat16EEESt5tupleIJNSH_6TensorESO_SO_EERKSO_lbbbEUlllE0_EEPmJS6_EEE10hipError_tPvRmT3_T4_T5_T6_T7_T9_mT8_P12ihipStream_tbDpT10_ENKUlT_T0_E_clISt17integral_constantIbLb0EES1E_EEDaS19_S1A_EUlS19_E_NS1_11comp_targetILNS1_3genE4ELNS1_11target_archE910ELNS1_3gpuE8ELNS1_3repE0EEENS1_30default_config_static_selectorELNS0_4arch9wavefront6targetE1EEEvT1_
    .private_segment_fixed_size: 0
    .sgpr_count:     6
    .sgpr_spill_count: 0
    .symbol:         _ZN7rocprim17ROCPRIM_400000_NS6detail17trampoline_kernelINS0_14default_configENS1_25partition_config_selectorILNS1_17partition_subalgoE8ElNS0_10empty_typeEbEEZZNS1_14partition_implILS5_8ELb0ES3_jPlPS6_PKS6_NS0_5tupleIJS9_S6_EEENSD_IJSA_SA_EEENS0_18inequality_wrapperIZN2at6native12_GLOBAL__N_124unique_dim_cuda_templateIN3c108BFloat16EEESt5tupleIJNSH_6TensorESO_SO_EERKSO_lbbbEUlllE0_EEPmJS6_EEE10hipError_tPvRmT3_T4_T5_T6_T7_T9_mT8_P12ihipStream_tbDpT10_ENKUlT_T0_E_clISt17integral_constantIbLb0EES1E_EEDaS19_S1A_EUlS19_E_NS1_11comp_targetILNS1_3genE4ELNS1_11target_archE910ELNS1_3gpuE8ELNS1_3repE0EEENS1_30default_config_static_selectorELNS0_4arch9wavefront6targetE1EEEvT1_.kd
    .uniform_work_group_size: 1
    .uses_dynamic_stack: false
    .vgpr_count:     0
    .vgpr_spill_count: 0
    .wavefront_size: 64
  - .agpr_count:     0
    .args:
      - .offset:         0
        .size:           120
        .value_kind:     by_value
    .group_segment_fixed_size: 0
    .kernarg_segment_align: 8
    .kernarg_segment_size: 120
    .language:       OpenCL C
    .language_version:
      - 2
      - 0
    .max_flat_workgroup_size: 512
    .name:           _ZN7rocprim17ROCPRIM_400000_NS6detail17trampoline_kernelINS0_14default_configENS1_25partition_config_selectorILNS1_17partition_subalgoE8ElNS0_10empty_typeEbEEZZNS1_14partition_implILS5_8ELb0ES3_jPlPS6_PKS6_NS0_5tupleIJS9_S6_EEENSD_IJSA_SA_EEENS0_18inequality_wrapperIZN2at6native12_GLOBAL__N_124unique_dim_cuda_templateIN3c108BFloat16EEESt5tupleIJNSH_6TensorESO_SO_EERKSO_lbbbEUlllE0_EEPmJS6_EEE10hipError_tPvRmT3_T4_T5_T6_T7_T9_mT8_P12ihipStream_tbDpT10_ENKUlT_T0_E_clISt17integral_constantIbLb0EES1E_EEDaS19_S1A_EUlS19_E_NS1_11comp_targetILNS1_3genE3ELNS1_11target_archE908ELNS1_3gpuE7ELNS1_3repE0EEENS1_30default_config_static_selectorELNS0_4arch9wavefront6targetE1EEEvT1_
    .private_segment_fixed_size: 0
    .sgpr_count:     6
    .sgpr_spill_count: 0
    .symbol:         _ZN7rocprim17ROCPRIM_400000_NS6detail17trampoline_kernelINS0_14default_configENS1_25partition_config_selectorILNS1_17partition_subalgoE8ElNS0_10empty_typeEbEEZZNS1_14partition_implILS5_8ELb0ES3_jPlPS6_PKS6_NS0_5tupleIJS9_S6_EEENSD_IJSA_SA_EEENS0_18inequality_wrapperIZN2at6native12_GLOBAL__N_124unique_dim_cuda_templateIN3c108BFloat16EEESt5tupleIJNSH_6TensorESO_SO_EERKSO_lbbbEUlllE0_EEPmJS6_EEE10hipError_tPvRmT3_T4_T5_T6_T7_T9_mT8_P12ihipStream_tbDpT10_ENKUlT_T0_E_clISt17integral_constantIbLb0EES1E_EEDaS19_S1A_EUlS19_E_NS1_11comp_targetILNS1_3genE3ELNS1_11target_archE908ELNS1_3gpuE7ELNS1_3repE0EEENS1_30default_config_static_selectorELNS0_4arch9wavefront6targetE1EEEvT1_.kd
    .uniform_work_group_size: 1
    .uses_dynamic_stack: false
    .vgpr_count:     0
    .vgpr_spill_count: 0
    .wavefront_size: 64
  - .agpr_count:     0
    .args:
      - .offset:         0
        .size:           120
        .value_kind:     by_value
    .group_segment_fixed_size: 0
    .kernarg_segment_align: 8
    .kernarg_segment_size: 120
    .language:       OpenCL C
    .language_version:
      - 2
      - 0
    .max_flat_workgroup_size: 256
    .name:           _ZN7rocprim17ROCPRIM_400000_NS6detail17trampoline_kernelINS0_14default_configENS1_25partition_config_selectorILNS1_17partition_subalgoE8ElNS0_10empty_typeEbEEZZNS1_14partition_implILS5_8ELb0ES3_jPlPS6_PKS6_NS0_5tupleIJS9_S6_EEENSD_IJSA_SA_EEENS0_18inequality_wrapperIZN2at6native12_GLOBAL__N_124unique_dim_cuda_templateIN3c108BFloat16EEESt5tupleIJNSH_6TensorESO_SO_EERKSO_lbbbEUlllE0_EEPmJS6_EEE10hipError_tPvRmT3_T4_T5_T6_T7_T9_mT8_P12ihipStream_tbDpT10_ENKUlT_T0_E_clISt17integral_constantIbLb0EES1E_EEDaS19_S1A_EUlS19_E_NS1_11comp_targetILNS1_3genE2ELNS1_11target_archE906ELNS1_3gpuE6ELNS1_3repE0EEENS1_30default_config_static_selectorELNS0_4arch9wavefront6targetE1EEEvT1_
    .private_segment_fixed_size: 0
    .sgpr_count:     6
    .sgpr_spill_count: 0
    .symbol:         _ZN7rocprim17ROCPRIM_400000_NS6detail17trampoline_kernelINS0_14default_configENS1_25partition_config_selectorILNS1_17partition_subalgoE8ElNS0_10empty_typeEbEEZZNS1_14partition_implILS5_8ELb0ES3_jPlPS6_PKS6_NS0_5tupleIJS9_S6_EEENSD_IJSA_SA_EEENS0_18inequality_wrapperIZN2at6native12_GLOBAL__N_124unique_dim_cuda_templateIN3c108BFloat16EEESt5tupleIJNSH_6TensorESO_SO_EERKSO_lbbbEUlllE0_EEPmJS6_EEE10hipError_tPvRmT3_T4_T5_T6_T7_T9_mT8_P12ihipStream_tbDpT10_ENKUlT_T0_E_clISt17integral_constantIbLb0EES1E_EEDaS19_S1A_EUlS19_E_NS1_11comp_targetILNS1_3genE2ELNS1_11target_archE906ELNS1_3gpuE6ELNS1_3repE0EEENS1_30default_config_static_selectorELNS0_4arch9wavefront6targetE1EEEvT1_.kd
    .uniform_work_group_size: 1
    .uses_dynamic_stack: false
    .vgpr_count:     0
    .vgpr_spill_count: 0
    .wavefront_size: 64
  - .agpr_count:     0
    .args:
      - .offset:         0
        .size:           120
        .value_kind:     by_value
    .group_segment_fixed_size: 0
    .kernarg_segment_align: 8
    .kernarg_segment_size: 120
    .language:       OpenCL C
    .language_version:
      - 2
      - 0
    .max_flat_workgroup_size: 384
    .name:           _ZN7rocprim17ROCPRIM_400000_NS6detail17trampoline_kernelINS0_14default_configENS1_25partition_config_selectorILNS1_17partition_subalgoE8ElNS0_10empty_typeEbEEZZNS1_14partition_implILS5_8ELb0ES3_jPlPS6_PKS6_NS0_5tupleIJS9_S6_EEENSD_IJSA_SA_EEENS0_18inequality_wrapperIZN2at6native12_GLOBAL__N_124unique_dim_cuda_templateIN3c108BFloat16EEESt5tupleIJNSH_6TensorESO_SO_EERKSO_lbbbEUlllE0_EEPmJS6_EEE10hipError_tPvRmT3_T4_T5_T6_T7_T9_mT8_P12ihipStream_tbDpT10_ENKUlT_T0_E_clISt17integral_constantIbLb0EES1E_EEDaS19_S1A_EUlS19_E_NS1_11comp_targetILNS1_3genE10ELNS1_11target_archE1200ELNS1_3gpuE4ELNS1_3repE0EEENS1_30default_config_static_selectorELNS0_4arch9wavefront6targetE1EEEvT1_
    .private_segment_fixed_size: 0
    .sgpr_count:     6
    .sgpr_spill_count: 0
    .symbol:         _ZN7rocprim17ROCPRIM_400000_NS6detail17trampoline_kernelINS0_14default_configENS1_25partition_config_selectorILNS1_17partition_subalgoE8ElNS0_10empty_typeEbEEZZNS1_14partition_implILS5_8ELb0ES3_jPlPS6_PKS6_NS0_5tupleIJS9_S6_EEENSD_IJSA_SA_EEENS0_18inequality_wrapperIZN2at6native12_GLOBAL__N_124unique_dim_cuda_templateIN3c108BFloat16EEESt5tupleIJNSH_6TensorESO_SO_EERKSO_lbbbEUlllE0_EEPmJS6_EEE10hipError_tPvRmT3_T4_T5_T6_T7_T9_mT8_P12ihipStream_tbDpT10_ENKUlT_T0_E_clISt17integral_constantIbLb0EES1E_EEDaS19_S1A_EUlS19_E_NS1_11comp_targetILNS1_3genE10ELNS1_11target_archE1200ELNS1_3gpuE4ELNS1_3repE0EEENS1_30default_config_static_selectorELNS0_4arch9wavefront6targetE1EEEvT1_.kd
    .uniform_work_group_size: 1
    .uses_dynamic_stack: false
    .vgpr_count:     0
    .vgpr_spill_count: 0
    .wavefront_size: 64
  - .agpr_count:     0
    .args:
      - .offset:         0
        .size:           120
        .value_kind:     by_value
    .group_segment_fixed_size: 0
    .kernarg_segment_align: 8
    .kernarg_segment_size: 120
    .language:       OpenCL C
    .language_version:
      - 2
      - 0
    .max_flat_workgroup_size: 512
    .name:           _ZN7rocprim17ROCPRIM_400000_NS6detail17trampoline_kernelINS0_14default_configENS1_25partition_config_selectorILNS1_17partition_subalgoE8ElNS0_10empty_typeEbEEZZNS1_14partition_implILS5_8ELb0ES3_jPlPS6_PKS6_NS0_5tupleIJS9_S6_EEENSD_IJSA_SA_EEENS0_18inequality_wrapperIZN2at6native12_GLOBAL__N_124unique_dim_cuda_templateIN3c108BFloat16EEESt5tupleIJNSH_6TensorESO_SO_EERKSO_lbbbEUlllE0_EEPmJS6_EEE10hipError_tPvRmT3_T4_T5_T6_T7_T9_mT8_P12ihipStream_tbDpT10_ENKUlT_T0_E_clISt17integral_constantIbLb0EES1E_EEDaS19_S1A_EUlS19_E_NS1_11comp_targetILNS1_3genE9ELNS1_11target_archE1100ELNS1_3gpuE3ELNS1_3repE0EEENS1_30default_config_static_selectorELNS0_4arch9wavefront6targetE1EEEvT1_
    .private_segment_fixed_size: 0
    .sgpr_count:     6
    .sgpr_spill_count: 0
    .symbol:         _ZN7rocprim17ROCPRIM_400000_NS6detail17trampoline_kernelINS0_14default_configENS1_25partition_config_selectorILNS1_17partition_subalgoE8ElNS0_10empty_typeEbEEZZNS1_14partition_implILS5_8ELb0ES3_jPlPS6_PKS6_NS0_5tupleIJS9_S6_EEENSD_IJSA_SA_EEENS0_18inequality_wrapperIZN2at6native12_GLOBAL__N_124unique_dim_cuda_templateIN3c108BFloat16EEESt5tupleIJNSH_6TensorESO_SO_EERKSO_lbbbEUlllE0_EEPmJS6_EEE10hipError_tPvRmT3_T4_T5_T6_T7_T9_mT8_P12ihipStream_tbDpT10_ENKUlT_T0_E_clISt17integral_constantIbLb0EES1E_EEDaS19_S1A_EUlS19_E_NS1_11comp_targetILNS1_3genE9ELNS1_11target_archE1100ELNS1_3gpuE3ELNS1_3repE0EEENS1_30default_config_static_selectorELNS0_4arch9wavefront6targetE1EEEvT1_.kd
    .uniform_work_group_size: 1
    .uses_dynamic_stack: false
    .vgpr_count:     0
    .vgpr_spill_count: 0
    .wavefront_size: 64
  - .agpr_count:     0
    .args:
      - .offset:         0
        .size:           120
        .value_kind:     by_value
    .group_segment_fixed_size: 0
    .kernarg_segment_align: 8
    .kernarg_segment_size: 120
    .language:       OpenCL C
    .language_version:
      - 2
      - 0
    .max_flat_workgroup_size: 512
    .name:           _ZN7rocprim17ROCPRIM_400000_NS6detail17trampoline_kernelINS0_14default_configENS1_25partition_config_selectorILNS1_17partition_subalgoE8ElNS0_10empty_typeEbEEZZNS1_14partition_implILS5_8ELb0ES3_jPlPS6_PKS6_NS0_5tupleIJS9_S6_EEENSD_IJSA_SA_EEENS0_18inequality_wrapperIZN2at6native12_GLOBAL__N_124unique_dim_cuda_templateIN3c108BFloat16EEESt5tupleIJNSH_6TensorESO_SO_EERKSO_lbbbEUlllE0_EEPmJS6_EEE10hipError_tPvRmT3_T4_T5_T6_T7_T9_mT8_P12ihipStream_tbDpT10_ENKUlT_T0_E_clISt17integral_constantIbLb0EES1E_EEDaS19_S1A_EUlS19_E_NS1_11comp_targetILNS1_3genE8ELNS1_11target_archE1030ELNS1_3gpuE2ELNS1_3repE0EEENS1_30default_config_static_selectorELNS0_4arch9wavefront6targetE1EEEvT1_
    .private_segment_fixed_size: 0
    .sgpr_count:     6
    .sgpr_spill_count: 0
    .symbol:         _ZN7rocprim17ROCPRIM_400000_NS6detail17trampoline_kernelINS0_14default_configENS1_25partition_config_selectorILNS1_17partition_subalgoE8ElNS0_10empty_typeEbEEZZNS1_14partition_implILS5_8ELb0ES3_jPlPS6_PKS6_NS0_5tupleIJS9_S6_EEENSD_IJSA_SA_EEENS0_18inequality_wrapperIZN2at6native12_GLOBAL__N_124unique_dim_cuda_templateIN3c108BFloat16EEESt5tupleIJNSH_6TensorESO_SO_EERKSO_lbbbEUlllE0_EEPmJS6_EEE10hipError_tPvRmT3_T4_T5_T6_T7_T9_mT8_P12ihipStream_tbDpT10_ENKUlT_T0_E_clISt17integral_constantIbLb0EES1E_EEDaS19_S1A_EUlS19_E_NS1_11comp_targetILNS1_3genE8ELNS1_11target_archE1030ELNS1_3gpuE2ELNS1_3repE0EEENS1_30default_config_static_selectorELNS0_4arch9wavefront6targetE1EEEvT1_.kd
    .uniform_work_group_size: 1
    .uses_dynamic_stack: false
    .vgpr_count:     0
    .vgpr_spill_count: 0
    .wavefront_size: 64
  - .agpr_count:     0
    .args:
      - .offset:         0
        .size:           136
        .value_kind:     by_value
    .group_segment_fixed_size: 0
    .kernarg_segment_align: 8
    .kernarg_segment_size: 136
    .language:       OpenCL C
    .language_version:
      - 2
      - 0
    .max_flat_workgroup_size: 512
    .name:           _ZN7rocprim17ROCPRIM_400000_NS6detail17trampoline_kernelINS0_14default_configENS1_25partition_config_selectorILNS1_17partition_subalgoE8ElNS0_10empty_typeEbEEZZNS1_14partition_implILS5_8ELb0ES3_jPlPS6_PKS6_NS0_5tupleIJS9_S6_EEENSD_IJSA_SA_EEENS0_18inequality_wrapperIZN2at6native12_GLOBAL__N_124unique_dim_cuda_templateIN3c108BFloat16EEESt5tupleIJNSH_6TensorESO_SO_EERKSO_lbbbEUlllE0_EEPmJS6_EEE10hipError_tPvRmT3_T4_T5_T6_T7_T9_mT8_P12ihipStream_tbDpT10_ENKUlT_T0_E_clISt17integral_constantIbLb1EES1E_EEDaS19_S1A_EUlS19_E_NS1_11comp_targetILNS1_3genE0ELNS1_11target_archE4294967295ELNS1_3gpuE0ELNS1_3repE0EEENS1_30default_config_static_selectorELNS0_4arch9wavefront6targetE1EEEvT1_
    .private_segment_fixed_size: 0
    .sgpr_count:     6
    .sgpr_spill_count: 0
    .symbol:         _ZN7rocprim17ROCPRIM_400000_NS6detail17trampoline_kernelINS0_14default_configENS1_25partition_config_selectorILNS1_17partition_subalgoE8ElNS0_10empty_typeEbEEZZNS1_14partition_implILS5_8ELb0ES3_jPlPS6_PKS6_NS0_5tupleIJS9_S6_EEENSD_IJSA_SA_EEENS0_18inequality_wrapperIZN2at6native12_GLOBAL__N_124unique_dim_cuda_templateIN3c108BFloat16EEESt5tupleIJNSH_6TensorESO_SO_EERKSO_lbbbEUlllE0_EEPmJS6_EEE10hipError_tPvRmT3_T4_T5_T6_T7_T9_mT8_P12ihipStream_tbDpT10_ENKUlT_T0_E_clISt17integral_constantIbLb1EES1E_EEDaS19_S1A_EUlS19_E_NS1_11comp_targetILNS1_3genE0ELNS1_11target_archE4294967295ELNS1_3gpuE0ELNS1_3repE0EEENS1_30default_config_static_selectorELNS0_4arch9wavefront6targetE1EEEvT1_.kd
    .uniform_work_group_size: 1
    .uses_dynamic_stack: false
    .vgpr_count:     0
    .vgpr_spill_count: 0
    .wavefront_size: 64
  - .agpr_count:     0
    .args:
      - .offset:         0
        .size:           136
        .value_kind:     by_value
    .group_segment_fixed_size: 28684
    .kernarg_segment_align: 8
    .kernarg_segment_size: 136
    .language:       OpenCL C
    .language_version:
      - 2
      - 0
    .max_flat_workgroup_size: 512
    .name:           _ZN7rocprim17ROCPRIM_400000_NS6detail17trampoline_kernelINS0_14default_configENS1_25partition_config_selectorILNS1_17partition_subalgoE8ElNS0_10empty_typeEbEEZZNS1_14partition_implILS5_8ELb0ES3_jPlPS6_PKS6_NS0_5tupleIJS9_S6_EEENSD_IJSA_SA_EEENS0_18inequality_wrapperIZN2at6native12_GLOBAL__N_124unique_dim_cuda_templateIN3c108BFloat16EEESt5tupleIJNSH_6TensorESO_SO_EERKSO_lbbbEUlllE0_EEPmJS6_EEE10hipError_tPvRmT3_T4_T5_T6_T7_T9_mT8_P12ihipStream_tbDpT10_ENKUlT_T0_E_clISt17integral_constantIbLb1EES1E_EEDaS19_S1A_EUlS19_E_NS1_11comp_targetILNS1_3genE5ELNS1_11target_archE942ELNS1_3gpuE9ELNS1_3repE0EEENS1_30default_config_static_selectorELNS0_4arch9wavefront6targetE1EEEvT1_
    .private_segment_fixed_size: 0
    .sgpr_count:     62
    .sgpr_spill_count: 0
    .symbol:         _ZN7rocprim17ROCPRIM_400000_NS6detail17trampoline_kernelINS0_14default_configENS1_25partition_config_selectorILNS1_17partition_subalgoE8ElNS0_10empty_typeEbEEZZNS1_14partition_implILS5_8ELb0ES3_jPlPS6_PKS6_NS0_5tupleIJS9_S6_EEENSD_IJSA_SA_EEENS0_18inequality_wrapperIZN2at6native12_GLOBAL__N_124unique_dim_cuda_templateIN3c108BFloat16EEESt5tupleIJNSH_6TensorESO_SO_EERKSO_lbbbEUlllE0_EEPmJS6_EEE10hipError_tPvRmT3_T4_T5_T6_T7_T9_mT8_P12ihipStream_tbDpT10_ENKUlT_T0_E_clISt17integral_constantIbLb1EES1E_EEDaS19_S1A_EUlS19_E_NS1_11comp_targetILNS1_3genE5ELNS1_11target_archE942ELNS1_3gpuE9ELNS1_3repE0EEENS1_30default_config_static_selectorELNS0_4arch9wavefront6targetE1EEEvT1_.kd
    .uniform_work_group_size: 1
    .uses_dynamic_stack: false
    .vgpr_count:     52
    .vgpr_spill_count: 0
    .wavefront_size: 64
  - .agpr_count:     0
    .args:
      - .offset:         0
        .size:           136
        .value_kind:     by_value
    .group_segment_fixed_size: 0
    .kernarg_segment_align: 8
    .kernarg_segment_size: 136
    .language:       OpenCL C
    .language_version:
      - 2
      - 0
    .max_flat_workgroup_size: 256
    .name:           _ZN7rocprim17ROCPRIM_400000_NS6detail17trampoline_kernelINS0_14default_configENS1_25partition_config_selectorILNS1_17partition_subalgoE8ElNS0_10empty_typeEbEEZZNS1_14partition_implILS5_8ELb0ES3_jPlPS6_PKS6_NS0_5tupleIJS9_S6_EEENSD_IJSA_SA_EEENS0_18inequality_wrapperIZN2at6native12_GLOBAL__N_124unique_dim_cuda_templateIN3c108BFloat16EEESt5tupleIJNSH_6TensorESO_SO_EERKSO_lbbbEUlllE0_EEPmJS6_EEE10hipError_tPvRmT3_T4_T5_T6_T7_T9_mT8_P12ihipStream_tbDpT10_ENKUlT_T0_E_clISt17integral_constantIbLb1EES1E_EEDaS19_S1A_EUlS19_E_NS1_11comp_targetILNS1_3genE4ELNS1_11target_archE910ELNS1_3gpuE8ELNS1_3repE0EEENS1_30default_config_static_selectorELNS0_4arch9wavefront6targetE1EEEvT1_
    .private_segment_fixed_size: 0
    .sgpr_count:     6
    .sgpr_spill_count: 0
    .symbol:         _ZN7rocprim17ROCPRIM_400000_NS6detail17trampoline_kernelINS0_14default_configENS1_25partition_config_selectorILNS1_17partition_subalgoE8ElNS0_10empty_typeEbEEZZNS1_14partition_implILS5_8ELb0ES3_jPlPS6_PKS6_NS0_5tupleIJS9_S6_EEENSD_IJSA_SA_EEENS0_18inequality_wrapperIZN2at6native12_GLOBAL__N_124unique_dim_cuda_templateIN3c108BFloat16EEESt5tupleIJNSH_6TensorESO_SO_EERKSO_lbbbEUlllE0_EEPmJS6_EEE10hipError_tPvRmT3_T4_T5_T6_T7_T9_mT8_P12ihipStream_tbDpT10_ENKUlT_T0_E_clISt17integral_constantIbLb1EES1E_EEDaS19_S1A_EUlS19_E_NS1_11comp_targetILNS1_3genE4ELNS1_11target_archE910ELNS1_3gpuE8ELNS1_3repE0EEENS1_30default_config_static_selectorELNS0_4arch9wavefront6targetE1EEEvT1_.kd
    .uniform_work_group_size: 1
    .uses_dynamic_stack: false
    .vgpr_count:     0
    .vgpr_spill_count: 0
    .wavefront_size: 64
  - .agpr_count:     0
    .args:
      - .offset:         0
        .size:           136
        .value_kind:     by_value
    .group_segment_fixed_size: 0
    .kernarg_segment_align: 8
    .kernarg_segment_size: 136
    .language:       OpenCL C
    .language_version:
      - 2
      - 0
    .max_flat_workgroup_size: 512
    .name:           _ZN7rocprim17ROCPRIM_400000_NS6detail17trampoline_kernelINS0_14default_configENS1_25partition_config_selectorILNS1_17partition_subalgoE8ElNS0_10empty_typeEbEEZZNS1_14partition_implILS5_8ELb0ES3_jPlPS6_PKS6_NS0_5tupleIJS9_S6_EEENSD_IJSA_SA_EEENS0_18inequality_wrapperIZN2at6native12_GLOBAL__N_124unique_dim_cuda_templateIN3c108BFloat16EEESt5tupleIJNSH_6TensorESO_SO_EERKSO_lbbbEUlllE0_EEPmJS6_EEE10hipError_tPvRmT3_T4_T5_T6_T7_T9_mT8_P12ihipStream_tbDpT10_ENKUlT_T0_E_clISt17integral_constantIbLb1EES1E_EEDaS19_S1A_EUlS19_E_NS1_11comp_targetILNS1_3genE3ELNS1_11target_archE908ELNS1_3gpuE7ELNS1_3repE0EEENS1_30default_config_static_selectorELNS0_4arch9wavefront6targetE1EEEvT1_
    .private_segment_fixed_size: 0
    .sgpr_count:     6
    .sgpr_spill_count: 0
    .symbol:         _ZN7rocprim17ROCPRIM_400000_NS6detail17trampoline_kernelINS0_14default_configENS1_25partition_config_selectorILNS1_17partition_subalgoE8ElNS0_10empty_typeEbEEZZNS1_14partition_implILS5_8ELb0ES3_jPlPS6_PKS6_NS0_5tupleIJS9_S6_EEENSD_IJSA_SA_EEENS0_18inequality_wrapperIZN2at6native12_GLOBAL__N_124unique_dim_cuda_templateIN3c108BFloat16EEESt5tupleIJNSH_6TensorESO_SO_EERKSO_lbbbEUlllE0_EEPmJS6_EEE10hipError_tPvRmT3_T4_T5_T6_T7_T9_mT8_P12ihipStream_tbDpT10_ENKUlT_T0_E_clISt17integral_constantIbLb1EES1E_EEDaS19_S1A_EUlS19_E_NS1_11comp_targetILNS1_3genE3ELNS1_11target_archE908ELNS1_3gpuE7ELNS1_3repE0EEENS1_30default_config_static_selectorELNS0_4arch9wavefront6targetE1EEEvT1_.kd
    .uniform_work_group_size: 1
    .uses_dynamic_stack: false
    .vgpr_count:     0
    .vgpr_spill_count: 0
    .wavefront_size: 64
  - .agpr_count:     0
    .args:
      - .offset:         0
        .size:           136
        .value_kind:     by_value
    .group_segment_fixed_size: 0
    .kernarg_segment_align: 8
    .kernarg_segment_size: 136
    .language:       OpenCL C
    .language_version:
      - 2
      - 0
    .max_flat_workgroup_size: 256
    .name:           _ZN7rocprim17ROCPRIM_400000_NS6detail17trampoline_kernelINS0_14default_configENS1_25partition_config_selectorILNS1_17partition_subalgoE8ElNS0_10empty_typeEbEEZZNS1_14partition_implILS5_8ELb0ES3_jPlPS6_PKS6_NS0_5tupleIJS9_S6_EEENSD_IJSA_SA_EEENS0_18inequality_wrapperIZN2at6native12_GLOBAL__N_124unique_dim_cuda_templateIN3c108BFloat16EEESt5tupleIJNSH_6TensorESO_SO_EERKSO_lbbbEUlllE0_EEPmJS6_EEE10hipError_tPvRmT3_T4_T5_T6_T7_T9_mT8_P12ihipStream_tbDpT10_ENKUlT_T0_E_clISt17integral_constantIbLb1EES1E_EEDaS19_S1A_EUlS19_E_NS1_11comp_targetILNS1_3genE2ELNS1_11target_archE906ELNS1_3gpuE6ELNS1_3repE0EEENS1_30default_config_static_selectorELNS0_4arch9wavefront6targetE1EEEvT1_
    .private_segment_fixed_size: 0
    .sgpr_count:     6
    .sgpr_spill_count: 0
    .symbol:         _ZN7rocprim17ROCPRIM_400000_NS6detail17trampoline_kernelINS0_14default_configENS1_25partition_config_selectorILNS1_17partition_subalgoE8ElNS0_10empty_typeEbEEZZNS1_14partition_implILS5_8ELb0ES3_jPlPS6_PKS6_NS0_5tupleIJS9_S6_EEENSD_IJSA_SA_EEENS0_18inequality_wrapperIZN2at6native12_GLOBAL__N_124unique_dim_cuda_templateIN3c108BFloat16EEESt5tupleIJNSH_6TensorESO_SO_EERKSO_lbbbEUlllE0_EEPmJS6_EEE10hipError_tPvRmT3_T4_T5_T6_T7_T9_mT8_P12ihipStream_tbDpT10_ENKUlT_T0_E_clISt17integral_constantIbLb1EES1E_EEDaS19_S1A_EUlS19_E_NS1_11comp_targetILNS1_3genE2ELNS1_11target_archE906ELNS1_3gpuE6ELNS1_3repE0EEENS1_30default_config_static_selectorELNS0_4arch9wavefront6targetE1EEEvT1_.kd
    .uniform_work_group_size: 1
    .uses_dynamic_stack: false
    .vgpr_count:     0
    .vgpr_spill_count: 0
    .wavefront_size: 64
  - .agpr_count:     0
    .args:
      - .offset:         0
        .size:           136
        .value_kind:     by_value
    .group_segment_fixed_size: 0
    .kernarg_segment_align: 8
    .kernarg_segment_size: 136
    .language:       OpenCL C
    .language_version:
      - 2
      - 0
    .max_flat_workgroup_size: 384
    .name:           _ZN7rocprim17ROCPRIM_400000_NS6detail17trampoline_kernelINS0_14default_configENS1_25partition_config_selectorILNS1_17partition_subalgoE8ElNS0_10empty_typeEbEEZZNS1_14partition_implILS5_8ELb0ES3_jPlPS6_PKS6_NS0_5tupleIJS9_S6_EEENSD_IJSA_SA_EEENS0_18inequality_wrapperIZN2at6native12_GLOBAL__N_124unique_dim_cuda_templateIN3c108BFloat16EEESt5tupleIJNSH_6TensorESO_SO_EERKSO_lbbbEUlllE0_EEPmJS6_EEE10hipError_tPvRmT3_T4_T5_T6_T7_T9_mT8_P12ihipStream_tbDpT10_ENKUlT_T0_E_clISt17integral_constantIbLb1EES1E_EEDaS19_S1A_EUlS19_E_NS1_11comp_targetILNS1_3genE10ELNS1_11target_archE1200ELNS1_3gpuE4ELNS1_3repE0EEENS1_30default_config_static_selectorELNS0_4arch9wavefront6targetE1EEEvT1_
    .private_segment_fixed_size: 0
    .sgpr_count:     6
    .sgpr_spill_count: 0
    .symbol:         _ZN7rocprim17ROCPRIM_400000_NS6detail17trampoline_kernelINS0_14default_configENS1_25partition_config_selectorILNS1_17partition_subalgoE8ElNS0_10empty_typeEbEEZZNS1_14partition_implILS5_8ELb0ES3_jPlPS6_PKS6_NS0_5tupleIJS9_S6_EEENSD_IJSA_SA_EEENS0_18inequality_wrapperIZN2at6native12_GLOBAL__N_124unique_dim_cuda_templateIN3c108BFloat16EEESt5tupleIJNSH_6TensorESO_SO_EERKSO_lbbbEUlllE0_EEPmJS6_EEE10hipError_tPvRmT3_T4_T5_T6_T7_T9_mT8_P12ihipStream_tbDpT10_ENKUlT_T0_E_clISt17integral_constantIbLb1EES1E_EEDaS19_S1A_EUlS19_E_NS1_11comp_targetILNS1_3genE10ELNS1_11target_archE1200ELNS1_3gpuE4ELNS1_3repE0EEENS1_30default_config_static_selectorELNS0_4arch9wavefront6targetE1EEEvT1_.kd
    .uniform_work_group_size: 1
    .uses_dynamic_stack: false
    .vgpr_count:     0
    .vgpr_spill_count: 0
    .wavefront_size: 64
  - .agpr_count:     0
    .args:
      - .offset:         0
        .size:           136
        .value_kind:     by_value
    .group_segment_fixed_size: 0
    .kernarg_segment_align: 8
    .kernarg_segment_size: 136
    .language:       OpenCL C
    .language_version:
      - 2
      - 0
    .max_flat_workgroup_size: 512
    .name:           _ZN7rocprim17ROCPRIM_400000_NS6detail17trampoline_kernelINS0_14default_configENS1_25partition_config_selectorILNS1_17partition_subalgoE8ElNS0_10empty_typeEbEEZZNS1_14partition_implILS5_8ELb0ES3_jPlPS6_PKS6_NS0_5tupleIJS9_S6_EEENSD_IJSA_SA_EEENS0_18inequality_wrapperIZN2at6native12_GLOBAL__N_124unique_dim_cuda_templateIN3c108BFloat16EEESt5tupleIJNSH_6TensorESO_SO_EERKSO_lbbbEUlllE0_EEPmJS6_EEE10hipError_tPvRmT3_T4_T5_T6_T7_T9_mT8_P12ihipStream_tbDpT10_ENKUlT_T0_E_clISt17integral_constantIbLb1EES1E_EEDaS19_S1A_EUlS19_E_NS1_11comp_targetILNS1_3genE9ELNS1_11target_archE1100ELNS1_3gpuE3ELNS1_3repE0EEENS1_30default_config_static_selectorELNS0_4arch9wavefront6targetE1EEEvT1_
    .private_segment_fixed_size: 0
    .sgpr_count:     6
    .sgpr_spill_count: 0
    .symbol:         _ZN7rocprim17ROCPRIM_400000_NS6detail17trampoline_kernelINS0_14default_configENS1_25partition_config_selectorILNS1_17partition_subalgoE8ElNS0_10empty_typeEbEEZZNS1_14partition_implILS5_8ELb0ES3_jPlPS6_PKS6_NS0_5tupleIJS9_S6_EEENSD_IJSA_SA_EEENS0_18inequality_wrapperIZN2at6native12_GLOBAL__N_124unique_dim_cuda_templateIN3c108BFloat16EEESt5tupleIJNSH_6TensorESO_SO_EERKSO_lbbbEUlllE0_EEPmJS6_EEE10hipError_tPvRmT3_T4_T5_T6_T7_T9_mT8_P12ihipStream_tbDpT10_ENKUlT_T0_E_clISt17integral_constantIbLb1EES1E_EEDaS19_S1A_EUlS19_E_NS1_11comp_targetILNS1_3genE9ELNS1_11target_archE1100ELNS1_3gpuE3ELNS1_3repE0EEENS1_30default_config_static_selectorELNS0_4arch9wavefront6targetE1EEEvT1_.kd
    .uniform_work_group_size: 1
    .uses_dynamic_stack: false
    .vgpr_count:     0
    .vgpr_spill_count: 0
    .wavefront_size: 64
  - .agpr_count:     0
    .args:
      - .offset:         0
        .size:           136
        .value_kind:     by_value
    .group_segment_fixed_size: 0
    .kernarg_segment_align: 8
    .kernarg_segment_size: 136
    .language:       OpenCL C
    .language_version:
      - 2
      - 0
    .max_flat_workgroup_size: 512
    .name:           _ZN7rocprim17ROCPRIM_400000_NS6detail17trampoline_kernelINS0_14default_configENS1_25partition_config_selectorILNS1_17partition_subalgoE8ElNS0_10empty_typeEbEEZZNS1_14partition_implILS5_8ELb0ES3_jPlPS6_PKS6_NS0_5tupleIJS9_S6_EEENSD_IJSA_SA_EEENS0_18inequality_wrapperIZN2at6native12_GLOBAL__N_124unique_dim_cuda_templateIN3c108BFloat16EEESt5tupleIJNSH_6TensorESO_SO_EERKSO_lbbbEUlllE0_EEPmJS6_EEE10hipError_tPvRmT3_T4_T5_T6_T7_T9_mT8_P12ihipStream_tbDpT10_ENKUlT_T0_E_clISt17integral_constantIbLb1EES1E_EEDaS19_S1A_EUlS19_E_NS1_11comp_targetILNS1_3genE8ELNS1_11target_archE1030ELNS1_3gpuE2ELNS1_3repE0EEENS1_30default_config_static_selectorELNS0_4arch9wavefront6targetE1EEEvT1_
    .private_segment_fixed_size: 0
    .sgpr_count:     6
    .sgpr_spill_count: 0
    .symbol:         _ZN7rocprim17ROCPRIM_400000_NS6detail17trampoline_kernelINS0_14default_configENS1_25partition_config_selectorILNS1_17partition_subalgoE8ElNS0_10empty_typeEbEEZZNS1_14partition_implILS5_8ELb0ES3_jPlPS6_PKS6_NS0_5tupleIJS9_S6_EEENSD_IJSA_SA_EEENS0_18inequality_wrapperIZN2at6native12_GLOBAL__N_124unique_dim_cuda_templateIN3c108BFloat16EEESt5tupleIJNSH_6TensorESO_SO_EERKSO_lbbbEUlllE0_EEPmJS6_EEE10hipError_tPvRmT3_T4_T5_T6_T7_T9_mT8_P12ihipStream_tbDpT10_ENKUlT_T0_E_clISt17integral_constantIbLb1EES1E_EEDaS19_S1A_EUlS19_E_NS1_11comp_targetILNS1_3genE8ELNS1_11target_archE1030ELNS1_3gpuE2ELNS1_3repE0EEENS1_30default_config_static_selectorELNS0_4arch9wavefront6targetE1EEEvT1_.kd
    .uniform_work_group_size: 1
    .uses_dynamic_stack: false
    .vgpr_count:     0
    .vgpr_spill_count: 0
    .wavefront_size: 64
  - .agpr_count:     0
    .args:
      - .offset:         0
        .size:           120
        .value_kind:     by_value
    .group_segment_fixed_size: 0
    .kernarg_segment_align: 8
    .kernarg_segment_size: 120
    .language:       OpenCL C
    .language_version:
      - 2
      - 0
    .max_flat_workgroup_size: 512
    .name:           _ZN7rocprim17ROCPRIM_400000_NS6detail17trampoline_kernelINS0_14default_configENS1_25partition_config_selectorILNS1_17partition_subalgoE8ElNS0_10empty_typeEbEEZZNS1_14partition_implILS5_8ELb0ES3_jPlPS6_PKS6_NS0_5tupleIJS9_S6_EEENSD_IJSA_SA_EEENS0_18inequality_wrapperIZN2at6native12_GLOBAL__N_124unique_dim_cuda_templateIN3c108BFloat16EEESt5tupleIJNSH_6TensorESO_SO_EERKSO_lbbbEUlllE0_EEPmJS6_EEE10hipError_tPvRmT3_T4_T5_T6_T7_T9_mT8_P12ihipStream_tbDpT10_ENKUlT_T0_E_clISt17integral_constantIbLb1EES1D_IbLb0EEEEDaS19_S1A_EUlS19_E_NS1_11comp_targetILNS1_3genE0ELNS1_11target_archE4294967295ELNS1_3gpuE0ELNS1_3repE0EEENS1_30default_config_static_selectorELNS0_4arch9wavefront6targetE1EEEvT1_
    .private_segment_fixed_size: 0
    .sgpr_count:     6
    .sgpr_spill_count: 0
    .symbol:         _ZN7rocprim17ROCPRIM_400000_NS6detail17trampoline_kernelINS0_14default_configENS1_25partition_config_selectorILNS1_17partition_subalgoE8ElNS0_10empty_typeEbEEZZNS1_14partition_implILS5_8ELb0ES3_jPlPS6_PKS6_NS0_5tupleIJS9_S6_EEENSD_IJSA_SA_EEENS0_18inequality_wrapperIZN2at6native12_GLOBAL__N_124unique_dim_cuda_templateIN3c108BFloat16EEESt5tupleIJNSH_6TensorESO_SO_EERKSO_lbbbEUlllE0_EEPmJS6_EEE10hipError_tPvRmT3_T4_T5_T6_T7_T9_mT8_P12ihipStream_tbDpT10_ENKUlT_T0_E_clISt17integral_constantIbLb1EES1D_IbLb0EEEEDaS19_S1A_EUlS19_E_NS1_11comp_targetILNS1_3genE0ELNS1_11target_archE4294967295ELNS1_3gpuE0ELNS1_3repE0EEENS1_30default_config_static_selectorELNS0_4arch9wavefront6targetE1EEEvT1_.kd
    .uniform_work_group_size: 1
    .uses_dynamic_stack: false
    .vgpr_count:     0
    .vgpr_spill_count: 0
    .wavefront_size: 64
  - .agpr_count:     0
    .args:
      - .offset:         0
        .size:           120
        .value_kind:     by_value
    .group_segment_fixed_size: 28684
    .kernarg_segment_align: 8
    .kernarg_segment_size: 120
    .language:       OpenCL C
    .language_version:
      - 2
      - 0
    .max_flat_workgroup_size: 512
    .name:           _ZN7rocprim17ROCPRIM_400000_NS6detail17trampoline_kernelINS0_14default_configENS1_25partition_config_selectorILNS1_17partition_subalgoE8ElNS0_10empty_typeEbEEZZNS1_14partition_implILS5_8ELb0ES3_jPlPS6_PKS6_NS0_5tupleIJS9_S6_EEENSD_IJSA_SA_EEENS0_18inequality_wrapperIZN2at6native12_GLOBAL__N_124unique_dim_cuda_templateIN3c108BFloat16EEESt5tupleIJNSH_6TensorESO_SO_EERKSO_lbbbEUlllE0_EEPmJS6_EEE10hipError_tPvRmT3_T4_T5_T6_T7_T9_mT8_P12ihipStream_tbDpT10_ENKUlT_T0_E_clISt17integral_constantIbLb1EES1D_IbLb0EEEEDaS19_S1A_EUlS19_E_NS1_11comp_targetILNS1_3genE5ELNS1_11target_archE942ELNS1_3gpuE9ELNS1_3repE0EEENS1_30default_config_static_selectorELNS0_4arch9wavefront6targetE1EEEvT1_
    .private_segment_fixed_size: 0
    .sgpr_count:     58
    .sgpr_spill_count: 0
    .symbol:         _ZN7rocprim17ROCPRIM_400000_NS6detail17trampoline_kernelINS0_14default_configENS1_25partition_config_selectorILNS1_17partition_subalgoE8ElNS0_10empty_typeEbEEZZNS1_14partition_implILS5_8ELb0ES3_jPlPS6_PKS6_NS0_5tupleIJS9_S6_EEENSD_IJSA_SA_EEENS0_18inequality_wrapperIZN2at6native12_GLOBAL__N_124unique_dim_cuda_templateIN3c108BFloat16EEESt5tupleIJNSH_6TensorESO_SO_EERKSO_lbbbEUlllE0_EEPmJS6_EEE10hipError_tPvRmT3_T4_T5_T6_T7_T9_mT8_P12ihipStream_tbDpT10_ENKUlT_T0_E_clISt17integral_constantIbLb1EES1D_IbLb0EEEEDaS19_S1A_EUlS19_E_NS1_11comp_targetILNS1_3genE5ELNS1_11target_archE942ELNS1_3gpuE9ELNS1_3repE0EEENS1_30default_config_static_selectorELNS0_4arch9wavefront6targetE1EEEvT1_.kd
    .uniform_work_group_size: 1
    .uses_dynamic_stack: false
    .vgpr_count:     52
    .vgpr_spill_count: 0
    .wavefront_size: 64
  - .agpr_count:     0
    .args:
      - .offset:         0
        .size:           120
        .value_kind:     by_value
    .group_segment_fixed_size: 0
    .kernarg_segment_align: 8
    .kernarg_segment_size: 120
    .language:       OpenCL C
    .language_version:
      - 2
      - 0
    .max_flat_workgroup_size: 256
    .name:           _ZN7rocprim17ROCPRIM_400000_NS6detail17trampoline_kernelINS0_14default_configENS1_25partition_config_selectorILNS1_17partition_subalgoE8ElNS0_10empty_typeEbEEZZNS1_14partition_implILS5_8ELb0ES3_jPlPS6_PKS6_NS0_5tupleIJS9_S6_EEENSD_IJSA_SA_EEENS0_18inequality_wrapperIZN2at6native12_GLOBAL__N_124unique_dim_cuda_templateIN3c108BFloat16EEESt5tupleIJNSH_6TensorESO_SO_EERKSO_lbbbEUlllE0_EEPmJS6_EEE10hipError_tPvRmT3_T4_T5_T6_T7_T9_mT8_P12ihipStream_tbDpT10_ENKUlT_T0_E_clISt17integral_constantIbLb1EES1D_IbLb0EEEEDaS19_S1A_EUlS19_E_NS1_11comp_targetILNS1_3genE4ELNS1_11target_archE910ELNS1_3gpuE8ELNS1_3repE0EEENS1_30default_config_static_selectorELNS0_4arch9wavefront6targetE1EEEvT1_
    .private_segment_fixed_size: 0
    .sgpr_count:     6
    .sgpr_spill_count: 0
    .symbol:         _ZN7rocprim17ROCPRIM_400000_NS6detail17trampoline_kernelINS0_14default_configENS1_25partition_config_selectorILNS1_17partition_subalgoE8ElNS0_10empty_typeEbEEZZNS1_14partition_implILS5_8ELb0ES3_jPlPS6_PKS6_NS0_5tupleIJS9_S6_EEENSD_IJSA_SA_EEENS0_18inequality_wrapperIZN2at6native12_GLOBAL__N_124unique_dim_cuda_templateIN3c108BFloat16EEESt5tupleIJNSH_6TensorESO_SO_EERKSO_lbbbEUlllE0_EEPmJS6_EEE10hipError_tPvRmT3_T4_T5_T6_T7_T9_mT8_P12ihipStream_tbDpT10_ENKUlT_T0_E_clISt17integral_constantIbLb1EES1D_IbLb0EEEEDaS19_S1A_EUlS19_E_NS1_11comp_targetILNS1_3genE4ELNS1_11target_archE910ELNS1_3gpuE8ELNS1_3repE0EEENS1_30default_config_static_selectorELNS0_4arch9wavefront6targetE1EEEvT1_.kd
    .uniform_work_group_size: 1
    .uses_dynamic_stack: false
    .vgpr_count:     0
    .vgpr_spill_count: 0
    .wavefront_size: 64
  - .agpr_count:     0
    .args:
      - .offset:         0
        .size:           120
        .value_kind:     by_value
    .group_segment_fixed_size: 0
    .kernarg_segment_align: 8
    .kernarg_segment_size: 120
    .language:       OpenCL C
    .language_version:
      - 2
      - 0
    .max_flat_workgroup_size: 512
    .name:           _ZN7rocprim17ROCPRIM_400000_NS6detail17trampoline_kernelINS0_14default_configENS1_25partition_config_selectorILNS1_17partition_subalgoE8ElNS0_10empty_typeEbEEZZNS1_14partition_implILS5_8ELb0ES3_jPlPS6_PKS6_NS0_5tupleIJS9_S6_EEENSD_IJSA_SA_EEENS0_18inequality_wrapperIZN2at6native12_GLOBAL__N_124unique_dim_cuda_templateIN3c108BFloat16EEESt5tupleIJNSH_6TensorESO_SO_EERKSO_lbbbEUlllE0_EEPmJS6_EEE10hipError_tPvRmT3_T4_T5_T6_T7_T9_mT8_P12ihipStream_tbDpT10_ENKUlT_T0_E_clISt17integral_constantIbLb1EES1D_IbLb0EEEEDaS19_S1A_EUlS19_E_NS1_11comp_targetILNS1_3genE3ELNS1_11target_archE908ELNS1_3gpuE7ELNS1_3repE0EEENS1_30default_config_static_selectorELNS0_4arch9wavefront6targetE1EEEvT1_
    .private_segment_fixed_size: 0
    .sgpr_count:     6
    .sgpr_spill_count: 0
    .symbol:         _ZN7rocprim17ROCPRIM_400000_NS6detail17trampoline_kernelINS0_14default_configENS1_25partition_config_selectorILNS1_17partition_subalgoE8ElNS0_10empty_typeEbEEZZNS1_14partition_implILS5_8ELb0ES3_jPlPS6_PKS6_NS0_5tupleIJS9_S6_EEENSD_IJSA_SA_EEENS0_18inequality_wrapperIZN2at6native12_GLOBAL__N_124unique_dim_cuda_templateIN3c108BFloat16EEESt5tupleIJNSH_6TensorESO_SO_EERKSO_lbbbEUlllE0_EEPmJS6_EEE10hipError_tPvRmT3_T4_T5_T6_T7_T9_mT8_P12ihipStream_tbDpT10_ENKUlT_T0_E_clISt17integral_constantIbLb1EES1D_IbLb0EEEEDaS19_S1A_EUlS19_E_NS1_11comp_targetILNS1_3genE3ELNS1_11target_archE908ELNS1_3gpuE7ELNS1_3repE0EEENS1_30default_config_static_selectorELNS0_4arch9wavefront6targetE1EEEvT1_.kd
    .uniform_work_group_size: 1
    .uses_dynamic_stack: false
    .vgpr_count:     0
    .vgpr_spill_count: 0
    .wavefront_size: 64
  - .agpr_count:     0
    .args:
      - .offset:         0
        .size:           120
        .value_kind:     by_value
    .group_segment_fixed_size: 0
    .kernarg_segment_align: 8
    .kernarg_segment_size: 120
    .language:       OpenCL C
    .language_version:
      - 2
      - 0
    .max_flat_workgroup_size: 256
    .name:           _ZN7rocprim17ROCPRIM_400000_NS6detail17trampoline_kernelINS0_14default_configENS1_25partition_config_selectorILNS1_17partition_subalgoE8ElNS0_10empty_typeEbEEZZNS1_14partition_implILS5_8ELb0ES3_jPlPS6_PKS6_NS0_5tupleIJS9_S6_EEENSD_IJSA_SA_EEENS0_18inequality_wrapperIZN2at6native12_GLOBAL__N_124unique_dim_cuda_templateIN3c108BFloat16EEESt5tupleIJNSH_6TensorESO_SO_EERKSO_lbbbEUlllE0_EEPmJS6_EEE10hipError_tPvRmT3_T4_T5_T6_T7_T9_mT8_P12ihipStream_tbDpT10_ENKUlT_T0_E_clISt17integral_constantIbLb1EES1D_IbLb0EEEEDaS19_S1A_EUlS19_E_NS1_11comp_targetILNS1_3genE2ELNS1_11target_archE906ELNS1_3gpuE6ELNS1_3repE0EEENS1_30default_config_static_selectorELNS0_4arch9wavefront6targetE1EEEvT1_
    .private_segment_fixed_size: 0
    .sgpr_count:     6
    .sgpr_spill_count: 0
    .symbol:         _ZN7rocprim17ROCPRIM_400000_NS6detail17trampoline_kernelINS0_14default_configENS1_25partition_config_selectorILNS1_17partition_subalgoE8ElNS0_10empty_typeEbEEZZNS1_14partition_implILS5_8ELb0ES3_jPlPS6_PKS6_NS0_5tupleIJS9_S6_EEENSD_IJSA_SA_EEENS0_18inequality_wrapperIZN2at6native12_GLOBAL__N_124unique_dim_cuda_templateIN3c108BFloat16EEESt5tupleIJNSH_6TensorESO_SO_EERKSO_lbbbEUlllE0_EEPmJS6_EEE10hipError_tPvRmT3_T4_T5_T6_T7_T9_mT8_P12ihipStream_tbDpT10_ENKUlT_T0_E_clISt17integral_constantIbLb1EES1D_IbLb0EEEEDaS19_S1A_EUlS19_E_NS1_11comp_targetILNS1_3genE2ELNS1_11target_archE906ELNS1_3gpuE6ELNS1_3repE0EEENS1_30default_config_static_selectorELNS0_4arch9wavefront6targetE1EEEvT1_.kd
    .uniform_work_group_size: 1
    .uses_dynamic_stack: false
    .vgpr_count:     0
    .vgpr_spill_count: 0
    .wavefront_size: 64
  - .agpr_count:     0
    .args:
      - .offset:         0
        .size:           120
        .value_kind:     by_value
    .group_segment_fixed_size: 0
    .kernarg_segment_align: 8
    .kernarg_segment_size: 120
    .language:       OpenCL C
    .language_version:
      - 2
      - 0
    .max_flat_workgroup_size: 384
    .name:           _ZN7rocprim17ROCPRIM_400000_NS6detail17trampoline_kernelINS0_14default_configENS1_25partition_config_selectorILNS1_17partition_subalgoE8ElNS0_10empty_typeEbEEZZNS1_14partition_implILS5_8ELb0ES3_jPlPS6_PKS6_NS0_5tupleIJS9_S6_EEENSD_IJSA_SA_EEENS0_18inequality_wrapperIZN2at6native12_GLOBAL__N_124unique_dim_cuda_templateIN3c108BFloat16EEESt5tupleIJNSH_6TensorESO_SO_EERKSO_lbbbEUlllE0_EEPmJS6_EEE10hipError_tPvRmT3_T4_T5_T6_T7_T9_mT8_P12ihipStream_tbDpT10_ENKUlT_T0_E_clISt17integral_constantIbLb1EES1D_IbLb0EEEEDaS19_S1A_EUlS19_E_NS1_11comp_targetILNS1_3genE10ELNS1_11target_archE1200ELNS1_3gpuE4ELNS1_3repE0EEENS1_30default_config_static_selectorELNS0_4arch9wavefront6targetE1EEEvT1_
    .private_segment_fixed_size: 0
    .sgpr_count:     6
    .sgpr_spill_count: 0
    .symbol:         _ZN7rocprim17ROCPRIM_400000_NS6detail17trampoline_kernelINS0_14default_configENS1_25partition_config_selectorILNS1_17partition_subalgoE8ElNS0_10empty_typeEbEEZZNS1_14partition_implILS5_8ELb0ES3_jPlPS6_PKS6_NS0_5tupleIJS9_S6_EEENSD_IJSA_SA_EEENS0_18inequality_wrapperIZN2at6native12_GLOBAL__N_124unique_dim_cuda_templateIN3c108BFloat16EEESt5tupleIJNSH_6TensorESO_SO_EERKSO_lbbbEUlllE0_EEPmJS6_EEE10hipError_tPvRmT3_T4_T5_T6_T7_T9_mT8_P12ihipStream_tbDpT10_ENKUlT_T0_E_clISt17integral_constantIbLb1EES1D_IbLb0EEEEDaS19_S1A_EUlS19_E_NS1_11comp_targetILNS1_3genE10ELNS1_11target_archE1200ELNS1_3gpuE4ELNS1_3repE0EEENS1_30default_config_static_selectorELNS0_4arch9wavefront6targetE1EEEvT1_.kd
    .uniform_work_group_size: 1
    .uses_dynamic_stack: false
    .vgpr_count:     0
    .vgpr_spill_count: 0
    .wavefront_size: 64
  - .agpr_count:     0
    .args:
      - .offset:         0
        .size:           120
        .value_kind:     by_value
    .group_segment_fixed_size: 0
    .kernarg_segment_align: 8
    .kernarg_segment_size: 120
    .language:       OpenCL C
    .language_version:
      - 2
      - 0
    .max_flat_workgroup_size: 512
    .name:           _ZN7rocprim17ROCPRIM_400000_NS6detail17trampoline_kernelINS0_14default_configENS1_25partition_config_selectorILNS1_17partition_subalgoE8ElNS0_10empty_typeEbEEZZNS1_14partition_implILS5_8ELb0ES3_jPlPS6_PKS6_NS0_5tupleIJS9_S6_EEENSD_IJSA_SA_EEENS0_18inequality_wrapperIZN2at6native12_GLOBAL__N_124unique_dim_cuda_templateIN3c108BFloat16EEESt5tupleIJNSH_6TensorESO_SO_EERKSO_lbbbEUlllE0_EEPmJS6_EEE10hipError_tPvRmT3_T4_T5_T6_T7_T9_mT8_P12ihipStream_tbDpT10_ENKUlT_T0_E_clISt17integral_constantIbLb1EES1D_IbLb0EEEEDaS19_S1A_EUlS19_E_NS1_11comp_targetILNS1_3genE9ELNS1_11target_archE1100ELNS1_3gpuE3ELNS1_3repE0EEENS1_30default_config_static_selectorELNS0_4arch9wavefront6targetE1EEEvT1_
    .private_segment_fixed_size: 0
    .sgpr_count:     6
    .sgpr_spill_count: 0
    .symbol:         _ZN7rocprim17ROCPRIM_400000_NS6detail17trampoline_kernelINS0_14default_configENS1_25partition_config_selectorILNS1_17partition_subalgoE8ElNS0_10empty_typeEbEEZZNS1_14partition_implILS5_8ELb0ES3_jPlPS6_PKS6_NS0_5tupleIJS9_S6_EEENSD_IJSA_SA_EEENS0_18inequality_wrapperIZN2at6native12_GLOBAL__N_124unique_dim_cuda_templateIN3c108BFloat16EEESt5tupleIJNSH_6TensorESO_SO_EERKSO_lbbbEUlllE0_EEPmJS6_EEE10hipError_tPvRmT3_T4_T5_T6_T7_T9_mT8_P12ihipStream_tbDpT10_ENKUlT_T0_E_clISt17integral_constantIbLb1EES1D_IbLb0EEEEDaS19_S1A_EUlS19_E_NS1_11comp_targetILNS1_3genE9ELNS1_11target_archE1100ELNS1_3gpuE3ELNS1_3repE0EEENS1_30default_config_static_selectorELNS0_4arch9wavefront6targetE1EEEvT1_.kd
    .uniform_work_group_size: 1
    .uses_dynamic_stack: false
    .vgpr_count:     0
    .vgpr_spill_count: 0
    .wavefront_size: 64
  - .agpr_count:     0
    .args:
      - .offset:         0
        .size:           120
        .value_kind:     by_value
    .group_segment_fixed_size: 0
    .kernarg_segment_align: 8
    .kernarg_segment_size: 120
    .language:       OpenCL C
    .language_version:
      - 2
      - 0
    .max_flat_workgroup_size: 512
    .name:           _ZN7rocprim17ROCPRIM_400000_NS6detail17trampoline_kernelINS0_14default_configENS1_25partition_config_selectorILNS1_17partition_subalgoE8ElNS0_10empty_typeEbEEZZNS1_14partition_implILS5_8ELb0ES3_jPlPS6_PKS6_NS0_5tupleIJS9_S6_EEENSD_IJSA_SA_EEENS0_18inequality_wrapperIZN2at6native12_GLOBAL__N_124unique_dim_cuda_templateIN3c108BFloat16EEESt5tupleIJNSH_6TensorESO_SO_EERKSO_lbbbEUlllE0_EEPmJS6_EEE10hipError_tPvRmT3_T4_T5_T6_T7_T9_mT8_P12ihipStream_tbDpT10_ENKUlT_T0_E_clISt17integral_constantIbLb1EES1D_IbLb0EEEEDaS19_S1A_EUlS19_E_NS1_11comp_targetILNS1_3genE8ELNS1_11target_archE1030ELNS1_3gpuE2ELNS1_3repE0EEENS1_30default_config_static_selectorELNS0_4arch9wavefront6targetE1EEEvT1_
    .private_segment_fixed_size: 0
    .sgpr_count:     6
    .sgpr_spill_count: 0
    .symbol:         _ZN7rocprim17ROCPRIM_400000_NS6detail17trampoline_kernelINS0_14default_configENS1_25partition_config_selectorILNS1_17partition_subalgoE8ElNS0_10empty_typeEbEEZZNS1_14partition_implILS5_8ELb0ES3_jPlPS6_PKS6_NS0_5tupleIJS9_S6_EEENSD_IJSA_SA_EEENS0_18inequality_wrapperIZN2at6native12_GLOBAL__N_124unique_dim_cuda_templateIN3c108BFloat16EEESt5tupleIJNSH_6TensorESO_SO_EERKSO_lbbbEUlllE0_EEPmJS6_EEE10hipError_tPvRmT3_T4_T5_T6_T7_T9_mT8_P12ihipStream_tbDpT10_ENKUlT_T0_E_clISt17integral_constantIbLb1EES1D_IbLb0EEEEDaS19_S1A_EUlS19_E_NS1_11comp_targetILNS1_3genE8ELNS1_11target_archE1030ELNS1_3gpuE2ELNS1_3repE0EEENS1_30default_config_static_selectorELNS0_4arch9wavefront6targetE1EEEvT1_.kd
    .uniform_work_group_size: 1
    .uses_dynamic_stack: false
    .vgpr_count:     0
    .vgpr_spill_count: 0
    .wavefront_size: 64
  - .agpr_count:     0
    .args:
      - .offset:         0
        .size:           136
        .value_kind:     by_value
    .group_segment_fixed_size: 0
    .kernarg_segment_align: 8
    .kernarg_segment_size: 136
    .language:       OpenCL C
    .language_version:
      - 2
      - 0
    .max_flat_workgroup_size: 512
    .name:           _ZN7rocprim17ROCPRIM_400000_NS6detail17trampoline_kernelINS0_14default_configENS1_25partition_config_selectorILNS1_17partition_subalgoE8ElNS0_10empty_typeEbEEZZNS1_14partition_implILS5_8ELb0ES3_jPlPS6_PKS6_NS0_5tupleIJS9_S6_EEENSD_IJSA_SA_EEENS0_18inequality_wrapperIZN2at6native12_GLOBAL__N_124unique_dim_cuda_templateIN3c108BFloat16EEESt5tupleIJNSH_6TensorESO_SO_EERKSO_lbbbEUlllE0_EEPmJS6_EEE10hipError_tPvRmT3_T4_T5_T6_T7_T9_mT8_P12ihipStream_tbDpT10_ENKUlT_T0_E_clISt17integral_constantIbLb0EES1D_IbLb1EEEEDaS19_S1A_EUlS19_E_NS1_11comp_targetILNS1_3genE0ELNS1_11target_archE4294967295ELNS1_3gpuE0ELNS1_3repE0EEENS1_30default_config_static_selectorELNS0_4arch9wavefront6targetE1EEEvT1_
    .private_segment_fixed_size: 0
    .sgpr_count:     6
    .sgpr_spill_count: 0
    .symbol:         _ZN7rocprim17ROCPRIM_400000_NS6detail17trampoline_kernelINS0_14default_configENS1_25partition_config_selectorILNS1_17partition_subalgoE8ElNS0_10empty_typeEbEEZZNS1_14partition_implILS5_8ELb0ES3_jPlPS6_PKS6_NS0_5tupleIJS9_S6_EEENSD_IJSA_SA_EEENS0_18inequality_wrapperIZN2at6native12_GLOBAL__N_124unique_dim_cuda_templateIN3c108BFloat16EEESt5tupleIJNSH_6TensorESO_SO_EERKSO_lbbbEUlllE0_EEPmJS6_EEE10hipError_tPvRmT3_T4_T5_T6_T7_T9_mT8_P12ihipStream_tbDpT10_ENKUlT_T0_E_clISt17integral_constantIbLb0EES1D_IbLb1EEEEDaS19_S1A_EUlS19_E_NS1_11comp_targetILNS1_3genE0ELNS1_11target_archE4294967295ELNS1_3gpuE0ELNS1_3repE0EEENS1_30default_config_static_selectorELNS0_4arch9wavefront6targetE1EEEvT1_.kd
    .uniform_work_group_size: 1
    .uses_dynamic_stack: false
    .vgpr_count:     0
    .vgpr_spill_count: 0
    .wavefront_size: 64
  - .agpr_count:     0
    .args:
      - .offset:         0
        .size:           136
        .value_kind:     by_value
    .group_segment_fixed_size: 28684
    .kernarg_segment_align: 8
    .kernarg_segment_size: 136
    .language:       OpenCL C
    .language_version:
      - 2
      - 0
    .max_flat_workgroup_size: 512
    .name:           _ZN7rocprim17ROCPRIM_400000_NS6detail17trampoline_kernelINS0_14default_configENS1_25partition_config_selectorILNS1_17partition_subalgoE8ElNS0_10empty_typeEbEEZZNS1_14partition_implILS5_8ELb0ES3_jPlPS6_PKS6_NS0_5tupleIJS9_S6_EEENSD_IJSA_SA_EEENS0_18inequality_wrapperIZN2at6native12_GLOBAL__N_124unique_dim_cuda_templateIN3c108BFloat16EEESt5tupleIJNSH_6TensorESO_SO_EERKSO_lbbbEUlllE0_EEPmJS6_EEE10hipError_tPvRmT3_T4_T5_T6_T7_T9_mT8_P12ihipStream_tbDpT10_ENKUlT_T0_E_clISt17integral_constantIbLb0EES1D_IbLb1EEEEDaS19_S1A_EUlS19_E_NS1_11comp_targetILNS1_3genE5ELNS1_11target_archE942ELNS1_3gpuE9ELNS1_3repE0EEENS1_30default_config_static_selectorELNS0_4arch9wavefront6targetE1EEEvT1_
    .private_segment_fixed_size: 0
    .sgpr_count:     62
    .sgpr_spill_count: 0
    .symbol:         _ZN7rocprim17ROCPRIM_400000_NS6detail17trampoline_kernelINS0_14default_configENS1_25partition_config_selectorILNS1_17partition_subalgoE8ElNS0_10empty_typeEbEEZZNS1_14partition_implILS5_8ELb0ES3_jPlPS6_PKS6_NS0_5tupleIJS9_S6_EEENSD_IJSA_SA_EEENS0_18inequality_wrapperIZN2at6native12_GLOBAL__N_124unique_dim_cuda_templateIN3c108BFloat16EEESt5tupleIJNSH_6TensorESO_SO_EERKSO_lbbbEUlllE0_EEPmJS6_EEE10hipError_tPvRmT3_T4_T5_T6_T7_T9_mT8_P12ihipStream_tbDpT10_ENKUlT_T0_E_clISt17integral_constantIbLb0EES1D_IbLb1EEEEDaS19_S1A_EUlS19_E_NS1_11comp_targetILNS1_3genE5ELNS1_11target_archE942ELNS1_3gpuE9ELNS1_3repE0EEENS1_30default_config_static_selectorELNS0_4arch9wavefront6targetE1EEEvT1_.kd
    .uniform_work_group_size: 1
    .uses_dynamic_stack: false
    .vgpr_count:     52
    .vgpr_spill_count: 0
    .wavefront_size: 64
  - .agpr_count:     0
    .args:
      - .offset:         0
        .size:           136
        .value_kind:     by_value
    .group_segment_fixed_size: 0
    .kernarg_segment_align: 8
    .kernarg_segment_size: 136
    .language:       OpenCL C
    .language_version:
      - 2
      - 0
    .max_flat_workgroup_size: 256
    .name:           _ZN7rocprim17ROCPRIM_400000_NS6detail17trampoline_kernelINS0_14default_configENS1_25partition_config_selectorILNS1_17partition_subalgoE8ElNS0_10empty_typeEbEEZZNS1_14partition_implILS5_8ELb0ES3_jPlPS6_PKS6_NS0_5tupleIJS9_S6_EEENSD_IJSA_SA_EEENS0_18inequality_wrapperIZN2at6native12_GLOBAL__N_124unique_dim_cuda_templateIN3c108BFloat16EEESt5tupleIJNSH_6TensorESO_SO_EERKSO_lbbbEUlllE0_EEPmJS6_EEE10hipError_tPvRmT3_T4_T5_T6_T7_T9_mT8_P12ihipStream_tbDpT10_ENKUlT_T0_E_clISt17integral_constantIbLb0EES1D_IbLb1EEEEDaS19_S1A_EUlS19_E_NS1_11comp_targetILNS1_3genE4ELNS1_11target_archE910ELNS1_3gpuE8ELNS1_3repE0EEENS1_30default_config_static_selectorELNS0_4arch9wavefront6targetE1EEEvT1_
    .private_segment_fixed_size: 0
    .sgpr_count:     6
    .sgpr_spill_count: 0
    .symbol:         _ZN7rocprim17ROCPRIM_400000_NS6detail17trampoline_kernelINS0_14default_configENS1_25partition_config_selectorILNS1_17partition_subalgoE8ElNS0_10empty_typeEbEEZZNS1_14partition_implILS5_8ELb0ES3_jPlPS6_PKS6_NS0_5tupleIJS9_S6_EEENSD_IJSA_SA_EEENS0_18inequality_wrapperIZN2at6native12_GLOBAL__N_124unique_dim_cuda_templateIN3c108BFloat16EEESt5tupleIJNSH_6TensorESO_SO_EERKSO_lbbbEUlllE0_EEPmJS6_EEE10hipError_tPvRmT3_T4_T5_T6_T7_T9_mT8_P12ihipStream_tbDpT10_ENKUlT_T0_E_clISt17integral_constantIbLb0EES1D_IbLb1EEEEDaS19_S1A_EUlS19_E_NS1_11comp_targetILNS1_3genE4ELNS1_11target_archE910ELNS1_3gpuE8ELNS1_3repE0EEENS1_30default_config_static_selectorELNS0_4arch9wavefront6targetE1EEEvT1_.kd
    .uniform_work_group_size: 1
    .uses_dynamic_stack: false
    .vgpr_count:     0
    .vgpr_spill_count: 0
    .wavefront_size: 64
  - .agpr_count:     0
    .args:
      - .offset:         0
        .size:           136
        .value_kind:     by_value
    .group_segment_fixed_size: 0
    .kernarg_segment_align: 8
    .kernarg_segment_size: 136
    .language:       OpenCL C
    .language_version:
      - 2
      - 0
    .max_flat_workgroup_size: 512
    .name:           _ZN7rocprim17ROCPRIM_400000_NS6detail17trampoline_kernelINS0_14default_configENS1_25partition_config_selectorILNS1_17partition_subalgoE8ElNS0_10empty_typeEbEEZZNS1_14partition_implILS5_8ELb0ES3_jPlPS6_PKS6_NS0_5tupleIJS9_S6_EEENSD_IJSA_SA_EEENS0_18inequality_wrapperIZN2at6native12_GLOBAL__N_124unique_dim_cuda_templateIN3c108BFloat16EEESt5tupleIJNSH_6TensorESO_SO_EERKSO_lbbbEUlllE0_EEPmJS6_EEE10hipError_tPvRmT3_T4_T5_T6_T7_T9_mT8_P12ihipStream_tbDpT10_ENKUlT_T0_E_clISt17integral_constantIbLb0EES1D_IbLb1EEEEDaS19_S1A_EUlS19_E_NS1_11comp_targetILNS1_3genE3ELNS1_11target_archE908ELNS1_3gpuE7ELNS1_3repE0EEENS1_30default_config_static_selectorELNS0_4arch9wavefront6targetE1EEEvT1_
    .private_segment_fixed_size: 0
    .sgpr_count:     6
    .sgpr_spill_count: 0
    .symbol:         _ZN7rocprim17ROCPRIM_400000_NS6detail17trampoline_kernelINS0_14default_configENS1_25partition_config_selectorILNS1_17partition_subalgoE8ElNS0_10empty_typeEbEEZZNS1_14partition_implILS5_8ELb0ES3_jPlPS6_PKS6_NS0_5tupleIJS9_S6_EEENSD_IJSA_SA_EEENS0_18inequality_wrapperIZN2at6native12_GLOBAL__N_124unique_dim_cuda_templateIN3c108BFloat16EEESt5tupleIJNSH_6TensorESO_SO_EERKSO_lbbbEUlllE0_EEPmJS6_EEE10hipError_tPvRmT3_T4_T5_T6_T7_T9_mT8_P12ihipStream_tbDpT10_ENKUlT_T0_E_clISt17integral_constantIbLb0EES1D_IbLb1EEEEDaS19_S1A_EUlS19_E_NS1_11comp_targetILNS1_3genE3ELNS1_11target_archE908ELNS1_3gpuE7ELNS1_3repE0EEENS1_30default_config_static_selectorELNS0_4arch9wavefront6targetE1EEEvT1_.kd
    .uniform_work_group_size: 1
    .uses_dynamic_stack: false
    .vgpr_count:     0
    .vgpr_spill_count: 0
    .wavefront_size: 64
  - .agpr_count:     0
    .args:
      - .offset:         0
        .size:           136
        .value_kind:     by_value
    .group_segment_fixed_size: 0
    .kernarg_segment_align: 8
    .kernarg_segment_size: 136
    .language:       OpenCL C
    .language_version:
      - 2
      - 0
    .max_flat_workgroup_size: 256
    .name:           _ZN7rocprim17ROCPRIM_400000_NS6detail17trampoline_kernelINS0_14default_configENS1_25partition_config_selectorILNS1_17partition_subalgoE8ElNS0_10empty_typeEbEEZZNS1_14partition_implILS5_8ELb0ES3_jPlPS6_PKS6_NS0_5tupleIJS9_S6_EEENSD_IJSA_SA_EEENS0_18inequality_wrapperIZN2at6native12_GLOBAL__N_124unique_dim_cuda_templateIN3c108BFloat16EEESt5tupleIJNSH_6TensorESO_SO_EERKSO_lbbbEUlllE0_EEPmJS6_EEE10hipError_tPvRmT3_T4_T5_T6_T7_T9_mT8_P12ihipStream_tbDpT10_ENKUlT_T0_E_clISt17integral_constantIbLb0EES1D_IbLb1EEEEDaS19_S1A_EUlS19_E_NS1_11comp_targetILNS1_3genE2ELNS1_11target_archE906ELNS1_3gpuE6ELNS1_3repE0EEENS1_30default_config_static_selectorELNS0_4arch9wavefront6targetE1EEEvT1_
    .private_segment_fixed_size: 0
    .sgpr_count:     6
    .sgpr_spill_count: 0
    .symbol:         _ZN7rocprim17ROCPRIM_400000_NS6detail17trampoline_kernelINS0_14default_configENS1_25partition_config_selectorILNS1_17partition_subalgoE8ElNS0_10empty_typeEbEEZZNS1_14partition_implILS5_8ELb0ES3_jPlPS6_PKS6_NS0_5tupleIJS9_S6_EEENSD_IJSA_SA_EEENS0_18inequality_wrapperIZN2at6native12_GLOBAL__N_124unique_dim_cuda_templateIN3c108BFloat16EEESt5tupleIJNSH_6TensorESO_SO_EERKSO_lbbbEUlllE0_EEPmJS6_EEE10hipError_tPvRmT3_T4_T5_T6_T7_T9_mT8_P12ihipStream_tbDpT10_ENKUlT_T0_E_clISt17integral_constantIbLb0EES1D_IbLb1EEEEDaS19_S1A_EUlS19_E_NS1_11comp_targetILNS1_3genE2ELNS1_11target_archE906ELNS1_3gpuE6ELNS1_3repE0EEENS1_30default_config_static_selectorELNS0_4arch9wavefront6targetE1EEEvT1_.kd
    .uniform_work_group_size: 1
    .uses_dynamic_stack: false
    .vgpr_count:     0
    .vgpr_spill_count: 0
    .wavefront_size: 64
  - .agpr_count:     0
    .args:
      - .offset:         0
        .size:           136
        .value_kind:     by_value
    .group_segment_fixed_size: 0
    .kernarg_segment_align: 8
    .kernarg_segment_size: 136
    .language:       OpenCL C
    .language_version:
      - 2
      - 0
    .max_flat_workgroup_size: 384
    .name:           _ZN7rocprim17ROCPRIM_400000_NS6detail17trampoline_kernelINS0_14default_configENS1_25partition_config_selectorILNS1_17partition_subalgoE8ElNS0_10empty_typeEbEEZZNS1_14partition_implILS5_8ELb0ES3_jPlPS6_PKS6_NS0_5tupleIJS9_S6_EEENSD_IJSA_SA_EEENS0_18inequality_wrapperIZN2at6native12_GLOBAL__N_124unique_dim_cuda_templateIN3c108BFloat16EEESt5tupleIJNSH_6TensorESO_SO_EERKSO_lbbbEUlllE0_EEPmJS6_EEE10hipError_tPvRmT3_T4_T5_T6_T7_T9_mT8_P12ihipStream_tbDpT10_ENKUlT_T0_E_clISt17integral_constantIbLb0EES1D_IbLb1EEEEDaS19_S1A_EUlS19_E_NS1_11comp_targetILNS1_3genE10ELNS1_11target_archE1200ELNS1_3gpuE4ELNS1_3repE0EEENS1_30default_config_static_selectorELNS0_4arch9wavefront6targetE1EEEvT1_
    .private_segment_fixed_size: 0
    .sgpr_count:     6
    .sgpr_spill_count: 0
    .symbol:         _ZN7rocprim17ROCPRIM_400000_NS6detail17trampoline_kernelINS0_14default_configENS1_25partition_config_selectorILNS1_17partition_subalgoE8ElNS0_10empty_typeEbEEZZNS1_14partition_implILS5_8ELb0ES3_jPlPS6_PKS6_NS0_5tupleIJS9_S6_EEENSD_IJSA_SA_EEENS0_18inequality_wrapperIZN2at6native12_GLOBAL__N_124unique_dim_cuda_templateIN3c108BFloat16EEESt5tupleIJNSH_6TensorESO_SO_EERKSO_lbbbEUlllE0_EEPmJS6_EEE10hipError_tPvRmT3_T4_T5_T6_T7_T9_mT8_P12ihipStream_tbDpT10_ENKUlT_T0_E_clISt17integral_constantIbLb0EES1D_IbLb1EEEEDaS19_S1A_EUlS19_E_NS1_11comp_targetILNS1_3genE10ELNS1_11target_archE1200ELNS1_3gpuE4ELNS1_3repE0EEENS1_30default_config_static_selectorELNS0_4arch9wavefront6targetE1EEEvT1_.kd
    .uniform_work_group_size: 1
    .uses_dynamic_stack: false
    .vgpr_count:     0
    .vgpr_spill_count: 0
    .wavefront_size: 64
  - .agpr_count:     0
    .args:
      - .offset:         0
        .size:           136
        .value_kind:     by_value
    .group_segment_fixed_size: 0
    .kernarg_segment_align: 8
    .kernarg_segment_size: 136
    .language:       OpenCL C
    .language_version:
      - 2
      - 0
    .max_flat_workgroup_size: 512
    .name:           _ZN7rocprim17ROCPRIM_400000_NS6detail17trampoline_kernelINS0_14default_configENS1_25partition_config_selectorILNS1_17partition_subalgoE8ElNS0_10empty_typeEbEEZZNS1_14partition_implILS5_8ELb0ES3_jPlPS6_PKS6_NS0_5tupleIJS9_S6_EEENSD_IJSA_SA_EEENS0_18inequality_wrapperIZN2at6native12_GLOBAL__N_124unique_dim_cuda_templateIN3c108BFloat16EEESt5tupleIJNSH_6TensorESO_SO_EERKSO_lbbbEUlllE0_EEPmJS6_EEE10hipError_tPvRmT3_T4_T5_T6_T7_T9_mT8_P12ihipStream_tbDpT10_ENKUlT_T0_E_clISt17integral_constantIbLb0EES1D_IbLb1EEEEDaS19_S1A_EUlS19_E_NS1_11comp_targetILNS1_3genE9ELNS1_11target_archE1100ELNS1_3gpuE3ELNS1_3repE0EEENS1_30default_config_static_selectorELNS0_4arch9wavefront6targetE1EEEvT1_
    .private_segment_fixed_size: 0
    .sgpr_count:     6
    .sgpr_spill_count: 0
    .symbol:         _ZN7rocprim17ROCPRIM_400000_NS6detail17trampoline_kernelINS0_14default_configENS1_25partition_config_selectorILNS1_17partition_subalgoE8ElNS0_10empty_typeEbEEZZNS1_14partition_implILS5_8ELb0ES3_jPlPS6_PKS6_NS0_5tupleIJS9_S6_EEENSD_IJSA_SA_EEENS0_18inequality_wrapperIZN2at6native12_GLOBAL__N_124unique_dim_cuda_templateIN3c108BFloat16EEESt5tupleIJNSH_6TensorESO_SO_EERKSO_lbbbEUlllE0_EEPmJS6_EEE10hipError_tPvRmT3_T4_T5_T6_T7_T9_mT8_P12ihipStream_tbDpT10_ENKUlT_T0_E_clISt17integral_constantIbLb0EES1D_IbLb1EEEEDaS19_S1A_EUlS19_E_NS1_11comp_targetILNS1_3genE9ELNS1_11target_archE1100ELNS1_3gpuE3ELNS1_3repE0EEENS1_30default_config_static_selectorELNS0_4arch9wavefront6targetE1EEEvT1_.kd
    .uniform_work_group_size: 1
    .uses_dynamic_stack: false
    .vgpr_count:     0
    .vgpr_spill_count: 0
    .wavefront_size: 64
  - .agpr_count:     0
    .args:
      - .offset:         0
        .size:           136
        .value_kind:     by_value
    .group_segment_fixed_size: 0
    .kernarg_segment_align: 8
    .kernarg_segment_size: 136
    .language:       OpenCL C
    .language_version:
      - 2
      - 0
    .max_flat_workgroup_size: 512
    .name:           _ZN7rocprim17ROCPRIM_400000_NS6detail17trampoline_kernelINS0_14default_configENS1_25partition_config_selectorILNS1_17partition_subalgoE8ElNS0_10empty_typeEbEEZZNS1_14partition_implILS5_8ELb0ES3_jPlPS6_PKS6_NS0_5tupleIJS9_S6_EEENSD_IJSA_SA_EEENS0_18inequality_wrapperIZN2at6native12_GLOBAL__N_124unique_dim_cuda_templateIN3c108BFloat16EEESt5tupleIJNSH_6TensorESO_SO_EERKSO_lbbbEUlllE0_EEPmJS6_EEE10hipError_tPvRmT3_T4_T5_T6_T7_T9_mT8_P12ihipStream_tbDpT10_ENKUlT_T0_E_clISt17integral_constantIbLb0EES1D_IbLb1EEEEDaS19_S1A_EUlS19_E_NS1_11comp_targetILNS1_3genE8ELNS1_11target_archE1030ELNS1_3gpuE2ELNS1_3repE0EEENS1_30default_config_static_selectorELNS0_4arch9wavefront6targetE1EEEvT1_
    .private_segment_fixed_size: 0
    .sgpr_count:     6
    .sgpr_spill_count: 0
    .symbol:         _ZN7rocprim17ROCPRIM_400000_NS6detail17trampoline_kernelINS0_14default_configENS1_25partition_config_selectorILNS1_17partition_subalgoE8ElNS0_10empty_typeEbEEZZNS1_14partition_implILS5_8ELb0ES3_jPlPS6_PKS6_NS0_5tupleIJS9_S6_EEENSD_IJSA_SA_EEENS0_18inequality_wrapperIZN2at6native12_GLOBAL__N_124unique_dim_cuda_templateIN3c108BFloat16EEESt5tupleIJNSH_6TensorESO_SO_EERKSO_lbbbEUlllE0_EEPmJS6_EEE10hipError_tPvRmT3_T4_T5_T6_T7_T9_mT8_P12ihipStream_tbDpT10_ENKUlT_T0_E_clISt17integral_constantIbLb0EES1D_IbLb1EEEEDaS19_S1A_EUlS19_E_NS1_11comp_targetILNS1_3genE8ELNS1_11target_archE1030ELNS1_3gpuE2ELNS1_3repE0EEENS1_30default_config_static_selectorELNS0_4arch9wavefront6targetE1EEEvT1_.kd
    .uniform_work_group_size: 1
    .uses_dynamic_stack: false
    .vgpr_count:     0
    .vgpr_spill_count: 0
    .wavefront_size: 64
  - .agpr_count:     0
    .args:
      - .offset:         0
        .size:           120
        .value_kind:     by_value
    .group_segment_fixed_size: 0
    .kernarg_segment_align: 8
    .kernarg_segment_size: 120
    .language:       OpenCL C
    .language_version:
      - 2
      - 0
    .max_flat_workgroup_size: 128
    .name:           _ZN7rocprim17ROCPRIM_400000_NS6detail17trampoline_kernelINS0_14default_configENS1_25partition_config_selectorILNS1_17partition_subalgoE9EllbEEZZNS1_14partition_implILS5_9ELb0ES3_jPlS8_PNS0_10empty_typeENS0_5tupleIJS8_S9_EEENSB_IJS8_SA_EEENS0_18inequality_wrapperIZN2at6native12_GLOBAL__N_124unique_dim_cuda_templateIN3c108BFloat16EEESt5tupleIJNSF_6TensorESM_SM_EERKSM_lbbbEUlllE0_EEPmJS9_EEE10hipError_tPvRmT3_T4_T5_T6_T7_T9_mT8_P12ihipStream_tbDpT10_ENKUlT_T0_E_clISt17integral_constantIbLb0EES1C_EEDaS17_S18_EUlS17_E_NS1_11comp_targetILNS1_3genE0ELNS1_11target_archE4294967295ELNS1_3gpuE0ELNS1_3repE0EEENS1_30default_config_static_selectorELNS0_4arch9wavefront6targetE1EEEvT1_
    .private_segment_fixed_size: 0
    .sgpr_count:     6
    .sgpr_spill_count: 0
    .symbol:         _ZN7rocprim17ROCPRIM_400000_NS6detail17trampoline_kernelINS0_14default_configENS1_25partition_config_selectorILNS1_17partition_subalgoE9EllbEEZZNS1_14partition_implILS5_9ELb0ES3_jPlS8_PNS0_10empty_typeENS0_5tupleIJS8_S9_EEENSB_IJS8_SA_EEENS0_18inequality_wrapperIZN2at6native12_GLOBAL__N_124unique_dim_cuda_templateIN3c108BFloat16EEESt5tupleIJNSF_6TensorESM_SM_EERKSM_lbbbEUlllE0_EEPmJS9_EEE10hipError_tPvRmT3_T4_T5_T6_T7_T9_mT8_P12ihipStream_tbDpT10_ENKUlT_T0_E_clISt17integral_constantIbLb0EES1C_EEDaS17_S18_EUlS17_E_NS1_11comp_targetILNS1_3genE0ELNS1_11target_archE4294967295ELNS1_3gpuE0ELNS1_3repE0EEENS1_30default_config_static_selectorELNS0_4arch9wavefront6targetE1EEEvT1_.kd
    .uniform_work_group_size: 1
    .uses_dynamic_stack: false
    .vgpr_count:     0
    .vgpr_spill_count: 0
    .wavefront_size: 64
  - .agpr_count:     0
    .args:
      - .offset:         0
        .size:           120
        .value_kind:     by_value
    .group_segment_fixed_size: 28684
    .kernarg_segment_align: 8
    .kernarg_segment_size: 120
    .language:       OpenCL C
    .language_version:
      - 2
      - 0
    .max_flat_workgroup_size: 512
    .name:           _ZN7rocprim17ROCPRIM_400000_NS6detail17trampoline_kernelINS0_14default_configENS1_25partition_config_selectorILNS1_17partition_subalgoE9EllbEEZZNS1_14partition_implILS5_9ELb0ES3_jPlS8_PNS0_10empty_typeENS0_5tupleIJS8_S9_EEENSB_IJS8_SA_EEENS0_18inequality_wrapperIZN2at6native12_GLOBAL__N_124unique_dim_cuda_templateIN3c108BFloat16EEESt5tupleIJNSF_6TensorESM_SM_EERKSM_lbbbEUlllE0_EEPmJS9_EEE10hipError_tPvRmT3_T4_T5_T6_T7_T9_mT8_P12ihipStream_tbDpT10_ENKUlT_T0_E_clISt17integral_constantIbLb0EES1C_EEDaS17_S18_EUlS17_E_NS1_11comp_targetILNS1_3genE5ELNS1_11target_archE942ELNS1_3gpuE9ELNS1_3repE0EEENS1_30default_config_static_selectorELNS0_4arch9wavefront6targetE1EEEvT1_
    .private_segment_fixed_size: 0
    .sgpr_count:     58
    .sgpr_spill_count: 0
    .symbol:         _ZN7rocprim17ROCPRIM_400000_NS6detail17trampoline_kernelINS0_14default_configENS1_25partition_config_selectorILNS1_17partition_subalgoE9EllbEEZZNS1_14partition_implILS5_9ELb0ES3_jPlS8_PNS0_10empty_typeENS0_5tupleIJS8_S9_EEENSB_IJS8_SA_EEENS0_18inequality_wrapperIZN2at6native12_GLOBAL__N_124unique_dim_cuda_templateIN3c108BFloat16EEESt5tupleIJNSF_6TensorESM_SM_EERKSM_lbbbEUlllE0_EEPmJS9_EEE10hipError_tPvRmT3_T4_T5_T6_T7_T9_mT8_P12ihipStream_tbDpT10_ENKUlT_T0_E_clISt17integral_constantIbLb0EES1C_EEDaS17_S18_EUlS17_E_NS1_11comp_targetILNS1_3genE5ELNS1_11target_archE942ELNS1_3gpuE9ELNS1_3repE0EEENS1_30default_config_static_selectorELNS0_4arch9wavefront6targetE1EEEvT1_.kd
    .uniform_work_group_size: 1
    .uses_dynamic_stack: false
    .vgpr_count:     66
    .vgpr_spill_count: 0
    .wavefront_size: 64
  - .agpr_count:     0
    .args:
      - .offset:         0
        .size:           120
        .value_kind:     by_value
    .group_segment_fixed_size: 0
    .kernarg_segment_align: 8
    .kernarg_segment_size: 120
    .language:       OpenCL C
    .language_version:
      - 2
      - 0
    .max_flat_workgroup_size: 128
    .name:           _ZN7rocprim17ROCPRIM_400000_NS6detail17trampoline_kernelINS0_14default_configENS1_25partition_config_selectorILNS1_17partition_subalgoE9EllbEEZZNS1_14partition_implILS5_9ELb0ES3_jPlS8_PNS0_10empty_typeENS0_5tupleIJS8_S9_EEENSB_IJS8_SA_EEENS0_18inequality_wrapperIZN2at6native12_GLOBAL__N_124unique_dim_cuda_templateIN3c108BFloat16EEESt5tupleIJNSF_6TensorESM_SM_EERKSM_lbbbEUlllE0_EEPmJS9_EEE10hipError_tPvRmT3_T4_T5_T6_T7_T9_mT8_P12ihipStream_tbDpT10_ENKUlT_T0_E_clISt17integral_constantIbLb0EES1C_EEDaS17_S18_EUlS17_E_NS1_11comp_targetILNS1_3genE4ELNS1_11target_archE910ELNS1_3gpuE8ELNS1_3repE0EEENS1_30default_config_static_selectorELNS0_4arch9wavefront6targetE1EEEvT1_
    .private_segment_fixed_size: 0
    .sgpr_count:     6
    .sgpr_spill_count: 0
    .symbol:         _ZN7rocprim17ROCPRIM_400000_NS6detail17trampoline_kernelINS0_14default_configENS1_25partition_config_selectorILNS1_17partition_subalgoE9EllbEEZZNS1_14partition_implILS5_9ELb0ES3_jPlS8_PNS0_10empty_typeENS0_5tupleIJS8_S9_EEENSB_IJS8_SA_EEENS0_18inequality_wrapperIZN2at6native12_GLOBAL__N_124unique_dim_cuda_templateIN3c108BFloat16EEESt5tupleIJNSF_6TensorESM_SM_EERKSM_lbbbEUlllE0_EEPmJS9_EEE10hipError_tPvRmT3_T4_T5_T6_T7_T9_mT8_P12ihipStream_tbDpT10_ENKUlT_T0_E_clISt17integral_constantIbLb0EES1C_EEDaS17_S18_EUlS17_E_NS1_11comp_targetILNS1_3genE4ELNS1_11target_archE910ELNS1_3gpuE8ELNS1_3repE0EEENS1_30default_config_static_selectorELNS0_4arch9wavefront6targetE1EEEvT1_.kd
    .uniform_work_group_size: 1
    .uses_dynamic_stack: false
    .vgpr_count:     0
    .vgpr_spill_count: 0
    .wavefront_size: 64
  - .agpr_count:     0
    .args:
      - .offset:         0
        .size:           120
        .value_kind:     by_value
    .group_segment_fixed_size: 0
    .kernarg_segment_align: 8
    .kernarg_segment_size: 120
    .language:       OpenCL C
    .language_version:
      - 2
      - 0
    .max_flat_workgroup_size: 128
    .name:           _ZN7rocprim17ROCPRIM_400000_NS6detail17trampoline_kernelINS0_14default_configENS1_25partition_config_selectorILNS1_17partition_subalgoE9EllbEEZZNS1_14partition_implILS5_9ELb0ES3_jPlS8_PNS0_10empty_typeENS0_5tupleIJS8_S9_EEENSB_IJS8_SA_EEENS0_18inequality_wrapperIZN2at6native12_GLOBAL__N_124unique_dim_cuda_templateIN3c108BFloat16EEESt5tupleIJNSF_6TensorESM_SM_EERKSM_lbbbEUlllE0_EEPmJS9_EEE10hipError_tPvRmT3_T4_T5_T6_T7_T9_mT8_P12ihipStream_tbDpT10_ENKUlT_T0_E_clISt17integral_constantIbLb0EES1C_EEDaS17_S18_EUlS17_E_NS1_11comp_targetILNS1_3genE3ELNS1_11target_archE908ELNS1_3gpuE7ELNS1_3repE0EEENS1_30default_config_static_selectorELNS0_4arch9wavefront6targetE1EEEvT1_
    .private_segment_fixed_size: 0
    .sgpr_count:     6
    .sgpr_spill_count: 0
    .symbol:         _ZN7rocprim17ROCPRIM_400000_NS6detail17trampoline_kernelINS0_14default_configENS1_25partition_config_selectorILNS1_17partition_subalgoE9EllbEEZZNS1_14partition_implILS5_9ELb0ES3_jPlS8_PNS0_10empty_typeENS0_5tupleIJS8_S9_EEENSB_IJS8_SA_EEENS0_18inequality_wrapperIZN2at6native12_GLOBAL__N_124unique_dim_cuda_templateIN3c108BFloat16EEESt5tupleIJNSF_6TensorESM_SM_EERKSM_lbbbEUlllE0_EEPmJS9_EEE10hipError_tPvRmT3_T4_T5_T6_T7_T9_mT8_P12ihipStream_tbDpT10_ENKUlT_T0_E_clISt17integral_constantIbLb0EES1C_EEDaS17_S18_EUlS17_E_NS1_11comp_targetILNS1_3genE3ELNS1_11target_archE908ELNS1_3gpuE7ELNS1_3repE0EEENS1_30default_config_static_selectorELNS0_4arch9wavefront6targetE1EEEvT1_.kd
    .uniform_work_group_size: 1
    .uses_dynamic_stack: false
    .vgpr_count:     0
    .vgpr_spill_count: 0
    .wavefront_size: 64
  - .agpr_count:     0
    .args:
      - .offset:         0
        .size:           120
        .value_kind:     by_value
    .group_segment_fixed_size: 0
    .kernarg_segment_align: 8
    .kernarg_segment_size: 120
    .language:       OpenCL C
    .language_version:
      - 2
      - 0
    .max_flat_workgroup_size: 192
    .name:           _ZN7rocprim17ROCPRIM_400000_NS6detail17trampoline_kernelINS0_14default_configENS1_25partition_config_selectorILNS1_17partition_subalgoE9EllbEEZZNS1_14partition_implILS5_9ELb0ES3_jPlS8_PNS0_10empty_typeENS0_5tupleIJS8_S9_EEENSB_IJS8_SA_EEENS0_18inequality_wrapperIZN2at6native12_GLOBAL__N_124unique_dim_cuda_templateIN3c108BFloat16EEESt5tupleIJNSF_6TensorESM_SM_EERKSM_lbbbEUlllE0_EEPmJS9_EEE10hipError_tPvRmT3_T4_T5_T6_T7_T9_mT8_P12ihipStream_tbDpT10_ENKUlT_T0_E_clISt17integral_constantIbLb0EES1C_EEDaS17_S18_EUlS17_E_NS1_11comp_targetILNS1_3genE2ELNS1_11target_archE906ELNS1_3gpuE6ELNS1_3repE0EEENS1_30default_config_static_selectorELNS0_4arch9wavefront6targetE1EEEvT1_
    .private_segment_fixed_size: 0
    .sgpr_count:     6
    .sgpr_spill_count: 0
    .symbol:         _ZN7rocprim17ROCPRIM_400000_NS6detail17trampoline_kernelINS0_14default_configENS1_25partition_config_selectorILNS1_17partition_subalgoE9EllbEEZZNS1_14partition_implILS5_9ELb0ES3_jPlS8_PNS0_10empty_typeENS0_5tupleIJS8_S9_EEENSB_IJS8_SA_EEENS0_18inequality_wrapperIZN2at6native12_GLOBAL__N_124unique_dim_cuda_templateIN3c108BFloat16EEESt5tupleIJNSF_6TensorESM_SM_EERKSM_lbbbEUlllE0_EEPmJS9_EEE10hipError_tPvRmT3_T4_T5_T6_T7_T9_mT8_P12ihipStream_tbDpT10_ENKUlT_T0_E_clISt17integral_constantIbLb0EES1C_EEDaS17_S18_EUlS17_E_NS1_11comp_targetILNS1_3genE2ELNS1_11target_archE906ELNS1_3gpuE6ELNS1_3repE0EEENS1_30default_config_static_selectorELNS0_4arch9wavefront6targetE1EEEvT1_.kd
    .uniform_work_group_size: 1
    .uses_dynamic_stack: false
    .vgpr_count:     0
    .vgpr_spill_count: 0
    .wavefront_size: 64
  - .agpr_count:     0
    .args:
      - .offset:         0
        .size:           120
        .value_kind:     by_value
    .group_segment_fixed_size: 0
    .kernarg_segment_align: 8
    .kernarg_segment_size: 120
    .language:       OpenCL C
    .language_version:
      - 2
      - 0
    .max_flat_workgroup_size: 384
    .name:           _ZN7rocprim17ROCPRIM_400000_NS6detail17trampoline_kernelINS0_14default_configENS1_25partition_config_selectorILNS1_17partition_subalgoE9EllbEEZZNS1_14partition_implILS5_9ELb0ES3_jPlS8_PNS0_10empty_typeENS0_5tupleIJS8_S9_EEENSB_IJS8_SA_EEENS0_18inequality_wrapperIZN2at6native12_GLOBAL__N_124unique_dim_cuda_templateIN3c108BFloat16EEESt5tupleIJNSF_6TensorESM_SM_EERKSM_lbbbEUlllE0_EEPmJS9_EEE10hipError_tPvRmT3_T4_T5_T6_T7_T9_mT8_P12ihipStream_tbDpT10_ENKUlT_T0_E_clISt17integral_constantIbLb0EES1C_EEDaS17_S18_EUlS17_E_NS1_11comp_targetILNS1_3genE10ELNS1_11target_archE1200ELNS1_3gpuE4ELNS1_3repE0EEENS1_30default_config_static_selectorELNS0_4arch9wavefront6targetE1EEEvT1_
    .private_segment_fixed_size: 0
    .sgpr_count:     6
    .sgpr_spill_count: 0
    .symbol:         _ZN7rocprim17ROCPRIM_400000_NS6detail17trampoline_kernelINS0_14default_configENS1_25partition_config_selectorILNS1_17partition_subalgoE9EllbEEZZNS1_14partition_implILS5_9ELb0ES3_jPlS8_PNS0_10empty_typeENS0_5tupleIJS8_S9_EEENSB_IJS8_SA_EEENS0_18inequality_wrapperIZN2at6native12_GLOBAL__N_124unique_dim_cuda_templateIN3c108BFloat16EEESt5tupleIJNSF_6TensorESM_SM_EERKSM_lbbbEUlllE0_EEPmJS9_EEE10hipError_tPvRmT3_T4_T5_T6_T7_T9_mT8_P12ihipStream_tbDpT10_ENKUlT_T0_E_clISt17integral_constantIbLb0EES1C_EEDaS17_S18_EUlS17_E_NS1_11comp_targetILNS1_3genE10ELNS1_11target_archE1200ELNS1_3gpuE4ELNS1_3repE0EEENS1_30default_config_static_selectorELNS0_4arch9wavefront6targetE1EEEvT1_.kd
    .uniform_work_group_size: 1
    .uses_dynamic_stack: false
    .vgpr_count:     0
    .vgpr_spill_count: 0
    .wavefront_size: 64
  - .agpr_count:     0
    .args:
      - .offset:         0
        .size:           120
        .value_kind:     by_value
    .group_segment_fixed_size: 0
    .kernarg_segment_align: 8
    .kernarg_segment_size: 120
    .language:       OpenCL C
    .language_version:
      - 2
      - 0
    .max_flat_workgroup_size: 512
    .name:           _ZN7rocprim17ROCPRIM_400000_NS6detail17trampoline_kernelINS0_14default_configENS1_25partition_config_selectorILNS1_17partition_subalgoE9EllbEEZZNS1_14partition_implILS5_9ELb0ES3_jPlS8_PNS0_10empty_typeENS0_5tupleIJS8_S9_EEENSB_IJS8_SA_EEENS0_18inequality_wrapperIZN2at6native12_GLOBAL__N_124unique_dim_cuda_templateIN3c108BFloat16EEESt5tupleIJNSF_6TensorESM_SM_EERKSM_lbbbEUlllE0_EEPmJS9_EEE10hipError_tPvRmT3_T4_T5_T6_T7_T9_mT8_P12ihipStream_tbDpT10_ENKUlT_T0_E_clISt17integral_constantIbLb0EES1C_EEDaS17_S18_EUlS17_E_NS1_11comp_targetILNS1_3genE9ELNS1_11target_archE1100ELNS1_3gpuE3ELNS1_3repE0EEENS1_30default_config_static_selectorELNS0_4arch9wavefront6targetE1EEEvT1_
    .private_segment_fixed_size: 0
    .sgpr_count:     6
    .sgpr_spill_count: 0
    .symbol:         _ZN7rocprim17ROCPRIM_400000_NS6detail17trampoline_kernelINS0_14default_configENS1_25partition_config_selectorILNS1_17partition_subalgoE9EllbEEZZNS1_14partition_implILS5_9ELb0ES3_jPlS8_PNS0_10empty_typeENS0_5tupleIJS8_S9_EEENSB_IJS8_SA_EEENS0_18inequality_wrapperIZN2at6native12_GLOBAL__N_124unique_dim_cuda_templateIN3c108BFloat16EEESt5tupleIJNSF_6TensorESM_SM_EERKSM_lbbbEUlllE0_EEPmJS9_EEE10hipError_tPvRmT3_T4_T5_T6_T7_T9_mT8_P12ihipStream_tbDpT10_ENKUlT_T0_E_clISt17integral_constantIbLb0EES1C_EEDaS17_S18_EUlS17_E_NS1_11comp_targetILNS1_3genE9ELNS1_11target_archE1100ELNS1_3gpuE3ELNS1_3repE0EEENS1_30default_config_static_selectorELNS0_4arch9wavefront6targetE1EEEvT1_.kd
    .uniform_work_group_size: 1
    .uses_dynamic_stack: false
    .vgpr_count:     0
    .vgpr_spill_count: 0
    .wavefront_size: 64
  - .agpr_count:     0
    .args:
      - .offset:         0
        .size:           120
        .value_kind:     by_value
    .group_segment_fixed_size: 0
    .kernarg_segment_align: 8
    .kernarg_segment_size: 120
    .language:       OpenCL C
    .language_version:
      - 2
      - 0
    .max_flat_workgroup_size: 512
    .name:           _ZN7rocprim17ROCPRIM_400000_NS6detail17trampoline_kernelINS0_14default_configENS1_25partition_config_selectorILNS1_17partition_subalgoE9EllbEEZZNS1_14partition_implILS5_9ELb0ES3_jPlS8_PNS0_10empty_typeENS0_5tupleIJS8_S9_EEENSB_IJS8_SA_EEENS0_18inequality_wrapperIZN2at6native12_GLOBAL__N_124unique_dim_cuda_templateIN3c108BFloat16EEESt5tupleIJNSF_6TensorESM_SM_EERKSM_lbbbEUlllE0_EEPmJS9_EEE10hipError_tPvRmT3_T4_T5_T6_T7_T9_mT8_P12ihipStream_tbDpT10_ENKUlT_T0_E_clISt17integral_constantIbLb0EES1C_EEDaS17_S18_EUlS17_E_NS1_11comp_targetILNS1_3genE8ELNS1_11target_archE1030ELNS1_3gpuE2ELNS1_3repE0EEENS1_30default_config_static_selectorELNS0_4arch9wavefront6targetE1EEEvT1_
    .private_segment_fixed_size: 0
    .sgpr_count:     6
    .sgpr_spill_count: 0
    .symbol:         _ZN7rocprim17ROCPRIM_400000_NS6detail17trampoline_kernelINS0_14default_configENS1_25partition_config_selectorILNS1_17partition_subalgoE9EllbEEZZNS1_14partition_implILS5_9ELb0ES3_jPlS8_PNS0_10empty_typeENS0_5tupleIJS8_S9_EEENSB_IJS8_SA_EEENS0_18inequality_wrapperIZN2at6native12_GLOBAL__N_124unique_dim_cuda_templateIN3c108BFloat16EEESt5tupleIJNSF_6TensorESM_SM_EERKSM_lbbbEUlllE0_EEPmJS9_EEE10hipError_tPvRmT3_T4_T5_T6_T7_T9_mT8_P12ihipStream_tbDpT10_ENKUlT_T0_E_clISt17integral_constantIbLb0EES1C_EEDaS17_S18_EUlS17_E_NS1_11comp_targetILNS1_3genE8ELNS1_11target_archE1030ELNS1_3gpuE2ELNS1_3repE0EEENS1_30default_config_static_selectorELNS0_4arch9wavefront6targetE1EEEvT1_.kd
    .uniform_work_group_size: 1
    .uses_dynamic_stack: false
    .vgpr_count:     0
    .vgpr_spill_count: 0
    .wavefront_size: 64
  - .agpr_count:     0
    .args:
      - .offset:         0
        .size:           136
        .value_kind:     by_value
    .group_segment_fixed_size: 0
    .kernarg_segment_align: 8
    .kernarg_segment_size: 136
    .language:       OpenCL C
    .language_version:
      - 2
      - 0
    .max_flat_workgroup_size: 128
    .name:           _ZN7rocprim17ROCPRIM_400000_NS6detail17trampoline_kernelINS0_14default_configENS1_25partition_config_selectorILNS1_17partition_subalgoE9EllbEEZZNS1_14partition_implILS5_9ELb0ES3_jPlS8_PNS0_10empty_typeENS0_5tupleIJS8_S9_EEENSB_IJS8_SA_EEENS0_18inequality_wrapperIZN2at6native12_GLOBAL__N_124unique_dim_cuda_templateIN3c108BFloat16EEESt5tupleIJNSF_6TensorESM_SM_EERKSM_lbbbEUlllE0_EEPmJS9_EEE10hipError_tPvRmT3_T4_T5_T6_T7_T9_mT8_P12ihipStream_tbDpT10_ENKUlT_T0_E_clISt17integral_constantIbLb1EES1C_EEDaS17_S18_EUlS17_E_NS1_11comp_targetILNS1_3genE0ELNS1_11target_archE4294967295ELNS1_3gpuE0ELNS1_3repE0EEENS1_30default_config_static_selectorELNS0_4arch9wavefront6targetE1EEEvT1_
    .private_segment_fixed_size: 0
    .sgpr_count:     6
    .sgpr_spill_count: 0
    .symbol:         _ZN7rocprim17ROCPRIM_400000_NS6detail17trampoline_kernelINS0_14default_configENS1_25partition_config_selectorILNS1_17partition_subalgoE9EllbEEZZNS1_14partition_implILS5_9ELb0ES3_jPlS8_PNS0_10empty_typeENS0_5tupleIJS8_S9_EEENSB_IJS8_SA_EEENS0_18inequality_wrapperIZN2at6native12_GLOBAL__N_124unique_dim_cuda_templateIN3c108BFloat16EEESt5tupleIJNSF_6TensorESM_SM_EERKSM_lbbbEUlllE0_EEPmJS9_EEE10hipError_tPvRmT3_T4_T5_T6_T7_T9_mT8_P12ihipStream_tbDpT10_ENKUlT_T0_E_clISt17integral_constantIbLb1EES1C_EEDaS17_S18_EUlS17_E_NS1_11comp_targetILNS1_3genE0ELNS1_11target_archE4294967295ELNS1_3gpuE0ELNS1_3repE0EEENS1_30default_config_static_selectorELNS0_4arch9wavefront6targetE1EEEvT1_.kd
    .uniform_work_group_size: 1
    .uses_dynamic_stack: false
    .vgpr_count:     0
    .vgpr_spill_count: 0
    .wavefront_size: 64
  - .agpr_count:     0
    .args:
      - .offset:         0
        .size:           136
        .value_kind:     by_value
    .group_segment_fixed_size: 28684
    .kernarg_segment_align: 8
    .kernarg_segment_size: 136
    .language:       OpenCL C
    .language_version:
      - 2
      - 0
    .max_flat_workgroup_size: 512
    .name:           _ZN7rocprim17ROCPRIM_400000_NS6detail17trampoline_kernelINS0_14default_configENS1_25partition_config_selectorILNS1_17partition_subalgoE9EllbEEZZNS1_14partition_implILS5_9ELb0ES3_jPlS8_PNS0_10empty_typeENS0_5tupleIJS8_S9_EEENSB_IJS8_SA_EEENS0_18inequality_wrapperIZN2at6native12_GLOBAL__N_124unique_dim_cuda_templateIN3c108BFloat16EEESt5tupleIJNSF_6TensorESM_SM_EERKSM_lbbbEUlllE0_EEPmJS9_EEE10hipError_tPvRmT3_T4_T5_T6_T7_T9_mT8_P12ihipStream_tbDpT10_ENKUlT_T0_E_clISt17integral_constantIbLb1EES1C_EEDaS17_S18_EUlS17_E_NS1_11comp_targetILNS1_3genE5ELNS1_11target_archE942ELNS1_3gpuE9ELNS1_3repE0EEENS1_30default_config_static_selectorELNS0_4arch9wavefront6targetE1EEEvT1_
    .private_segment_fixed_size: 0
    .sgpr_count:     64
    .sgpr_spill_count: 0
    .symbol:         _ZN7rocprim17ROCPRIM_400000_NS6detail17trampoline_kernelINS0_14default_configENS1_25partition_config_selectorILNS1_17partition_subalgoE9EllbEEZZNS1_14partition_implILS5_9ELb0ES3_jPlS8_PNS0_10empty_typeENS0_5tupleIJS8_S9_EEENSB_IJS8_SA_EEENS0_18inequality_wrapperIZN2at6native12_GLOBAL__N_124unique_dim_cuda_templateIN3c108BFloat16EEESt5tupleIJNSF_6TensorESM_SM_EERKSM_lbbbEUlllE0_EEPmJS9_EEE10hipError_tPvRmT3_T4_T5_T6_T7_T9_mT8_P12ihipStream_tbDpT10_ENKUlT_T0_E_clISt17integral_constantIbLb1EES1C_EEDaS17_S18_EUlS17_E_NS1_11comp_targetILNS1_3genE5ELNS1_11target_archE942ELNS1_3gpuE9ELNS1_3repE0EEENS1_30default_config_static_selectorELNS0_4arch9wavefront6targetE1EEEvT1_.kd
    .uniform_work_group_size: 1
    .uses_dynamic_stack: false
    .vgpr_count:     66
    .vgpr_spill_count: 0
    .wavefront_size: 64
  - .agpr_count:     0
    .args:
      - .offset:         0
        .size:           136
        .value_kind:     by_value
    .group_segment_fixed_size: 0
    .kernarg_segment_align: 8
    .kernarg_segment_size: 136
    .language:       OpenCL C
    .language_version:
      - 2
      - 0
    .max_flat_workgroup_size: 128
    .name:           _ZN7rocprim17ROCPRIM_400000_NS6detail17trampoline_kernelINS0_14default_configENS1_25partition_config_selectorILNS1_17partition_subalgoE9EllbEEZZNS1_14partition_implILS5_9ELb0ES3_jPlS8_PNS0_10empty_typeENS0_5tupleIJS8_S9_EEENSB_IJS8_SA_EEENS0_18inequality_wrapperIZN2at6native12_GLOBAL__N_124unique_dim_cuda_templateIN3c108BFloat16EEESt5tupleIJNSF_6TensorESM_SM_EERKSM_lbbbEUlllE0_EEPmJS9_EEE10hipError_tPvRmT3_T4_T5_T6_T7_T9_mT8_P12ihipStream_tbDpT10_ENKUlT_T0_E_clISt17integral_constantIbLb1EES1C_EEDaS17_S18_EUlS17_E_NS1_11comp_targetILNS1_3genE4ELNS1_11target_archE910ELNS1_3gpuE8ELNS1_3repE0EEENS1_30default_config_static_selectorELNS0_4arch9wavefront6targetE1EEEvT1_
    .private_segment_fixed_size: 0
    .sgpr_count:     6
    .sgpr_spill_count: 0
    .symbol:         _ZN7rocprim17ROCPRIM_400000_NS6detail17trampoline_kernelINS0_14default_configENS1_25partition_config_selectorILNS1_17partition_subalgoE9EllbEEZZNS1_14partition_implILS5_9ELb0ES3_jPlS8_PNS0_10empty_typeENS0_5tupleIJS8_S9_EEENSB_IJS8_SA_EEENS0_18inequality_wrapperIZN2at6native12_GLOBAL__N_124unique_dim_cuda_templateIN3c108BFloat16EEESt5tupleIJNSF_6TensorESM_SM_EERKSM_lbbbEUlllE0_EEPmJS9_EEE10hipError_tPvRmT3_T4_T5_T6_T7_T9_mT8_P12ihipStream_tbDpT10_ENKUlT_T0_E_clISt17integral_constantIbLb1EES1C_EEDaS17_S18_EUlS17_E_NS1_11comp_targetILNS1_3genE4ELNS1_11target_archE910ELNS1_3gpuE8ELNS1_3repE0EEENS1_30default_config_static_selectorELNS0_4arch9wavefront6targetE1EEEvT1_.kd
    .uniform_work_group_size: 1
    .uses_dynamic_stack: false
    .vgpr_count:     0
    .vgpr_spill_count: 0
    .wavefront_size: 64
  - .agpr_count:     0
    .args:
      - .offset:         0
        .size:           136
        .value_kind:     by_value
    .group_segment_fixed_size: 0
    .kernarg_segment_align: 8
    .kernarg_segment_size: 136
    .language:       OpenCL C
    .language_version:
      - 2
      - 0
    .max_flat_workgroup_size: 128
    .name:           _ZN7rocprim17ROCPRIM_400000_NS6detail17trampoline_kernelINS0_14default_configENS1_25partition_config_selectorILNS1_17partition_subalgoE9EllbEEZZNS1_14partition_implILS5_9ELb0ES3_jPlS8_PNS0_10empty_typeENS0_5tupleIJS8_S9_EEENSB_IJS8_SA_EEENS0_18inequality_wrapperIZN2at6native12_GLOBAL__N_124unique_dim_cuda_templateIN3c108BFloat16EEESt5tupleIJNSF_6TensorESM_SM_EERKSM_lbbbEUlllE0_EEPmJS9_EEE10hipError_tPvRmT3_T4_T5_T6_T7_T9_mT8_P12ihipStream_tbDpT10_ENKUlT_T0_E_clISt17integral_constantIbLb1EES1C_EEDaS17_S18_EUlS17_E_NS1_11comp_targetILNS1_3genE3ELNS1_11target_archE908ELNS1_3gpuE7ELNS1_3repE0EEENS1_30default_config_static_selectorELNS0_4arch9wavefront6targetE1EEEvT1_
    .private_segment_fixed_size: 0
    .sgpr_count:     6
    .sgpr_spill_count: 0
    .symbol:         _ZN7rocprim17ROCPRIM_400000_NS6detail17trampoline_kernelINS0_14default_configENS1_25partition_config_selectorILNS1_17partition_subalgoE9EllbEEZZNS1_14partition_implILS5_9ELb0ES3_jPlS8_PNS0_10empty_typeENS0_5tupleIJS8_S9_EEENSB_IJS8_SA_EEENS0_18inequality_wrapperIZN2at6native12_GLOBAL__N_124unique_dim_cuda_templateIN3c108BFloat16EEESt5tupleIJNSF_6TensorESM_SM_EERKSM_lbbbEUlllE0_EEPmJS9_EEE10hipError_tPvRmT3_T4_T5_T6_T7_T9_mT8_P12ihipStream_tbDpT10_ENKUlT_T0_E_clISt17integral_constantIbLb1EES1C_EEDaS17_S18_EUlS17_E_NS1_11comp_targetILNS1_3genE3ELNS1_11target_archE908ELNS1_3gpuE7ELNS1_3repE0EEENS1_30default_config_static_selectorELNS0_4arch9wavefront6targetE1EEEvT1_.kd
    .uniform_work_group_size: 1
    .uses_dynamic_stack: false
    .vgpr_count:     0
    .vgpr_spill_count: 0
    .wavefront_size: 64
  - .agpr_count:     0
    .args:
      - .offset:         0
        .size:           136
        .value_kind:     by_value
    .group_segment_fixed_size: 0
    .kernarg_segment_align: 8
    .kernarg_segment_size: 136
    .language:       OpenCL C
    .language_version:
      - 2
      - 0
    .max_flat_workgroup_size: 192
    .name:           _ZN7rocprim17ROCPRIM_400000_NS6detail17trampoline_kernelINS0_14default_configENS1_25partition_config_selectorILNS1_17partition_subalgoE9EllbEEZZNS1_14partition_implILS5_9ELb0ES3_jPlS8_PNS0_10empty_typeENS0_5tupleIJS8_S9_EEENSB_IJS8_SA_EEENS0_18inequality_wrapperIZN2at6native12_GLOBAL__N_124unique_dim_cuda_templateIN3c108BFloat16EEESt5tupleIJNSF_6TensorESM_SM_EERKSM_lbbbEUlllE0_EEPmJS9_EEE10hipError_tPvRmT3_T4_T5_T6_T7_T9_mT8_P12ihipStream_tbDpT10_ENKUlT_T0_E_clISt17integral_constantIbLb1EES1C_EEDaS17_S18_EUlS17_E_NS1_11comp_targetILNS1_3genE2ELNS1_11target_archE906ELNS1_3gpuE6ELNS1_3repE0EEENS1_30default_config_static_selectorELNS0_4arch9wavefront6targetE1EEEvT1_
    .private_segment_fixed_size: 0
    .sgpr_count:     6
    .sgpr_spill_count: 0
    .symbol:         _ZN7rocprim17ROCPRIM_400000_NS6detail17trampoline_kernelINS0_14default_configENS1_25partition_config_selectorILNS1_17partition_subalgoE9EllbEEZZNS1_14partition_implILS5_9ELb0ES3_jPlS8_PNS0_10empty_typeENS0_5tupleIJS8_S9_EEENSB_IJS8_SA_EEENS0_18inequality_wrapperIZN2at6native12_GLOBAL__N_124unique_dim_cuda_templateIN3c108BFloat16EEESt5tupleIJNSF_6TensorESM_SM_EERKSM_lbbbEUlllE0_EEPmJS9_EEE10hipError_tPvRmT3_T4_T5_T6_T7_T9_mT8_P12ihipStream_tbDpT10_ENKUlT_T0_E_clISt17integral_constantIbLb1EES1C_EEDaS17_S18_EUlS17_E_NS1_11comp_targetILNS1_3genE2ELNS1_11target_archE906ELNS1_3gpuE6ELNS1_3repE0EEENS1_30default_config_static_selectorELNS0_4arch9wavefront6targetE1EEEvT1_.kd
    .uniform_work_group_size: 1
    .uses_dynamic_stack: false
    .vgpr_count:     0
    .vgpr_spill_count: 0
    .wavefront_size: 64
  - .agpr_count:     0
    .args:
      - .offset:         0
        .size:           136
        .value_kind:     by_value
    .group_segment_fixed_size: 0
    .kernarg_segment_align: 8
    .kernarg_segment_size: 136
    .language:       OpenCL C
    .language_version:
      - 2
      - 0
    .max_flat_workgroup_size: 384
    .name:           _ZN7rocprim17ROCPRIM_400000_NS6detail17trampoline_kernelINS0_14default_configENS1_25partition_config_selectorILNS1_17partition_subalgoE9EllbEEZZNS1_14partition_implILS5_9ELb0ES3_jPlS8_PNS0_10empty_typeENS0_5tupleIJS8_S9_EEENSB_IJS8_SA_EEENS0_18inequality_wrapperIZN2at6native12_GLOBAL__N_124unique_dim_cuda_templateIN3c108BFloat16EEESt5tupleIJNSF_6TensorESM_SM_EERKSM_lbbbEUlllE0_EEPmJS9_EEE10hipError_tPvRmT3_T4_T5_T6_T7_T9_mT8_P12ihipStream_tbDpT10_ENKUlT_T0_E_clISt17integral_constantIbLb1EES1C_EEDaS17_S18_EUlS17_E_NS1_11comp_targetILNS1_3genE10ELNS1_11target_archE1200ELNS1_3gpuE4ELNS1_3repE0EEENS1_30default_config_static_selectorELNS0_4arch9wavefront6targetE1EEEvT1_
    .private_segment_fixed_size: 0
    .sgpr_count:     6
    .sgpr_spill_count: 0
    .symbol:         _ZN7rocprim17ROCPRIM_400000_NS6detail17trampoline_kernelINS0_14default_configENS1_25partition_config_selectorILNS1_17partition_subalgoE9EllbEEZZNS1_14partition_implILS5_9ELb0ES3_jPlS8_PNS0_10empty_typeENS0_5tupleIJS8_S9_EEENSB_IJS8_SA_EEENS0_18inequality_wrapperIZN2at6native12_GLOBAL__N_124unique_dim_cuda_templateIN3c108BFloat16EEESt5tupleIJNSF_6TensorESM_SM_EERKSM_lbbbEUlllE0_EEPmJS9_EEE10hipError_tPvRmT3_T4_T5_T6_T7_T9_mT8_P12ihipStream_tbDpT10_ENKUlT_T0_E_clISt17integral_constantIbLb1EES1C_EEDaS17_S18_EUlS17_E_NS1_11comp_targetILNS1_3genE10ELNS1_11target_archE1200ELNS1_3gpuE4ELNS1_3repE0EEENS1_30default_config_static_selectorELNS0_4arch9wavefront6targetE1EEEvT1_.kd
    .uniform_work_group_size: 1
    .uses_dynamic_stack: false
    .vgpr_count:     0
    .vgpr_spill_count: 0
    .wavefront_size: 64
  - .agpr_count:     0
    .args:
      - .offset:         0
        .size:           136
        .value_kind:     by_value
    .group_segment_fixed_size: 0
    .kernarg_segment_align: 8
    .kernarg_segment_size: 136
    .language:       OpenCL C
    .language_version:
      - 2
      - 0
    .max_flat_workgroup_size: 512
    .name:           _ZN7rocprim17ROCPRIM_400000_NS6detail17trampoline_kernelINS0_14default_configENS1_25partition_config_selectorILNS1_17partition_subalgoE9EllbEEZZNS1_14partition_implILS5_9ELb0ES3_jPlS8_PNS0_10empty_typeENS0_5tupleIJS8_S9_EEENSB_IJS8_SA_EEENS0_18inequality_wrapperIZN2at6native12_GLOBAL__N_124unique_dim_cuda_templateIN3c108BFloat16EEESt5tupleIJNSF_6TensorESM_SM_EERKSM_lbbbEUlllE0_EEPmJS9_EEE10hipError_tPvRmT3_T4_T5_T6_T7_T9_mT8_P12ihipStream_tbDpT10_ENKUlT_T0_E_clISt17integral_constantIbLb1EES1C_EEDaS17_S18_EUlS17_E_NS1_11comp_targetILNS1_3genE9ELNS1_11target_archE1100ELNS1_3gpuE3ELNS1_3repE0EEENS1_30default_config_static_selectorELNS0_4arch9wavefront6targetE1EEEvT1_
    .private_segment_fixed_size: 0
    .sgpr_count:     6
    .sgpr_spill_count: 0
    .symbol:         _ZN7rocprim17ROCPRIM_400000_NS6detail17trampoline_kernelINS0_14default_configENS1_25partition_config_selectorILNS1_17partition_subalgoE9EllbEEZZNS1_14partition_implILS5_9ELb0ES3_jPlS8_PNS0_10empty_typeENS0_5tupleIJS8_S9_EEENSB_IJS8_SA_EEENS0_18inequality_wrapperIZN2at6native12_GLOBAL__N_124unique_dim_cuda_templateIN3c108BFloat16EEESt5tupleIJNSF_6TensorESM_SM_EERKSM_lbbbEUlllE0_EEPmJS9_EEE10hipError_tPvRmT3_T4_T5_T6_T7_T9_mT8_P12ihipStream_tbDpT10_ENKUlT_T0_E_clISt17integral_constantIbLb1EES1C_EEDaS17_S18_EUlS17_E_NS1_11comp_targetILNS1_3genE9ELNS1_11target_archE1100ELNS1_3gpuE3ELNS1_3repE0EEENS1_30default_config_static_selectorELNS0_4arch9wavefront6targetE1EEEvT1_.kd
    .uniform_work_group_size: 1
    .uses_dynamic_stack: false
    .vgpr_count:     0
    .vgpr_spill_count: 0
    .wavefront_size: 64
  - .agpr_count:     0
    .args:
      - .offset:         0
        .size:           136
        .value_kind:     by_value
    .group_segment_fixed_size: 0
    .kernarg_segment_align: 8
    .kernarg_segment_size: 136
    .language:       OpenCL C
    .language_version:
      - 2
      - 0
    .max_flat_workgroup_size: 512
    .name:           _ZN7rocprim17ROCPRIM_400000_NS6detail17trampoline_kernelINS0_14default_configENS1_25partition_config_selectorILNS1_17partition_subalgoE9EllbEEZZNS1_14partition_implILS5_9ELb0ES3_jPlS8_PNS0_10empty_typeENS0_5tupleIJS8_S9_EEENSB_IJS8_SA_EEENS0_18inequality_wrapperIZN2at6native12_GLOBAL__N_124unique_dim_cuda_templateIN3c108BFloat16EEESt5tupleIJNSF_6TensorESM_SM_EERKSM_lbbbEUlllE0_EEPmJS9_EEE10hipError_tPvRmT3_T4_T5_T6_T7_T9_mT8_P12ihipStream_tbDpT10_ENKUlT_T0_E_clISt17integral_constantIbLb1EES1C_EEDaS17_S18_EUlS17_E_NS1_11comp_targetILNS1_3genE8ELNS1_11target_archE1030ELNS1_3gpuE2ELNS1_3repE0EEENS1_30default_config_static_selectorELNS0_4arch9wavefront6targetE1EEEvT1_
    .private_segment_fixed_size: 0
    .sgpr_count:     6
    .sgpr_spill_count: 0
    .symbol:         _ZN7rocprim17ROCPRIM_400000_NS6detail17trampoline_kernelINS0_14default_configENS1_25partition_config_selectorILNS1_17partition_subalgoE9EllbEEZZNS1_14partition_implILS5_9ELb0ES3_jPlS8_PNS0_10empty_typeENS0_5tupleIJS8_S9_EEENSB_IJS8_SA_EEENS0_18inequality_wrapperIZN2at6native12_GLOBAL__N_124unique_dim_cuda_templateIN3c108BFloat16EEESt5tupleIJNSF_6TensorESM_SM_EERKSM_lbbbEUlllE0_EEPmJS9_EEE10hipError_tPvRmT3_T4_T5_T6_T7_T9_mT8_P12ihipStream_tbDpT10_ENKUlT_T0_E_clISt17integral_constantIbLb1EES1C_EEDaS17_S18_EUlS17_E_NS1_11comp_targetILNS1_3genE8ELNS1_11target_archE1030ELNS1_3gpuE2ELNS1_3repE0EEENS1_30default_config_static_selectorELNS0_4arch9wavefront6targetE1EEEvT1_.kd
    .uniform_work_group_size: 1
    .uses_dynamic_stack: false
    .vgpr_count:     0
    .vgpr_spill_count: 0
    .wavefront_size: 64
  - .agpr_count:     0
    .args:
      - .offset:         0
        .size:           120
        .value_kind:     by_value
    .group_segment_fixed_size: 0
    .kernarg_segment_align: 8
    .kernarg_segment_size: 120
    .language:       OpenCL C
    .language_version:
      - 2
      - 0
    .max_flat_workgroup_size: 128
    .name:           _ZN7rocprim17ROCPRIM_400000_NS6detail17trampoline_kernelINS0_14default_configENS1_25partition_config_selectorILNS1_17partition_subalgoE9EllbEEZZNS1_14partition_implILS5_9ELb0ES3_jPlS8_PNS0_10empty_typeENS0_5tupleIJS8_S9_EEENSB_IJS8_SA_EEENS0_18inequality_wrapperIZN2at6native12_GLOBAL__N_124unique_dim_cuda_templateIN3c108BFloat16EEESt5tupleIJNSF_6TensorESM_SM_EERKSM_lbbbEUlllE0_EEPmJS9_EEE10hipError_tPvRmT3_T4_T5_T6_T7_T9_mT8_P12ihipStream_tbDpT10_ENKUlT_T0_E_clISt17integral_constantIbLb1EES1B_IbLb0EEEEDaS17_S18_EUlS17_E_NS1_11comp_targetILNS1_3genE0ELNS1_11target_archE4294967295ELNS1_3gpuE0ELNS1_3repE0EEENS1_30default_config_static_selectorELNS0_4arch9wavefront6targetE1EEEvT1_
    .private_segment_fixed_size: 0
    .sgpr_count:     6
    .sgpr_spill_count: 0
    .symbol:         _ZN7rocprim17ROCPRIM_400000_NS6detail17trampoline_kernelINS0_14default_configENS1_25partition_config_selectorILNS1_17partition_subalgoE9EllbEEZZNS1_14partition_implILS5_9ELb0ES3_jPlS8_PNS0_10empty_typeENS0_5tupleIJS8_S9_EEENSB_IJS8_SA_EEENS0_18inequality_wrapperIZN2at6native12_GLOBAL__N_124unique_dim_cuda_templateIN3c108BFloat16EEESt5tupleIJNSF_6TensorESM_SM_EERKSM_lbbbEUlllE0_EEPmJS9_EEE10hipError_tPvRmT3_T4_T5_T6_T7_T9_mT8_P12ihipStream_tbDpT10_ENKUlT_T0_E_clISt17integral_constantIbLb1EES1B_IbLb0EEEEDaS17_S18_EUlS17_E_NS1_11comp_targetILNS1_3genE0ELNS1_11target_archE4294967295ELNS1_3gpuE0ELNS1_3repE0EEENS1_30default_config_static_selectorELNS0_4arch9wavefront6targetE1EEEvT1_.kd
    .uniform_work_group_size: 1
    .uses_dynamic_stack: false
    .vgpr_count:     0
    .vgpr_spill_count: 0
    .wavefront_size: 64
  - .agpr_count:     0
    .args:
      - .offset:         0
        .size:           120
        .value_kind:     by_value
    .group_segment_fixed_size: 28684
    .kernarg_segment_align: 8
    .kernarg_segment_size: 120
    .language:       OpenCL C
    .language_version:
      - 2
      - 0
    .max_flat_workgroup_size: 512
    .name:           _ZN7rocprim17ROCPRIM_400000_NS6detail17trampoline_kernelINS0_14default_configENS1_25partition_config_selectorILNS1_17partition_subalgoE9EllbEEZZNS1_14partition_implILS5_9ELb0ES3_jPlS8_PNS0_10empty_typeENS0_5tupleIJS8_S9_EEENSB_IJS8_SA_EEENS0_18inequality_wrapperIZN2at6native12_GLOBAL__N_124unique_dim_cuda_templateIN3c108BFloat16EEESt5tupleIJNSF_6TensorESM_SM_EERKSM_lbbbEUlllE0_EEPmJS9_EEE10hipError_tPvRmT3_T4_T5_T6_T7_T9_mT8_P12ihipStream_tbDpT10_ENKUlT_T0_E_clISt17integral_constantIbLb1EES1B_IbLb0EEEEDaS17_S18_EUlS17_E_NS1_11comp_targetILNS1_3genE5ELNS1_11target_archE942ELNS1_3gpuE9ELNS1_3repE0EEENS1_30default_config_static_selectorELNS0_4arch9wavefront6targetE1EEEvT1_
    .private_segment_fixed_size: 0
    .sgpr_count:     58
    .sgpr_spill_count: 0
    .symbol:         _ZN7rocprim17ROCPRIM_400000_NS6detail17trampoline_kernelINS0_14default_configENS1_25partition_config_selectorILNS1_17partition_subalgoE9EllbEEZZNS1_14partition_implILS5_9ELb0ES3_jPlS8_PNS0_10empty_typeENS0_5tupleIJS8_S9_EEENSB_IJS8_SA_EEENS0_18inequality_wrapperIZN2at6native12_GLOBAL__N_124unique_dim_cuda_templateIN3c108BFloat16EEESt5tupleIJNSF_6TensorESM_SM_EERKSM_lbbbEUlllE0_EEPmJS9_EEE10hipError_tPvRmT3_T4_T5_T6_T7_T9_mT8_P12ihipStream_tbDpT10_ENKUlT_T0_E_clISt17integral_constantIbLb1EES1B_IbLb0EEEEDaS17_S18_EUlS17_E_NS1_11comp_targetILNS1_3genE5ELNS1_11target_archE942ELNS1_3gpuE9ELNS1_3repE0EEENS1_30default_config_static_selectorELNS0_4arch9wavefront6targetE1EEEvT1_.kd
    .uniform_work_group_size: 1
    .uses_dynamic_stack: false
    .vgpr_count:     66
    .vgpr_spill_count: 0
    .wavefront_size: 64
  - .agpr_count:     0
    .args:
      - .offset:         0
        .size:           120
        .value_kind:     by_value
    .group_segment_fixed_size: 0
    .kernarg_segment_align: 8
    .kernarg_segment_size: 120
    .language:       OpenCL C
    .language_version:
      - 2
      - 0
    .max_flat_workgroup_size: 128
    .name:           _ZN7rocprim17ROCPRIM_400000_NS6detail17trampoline_kernelINS0_14default_configENS1_25partition_config_selectorILNS1_17partition_subalgoE9EllbEEZZNS1_14partition_implILS5_9ELb0ES3_jPlS8_PNS0_10empty_typeENS0_5tupleIJS8_S9_EEENSB_IJS8_SA_EEENS0_18inequality_wrapperIZN2at6native12_GLOBAL__N_124unique_dim_cuda_templateIN3c108BFloat16EEESt5tupleIJNSF_6TensorESM_SM_EERKSM_lbbbEUlllE0_EEPmJS9_EEE10hipError_tPvRmT3_T4_T5_T6_T7_T9_mT8_P12ihipStream_tbDpT10_ENKUlT_T0_E_clISt17integral_constantIbLb1EES1B_IbLb0EEEEDaS17_S18_EUlS17_E_NS1_11comp_targetILNS1_3genE4ELNS1_11target_archE910ELNS1_3gpuE8ELNS1_3repE0EEENS1_30default_config_static_selectorELNS0_4arch9wavefront6targetE1EEEvT1_
    .private_segment_fixed_size: 0
    .sgpr_count:     6
    .sgpr_spill_count: 0
    .symbol:         _ZN7rocprim17ROCPRIM_400000_NS6detail17trampoline_kernelINS0_14default_configENS1_25partition_config_selectorILNS1_17partition_subalgoE9EllbEEZZNS1_14partition_implILS5_9ELb0ES3_jPlS8_PNS0_10empty_typeENS0_5tupleIJS8_S9_EEENSB_IJS8_SA_EEENS0_18inequality_wrapperIZN2at6native12_GLOBAL__N_124unique_dim_cuda_templateIN3c108BFloat16EEESt5tupleIJNSF_6TensorESM_SM_EERKSM_lbbbEUlllE0_EEPmJS9_EEE10hipError_tPvRmT3_T4_T5_T6_T7_T9_mT8_P12ihipStream_tbDpT10_ENKUlT_T0_E_clISt17integral_constantIbLb1EES1B_IbLb0EEEEDaS17_S18_EUlS17_E_NS1_11comp_targetILNS1_3genE4ELNS1_11target_archE910ELNS1_3gpuE8ELNS1_3repE0EEENS1_30default_config_static_selectorELNS0_4arch9wavefront6targetE1EEEvT1_.kd
    .uniform_work_group_size: 1
    .uses_dynamic_stack: false
    .vgpr_count:     0
    .vgpr_spill_count: 0
    .wavefront_size: 64
  - .agpr_count:     0
    .args:
      - .offset:         0
        .size:           120
        .value_kind:     by_value
    .group_segment_fixed_size: 0
    .kernarg_segment_align: 8
    .kernarg_segment_size: 120
    .language:       OpenCL C
    .language_version:
      - 2
      - 0
    .max_flat_workgroup_size: 128
    .name:           _ZN7rocprim17ROCPRIM_400000_NS6detail17trampoline_kernelINS0_14default_configENS1_25partition_config_selectorILNS1_17partition_subalgoE9EllbEEZZNS1_14partition_implILS5_9ELb0ES3_jPlS8_PNS0_10empty_typeENS0_5tupleIJS8_S9_EEENSB_IJS8_SA_EEENS0_18inequality_wrapperIZN2at6native12_GLOBAL__N_124unique_dim_cuda_templateIN3c108BFloat16EEESt5tupleIJNSF_6TensorESM_SM_EERKSM_lbbbEUlllE0_EEPmJS9_EEE10hipError_tPvRmT3_T4_T5_T6_T7_T9_mT8_P12ihipStream_tbDpT10_ENKUlT_T0_E_clISt17integral_constantIbLb1EES1B_IbLb0EEEEDaS17_S18_EUlS17_E_NS1_11comp_targetILNS1_3genE3ELNS1_11target_archE908ELNS1_3gpuE7ELNS1_3repE0EEENS1_30default_config_static_selectorELNS0_4arch9wavefront6targetE1EEEvT1_
    .private_segment_fixed_size: 0
    .sgpr_count:     6
    .sgpr_spill_count: 0
    .symbol:         _ZN7rocprim17ROCPRIM_400000_NS6detail17trampoline_kernelINS0_14default_configENS1_25partition_config_selectorILNS1_17partition_subalgoE9EllbEEZZNS1_14partition_implILS5_9ELb0ES3_jPlS8_PNS0_10empty_typeENS0_5tupleIJS8_S9_EEENSB_IJS8_SA_EEENS0_18inequality_wrapperIZN2at6native12_GLOBAL__N_124unique_dim_cuda_templateIN3c108BFloat16EEESt5tupleIJNSF_6TensorESM_SM_EERKSM_lbbbEUlllE0_EEPmJS9_EEE10hipError_tPvRmT3_T4_T5_T6_T7_T9_mT8_P12ihipStream_tbDpT10_ENKUlT_T0_E_clISt17integral_constantIbLb1EES1B_IbLb0EEEEDaS17_S18_EUlS17_E_NS1_11comp_targetILNS1_3genE3ELNS1_11target_archE908ELNS1_3gpuE7ELNS1_3repE0EEENS1_30default_config_static_selectorELNS0_4arch9wavefront6targetE1EEEvT1_.kd
    .uniform_work_group_size: 1
    .uses_dynamic_stack: false
    .vgpr_count:     0
    .vgpr_spill_count: 0
    .wavefront_size: 64
  - .agpr_count:     0
    .args:
      - .offset:         0
        .size:           120
        .value_kind:     by_value
    .group_segment_fixed_size: 0
    .kernarg_segment_align: 8
    .kernarg_segment_size: 120
    .language:       OpenCL C
    .language_version:
      - 2
      - 0
    .max_flat_workgroup_size: 192
    .name:           _ZN7rocprim17ROCPRIM_400000_NS6detail17trampoline_kernelINS0_14default_configENS1_25partition_config_selectorILNS1_17partition_subalgoE9EllbEEZZNS1_14partition_implILS5_9ELb0ES3_jPlS8_PNS0_10empty_typeENS0_5tupleIJS8_S9_EEENSB_IJS8_SA_EEENS0_18inequality_wrapperIZN2at6native12_GLOBAL__N_124unique_dim_cuda_templateIN3c108BFloat16EEESt5tupleIJNSF_6TensorESM_SM_EERKSM_lbbbEUlllE0_EEPmJS9_EEE10hipError_tPvRmT3_T4_T5_T6_T7_T9_mT8_P12ihipStream_tbDpT10_ENKUlT_T0_E_clISt17integral_constantIbLb1EES1B_IbLb0EEEEDaS17_S18_EUlS17_E_NS1_11comp_targetILNS1_3genE2ELNS1_11target_archE906ELNS1_3gpuE6ELNS1_3repE0EEENS1_30default_config_static_selectorELNS0_4arch9wavefront6targetE1EEEvT1_
    .private_segment_fixed_size: 0
    .sgpr_count:     6
    .sgpr_spill_count: 0
    .symbol:         _ZN7rocprim17ROCPRIM_400000_NS6detail17trampoline_kernelINS0_14default_configENS1_25partition_config_selectorILNS1_17partition_subalgoE9EllbEEZZNS1_14partition_implILS5_9ELb0ES3_jPlS8_PNS0_10empty_typeENS0_5tupleIJS8_S9_EEENSB_IJS8_SA_EEENS0_18inequality_wrapperIZN2at6native12_GLOBAL__N_124unique_dim_cuda_templateIN3c108BFloat16EEESt5tupleIJNSF_6TensorESM_SM_EERKSM_lbbbEUlllE0_EEPmJS9_EEE10hipError_tPvRmT3_T4_T5_T6_T7_T9_mT8_P12ihipStream_tbDpT10_ENKUlT_T0_E_clISt17integral_constantIbLb1EES1B_IbLb0EEEEDaS17_S18_EUlS17_E_NS1_11comp_targetILNS1_3genE2ELNS1_11target_archE906ELNS1_3gpuE6ELNS1_3repE0EEENS1_30default_config_static_selectorELNS0_4arch9wavefront6targetE1EEEvT1_.kd
    .uniform_work_group_size: 1
    .uses_dynamic_stack: false
    .vgpr_count:     0
    .vgpr_spill_count: 0
    .wavefront_size: 64
  - .agpr_count:     0
    .args:
      - .offset:         0
        .size:           120
        .value_kind:     by_value
    .group_segment_fixed_size: 0
    .kernarg_segment_align: 8
    .kernarg_segment_size: 120
    .language:       OpenCL C
    .language_version:
      - 2
      - 0
    .max_flat_workgroup_size: 384
    .name:           _ZN7rocprim17ROCPRIM_400000_NS6detail17trampoline_kernelINS0_14default_configENS1_25partition_config_selectorILNS1_17partition_subalgoE9EllbEEZZNS1_14partition_implILS5_9ELb0ES3_jPlS8_PNS0_10empty_typeENS0_5tupleIJS8_S9_EEENSB_IJS8_SA_EEENS0_18inequality_wrapperIZN2at6native12_GLOBAL__N_124unique_dim_cuda_templateIN3c108BFloat16EEESt5tupleIJNSF_6TensorESM_SM_EERKSM_lbbbEUlllE0_EEPmJS9_EEE10hipError_tPvRmT3_T4_T5_T6_T7_T9_mT8_P12ihipStream_tbDpT10_ENKUlT_T0_E_clISt17integral_constantIbLb1EES1B_IbLb0EEEEDaS17_S18_EUlS17_E_NS1_11comp_targetILNS1_3genE10ELNS1_11target_archE1200ELNS1_3gpuE4ELNS1_3repE0EEENS1_30default_config_static_selectorELNS0_4arch9wavefront6targetE1EEEvT1_
    .private_segment_fixed_size: 0
    .sgpr_count:     6
    .sgpr_spill_count: 0
    .symbol:         _ZN7rocprim17ROCPRIM_400000_NS6detail17trampoline_kernelINS0_14default_configENS1_25partition_config_selectorILNS1_17partition_subalgoE9EllbEEZZNS1_14partition_implILS5_9ELb0ES3_jPlS8_PNS0_10empty_typeENS0_5tupleIJS8_S9_EEENSB_IJS8_SA_EEENS0_18inequality_wrapperIZN2at6native12_GLOBAL__N_124unique_dim_cuda_templateIN3c108BFloat16EEESt5tupleIJNSF_6TensorESM_SM_EERKSM_lbbbEUlllE0_EEPmJS9_EEE10hipError_tPvRmT3_T4_T5_T6_T7_T9_mT8_P12ihipStream_tbDpT10_ENKUlT_T0_E_clISt17integral_constantIbLb1EES1B_IbLb0EEEEDaS17_S18_EUlS17_E_NS1_11comp_targetILNS1_3genE10ELNS1_11target_archE1200ELNS1_3gpuE4ELNS1_3repE0EEENS1_30default_config_static_selectorELNS0_4arch9wavefront6targetE1EEEvT1_.kd
    .uniform_work_group_size: 1
    .uses_dynamic_stack: false
    .vgpr_count:     0
    .vgpr_spill_count: 0
    .wavefront_size: 64
  - .agpr_count:     0
    .args:
      - .offset:         0
        .size:           120
        .value_kind:     by_value
    .group_segment_fixed_size: 0
    .kernarg_segment_align: 8
    .kernarg_segment_size: 120
    .language:       OpenCL C
    .language_version:
      - 2
      - 0
    .max_flat_workgroup_size: 512
    .name:           _ZN7rocprim17ROCPRIM_400000_NS6detail17trampoline_kernelINS0_14default_configENS1_25partition_config_selectorILNS1_17partition_subalgoE9EllbEEZZNS1_14partition_implILS5_9ELb0ES3_jPlS8_PNS0_10empty_typeENS0_5tupleIJS8_S9_EEENSB_IJS8_SA_EEENS0_18inequality_wrapperIZN2at6native12_GLOBAL__N_124unique_dim_cuda_templateIN3c108BFloat16EEESt5tupleIJNSF_6TensorESM_SM_EERKSM_lbbbEUlllE0_EEPmJS9_EEE10hipError_tPvRmT3_T4_T5_T6_T7_T9_mT8_P12ihipStream_tbDpT10_ENKUlT_T0_E_clISt17integral_constantIbLb1EES1B_IbLb0EEEEDaS17_S18_EUlS17_E_NS1_11comp_targetILNS1_3genE9ELNS1_11target_archE1100ELNS1_3gpuE3ELNS1_3repE0EEENS1_30default_config_static_selectorELNS0_4arch9wavefront6targetE1EEEvT1_
    .private_segment_fixed_size: 0
    .sgpr_count:     6
    .sgpr_spill_count: 0
    .symbol:         _ZN7rocprim17ROCPRIM_400000_NS6detail17trampoline_kernelINS0_14default_configENS1_25partition_config_selectorILNS1_17partition_subalgoE9EllbEEZZNS1_14partition_implILS5_9ELb0ES3_jPlS8_PNS0_10empty_typeENS0_5tupleIJS8_S9_EEENSB_IJS8_SA_EEENS0_18inequality_wrapperIZN2at6native12_GLOBAL__N_124unique_dim_cuda_templateIN3c108BFloat16EEESt5tupleIJNSF_6TensorESM_SM_EERKSM_lbbbEUlllE0_EEPmJS9_EEE10hipError_tPvRmT3_T4_T5_T6_T7_T9_mT8_P12ihipStream_tbDpT10_ENKUlT_T0_E_clISt17integral_constantIbLb1EES1B_IbLb0EEEEDaS17_S18_EUlS17_E_NS1_11comp_targetILNS1_3genE9ELNS1_11target_archE1100ELNS1_3gpuE3ELNS1_3repE0EEENS1_30default_config_static_selectorELNS0_4arch9wavefront6targetE1EEEvT1_.kd
    .uniform_work_group_size: 1
    .uses_dynamic_stack: false
    .vgpr_count:     0
    .vgpr_spill_count: 0
    .wavefront_size: 64
  - .agpr_count:     0
    .args:
      - .offset:         0
        .size:           120
        .value_kind:     by_value
    .group_segment_fixed_size: 0
    .kernarg_segment_align: 8
    .kernarg_segment_size: 120
    .language:       OpenCL C
    .language_version:
      - 2
      - 0
    .max_flat_workgroup_size: 512
    .name:           _ZN7rocprim17ROCPRIM_400000_NS6detail17trampoline_kernelINS0_14default_configENS1_25partition_config_selectorILNS1_17partition_subalgoE9EllbEEZZNS1_14partition_implILS5_9ELb0ES3_jPlS8_PNS0_10empty_typeENS0_5tupleIJS8_S9_EEENSB_IJS8_SA_EEENS0_18inequality_wrapperIZN2at6native12_GLOBAL__N_124unique_dim_cuda_templateIN3c108BFloat16EEESt5tupleIJNSF_6TensorESM_SM_EERKSM_lbbbEUlllE0_EEPmJS9_EEE10hipError_tPvRmT3_T4_T5_T6_T7_T9_mT8_P12ihipStream_tbDpT10_ENKUlT_T0_E_clISt17integral_constantIbLb1EES1B_IbLb0EEEEDaS17_S18_EUlS17_E_NS1_11comp_targetILNS1_3genE8ELNS1_11target_archE1030ELNS1_3gpuE2ELNS1_3repE0EEENS1_30default_config_static_selectorELNS0_4arch9wavefront6targetE1EEEvT1_
    .private_segment_fixed_size: 0
    .sgpr_count:     6
    .sgpr_spill_count: 0
    .symbol:         _ZN7rocprim17ROCPRIM_400000_NS6detail17trampoline_kernelINS0_14default_configENS1_25partition_config_selectorILNS1_17partition_subalgoE9EllbEEZZNS1_14partition_implILS5_9ELb0ES3_jPlS8_PNS0_10empty_typeENS0_5tupleIJS8_S9_EEENSB_IJS8_SA_EEENS0_18inequality_wrapperIZN2at6native12_GLOBAL__N_124unique_dim_cuda_templateIN3c108BFloat16EEESt5tupleIJNSF_6TensorESM_SM_EERKSM_lbbbEUlllE0_EEPmJS9_EEE10hipError_tPvRmT3_T4_T5_T6_T7_T9_mT8_P12ihipStream_tbDpT10_ENKUlT_T0_E_clISt17integral_constantIbLb1EES1B_IbLb0EEEEDaS17_S18_EUlS17_E_NS1_11comp_targetILNS1_3genE8ELNS1_11target_archE1030ELNS1_3gpuE2ELNS1_3repE0EEENS1_30default_config_static_selectorELNS0_4arch9wavefront6targetE1EEEvT1_.kd
    .uniform_work_group_size: 1
    .uses_dynamic_stack: false
    .vgpr_count:     0
    .vgpr_spill_count: 0
    .wavefront_size: 64
  - .agpr_count:     0
    .args:
      - .offset:         0
        .size:           136
        .value_kind:     by_value
    .group_segment_fixed_size: 0
    .kernarg_segment_align: 8
    .kernarg_segment_size: 136
    .language:       OpenCL C
    .language_version:
      - 2
      - 0
    .max_flat_workgroup_size: 128
    .name:           _ZN7rocprim17ROCPRIM_400000_NS6detail17trampoline_kernelINS0_14default_configENS1_25partition_config_selectorILNS1_17partition_subalgoE9EllbEEZZNS1_14partition_implILS5_9ELb0ES3_jPlS8_PNS0_10empty_typeENS0_5tupleIJS8_S9_EEENSB_IJS8_SA_EEENS0_18inequality_wrapperIZN2at6native12_GLOBAL__N_124unique_dim_cuda_templateIN3c108BFloat16EEESt5tupleIJNSF_6TensorESM_SM_EERKSM_lbbbEUlllE0_EEPmJS9_EEE10hipError_tPvRmT3_T4_T5_T6_T7_T9_mT8_P12ihipStream_tbDpT10_ENKUlT_T0_E_clISt17integral_constantIbLb0EES1B_IbLb1EEEEDaS17_S18_EUlS17_E_NS1_11comp_targetILNS1_3genE0ELNS1_11target_archE4294967295ELNS1_3gpuE0ELNS1_3repE0EEENS1_30default_config_static_selectorELNS0_4arch9wavefront6targetE1EEEvT1_
    .private_segment_fixed_size: 0
    .sgpr_count:     6
    .sgpr_spill_count: 0
    .symbol:         _ZN7rocprim17ROCPRIM_400000_NS6detail17trampoline_kernelINS0_14default_configENS1_25partition_config_selectorILNS1_17partition_subalgoE9EllbEEZZNS1_14partition_implILS5_9ELb0ES3_jPlS8_PNS0_10empty_typeENS0_5tupleIJS8_S9_EEENSB_IJS8_SA_EEENS0_18inequality_wrapperIZN2at6native12_GLOBAL__N_124unique_dim_cuda_templateIN3c108BFloat16EEESt5tupleIJNSF_6TensorESM_SM_EERKSM_lbbbEUlllE0_EEPmJS9_EEE10hipError_tPvRmT3_T4_T5_T6_T7_T9_mT8_P12ihipStream_tbDpT10_ENKUlT_T0_E_clISt17integral_constantIbLb0EES1B_IbLb1EEEEDaS17_S18_EUlS17_E_NS1_11comp_targetILNS1_3genE0ELNS1_11target_archE4294967295ELNS1_3gpuE0ELNS1_3repE0EEENS1_30default_config_static_selectorELNS0_4arch9wavefront6targetE1EEEvT1_.kd
    .uniform_work_group_size: 1
    .uses_dynamic_stack: false
    .vgpr_count:     0
    .vgpr_spill_count: 0
    .wavefront_size: 64
  - .agpr_count:     0
    .args:
      - .offset:         0
        .size:           136
        .value_kind:     by_value
    .group_segment_fixed_size: 28684
    .kernarg_segment_align: 8
    .kernarg_segment_size: 136
    .language:       OpenCL C
    .language_version:
      - 2
      - 0
    .max_flat_workgroup_size: 512
    .name:           _ZN7rocprim17ROCPRIM_400000_NS6detail17trampoline_kernelINS0_14default_configENS1_25partition_config_selectorILNS1_17partition_subalgoE9EllbEEZZNS1_14partition_implILS5_9ELb0ES3_jPlS8_PNS0_10empty_typeENS0_5tupleIJS8_S9_EEENSB_IJS8_SA_EEENS0_18inequality_wrapperIZN2at6native12_GLOBAL__N_124unique_dim_cuda_templateIN3c108BFloat16EEESt5tupleIJNSF_6TensorESM_SM_EERKSM_lbbbEUlllE0_EEPmJS9_EEE10hipError_tPvRmT3_T4_T5_T6_T7_T9_mT8_P12ihipStream_tbDpT10_ENKUlT_T0_E_clISt17integral_constantIbLb0EES1B_IbLb1EEEEDaS17_S18_EUlS17_E_NS1_11comp_targetILNS1_3genE5ELNS1_11target_archE942ELNS1_3gpuE9ELNS1_3repE0EEENS1_30default_config_static_selectorELNS0_4arch9wavefront6targetE1EEEvT1_
    .private_segment_fixed_size: 0
    .sgpr_count:     64
    .sgpr_spill_count: 0
    .symbol:         _ZN7rocprim17ROCPRIM_400000_NS6detail17trampoline_kernelINS0_14default_configENS1_25partition_config_selectorILNS1_17partition_subalgoE9EllbEEZZNS1_14partition_implILS5_9ELb0ES3_jPlS8_PNS0_10empty_typeENS0_5tupleIJS8_S9_EEENSB_IJS8_SA_EEENS0_18inequality_wrapperIZN2at6native12_GLOBAL__N_124unique_dim_cuda_templateIN3c108BFloat16EEESt5tupleIJNSF_6TensorESM_SM_EERKSM_lbbbEUlllE0_EEPmJS9_EEE10hipError_tPvRmT3_T4_T5_T6_T7_T9_mT8_P12ihipStream_tbDpT10_ENKUlT_T0_E_clISt17integral_constantIbLb0EES1B_IbLb1EEEEDaS17_S18_EUlS17_E_NS1_11comp_targetILNS1_3genE5ELNS1_11target_archE942ELNS1_3gpuE9ELNS1_3repE0EEENS1_30default_config_static_selectorELNS0_4arch9wavefront6targetE1EEEvT1_.kd
    .uniform_work_group_size: 1
    .uses_dynamic_stack: false
    .vgpr_count:     66
    .vgpr_spill_count: 0
    .wavefront_size: 64
  - .agpr_count:     0
    .args:
      - .offset:         0
        .size:           136
        .value_kind:     by_value
    .group_segment_fixed_size: 0
    .kernarg_segment_align: 8
    .kernarg_segment_size: 136
    .language:       OpenCL C
    .language_version:
      - 2
      - 0
    .max_flat_workgroup_size: 128
    .name:           _ZN7rocprim17ROCPRIM_400000_NS6detail17trampoline_kernelINS0_14default_configENS1_25partition_config_selectorILNS1_17partition_subalgoE9EllbEEZZNS1_14partition_implILS5_9ELb0ES3_jPlS8_PNS0_10empty_typeENS0_5tupleIJS8_S9_EEENSB_IJS8_SA_EEENS0_18inequality_wrapperIZN2at6native12_GLOBAL__N_124unique_dim_cuda_templateIN3c108BFloat16EEESt5tupleIJNSF_6TensorESM_SM_EERKSM_lbbbEUlllE0_EEPmJS9_EEE10hipError_tPvRmT3_T4_T5_T6_T7_T9_mT8_P12ihipStream_tbDpT10_ENKUlT_T0_E_clISt17integral_constantIbLb0EES1B_IbLb1EEEEDaS17_S18_EUlS17_E_NS1_11comp_targetILNS1_3genE4ELNS1_11target_archE910ELNS1_3gpuE8ELNS1_3repE0EEENS1_30default_config_static_selectorELNS0_4arch9wavefront6targetE1EEEvT1_
    .private_segment_fixed_size: 0
    .sgpr_count:     6
    .sgpr_spill_count: 0
    .symbol:         _ZN7rocprim17ROCPRIM_400000_NS6detail17trampoline_kernelINS0_14default_configENS1_25partition_config_selectorILNS1_17partition_subalgoE9EllbEEZZNS1_14partition_implILS5_9ELb0ES3_jPlS8_PNS0_10empty_typeENS0_5tupleIJS8_S9_EEENSB_IJS8_SA_EEENS0_18inequality_wrapperIZN2at6native12_GLOBAL__N_124unique_dim_cuda_templateIN3c108BFloat16EEESt5tupleIJNSF_6TensorESM_SM_EERKSM_lbbbEUlllE0_EEPmJS9_EEE10hipError_tPvRmT3_T4_T5_T6_T7_T9_mT8_P12ihipStream_tbDpT10_ENKUlT_T0_E_clISt17integral_constantIbLb0EES1B_IbLb1EEEEDaS17_S18_EUlS17_E_NS1_11comp_targetILNS1_3genE4ELNS1_11target_archE910ELNS1_3gpuE8ELNS1_3repE0EEENS1_30default_config_static_selectorELNS0_4arch9wavefront6targetE1EEEvT1_.kd
    .uniform_work_group_size: 1
    .uses_dynamic_stack: false
    .vgpr_count:     0
    .vgpr_spill_count: 0
    .wavefront_size: 64
  - .agpr_count:     0
    .args:
      - .offset:         0
        .size:           136
        .value_kind:     by_value
    .group_segment_fixed_size: 0
    .kernarg_segment_align: 8
    .kernarg_segment_size: 136
    .language:       OpenCL C
    .language_version:
      - 2
      - 0
    .max_flat_workgroup_size: 128
    .name:           _ZN7rocprim17ROCPRIM_400000_NS6detail17trampoline_kernelINS0_14default_configENS1_25partition_config_selectorILNS1_17partition_subalgoE9EllbEEZZNS1_14partition_implILS5_9ELb0ES3_jPlS8_PNS0_10empty_typeENS0_5tupleIJS8_S9_EEENSB_IJS8_SA_EEENS0_18inequality_wrapperIZN2at6native12_GLOBAL__N_124unique_dim_cuda_templateIN3c108BFloat16EEESt5tupleIJNSF_6TensorESM_SM_EERKSM_lbbbEUlllE0_EEPmJS9_EEE10hipError_tPvRmT3_T4_T5_T6_T7_T9_mT8_P12ihipStream_tbDpT10_ENKUlT_T0_E_clISt17integral_constantIbLb0EES1B_IbLb1EEEEDaS17_S18_EUlS17_E_NS1_11comp_targetILNS1_3genE3ELNS1_11target_archE908ELNS1_3gpuE7ELNS1_3repE0EEENS1_30default_config_static_selectorELNS0_4arch9wavefront6targetE1EEEvT1_
    .private_segment_fixed_size: 0
    .sgpr_count:     6
    .sgpr_spill_count: 0
    .symbol:         _ZN7rocprim17ROCPRIM_400000_NS6detail17trampoline_kernelINS0_14default_configENS1_25partition_config_selectorILNS1_17partition_subalgoE9EllbEEZZNS1_14partition_implILS5_9ELb0ES3_jPlS8_PNS0_10empty_typeENS0_5tupleIJS8_S9_EEENSB_IJS8_SA_EEENS0_18inequality_wrapperIZN2at6native12_GLOBAL__N_124unique_dim_cuda_templateIN3c108BFloat16EEESt5tupleIJNSF_6TensorESM_SM_EERKSM_lbbbEUlllE0_EEPmJS9_EEE10hipError_tPvRmT3_T4_T5_T6_T7_T9_mT8_P12ihipStream_tbDpT10_ENKUlT_T0_E_clISt17integral_constantIbLb0EES1B_IbLb1EEEEDaS17_S18_EUlS17_E_NS1_11comp_targetILNS1_3genE3ELNS1_11target_archE908ELNS1_3gpuE7ELNS1_3repE0EEENS1_30default_config_static_selectorELNS0_4arch9wavefront6targetE1EEEvT1_.kd
    .uniform_work_group_size: 1
    .uses_dynamic_stack: false
    .vgpr_count:     0
    .vgpr_spill_count: 0
    .wavefront_size: 64
  - .agpr_count:     0
    .args:
      - .offset:         0
        .size:           136
        .value_kind:     by_value
    .group_segment_fixed_size: 0
    .kernarg_segment_align: 8
    .kernarg_segment_size: 136
    .language:       OpenCL C
    .language_version:
      - 2
      - 0
    .max_flat_workgroup_size: 192
    .name:           _ZN7rocprim17ROCPRIM_400000_NS6detail17trampoline_kernelINS0_14default_configENS1_25partition_config_selectorILNS1_17partition_subalgoE9EllbEEZZNS1_14partition_implILS5_9ELb0ES3_jPlS8_PNS0_10empty_typeENS0_5tupleIJS8_S9_EEENSB_IJS8_SA_EEENS0_18inequality_wrapperIZN2at6native12_GLOBAL__N_124unique_dim_cuda_templateIN3c108BFloat16EEESt5tupleIJNSF_6TensorESM_SM_EERKSM_lbbbEUlllE0_EEPmJS9_EEE10hipError_tPvRmT3_T4_T5_T6_T7_T9_mT8_P12ihipStream_tbDpT10_ENKUlT_T0_E_clISt17integral_constantIbLb0EES1B_IbLb1EEEEDaS17_S18_EUlS17_E_NS1_11comp_targetILNS1_3genE2ELNS1_11target_archE906ELNS1_3gpuE6ELNS1_3repE0EEENS1_30default_config_static_selectorELNS0_4arch9wavefront6targetE1EEEvT1_
    .private_segment_fixed_size: 0
    .sgpr_count:     6
    .sgpr_spill_count: 0
    .symbol:         _ZN7rocprim17ROCPRIM_400000_NS6detail17trampoline_kernelINS0_14default_configENS1_25partition_config_selectorILNS1_17partition_subalgoE9EllbEEZZNS1_14partition_implILS5_9ELb0ES3_jPlS8_PNS0_10empty_typeENS0_5tupleIJS8_S9_EEENSB_IJS8_SA_EEENS0_18inequality_wrapperIZN2at6native12_GLOBAL__N_124unique_dim_cuda_templateIN3c108BFloat16EEESt5tupleIJNSF_6TensorESM_SM_EERKSM_lbbbEUlllE0_EEPmJS9_EEE10hipError_tPvRmT3_T4_T5_T6_T7_T9_mT8_P12ihipStream_tbDpT10_ENKUlT_T0_E_clISt17integral_constantIbLb0EES1B_IbLb1EEEEDaS17_S18_EUlS17_E_NS1_11comp_targetILNS1_3genE2ELNS1_11target_archE906ELNS1_3gpuE6ELNS1_3repE0EEENS1_30default_config_static_selectorELNS0_4arch9wavefront6targetE1EEEvT1_.kd
    .uniform_work_group_size: 1
    .uses_dynamic_stack: false
    .vgpr_count:     0
    .vgpr_spill_count: 0
    .wavefront_size: 64
  - .agpr_count:     0
    .args:
      - .offset:         0
        .size:           136
        .value_kind:     by_value
    .group_segment_fixed_size: 0
    .kernarg_segment_align: 8
    .kernarg_segment_size: 136
    .language:       OpenCL C
    .language_version:
      - 2
      - 0
    .max_flat_workgroup_size: 384
    .name:           _ZN7rocprim17ROCPRIM_400000_NS6detail17trampoline_kernelINS0_14default_configENS1_25partition_config_selectorILNS1_17partition_subalgoE9EllbEEZZNS1_14partition_implILS5_9ELb0ES3_jPlS8_PNS0_10empty_typeENS0_5tupleIJS8_S9_EEENSB_IJS8_SA_EEENS0_18inequality_wrapperIZN2at6native12_GLOBAL__N_124unique_dim_cuda_templateIN3c108BFloat16EEESt5tupleIJNSF_6TensorESM_SM_EERKSM_lbbbEUlllE0_EEPmJS9_EEE10hipError_tPvRmT3_T4_T5_T6_T7_T9_mT8_P12ihipStream_tbDpT10_ENKUlT_T0_E_clISt17integral_constantIbLb0EES1B_IbLb1EEEEDaS17_S18_EUlS17_E_NS1_11comp_targetILNS1_3genE10ELNS1_11target_archE1200ELNS1_3gpuE4ELNS1_3repE0EEENS1_30default_config_static_selectorELNS0_4arch9wavefront6targetE1EEEvT1_
    .private_segment_fixed_size: 0
    .sgpr_count:     6
    .sgpr_spill_count: 0
    .symbol:         _ZN7rocprim17ROCPRIM_400000_NS6detail17trampoline_kernelINS0_14default_configENS1_25partition_config_selectorILNS1_17partition_subalgoE9EllbEEZZNS1_14partition_implILS5_9ELb0ES3_jPlS8_PNS0_10empty_typeENS0_5tupleIJS8_S9_EEENSB_IJS8_SA_EEENS0_18inequality_wrapperIZN2at6native12_GLOBAL__N_124unique_dim_cuda_templateIN3c108BFloat16EEESt5tupleIJNSF_6TensorESM_SM_EERKSM_lbbbEUlllE0_EEPmJS9_EEE10hipError_tPvRmT3_T4_T5_T6_T7_T9_mT8_P12ihipStream_tbDpT10_ENKUlT_T0_E_clISt17integral_constantIbLb0EES1B_IbLb1EEEEDaS17_S18_EUlS17_E_NS1_11comp_targetILNS1_3genE10ELNS1_11target_archE1200ELNS1_3gpuE4ELNS1_3repE0EEENS1_30default_config_static_selectorELNS0_4arch9wavefront6targetE1EEEvT1_.kd
    .uniform_work_group_size: 1
    .uses_dynamic_stack: false
    .vgpr_count:     0
    .vgpr_spill_count: 0
    .wavefront_size: 64
  - .agpr_count:     0
    .args:
      - .offset:         0
        .size:           136
        .value_kind:     by_value
    .group_segment_fixed_size: 0
    .kernarg_segment_align: 8
    .kernarg_segment_size: 136
    .language:       OpenCL C
    .language_version:
      - 2
      - 0
    .max_flat_workgroup_size: 512
    .name:           _ZN7rocprim17ROCPRIM_400000_NS6detail17trampoline_kernelINS0_14default_configENS1_25partition_config_selectorILNS1_17partition_subalgoE9EllbEEZZNS1_14partition_implILS5_9ELb0ES3_jPlS8_PNS0_10empty_typeENS0_5tupleIJS8_S9_EEENSB_IJS8_SA_EEENS0_18inequality_wrapperIZN2at6native12_GLOBAL__N_124unique_dim_cuda_templateIN3c108BFloat16EEESt5tupleIJNSF_6TensorESM_SM_EERKSM_lbbbEUlllE0_EEPmJS9_EEE10hipError_tPvRmT3_T4_T5_T6_T7_T9_mT8_P12ihipStream_tbDpT10_ENKUlT_T0_E_clISt17integral_constantIbLb0EES1B_IbLb1EEEEDaS17_S18_EUlS17_E_NS1_11comp_targetILNS1_3genE9ELNS1_11target_archE1100ELNS1_3gpuE3ELNS1_3repE0EEENS1_30default_config_static_selectorELNS0_4arch9wavefront6targetE1EEEvT1_
    .private_segment_fixed_size: 0
    .sgpr_count:     6
    .sgpr_spill_count: 0
    .symbol:         _ZN7rocprim17ROCPRIM_400000_NS6detail17trampoline_kernelINS0_14default_configENS1_25partition_config_selectorILNS1_17partition_subalgoE9EllbEEZZNS1_14partition_implILS5_9ELb0ES3_jPlS8_PNS0_10empty_typeENS0_5tupleIJS8_S9_EEENSB_IJS8_SA_EEENS0_18inequality_wrapperIZN2at6native12_GLOBAL__N_124unique_dim_cuda_templateIN3c108BFloat16EEESt5tupleIJNSF_6TensorESM_SM_EERKSM_lbbbEUlllE0_EEPmJS9_EEE10hipError_tPvRmT3_T4_T5_T6_T7_T9_mT8_P12ihipStream_tbDpT10_ENKUlT_T0_E_clISt17integral_constantIbLb0EES1B_IbLb1EEEEDaS17_S18_EUlS17_E_NS1_11comp_targetILNS1_3genE9ELNS1_11target_archE1100ELNS1_3gpuE3ELNS1_3repE0EEENS1_30default_config_static_selectorELNS0_4arch9wavefront6targetE1EEEvT1_.kd
    .uniform_work_group_size: 1
    .uses_dynamic_stack: false
    .vgpr_count:     0
    .vgpr_spill_count: 0
    .wavefront_size: 64
  - .agpr_count:     0
    .args:
      - .offset:         0
        .size:           136
        .value_kind:     by_value
    .group_segment_fixed_size: 0
    .kernarg_segment_align: 8
    .kernarg_segment_size: 136
    .language:       OpenCL C
    .language_version:
      - 2
      - 0
    .max_flat_workgroup_size: 512
    .name:           _ZN7rocprim17ROCPRIM_400000_NS6detail17trampoline_kernelINS0_14default_configENS1_25partition_config_selectorILNS1_17partition_subalgoE9EllbEEZZNS1_14partition_implILS5_9ELb0ES3_jPlS8_PNS0_10empty_typeENS0_5tupleIJS8_S9_EEENSB_IJS8_SA_EEENS0_18inequality_wrapperIZN2at6native12_GLOBAL__N_124unique_dim_cuda_templateIN3c108BFloat16EEESt5tupleIJNSF_6TensorESM_SM_EERKSM_lbbbEUlllE0_EEPmJS9_EEE10hipError_tPvRmT3_T4_T5_T6_T7_T9_mT8_P12ihipStream_tbDpT10_ENKUlT_T0_E_clISt17integral_constantIbLb0EES1B_IbLb1EEEEDaS17_S18_EUlS17_E_NS1_11comp_targetILNS1_3genE8ELNS1_11target_archE1030ELNS1_3gpuE2ELNS1_3repE0EEENS1_30default_config_static_selectorELNS0_4arch9wavefront6targetE1EEEvT1_
    .private_segment_fixed_size: 0
    .sgpr_count:     6
    .sgpr_spill_count: 0
    .symbol:         _ZN7rocprim17ROCPRIM_400000_NS6detail17trampoline_kernelINS0_14default_configENS1_25partition_config_selectorILNS1_17partition_subalgoE9EllbEEZZNS1_14partition_implILS5_9ELb0ES3_jPlS8_PNS0_10empty_typeENS0_5tupleIJS8_S9_EEENSB_IJS8_SA_EEENS0_18inequality_wrapperIZN2at6native12_GLOBAL__N_124unique_dim_cuda_templateIN3c108BFloat16EEESt5tupleIJNSF_6TensorESM_SM_EERKSM_lbbbEUlllE0_EEPmJS9_EEE10hipError_tPvRmT3_T4_T5_T6_T7_T9_mT8_P12ihipStream_tbDpT10_ENKUlT_T0_E_clISt17integral_constantIbLb0EES1B_IbLb1EEEEDaS17_S18_EUlS17_E_NS1_11comp_targetILNS1_3genE8ELNS1_11target_archE1030ELNS1_3gpuE2ELNS1_3repE0EEENS1_30default_config_static_selectorELNS0_4arch9wavefront6targetE1EEEvT1_.kd
    .uniform_work_group_size: 1
    .uses_dynamic_stack: false
    .vgpr_count:     0
    .vgpr_spill_count: 0
    .wavefront_size: 64
  - .agpr_count:     0
    .args:
      - .offset:         0
        .size:           72
        .value_kind:     by_value
    .group_segment_fixed_size: 0
    .kernarg_segment_align: 8
    .kernarg_segment_size: 72
    .language:       OpenCL C
    .language_version:
      - 2
      - 0
    .max_flat_workgroup_size: 256
    .name:           _ZN7rocprim17ROCPRIM_400000_NS6detail17trampoline_kernelINS0_14default_configENS1_37merge_sort_block_sort_config_selectorIlNS0_10empty_typeEEEZNS1_21merge_sort_block_sortIS3_PlS8_PS5_S9_ZN2at6native12_GLOBAL__N_124unique_dim_cuda_templateIN3c104HalfEEESt5tupleIJNSA_6TensorESH_SH_EERKSH_lbbbEUlllE_EE10hipError_tT0_T1_T2_T3_mRjT4_P12ihipStream_tbNS1_7vsmem_tEEUlT_E_NS1_11comp_targetILNS1_3genE0ELNS1_11target_archE4294967295ELNS1_3gpuE0ELNS1_3repE0EEENS1_30default_config_static_selectorELNS0_4arch9wavefront6targetE1EEEvSO_
    .private_segment_fixed_size: 0
    .sgpr_count:     6
    .sgpr_spill_count: 0
    .symbol:         _ZN7rocprim17ROCPRIM_400000_NS6detail17trampoline_kernelINS0_14default_configENS1_37merge_sort_block_sort_config_selectorIlNS0_10empty_typeEEEZNS1_21merge_sort_block_sortIS3_PlS8_PS5_S9_ZN2at6native12_GLOBAL__N_124unique_dim_cuda_templateIN3c104HalfEEESt5tupleIJNSA_6TensorESH_SH_EERKSH_lbbbEUlllE_EE10hipError_tT0_T1_T2_T3_mRjT4_P12ihipStream_tbNS1_7vsmem_tEEUlT_E_NS1_11comp_targetILNS1_3genE0ELNS1_11target_archE4294967295ELNS1_3gpuE0ELNS1_3repE0EEENS1_30default_config_static_selectorELNS0_4arch9wavefront6targetE1EEEvSO_.kd
    .uniform_work_group_size: 1
    .uses_dynamic_stack: false
    .vgpr_count:     0
    .vgpr_spill_count: 0
    .wavefront_size: 64
  - .agpr_count:     0
    .args:
      - .offset:         0
        .size:           72
        .value_kind:     by_value
      - .offset:         72
        .size:           4
        .value_kind:     hidden_block_count_x
      - .offset:         76
        .size:           4
        .value_kind:     hidden_block_count_y
      - .offset:         80
        .size:           4
        .value_kind:     hidden_block_count_z
      - .offset:         84
        .size:           2
        .value_kind:     hidden_group_size_x
      - .offset:         86
        .size:           2
        .value_kind:     hidden_group_size_y
      - .offset:         88
        .size:           2
        .value_kind:     hidden_group_size_z
      - .offset:         90
        .size:           2
        .value_kind:     hidden_remainder_x
      - .offset:         92
        .size:           2
        .value_kind:     hidden_remainder_y
      - .offset:         94
        .size:           2
        .value_kind:     hidden_remainder_z
      - .offset:         112
        .size:           8
        .value_kind:     hidden_global_offset_x
      - .offset:         120
        .size:           8
        .value_kind:     hidden_global_offset_y
      - .offset:         128
        .size:           8
        .value_kind:     hidden_global_offset_z
      - .offset:         136
        .size:           2
        .value_kind:     hidden_grid_dims
      - .offset:         152
        .size:           8
        .value_kind:     hidden_hostcall_buffer
      - .offset:         160
        .size:           8
        .value_kind:     hidden_multigrid_sync_arg
      - .offset:         168
        .size:           8
        .value_kind:     hidden_heap_v1
      - .offset:         176
        .size:           8
        .value_kind:     hidden_default_queue
      - .offset:         184
        .size:           8
        .value_kind:     hidden_completion_action
      - .offset:         272
        .size:           8
        .value_kind:     hidden_queue_ptr
    .group_segment_fixed_size: 16896
    .kernarg_segment_align: 8
    .kernarg_segment_size: 328
    .language:       OpenCL C
    .language_version:
      - 2
      - 0
    .max_flat_workgroup_size: 256
    .name:           _ZN7rocprim17ROCPRIM_400000_NS6detail17trampoline_kernelINS0_14default_configENS1_37merge_sort_block_sort_config_selectorIlNS0_10empty_typeEEEZNS1_21merge_sort_block_sortIS3_PlS8_PS5_S9_ZN2at6native12_GLOBAL__N_124unique_dim_cuda_templateIN3c104HalfEEESt5tupleIJNSA_6TensorESH_SH_EERKSH_lbbbEUlllE_EE10hipError_tT0_T1_T2_T3_mRjT4_P12ihipStream_tbNS1_7vsmem_tEEUlT_E_NS1_11comp_targetILNS1_3genE5ELNS1_11target_archE942ELNS1_3gpuE9ELNS1_3repE0EEENS1_30default_config_static_selectorELNS0_4arch9wavefront6targetE1EEEvSO_
    .private_segment_fixed_size: 8
    .sgpr_count:     75
    .sgpr_spill_count: 0
    .symbol:         _ZN7rocprim17ROCPRIM_400000_NS6detail17trampoline_kernelINS0_14default_configENS1_37merge_sort_block_sort_config_selectorIlNS0_10empty_typeEEEZNS1_21merge_sort_block_sortIS3_PlS8_PS5_S9_ZN2at6native12_GLOBAL__N_124unique_dim_cuda_templateIN3c104HalfEEESt5tupleIJNSA_6TensorESH_SH_EERKSH_lbbbEUlllE_EE10hipError_tT0_T1_T2_T3_mRjT4_P12ihipStream_tbNS1_7vsmem_tEEUlT_E_NS1_11comp_targetILNS1_3genE5ELNS1_11target_archE942ELNS1_3gpuE9ELNS1_3repE0EEENS1_30default_config_static_selectorELNS0_4arch9wavefront6targetE1EEEvSO_.kd
    .uniform_work_group_size: 1
    .uses_dynamic_stack: false
    .vgpr_count:     129
    .vgpr_spill_count: 0
    .wavefront_size: 64
  - .agpr_count:     0
    .args:
      - .offset:         0
        .size:           72
        .value_kind:     by_value
    .group_segment_fixed_size: 0
    .kernarg_segment_align: 8
    .kernarg_segment_size: 72
    .language:       OpenCL C
    .language_version:
      - 2
      - 0
    .max_flat_workgroup_size: 256
    .name:           _ZN7rocprim17ROCPRIM_400000_NS6detail17trampoline_kernelINS0_14default_configENS1_37merge_sort_block_sort_config_selectorIlNS0_10empty_typeEEEZNS1_21merge_sort_block_sortIS3_PlS8_PS5_S9_ZN2at6native12_GLOBAL__N_124unique_dim_cuda_templateIN3c104HalfEEESt5tupleIJNSA_6TensorESH_SH_EERKSH_lbbbEUlllE_EE10hipError_tT0_T1_T2_T3_mRjT4_P12ihipStream_tbNS1_7vsmem_tEEUlT_E_NS1_11comp_targetILNS1_3genE4ELNS1_11target_archE910ELNS1_3gpuE8ELNS1_3repE0EEENS1_30default_config_static_selectorELNS0_4arch9wavefront6targetE1EEEvSO_
    .private_segment_fixed_size: 0
    .sgpr_count:     6
    .sgpr_spill_count: 0
    .symbol:         _ZN7rocprim17ROCPRIM_400000_NS6detail17trampoline_kernelINS0_14default_configENS1_37merge_sort_block_sort_config_selectorIlNS0_10empty_typeEEEZNS1_21merge_sort_block_sortIS3_PlS8_PS5_S9_ZN2at6native12_GLOBAL__N_124unique_dim_cuda_templateIN3c104HalfEEESt5tupleIJNSA_6TensorESH_SH_EERKSH_lbbbEUlllE_EE10hipError_tT0_T1_T2_T3_mRjT4_P12ihipStream_tbNS1_7vsmem_tEEUlT_E_NS1_11comp_targetILNS1_3genE4ELNS1_11target_archE910ELNS1_3gpuE8ELNS1_3repE0EEENS1_30default_config_static_selectorELNS0_4arch9wavefront6targetE1EEEvSO_.kd
    .uniform_work_group_size: 1
    .uses_dynamic_stack: false
    .vgpr_count:     0
    .vgpr_spill_count: 0
    .wavefront_size: 64
  - .agpr_count:     0
    .args:
      - .offset:         0
        .size:           72
        .value_kind:     by_value
    .group_segment_fixed_size: 0
    .kernarg_segment_align: 8
    .kernarg_segment_size: 72
    .language:       OpenCL C
    .language_version:
      - 2
      - 0
    .max_flat_workgroup_size: 256
    .name:           _ZN7rocprim17ROCPRIM_400000_NS6detail17trampoline_kernelINS0_14default_configENS1_37merge_sort_block_sort_config_selectorIlNS0_10empty_typeEEEZNS1_21merge_sort_block_sortIS3_PlS8_PS5_S9_ZN2at6native12_GLOBAL__N_124unique_dim_cuda_templateIN3c104HalfEEESt5tupleIJNSA_6TensorESH_SH_EERKSH_lbbbEUlllE_EE10hipError_tT0_T1_T2_T3_mRjT4_P12ihipStream_tbNS1_7vsmem_tEEUlT_E_NS1_11comp_targetILNS1_3genE3ELNS1_11target_archE908ELNS1_3gpuE7ELNS1_3repE0EEENS1_30default_config_static_selectorELNS0_4arch9wavefront6targetE1EEEvSO_
    .private_segment_fixed_size: 0
    .sgpr_count:     6
    .sgpr_spill_count: 0
    .symbol:         _ZN7rocprim17ROCPRIM_400000_NS6detail17trampoline_kernelINS0_14default_configENS1_37merge_sort_block_sort_config_selectorIlNS0_10empty_typeEEEZNS1_21merge_sort_block_sortIS3_PlS8_PS5_S9_ZN2at6native12_GLOBAL__N_124unique_dim_cuda_templateIN3c104HalfEEESt5tupleIJNSA_6TensorESH_SH_EERKSH_lbbbEUlllE_EE10hipError_tT0_T1_T2_T3_mRjT4_P12ihipStream_tbNS1_7vsmem_tEEUlT_E_NS1_11comp_targetILNS1_3genE3ELNS1_11target_archE908ELNS1_3gpuE7ELNS1_3repE0EEENS1_30default_config_static_selectorELNS0_4arch9wavefront6targetE1EEEvSO_.kd
    .uniform_work_group_size: 1
    .uses_dynamic_stack: false
    .vgpr_count:     0
    .vgpr_spill_count: 0
    .wavefront_size: 64
  - .agpr_count:     0
    .args:
      - .offset:         0
        .size:           72
        .value_kind:     by_value
    .group_segment_fixed_size: 0
    .kernarg_segment_align: 8
    .kernarg_segment_size: 72
    .language:       OpenCL C
    .language_version:
      - 2
      - 0
    .max_flat_workgroup_size: 256
    .name:           _ZN7rocprim17ROCPRIM_400000_NS6detail17trampoline_kernelINS0_14default_configENS1_37merge_sort_block_sort_config_selectorIlNS0_10empty_typeEEEZNS1_21merge_sort_block_sortIS3_PlS8_PS5_S9_ZN2at6native12_GLOBAL__N_124unique_dim_cuda_templateIN3c104HalfEEESt5tupleIJNSA_6TensorESH_SH_EERKSH_lbbbEUlllE_EE10hipError_tT0_T1_T2_T3_mRjT4_P12ihipStream_tbNS1_7vsmem_tEEUlT_E_NS1_11comp_targetILNS1_3genE2ELNS1_11target_archE906ELNS1_3gpuE6ELNS1_3repE0EEENS1_30default_config_static_selectorELNS0_4arch9wavefront6targetE1EEEvSO_
    .private_segment_fixed_size: 0
    .sgpr_count:     6
    .sgpr_spill_count: 0
    .symbol:         _ZN7rocprim17ROCPRIM_400000_NS6detail17trampoline_kernelINS0_14default_configENS1_37merge_sort_block_sort_config_selectorIlNS0_10empty_typeEEEZNS1_21merge_sort_block_sortIS3_PlS8_PS5_S9_ZN2at6native12_GLOBAL__N_124unique_dim_cuda_templateIN3c104HalfEEESt5tupleIJNSA_6TensorESH_SH_EERKSH_lbbbEUlllE_EE10hipError_tT0_T1_T2_T3_mRjT4_P12ihipStream_tbNS1_7vsmem_tEEUlT_E_NS1_11comp_targetILNS1_3genE2ELNS1_11target_archE906ELNS1_3gpuE6ELNS1_3repE0EEENS1_30default_config_static_selectorELNS0_4arch9wavefront6targetE1EEEvSO_.kd
    .uniform_work_group_size: 1
    .uses_dynamic_stack: false
    .vgpr_count:     0
    .vgpr_spill_count: 0
    .wavefront_size: 64
  - .agpr_count:     0
    .args:
      - .offset:         0
        .size:           72
        .value_kind:     by_value
    .group_segment_fixed_size: 0
    .kernarg_segment_align: 8
    .kernarg_segment_size: 72
    .language:       OpenCL C
    .language_version:
      - 2
      - 0
    .max_flat_workgroup_size: 256
    .name:           _ZN7rocprim17ROCPRIM_400000_NS6detail17trampoline_kernelINS0_14default_configENS1_37merge_sort_block_sort_config_selectorIlNS0_10empty_typeEEEZNS1_21merge_sort_block_sortIS3_PlS8_PS5_S9_ZN2at6native12_GLOBAL__N_124unique_dim_cuda_templateIN3c104HalfEEESt5tupleIJNSA_6TensorESH_SH_EERKSH_lbbbEUlllE_EE10hipError_tT0_T1_T2_T3_mRjT4_P12ihipStream_tbNS1_7vsmem_tEEUlT_E_NS1_11comp_targetILNS1_3genE10ELNS1_11target_archE1201ELNS1_3gpuE5ELNS1_3repE0EEENS1_30default_config_static_selectorELNS0_4arch9wavefront6targetE1EEEvSO_
    .private_segment_fixed_size: 0
    .sgpr_count:     6
    .sgpr_spill_count: 0
    .symbol:         _ZN7rocprim17ROCPRIM_400000_NS6detail17trampoline_kernelINS0_14default_configENS1_37merge_sort_block_sort_config_selectorIlNS0_10empty_typeEEEZNS1_21merge_sort_block_sortIS3_PlS8_PS5_S9_ZN2at6native12_GLOBAL__N_124unique_dim_cuda_templateIN3c104HalfEEESt5tupleIJNSA_6TensorESH_SH_EERKSH_lbbbEUlllE_EE10hipError_tT0_T1_T2_T3_mRjT4_P12ihipStream_tbNS1_7vsmem_tEEUlT_E_NS1_11comp_targetILNS1_3genE10ELNS1_11target_archE1201ELNS1_3gpuE5ELNS1_3repE0EEENS1_30default_config_static_selectorELNS0_4arch9wavefront6targetE1EEEvSO_.kd
    .uniform_work_group_size: 1
    .uses_dynamic_stack: false
    .vgpr_count:     0
    .vgpr_spill_count: 0
    .wavefront_size: 64
  - .agpr_count:     0
    .args:
      - .offset:         0
        .size:           72
        .value_kind:     by_value
    .group_segment_fixed_size: 0
    .kernarg_segment_align: 8
    .kernarg_segment_size: 72
    .language:       OpenCL C
    .language_version:
      - 2
      - 0
    .max_flat_workgroup_size: 512
    .name:           _ZN7rocprim17ROCPRIM_400000_NS6detail17trampoline_kernelINS0_14default_configENS1_37merge_sort_block_sort_config_selectorIlNS0_10empty_typeEEEZNS1_21merge_sort_block_sortIS3_PlS8_PS5_S9_ZN2at6native12_GLOBAL__N_124unique_dim_cuda_templateIN3c104HalfEEESt5tupleIJNSA_6TensorESH_SH_EERKSH_lbbbEUlllE_EE10hipError_tT0_T1_T2_T3_mRjT4_P12ihipStream_tbNS1_7vsmem_tEEUlT_E_NS1_11comp_targetILNS1_3genE10ELNS1_11target_archE1200ELNS1_3gpuE4ELNS1_3repE0EEENS1_30default_config_static_selectorELNS0_4arch9wavefront6targetE1EEEvSO_
    .private_segment_fixed_size: 0
    .sgpr_count:     6
    .sgpr_spill_count: 0
    .symbol:         _ZN7rocprim17ROCPRIM_400000_NS6detail17trampoline_kernelINS0_14default_configENS1_37merge_sort_block_sort_config_selectorIlNS0_10empty_typeEEEZNS1_21merge_sort_block_sortIS3_PlS8_PS5_S9_ZN2at6native12_GLOBAL__N_124unique_dim_cuda_templateIN3c104HalfEEESt5tupleIJNSA_6TensorESH_SH_EERKSH_lbbbEUlllE_EE10hipError_tT0_T1_T2_T3_mRjT4_P12ihipStream_tbNS1_7vsmem_tEEUlT_E_NS1_11comp_targetILNS1_3genE10ELNS1_11target_archE1200ELNS1_3gpuE4ELNS1_3repE0EEENS1_30default_config_static_selectorELNS0_4arch9wavefront6targetE1EEEvSO_.kd
    .uniform_work_group_size: 1
    .uses_dynamic_stack: false
    .vgpr_count:     0
    .vgpr_spill_count: 0
    .wavefront_size: 64
  - .agpr_count:     0
    .args:
      - .offset:         0
        .size:           72
        .value_kind:     by_value
    .group_segment_fixed_size: 0
    .kernarg_segment_align: 8
    .kernarg_segment_size: 72
    .language:       OpenCL C
    .language_version:
      - 2
      - 0
    .max_flat_workgroup_size: 256
    .name:           _ZN7rocprim17ROCPRIM_400000_NS6detail17trampoline_kernelINS0_14default_configENS1_37merge_sort_block_sort_config_selectorIlNS0_10empty_typeEEEZNS1_21merge_sort_block_sortIS3_PlS8_PS5_S9_ZN2at6native12_GLOBAL__N_124unique_dim_cuda_templateIN3c104HalfEEESt5tupleIJNSA_6TensorESH_SH_EERKSH_lbbbEUlllE_EE10hipError_tT0_T1_T2_T3_mRjT4_P12ihipStream_tbNS1_7vsmem_tEEUlT_E_NS1_11comp_targetILNS1_3genE9ELNS1_11target_archE1100ELNS1_3gpuE3ELNS1_3repE0EEENS1_30default_config_static_selectorELNS0_4arch9wavefront6targetE1EEEvSO_
    .private_segment_fixed_size: 0
    .sgpr_count:     6
    .sgpr_spill_count: 0
    .symbol:         _ZN7rocprim17ROCPRIM_400000_NS6detail17trampoline_kernelINS0_14default_configENS1_37merge_sort_block_sort_config_selectorIlNS0_10empty_typeEEEZNS1_21merge_sort_block_sortIS3_PlS8_PS5_S9_ZN2at6native12_GLOBAL__N_124unique_dim_cuda_templateIN3c104HalfEEESt5tupleIJNSA_6TensorESH_SH_EERKSH_lbbbEUlllE_EE10hipError_tT0_T1_T2_T3_mRjT4_P12ihipStream_tbNS1_7vsmem_tEEUlT_E_NS1_11comp_targetILNS1_3genE9ELNS1_11target_archE1100ELNS1_3gpuE3ELNS1_3repE0EEENS1_30default_config_static_selectorELNS0_4arch9wavefront6targetE1EEEvSO_.kd
    .uniform_work_group_size: 1
    .uses_dynamic_stack: false
    .vgpr_count:     0
    .vgpr_spill_count: 0
    .wavefront_size: 64
  - .agpr_count:     0
    .args:
      - .offset:         0
        .size:           72
        .value_kind:     by_value
    .group_segment_fixed_size: 0
    .kernarg_segment_align: 8
    .kernarg_segment_size: 72
    .language:       OpenCL C
    .language_version:
      - 2
      - 0
    .max_flat_workgroup_size: 256
    .name:           _ZN7rocprim17ROCPRIM_400000_NS6detail17trampoline_kernelINS0_14default_configENS1_37merge_sort_block_sort_config_selectorIlNS0_10empty_typeEEEZNS1_21merge_sort_block_sortIS3_PlS8_PS5_S9_ZN2at6native12_GLOBAL__N_124unique_dim_cuda_templateIN3c104HalfEEESt5tupleIJNSA_6TensorESH_SH_EERKSH_lbbbEUlllE_EE10hipError_tT0_T1_T2_T3_mRjT4_P12ihipStream_tbNS1_7vsmem_tEEUlT_E_NS1_11comp_targetILNS1_3genE8ELNS1_11target_archE1030ELNS1_3gpuE2ELNS1_3repE0EEENS1_30default_config_static_selectorELNS0_4arch9wavefront6targetE1EEEvSO_
    .private_segment_fixed_size: 0
    .sgpr_count:     6
    .sgpr_spill_count: 0
    .symbol:         _ZN7rocprim17ROCPRIM_400000_NS6detail17trampoline_kernelINS0_14default_configENS1_37merge_sort_block_sort_config_selectorIlNS0_10empty_typeEEEZNS1_21merge_sort_block_sortIS3_PlS8_PS5_S9_ZN2at6native12_GLOBAL__N_124unique_dim_cuda_templateIN3c104HalfEEESt5tupleIJNSA_6TensorESH_SH_EERKSH_lbbbEUlllE_EE10hipError_tT0_T1_T2_T3_mRjT4_P12ihipStream_tbNS1_7vsmem_tEEUlT_E_NS1_11comp_targetILNS1_3genE8ELNS1_11target_archE1030ELNS1_3gpuE2ELNS1_3repE0EEENS1_30default_config_static_selectorELNS0_4arch9wavefront6targetE1EEEvSO_.kd
    .uniform_work_group_size: 1
    .uses_dynamic_stack: false
    .vgpr_count:     0
    .vgpr_spill_count: 0
    .wavefront_size: 64
  - .agpr_count:     0
    .args:
      - .offset:         0
        .size:           56
        .value_kind:     by_value
    .group_segment_fixed_size: 0
    .kernarg_segment_align: 8
    .kernarg_segment_size: 56
    .language:       OpenCL C
    .language_version:
      - 2
      - 0
    .max_flat_workgroup_size: 128
    .name:           _ZN7rocprim17ROCPRIM_400000_NS6detail17trampoline_kernelINS0_14default_configENS1_38merge_sort_block_merge_config_selectorIlNS0_10empty_typeEEEZZNS1_27merge_sort_block_merge_implIS3_PlPS5_mZN2at6native12_GLOBAL__N_124unique_dim_cuda_templateIN3c104HalfEEESt5tupleIJNSA_6TensorESH_SH_EERKSH_lbbbEUlllE_EE10hipError_tT0_T1_T2_jT3_P12ihipStream_tbPNSt15iterator_traitsISN_E10value_typeEPNST_ISO_E10value_typeEPSP_NS1_7vsmem_tEENKUlT_SN_SO_SP_E_clIS8_S8_S9_S9_EESM_S12_SN_SO_SP_EUlS12_E_NS1_11comp_targetILNS1_3genE0ELNS1_11target_archE4294967295ELNS1_3gpuE0ELNS1_3repE0EEENS1_48merge_mergepath_partition_config_static_selectorELNS0_4arch9wavefront6targetE1EEEvSO_
    .private_segment_fixed_size: 0
    .sgpr_count:     6
    .sgpr_spill_count: 0
    .symbol:         _ZN7rocprim17ROCPRIM_400000_NS6detail17trampoline_kernelINS0_14default_configENS1_38merge_sort_block_merge_config_selectorIlNS0_10empty_typeEEEZZNS1_27merge_sort_block_merge_implIS3_PlPS5_mZN2at6native12_GLOBAL__N_124unique_dim_cuda_templateIN3c104HalfEEESt5tupleIJNSA_6TensorESH_SH_EERKSH_lbbbEUlllE_EE10hipError_tT0_T1_T2_jT3_P12ihipStream_tbPNSt15iterator_traitsISN_E10value_typeEPNST_ISO_E10value_typeEPSP_NS1_7vsmem_tEENKUlT_SN_SO_SP_E_clIS8_S8_S9_S9_EESM_S12_SN_SO_SP_EUlS12_E_NS1_11comp_targetILNS1_3genE0ELNS1_11target_archE4294967295ELNS1_3gpuE0ELNS1_3repE0EEENS1_48merge_mergepath_partition_config_static_selectorELNS0_4arch9wavefront6targetE1EEEvSO_.kd
    .uniform_work_group_size: 1
    .uses_dynamic_stack: false
    .vgpr_count:     0
    .vgpr_spill_count: 0
    .wavefront_size: 64
  - .agpr_count:     0
    .args:
      - .offset:         0
        .size:           56
        .value_kind:     by_value
    .group_segment_fixed_size: 0
    .kernarg_segment_align: 8
    .kernarg_segment_size: 56
    .language:       OpenCL C
    .language_version:
      - 2
      - 0
    .max_flat_workgroup_size: 128
    .name:           _ZN7rocprim17ROCPRIM_400000_NS6detail17trampoline_kernelINS0_14default_configENS1_38merge_sort_block_merge_config_selectorIlNS0_10empty_typeEEEZZNS1_27merge_sort_block_merge_implIS3_PlPS5_mZN2at6native12_GLOBAL__N_124unique_dim_cuda_templateIN3c104HalfEEESt5tupleIJNSA_6TensorESH_SH_EERKSH_lbbbEUlllE_EE10hipError_tT0_T1_T2_jT3_P12ihipStream_tbPNSt15iterator_traitsISN_E10value_typeEPNST_ISO_E10value_typeEPSP_NS1_7vsmem_tEENKUlT_SN_SO_SP_E_clIS8_S8_S9_S9_EESM_S12_SN_SO_SP_EUlS12_E_NS1_11comp_targetILNS1_3genE10ELNS1_11target_archE1201ELNS1_3gpuE5ELNS1_3repE0EEENS1_48merge_mergepath_partition_config_static_selectorELNS0_4arch9wavefront6targetE1EEEvSO_
    .private_segment_fixed_size: 0
    .sgpr_count:     6
    .sgpr_spill_count: 0
    .symbol:         _ZN7rocprim17ROCPRIM_400000_NS6detail17trampoline_kernelINS0_14default_configENS1_38merge_sort_block_merge_config_selectorIlNS0_10empty_typeEEEZZNS1_27merge_sort_block_merge_implIS3_PlPS5_mZN2at6native12_GLOBAL__N_124unique_dim_cuda_templateIN3c104HalfEEESt5tupleIJNSA_6TensorESH_SH_EERKSH_lbbbEUlllE_EE10hipError_tT0_T1_T2_jT3_P12ihipStream_tbPNSt15iterator_traitsISN_E10value_typeEPNST_ISO_E10value_typeEPSP_NS1_7vsmem_tEENKUlT_SN_SO_SP_E_clIS8_S8_S9_S9_EESM_S12_SN_SO_SP_EUlS12_E_NS1_11comp_targetILNS1_3genE10ELNS1_11target_archE1201ELNS1_3gpuE5ELNS1_3repE0EEENS1_48merge_mergepath_partition_config_static_selectorELNS0_4arch9wavefront6targetE1EEEvSO_.kd
    .uniform_work_group_size: 1
    .uses_dynamic_stack: false
    .vgpr_count:     0
    .vgpr_spill_count: 0
    .wavefront_size: 64
  - .agpr_count:     0
    .args:
      - .offset:         0
        .size:           56
        .value_kind:     by_value
    .group_segment_fixed_size: 0
    .kernarg_segment_align: 8
    .kernarg_segment_size: 56
    .language:       OpenCL C
    .language_version:
      - 2
      - 0
    .max_flat_workgroup_size: 128
    .name:           _ZN7rocprim17ROCPRIM_400000_NS6detail17trampoline_kernelINS0_14default_configENS1_38merge_sort_block_merge_config_selectorIlNS0_10empty_typeEEEZZNS1_27merge_sort_block_merge_implIS3_PlPS5_mZN2at6native12_GLOBAL__N_124unique_dim_cuda_templateIN3c104HalfEEESt5tupleIJNSA_6TensorESH_SH_EERKSH_lbbbEUlllE_EE10hipError_tT0_T1_T2_jT3_P12ihipStream_tbPNSt15iterator_traitsISN_E10value_typeEPNST_ISO_E10value_typeEPSP_NS1_7vsmem_tEENKUlT_SN_SO_SP_E_clIS8_S8_S9_S9_EESM_S12_SN_SO_SP_EUlS12_E_NS1_11comp_targetILNS1_3genE5ELNS1_11target_archE942ELNS1_3gpuE9ELNS1_3repE0EEENS1_48merge_mergepath_partition_config_static_selectorELNS0_4arch9wavefront6targetE1EEEvSO_
    .private_segment_fixed_size: 0
    .sgpr_count:     38
    .sgpr_spill_count: 0
    .symbol:         _ZN7rocprim17ROCPRIM_400000_NS6detail17trampoline_kernelINS0_14default_configENS1_38merge_sort_block_merge_config_selectorIlNS0_10empty_typeEEEZZNS1_27merge_sort_block_merge_implIS3_PlPS5_mZN2at6native12_GLOBAL__N_124unique_dim_cuda_templateIN3c104HalfEEESt5tupleIJNSA_6TensorESH_SH_EERKSH_lbbbEUlllE_EE10hipError_tT0_T1_T2_jT3_P12ihipStream_tbPNSt15iterator_traitsISN_E10value_typeEPNST_ISO_E10value_typeEPSP_NS1_7vsmem_tEENKUlT_SN_SO_SP_E_clIS8_S8_S9_S9_EESM_S12_SN_SO_SP_EUlS12_E_NS1_11comp_targetILNS1_3genE5ELNS1_11target_archE942ELNS1_3gpuE9ELNS1_3repE0EEENS1_48merge_mergepath_partition_config_static_selectorELNS0_4arch9wavefront6targetE1EEEvSO_.kd
    .uniform_work_group_size: 1
    .uses_dynamic_stack: false
    .vgpr_count:     23
    .vgpr_spill_count: 0
    .wavefront_size: 64
  - .agpr_count:     0
    .args:
      - .offset:         0
        .size:           56
        .value_kind:     by_value
    .group_segment_fixed_size: 0
    .kernarg_segment_align: 8
    .kernarg_segment_size: 56
    .language:       OpenCL C
    .language_version:
      - 2
      - 0
    .max_flat_workgroup_size: 128
    .name:           _ZN7rocprim17ROCPRIM_400000_NS6detail17trampoline_kernelINS0_14default_configENS1_38merge_sort_block_merge_config_selectorIlNS0_10empty_typeEEEZZNS1_27merge_sort_block_merge_implIS3_PlPS5_mZN2at6native12_GLOBAL__N_124unique_dim_cuda_templateIN3c104HalfEEESt5tupleIJNSA_6TensorESH_SH_EERKSH_lbbbEUlllE_EE10hipError_tT0_T1_T2_jT3_P12ihipStream_tbPNSt15iterator_traitsISN_E10value_typeEPNST_ISO_E10value_typeEPSP_NS1_7vsmem_tEENKUlT_SN_SO_SP_E_clIS8_S8_S9_S9_EESM_S12_SN_SO_SP_EUlS12_E_NS1_11comp_targetILNS1_3genE4ELNS1_11target_archE910ELNS1_3gpuE8ELNS1_3repE0EEENS1_48merge_mergepath_partition_config_static_selectorELNS0_4arch9wavefront6targetE1EEEvSO_
    .private_segment_fixed_size: 0
    .sgpr_count:     6
    .sgpr_spill_count: 0
    .symbol:         _ZN7rocprim17ROCPRIM_400000_NS6detail17trampoline_kernelINS0_14default_configENS1_38merge_sort_block_merge_config_selectorIlNS0_10empty_typeEEEZZNS1_27merge_sort_block_merge_implIS3_PlPS5_mZN2at6native12_GLOBAL__N_124unique_dim_cuda_templateIN3c104HalfEEESt5tupleIJNSA_6TensorESH_SH_EERKSH_lbbbEUlllE_EE10hipError_tT0_T1_T2_jT3_P12ihipStream_tbPNSt15iterator_traitsISN_E10value_typeEPNST_ISO_E10value_typeEPSP_NS1_7vsmem_tEENKUlT_SN_SO_SP_E_clIS8_S8_S9_S9_EESM_S12_SN_SO_SP_EUlS12_E_NS1_11comp_targetILNS1_3genE4ELNS1_11target_archE910ELNS1_3gpuE8ELNS1_3repE0EEENS1_48merge_mergepath_partition_config_static_selectorELNS0_4arch9wavefront6targetE1EEEvSO_.kd
    .uniform_work_group_size: 1
    .uses_dynamic_stack: false
    .vgpr_count:     0
    .vgpr_spill_count: 0
    .wavefront_size: 64
  - .agpr_count:     0
    .args:
      - .offset:         0
        .size:           56
        .value_kind:     by_value
    .group_segment_fixed_size: 0
    .kernarg_segment_align: 8
    .kernarg_segment_size: 56
    .language:       OpenCL C
    .language_version:
      - 2
      - 0
    .max_flat_workgroup_size: 128
    .name:           _ZN7rocprim17ROCPRIM_400000_NS6detail17trampoline_kernelINS0_14default_configENS1_38merge_sort_block_merge_config_selectorIlNS0_10empty_typeEEEZZNS1_27merge_sort_block_merge_implIS3_PlPS5_mZN2at6native12_GLOBAL__N_124unique_dim_cuda_templateIN3c104HalfEEESt5tupleIJNSA_6TensorESH_SH_EERKSH_lbbbEUlllE_EE10hipError_tT0_T1_T2_jT3_P12ihipStream_tbPNSt15iterator_traitsISN_E10value_typeEPNST_ISO_E10value_typeEPSP_NS1_7vsmem_tEENKUlT_SN_SO_SP_E_clIS8_S8_S9_S9_EESM_S12_SN_SO_SP_EUlS12_E_NS1_11comp_targetILNS1_3genE3ELNS1_11target_archE908ELNS1_3gpuE7ELNS1_3repE0EEENS1_48merge_mergepath_partition_config_static_selectorELNS0_4arch9wavefront6targetE1EEEvSO_
    .private_segment_fixed_size: 0
    .sgpr_count:     6
    .sgpr_spill_count: 0
    .symbol:         _ZN7rocprim17ROCPRIM_400000_NS6detail17trampoline_kernelINS0_14default_configENS1_38merge_sort_block_merge_config_selectorIlNS0_10empty_typeEEEZZNS1_27merge_sort_block_merge_implIS3_PlPS5_mZN2at6native12_GLOBAL__N_124unique_dim_cuda_templateIN3c104HalfEEESt5tupleIJNSA_6TensorESH_SH_EERKSH_lbbbEUlllE_EE10hipError_tT0_T1_T2_jT3_P12ihipStream_tbPNSt15iterator_traitsISN_E10value_typeEPNST_ISO_E10value_typeEPSP_NS1_7vsmem_tEENKUlT_SN_SO_SP_E_clIS8_S8_S9_S9_EESM_S12_SN_SO_SP_EUlS12_E_NS1_11comp_targetILNS1_3genE3ELNS1_11target_archE908ELNS1_3gpuE7ELNS1_3repE0EEENS1_48merge_mergepath_partition_config_static_selectorELNS0_4arch9wavefront6targetE1EEEvSO_.kd
    .uniform_work_group_size: 1
    .uses_dynamic_stack: false
    .vgpr_count:     0
    .vgpr_spill_count: 0
    .wavefront_size: 64
  - .agpr_count:     0
    .args:
      - .offset:         0
        .size:           56
        .value_kind:     by_value
    .group_segment_fixed_size: 0
    .kernarg_segment_align: 8
    .kernarg_segment_size: 56
    .language:       OpenCL C
    .language_version:
      - 2
      - 0
    .max_flat_workgroup_size: 128
    .name:           _ZN7rocprim17ROCPRIM_400000_NS6detail17trampoline_kernelINS0_14default_configENS1_38merge_sort_block_merge_config_selectorIlNS0_10empty_typeEEEZZNS1_27merge_sort_block_merge_implIS3_PlPS5_mZN2at6native12_GLOBAL__N_124unique_dim_cuda_templateIN3c104HalfEEESt5tupleIJNSA_6TensorESH_SH_EERKSH_lbbbEUlllE_EE10hipError_tT0_T1_T2_jT3_P12ihipStream_tbPNSt15iterator_traitsISN_E10value_typeEPNST_ISO_E10value_typeEPSP_NS1_7vsmem_tEENKUlT_SN_SO_SP_E_clIS8_S8_S9_S9_EESM_S12_SN_SO_SP_EUlS12_E_NS1_11comp_targetILNS1_3genE2ELNS1_11target_archE906ELNS1_3gpuE6ELNS1_3repE0EEENS1_48merge_mergepath_partition_config_static_selectorELNS0_4arch9wavefront6targetE1EEEvSO_
    .private_segment_fixed_size: 0
    .sgpr_count:     6
    .sgpr_spill_count: 0
    .symbol:         _ZN7rocprim17ROCPRIM_400000_NS6detail17trampoline_kernelINS0_14default_configENS1_38merge_sort_block_merge_config_selectorIlNS0_10empty_typeEEEZZNS1_27merge_sort_block_merge_implIS3_PlPS5_mZN2at6native12_GLOBAL__N_124unique_dim_cuda_templateIN3c104HalfEEESt5tupleIJNSA_6TensorESH_SH_EERKSH_lbbbEUlllE_EE10hipError_tT0_T1_T2_jT3_P12ihipStream_tbPNSt15iterator_traitsISN_E10value_typeEPNST_ISO_E10value_typeEPSP_NS1_7vsmem_tEENKUlT_SN_SO_SP_E_clIS8_S8_S9_S9_EESM_S12_SN_SO_SP_EUlS12_E_NS1_11comp_targetILNS1_3genE2ELNS1_11target_archE906ELNS1_3gpuE6ELNS1_3repE0EEENS1_48merge_mergepath_partition_config_static_selectorELNS0_4arch9wavefront6targetE1EEEvSO_.kd
    .uniform_work_group_size: 1
    .uses_dynamic_stack: false
    .vgpr_count:     0
    .vgpr_spill_count: 0
    .wavefront_size: 64
  - .agpr_count:     0
    .args:
      - .offset:         0
        .size:           56
        .value_kind:     by_value
    .group_segment_fixed_size: 0
    .kernarg_segment_align: 8
    .kernarg_segment_size: 56
    .language:       OpenCL C
    .language_version:
      - 2
      - 0
    .max_flat_workgroup_size: 128
    .name:           _ZN7rocprim17ROCPRIM_400000_NS6detail17trampoline_kernelINS0_14default_configENS1_38merge_sort_block_merge_config_selectorIlNS0_10empty_typeEEEZZNS1_27merge_sort_block_merge_implIS3_PlPS5_mZN2at6native12_GLOBAL__N_124unique_dim_cuda_templateIN3c104HalfEEESt5tupleIJNSA_6TensorESH_SH_EERKSH_lbbbEUlllE_EE10hipError_tT0_T1_T2_jT3_P12ihipStream_tbPNSt15iterator_traitsISN_E10value_typeEPNST_ISO_E10value_typeEPSP_NS1_7vsmem_tEENKUlT_SN_SO_SP_E_clIS8_S8_S9_S9_EESM_S12_SN_SO_SP_EUlS12_E_NS1_11comp_targetILNS1_3genE9ELNS1_11target_archE1100ELNS1_3gpuE3ELNS1_3repE0EEENS1_48merge_mergepath_partition_config_static_selectorELNS0_4arch9wavefront6targetE1EEEvSO_
    .private_segment_fixed_size: 0
    .sgpr_count:     6
    .sgpr_spill_count: 0
    .symbol:         _ZN7rocprim17ROCPRIM_400000_NS6detail17trampoline_kernelINS0_14default_configENS1_38merge_sort_block_merge_config_selectorIlNS0_10empty_typeEEEZZNS1_27merge_sort_block_merge_implIS3_PlPS5_mZN2at6native12_GLOBAL__N_124unique_dim_cuda_templateIN3c104HalfEEESt5tupleIJNSA_6TensorESH_SH_EERKSH_lbbbEUlllE_EE10hipError_tT0_T1_T2_jT3_P12ihipStream_tbPNSt15iterator_traitsISN_E10value_typeEPNST_ISO_E10value_typeEPSP_NS1_7vsmem_tEENKUlT_SN_SO_SP_E_clIS8_S8_S9_S9_EESM_S12_SN_SO_SP_EUlS12_E_NS1_11comp_targetILNS1_3genE9ELNS1_11target_archE1100ELNS1_3gpuE3ELNS1_3repE0EEENS1_48merge_mergepath_partition_config_static_selectorELNS0_4arch9wavefront6targetE1EEEvSO_.kd
    .uniform_work_group_size: 1
    .uses_dynamic_stack: false
    .vgpr_count:     0
    .vgpr_spill_count: 0
    .wavefront_size: 64
  - .agpr_count:     0
    .args:
      - .offset:         0
        .size:           56
        .value_kind:     by_value
    .group_segment_fixed_size: 0
    .kernarg_segment_align: 8
    .kernarg_segment_size: 56
    .language:       OpenCL C
    .language_version:
      - 2
      - 0
    .max_flat_workgroup_size: 128
    .name:           _ZN7rocprim17ROCPRIM_400000_NS6detail17trampoline_kernelINS0_14default_configENS1_38merge_sort_block_merge_config_selectorIlNS0_10empty_typeEEEZZNS1_27merge_sort_block_merge_implIS3_PlPS5_mZN2at6native12_GLOBAL__N_124unique_dim_cuda_templateIN3c104HalfEEESt5tupleIJNSA_6TensorESH_SH_EERKSH_lbbbEUlllE_EE10hipError_tT0_T1_T2_jT3_P12ihipStream_tbPNSt15iterator_traitsISN_E10value_typeEPNST_ISO_E10value_typeEPSP_NS1_7vsmem_tEENKUlT_SN_SO_SP_E_clIS8_S8_S9_S9_EESM_S12_SN_SO_SP_EUlS12_E_NS1_11comp_targetILNS1_3genE8ELNS1_11target_archE1030ELNS1_3gpuE2ELNS1_3repE0EEENS1_48merge_mergepath_partition_config_static_selectorELNS0_4arch9wavefront6targetE1EEEvSO_
    .private_segment_fixed_size: 0
    .sgpr_count:     6
    .sgpr_spill_count: 0
    .symbol:         _ZN7rocprim17ROCPRIM_400000_NS6detail17trampoline_kernelINS0_14default_configENS1_38merge_sort_block_merge_config_selectorIlNS0_10empty_typeEEEZZNS1_27merge_sort_block_merge_implIS3_PlPS5_mZN2at6native12_GLOBAL__N_124unique_dim_cuda_templateIN3c104HalfEEESt5tupleIJNSA_6TensorESH_SH_EERKSH_lbbbEUlllE_EE10hipError_tT0_T1_T2_jT3_P12ihipStream_tbPNSt15iterator_traitsISN_E10value_typeEPNST_ISO_E10value_typeEPSP_NS1_7vsmem_tEENKUlT_SN_SO_SP_E_clIS8_S8_S9_S9_EESM_S12_SN_SO_SP_EUlS12_E_NS1_11comp_targetILNS1_3genE8ELNS1_11target_archE1030ELNS1_3gpuE2ELNS1_3repE0EEENS1_48merge_mergepath_partition_config_static_selectorELNS0_4arch9wavefront6targetE1EEEvSO_.kd
    .uniform_work_group_size: 1
    .uses_dynamic_stack: false
    .vgpr_count:     0
    .vgpr_spill_count: 0
    .wavefront_size: 64
  - .agpr_count:     0
    .args:
      - .offset:         0
        .size:           88
        .value_kind:     by_value
    .group_segment_fixed_size: 0
    .kernarg_segment_align: 8
    .kernarg_segment_size: 88
    .language:       OpenCL C
    .language_version:
      - 2
      - 0
    .max_flat_workgroup_size: 128
    .name:           _ZN7rocprim17ROCPRIM_400000_NS6detail17trampoline_kernelINS0_14default_configENS1_38merge_sort_block_merge_config_selectorIlNS0_10empty_typeEEEZZNS1_27merge_sort_block_merge_implIS3_PlPS5_mZN2at6native12_GLOBAL__N_124unique_dim_cuda_templateIN3c104HalfEEESt5tupleIJNSA_6TensorESH_SH_EERKSH_lbbbEUlllE_EE10hipError_tT0_T1_T2_jT3_P12ihipStream_tbPNSt15iterator_traitsISN_E10value_typeEPNST_ISO_E10value_typeEPSP_NS1_7vsmem_tEENKUlT_SN_SO_SP_E_clIS8_S8_S9_S9_EESM_S12_SN_SO_SP_EUlS12_E0_NS1_11comp_targetILNS1_3genE0ELNS1_11target_archE4294967295ELNS1_3gpuE0ELNS1_3repE0EEENS1_38merge_mergepath_config_static_selectorELNS0_4arch9wavefront6targetE1EEEvSO_
    .private_segment_fixed_size: 0
    .sgpr_count:     6
    .sgpr_spill_count: 0
    .symbol:         _ZN7rocprim17ROCPRIM_400000_NS6detail17trampoline_kernelINS0_14default_configENS1_38merge_sort_block_merge_config_selectorIlNS0_10empty_typeEEEZZNS1_27merge_sort_block_merge_implIS3_PlPS5_mZN2at6native12_GLOBAL__N_124unique_dim_cuda_templateIN3c104HalfEEESt5tupleIJNSA_6TensorESH_SH_EERKSH_lbbbEUlllE_EE10hipError_tT0_T1_T2_jT3_P12ihipStream_tbPNSt15iterator_traitsISN_E10value_typeEPNST_ISO_E10value_typeEPSP_NS1_7vsmem_tEENKUlT_SN_SO_SP_E_clIS8_S8_S9_S9_EESM_S12_SN_SO_SP_EUlS12_E0_NS1_11comp_targetILNS1_3genE0ELNS1_11target_archE4294967295ELNS1_3gpuE0ELNS1_3repE0EEENS1_38merge_mergepath_config_static_selectorELNS0_4arch9wavefront6targetE1EEEvSO_.kd
    .uniform_work_group_size: 1
    .uses_dynamic_stack: false
    .vgpr_count:     0
    .vgpr_spill_count: 0
    .wavefront_size: 64
  - .agpr_count:     0
    .args:
      - .offset:         0
        .size:           88
        .value_kind:     by_value
    .group_segment_fixed_size: 0
    .kernarg_segment_align: 8
    .kernarg_segment_size: 88
    .language:       OpenCL C
    .language_version:
      - 2
      - 0
    .max_flat_workgroup_size: 512
    .name:           _ZN7rocprim17ROCPRIM_400000_NS6detail17trampoline_kernelINS0_14default_configENS1_38merge_sort_block_merge_config_selectorIlNS0_10empty_typeEEEZZNS1_27merge_sort_block_merge_implIS3_PlPS5_mZN2at6native12_GLOBAL__N_124unique_dim_cuda_templateIN3c104HalfEEESt5tupleIJNSA_6TensorESH_SH_EERKSH_lbbbEUlllE_EE10hipError_tT0_T1_T2_jT3_P12ihipStream_tbPNSt15iterator_traitsISN_E10value_typeEPNST_ISO_E10value_typeEPSP_NS1_7vsmem_tEENKUlT_SN_SO_SP_E_clIS8_S8_S9_S9_EESM_S12_SN_SO_SP_EUlS12_E0_NS1_11comp_targetILNS1_3genE10ELNS1_11target_archE1201ELNS1_3gpuE5ELNS1_3repE0EEENS1_38merge_mergepath_config_static_selectorELNS0_4arch9wavefront6targetE1EEEvSO_
    .private_segment_fixed_size: 0
    .sgpr_count:     6
    .sgpr_spill_count: 0
    .symbol:         _ZN7rocprim17ROCPRIM_400000_NS6detail17trampoline_kernelINS0_14default_configENS1_38merge_sort_block_merge_config_selectorIlNS0_10empty_typeEEEZZNS1_27merge_sort_block_merge_implIS3_PlPS5_mZN2at6native12_GLOBAL__N_124unique_dim_cuda_templateIN3c104HalfEEESt5tupleIJNSA_6TensorESH_SH_EERKSH_lbbbEUlllE_EE10hipError_tT0_T1_T2_jT3_P12ihipStream_tbPNSt15iterator_traitsISN_E10value_typeEPNST_ISO_E10value_typeEPSP_NS1_7vsmem_tEENKUlT_SN_SO_SP_E_clIS8_S8_S9_S9_EESM_S12_SN_SO_SP_EUlS12_E0_NS1_11comp_targetILNS1_3genE10ELNS1_11target_archE1201ELNS1_3gpuE5ELNS1_3repE0EEENS1_38merge_mergepath_config_static_selectorELNS0_4arch9wavefront6targetE1EEEvSO_.kd
    .uniform_work_group_size: 1
    .uses_dynamic_stack: false
    .vgpr_count:     0
    .vgpr_spill_count: 0
    .wavefront_size: 64
  - .agpr_count:     0
    .args:
      - .offset:         0
        .size:           88
        .value_kind:     by_value
      - .offset:         88
        .size:           4
        .value_kind:     hidden_block_count_x
      - .offset:         92
        .size:           4
        .value_kind:     hidden_block_count_y
      - .offset:         96
        .size:           4
        .value_kind:     hidden_block_count_z
      - .offset:         100
        .size:           2
        .value_kind:     hidden_group_size_x
      - .offset:         102
        .size:           2
        .value_kind:     hidden_group_size_y
      - .offset:         104
        .size:           2
        .value_kind:     hidden_group_size_z
      - .offset:         106
        .size:           2
        .value_kind:     hidden_remainder_x
      - .offset:         108
        .size:           2
        .value_kind:     hidden_remainder_y
      - .offset:         110
        .size:           2
        .value_kind:     hidden_remainder_z
      - .offset:         128
        .size:           8
        .value_kind:     hidden_global_offset_x
      - .offset:         136
        .size:           8
        .value_kind:     hidden_global_offset_y
      - .offset:         144
        .size:           8
        .value_kind:     hidden_global_offset_z
      - .offset:         152
        .size:           2
        .value_kind:     hidden_grid_dims
    .group_segment_fixed_size: 8448
    .kernarg_segment_align: 8
    .kernarg_segment_size: 344
    .language:       OpenCL C
    .language_version:
      - 2
      - 0
    .max_flat_workgroup_size: 128
    .name:           _ZN7rocprim17ROCPRIM_400000_NS6detail17trampoline_kernelINS0_14default_configENS1_38merge_sort_block_merge_config_selectorIlNS0_10empty_typeEEEZZNS1_27merge_sort_block_merge_implIS3_PlPS5_mZN2at6native12_GLOBAL__N_124unique_dim_cuda_templateIN3c104HalfEEESt5tupleIJNSA_6TensorESH_SH_EERKSH_lbbbEUlllE_EE10hipError_tT0_T1_T2_jT3_P12ihipStream_tbPNSt15iterator_traitsISN_E10value_typeEPNST_ISO_E10value_typeEPSP_NS1_7vsmem_tEENKUlT_SN_SO_SP_E_clIS8_S8_S9_S9_EESM_S12_SN_SO_SP_EUlS12_E0_NS1_11comp_targetILNS1_3genE5ELNS1_11target_archE942ELNS1_3gpuE9ELNS1_3repE0EEENS1_38merge_mergepath_config_static_selectorELNS0_4arch9wavefront6targetE1EEEvSO_
    .private_segment_fixed_size: 0
    .sgpr_count:     60
    .sgpr_spill_count: 0
    .symbol:         _ZN7rocprim17ROCPRIM_400000_NS6detail17trampoline_kernelINS0_14default_configENS1_38merge_sort_block_merge_config_selectorIlNS0_10empty_typeEEEZZNS1_27merge_sort_block_merge_implIS3_PlPS5_mZN2at6native12_GLOBAL__N_124unique_dim_cuda_templateIN3c104HalfEEESt5tupleIJNSA_6TensorESH_SH_EERKSH_lbbbEUlllE_EE10hipError_tT0_T1_T2_jT3_P12ihipStream_tbPNSt15iterator_traitsISN_E10value_typeEPNST_ISO_E10value_typeEPSP_NS1_7vsmem_tEENKUlT_SN_SO_SP_E_clIS8_S8_S9_S9_EESM_S12_SN_SO_SP_EUlS12_E0_NS1_11comp_targetILNS1_3genE5ELNS1_11target_archE942ELNS1_3gpuE9ELNS1_3repE0EEENS1_38merge_mergepath_config_static_selectorELNS0_4arch9wavefront6targetE1EEEvSO_.kd
    .uniform_work_group_size: 1
    .uses_dynamic_stack: false
    .vgpr_count:     42
    .vgpr_spill_count: 0
    .wavefront_size: 64
  - .agpr_count:     0
    .args:
      - .offset:         0
        .size:           88
        .value_kind:     by_value
    .group_segment_fixed_size: 0
    .kernarg_segment_align: 8
    .kernarg_segment_size: 88
    .language:       OpenCL C
    .language_version:
      - 2
      - 0
    .max_flat_workgroup_size: 256
    .name:           _ZN7rocprim17ROCPRIM_400000_NS6detail17trampoline_kernelINS0_14default_configENS1_38merge_sort_block_merge_config_selectorIlNS0_10empty_typeEEEZZNS1_27merge_sort_block_merge_implIS3_PlPS5_mZN2at6native12_GLOBAL__N_124unique_dim_cuda_templateIN3c104HalfEEESt5tupleIJNSA_6TensorESH_SH_EERKSH_lbbbEUlllE_EE10hipError_tT0_T1_T2_jT3_P12ihipStream_tbPNSt15iterator_traitsISN_E10value_typeEPNST_ISO_E10value_typeEPSP_NS1_7vsmem_tEENKUlT_SN_SO_SP_E_clIS8_S8_S9_S9_EESM_S12_SN_SO_SP_EUlS12_E0_NS1_11comp_targetILNS1_3genE4ELNS1_11target_archE910ELNS1_3gpuE8ELNS1_3repE0EEENS1_38merge_mergepath_config_static_selectorELNS0_4arch9wavefront6targetE1EEEvSO_
    .private_segment_fixed_size: 0
    .sgpr_count:     6
    .sgpr_spill_count: 0
    .symbol:         _ZN7rocprim17ROCPRIM_400000_NS6detail17trampoline_kernelINS0_14default_configENS1_38merge_sort_block_merge_config_selectorIlNS0_10empty_typeEEEZZNS1_27merge_sort_block_merge_implIS3_PlPS5_mZN2at6native12_GLOBAL__N_124unique_dim_cuda_templateIN3c104HalfEEESt5tupleIJNSA_6TensorESH_SH_EERKSH_lbbbEUlllE_EE10hipError_tT0_T1_T2_jT3_P12ihipStream_tbPNSt15iterator_traitsISN_E10value_typeEPNST_ISO_E10value_typeEPSP_NS1_7vsmem_tEENKUlT_SN_SO_SP_E_clIS8_S8_S9_S9_EESM_S12_SN_SO_SP_EUlS12_E0_NS1_11comp_targetILNS1_3genE4ELNS1_11target_archE910ELNS1_3gpuE8ELNS1_3repE0EEENS1_38merge_mergepath_config_static_selectorELNS0_4arch9wavefront6targetE1EEEvSO_.kd
    .uniform_work_group_size: 1
    .uses_dynamic_stack: false
    .vgpr_count:     0
    .vgpr_spill_count: 0
    .wavefront_size: 64
  - .agpr_count:     0
    .args:
      - .offset:         0
        .size:           88
        .value_kind:     by_value
    .group_segment_fixed_size: 0
    .kernarg_segment_align: 8
    .kernarg_segment_size: 88
    .language:       OpenCL C
    .language_version:
      - 2
      - 0
    .max_flat_workgroup_size: 128
    .name:           _ZN7rocprim17ROCPRIM_400000_NS6detail17trampoline_kernelINS0_14default_configENS1_38merge_sort_block_merge_config_selectorIlNS0_10empty_typeEEEZZNS1_27merge_sort_block_merge_implIS3_PlPS5_mZN2at6native12_GLOBAL__N_124unique_dim_cuda_templateIN3c104HalfEEESt5tupleIJNSA_6TensorESH_SH_EERKSH_lbbbEUlllE_EE10hipError_tT0_T1_T2_jT3_P12ihipStream_tbPNSt15iterator_traitsISN_E10value_typeEPNST_ISO_E10value_typeEPSP_NS1_7vsmem_tEENKUlT_SN_SO_SP_E_clIS8_S8_S9_S9_EESM_S12_SN_SO_SP_EUlS12_E0_NS1_11comp_targetILNS1_3genE3ELNS1_11target_archE908ELNS1_3gpuE7ELNS1_3repE0EEENS1_38merge_mergepath_config_static_selectorELNS0_4arch9wavefront6targetE1EEEvSO_
    .private_segment_fixed_size: 0
    .sgpr_count:     6
    .sgpr_spill_count: 0
    .symbol:         _ZN7rocprim17ROCPRIM_400000_NS6detail17trampoline_kernelINS0_14default_configENS1_38merge_sort_block_merge_config_selectorIlNS0_10empty_typeEEEZZNS1_27merge_sort_block_merge_implIS3_PlPS5_mZN2at6native12_GLOBAL__N_124unique_dim_cuda_templateIN3c104HalfEEESt5tupleIJNSA_6TensorESH_SH_EERKSH_lbbbEUlllE_EE10hipError_tT0_T1_T2_jT3_P12ihipStream_tbPNSt15iterator_traitsISN_E10value_typeEPNST_ISO_E10value_typeEPSP_NS1_7vsmem_tEENKUlT_SN_SO_SP_E_clIS8_S8_S9_S9_EESM_S12_SN_SO_SP_EUlS12_E0_NS1_11comp_targetILNS1_3genE3ELNS1_11target_archE908ELNS1_3gpuE7ELNS1_3repE0EEENS1_38merge_mergepath_config_static_selectorELNS0_4arch9wavefront6targetE1EEEvSO_.kd
    .uniform_work_group_size: 1
    .uses_dynamic_stack: false
    .vgpr_count:     0
    .vgpr_spill_count: 0
    .wavefront_size: 64
  - .agpr_count:     0
    .args:
      - .offset:         0
        .size:           88
        .value_kind:     by_value
    .group_segment_fixed_size: 0
    .kernarg_segment_align: 8
    .kernarg_segment_size: 88
    .language:       OpenCL C
    .language_version:
      - 2
      - 0
    .max_flat_workgroup_size: 256
    .name:           _ZN7rocprim17ROCPRIM_400000_NS6detail17trampoline_kernelINS0_14default_configENS1_38merge_sort_block_merge_config_selectorIlNS0_10empty_typeEEEZZNS1_27merge_sort_block_merge_implIS3_PlPS5_mZN2at6native12_GLOBAL__N_124unique_dim_cuda_templateIN3c104HalfEEESt5tupleIJNSA_6TensorESH_SH_EERKSH_lbbbEUlllE_EE10hipError_tT0_T1_T2_jT3_P12ihipStream_tbPNSt15iterator_traitsISN_E10value_typeEPNST_ISO_E10value_typeEPSP_NS1_7vsmem_tEENKUlT_SN_SO_SP_E_clIS8_S8_S9_S9_EESM_S12_SN_SO_SP_EUlS12_E0_NS1_11comp_targetILNS1_3genE2ELNS1_11target_archE906ELNS1_3gpuE6ELNS1_3repE0EEENS1_38merge_mergepath_config_static_selectorELNS0_4arch9wavefront6targetE1EEEvSO_
    .private_segment_fixed_size: 0
    .sgpr_count:     6
    .sgpr_spill_count: 0
    .symbol:         _ZN7rocprim17ROCPRIM_400000_NS6detail17trampoline_kernelINS0_14default_configENS1_38merge_sort_block_merge_config_selectorIlNS0_10empty_typeEEEZZNS1_27merge_sort_block_merge_implIS3_PlPS5_mZN2at6native12_GLOBAL__N_124unique_dim_cuda_templateIN3c104HalfEEESt5tupleIJNSA_6TensorESH_SH_EERKSH_lbbbEUlllE_EE10hipError_tT0_T1_T2_jT3_P12ihipStream_tbPNSt15iterator_traitsISN_E10value_typeEPNST_ISO_E10value_typeEPSP_NS1_7vsmem_tEENKUlT_SN_SO_SP_E_clIS8_S8_S9_S9_EESM_S12_SN_SO_SP_EUlS12_E0_NS1_11comp_targetILNS1_3genE2ELNS1_11target_archE906ELNS1_3gpuE6ELNS1_3repE0EEENS1_38merge_mergepath_config_static_selectorELNS0_4arch9wavefront6targetE1EEEvSO_.kd
    .uniform_work_group_size: 1
    .uses_dynamic_stack: false
    .vgpr_count:     0
    .vgpr_spill_count: 0
    .wavefront_size: 64
  - .agpr_count:     0
    .args:
      - .offset:         0
        .size:           88
        .value_kind:     by_value
    .group_segment_fixed_size: 0
    .kernarg_segment_align: 8
    .kernarg_segment_size: 88
    .language:       OpenCL C
    .language_version:
      - 2
      - 0
    .max_flat_workgroup_size: 512
    .name:           _ZN7rocprim17ROCPRIM_400000_NS6detail17trampoline_kernelINS0_14default_configENS1_38merge_sort_block_merge_config_selectorIlNS0_10empty_typeEEEZZNS1_27merge_sort_block_merge_implIS3_PlPS5_mZN2at6native12_GLOBAL__N_124unique_dim_cuda_templateIN3c104HalfEEESt5tupleIJNSA_6TensorESH_SH_EERKSH_lbbbEUlllE_EE10hipError_tT0_T1_T2_jT3_P12ihipStream_tbPNSt15iterator_traitsISN_E10value_typeEPNST_ISO_E10value_typeEPSP_NS1_7vsmem_tEENKUlT_SN_SO_SP_E_clIS8_S8_S9_S9_EESM_S12_SN_SO_SP_EUlS12_E0_NS1_11comp_targetILNS1_3genE9ELNS1_11target_archE1100ELNS1_3gpuE3ELNS1_3repE0EEENS1_38merge_mergepath_config_static_selectorELNS0_4arch9wavefront6targetE1EEEvSO_
    .private_segment_fixed_size: 0
    .sgpr_count:     6
    .sgpr_spill_count: 0
    .symbol:         _ZN7rocprim17ROCPRIM_400000_NS6detail17trampoline_kernelINS0_14default_configENS1_38merge_sort_block_merge_config_selectorIlNS0_10empty_typeEEEZZNS1_27merge_sort_block_merge_implIS3_PlPS5_mZN2at6native12_GLOBAL__N_124unique_dim_cuda_templateIN3c104HalfEEESt5tupleIJNSA_6TensorESH_SH_EERKSH_lbbbEUlllE_EE10hipError_tT0_T1_T2_jT3_P12ihipStream_tbPNSt15iterator_traitsISN_E10value_typeEPNST_ISO_E10value_typeEPSP_NS1_7vsmem_tEENKUlT_SN_SO_SP_E_clIS8_S8_S9_S9_EESM_S12_SN_SO_SP_EUlS12_E0_NS1_11comp_targetILNS1_3genE9ELNS1_11target_archE1100ELNS1_3gpuE3ELNS1_3repE0EEENS1_38merge_mergepath_config_static_selectorELNS0_4arch9wavefront6targetE1EEEvSO_.kd
    .uniform_work_group_size: 1
    .uses_dynamic_stack: false
    .vgpr_count:     0
    .vgpr_spill_count: 0
    .wavefront_size: 64
  - .agpr_count:     0
    .args:
      - .offset:         0
        .size:           88
        .value_kind:     by_value
    .group_segment_fixed_size: 0
    .kernarg_segment_align: 8
    .kernarg_segment_size: 88
    .language:       OpenCL C
    .language_version:
      - 2
      - 0
    .max_flat_workgroup_size: 1024
    .name:           _ZN7rocprim17ROCPRIM_400000_NS6detail17trampoline_kernelINS0_14default_configENS1_38merge_sort_block_merge_config_selectorIlNS0_10empty_typeEEEZZNS1_27merge_sort_block_merge_implIS3_PlPS5_mZN2at6native12_GLOBAL__N_124unique_dim_cuda_templateIN3c104HalfEEESt5tupleIJNSA_6TensorESH_SH_EERKSH_lbbbEUlllE_EE10hipError_tT0_T1_T2_jT3_P12ihipStream_tbPNSt15iterator_traitsISN_E10value_typeEPNST_ISO_E10value_typeEPSP_NS1_7vsmem_tEENKUlT_SN_SO_SP_E_clIS8_S8_S9_S9_EESM_S12_SN_SO_SP_EUlS12_E0_NS1_11comp_targetILNS1_3genE8ELNS1_11target_archE1030ELNS1_3gpuE2ELNS1_3repE0EEENS1_38merge_mergepath_config_static_selectorELNS0_4arch9wavefront6targetE1EEEvSO_
    .private_segment_fixed_size: 0
    .sgpr_count:     6
    .sgpr_spill_count: 0
    .symbol:         _ZN7rocprim17ROCPRIM_400000_NS6detail17trampoline_kernelINS0_14default_configENS1_38merge_sort_block_merge_config_selectorIlNS0_10empty_typeEEEZZNS1_27merge_sort_block_merge_implIS3_PlPS5_mZN2at6native12_GLOBAL__N_124unique_dim_cuda_templateIN3c104HalfEEESt5tupleIJNSA_6TensorESH_SH_EERKSH_lbbbEUlllE_EE10hipError_tT0_T1_T2_jT3_P12ihipStream_tbPNSt15iterator_traitsISN_E10value_typeEPNST_ISO_E10value_typeEPSP_NS1_7vsmem_tEENKUlT_SN_SO_SP_E_clIS8_S8_S9_S9_EESM_S12_SN_SO_SP_EUlS12_E0_NS1_11comp_targetILNS1_3genE8ELNS1_11target_archE1030ELNS1_3gpuE2ELNS1_3repE0EEENS1_38merge_mergepath_config_static_selectorELNS0_4arch9wavefront6targetE1EEEvSO_.kd
    .uniform_work_group_size: 1
    .uses_dynamic_stack: false
    .vgpr_count:     0
    .vgpr_spill_count: 0
    .wavefront_size: 64
  - .agpr_count:     0
    .args:
      - .offset:         0
        .size:           64
        .value_kind:     by_value
    .group_segment_fixed_size: 0
    .kernarg_segment_align: 8
    .kernarg_segment_size: 64
    .language:       OpenCL C
    .language_version:
      - 2
      - 0
    .max_flat_workgroup_size: 256
    .name:           _ZN7rocprim17ROCPRIM_400000_NS6detail17trampoline_kernelINS0_14default_configENS1_38merge_sort_block_merge_config_selectorIlNS0_10empty_typeEEEZZNS1_27merge_sort_block_merge_implIS3_PlPS5_mZN2at6native12_GLOBAL__N_124unique_dim_cuda_templateIN3c104HalfEEESt5tupleIJNSA_6TensorESH_SH_EERKSH_lbbbEUlllE_EE10hipError_tT0_T1_T2_jT3_P12ihipStream_tbPNSt15iterator_traitsISN_E10value_typeEPNST_ISO_E10value_typeEPSP_NS1_7vsmem_tEENKUlT_SN_SO_SP_E_clIS8_S8_S9_S9_EESM_S12_SN_SO_SP_EUlS12_E1_NS1_11comp_targetILNS1_3genE0ELNS1_11target_archE4294967295ELNS1_3gpuE0ELNS1_3repE0EEENS1_36merge_oddeven_config_static_selectorELNS0_4arch9wavefront6targetE1EEEvSO_
    .private_segment_fixed_size: 0
    .sgpr_count:     6
    .sgpr_spill_count: 0
    .symbol:         _ZN7rocprim17ROCPRIM_400000_NS6detail17trampoline_kernelINS0_14default_configENS1_38merge_sort_block_merge_config_selectorIlNS0_10empty_typeEEEZZNS1_27merge_sort_block_merge_implIS3_PlPS5_mZN2at6native12_GLOBAL__N_124unique_dim_cuda_templateIN3c104HalfEEESt5tupleIJNSA_6TensorESH_SH_EERKSH_lbbbEUlllE_EE10hipError_tT0_T1_T2_jT3_P12ihipStream_tbPNSt15iterator_traitsISN_E10value_typeEPNST_ISO_E10value_typeEPSP_NS1_7vsmem_tEENKUlT_SN_SO_SP_E_clIS8_S8_S9_S9_EESM_S12_SN_SO_SP_EUlS12_E1_NS1_11comp_targetILNS1_3genE0ELNS1_11target_archE4294967295ELNS1_3gpuE0ELNS1_3repE0EEENS1_36merge_oddeven_config_static_selectorELNS0_4arch9wavefront6targetE1EEEvSO_.kd
    .uniform_work_group_size: 1
    .uses_dynamic_stack: false
    .vgpr_count:     0
    .vgpr_spill_count: 0
    .wavefront_size: 64
  - .agpr_count:     0
    .args:
      - .offset:         0
        .size:           64
        .value_kind:     by_value
    .group_segment_fixed_size: 0
    .kernarg_segment_align: 8
    .kernarg_segment_size: 64
    .language:       OpenCL C
    .language_version:
      - 2
      - 0
    .max_flat_workgroup_size: 256
    .name:           _ZN7rocprim17ROCPRIM_400000_NS6detail17trampoline_kernelINS0_14default_configENS1_38merge_sort_block_merge_config_selectorIlNS0_10empty_typeEEEZZNS1_27merge_sort_block_merge_implIS3_PlPS5_mZN2at6native12_GLOBAL__N_124unique_dim_cuda_templateIN3c104HalfEEESt5tupleIJNSA_6TensorESH_SH_EERKSH_lbbbEUlllE_EE10hipError_tT0_T1_T2_jT3_P12ihipStream_tbPNSt15iterator_traitsISN_E10value_typeEPNST_ISO_E10value_typeEPSP_NS1_7vsmem_tEENKUlT_SN_SO_SP_E_clIS8_S8_S9_S9_EESM_S12_SN_SO_SP_EUlS12_E1_NS1_11comp_targetILNS1_3genE10ELNS1_11target_archE1201ELNS1_3gpuE5ELNS1_3repE0EEENS1_36merge_oddeven_config_static_selectorELNS0_4arch9wavefront6targetE1EEEvSO_
    .private_segment_fixed_size: 0
    .sgpr_count:     6
    .sgpr_spill_count: 0
    .symbol:         _ZN7rocprim17ROCPRIM_400000_NS6detail17trampoline_kernelINS0_14default_configENS1_38merge_sort_block_merge_config_selectorIlNS0_10empty_typeEEEZZNS1_27merge_sort_block_merge_implIS3_PlPS5_mZN2at6native12_GLOBAL__N_124unique_dim_cuda_templateIN3c104HalfEEESt5tupleIJNSA_6TensorESH_SH_EERKSH_lbbbEUlllE_EE10hipError_tT0_T1_T2_jT3_P12ihipStream_tbPNSt15iterator_traitsISN_E10value_typeEPNST_ISO_E10value_typeEPSP_NS1_7vsmem_tEENKUlT_SN_SO_SP_E_clIS8_S8_S9_S9_EESM_S12_SN_SO_SP_EUlS12_E1_NS1_11comp_targetILNS1_3genE10ELNS1_11target_archE1201ELNS1_3gpuE5ELNS1_3repE0EEENS1_36merge_oddeven_config_static_selectorELNS0_4arch9wavefront6targetE1EEEvSO_.kd
    .uniform_work_group_size: 1
    .uses_dynamic_stack: false
    .vgpr_count:     0
    .vgpr_spill_count: 0
    .wavefront_size: 64
  - .agpr_count:     0
    .args:
      - .offset:         0
        .size:           64
        .value_kind:     by_value
    .group_segment_fixed_size: 0
    .kernarg_segment_align: 8
    .kernarg_segment_size: 64
    .language:       OpenCL C
    .language_version:
      - 2
      - 0
    .max_flat_workgroup_size: 256
    .name:           _ZN7rocprim17ROCPRIM_400000_NS6detail17trampoline_kernelINS0_14default_configENS1_38merge_sort_block_merge_config_selectorIlNS0_10empty_typeEEEZZNS1_27merge_sort_block_merge_implIS3_PlPS5_mZN2at6native12_GLOBAL__N_124unique_dim_cuda_templateIN3c104HalfEEESt5tupleIJNSA_6TensorESH_SH_EERKSH_lbbbEUlllE_EE10hipError_tT0_T1_T2_jT3_P12ihipStream_tbPNSt15iterator_traitsISN_E10value_typeEPNST_ISO_E10value_typeEPSP_NS1_7vsmem_tEENKUlT_SN_SO_SP_E_clIS8_S8_S9_S9_EESM_S12_SN_SO_SP_EUlS12_E1_NS1_11comp_targetILNS1_3genE5ELNS1_11target_archE942ELNS1_3gpuE9ELNS1_3repE0EEENS1_36merge_oddeven_config_static_selectorELNS0_4arch9wavefront6targetE1EEEvSO_
    .private_segment_fixed_size: 0
    .sgpr_count:     50
    .sgpr_spill_count: 0
    .symbol:         _ZN7rocprim17ROCPRIM_400000_NS6detail17trampoline_kernelINS0_14default_configENS1_38merge_sort_block_merge_config_selectorIlNS0_10empty_typeEEEZZNS1_27merge_sort_block_merge_implIS3_PlPS5_mZN2at6native12_GLOBAL__N_124unique_dim_cuda_templateIN3c104HalfEEESt5tupleIJNSA_6TensorESH_SH_EERKSH_lbbbEUlllE_EE10hipError_tT0_T1_T2_jT3_P12ihipStream_tbPNSt15iterator_traitsISN_E10value_typeEPNST_ISO_E10value_typeEPSP_NS1_7vsmem_tEENKUlT_SN_SO_SP_E_clIS8_S8_S9_S9_EESM_S12_SN_SO_SP_EUlS12_E1_NS1_11comp_targetILNS1_3genE5ELNS1_11target_archE942ELNS1_3gpuE9ELNS1_3repE0EEENS1_36merge_oddeven_config_static_selectorELNS0_4arch9wavefront6targetE1EEEvSO_.kd
    .uniform_work_group_size: 1
    .uses_dynamic_stack: false
    .vgpr_count:     19
    .vgpr_spill_count: 0
    .wavefront_size: 64
  - .agpr_count:     0
    .args:
      - .offset:         0
        .size:           64
        .value_kind:     by_value
    .group_segment_fixed_size: 0
    .kernarg_segment_align: 8
    .kernarg_segment_size: 64
    .language:       OpenCL C
    .language_version:
      - 2
      - 0
    .max_flat_workgroup_size: 256
    .name:           _ZN7rocprim17ROCPRIM_400000_NS6detail17trampoline_kernelINS0_14default_configENS1_38merge_sort_block_merge_config_selectorIlNS0_10empty_typeEEEZZNS1_27merge_sort_block_merge_implIS3_PlPS5_mZN2at6native12_GLOBAL__N_124unique_dim_cuda_templateIN3c104HalfEEESt5tupleIJNSA_6TensorESH_SH_EERKSH_lbbbEUlllE_EE10hipError_tT0_T1_T2_jT3_P12ihipStream_tbPNSt15iterator_traitsISN_E10value_typeEPNST_ISO_E10value_typeEPSP_NS1_7vsmem_tEENKUlT_SN_SO_SP_E_clIS8_S8_S9_S9_EESM_S12_SN_SO_SP_EUlS12_E1_NS1_11comp_targetILNS1_3genE4ELNS1_11target_archE910ELNS1_3gpuE8ELNS1_3repE0EEENS1_36merge_oddeven_config_static_selectorELNS0_4arch9wavefront6targetE1EEEvSO_
    .private_segment_fixed_size: 0
    .sgpr_count:     6
    .sgpr_spill_count: 0
    .symbol:         _ZN7rocprim17ROCPRIM_400000_NS6detail17trampoline_kernelINS0_14default_configENS1_38merge_sort_block_merge_config_selectorIlNS0_10empty_typeEEEZZNS1_27merge_sort_block_merge_implIS3_PlPS5_mZN2at6native12_GLOBAL__N_124unique_dim_cuda_templateIN3c104HalfEEESt5tupleIJNSA_6TensorESH_SH_EERKSH_lbbbEUlllE_EE10hipError_tT0_T1_T2_jT3_P12ihipStream_tbPNSt15iterator_traitsISN_E10value_typeEPNST_ISO_E10value_typeEPSP_NS1_7vsmem_tEENKUlT_SN_SO_SP_E_clIS8_S8_S9_S9_EESM_S12_SN_SO_SP_EUlS12_E1_NS1_11comp_targetILNS1_3genE4ELNS1_11target_archE910ELNS1_3gpuE8ELNS1_3repE0EEENS1_36merge_oddeven_config_static_selectorELNS0_4arch9wavefront6targetE1EEEvSO_.kd
    .uniform_work_group_size: 1
    .uses_dynamic_stack: false
    .vgpr_count:     0
    .vgpr_spill_count: 0
    .wavefront_size: 64
  - .agpr_count:     0
    .args:
      - .offset:         0
        .size:           64
        .value_kind:     by_value
    .group_segment_fixed_size: 0
    .kernarg_segment_align: 8
    .kernarg_segment_size: 64
    .language:       OpenCL C
    .language_version:
      - 2
      - 0
    .max_flat_workgroup_size: 256
    .name:           _ZN7rocprim17ROCPRIM_400000_NS6detail17trampoline_kernelINS0_14default_configENS1_38merge_sort_block_merge_config_selectorIlNS0_10empty_typeEEEZZNS1_27merge_sort_block_merge_implIS3_PlPS5_mZN2at6native12_GLOBAL__N_124unique_dim_cuda_templateIN3c104HalfEEESt5tupleIJNSA_6TensorESH_SH_EERKSH_lbbbEUlllE_EE10hipError_tT0_T1_T2_jT3_P12ihipStream_tbPNSt15iterator_traitsISN_E10value_typeEPNST_ISO_E10value_typeEPSP_NS1_7vsmem_tEENKUlT_SN_SO_SP_E_clIS8_S8_S9_S9_EESM_S12_SN_SO_SP_EUlS12_E1_NS1_11comp_targetILNS1_3genE3ELNS1_11target_archE908ELNS1_3gpuE7ELNS1_3repE0EEENS1_36merge_oddeven_config_static_selectorELNS0_4arch9wavefront6targetE1EEEvSO_
    .private_segment_fixed_size: 0
    .sgpr_count:     6
    .sgpr_spill_count: 0
    .symbol:         _ZN7rocprim17ROCPRIM_400000_NS6detail17trampoline_kernelINS0_14default_configENS1_38merge_sort_block_merge_config_selectorIlNS0_10empty_typeEEEZZNS1_27merge_sort_block_merge_implIS3_PlPS5_mZN2at6native12_GLOBAL__N_124unique_dim_cuda_templateIN3c104HalfEEESt5tupleIJNSA_6TensorESH_SH_EERKSH_lbbbEUlllE_EE10hipError_tT0_T1_T2_jT3_P12ihipStream_tbPNSt15iterator_traitsISN_E10value_typeEPNST_ISO_E10value_typeEPSP_NS1_7vsmem_tEENKUlT_SN_SO_SP_E_clIS8_S8_S9_S9_EESM_S12_SN_SO_SP_EUlS12_E1_NS1_11comp_targetILNS1_3genE3ELNS1_11target_archE908ELNS1_3gpuE7ELNS1_3repE0EEENS1_36merge_oddeven_config_static_selectorELNS0_4arch9wavefront6targetE1EEEvSO_.kd
    .uniform_work_group_size: 1
    .uses_dynamic_stack: false
    .vgpr_count:     0
    .vgpr_spill_count: 0
    .wavefront_size: 64
  - .agpr_count:     0
    .args:
      - .offset:         0
        .size:           64
        .value_kind:     by_value
    .group_segment_fixed_size: 0
    .kernarg_segment_align: 8
    .kernarg_segment_size: 64
    .language:       OpenCL C
    .language_version:
      - 2
      - 0
    .max_flat_workgroup_size: 256
    .name:           _ZN7rocprim17ROCPRIM_400000_NS6detail17trampoline_kernelINS0_14default_configENS1_38merge_sort_block_merge_config_selectorIlNS0_10empty_typeEEEZZNS1_27merge_sort_block_merge_implIS3_PlPS5_mZN2at6native12_GLOBAL__N_124unique_dim_cuda_templateIN3c104HalfEEESt5tupleIJNSA_6TensorESH_SH_EERKSH_lbbbEUlllE_EE10hipError_tT0_T1_T2_jT3_P12ihipStream_tbPNSt15iterator_traitsISN_E10value_typeEPNST_ISO_E10value_typeEPSP_NS1_7vsmem_tEENKUlT_SN_SO_SP_E_clIS8_S8_S9_S9_EESM_S12_SN_SO_SP_EUlS12_E1_NS1_11comp_targetILNS1_3genE2ELNS1_11target_archE906ELNS1_3gpuE6ELNS1_3repE0EEENS1_36merge_oddeven_config_static_selectorELNS0_4arch9wavefront6targetE1EEEvSO_
    .private_segment_fixed_size: 0
    .sgpr_count:     6
    .sgpr_spill_count: 0
    .symbol:         _ZN7rocprim17ROCPRIM_400000_NS6detail17trampoline_kernelINS0_14default_configENS1_38merge_sort_block_merge_config_selectorIlNS0_10empty_typeEEEZZNS1_27merge_sort_block_merge_implIS3_PlPS5_mZN2at6native12_GLOBAL__N_124unique_dim_cuda_templateIN3c104HalfEEESt5tupleIJNSA_6TensorESH_SH_EERKSH_lbbbEUlllE_EE10hipError_tT0_T1_T2_jT3_P12ihipStream_tbPNSt15iterator_traitsISN_E10value_typeEPNST_ISO_E10value_typeEPSP_NS1_7vsmem_tEENKUlT_SN_SO_SP_E_clIS8_S8_S9_S9_EESM_S12_SN_SO_SP_EUlS12_E1_NS1_11comp_targetILNS1_3genE2ELNS1_11target_archE906ELNS1_3gpuE6ELNS1_3repE0EEENS1_36merge_oddeven_config_static_selectorELNS0_4arch9wavefront6targetE1EEEvSO_.kd
    .uniform_work_group_size: 1
    .uses_dynamic_stack: false
    .vgpr_count:     0
    .vgpr_spill_count: 0
    .wavefront_size: 64
  - .agpr_count:     0
    .args:
      - .offset:         0
        .size:           64
        .value_kind:     by_value
    .group_segment_fixed_size: 0
    .kernarg_segment_align: 8
    .kernarg_segment_size: 64
    .language:       OpenCL C
    .language_version:
      - 2
      - 0
    .max_flat_workgroup_size: 256
    .name:           _ZN7rocprim17ROCPRIM_400000_NS6detail17trampoline_kernelINS0_14default_configENS1_38merge_sort_block_merge_config_selectorIlNS0_10empty_typeEEEZZNS1_27merge_sort_block_merge_implIS3_PlPS5_mZN2at6native12_GLOBAL__N_124unique_dim_cuda_templateIN3c104HalfEEESt5tupleIJNSA_6TensorESH_SH_EERKSH_lbbbEUlllE_EE10hipError_tT0_T1_T2_jT3_P12ihipStream_tbPNSt15iterator_traitsISN_E10value_typeEPNST_ISO_E10value_typeEPSP_NS1_7vsmem_tEENKUlT_SN_SO_SP_E_clIS8_S8_S9_S9_EESM_S12_SN_SO_SP_EUlS12_E1_NS1_11comp_targetILNS1_3genE9ELNS1_11target_archE1100ELNS1_3gpuE3ELNS1_3repE0EEENS1_36merge_oddeven_config_static_selectorELNS0_4arch9wavefront6targetE1EEEvSO_
    .private_segment_fixed_size: 0
    .sgpr_count:     6
    .sgpr_spill_count: 0
    .symbol:         _ZN7rocprim17ROCPRIM_400000_NS6detail17trampoline_kernelINS0_14default_configENS1_38merge_sort_block_merge_config_selectorIlNS0_10empty_typeEEEZZNS1_27merge_sort_block_merge_implIS3_PlPS5_mZN2at6native12_GLOBAL__N_124unique_dim_cuda_templateIN3c104HalfEEESt5tupleIJNSA_6TensorESH_SH_EERKSH_lbbbEUlllE_EE10hipError_tT0_T1_T2_jT3_P12ihipStream_tbPNSt15iterator_traitsISN_E10value_typeEPNST_ISO_E10value_typeEPSP_NS1_7vsmem_tEENKUlT_SN_SO_SP_E_clIS8_S8_S9_S9_EESM_S12_SN_SO_SP_EUlS12_E1_NS1_11comp_targetILNS1_3genE9ELNS1_11target_archE1100ELNS1_3gpuE3ELNS1_3repE0EEENS1_36merge_oddeven_config_static_selectorELNS0_4arch9wavefront6targetE1EEEvSO_.kd
    .uniform_work_group_size: 1
    .uses_dynamic_stack: false
    .vgpr_count:     0
    .vgpr_spill_count: 0
    .wavefront_size: 64
  - .agpr_count:     0
    .args:
      - .offset:         0
        .size:           64
        .value_kind:     by_value
    .group_segment_fixed_size: 0
    .kernarg_segment_align: 8
    .kernarg_segment_size: 64
    .language:       OpenCL C
    .language_version:
      - 2
      - 0
    .max_flat_workgroup_size: 256
    .name:           _ZN7rocprim17ROCPRIM_400000_NS6detail17trampoline_kernelINS0_14default_configENS1_38merge_sort_block_merge_config_selectorIlNS0_10empty_typeEEEZZNS1_27merge_sort_block_merge_implIS3_PlPS5_mZN2at6native12_GLOBAL__N_124unique_dim_cuda_templateIN3c104HalfEEESt5tupleIJNSA_6TensorESH_SH_EERKSH_lbbbEUlllE_EE10hipError_tT0_T1_T2_jT3_P12ihipStream_tbPNSt15iterator_traitsISN_E10value_typeEPNST_ISO_E10value_typeEPSP_NS1_7vsmem_tEENKUlT_SN_SO_SP_E_clIS8_S8_S9_S9_EESM_S12_SN_SO_SP_EUlS12_E1_NS1_11comp_targetILNS1_3genE8ELNS1_11target_archE1030ELNS1_3gpuE2ELNS1_3repE0EEENS1_36merge_oddeven_config_static_selectorELNS0_4arch9wavefront6targetE1EEEvSO_
    .private_segment_fixed_size: 0
    .sgpr_count:     6
    .sgpr_spill_count: 0
    .symbol:         _ZN7rocprim17ROCPRIM_400000_NS6detail17trampoline_kernelINS0_14default_configENS1_38merge_sort_block_merge_config_selectorIlNS0_10empty_typeEEEZZNS1_27merge_sort_block_merge_implIS3_PlPS5_mZN2at6native12_GLOBAL__N_124unique_dim_cuda_templateIN3c104HalfEEESt5tupleIJNSA_6TensorESH_SH_EERKSH_lbbbEUlllE_EE10hipError_tT0_T1_T2_jT3_P12ihipStream_tbPNSt15iterator_traitsISN_E10value_typeEPNST_ISO_E10value_typeEPSP_NS1_7vsmem_tEENKUlT_SN_SO_SP_E_clIS8_S8_S9_S9_EESM_S12_SN_SO_SP_EUlS12_E1_NS1_11comp_targetILNS1_3genE8ELNS1_11target_archE1030ELNS1_3gpuE2ELNS1_3repE0EEENS1_36merge_oddeven_config_static_selectorELNS0_4arch9wavefront6targetE1EEEvSO_.kd
    .uniform_work_group_size: 1
    .uses_dynamic_stack: false
    .vgpr_count:     0
    .vgpr_spill_count: 0
    .wavefront_size: 64
  - .agpr_count:     0
    .args:
      - .offset:         0
        .size:           64
        .value_kind:     by_value
    .group_segment_fixed_size: 0
    .kernarg_segment_align: 8
    .kernarg_segment_size: 64
    .language:       OpenCL C
    .language_version:
      - 2
      - 0
    .max_flat_workgroup_size: 128
    .name:           _ZN7rocprim17ROCPRIM_400000_NS6detail17trampoline_kernelINS0_14default_configENS1_35adjacent_difference_config_selectorILb0ElEEZNS1_24adjacent_difference_implIS3_Lb0ELb0EPlS7_ZN2at6native12_GLOBAL__N_124unique_dim_cuda_templateIN3c104HalfEEESt5tupleIJNS8_6TensorESF_SF_EERKSF_lbbbEUlllE1_EE10hipError_tPvRmT2_T3_mT4_P12ihipStream_tbEUlT_E_NS1_11comp_targetILNS1_3genE0ELNS1_11target_archE4294967295ELNS1_3gpuE0ELNS1_3repE0EEENS1_30default_config_static_selectorELNS0_4arch9wavefront6targetE1EEEvT1_
    .private_segment_fixed_size: 0
    .sgpr_count:     6
    .sgpr_spill_count: 0
    .symbol:         _ZN7rocprim17ROCPRIM_400000_NS6detail17trampoline_kernelINS0_14default_configENS1_35adjacent_difference_config_selectorILb0ElEEZNS1_24adjacent_difference_implIS3_Lb0ELb0EPlS7_ZN2at6native12_GLOBAL__N_124unique_dim_cuda_templateIN3c104HalfEEESt5tupleIJNS8_6TensorESF_SF_EERKSF_lbbbEUlllE1_EE10hipError_tPvRmT2_T3_mT4_P12ihipStream_tbEUlT_E_NS1_11comp_targetILNS1_3genE0ELNS1_11target_archE4294967295ELNS1_3gpuE0ELNS1_3repE0EEENS1_30default_config_static_selectorELNS0_4arch9wavefront6targetE1EEEvT1_.kd
    .uniform_work_group_size: 1
    .uses_dynamic_stack: false
    .vgpr_count:     0
    .vgpr_spill_count: 0
    .wavefront_size: 64
  - .agpr_count:     0
    .args:
      - .offset:         0
        .size:           64
        .value_kind:     by_value
    .group_segment_fixed_size: 0
    .kernarg_segment_align: 8
    .kernarg_segment_size: 64
    .language:       OpenCL C
    .language_version:
      - 2
      - 0
    .max_flat_workgroup_size: 128
    .name:           _ZN7rocprim17ROCPRIM_400000_NS6detail17trampoline_kernelINS0_14default_configENS1_35adjacent_difference_config_selectorILb0ElEEZNS1_24adjacent_difference_implIS3_Lb0ELb0EPlS7_ZN2at6native12_GLOBAL__N_124unique_dim_cuda_templateIN3c104HalfEEESt5tupleIJNS8_6TensorESF_SF_EERKSF_lbbbEUlllE1_EE10hipError_tPvRmT2_T3_mT4_P12ihipStream_tbEUlT_E_NS1_11comp_targetILNS1_3genE10ELNS1_11target_archE1201ELNS1_3gpuE5ELNS1_3repE0EEENS1_30default_config_static_selectorELNS0_4arch9wavefront6targetE1EEEvT1_
    .private_segment_fixed_size: 0
    .sgpr_count:     6
    .sgpr_spill_count: 0
    .symbol:         _ZN7rocprim17ROCPRIM_400000_NS6detail17trampoline_kernelINS0_14default_configENS1_35adjacent_difference_config_selectorILb0ElEEZNS1_24adjacent_difference_implIS3_Lb0ELb0EPlS7_ZN2at6native12_GLOBAL__N_124unique_dim_cuda_templateIN3c104HalfEEESt5tupleIJNS8_6TensorESF_SF_EERKSF_lbbbEUlllE1_EE10hipError_tPvRmT2_T3_mT4_P12ihipStream_tbEUlT_E_NS1_11comp_targetILNS1_3genE10ELNS1_11target_archE1201ELNS1_3gpuE5ELNS1_3repE0EEENS1_30default_config_static_selectorELNS0_4arch9wavefront6targetE1EEEvT1_.kd
    .uniform_work_group_size: 1
    .uses_dynamic_stack: false
    .vgpr_count:     0
    .vgpr_spill_count: 0
    .wavefront_size: 64
  - .agpr_count:     0
    .args:
      - .offset:         0
        .size:           64
        .value_kind:     by_value
    .group_segment_fixed_size: 6656
    .kernarg_segment_align: 8
    .kernarg_segment_size: 64
    .language:       OpenCL C
    .language_version:
      - 2
      - 0
    .max_flat_workgroup_size: 64
    .name:           _ZN7rocprim17ROCPRIM_400000_NS6detail17trampoline_kernelINS0_14default_configENS1_35adjacent_difference_config_selectorILb0ElEEZNS1_24adjacent_difference_implIS3_Lb0ELb0EPlS7_ZN2at6native12_GLOBAL__N_124unique_dim_cuda_templateIN3c104HalfEEESt5tupleIJNS8_6TensorESF_SF_EERKSF_lbbbEUlllE1_EE10hipError_tPvRmT2_T3_mT4_P12ihipStream_tbEUlT_E_NS1_11comp_targetILNS1_3genE5ELNS1_11target_archE942ELNS1_3gpuE9ELNS1_3repE0EEENS1_30default_config_static_selectorELNS0_4arch9wavefront6targetE1EEEvT1_
    .private_segment_fixed_size: 0
    .sgpr_count:     44
    .sgpr_spill_count: 0
    .symbol:         _ZN7rocprim17ROCPRIM_400000_NS6detail17trampoline_kernelINS0_14default_configENS1_35adjacent_difference_config_selectorILb0ElEEZNS1_24adjacent_difference_implIS3_Lb0ELb0EPlS7_ZN2at6native12_GLOBAL__N_124unique_dim_cuda_templateIN3c104HalfEEESt5tupleIJNS8_6TensorESF_SF_EERKSF_lbbbEUlllE1_EE10hipError_tPvRmT2_T3_mT4_P12ihipStream_tbEUlT_E_NS1_11comp_targetILNS1_3genE5ELNS1_11target_archE942ELNS1_3gpuE9ELNS1_3repE0EEENS1_30default_config_static_selectorELNS0_4arch9wavefront6targetE1EEEvT1_.kd
    .uniform_work_group_size: 1
    .uses_dynamic_stack: false
    .vgpr_count:     84
    .vgpr_spill_count: 0
    .wavefront_size: 64
  - .agpr_count:     0
    .args:
      - .offset:         0
        .size:           64
        .value_kind:     by_value
    .group_segment_fixed_size: 0
    .kernarg_segment_align: 8
    .kernarg_segment_size: 64
    .language:       OpenCL C
    .language_version:
      - 2
      - 0
    .max_flat_workgroup_size: 256
    .name:           _ZN7rocprim17ROCPRIM_400000_NS6detail17trampoline_kernelINS0_14default_configENS1_35adjacent_difference_config_selectorILb0ElEEZNS1_24adjacent_difference_implIS3_Lb0ELb0EPlS7_ZN2at6native12_GLOBAL__N_124unique_dim_cuda_templateIN3c104HalfEEESt5tupleIJNS8_6TensorESF_SF_EERKSF_lbbbEUlllE1_EE10hipError_tPvRmT2_T3_mT4_P12ihipStream_tbEUlT_E_NS1_11comp_targetILNS1_3genE4ELNS1_11target_archE910ELNS1_3gpuE8ELNS1_3repE0EEENS1_30default_config_static_selectorELNS0_4arch9wavefront6targetE1EEEvT1_
    .private_segment_fixed_size: 0
    .sgpr_count:     6
    .sgpr_spill_count: 0
    .symbol:         _ZN7rocprim17ROCPRIM_400000_NS6detail17trampoline_kernelINS0_14default_configENS1_35adjacent_difference_config_selectorILb0ElEEZNS1_24adjacent_difference_implIS3_Lb0ELb0EPlS7_ZN2at6native12_GLOBAL__N_124unique_dim_cuda_templateIN3c104HalfEEESt5tupleIJNS8_6TensorESF_SF_EERKSF_lbbbEUlllE1_EE10hipError_tPvRmT2_T3_mT4_P12ihipStream_tbEUlT_E_NS1_11comp_targetILNS1_3genE4ELNS1_11target_archE910ELNS1_3gpuE8ELNS1_3repE0EEENS1_30default_config_static_selectorELNS0_4arch9wavefront6targetE1EEEvT1_.kd
    .uniform_work_group_size: 1
    .uses_dynamic_stack: false
    .vgpr_count:     0
    .vgpr_spill_count: 0
    .wavefront_size: 64
  - .agpr_count:     0
    .args:
      - .offset:         0
        .size:           64
        .value_kind:     by_value
    .group_segment_fixed_size: 0
    .kernarg_segment_align: 8
    .kernarg_segment_size: 64
    .language:       OpenCL C
    .language_version:
      - 2
      - 0
    .max_flat_workgroup_size: 128
    .name:           _ZN7rocprim17ROCPRIM_400000_NS6detail17trampoline_kernelINS0_14default_configENS1_35adjacent_difference_config_selectorILb0ElEEZNS1_24adjacent_difference_implIS3_Lb0ELb0EPlS7_ZN2at6native12_GLOBAL__N_124unique_dim_cuda_templateIN3c104HalfEEESt5tupleIJNS8_6TensorESF_SF_EERKSF_lbbbEUlllE1_EE10hipError_tPvRmT2_T3_mT4_P12ihipStream_tbEUlT_E_NS1_11comp_targetILNS1_3genE3ELNS1_11target_archE908ELNS1_3gpuE7ELNS1_3repE0EEENS1_30default_config_static_selectorELNS0_4arch9wavefront6targetE1EEEvT1_
    .private_segment_fixed_size: 0
    .sgpr_count:     6
    .sgpr_spill_count: 0
    .symbol:         _ZN7rocprim17ROCPRIM_400000_NS6detail17trampoline_kernelINS0_14default_configENS1_35adjacent_difference_config_selectorILb0ElEEZNS1_24adjacent_difference_implIS3_Lb0ELb0EPlS7_ZN2at6native12_GLOBAL__N_124unique_dim_cuda_templateIN3c104HalfEEESt5tupleIJNS8_6TensorESF_SF_EERKSF_lbbbEUlllE1_EE10hipError_tPvRmT2_T3_mT4_P12ihipStream_tbEUlT_E_NS1_11comp_targetILNS1_3genE3ELNS1_11target_archE908ELNS1_3gpuE7ELNS1_3repE0EEENS1_30default_config_static_selectorELNS0_4arch9wavefront6targetE1EEEvT1_.kd
    .uniform_work_group_size: 1
    .uses_dynamic_stack: false
    .vgpr_count:     0
    .vgpr_spill_count: 0
    .wavefront_size: 64
  - .agpr_count:     0
    .args:
      - .offset:         0
        .size:           64
        .value_kind:     by_value
    .group_segment_fixed_size: 0
    .kernarg_segment_align: 8
    .kernarg_segment_size: 64
    .language:       OpenCL C
    .language_version:
      - 2
      - 0
    .max_flat_workgroup_size: 128
    .name:           _ZN7rocprim17ROCPRIM_400000_NS6detail17trampoline_kernelINS0_14default_configENS1_35adjacent_difference_config_selectorILb0ElEEZNS1_24adjacent_difference_implIS3_Lb0ELb0EPlS7_ZN2at6native12_GLOBAL__N_124unique_dim_cuda_templateIN3c104HalfEEESt5tupleIJNS8_6TensorESF_SF_EERKSF_lbbbEUlllE1_EE10hipError_tPvRmT2_T3_mT4_P12ihipStream_tbEUlT_E_NS1_11comp_targetILNS1_3genE2ELNS1_11target_archE906ELNS1_3gpuE6ELNS1_3repE0EEENS1_30default_config_static_selectorELNS0_4arch9wavefront6targetE1EEEvT1_
    .private_segment_fixed_size: 0
    .sgpr_count:     6
    .sgpr_spill_count: 0
    .symbol:         _ZN7rocprim17ROCPRIM_400000_NS6detail17trampoline_kernelINS0_14default_configENS1_35adjacent_difference_config_selectorILb0ElEEZNS1_24adjacent_difference_implIS3_Lb0ELb0EPlS7_ZN2at6native12_GLOBAL__N_124unique_dim_cuda_templateIN3c104HalfEEESt5tupleIJNS8_6TensorESF_SF_EERKSF_lbbbEUlllE1_EE10hipError_tPvRmT2_T3_mT4_P12ihipStream_tbEUlT_E_NS1_11comp_targetILNS1_3genE2ELNS1_11target_archE906ELNS1_3gpuE6ELNS1_3repE0EEENS1_30default_config_static_selectorELNS0_4arch9wavefront6targetE1EEEvT1_.kd
    .uniform_work_group_size: 1
    .uses_dynamic_stack: false
    .vgpr_count:     0
    .vgpr_spill_count: 0
    .wavefront_size: 64
  - .agpr_count:     0
    .args:
      - .offset:         0
        .size:           64
        .value_kind:     by_value
    .group_segment_fixed_size: 0
    .kernarg_segment_align: 8
    .kernarg_segment_size: 64
    .language:       OpenCL C
    .language_version:
      - 2
      - 0
    .max_flat_workgroup_size: 512
    .name:           _ZN7rocprim17ROCPRIM_400000_NS6detail17trampoline_kernelINS0_14default_configENS1_35adjacent_difference_config_selectorILb0ElEEZNS1_24adjacent_difference_implIS3_Lb0ELb0EPlS7_ZN2at6native12_GLOBAL__N_124unique_dim_cuda_templateIN3c104HalfEEESt5tupleIJNS8_6TensorESF_SF_EERKSF_lbbbEUlllE1_EE10hipError_tPvRmT2_T3_mT4_P12ihipStream_tbEUlT_E_NS1_11comp_targetILNS1_3genE9ELNS1_11target_archE1100ELNS1_3gpuE3ELNS1_3repE0EEENS1_30default_config_static_selectorELNS0_4arch9wavefront6targetE1EEEvT1_
    .private_segment_fixed_size: 0
    .sgpr_count:     6
    .sgpr_spill_count: 0
    .symbol:         _ZN7rocprim17ROCPRIM_400000_NS6detail17trampoline_kernelINS0_14default_configENS1_35adjacent_difference_config_selectorILb0ElEEZNS1_24adjacent_difference_implIS3_Lb0ELb0EPlS7_ZN2at6native12_GLOBAL__N_124unique_dim_cuda_templateIN3c104HalfEEESt5tupleIJNS8_6TensorESF_SF_EERKSF_lbbbEUlllE1_EE10hipError_tPvRmT2_T3_mT4_P12ihipStream_tbEUlT_E_NS1_11comp_targetILNS1_3genE9ELNS1_11target_archE1100ELNS1_3gpuE3ELNS1_3repE0EEENS1_30default_config_static_selectorELNS0_4arch9wavefront6targetE1EEEvT1_.kd
    .uniform_work_group_size: 1
    .uses_dynamic_stack: false
    .vgpr_count:     0
    .vgpr_spill_count: 0
    .wavefront_size: 64
  - .agpr_count:     0
    .args:
      - .offset:         0
        .size:           64
        .value_kind:     by_value
    .group_segment_fixed_size: 0
    .kernarg_segment_align: 8
    .kernarg_segment_size: 64
    .language:       OpenCL C
    .language_version:
      - 2
      - 0
    .max_flat_workgroup_size: 1024
    .name:           _ZN7rocprim17ROCPRIM_400000_NS6detail17trampoline_kernelINS0_14default_configENS1_35adjacent_difference_config_selectorILb0ElEEZNS1_24adjacent_difference_implIS3_Lb0ELb0EPlS7_ZN2at6native12_GLOBAL__N_124unique_dim_cuda_templateIN3c104HalfEEESt5tupleIJNS8_6TensorESF_SF_EERKSF_lbbbEUlllE1_EE10hipError_tPvRmT2_T3_mT4_P12ihipStream_tbEUlT_E_NS1_11comp_targetILNS1_3genE8ELNS1_11target_archE1030ELNS1_3gpuE2ELNS1_3repE0EEENS1_30default_config_static_selectorELNS0_4arch9wavefront6targetE1EEEvT1_
    .private_segment_fixed_size: 0
    .sgpr_count:     6
    .sgpr_spill_count: 0
    .symbol:         _ZN7rocprim17ROCPRIM_400000_NS6detail17trampoline_kernelINS0_14default_configENS1_35adjacent_difference_config_selectorILb0ElEEZNS1_24adjacent_difference_implIS3_Lb0ELb0EPlS7_ZN2at6native12_GLOBAL__N_124unique_dim_cuda_templateIN3c104HalfEEESt5tupleIJNS8_6TensorESF_SF_EERKSF_lbbbEUlllE1_EE10hipError_tPvRmT2_T3_mT4_P12ihipStream_tbEUlT_E_NS1_11comp_targetILNS1_3genE8ELNS1_11target_archE1030ELNS1_3gpuE2ELNS1_3repE0EEENS1_30default_config_static_selectorELNS0_4arch9wavefront6targetE1EEEvT1_.kd
    .uniform_work_group_size: 1
    .uses_dynamic_stack: false
    .vgpr_count:     0
    .vgpr_spill_count: 0
    .wavefront_size: 64
  - .agpr_count:     0
    .args:
      - .offset:         0
        .size:           56
        .value_kind:     by_value
    .group_segment_fixed_size: 0
    .kernarg_segment_align: 8
    .kernarg_segment_size: 56
    .language:       OpenCL C
    .language_version:
      - 2
      - 0
    .max_flat_workgroup_size: 128
    .name:           _ZN7rocprim17ROCPRIM_400000_NS6detail17trampoline_kernelINS0_14default_configENS1_25transform_config_selectorIlLb0EEEZNS1_14transform_implILb0ES3_S5_NS0_18transform_iteratorINS0_17counting_iteratorImlEEZNS1_24adjacent_difference_implIS3_Lb1ELb0EPlSB_ZN2at6native12_GLOBAL__N_124unique_dim_cuda_templateIN3c104HalfEEESt5tupleIJNSC_6TensorESJ_SJ_EERKSJ_lbbbEUlllE1_EE10hipError_tPvRmT2_T3_mT4_P12ihipStream_tbEUlmE_lEESB_NS0_8identityIvEEEESO_SR_SS_mST_SV_bEUlT_E_NS1_11comp_targetILNS1_3genE0ELNS1_11target_archE4294967295ELNS1_3gpuE0ELNS1_3repE0EEENS1_30default_config_static_selectorELNS0_4arch9wavefront6targetE1EEEvT1_
    .private_segment_fixed_size: 0
    .sgpr_count:     6
    .sgpr_spill_count: 0
    .symbol:         _ZN7rocprim17ROCPRIM_400000_NS6detail17trampoline_kernelINS0_14default_configENS1_25transform_config_selectorIlLb0EEEZNS1_14transform_implILb0ES3_S5_NS0_18transform_iteratorINS0_17counting_iteratorImlEEZNS1_24adjacent_difference_implIS3_Lb1ELb0EPlSB_ZN2at6native12_GLOBAL__N_124unique_dim_cuda_templateIN3c104HalfEEESt5tupleIJNSC_6TensorESJ_SJ_EERKSJ_lbbbEUlllE1_EE10hipError_tPvRmT2_T3_mT4_P12ihipStream_tbEUlmE_lEESB_NS0_8identityIvEEEESO_SR_SS_mST_SV_bEUlT_E_NS1_11comp_targetILNS1_3genE0ELNS1_11target_archE4294967295ELNS1_3gpuE0ELNS1_3repE0EEENS1_30default_config_static_selectorELNS0_4arch9wavefront6targetE1EEEvT1_.kd
    .uniform_work_group_size: 1
    .uses_dynamic_stack: false
    .vgpr_count:     0
    .vgpr_spill_count: 0
    .wavefront_size: 64
  - .agpr_count:     0
    .args:
      - .offset:         0
        .size:           56
        .value_kind:     by_value
      - .offset:         56
        .size:           4
        .value_kind:     hidden_block_count_x
      - .offset:         60
        .size:           4
        .value_kind:     hidden_block_count_y
      - .offset:         64
        .size:           4
        .value_kind:     hidden_block_count_z
      - .offset:         68
        .size:           2
        .value_kind:     hidden_group_size_x
      - .offset:         70
        .size:           2
        .value_kind:     hidden_group_size_y
      - .offset:         72
        .size:           2
        .value_kind:     hidden_group_size_z
      - .offset:         74
        .size:           2
        .value_kind:     hidden_remainder_x
      - .offset:         76
        .size:           2
        .value_kind:     hidden_remainder_y
      - .offset:         78
        .size:           2
        .value_kind:     hidden_remainder_z
      - .offset:         96
        .size:           8
        .value_kind:     hidden_global_offset_x
      - .offset:         104
        .size:           8
        .value_kind:     hidden_global_offset_y
      - .offset:         112
        .size:           8
        .value_kind:     hidden_global_offset_z
      - .offset:         120
        .size:           2
        .value_kind:     hidden_grid_dims
    .group_segment_fixed_size: 0
    .kernarg_segment_align: 8
    .kernarg_segment_size: 312
    .language:       OpenCL C
    .language_version:
      - 2
      - 0
    .max_flat_workgroup_size: 512
    .name:           _ZN7rocprim17ROCPRIM_400000_NS6detail17trampoline_kernelINS0_14default_configENS1_25transform_config_selectorIlLb0EEEZNS1_14transform_implILb0ES3_S5_NS0_18transform_iteratorINS0_17counting_iteratorImlEEZNS1_24adjacent_difference_implIS3_Lb1ELb0EPlSB_ZN2at6native12_GLOBAL__N_124unique_dim_cuda_templateIN3c104HalfEEESt5tupleIJNSC_6TensorESJ_SJ_EERKSJ_lbbbEUlllE1_EE10hipError_tPvRmT2_T3_mT4_P12ihipStream_tbEUlmE_lEESB_NS0_8identityIvEEEESO_SR_SS_mST_SV_bEUlT_E_NS1_11comp_targetILNS1_3genE5ELNS1_11target_archE942ELNS1_3gpuE9ELNS1_3repE0EEENS1_30default_config_static_selectorELNS0_4arch9wavefront6targetE1EEEvT1_
    .private_segment_fixed_size: 0
    .sgpr_count:     26
    .sgpr_spill_count: 0
    .symbol:         _ZN7rocprim17ROCPRIM_400000_NS6detail17trampoline_kernelINS0_14default_configENS1_25transform_config_selectorIlLb0EEEZNS1_14transform_implILb0ES3_S5_NS0_18transform_iteratorINS0_17counting_iteratorImlEEZNS1_24adjacent_difference_implIS3_Lb1ELb0EPlSB_ZN2at6native12_GLOBAL__N_124unique_dim_cuda_templateIN3c104HalfEEESt5tupleIJNSC_6TensorESJ_SJ_EERKSJ_lbbbEUlllE1_EE10hipError_tPvRmT2_T3_mT4_P12ihipStream_tbEUlmE_lEESB_NS0_8identityIvEEEESO_SR_SS_mST_SV_bEUlT_E_NS1_11comp_targetILNS1_3genE5ELNS1_11target_archE942ELNS1_3gpuE9ELNS1_3repE0EEENS1_30default_config_static_selectorELNS0_4arch9wavefront6targetE1EEEvT1_.kd
    .uniform_work_group_size: 1
    .uses_dynamic_stack: false
    .vgpr_count:     12
    .vgpr_spill_count: 0
    .wavefront_size: 64
  - .agpr_count:     0
    .args:
      - .offset:         0
        .size:           56
        .value_kind:     by_value
    .group_segment_fixed_size: 0
    .kernarg_segment_align: 8
    .kernarg_segment_size: 56
    .language:       OpenCL C
    .language_version:
      - 2
      - 0
    .max_flat_workgroup_size: 256
    .name:           _ZN7rocprim17ROCPRIM_400000_NS6detail17trampoline_kernelINS0_14default_configENS1_25transform_config_selectorIlLb0EEEZNS1_14transform_implILb0ES3_S5_NS0_18transform_iteratorINS0_17counting_iteratorImlEEZNS1_24adjacent_difference_implIS3_Lb1ELb0EPlSB_ZN2at6native12_GLOBAL__N_124unique_dim_cuda_templateIN3c104HalfEEESt5tupleIJNSC_6TensorESJ_SJ_EERKSJ_lbbbEUlllE1_EE10hipError_tPvRmT2_T3_mT4_P12ihipStream_tbEUlmE_lEESB_NS0_8identityIvEEEESO_SR_SS_mST_SV_bEUlT_E_NS1_11comp_targetILNS1_3genE4ELNS1_11target_archE910ELNS1_3gpuE8ELNS1_3repE0EEENS1_30default_config_static_selectorELNS0_4arch9wavefront6targetE1EEEvT1_
    .private_segment_fixed_size: 0
    .sgpr_count:     6
    .sgpr_spill_count: 0
    .symbol:         _ZN7rocprim17ROCPRIM_400000_NS6detail17trampoline_kernelINS0_14default_configENS1_25transform_config_selectorIlLb0EEEZNS1_14transform_implILb0ES3_S5_NS0_18transform_iteratorINS0_17counting_iteratorImlEEZNS1_24adjacent_difference_implIS3_Lb1ELb0EPlSB_ZN2at6native12_GLOBAL__N_124unique_dim_cuda_templateIN3c104HalfEEESt5tupleIJNSC_6TensorESJ_SJ_EERKSJ_lbbbEUlllE1_EE10hipError_tPvRmT2_T3_mT4_P12ihipStream_tbEUlmE_lEESB_NS0_8identityIvEEEESO_SR_SS_mST_SV_bEUlT_E_NS1_11comp_targetILNS1_3genE4ELNS1_11target_archE910ELNS1_3gpuE8ELNS1_3repE0EEENS1_30default_config_static_selectorELNS0_4arch9wavefront6targetE1EEEvT1_.kd
    .uniform_work_group_size: 1
    .uses_dynamic_stack: false
    .vgpr_count:     0
    .vgpr_spill_count: 0
    .wavefront_size: 64
  - .agpr_count:     0
    .args:
      - .offset:         0
        .size:           56
        .value_kind:     by_value
    .group_segment_fixed_size: 0
    .kernarg_segment_align: 8
    .kernarg_segment_size: 56
    .language:       OpenCL C
    .language_version:
      - 2
      - 0
    .max_flat_workgroup_size: 128
    .name:           _ZN7rocprim17ROCPRIM_400000_NS6detail17trampoline_kernelINS0_14default_configENS1_25transform_config_selectorIlLb0EEEZNS1_14transform_implILb0ES3_S5_NS0_18transform_iteratorINS0_17counting_iteratorImlEEZNS1_24adjacent_difference_implIS3_Lb1ELb0EPlSB_ZN2at6native12_GLOBAL__N_124unique_dim_cuda_templateIN3c104HalfEEESt5tupleIJNSC_6TensorESJ_SJ_EERKSJ_lbbbEUlllE1_EE10hipError_tPvRmT2_T3_mT4_P12ihipStream_tbEUlmE_lEESB_NS0_8identityIvEEEESO_SR_SS_mST_SV_bEUlT_E_NS1_11comp_targetILNS1_3genE3ELNS1_11target_archE908ELNS1_3gpuE7ELNS1_3repE0EEENS1_30default_config_static_selectorELNS0_4arch9wavefront6targetE1EEEvT1_
    .private_segment_fixed_size: 0
    .sgpr_count:     6
    .sgpr_spill_count: 0
    .symbol:         _ZN7rocprim17ROCPRIM_400000_NS6detail17trampoline_kernelINS0_14default_configENS1_25transform_config_selectorIlLb0EEEZNS1_14transform_implILb0ES3_S5_NS0_18transform_iteratorINS0_17counting_iteratorImlEEZNS1_24adjacent_difference_implIS3_Lb1ELb0EPlSB_ZN2at6native12_GLOBAL__N_124unique_dim_cuda_templateIN3c104HalfEEESt5tupleIJNSC_6TensorESJ_SJ_EERKSJ_lbbbEUlllE1_EE10hipError_tPvRmT2_T3_mT4_P12ihipStream_tbEUlmE_lEESB_NS0_8identityIvEEEESO_SR_SS_mST_SV_bEUlT_E_NS1_11comp_targetILNS1_3genE3ELNS1_11target_archE908ELNS1_3gpuE7ELNS1_3repE0EEENS1_30default_config_static_selectorELNS0_4arch9wavefront6targetE1EEEvT1_.kd
    .uniform_work_group_size: 1
    .uses_dynamic_stack: false
    .vgpr_count:     0
    .vgpr_spill_count: 0
    .wavefront_size: 64
  - .agpr_count:     0
    .args:
      - .offset:         0
        .size:           56
        .value_kind:     by_value
    .group_segment_fixed_size: 0
    .kernarg_segment_align: 8
    .kernarg_segment_size: 56
    .language:       OpenCL C
    .language_version:
      - 2
      - 0
    .max_flat_workgroup_size: 512
    .name:           _ZN7rocprim17ROCPRIM_400000_NS6detail17trampoline_kernelINS0_14default_configENS1_25transform_config_selectorIlLb0EEEZNS1_14transform_implILb0ES3_S5_NS0_18transform_iteratorINS0_17counting_iteratorImlEEZNS1_24adjacent_difference_implIS3_Lb1ELb0EPlSB_ZN2at6native12_GLOBAL__N_124unique_dim_cuda_templateIN3c104HalfEEESt5tupleIJNSC_6TensorESJ_SJ_EERKSJ_lbbbEUlllE1_EE10hipError_tPvRmT2_T3_mT4_P12ihipStream_tbEUlmE_lEESB_NS0_8identityIvEEEESO_SR_SS_mST_SV_bEUlT_E_NS1_11comp_targetILNS1_3genE2ELNS1_11target_archE906ELNS1_3gpuE6ELNS1_3repE0EEENS1_30default_config_static_selectorELNS0_4arch9wavefront6targetE1EEEvT1_
    .private_segment_fixed_size: 0
    .sgpr_count:     6
    .sgpr_spill_count: 0
    .symbol:         _ZN7rocprim17ROCPRIM_400000_NS6detail17trampoline_kernelINS0_14default_configENS1_25transform_config_selectorIlLb0EEEZNS1_14transform_implILb0ES3_S5_NS0_18transform_iteratorINS0_17counting_iteratorImlEEZNS1_24adjacent_difference_implIS3_Lb1ELb0EPlSB_ZN2at6native12_GLOBAL__N_124unique_dim_cuda_templateIN3c104HalfEEESt5tupleIJNSC_6TensorESJ_SJ_EERKSJ_lbbbEUlllE1_EE10hipError_tPvRmT2_T3_mT4_P12ihipStream_tbEUlmE_lEESB_NS0_8identityIvEEEESO_SR_SS_mST_SV_bEUlT_E_NS1_11comp_targetILNS1_3genE2ELNS1_11target_archE906ELNS1_3gpuE6ELNS1_3repE0EEENS1_30default_config_static_selectorELNS0_4arch9wavefront6targetE1EEEvT1_.kd
    .uniform_work_group_size: 1
    .uses_dynamic_stack: false
    .vgpr_count:     0
    .vgpr_spill_count: 0
    .wavefront_size: 64
  - .agpr_count:     0
    .args:
      - .offset:         0
        .size:           56
        .value_kind:     by_value
    .group_segment_fixed_size: 0
    .kernarg_segment_align: 8
    .kernarg_segment_size: 56
    .language:       OpenCL C
    .language_version:
      - 2
      - 0
    .max_flat_workgroup_size: 1024
    .name:           _ZN7rocprim17ROCPRIM_400000_NS6detail17trampoline_kernelINS0_14default_configENS1_25transform_config_selectorIlLb0EEEZNS1_14transform_implILb0ES3_S5_NS0_18transform_iteratorINS0_17counting_iteratorImlEEZNS1_24adjacent_difference_implIS3_Lb1ELb0EPlSB_ZN2at6native12_GLOBAL__N_124unique_dim_cuda_templateIN3c104HalfEEESt5tupleIJNSC_6TensorESJ_SJ_EERKSJ_lbbbEUlllE1_EE10hipError_tPvRmT2_T3_mT4_P12ihipStream_tbEUlmE_lEESB_NS0_8identityIvEEEESO_SR_SS_mST_SV_bEUlT_E_NS1_11comp_targetILNS1_3genE10ELNS1_11target_archE1201ELNS1_3gpuE5ELNS1_3repE0EEENS1_30default_config_static_selectorELNS0_4arch9wavefront6targetE1EEEvT1_
    .private_segment_fixed_size: 0
    .sgpr_count:     6
    .sgpr_spill_count: 0
    .symbol:         _ZN7rocprim17ROCPRIM_400000_NS6detail17trampoline_kernelINS0_14default_configENS1_25transform_config_selectorIlLb0EEEZNS1_14transform_implILb0ES3_S5_NS0_18transform_iteratorINS0_17counting_iteratorImlEEZNS1_24adjacent_difference_implIS3_Lb1ELb0EPlSB_ZN2at6native12_GLOBAL__N_124unique_dim_cuda_templateIN3c104HalfEEESt5tupleIJNSC_6TensorESJ_SJ_EERKSJ_lbbbEUlllE1_EE10hipError_tPvRmT2_T3_mT4_P12ihipStream_tbEUlmE_lEESB_NS0_8identityIvEEEESO_SR_SS_mST_SV_bEUlT_E_NS1_11comp_targetILNS1_3genE10ELNS1_11target_archE1201ELNS1_3gpuE5ELNS1_3repE0EEENS1_30default_config_static_selectorELNS0_4arch9wavefront6targetE1EEEvT1_.kd
    .uniform_work_group_size: 1
    .uses_dynamic_stack: false
    .vgpr_count:     0
    .vgpr_spill_count: 0
    .wavefront_size: 64
  - .agpr_count:     0
    .args:
      - .offset:         0
        .size:           56
        .value_kind:     by_value
    .group_segment_fixed_size: 0
    .kernarg_segment_align: 8
    .kernarg_segment_size: 56
    .language:       OpenCL C
    .language_version:
      - 2
      - 0
    .max_flat_workgroup_size: 512
    .name:           _ZN7rocprim17ROCPRIM_400000_NS6detail17trampoline_kernelINS0_14default_configENS1_25transform_config_selectorIlLb0EEEZNS1_14transform_implILb0ES3_S5_NS0_18transform_iteratorINS0_17counting_iteratorImlEEZNS1_24adjacent_difference_implIS3_Lb1ELb0EPlSB_ZN2at6native12_GLOBAL__N_124unique_dim_cuda_templateIN3c104HalfEEESt5tupleIJNSC_6TensorESJ_SJ_EERKSJ_lbbbEUlllE1_EE10hipError_tPvRmT2_T3_mT4_P12ihipStream_tbEUlmE_lEESB_NS0_8identityIvEEEESO_SR_SS_mST_SV_bEUlT_E_NS1_11comp_targetILNS1_3genE10ELNS1_11target_archE1200ELNS1_3gpuE4ELNS1_3repE0EEENS1_30default_config_static_selectorELNS0_4arch9wavefront6targetE1EEEvT1_
    .private_segment_fixed_size: 0
    .sgpr_count:     6
    .sgpr_spill_count: 0
    .symbol:         _ZN7rocprim17ROCPRIM_400000_NS6detail17trampoline_kernelINS0_14default_configENS1_25transform_config_selectorIlLb0EEEZNS1_14transform_implILb0ES3_S5_NS0_18transform_iteratorINS0_17counting_iteratorImlEEZNS1_24adjacent_difference_implIS3_Lb1ELb0EPlSB_ZN2at6native12_GLOBAL__N_124unique_dim_cuda_templateIN3c104HalfEEESt5tupleIJNSC_6TensorESJ_SJ_EERKSJ_lbbbEUlllE1_EE10hipError_tPvRmT2_T3_mT4_P12ihipStream_tbEUlmE_lEESB_NS0_8identityIvEEEESO_SR_SS_mST_SV_bEUlT_E_NS1_11comp_targetILNS1_3genE10ELNS1_11target_archE1200ELNS1_3gpuE4ELNS1_3repE0EEENS1_30default_config_static_selectorELNS0_4arch9wavefront6targetE1EEEvT1_.kd
    .uniform_work_group_size: 1
    .uses_dynamic_stack: false
    .vgpr_count:     0
    .vgpr_spill_count: 0
    .wavefront_size: 64
  - .agpr_count:     0
    .args:
      - .offset:         0
        .size:           56
        .value_kind:     by_value
    .group_segment_fixed_size: 0
    .kernarg_segment_align: 8
    .kernarg_segment_size: 56
    .language:       OpenCL C
    .language_version:
      - 2
      - 0
    .max_flat_workgroup_size: 512
    .name:           _ZN7rocprim17ROCPRIM_400000_NS6detail17trampoline_kernelINS0_14default_configENS1_25transform_config_selectorIlLb0EEEZNS1_14transform_implILb0ES3_S5_NS0_18transform_iteratorINS0_17counting_iteratorImlEEZNS1_24adjacent_difference_implIS3_Lb1ELb0EPlSB_ZN2at6native12_GLOBAL__N_124unique_dim_cuda_templateIN3c104HalfEEESt5tupleIJNSC_6TensorESJ_SJ_EERKSJ_lbbbEUlllE1_EE10hipError_tPvRmT2_T3_mT4_P12ihipStream_tbEUlmE_lEESB_NS0_8identityIvEEEESO_SR_SS_mST_SV_bEUlT_E_NS1_11comp_targetILNS1_3genE9ELNS1_11target_archE1100ELNS1_3gpuE3ELNS1_3repE0EEENS1_30default_config_static_selectorELNS0_4arch9wavefront6targetE1EEEvT1_
    .private_segment_fixed_size: 0
    .sgpr_count:     6
    .sgpr_spill_count: 0
    .symbol:         _ZN7rocprim17ROCPRIM_400000_NS6detail17trampoline_kernelINS0_14default_configENS1_25transform_config_selectorIlLb0EEEZNS1_14transform_implILb0ES3_S5_NS0_18transform_iteratorINS0_17counting_iteratorImlEEZNS1_24adjacent_difference_implIS3_Lb1ELb0EPlSB_ZN2at6native12_GLOBAL__N_124unique_dim_cuda_templateIN3c104HalfEEESt5tupleIJNSC_6TensorESJ_SJ_EERKSJ_lbbbEUlllE1_EE10hipError_tPvRmT2_T3_mT4_P12ihipStream_tbEUlmE_lEESB_NS0_8identityIvEEEESO_SR_SS_mST_SV_bEUlT_E_NS1_11comp_targetILNS1_3genE9ELNS1_11target_archE1100ELNS1_3gpuE3ELNS1_3repE0EEENS1_30default_config_static_selectorELNS0_4arch9wavefront6targetE1EEEvT1_.kd
    .uniform_work_group_size: 1
    .uses_dynamic_stack: false
    .vgpr_count:     0
    .vgpr_spill_count: 0
    .wavefront_size: 64
  - .agpr_count:     0
    .args:
      - .offset:         0
        .size:           56
        .value_kind:     by_value
    .group_segment_fixed_size: 0
    .kernarg_segment_align: 8
    .kernarg_segment_size: 56
    .language:       OpenCL C
    .language_version:
      - 2
      - 0
    .max_flat_workgroup_size: 512
    .name:           _ZN7rocprim17ROCPRIM_400000_NS6detail17trampoline_kernelINS0_14default_configENS1_25transform_config_selectorIlLb0EEEZNS1_14transform_implILb0ES3_S5_NS0_18transform_iteratorINS0_17counting_iteratorImlEEZNS1_24adjacent_difference_implIS3_Lb1ELb0EPlSB_ZN2at6native12_GLOBAL__N_124unique_dim_cuda_templateIN3c104HalfEEESt5tupleIJNSC_6TensorESJ_SJ_EERKSJ_lbbbEUlllE1_EE10hipError_tPvRmT2_T3_mT4_P12ihipStream_tbEUlmE_lEESB_NS0_8identityIvEEEESO_SR_SS_mST_SV_bEUlT_E_NS1_11comp_targetILNS1_3genE8ELNS1_11target_archE1030ELNS1_3gpuE2ELNS1_3repE0EEENS1_30default_config_static_selectorELNS0_4arch9wavefront6targetE1EEEvT1_
    .private_segment_fixed_size: 0
    .sgpr_count:     6
    .sgpr_spill_count: 0
    .symbol:         _ZN7rocprim17ROCPRIM_400000_NS6detail17trampoline_kernelINS0_14default_configENS1_25transform_config_selectorIlLb0EEEZNS1_14transform_implILb0ES3_S5_NS0_18transform_iteratorINS0_17counting_iteratorImlEEZNS1_24adjacent_difference_implIS3_Lb1ELb0EPlSB_ZN2at6native12_GLOBAL__N_124unique_dim_cuda_templateIN3c104HalfEEESt5tupleIJNSC_6TensorESJ_SJ_EERKSJ_lbbbEUlllE1_EE10hipError_tPvRmT2_T3_mT4_P12ihipStream_tbEUlmE_lEESB_NS0_8identityIvEEEESO_SR_SS_mST_SV_bEUlT_E_NS1_11comp_targetILNS1_3genE8ELNS1_11target_archE1030ELNS1_3gpuE2ELNS1_3repE0EEENS1_30default_config_static_selectorELNS0_4arch9wavefront6targetE1EEEvT1_.kd
    .uniform_work_group_size: 1
    .uses_dynamic_stack: false
    .vgpr_count:     0
    .vgpr_spill_count: 0
    .wavefront_size: 64
  - .agpr_count:     0
    .args:
      - .offset:         0
        .size:           64
        .value_kind:     by_value
    .group_segment_fixed_size: 0
    .kernarg_segment_align: 8
    .kernarg_segment_size: 64
    .language:       OpenCL C
    .language_version:
      - 2
      - 0
    .max_flat_workgroup_size: 512
    .name:           _ZN7rocprim17ROCPRIM_400000_NS6detail17trampoline_kernelINS0_14default_configENS1_35adjacent_difference_config_selectorILb1ElEEZNS1_24adjacent_difference_implIS3_Lb1ELb0EPlS7_ZN2at6native12_GLOBAL__N_124unique_dim_cuda_templateIN3c104HalfEEESt5tupleIJNS8_6TensorESF_SF_EERKSF_lbbbEUlllE1_EE10hipError_tPvRmT2_T3_mT4_P12ihipStream_tbEUlT_E_NS1_11comp_targetILNS1_3genE0ELNS1_11target_archE4294967295ELNS1_3gpuE0ELNS1_3repE0EEENS1_30default_config_static_selectorELNS0_4arch9wavefront6targetE1EEEvT1_
    .private_segment_fixed_size: 0
    .sgpr_count:     6
    .sgpr_spill_count: 0
    .symbol:         _ZN7rocprim17ROCPRIM_400000_NS6detail17trampoline_kernelINS0_14default_configENS1_35adjacent_difference_config_selectorILb1ElEEZNS1_24adjacent_difference_implIS3_Lb1ELb0EPlS7_ZN2at6native12_GLOBAL__N_124unique_dim_cuda_templateIN3c104HalfEEESt5tupleIJNS8_6TensorESF_SF_EERKSF_lbbbEUlllE1_EE10hipError_tPvRmT2_T3_mT4_P12ihipStream_tbEUlT_E_NS1_11comp_targetILNS1_3genE0ELNS1_11target_archE4294967295ELNS1_3gpuE0ELNS1_3repE0EEENS1_30default_config_static_selectorELNS0_4arch9wavefront6targetE1EEEvT1_.kd
    .uniform_work_group_size: 1
    .uses_dynamic_stack: false
    .vgpr_count:     0
    .vgpr_spill_count: 0
    .wavefront_size: 64
  - .agpr_count:     0
    .args:
      - .offset:         0
        .size:           64
        .value_kind:     by_value
    .group_segment_fixed_size: 0
    .kernarg_segment_align: 8
    .kernarg_segment_size: 64
    .language:       OpenCL C
    .language_version:
      - 2
      - 0
    .max_flat_workgroup_size: 32
    .name:           _ZN7rocprim17ROCPRIM_400000_NS6detail17trampoline_kernelINS0_14default_configENS1_35adjacent_difference_config_selectorILb1ElEEZNS1_24adjacent_difference_implIS3_Lb1ELb0EPlS7_ZN2at6native12_GLOBAL__N_124unique_dim_cuda_templateIN3c104HalfEEESt5tupleIJNS8_6TensorESF_SF_EERKSF_lbbbEUlllE1_EE10hipError_tPvRmT2_T3_mT4_P12ihipStream_tbEUlT_E_NS1_11comp_targetILNS1_3genE10ELNS1_11target_archE1201ELNS1_3gpuE5ELNS1_3repE0EEENS1_30default_config_static_selectorELNS0_4arch9wavefront6targetE1EEEvT1_
    .private_segment_fixed_size: 0
    .sgpr_count:     6
    .sgpr_spill_count: 0
    .symbol:         _ZN7rocprim17ROCPRIM_400000_NS6detail17trampoline_kernelINS0_14default_configENS1_35adjacent_difference_config_selectorILb1ElEEZNS1_24adjacent_difference_implIS3_Lb1ELb0EPlS7_ZN2at6native12_GLOBAL__N_124unique_dim_cuda_templateIN3c104HalfEEESt5tupleIJNS8_6TensorESF_SF_EERKSF_lbbbEUlllE1_EE10hipError_tPvRmT2_T3_mT4_P12ihipStream_tbEUlT_E_NS1_11comp_targetILNS1_3genE10ELNS1_11target_archE1201ELNS1_3gpuE5ELNS1_3repE0EEENS1_30default_config_static_selectorELNS0_4arch9wavefront6targetE1EEEvT1_.kd
    .uniform_work_group_size: 1
    .uses_dynamic_stack: false
    .vgpr_count:     0
    .vgpr_spill_count: 0
    .wavefront_size: 64
  - .agpr_count:     0
    .args:
      - .offset:         0
        .size:           64
        .value_kind:     by_value
    .group_segment_fixed_size: 22528
    .kernarg_segment_align: 8
    .kernarg_segment_size: 64
    .language:       OpenCL C
    .language_version:
      - 2
      - 0
    .max_flat_workgroup_size: 256
    .name:           _ZN7rocprim17ROCPRIM_400000_NS6detail17trampoline_kernelINS0_14default_configENS1_35adjacent_difference_config_selectorILb1ElEEZNS1_24adjacent_difference_implIS3_Lb1ELb0EPlS7_ZN2at6native12_GLOBAL__N_124unique_dim_cuda_templateIN3c104HalfEEESt5tupleIJNS8_6TensorESF_SF_EERKSF_lbbbEUlllE1_EE10hipError_tPvRmT2_T3_mT4_P12ihipStream_tbEUlT_E_NS1_11comp_targetILNS1_3genE5ELNS1_11target_archE942ELNS1_3gpuE9ELNS1_3repE0EEENS1_30default_config_static_selectorELNS0_4arch9wavefront6targetE1EEEvT1_
    .private_segment_fixed_size: 0
    .sgpr_count:     44
    .sgpr_spill_count: 0
    .symbol:         _ZN7rocprim17ROCPRIM_400000_NS6detail17trampoline_kernelINS0_14default_configENS1_35adjacent_difference_config_selectorILb1ElEEZNS1_24adjacent_difference_implIS3_Lb1ELb0EPlS7_ZN2at6native12_GLOBAL__N_124unique_dim_cuda_templateIN3c104HalfEEESt5tupleIJNS8_6TensorESF_SF_EERKSF_lbbbEUlllE1_EE10hipError_tPvRmT2_T3_mT4_P12ihipStream_tbEUlT_E_NS1_11comp_targetILNS1_3genE5ELNS1_11target_archE942ELNS1_3gpuE9ELNS1_3repE0EEENS1_30default_config_static_selectorELNS0_4arch9wavefront6targetE1EEEvT1_.kd
    .uniform_work_group_size: 1
    .uses_dynamic_stack: false
    .vgpr_count:     70
    .vgpr_spill_count: 0
    .wavefront_size: 64
  - .agpr_count:     0
    .args:
      - .offset:         0
        .size:           64
        .value_kind:     by_value
    .group_segment_fixed_size: 0
    .kernarg_segment_align: 8
    .kernarg_segment_size: 64
    .language:       OpenCL C
    .language_version:
      - 2
      - 0
    .max_flat_workgroup_size: 512
    .name:           _ZN7rocprim17ROCPRIM_400000_NS6detail17trampoline_kernelINS0_14default_configENS1_35adjacent_difference_config_selectorILb1ElEEZNS1_24adjacent_difference_implIS3_Lb1ELb0EPlS7_ZN2at6native12_GLOBAL__N_124unique_dim_cuda_templateIN3c104HalfEEESt5tupleIJNS8_6TensorESF_SF_EERKSF_lbbbEUlllE1_EE10hipError_tPvRmT2_T3_mT4_P12ihipStream_tbEUlT_E_NS1_11comp_targetILNS1_3genE4ELNS1_11target_archE910ELNS1_3gpuE8ELNS1_3repE0EEENS1_30default_config_static_selectorELNS0_4arch9wavefront6targetE1EEEvT1_
    .private_segment_fixed_size: 0
    .sgpr_count:     6
    .sgpr_spill_count: 0
    .symbol:         _ZN7rocprim17ROCPRIM_400000_NS6detail17trampoline_kernelINS0_14default_configENS1_35adjacent_difference_config_selectorILb1ElEEZNS1_24adjacent_difference_implIS3_Lb1ELb0EPlS7_ZN2at6native12_GLOBAL__N_124unique_dim_cuda_templateIN3c104HalfEEESt5tupleIJNS8_6TensorESF_SF_EERKSF_lbbbEUlllE1_EE10hipError_tPvRmT2_T3_mT4_P12ihipStream_tbEUlT_E_NS1_11comp_targetILNS1_3genE4ELNS1_11target_archE910ELNS1_3gpuE8ELNS1_3repE0EEENS1_30default_config_static_selectorELNS0_4arch9wavefront6targetE1EEEvT1_.kd
    .uniform_work_group_size: 1
    .uses_dynamic_stack: false
    .vgpr_count:     0
    .vgpr_spill_count: 0
    .wavefront_size: 64
  - .agpr_count:     0
    .args:
      - .offset:         0
        .size:           64
        .value_kind:     by_value
    .group_segment_fixed_size: 0
    .kernarg_segment_align: 8
    .kernarg_segment_size: 64
    .language:       OpenCL C
    .language_version:
      - 2
      - 0
    .max_flat_workgroup_size: 512
    .name:           _ZN7rocprim17ROCPRIM_400000_NS6detail17trampoline_kernelINS0_14default_configENS1_35adjacent_difference_config_selectorILb1ElEEZNS1_24adjacent_difference_implIS3_Lb1ELb0EPlS7_ZN2at6native12_GLOBAL__N_124unique_dim_cuda_templateIN3c104HalfEEESt5tupleIJNS8_6TensorESF_SF_EERKSF_lbbbEUlllE1_EE10hipError_tPvRmT2_T3_mT4_P12ihipStream_tbEUlT_E_NS1_11comp_targetILNS1_3genE3ELNS1_11target_archE908ELNS1_3gpuE7ELNS1_3repE0EEENS1_30default_config_static_selectorELNS0_4arch9wavefront6targetE1EEEvT1_
    .private_segment_fixed_size: 0
    .sgpr_count:     6
    .sgpr_spill_count: 0
    .symbol:         _ZN7rocprim17ROCPRIM_400000_NS6detail17trampoline_kernelINS0_14default_configENS1_35adjacent_difference_config_selectorILb1ElEEZNS1_24adjacent_difference_implIS3_Lb1ELb0EPlS7_ZN2at6native12_GLOBAL__N_124unique_dim_cuda_templateIN3c104HalfEEESt5tupleIJNS8_6TensorESF_SF_EERKSF_lbbbEUlllE1_EE10hipError_tPvRmT2_T3_mT4_P12ihipStream_tbEUlT_E_NS1_11comp_targetILNS1_3genE3ELNS1_11target_archE908ELNS1_3gpuE7ELNS1_3repE0EEENS1_30default_config_static_selectorELNS0_4arch9wavefront6targetE1EEEvT1_.kd
    .uniform_work_group_size: 1
    .uses_dynamic_stack: false
    .vgpr_count:     0
    .vgpr_spill_count: 0
    .wavefront_size: 64
  - .agpr_count:     0
    .args:
      - .offset:         0
        .size:           64
        .value_kind:     by_value
    .group_segment_fixed_size: 0
    .kernarg_segment_align: 8
    .kernarg_segment_size: 64
    .language:       OpenCL C
    .language_version:
      - 2
      - 0
    .max_flat_workgroup_size: 128
    .name:           _ZN7rocprim17ROCPRIM_400000_NS6detail17trampoline_kernelINS0_14default_configENS1_35adjacent_difference_config_selectorILb1ElEEZNS1_24adjacent_difference_implIS3_Lb1ELb0EPlS7_ZN2at6native12_GLOBAL__N_124unique_dim_cuda_templateIN3c104HalfEEESt5tupleIJNS8_6TensorESF_SF_EERKSF_lbbbEUlllE1_EE10hipError_tPvRmT2_T3_mT4_P12ihipStream_tbEUlT_E_NS1_11comp_targetILNS1_3genE2ELNS1_11target_archE906ELNS1_3gpuE6ELNS1_3repE0EEENS1_30default_config_static_selectorELNS0_4arch9wavefront6targetE1EEEvT1_
    .private_segment_fixed_size: 0
    .sgpr_count:     6
    .sgpr_spill_count: 0
    .symbol:         _ZN7rocprim17ROCPRIM_400000_NS6detail17trampoline_kernelINS0_14default_configENS1_35adjacent_difference_config_selectorILb1ElEEZNS1_24adjacent_difference_implIS3_Lb1ELb0EPlS7_ZN2at6native12_GLOBAL__N_124unique_dim_cuda_templateIN3c104HalfEEESt5tupleIJNS8_6TensorESF_SF_EERKSF_lbbbEUlllE1_EE10hipError_tPvRmT2_T3_mT4_P12ihipStream_tbEUlT_E_NS1_11comp_targetILNS1_3genE2ELNS1_11target_archE906ELNS1_3gpuE6ELNS1_3repE0EEENS1_30default_config_static_selectorELNS0_4arch9wavefront6targetE1EEEvT1_.kd
    .uniform_work_group_size: 1
    .uses_dynamic_stack: false
    .vgpr_count:     0
    .vgpr_spill_count: 0
    .wavefront_size: 64
  - .agpr_count:     0
    .args:
      - .offset:         0
        .size:           64
        .value_kind:     by_value
    .group_segment_fixed_size: 0
    .kernarg_segment_align: 8
    .kernarg_segment_size: 64
    .language:       OpenCL C
    .language_version:
      - 2
      - 0
    .max_flat_workgroup_size: 128
    .name:           _ZN7rocprim17ROCPRIM_400000_NS6detail17trampoline_kernelINS0_14default_configENS1_35adjacent_difference_config_selectorILb1ElEEZNS1_24adjacent_difference_implIS3_Lb1ELb0EPlS7_ZN2at6native12_GLOBAL__N_124unique_dim_cuda_templateIN3c104HalfEEESt5tupleIJNS8_6TensorESF_SF_EERKSF_lbbbEUlllE1_EE10hipError_tPvRmT2_T3_mT4_P12ihipStream_tbEUlT_E_NS1_11comp_targetILNS1_3genE9ELNS1_11target_archE1100ELNS1_3gpuE3ELNS1_3repE0EEENS1_30default_config_static_selectorELNS0_4arch9wavefront6targetE1EEEvT1_
    .private_segment_fixed_size: 0
    .sgpr_count:     6
    .sgpr_spill_count: 0
    .symbol:         _ZN7rocprim17ROCPRIM_400000_NS6detail17trampoline_kernelINS0_14default_configENS1_35adjacent_difference_config_selectorILb1ElEEZNS1_24adjacent_difference_implIS3_Lb1ELb0EPlS7_ZN2at6native12_GLOBAL__N_124unique_dim_cuda_templateIN3c104HalfEEESt5tupleIJNS8_6TensorESF_SF_EERKSF_lbbbEUlllE1_EE10hipError_tPvRmT2_T3_mT4_P12ihipStream_tbEUlT_E_NS1_11comp_targetILNS1_3genE9ELNS1_11target_archE1100ELNS1_3gpuE3ELNS1_3repE0EEENS1_30default_config_static_selectorELNS0_4arch9wavefront6targetE1EEEvT1_.kd
    .uniform_work_group_size: 1
    .uses_dynamic_stack: false
    .vgpr_count:     0
    .vgpr_spill_count: 0
    .wavefront_size: 64
  - .agpr_count:     0
    .args:
      - .offset:         0
        .size:           64
        .value_kind:     by_value
    .group_segment_fixed_size: 0
    .kernarg_segment_align: 8
    .kernarg_segment_size: 64
    .language:       OpenCL C
    .language_version:
      - 2
      - 0
    .max_flat_workgroup_size: 32
    .name:           _ZN7rocprim17ROCPRIM_400000_NS6detail17trampoline_kernelINS0_14default_configENS1_35adjacent_difference_config_selectorILb1ElEEZNS1_24adjacent_difference_implIS3_Lb1ELb0EPlS7_ZN2at6native12_GLOBAL__N_124unique_dim_cuda_templateIN3c104HalfEEESt5tupleIJNS8_6TensorESF_SF_EERKSF_lbbbEUlllE1_EE10hipError_tPvRmT2_T3_mT4_P12ihipStream_tbEUlT_E_NS1_11comp_targetILNS1_3genE8ELNS1_11target_archE1030ELNS1_3gpuE2ELNS1_3repE0EEENS1_30default_config_static_selectorELNS0_4arch9wavefront6targetE1EEEvT1_
    .private_segment_fixed_size: 0
    .sgpr_count:     6
    .sgpr_spill_count: 0
    .symbol:         _ZN7rocprim17ROCPRIM_400000_NS6detail17trampoline_kernelINS0_14default_configENS1_35adjacent_difference_config_selectorILb1ElEEZNS1_24adjacent_difference_implIS3_Lb1ELb0EPlS7_ZN2at6native12_GLOBAL__N_124unique_dim_cuda_templateIN3c104HalfEEESt5tupleIJNS8_6TensorESF_SF_EERKSF_lbbbEUlllE1_EE10hipError_tPvRmT2_T3_mT4_P12ihipStream_tbEUlT_E_NS1_11comp_targetILNS1_3genE8ELNS1_11target_archE1030ELNS1_3gpuE2ELNS1_3repE0EEENS1_30default_config_static_selectorELNS0_4arch9wavefront6targetE1EEEvT1_.kd
    .uniform_work_group_size: 1
    .uses_dynamic_stack: false
    .vgpr_count:     0
    .vgpr_spill_count: 0
    .wavefront_size: 64
  - .agpr_count:     0
    .args:
      - .offset:         0
        .size:           120
        .value_kind:     by_value
    .group_segment_fixed_size: 0
    .kernarg_segment_align: 8
    .kernarg_segment_size: 120
    .language:       OpenCL C
    .language_version:
      - 2
      - 0
    .max_flat_workgroup_size: 512
    .name:           _ZN7rocprim17ROCPRIM_400000_NS6detail17trampoline_kernelINS0_14default_configENS1_25partition_config_selectorILNS1_17partition_subalgoE8ElNS0_10empty_typeEbEEZZNS1_14partition_implILS5_8ELb0ES3_jPlPS6_PKS6_NS0_5tupleIJS9_S6_EEENSD_IJSA_SA_EEENS0_18inequality_wrapperIZN2at6native12_GLOBAL__N_124unique_dim_cuda_templateIN3c104HalfEEESt5tupleIJNSH_6TensorESO_SO_EERKSO_lbbbEUlllE0_EEPmJS6_EEE10hipError_tPvRmT3_T4_T5_T6_T7_T9_mT8_P12ihipStream_tbDpT10_ENKUlT_T0_E_clISt17integral_constantIbLb0EES1E_EEDaS19_S1A_EUlS19_E_NS1_11comp_targetILNS1_3genE0ELNS1_11target_archE4294967295ELNS1_3gpuE0ELNS1_3repE0EEENS1_30default_config_static_selectorELNS0_4arch9wavefront6targetE1EEEvT1_
    .private_segment_fixed_size: 0
    .sgpr_count:     6
    .sgpr_spill_count: 0
    .symbol:         _ZN7rocprim17ROCPRIM_400000_NS6detail17trampoline_kernelINS0_14default_configENS1_25partition_config_selectorILNS1_17partition_subalgoE8ElNS0_10empty_typeEbEEZZNS1_14partition_implILS5_8ELb0ES3_jPlPS6_PKS6_NS0_5tupleIJS9_S6_EEENSD_IJSA_SA_EEENS0_18inequality_wrapperIZN2at6native12_GLOBAL__N_124unique_dim_cuda_templateIN3c104HalfEEESt5tupleIJNSH_6TensorESO_SO_EERKSO_lbbbEUlllE0_EEPmJS6_EEE10hipError_tPvRmT3_T4_T5_T6_T7_T9_mT8_P12ihipStream_tbDpT10_ENKUlT_T0_E_clISt17integral_constantIbLb0EES1E_EEDaS19_S1A_EUlS19_E_NS1_11comp_targetILNS1_3genE0ELNS1_11target_archE4294967295ELNS1_3gpuE0ELNS1_3repE0EEENS1_30default_config_static_selectorELNS0_4arch9wavefront6targetE1EEEvT1_.kd
    .uniform_work_group_size: 1
    .uses_dynamic_stack: false
    .vgpr_count:     0
    .vgpr_spill_count: 0
    .wavefront_size: 64
  - .agpr_count:     0
    .args:
      - .offset:         0
        .size:           120
        .value_kind:     by_value
    .group_segment_fixed_size: 28684
    .kernarg_segment_align: 8
    .kernarg_segment_size: 120
    .language:       OpenCL C
    .language_version:
      - 2
      - 0
    .max_flat_workgroup_size: 512
    .name:           _ZN7rocprim17ROCPRIM_400000_NS6detail17trampoline_kernelINS0_14default_configENS1_25partition_config_selectorILNS1_17partition_subalgoE8ElNS0_10empty_typeEbEEZZNS1_14partition_implILS5_8ELb0ES3_jPlPS6_PKS6_NS0_5tupleIJS9_S6_EEENSD_IJSA_SA_EEENS0_18inequality_wrapperIZN2at6native12_GLOBAL__N_124unique_dim_cuda_templateIN3c104HalfEEESt5tupleIJNSH_6TensorESO_SO_EERKSO_lbbbEUlllE0_EEPmJS6_EEE10hipError_tPvRmT3_T4_T5_T6_T7_T9_mT8_P12ihipStream_tbDpT10_ENKUlT_T0_E_clISt17integral_constantIbLb0EES1E_EEDaS19_S1A_EUlS19_E_NS1_11comp_targetILNS1_3genE5ELNS1_11target_archE942ELNS1_3gpuE9ELNS1_3repE0EEENS1_30default_config_static_selectorELNS0_4arch9wavefront6targetE1EEEvT1_
    .private_segment_fixed_size: 0
    .sgpr_count:     58
    .sgpr_spill_count: 0
    .symbol:         _ZN7rocprim17ROCPRIM_400000_NS6detail17trampoline_kernelINS0_14default_configENS1_25partition_config_selectorILNS1_17partition_subalgoE8ElNS0_10empty_typeEbEEZZNS1_14partition_implILS5_8ELb0ES3_jPlPS6_PKS6_NS0_5tupleIJS9_S6_EEENSD_IJSA_SA_EEENS0_18inequality_wrapperIZN2at6native12_GLOBAL__N_124unique_dim_cuda_templateIN3c104HalfEEESt5tupleIJNSH_6TensorESO_SO_EERKSO_lbbbEUlllE0_EEPmJS6_EEE10hipError_tPvRmT3_T4_T5_T6_T7_T9_mT8_P12ihipStream_tbDpT10_ENKUlT_T0_E_clISt17integral_constantIbLb0EES1E_EEDaS19_S1A_EUlS19_E_NS1_11comp_targetILNS1_3genE5ELNS1_11target_archE942ELNS1_3gpuE9ELNS1_3repE0EEENS1_30default_config_static_selectorELNS0_4arch9wavefront6targetE1EEEvT1_.kd
    .uniform_work_group_size: 1
    .uses_dynamic_stack: false
    .vgpr_count:     52
    .vgpr_spill_count: 0
    .wavefront_size: 64
  - .agpr_count:     0
    .args:
      - .offset:         0
        .size:           120
        .value_kind:     by_value
    .group_segment_fixed_size: 0
    .kernarg_segment_align: 8
    .kernarg_segment_size: 120
    .language:       OpenCL C
    .language_version:
      - 2
      - 0
    .max_flat_workgroup_size: 256
    .name:           _ZN7rocprim17ROCPRIM_400000_NS6detail17trampoline_kernelINS0_14default_configENS1_25partition_config_selectorILNS1_17partition_subalgoE8ElNS0_10empty_typeEbEEZZNS1_14partition_implILS5_8ELb0ES3_jPlPS6_PKS6_NS0_5tupleIJS9_S6_EEENSD_IJSA_SA_EEENS0_18inequality_wrapperIZN2at6native12_GLOBAL__N_124unique_dim_cuda_templateIN3c104HalfEEESt5tupleIJNSH_6TensorESO_SO_EERKSO_lbbbEUlllE0_EEPmJS6_EEE10hipError_tPvRmT3_T4_T5_T6_T7_T9_mT8_P12ihipStream_tbDpT10_ENKUlT_T0_E_clISt17integral_constantIbLb0EES1E_EEDaS19_S1A_EUlS19_E_NS1_11comp_targetILNS1_3genE4ELNS1_11target_archE910ELNS1_3gpuE8ELNS1_3repE0EEENS1_30default_config_static_selectorELNS0_4arch9wavefront6targetE1EEEvT1_
    .private_segment_fixed_size: 0
    .sgpr_count:     6
    .sgpr_spill_count: 0
    .symbol:         _ZN7rocprim17ROCPRIM_400000_NS6detail17trampoline_kernelINS0_14default_configENS1_25partition_config_selectorILNS1_17partition_subalgoE8ElNS0_10empty_typeEbEEZZNS1_14partition_implILS5_8ELb0ES3_jPlPS6_PKS6_NS0_5tupleIJS9_S6_EEENSD_IJSA_SA_EEENS0_18inequality_wrapperIZN2at6native12_GLOBAL__N_124unique_dim_cuda_templateIN3c104HalfEEESt5tupleIJNSH_6TensorESO_SO_EERKSO_lbbbEUlllE0_EEPmJS6_EEE10hipError_tPvRmT3_T4_T5_T6_T7_T9_mT8_P12ihipStream_tbDpT10_ENKUlT_T0_E_clISt17integral_constantIbLb0EES1E_EEDaS19_S1A_EUlS19_E_NS1_11comp_targetILNS1_3genE4ELNS1_11target_archE910ELNS1_3gpuE8ELNS1_3repE0EEENS1_30default_config_static_selectorELNS0_4arch9wavefront6targetE1EEEvT1_.kd
    .uniform_work_group_size: 1
    .uses_dynamic_stack: false
    .vgpr_count:     0
    .vgpr_spill_count: 0
    .wavefront_size: 64
  - .agpr_count:     0
    .args:
      - .offset:         0
        .size:           120
        .value_kind:     by_value
    .group_segment_fixed_size: 0
    .kernarg_segment_align: 8
    .kernarg_segment_size: 120
    .language:       OpenCL C
    .language_version:
      - 2
      - 0
    .max_flat_workgroup_size: 512
    .name:           _ZN7rocprim17ROCPRIM_400000_NS6detail17trampoline_kernelINS0_14default_configENS1_25partition_config_selectorILNS1_17partition_subalgoE8ElNS0_10empty_typeEbEEZZNS1_14partition_implILS5_8ELb0ES3_jPlPS6_PKS6_NS0_5tupleIJS9_S6_EEENSD_IJSA_SA_EEENS0_18inequality_wrapperIZN2at6native12_GLOBAL__N_124unique_dim_cuda_templateIN3c104HalfEEESt5tupleIJNSH_6TensorESO_SO_EERKSO_lbbbEUlllE0_EEPmJS6_EEE10hipError_tPvRmT3_T4_T5_T6_T7_T9_mT8_P12ihipStream_tbDpT10_ENKUlT_T0_E_clISt17integral_constantIbLb0EES1E_EEDaS19_S1A_EUlS19_E_NS1_11comp_targetILNS1_3genE3ELNS1_11target_archE908ELNS1_3gpuE7ELNS1_3repE0EEENS1_30default_config_static_selectorELNS0_4arch9wavefront6targetE1EEEvT1_
    .private_segment_fixed_size: 0
    .sgpr_count:     6
    .sgpr_spill_count: 0
    .symbol:         _ZN7rocprim17ROCPRIM_400000_NS6detail17trampoline_kernelINS0_14default_configENS1_25partition_config_selectorILNS1_17partition_subalgoE8ElNS0_10empty_typeEbEEZZNS1_14partition_implILS5_8ELb0ES3_jPlPS6_PKS6_NS0_5tupleIJS9_S6_EEENSD_IJSA_SA_EEENS0_18inequality_wrapperIZN2at6native12_GLOBAL__N_124unique_dim_cuda_templateIN3c104HalfEEESt5tupleIJNSH_6TensorESO_SO_EERKSO_lbbbEUlllE0_EEPmJS6_EEE10hipError_tPvRmT3_T4_T5_T6_T7_T9_mT8_P12ihipStream_tbDpT10_ENKUlT_T0_E_clISt17integral_constantIbLb0EES1E_EEDaS19_S1A_EUlS19_E_NS1_11comp_targetILNS1_3genE3ELNS1_11target_archE908ELNS1_3gpuE7ELNS1_3repE0EEENS1_30default_config_static_selectorELNS0_4arch9wavefront6targetE1EEEvT1_.kd
    .uniform_work_group_size: 1
    .uses_dynamic_stack: false
    .vgpr_count:     0
    .vgpr_spill_count: 0
    .wavefront_size: 64
  - .agpr_count:     0
    .args:
      - .offset:         0
        .size:           120
        .value_kind:     by_value
    .group_segment_fixed_size: 0
    .kernarg_segment_align: 8
    .kernarg_segment_size: 120
    .language:       OpenCL C
    .language_version:
      - 2
      - 0
    .max_flat_workgroup_size: 256
    .name:           _ZN7rocprim17ROCPRIM_400000_NS6detail17trampoline_kernelINS0_14default_configENS1_25partition_config_selectorILNS1_17partition_subalgoE8ElNS0_10empty_typeEbEEZZNS1_14partition_implILS5_8ELb0ES3_jPlPS6_PKS6_NS0_5tupleIJS9_S6_EEENSD_IJSA_SA_EEENS0_18inequality_wrapperIZN2at6native12_GLOBAL__N_124unique_dim_cuda_templateIN3c104HalfEEESt5tupleIJNSH_6TensorESO_SO_EERKSO_lbbbEUlllE0_EEPmJS6_EEE10hipError_tPvRmT3_T4_T5_T6_T7_T9_mT8_P12ihipStream_tbDpT10_ENKUlT_T0_E_clISt17integral_constantIbLb0EES1E_EEDaS19_S1A_EUlS19_E_NS1_11comp_targetILNS1_3genE2ELNS1_11target_archE906ELNS1_3gpuE6ELNS1_3repE0EEENS1_30default_config_static_selectorELNS0_4arch9wavefront6targetE1EEEvT1_
    .private_segment_fixed_size: 0
    .sgpr_count:     6
    .sgpr_spill_count: 0
    .symbol:         _ZN7rocprim17ROCPRIM_400000_NS6detail17trampoline_kernelINS0_14default_configENS1_25partition_config_selectorILNS1_17partition_subalgoE8ElNS0_10empty_typeEbEEZZNS1_14partition_implILS5_8ELb0ES3_jPlPS6_PKS6_NS0_5tupleIJS9_S6_EEENSD_IJSA_SA_EEENS0_18inequality_wrapperIZN2at6native12_GLOBAL__N_124unique_dim_cuda_templateIN3c104HalfEEESt5tupleIJNSH_6TensorESO_SO_EERKSO_lbbbEUlllE0_EEPmJS6_EEE10hipError_tPvRmT3_T4_T5_T6_T7_T9_mT8_P12ihipStream_tbDpT10_ENKUlT_T0_E_clISt17integral_constantIbLb0EES1E_EEDaS19_S1A_EUlS19_E_NS1_11comp_targetILNS1_3genE2ELNS1_11target_archE906ELNS1_3gpuE6ELNS1_3repE0EEENS1_30default_config_static_selectorELNS0_4arch9wavefront6targetE1EEEvT1_.kd
    .uniform_work_group_size: 1
    .uses_dynamic_stack: false
    .vgpr_count:     0
    .vgpr_spill_count: 0
    .wavefront_size: 64
  - .agpr_count:     0
    .args:
      - .offset:         0
        .size:           120
        .value_kind:     by_value
    .group_segment_fixed_size: 0
    .kernarg_segment_align: 8
    .kernarg_segment_size: 120
    .language:       OpenCL C
    .language_version:
      - 2
      - 0
    .max_flat_workgroup_size: 384
    .name:           _ZN7rocprim17ROCPRIM_400000_NS6detail17trampoline_kernelINS0_14default_configENS1_25partition_config_selectorILNS1_17partition_subalgoE8ElNS0_10empty_typeEbEEZZNS1_14partition_implILS5_8ELb0ES3_jPlPS6_PKS6_NS0_5tupleIJS9_S6_EEENSD_IJSA_SA_EEENS0_18inequality_wrapperIZN2at6native12_GLOBAL__N_124unique_dim_cuda_templateIN3c104HalfEEESt5tupleIJNSH_6TensorESO_SO_EERKSO_lbbbEUlllE0_EEPmJS6_EEE10hipError_tPvRmT3_T4_T5_T6_T7_T9_mT8_P12ihipStream_tbDpT10_ENKUlT_T0_E_clISt17integral_constantIbLb0EES1E_EEDaS19_S1A_EUlS19_E_NS1_11comp_targetILNS1_3genE10ELNS1_11target_archE1200ELNS1_3gpuE4ELNS1_3repE0EEENS1_30default_config_static_selectorELNS0_4arch9wavefront6targetE1EEEvT1_
    .private_segment_fixed_size: 0
    .sgpr_count:     6
    .sgpr_spill_count: 0
    .symbol:         _ZN7rocprim17ROCPRIM_400000_NS6detail17trampoline_kernelINS0_14default_configENS1_25partition_config_selectorILNS1_17partition_subalgoE8ElNS0_10empty_typeEbEEZZNS1_14partition_implILS5_8ELb0ES3_jPlPS6_PKS6_NS0_5tupleIJS9_S6_EEENSD_IJSA_SA_EEENS0_18inequality_wrapperIZN2at6native12_GLOBAL__N_124unique_dim_cuda_templateIN3c104HalfEEESt5tupleIJNSH_6TensorESO_SO_EERKSO_lbbbEUlllE0_EEPmJS6_EEE10hipError_tPvRmT3_T4_T5_T6_T7_T9_mT8_P12ihipStream_tbDpT10_ENKUlT_T0_E_clISt17integral_constantIbLb0EES1E_EEDaS19_S1A_EUlS19_E_NS1_11comp_targetILNS1_3genE10ELNS1_11target_archE1200ELNS1_3gpuE4ELNS1_3repE0EEENS1_30default_config_static_selectorELNS0_4arch9wavefront6targetE1EEEvT1_.kd
    .uniform_work_group_size: 1
    .uses_dynamic_stack: false
    .vgpr_count:     0
    .vgpr_spill_count: 0
    .wavefront_size: 64
  - .agpr_count:     0
    .args:
      - .offset:         0
        .size:           120
        .value_kind:     by_value
    .group_segment_fixed_size: 0
    .kernarg_segment_align: 8
    .kernarg_segment_size: 120
    .language:       OpenCL C
    .language_version:
      - 2
      - 0
    .max_flat_workgroup_size: 512
    .name:           _ZN7rocprim17ROCPRIM_400000_NS6detail17trampoline_kernelINS0_14default_configENS1_25partition_config_selectorILNS1_17partition_subalgoE8ElNS0_10empty_typeEbEEZZNS1_14partition_implILS5_8ELb0ES3_jPlPS6_PKS6_NS0_5tupleIJS9_S6_EEENSD_IJSA_SA_EEENS0_18inequality_wrapperIZN2at6native12_GLOBAL__N_124unique_dim_cuda_templateIN3c104HalfEEESt5tupleIJNSH_6TensorESO_SO_EERKSO_lbbbEUlllE0_EEPmJS6_EEE10hipError_tPvRmT3_T4_T5_T6_T7_T9_mT8_P12ihipStream_tbDpT10_ENKUlT_T0_E_clISt17integral_constantIbLb0EES1E_EEDaS19_S1A_EUlS19_E_NS1_11comp_targetILNS1_3genE9ELNS1_11target_archE1100ELNS1_3gpuE3ELNS1_3repE0EEENS1_30default_config_static_selectorELNS0_4arch9wavefront6targetE1EEEvT1_
    .private_segment_fixed_size: 0
    .sgpr_count:     6
    .sgpr_spill_count: 0
    .symbol:         _ZN7rocprim17ROCPRIM_400000_NS6detail17trampoline_kernelINS0_14default_configENS1_25partition_config_selectorILNS1_17partition_subalgoE8ElNS0_10empty_typeEbEEZZNS1_14partition_implILS5_8ELb0ES3_jPlPS6_PKS6_NS0_5tupleIJS9_S6_EEENSD_IJSA_SA_EEENS0_18inequality_wrapperIZN2at6native12_GLOBAL__N_124unique_dim_cuda_templateIN3c104HalfEEESt5tupleIJNSH_6TensorESO_SO_EERKSO_lbbbEUlllE0_EEPmJS6_EEE10hipError_tPvRmT3_T4_T5_T6_T7_T9_mT8_P12ihipStream_tbDpT10_ENKUlT_T0_E_clISt17integral_constantIbLb0EES1E_EEDaS19_S1A_EUlS19_E_NS1_11comp_targetILNS1_3genE9ELNS1_11target_archE1100ELNS1_3gpuE3ELNS1_3repE0EEENS1_30default_config_static_selectorELNS0_4arch9wavefront6targetE1EEEvT1_.kd
    .uniform_work_group_size: 1
    .uses_dynamic_stack: false
    .vgpr_count:     0
    .vgpr_spill_count: 0
    .wavefront_size: 64
  - .agpr_count:     0
    .args:
      - .offset:         0
        .size:           120
        .value_kind:     by_value
    .group_segment_fixed_size: 0
    .kernarg_segment_align: 8
    .kernarg_segment_size: 120
    .language:       OpenCL C
    .language_version:
      - 2
      - 0
    .max_flat_workgroup_size: 512
    .name:           _ZN7rocprim17ROCPRIM_400000_NS6detail17trampoline_kernelINS0_14default_configENS1_25partition_config_selectorILNS1_17partition_subalgoE8ElNS0_10empty_typeEbEEZZNS1_14partition_implILS5_8ELb0ES3_jPlPS6_PKS6_NS0_5tupleIJS9_S6_EEENSD_IJSA_SA_EEENS0_18inequality_wrapperIZN2at6native12_GLOBAL__N_124unique_dim_cuda_templateIN3c104HalfEEESt5tupleIJNSH_6TensorESO_SO_EERKSO_lbbbEUlllE0_EEPmJS6_EEE10hipError_tPvRmT3_T4_T5_T6_T7_T9_mT8_P12ihipStream_tbDpT10_ENKUlT_T0_E_clISt17integral_constantIbLb0EES1E_EEDaS19_S1A_EUlS19_E_NS1_11comp_targetILNS1_3genE8ELNS1_11target_archE1030ELNS1_3gpuE2ELNS1_3repE0EEENS1_30default_config_static_selectorELNS0_4arch9wavefront6targetE1EEEvT1_
    .private_segment_fixed_size: 0
    .sgpr_count:     6
    .sgpr_spill_count: 0
    .symbol:         _ZN7rocprim17ROCPRIM_400000_NS6detail17trampoline_kernelINS0_14default_configENS1_25partition_config_selectorILNS1_17partition_subalgoE8ElNS0_10empty_typeEbEEZZNS1_14partition_implILS5_8ELb0ES3_jPlPS6_PKS6_NS0_5tupleIJS9_S6_EEENSD_IJSA_SA_EEENS0_18inequality_wrapperIZN2at6native12_GLOBAL__N_124unique_dim_cuda_templateIN3c104HalfEEESt5tupleIJNSH_6TensorESO_SO_EERKSO_lbbbEUlllE0_EEPmJS6_EEE10hipError_tPvRmT3_T4_T5_T6_T7_T9_mT8_P12ihipStream_tbDpT10_ENKUlT_T0_E_clISt17integral_constantIbLb0EES1E_EEDaS19_S1A_EUlS19_E_NS1_11comp_targetILNS1_3genE8ELNS1_11target_archE1030ELNS1_3gpuE2ELNS1_3repE0EEENS1_30default_config_static_selectorELNS0_4arch9wavefront6targetE1EEEvT1_.kd
    .uniform_work_group_size: 1
    .uses_dynamic_stack: false
    .vgpr_count:     0
    .vgpr_spill_count: 0
    .wavefront_size: 64
  - .agpr_count:     0
    .args:
      - .offset:         0
        .size:           136
        .value_kind:     by_value
    .group_segment_fixed_size: 0
    .kernarg_segment_align: 8
    .kernarg_segment_size: 136
    .language:       OpenCL C
    .language_version:
      - 2
      - 0
    .max_flat_workgroup_size: 512
    .name:           _ZN7rocprim17ROCPRIM_400000_NS6detail17trampoline_kernelINS0_14default_configENS1_25partition_config_selectorILNS1_17partition_subalgoE8ElNS0_10empty_typeEbEEZZNS1_14partition_implILS5_8ELb0ES3_jPlPS6_PKS6_NS0_5tupleIJS9_S6_EEENSD_IJSA_SA_EEENS0_18inequality_wrapperIZN2at6native12_GLOBAL__N_124unique_dim_cuda_templateIN3c104HalfEEESt5tupleIJNSH_6TensorESO_SO_EERKSO_lbbbEUlllE0_EEPmJS6_EEE10hipError_tPvRmT3_T4_T5_T6_T7_T9_mT8_P12ihipStream_tbDpT10_ENKUlT_T0_E_clISt17integral_constantIbLb1EES1E_EEDaS19_S1A_EUlS19_E_NS1_11comp_targetILNS1_3genE0ELNS1_11target_archE4294967295ELNS1_3gpuE0ELNS1_3repE0EEENS1_30default_config_static_selectorELNS0_4arch9wavefront6targetE1EEEvT1_
    .private_segment_fixed_size: 0
    .sgpr_count:     6
    .sgpr_spill_count: 0
    .symbol:         _ZN7rocprim17ROCPRIM_400000_NS6detail17trampoline_kernelINS0_14default_configENS1_25partition_config_selectorILNS1_17partition_subalgoE8ElNS0_10empty_typeEbEEZZNS1_14partition_implILS5_8ELb0ES3_jPlPS6_PKS6_NS0_5tupleIJS9_S6_EEENSD_IJSA_SA_EEENS0_18inequality_wrapperIZN2at6native12_GLOBAL__N_124unique_dim_cuda_templateIN3c104HalfEEESt5tupleIJNSH_6TensorESO_SO_EERKSO_lbbbEUlllE0_EEPmJS6_EEE10hipError_tPvRmT3_T4_T5_T6_T7_T9_mT8_P12ihipStream_tbDpT10_ENKUlT_T0_E_clISt17integral_constantIbLb1EES1E_EEDaS19_S1A_EUlS19_E_NS1_11comp_targetILNS1_3genE0ELNS1_11target_archE4294967295ELNS1_3gpuE0ELNS1_3repE0EEENS1_30default_config_static_selectorELNS0_4arch9wavefront6targetE1EEEvT1_.kd
    .uniform_work_group_size: 1
    .uses_dynamic_stack: false
    .vgpr_count:     0
    .vgpr_spill_count: 0
    .wavefront_size: 64
  - .agpr_count:     0
    .args:
      - .offset:         0
        .size:           136
        .value_kind:     by_value
    .group_segment_fixed_size: 28684
    .kernarg_segment_align: 8
    .kernarg_segment_size: 136
    .language:       OpenCL C
    .language_version:
      - 2
      - 0
    .max_flat_workgroup_size: 512
    .name:           _ZN7rocprim17ROCPRIM_400000_NS6detail17trampoline_kernelINS0_14default_configENS1_25partition_config_selectorILNS1_17partition_subalgoE8ElNS0_10empty_typeEbEEZZNS1_14partition_implILS5_8ELb0ES3_jPlPS6_PKS6_NS0_5tupleIJS9_S6_EEENSD_IJSA_SA_EEENS0_18inequality_wrapperIZN2at6native12_GLOBAL__N_124unique_dim_cuda_templateIN3c104HalfEEESt5tupleIJNSH_6TensorESO_SO_EERKSO_lbbbEUlllE0_EEPmJS6_EEE10hipError_tPvRmT3_T4_T5_T6_T7_T9_mT8_P12ihipStream_tbDpT10_ENKUlT_T0_E_clISt17integral_constantIbLb1EES1E_EEDaS19_S1A_EUlS19_E_NS1_11comp_targetILNS1_3genE5ELNS1_11target_archE942ELNS1_3gpuE9ELNS1_3repE0EEENS1_30default_config_static_selectorELNS0_4arch9wavefront6targetE1EEEvT1_
    .private_segment_fixed_size: 0
    .sgpr_count:     62
    .sgpr_spill_count: 0
    .symbol:         _ZN7rocprim17ROCPRIM_400000_NS6detail17trampoline_kernelINS0_14default_configENS1_25partition_config_selectorILNS1_17partition_subalgoE8ElNS0_10empty_typeEbEEZZNS1_14partition_implILS5_8ELb0ES3_jPlPS6_PKS6_NS0_5tupleIJS9_S6_EEENSD_IJSA_SA_EEENS0_18inequality_wrapperIZN2at6native12_GLOBAL__N_124unique_dim_cuda_templateIN3c104HalfEEESt5tupleIJNSH_6TensorESO_SO_EERKSO_lbbbEUlllE0_EEPmJS6_EEE10hipError_tPvRmT3_T4_T5_T6_T7_T9_mT8_P12ihipStream_tbDpT10_ENKUlT_T0_E_clISt17integral_constantIbLb1EES1E_EEDaS19_S1A_EUlS19_E_NS1_11comp_targetILNS1_3genE5ELNS1_11target_archE942ELNS1_3gpuE9ELNS1_3repE0EEENS1_30default_config_static_selectorELNS0_4arch9wavefront6targetE1EEEvT1_.kd
    .uniform_work_group_size: 1
    .uses_dynamic_stack: false
    .vgpr_count:     52
    .vgpr_spill_count: 0
    .wavefront_size: 64
  - .agpr_count:     0
    .args:
      - .offset:         0
        .size:           136
        .value_kind:     by_value
    .group_segment_fixed_size: 0
    .kernarg_segment_align: 8
    .kernarg_segment_size: 136
    .language:       OpenCL C
    .language_version:
      - 2
      - 0
    .max_flat_workgroup_size: 256
    .name:           _ZN7rocprim17ROCPRIM_400000_NS6detail17trampoline_kernelINS0_14default_configENS1_25partition_config_selectorILNS1_17partition_subalgoE8ElNS0_10empty_typeEbEEZZNS1_14partition_implILS5_8ELb0ES3_jPlPS6_PKS6_NS0_5tupleIJS9_S6_EEENSD_IJSA_SA_EEENS0_18inequality_wrapperIZN2at6native12_GLOBAL__N_124unique_dim_cuda_templateIN3c104HalfEEESt5tupleIJNSH_6TensorESO_SO_EERKSO_lbbbEUlllE0_EEPmJS6_EEE10hipError_tPvRmT3_T4_T5_T6_T7_T9_mT8_P12ihipStream_tbDpT10_ENKUlT_T0_E_clISt17integral_constantIbLb1EES1E_EEDaS19_S1A_EUlS19_E_NS1_11comp_targetILNS1_3genE4ELNS1_11target_archE910ELNS1_3gpuE8ELNS1_3repE0EEENS1_30default_config_static_selectorELNS0_4arch9wavefront6targetE1EEEvT1_
    .private_segment_fixed_size: 0
    .sgpr_count:     6
    .sgpr_spill_count: 0
    .symbol:         _ZN7rocprim17ROCPRIM_400000_NS6detail17trampoline_kernelINS0_14default_configENS1_25partition_config_selectorILNS1_17partition_subalgoE8ElNS0_10empty_typeEbEEZZNS1_14partition_implILS5_8ELb0ES3_jPlPS6_PKS6_NS0_5tupleIJS9_S6_EEENSD_IJSA_SA_EEENS0_18inequality_wrapperIZN2at6native12_GLOBAL__N_124unique_dim_cuda_templateIN3c104HalfEEESt5tupleIJNSH_6TensorESO_SO_EERKSO_lbbbEUlllE0_EEPmJS6_EEE10hipError_tPvRmT3_T4_T5_T6_T7_T9_mT8_P12ihipStream_tbDpT10_ENKUlT_T0_E_clISt17integral_constantIbLb1EES1E_EEDaS19_S1A_EUlS19_E_NS1_11comp_targetILNS1_3genE4ELNS1_11target_archE910ELNS1_3gpuE8ELNS1_3repE0EEENS1_30default_config_static_selectorELNS0_4arch9wavefront6targetE1EEEvT1_.kd
    .uniform_work_group_size: 1
    .uses_dynamic_stack: false
    .vgpr_count:     0
    .vgpr_spill_count: 0
    .wavefront_size: 64
  - .agpr_count:     0
    .args:
      - .offset:         0
        .size:           136
        .value_kind:     by_value
    .group_segment_fixed_size: 0
    .kernarg_segment_align: 8
    .kernarg_segment_size: 136
    .language:       OpenCL C
    .language_version:
      - 2
      - 0
    .max_flat_workgroup_size: 512
    .name:           _ZN7rocprim17ROCPRIM_400000_NS6detail17trampoline_kernelINS0_14default_configENS1_25partition_config_selectorILNS1_17partition_subalgoE8ElNS0_10empty_typeEbEEZZNS1_14partition_implILS5_8ELb0ES3_jPlPS6_PKS6_NS0_5tupleIJS9_S6_EEENSD_IJSA_SA_EEENS0_18inequality_wrapperIZN2at6native12_GLOBAL__N_124unique_dim_cuda_templateIN3c104HalfEEESt5tupleIJNSH_6TensorESO_SO_EERKSO_lbbbEUlllE0_EEPmJS6_EEE10hipError_tPvRmT3_T4_T5_T6_T7_T9_mT8_P12ihipStream_tbDpT10_ENKUlT_T0_E_clISt17integral_constantIbLb1EES1E_EEDaS19_S1A_EUlS19_E_NS1_11comp_targetILNS1_3genE3ELNS1_11target_archE908ELNS1_3gpuE7ELNS1_3repE0EEENS1_30default_config_static_selectorELNS0_4arch9wavefront6targetE1EEEvT1_
    .private_segment_fixed_size: 0
    .sgpr_count:     6
    .sgpr_spill_count: 0
    .symbol:         _ZN7rocprim17ROCPRIM_400000_NS6detail17trampoline_kernelINS0_14default_configENS1_25partition_config_selectorILNS1_17partition_subalgoE8ElNS0_10empty_typeEbEEZZNS1_14partition_implILS5_8ELb0ES3_jPlPS6_PKS6_NS0_5tupleIJS9_S6_EEENSD_IJSA_SA_EEENS0_18inequality_wrapperIZN2at6native12_GLOBAL__N_124unique_dim_cuda_templateIN3c104HalfEEESt5tupleIJNSH_6TensorESO_SO_EERKSO_lbbbEUlllE0_EEPmJS6_EEE10hipError_tPvRmT3_T4_T5_T6_T7_T9_mT8_P12ihipStream_tbDpT10_ENKUlT_T0_E_clISt17integral_constantIbLb1EES1E_EEDaS19_S1A_EUlS19_E_NS1_11comp_targetILNS1_3genE3ELNS1_11target_archE908ELNS1_3gpuE7ELNS1_3repE0EEENS1_30default_config_static_selectorELNS0_4arch9wavefront6targetE1EEEvT1_.kd
    .uniform_work_group_size: 1
    .uses_dynamic_stack: false
    .vgpr_count:     0
    .vgpr_spill_count: 0
    .wavefront_size: 64
  - .agpr_count:     0
    .args:
      - .offset:         0
        .size:           136
        .value_kind:     by_value
    .group_segment_fixed_size: 0
    .kernarg_segment_align: 8
    .kernarg_segment_size: 136
    .language:       OpenCL C
    .language_version:
      - 2
      - 0
    .max_flat_workgroup_size: 256
    .name:           _ZN7rocprim17ROCPRIM_400000_NS6detail17trampoline_kernelINS0_14default_configENS1_25partition_config_selectorILNS1_17partition_subalgoE8ElNS0_10empty_typeEbEEZZNS1_14partition_implILS5_8ELb0ES3_jPlPS6_PKS6_NS0_5tupleIJS9_S6_EEENSD_IJSA_SA_EEENS0_18inequality_wrapperIZN2at6native12_GLOBAL__N_124unique_dim_cuda_templateIN3c104HalfEEESt5tupleIJNSH_6TensorESO_SO_EERKSO_lbbbEUlllE0_EEPmJS6_EEE10hipError_tPvRmT3_T4_T5_T6_T7_T9_mT8_P12ihipStream_tbDpT10_ENKUlT_T0_E_clISt17integral_constantIbLb1EES1E_EEDaS19_S1A_EUlS19_E_NS1_11comp_targetILNS1_3genE2ELNS1_11target_archE906ELNS1_3gpuE6ELNS1_3repE0EEENS1_30default_config_static_selectorELNS0_4arch9wavefront6targetE1EEEvT1_
    .private_segment_fixed_size: 0
    .sgpr_count:     6
    .sgpr_spill_count: 0
    .symbol:         _ZN7rocprim17ROCPRIM_400000_NS6detail17trampoline_kernelINS0_14default_configENS1_25partition_config_selectorILNS1_17partition_subalgoE8ElNS0_10empty_typeEbEEZZNS1_14partition_implILS5_8ELb0ES3_jPlPS6_PKS6_NS0_5tupleIJS9_S6_EEENSD_IJSA_SA_EEENS0_18inequality_wrapperIZN2at6native12_GLOBAL__N_124unique_dim_cuda_templateIN3c104HalfEEESt5tupleIJNSH_6TensorESO_SO_EERKSO_lbbbEUlllE0_EEPmJS6_EEE10hipError_tPvRmT3_T4_T5_T6_T7_T9_mT8_P12ihipStream_tbDpT10_ENKUlT_T0_E_clISt17integral_constantIbLb1EES1E_EEDaS19_S1A_EUlS19_E_NS1_11comp_targetILNS1_3genE2ELNS1_11target_archE906ELNS1_3gpuE6ELNS1_3repE0EEENS1_30default_config_static_selectorELNS0_4arch9wavefront6targetE1EEEvT1_.kd
    .uniform_work_group_size: 1
    .uses_dynamic_stack: false
    .vgpr_count:     0
    .vgpr_spill_count: 0
    .wavefront_size: 64
  - .agpr_count:     0
    .args:
      - .offset:         0
        .size:           136
        .value_kind:     by_value
    .group_segment_fixed_size: 0
    .kernarg_segment_align: 8
    .kernarg_segment_size: 136
    .language:       OpenCL C
    .language_version:
      - 2
      - 0
    .max_flat_workgroup_size: 384
    .name:           _ZN7rocprim17ROCPRIM_400000_NS6detail17trampoline_kernelINS0_14default_configENS1_25partition_config_selectorILNS1_17partition_subalgoE8ElNS0_10empty_typeEbEEZZNS1_14partition_implILS5_8ELb0ES3_jPlPS6_PKS6_NS0_5tupleIJS9_S6_EEENSD_IJSA_SA_EEENS0_18inequality_wrapperIZN2at6native12_GLOBAL__N_124unique_dim_cuda_templateIN3c104HalfEEESt5tupleIJNSH_6TensorESO_SO_EERKSO_lbbbEUlllE0_EEPmJS6_EEE10hipError_tPvRmT3_T4_T5_T6_T7_T9_mT8_P12ihipStream_tbDpT10_ENKUlT_T0_E_clISt17integral_constantIbLb1EES1E_EEDaS19_S1A_EUlS19_E_NS1_11comp_targetILNS1_3genE10ELNS1_11target_archE1200ELNS1_3gpuE4ELNS1_3repE0EEENS1_30default_config_static_selectorELNS0_4arch9wavefront6targetE1EEEvT1_
    .private_segment_fixed_size: 0
    .sgpr_count:     6
    .sgpr_spill_count: 0
    .symbol:         _ZN7rocprim17ROCPRIM_400000_NS6detail17trampoline_kernelINS0_14default_configENS1_25partition_config_selectorILNS1_17partition_subalgoE8ElNS0_10empty_typeEbEEZZNS1_14partition_implILS5_8ELb0ES3_jPlPS6_PKS6_NS0_5tupleIJS9_S6_EEENSD_IJSA_SA_EEENS0_18inequality_wrapperIZN2at6native12_GLOBAL__N_124unique_dim_cuda_templateIN3c104HalfEEESt5tupleIJNSH_6TensorESO_SO_EERKSO_lbbbEUlllE0_EEPmJS6_EEE10hipError_tPvRmT3_T4_T5_T6_T7_T9_mT8_P12ihipStream_tbDpT10_ENKUlT_T0_E_clISt17integral_constantIbLb1EES1E_EEDaS19_S1A_EUlS19_E_NS1_11comp_targetILNS1_3genE10ELNS1_11target_archE1200ELNS1_3gpuE4ELNS1_3repE0EEENS1_30default_config_static_selectorELNS0_4arch9wavefront6targetE1EEEvT1_.kd
    .uniform_work_group_size: 1
    .uses_dynamic_stack: false
    .vgpr_count:     0
    .vgpr_spill_count: 0
    .wavefront_size: 64
  - .agpr_count:     0
    .args:
      - .offset:         0
        .size:           136
        .value_kind:     by_value
    .group_segment_fixed_size: 0
    .kernarg_segment_align: 8
    .kernarg_segment_size: 136
    .language:       OpenCL C
    .language_version:
      - 2
      - 0
    .max_flat_workgroup_size: 512
    .name:           _ZN7rocprim17ROCPRIM_400000_NS6detail17trampoline_kernelINS0_14default_configENS1_25partition_config_selectorILNS1_17partition_subalgoE8ElNS0_10empty_typeEbEEZZNS1_14partition_implILS5_8ELb0ES3_jPlPS6_PKS6_NS0_5tupleIJS9_S6_EEENSD_IJSA_SA_EEENS0_18inequality_wrapperIZN2at6native12_GLOBAL__N_124unique_dim_cuda_templateIN3c104HalfEEESt5tupleIJNSH_6TensorESO_SO_EERKSO_lbbbEUlllE0_EEPmJS6_EEE10hipError_tPvRmT3_T4_T5_T6_T7_T9_mT8_P12ihipStream_tbDpT10_ENKUlT_T0_E_clISt17integral_constantIbLb1EES1E_EEDaS19_S1A_EUlS19_E_NS1_11comp_targetILNS1_3genE9ELNS1_11target_archE1100ELNS1_3gpuE3ELNS1_3repE0EEENS1_30default_config_static_selectorELNS0_4arch9wavefront6targetE1EEEvT1_
    .private_segment_fixed_size: 0
    .sgpr_count:     6
    .sgpr_spill_count: 0
    .symbol:         _ZN7rocprim17ROCPRIM_400000_NS6detail17trampoline_kernelINS0_14default_configENS1_25partition_config_selectorILNS1_17partition_subalgoE8ElNS0_10empty_typeEbEEZZNS1_14partition_implILS5_8ELb0ES3_jPlPS6_PKS6_NS0_5tupleIJS9_S6_EEENSD_IJSA_SA_EEENS0_18inequality_wrapperIZN2at6native12_GLOBAL__N_124unique_dim_cuda_templateIN3c104HalfEEESt5tupleIJNSH_6TensorESO_SO_EERKSO_lbbbEUlllE0_EEPmJS6_EEE10hipError_tPvRmT3_T4_T5_T6_T7_T9_mT8_P12ihipStream_tbDpT10_ENKUlT_T0_E_clISt17integral_constantIbLb1EES1E_EEDaS19_S1A_EUlS19_E_NS1_11comp_targetILNS1_3genE9ELNS1_11target_archE1100ELNS1_3gpuE3ELNS1_3repE0EEENS1_30default_config_static_selectorELNS0_4arch9wavefront6targetE1EEEvT1_.kd
    .uniform_work_group_size: 1
    .uses_dynamic_stack: false
    .vgpr_count:     0
    .vgpr_spill_count: 0
    .wavefront_size: 64
  - .agpr_count:     0
    .args:
      - .offset:         0
        .size:           136
        .value_kind:     by_value
    .group_segment_fixed_size: 0
    .kernarg_segment_align: 8
    .kernarg_segment_size: 136
    .language:       OpenCL C
    .language_version:
      - 2
      - 0
    .max_flat_workgroup_size: 512
    .name:           _ZN7rocprim17ROCPRIM_400000_NS6detail17trampoline_kernelINS0_14default_configENS1_25partition_config_selectorILNS1_17partition_subalgoE8ElNS0_10empty_typeEbEEZZNS1_14partition_implILS5_8ELb0ES3_jPlPS6_PKS6_NS0_5tupleIJS9_S6_EEENSD_IJSA_SA_EEENS0_18inequality_wrapperIZN2at6native12_GLOBAL__N_124unique_dim_cuda_templateIN3c104HalfEEESt5tupleIJNSH_6TensorESO_SO_EERKSO_lbbbEUlllE0_EEPmJS6_EEE10hipError_tPvRmT3_T4_T5_T6_T7_T9_mT8_P12ihipStream_tbDpT10_ENKUlT_T0_E_clISt17integral_constantIbLb1EES1E_EEDaS19_S1A_EUlS19_E_NS1_11comp_targetILNS1_3genE8ELNS1_11target_archE1030ELNS1_3gpuE2ELNS1_3repE0EEENS1_30default_config_static_selectorELNS0_4arch9wavefront6targetE1EEEvT1_
    .private_segment_fixed_size: 0
    .sgpr_count:     6
    .sgpr_spill_count: 0
    .symbol:         _ZN7rocprim17ROCPRIM_400000_NS6detail17trampoline_kernelINS0_14default_configENS1_25partition_config_selectorILNS1_17partition_subalgoE8ElNS0_10empty_typeEbEEZZNS1_14partition_implILS5_8ELb0ES3_jPlPS6_PKS6_NS0_5tupleIJS9_S6_EEENSD_IJSA_SA_EEENS0_18inequality_wrapperIZN2at6native12_GLOBAL__N_124unique_dim_cuda_templateIN3c104HalfEEESt5tupleIJNSH_6TensorESO_SO_EERKSO_lbbbEUlllE0_EEPmJS6_EEE10hipError_tPvRmT3_T4_T5_T6_T7_T9_mT8_P12ihipStream_tbDpT10_ENKUlT_T0_E_clISt17integral_constantIbLb1EES1E_EEDaS19_S1A_EUlS19_E_NS1_11comp_targetILNS1_3genE8ELNS1_11target_archE1030ELNS1_3gpuE2ELNS1_3repE0EEENS1_30default_config_static_selectorELNS0_4arch9wavefront6targetE1EEEvT1_.kd
    .uniform_work_group_size: 1
    .uses_dynamic_stack: false
    .vgpr_count:     0
    .vgpr_spill_count: 0
    .wavefront_size: 64
  - .agpr_count:     0
    .args:
      - .offset:         0
        .size:           120
        .value_kind:     by_value
    .group_segment_fixed_size: 0
    .kernarg_segment_align: 8
    .kernarg_segment_size: 120
    .language:       OpenCL C
    .language_version:
      - 2
      - 0
    .max_flat_workgroup_size: 512
    .name:           _ZN7rocprim17ROCPRIM_400000_NS6detail17trampoline_kernelINS0_14default_configENS1_25partition_config_selectorILNS1_17partition_subalgoE8ElNS0_10empty_typeEbEEZZNS1_14partition_implILS5_8ELb0ES3_jPlPS6_PKS6_NS0_5tupleIJS9_S6_EEENSD_IJSA_SA_EEENS0_18inequality_wrapperIZN2at6native12_GLOBAL__N_124unique_dim_cuda_templateIN3c104HalfEEESt5tupleIJNSH_6TensorESO_SO_EERKSO_lbbbEUlllE0_EEPmJS6_EEE10hipError_tPvRmT3_T4_T5_T6_T7_T9_mT8_P12ihipStream_tbDpT10_ENKUlT_T0_E_clISt17integral_constantIbLb1EES1D_IbLb0EEEEDaS19_S1A_EUlS19_E_NS1_11comp_targetILNS1_3genE0ELNS1_11target_archE4294967295ELNS1_3gpuE0ELNS1_3repE0EEENS1_30default_config_static_selectorELNS0_4arch9wavefront6targetE1EEEvT1_
    .private_segment_fixed_size: 0
    .sgpr_count:     6
    .sgpr_spill_count: 0
    .symbol:         _ZN7rocprim17ROCPRIM_400000_NS6detail17trampoline_kernelINS0_14default_configENS1_25partition_config_selectorILNS1_17partition_subalgoE8ElNS0_10empty_typeEbEEZZNS1_14partition_implILS5_8ELb0ES3_jPlPS6_PKS6_NS0_5tupleIJS9_S6_EEENSD_IJSA_SA_EEENS0_18inequality_wrapperIZN2at6native12_GLOBAL__N_124unique_dim_cuda_templateIN3c104HalfEEESt5tupleIJNSH_6TensorESO_SO_EERKSO_lbbbEUlllE0_EEPmJS6_EEE10hipError_tPvRmT3_T4_T5_T6_T7_T9_mT8_P12ihipStream_tbDpT10_ENKUlT_T0_E_clISt17integral_constantIbLb1EES1D_IbLb0EEEEDaS19_S1A_EUlS19_E_NS1_11comp_targetILNS1_3genE0ELNS1_11target_archE4294967295ELNS1_3gpuE0ELNS1_3repE0EEENS1_30default_config_static_selectorELNS0_4arch9wavefront6targetE1EEEvT1_.kd
    .uniform_work_group_size: 1
    .uses_dynamic_stack: false
    .vgpr_count:     0
    .vgpr_spill_count: 0
    .wavefront_size: 64
  - .agpr_count:     0
    .args:
      - .offset:         0
        .size:           120
        .value_kind:     by_value
    .group_segment_fixed_size: 28684
    .kernarg_segment_align: 8
    .kernarg_segment_size: 120
    .language:       OpenCL C
    .language_version:
      - 2
      - 0
    .max_flat_workgroup_size: 512
    .name:           _ZN7rocprim17ROCPRIM_400000_NS6detail17trampoline_kernelINS0_14default_configENS1_25partition_config_selectorILNS1_17partition_subalgoE8ElNS0_10empty_typeEbEEZZNS1_14partition_implILS5_8ELb0ES3_jPlPS6_PKS6_NS0_5tupleIJS9_S6_EEENSD_IJSA_SA_EEENS0_18inequality_wrapperIZN2at6native12_GLOBAL__N_124unique_dim_cuda_templateIN3c104HalfEEESt5tupleIJNSH_6TensorESO_SO_EERKSO_lbbbEUlllE0_EEPmJS6_EEE10hipError_tPvRmT3_T4_T5_T6_T7_T9_mT8_P12ihipStream_tbDpT10_ENKUlT_T0_E_clISt17integral_constantIbLb1EES1D_IbLb0EEEEDaS19_S1A_EUlS19_E_NS1_11comp_targetILNS1_3genE5ELNS1_11target_archE942ELNS1_3gpuE9ELNS1_3repE0EEENS1_30default_config_static_selectorELNS0_4arch9wavefront6targetE1EEEvT1_
    .private_segment_fixed_size: 0
    .sgpr_count:     58
    .sgpr_spill_count: 0
    .symbol:         _ZN7rocprim17ROCPRIM_400000_NS6detail17trampoline_kernelINS0_14default_configENS1_25partition_config_selectorILNS1_17partition_subalgoE8ElNS0_10empty_typeEbEEZZNS1_14partition_implILS5_8ELb0ES3_jPlPS6_PKS6_NS0_5tupleIJS9_S6_EEENSD_IJSA_SA_EEENS0_18inequality_wrapperIZN2at6native12_GLOBAL__N_124unique_dim_cuda_templateIN3c104HalfEEESt5tupleIJNSH_6TensorESO_SO_EERKSO_lbbbEUlllE0_EEPmJS6_EEE10hipError_tPvRmT3_T4_T5_T6_T7_T9_mT8_P12ihipStream_tbDpT10_ENKUlT_T0_E_clISt17integral_constantIbLb1EES1D_IbLb0EEEEDaS19_S1A_EUlS19_E_NS1_11comp_targetILNS1_3genE5ELNS1_11target_archE942ELNS1_3gpuE9ELNS1_3repE0EEENS1_30default_config_static_selectorELNS0_4arch9wavefront6targetE1EEEvT1_.kd
    .uniform_work_group_size: 1
    .uses_dynamic_stack: false
    .vgpr_count:     52
    .vgpr_spill_count: 0
    .wavefront_size: 64
  - .agpr_count:     0
    .args:
      - .offset:         0
        .size:           120
        .value_kind:     by_value
    .group_segment_fixed_size: 0
    .kernarg_segment_align: 8
    .kernarg_segment_size: 120
    .language:       OpenCL C
    .language_version:
      - 2
      - 0
    .max_flat_workgroup_size: 256
    .name:           _ZN7rocprim17ROCPRIM_400000_NS6detail17trampoline_kernelINS0_14default_configENS1_25partition_config_selectorILNS1_17partition_subalgoE8ElNS0_10empty_typeEbEEZZNS1_14partition_implILS5_8ELb0ES3_jPlPS6_PKS6_NS0_5tupleIJS9_S6_EEENSD_IJSA_SA_EEENS0_18inequality_wrapperIZN2at6native12_GLOBAL__N_124unique_dim_cuda_templateIN3c104HalfEEESt5tupleIJNSH_6TensorESO_SO_EERKSO_lbbbEUlllE0_EEPmJS6_EEE10hipError_tPvRmT3_T4_T5_T6_T7_T9_mT8_P12ihipStream_tbDpT10_ENKUlT_T0_E_clISt17integral_constantIbLb1EES1D_IbLb0EEEEDaS19_S1A_EUlS19_E_NS1_11comp_targetILNS1_3genE4ELNS1_11target_archE910ELNS1_3gpuE8ELNS1_3repE0EEENS1_30default_config_static_selectorELNS0_4arch9wavefront6targetE1EEEvT1_
    .private_segment_fixed_size: 0
    .sgpr_count:     6
    .sgpr_spill_count: 0
    .symbol:         _ZN7rocprim17ROCPRIM_400000_NS6detail17trampoline_kernelINS0_14default_configENS1_25partition_config_selectorILNS1_17partition_subalgoE8ElNS0_10empty_typeEbEEZZNS1_14partition_implILS5_8ELb0ES3_jPlPS6_PKS6_NS0_5tupleIJS9_S6_EEENSD_IJSA_SA_EEENS0_18inequality_wrapperIZN2at6native12_GLOBAL__N_124unique_dim_cuda_templateIN3c104HalfEEESt5tupleIJNSH_6TensorESO_SO_EERKSO_lbbbEUlllE0_EEPmJS6_EEE10hipError_tPvRmT3_T4_T5_T6_T7_T9_mT8_P12ihipStream_tbDpT10_ENKUlT_T0_E_clISt17integral_constantIbLb1EES1D_IbLb0EEEEDaS19_S1A_EUlS19_E_NS1_11comp_targetILNS1_3genE4ELNS1_11target_archE910ELNS1_3gpuE8ELNS1_3repE0EEENS1_30default_config_static_selectorELNS0_4arch9wavefront6targetE1EEEvT1_.kd
    .uniform_work_group_size: 1
    .uses_dynamic_stack: false
    .vgpr_count:     0
    .vgpr_spill_count: 0
    .wavefront_size: 64
  - .agpr_count:     0
    .args:
      - .offset:         0
        .size:           120
        .value_kind:     by_value
    .group_segment_fixed_size: 0
    .kernarg_segment_align: 8
    .kernarg_segment_size: 120
    .language:       OpenCL C
    .language_version:
      - 2
      - 0
    .max_flat_workgroup_size: 512
    .name:           _ZN7rocprim17ROCPRIM_400000_NS6detail17trampoline_kernelINS0_14default_configENS1_25partition_config_selectorILNS1_17partition_subalgoE8ElNS0_10empty_typeEbEEZZNS1_14partition_implILS5_8ELb0ES3_jPlPS6_PKS6_NS0_5tupleIJS9_S6_EEENSD_IJSA_SA_EEENS0_18inequality_wrapperIZN2at6native12_GLOBAL__N_124unique_dim_cuda_templateIN3c104HalfEEESt5tupleIJNSH_6TensorESO_SO_EERKSO_lbbbEUlllE0_EEPmJS6_EEE10hipError_tPvRmT3_T4_T5_T6_T7_T9_mT8_P12ihipStream_tbDpT10_ENKUlT_T0_E_clISt17integral_constantIbLb1EES1D_IbLb0EEEEDaS19_S1A_EUlS19_E_NS1_11comp_targetILNS1_3genE3ELNS1_11target_archE908ELNS1_3gpuE7ELNS1_3repE0EEENS1_30default_config_static_selectorELNS0_4arch9wavefront6targetE1EEEvT1_
    .private_segment_fixed_size: 0
    .sgpr_count:     6
    .sgpr_spill_count: 0
    .symbol:         _ZN7rocprim17ROCPRIM_400000_NS6detail17trampoline_kernelINS0_14default_configENS1_25partition_config_selectorILNS1_17partition_subalgoE8ElNS0_10empty_typeEbEEZZNS1_14partition_implILS5_8ELb0ES3_jPlPS6_PKS6_NS0_5tupleIJS9_S6_EEENSD_IJSA_SA_EEENS0_18inequality_wrapperIZN2at6native12_GLOBAL__N_124unique_dim_cuda_templateIN3c104HalfEEESt5tupleIJNSH_6TensorESO_SO_EERKSO_lbbbEUlllE0_EEPmJS6_EEE10hipError_tPvRmT3_T4_T5_T6_T7_T9_mT8_P12ihipStream_tbDpT10_ENKUlT_T0_E_clISt17integral_constantIbLb1EES1D_IbLb0EEEEDaS19_S1A_EUlS19_E_NS1_11comp_targetILNS1_3genE3ELNS1_11target_archE908ELNS1_3gpuE7ELNS1_3repE0EEENS1_30default_config_static_selectorELNS0_4arch9wavefront6targetE1EEEvT1_.kd
    .uniform_work_group_size: 1
    .uses_dynamic_stack: false
    .vgpr_count:     0
    .vgpr_spill_count: 0
    .wavefront_size: 64
  - .agpr_count:     0
    .args:
      - .offset:         0
        .size:           120
        .value_kind:     by_value
    .group_segment_fixed_size: 0
    .kernarg_segment_align: 8
    .kernarg_segment_size: 120
    .language:       OpenCL C
    .language_version:
      - 2
      - 0
    .max_flat_workgroup_size: 256
    .name:           _ZN7rocprim17ROCPRIM_400000_NS6detail17trampoline_kernelINS0_14default_configENS1_25partition_config_selectorILNS1_17partition_subalgoE8ElNS0_10empty_typeEbEEZZNS1_14partition_implILS5_8ELb0ES3_jPlPS6_PKS6_NS0_5tupleIJS9_S6_EEENSD_IJSA_SA_EEENS0_18inequality_wrapperIZN2at6native12_GLOBAL__N_124unique_dim_cuda_templateIN3c104HalfEEESt5tupleIJNSH_6TensorESO_SO_EERKSO_lbbbEUlllE0_EEPmJS6_EEE10hipError_tPvRmT3_T4_T5_T6_T7_T9_mT8_P12ihipStream_tbDpT10_ENKUlT_T0_E_clISt17integral_constantIbLb1EES1D_IbLb0EEEEDaS19_S1A_EUlS19_E_NS1_11comp_targetILNS1_3genE2ELNS1_11target_archE906ELNS1_3gpuE6ELNS1_3repE0EEENS1_30default_config_static_selectorELNS0_4arch9wavefront6targetE1EEEvT1_
    .private_segment_fixed_size: 0
    .sgpr_count:     6
    .sgpr_spill_count: 0
    .symbol:         _ZN7rocprim17ROCPRIM_400000_NS6detail17trampoline_kernelINS0_14default_configENS1_25partition_config_selectorILNS1_17partition_subalgoE8ElNS0_10empty_typeEbEEZZNS1_14partition_implILS5_8ELb0ES3_jPlPS6_PKS6_NS0_5tupleIJS9_S6_EEENSD_IJSA_SA_EEENS0_18inequality_wrapperIZN2at6native12_GLOBAL__N_124unique_dim_cuda_templateIN3c104HalfEEESt5tupleIJNSH_6TensorESO_SO_EERKSO_lbbbEUlllE0_EEPmJS6_EEE10hipError_tPvRmT3_T4_T5_T6_T7_T9_mT8_P12ihipStream_tbDpT10_ENKUlT_T0_E_clISt17integral_constantIbLb1EES1D_IbLb0EEEEDaS19_S1A_EUlS19_E_NS1_11comp_targetILNS1_3genE2ELNS1_11target_archE906ELNS1_3gpuE6ELNS1_3repE0EEENS1_30default_config_static_selectorELNS0_4arch9wavefront6targetE1EEEvT1_.kd
    .uniform_work_group_size: 1
    .uses_dynamic_stack: false
    .vgpr_count:     0
    .vgpr_spill_count: 0
    .wavefront_size: 64
  - .agpr_count:     0
    .args:
      - .offset:         0
        .size:           120
        .value_kind:     by_value
    .group_segment_fixed_size: 0
    .kernarg_segment_align: 8
    .kernarg_segment_size: 120
    .language:       OpenCL C
    .language_version:
      - 2
      - 0
    .max_flat_workgroup_size: 384
    .name:           _ZN7rocprim17ROCPRIM_400000_NS6detail17trampoline_kernelINS0_14default_configENS1_25partition_config_selectorILNS1_17partition_subalgoE8ElNS0_10empty_typeEbEEZZNS1_14partition_implILS5_8ELb0ES3_jPlPS6_PKS6_NS0_5tupleIJS9_S6_EEENSD_IJSA_SA_EEENS0_18inequality_wrapperIZN2at6native12_GLOBAL__N_124unique_dim_cuda_templateIN3c104HalfEEESt5tupleIJNSH_6TensorESO_SO_EERKSO_lbbbEUlllE0_EEPmJS6_EEE10hipError_tPvRmT3_T4_T5_T6_T7_T9_mT8_P12ihipStream_tbDpT10_ENKUlT_T0_E_clISt17integral_constantIbLb1EES1D_IbLb0EEEEDaS19_S1A_EUlS19_E_NS1_11comp_targetILNS1_3genE10ELNS1_11target_archE1200ELNS1_3gpuE4ELNS1_3repE0EEENS1_30default_config_static_selectorELNS0_4arch9wavefront6targetE1EEEvT1_
    .private_segment_fixed_size: 0
    .sgpr_count:     6
    .sgpr_spill_count: 0
    .symbol:         _ZN7rocprim17ROCPRIM_400000_NS6detail17trampoline_kernelINS0_14default_configENS1_25partition_config_selectorILNS1_17partition_subalgoE8ElNS0_10empty_typeEbEEZZNS1_14partition_implILS5_8ELb0ES3_jPlPS6_PKS6_NS0_5tupleIJS9_S6_EEENSD_IJSA_SA_EEENS0_18inequality_wrapperIZN2at6native12_GLOBAL__N_124unique_dim_cuda_templateIN3c104HalfEEESt5tupleIJNSH_6TensorESO_SO_EERKSO_lbbbEUlllE0_EEPmJS6_EEE10hipError_tPvRmT3_T4_T5_T6_T7_T9_mT8_P12ihipStream_tbDpT10_ENKUlT_T0_E_clISt17integral_constantIbLb1EES1D_IbLb0EEEEDaS19_S1A_EUlS19_E_NS1_11comp_targetILNS1_3genE10ELNS1_11target_archE1200ELNS1_3gpuE4ELNS1_3repE0EEENS1_30default_config_static_selectorELNS0_4arch9wavefront6targetE1EEEvT1_.kd
    .uniform_work_group_size: 1
    .uses_dynamic_stack: false
    .vgpr_count:     0
    .vgpr_spill_count: 0
    .wavefront_size: 64
  - .agpr_count:     0
    .args:
      - .offset:         0
        .size:           120
        .value_kind:     by_value
    .group_segment_fixed_size: 0
    .kernarg_segment_align: 8
    .kernarg_segment_size: 120
    .language:       OpenCL C
    .language_version:
      - 2
      - 0
    .max_flat_workgroup_size: 512
    .name:           _ZN7rocprim17ROCPRIM_400000_NS6detail17trampoline_kernelINS0_14default_configENS1_25partition_config_selectorILNS1_17partition_subalgoE8ElNS0_10empty_typeEbEEZZNS1_14partition_implILS5_8ELb0ES3_jPlPS6_PKS6_NS0_5tupleIJS9_S6_EEENSD_IJSA_SA_EEENS0_18inequality_wrapperIZN2at6native12_GLOBAL__N_124unique_dim_cuda_templateIN3c104HalfEEESt5tupleIJNSH_6TensorESO_SO_EERKSO_lbbbEUlllE0_EEPmJS6_EEE10hipError_tPvRmT3_T4_T5_T6_T7_T9_mT8_P12ihipStream_tbDpT10_ENKUlT_T0_E_clISt17integral_constantIbLb1EES1D_IbLb0EEEEDaS19_S1A_EUlS19_E_NS1_11comp_targetILNS1_3genE9ELNS1_11target_archE1100ELNS1_3gpuE3ELNS1_3repE0EEENS1_30default_config_static_selectorELNS0_4arch9wavefront6targetE1EEEvT1_
    .private_segment_fixed_size: 0
    .sgpr_count:     6
    .sgpr_spill_count: 0
    .symbol:         _ZN7rocprim17ROCPRIM_400000_NS6detail17trampoline_kernelINS0_14default_configENS1_25partition_config_selectorILNS1_17partition_subalgoE8ElNS0_10empty_typeEbEEZZNS1_14partition_implILS5_8ELb0ES3_jPlPS6_PKS6_NS0_5tupleIJS9_S6_EEENSD_IJSA_SA_EEENS0_18inequality_wrapperIZN2at6native12_GLOBAL__N_124unique_dim_cuda_templateIN3c104HalfEEESt5tupleIJNSH_6TensorESO_SO_EERKSO_lbbbEUlllE0_EEPmJS6_EEE10hipError_tPvRmT3_T4_T5_T6_T7_T9_mT8_P12ihipStream_tbDpT10_ENKUlT_T0_E_clISt17integral_constantIbLb1EES1D_IbLb0EEEEDaS19_S1A_EUlS19_E_NS1_11comp_targetILNS1_3genE9ELNS1_11target_archE1100ELNS1_3gpuE3ELNS1_3repE0EEENS1_30default_config_static_selectorELNS0_4arch9wavefront6targetE1EEEvT1_.kd
    .uniform_work_group_size: 1
    .uses_dynamic_stack: false
    .vgpr_count:     0
    .vgpr_spill_count: 0
    .wavefront_size: 64
  - .agpr_count:     0
    .args:
      - .offset:         0
        .size:           120
        .value_kind:     by_value
    .group_segment_fixed_size: 0
    .kernarg_segment_align: 8
    .kernarg_segment_size: 120
    .language:       OpenCL C
    .language_version:
      - 2
      - 0
    .max_flat_workgroup_size: 512
    .name:           _ZN7rocprim17ROCPRIM_400000_NS6detail17trampoline_kernelINS0_14default_configENS1_25partition_config_selectorILNS1_17partition_subalgoE8ElNS0_10empty_typeEbEEZZNS1_14partition_implILS5_8ELb0ES3_jPlPS6_PKS6_NS0_5tupleIJS9_S6_EEENSD_IJSA_SA_EEENS0_18inequality_wrapperIZN2at6native12_GLOBAL__N_124unique_dim_cuda_templateIN3c104HalfEEESt5tupleIJNSH_6TensorESO_SO_EERKSO_lbbbEUlllE0_EEPmJS6_EEE10hipError_tPvRmT3_T4_T5_T6_T7_T9_mT8_P12ihipStream_tbDpT10_ENKUlT_T0_E_clISt17integral_constantIbLb1EES1D_IbLb0EEEEDaS19_S1A_EUlS19_E_NS1_11comp_targetILNS1_3genE8ELNS1_11target_archE1030ELNS1_3gpuE2ELNS1_3repE0EEENS1_30default_config_static_selectorELNS0_4arch9wavefront6targetE1EEEvT1_
    .private_segment_fixed_size: 0
    .sgpr_count:     6
    .sgpr_spill_count: 0
    .symbol:         _ZN7rocprim17ROCPRIM_400000_NS6detail17trampoline_kernelINS0_14default_configENS1_25partition_config_selectorILNS1_17partition_subalgoE8ElNS0_10empty_typeEbEEZZNS1_14partition_implILS5_8ELb0ES3_jPlPS6_PKS6_NS0_5tupleIJS9_S6_EEENSD_IJSA_SA_EEENS0_18inequality_wrapperIZN2at6native12_GLOBAL__N_124unique_dim_cuda_templateIN3c104HalfEEESt5tupleIJNSH_6TensorESO_SO_EERKSO_lbbbEUlllE0_EEPmJS6_EEE10hipError_tPvRmT3_T4_T5_T6_T7_T9_mT8_P12ihipStream_tbDpT10_ENKUlT_T0_E_clISt17integral_constantIbLb1EES1D_IbLb0EEEEDaS19_S1A_EUlS19_E_NS1_11comp_targetILNS1_3genE8ELNS1_11target_archE1030ELNS1_3gpuE2ELNS1_3repE0EEENS1_30default_config_static_selectorELNS0_4arch9wavefront6targetE1EEEvT1_.kd
    .uniform_work_group_size: 1
    .uses_dynamic_stack: false
    .vgpr_count:     0
    .vgpr_spill_count: 0
    .wavefront_size: 64
  - .agpr_count:     0
    .args:
      - .offset:         0
        .size:           136
        .value_kind:     by_value
    .group_segment_fixed_size: 0
    .kernarg_segment_align: 8
    .kernarg_segment_size: 136
    .language:       OpenCL C
    .language_version:
      - 2
      - 0
    .max_flat_workgroup_size: 512
    .name:           _ZN7rocprim17ROCPRIM_400000_NS6detail17trampoline_kernelINS0_14default_configENS1_25partition_config_selectorILNS1_17partition_subalgoE8ElNS0_10empty_typeEbEEZZNS1_14partition_implILS5_8ELb0ES3_jPlPS6_PKS6_NS0_5tupleIJS9_S6_EEENSD_IJSA_SA_EEENS0_18inequality_wrapperIZN2at6native12_GLOBAL__N_124unique_dim_cuda_templateIN3c104HalfEEESt5tupleIJNSH_6TensorESO_SO_EERKSO_lbbbEUlllE0_EEPmJS6_EEE10hipError_tPvRmT3_T4_T5_T6_T7_T9_mT8_P12ihipStream_tbDpT10_ENKUlT_T0_E_clISt17integral_constantIbLb0EES1D_IbLb1EEEEDaS19_S1A_EUlS19_E_NS1_11comp_targetILNS1_3genE0ELNS1_11target_archE4294967295ELNS1_3gpuE0ELNS1_3repE0EEENS1_30default_config_static_selectorELNS0_4arch9wavefront6targetE1EEEvT1_
    .private_segment_fixed_size: 0
    .sgpr_count:     6
    .sgpr_spill_count: 0
    .symbol:         _ZN7rocprim17ROCPRIM_400000_NS6detail17trampoline_kernelINS0_14default_configENS1_25partition_config_selectorILNS1_17partition_subalgoE8ElNS0_10empty_typeEbEEZZNS1_14partition_implILS5_8ELb0ES3_jPlPS6_PKS6_NS0_5tupleIJS9_S6_EEENSD_IJSA_SA_EEENS0_18inequality_wrapperIZN2at6native12_GLOBAL__N_124unique_dim_cuda_templateIN3c104HalfEEESt5tupleIJNSH_6TensorESO_SO_EERKSO_lbbbEUlllE0_EEPmJS6_EEE10hipError_tPvRmT3_T4_T5_T6_T7_T9_mT8_P12ihipStream_tbDpT10_ENKUlT_T0_E_clISt17integral_constantIbLb0EES1D_IbLb1EEEEDaS19_S1A_EUlS19_E_NS1_11comp_targetILNS1_3genE0ELNS1_11target_archE4294967295ELNS1_3gpuE0ELNS1_3repE0EEENS1_30default_config_static_selectorELNS0_4arch9wavefront6targetE1EEEvT1_.kd
    .uniform_work_group_size: 1
    .uses_dynamic_stack: false
    .vgpr_count:     0
    .vgpr_spill_count: 0
    .wavefront_size: 64
  - .agpr_count:     0
    .args:
      - .offset:         0
        .size:           136
        .value_kind:     by_value
    .group_segment_fixed_size: 28684
    .kernarg_segment_align: 8
    .kernarg_segment_size: 136
    .language:       OpenCL C
    .language_version:
      - 2
      - 0
    .max_flat_workgroup_size: 512
    .name:           _ZN7rocprim17ROCPRIM_400000_NS6detail17trampoline_kernelINS0_14default_configENS1_25partition_config_selectorILNS1_17partition_subalgoE8ElNS0_10empty_typeEbEEZZNS1_14partition_implILS5_8ELb0ES3_jPlPS6_PKS6_NS0_5tupleIJS9_S6_EEENSD_IJSA_SA_EEENS0_18inequality_wrapperIZN2at6native12_GLOBAL__N_124unique_dim_cuda_templateIN3c104HalfEEESt5tupleIJNSH_6TensorESO_SO_EERKSO_lbbbEUlllE0_EEPmJS6_EEE10hipError_tPvRmT3_T4_T5_T6_T7_T9_mT8_P12ihipStream_tbDpT10_ENKUlT_T0_E_clISt17integral_constantIbLb0EES1D_IbLb1EEEEDaS19_S1A_EUlS19_E_NS1_11comp_targetILNS1_3genE5ELNS1_11target_archE942ELNS1_3gpuE9ELNS1_3repE0EEENS1_30default_config_static_selectorELNS0_4arch9wavefront6targetE1EEEvT1_
    .private_segment_fixed_size: 0
    .sgpr_count:     62
    .sgpr_spill_count: 0
    .symbol:         _ZN7rocprim17ROCPRIM_400000_NS6detail17trampoline_kernelINS0_14default_configENS1_25partition_config_selectorILNS1_17partition_subalgoE8ElNS0_10empty_typeEbEEZZNS1_14partition_implILS5_8ELb0ES3_jPlPS6_PKS6_NS0_5tupleIJS9_S6_EEENSD_IJSA_SA_EEENS0_18inequality_wrapperIZN2at6native12_GLOBAL__N_124unique_dim_cuda_templateIN3c104HalfEEESt5tupleIJNSH_6TensorESO_SO_EERKSO_lbbbEUlllE0_EEPmJS6_EEE10hipError_tPvRmT3_T4_T5_T6_T7_T9_mT8_P12ihipStream_tbDpT10_ENKUlT_T0_E_clISt17integral_constantIbLb0EES1D_IbLb1EEEEDaS19_S1A_EUlS19_E_NS1_11comp_targetILNS1_3genE5ELNS1_11target_archE942ELNS1_3gpuE9ELNS1_3repE0EEENS1_30default_config_static_selectorELNS0_4arch9wavefront6targetE1EEEvT1_.kd
    .uniform_work_group_size: 1
    .uses_dynamic_stack: false
    .vgpr_count:     52
    .vgpr_spill_count: 0
    .wavefront_size: 64
  - .agpr_count:     0
    .args:
      - .offset:         0
        .size:           136
        .value_kind:     by_value
    .group_segment_fixed_size: 0
    .kernarg_segment_align: 8
    .kernarg_segment_size: 136
    .language:       OpenCL C
    .language_version:
      - 2
      - 0
    .max_flat_workgroup_size: 256
    .name:           _ZN7rocprim17ROCPRIM_400000_NS6detail17trampoline_kernelINS0_14default_configENS1_25partition_config_selectorILNS1_17partition_subalgoE8ElNS0_10empty_typeEbEEZZNS1_14partition_implILS5_8ELb0ES3_jPlPS6_PKS6_NS0_5tupleIJS9_S6_EEENSD_IJSA_SA_EEENS0_18inequality_wrapperIZN2at6native12_GLOBAL__N_124unique_dim_cuda_templateIN3c104HalfEEESt5tupleIJNSH_6TensorESO_SO_EERKSO_lbbbEUlllE0_EEPmJS6_EEE10hipError_tPvRmT3_T4_T5_T6_T7_T9_mT8_P12ihipStream_tbDpT10_ENKUlT_T0_E_clISt17integral_constantIbLb0EES1D_IbLb1EEEEDaS19_S1A_EUlS19_E_NS1_11comp_targetILNS1_3genE4ELNS1_11target_archE910ELNS1_3gpuE8ELNS1_3repE0EEENS1_30default_config_static_selectorELNS0_4arch9wavefront6targetE1EEEvT1_
    .private_segment_fixed_size: 0
    .sgpr_count:     6
    .sgpr_spill_count: 0
    .symbol:         _ZN7rocprim17ROCPRIM_400000_NS6detail17trampoline_kernelINS0_14default_configENS1_25partition_config_selectorILNS1_17partition_subalgoE8ElNS0_10empty_typeEbEEZZNS1_14partition_implILS5_8ELb0ES3_jPlPS6_PKS6_NS0_5tupleIJS9_S6_EEENSD_IJSA_SA_EEENS0_18inequality_wrapperIZN2at6native12_GLOBAL__N_124unique_dim_cuda_templateIN3c104HalfEEESt5tupleIJNSH_6TensorESO_SO_EERKSO_lbbbEUlllE0_EEPmJS6_EEE10hipError_tPvRmT3_T4_T5_T6_T7_T9_mT8_P12ihipStream_tbDpT10_ENKUlT_T0_E_clISt17integral_constantIbLb0EES1D_IbLb1EEEEDaS19_S1A_EUlS19_E_NS1_11comp_targetILNS1_3genE4ELNS1_11target_archE910ELNS1_3gpuE8ELNS1_3repE0EEENS1_30default_config_static_selectorELNS0_4arch9wavefront6targetE1EEEvT1_.kd
    .uniform_work_group_size: 1
    .uses_dynamic_stack: false
    .vgpr_count:     0
    .vgpr_spill_count: 0
    .wavefront_size: 64
  - .agpr_count:     0
    .args:
      - .offset:         0
        .size:           136
        .value_kind:     by_value
    .group_segment_fixed_size: 0
    .kernarg_segment_align: 8
    .kernarg_segment_size: 136
    .language:       OpenCL C
    .language_version:
      - 2
      - 0
    .max_flat_workgroup_size: 512
    .name:           _ZN7rocprim17ROCPRIM_400000_NS6detail17trampoline_kernelINS0_14default_configENS1_25partition_config_selectorILNS1_17partition_subalgoE8ElNS0_10empty_typeEbEEZZNS1_14partition_implILS5_8ELb0ES3_jPlPS6_PKS6_NS0_5tupleIJS9_S6_EEENSD_IJSA_SA_EEENS0_18inequality_wrapperIZN2at6native12_GLOBAL__N_124unique_dim_cuda_templateIN3c104HalfEEESt5tupleIJNSH_6TensorESO_SO_EERKSO_lbbbEUlllE0_EEPmJS6_EEE10hipError_tPvRmT3_T4_T5_T6_T7_T9_mT8_P12ihipStream_tbDpT10_ENKUlT_T0_E_clISt17integral_constantIbLb0EES1D_IbLb1EEEEDaS19_S1A_EUlS19_E_NS1_11comp_targetILNS1_3genE3ELNS1_11target_archE908ELNS1_3gpuE7ELNS1_3repE0EEENS1_30default_config_static_selectorELNS0_4arch9wavefront6targetE1EEEvT1_
    .private_segment_fixed_size: 0
    .sgpr_count:     6
    .sgpr_spill_count: 0
    .symbol:         _ZN7rocprim17ROCPRIM_400000_NS6detail17trampoline_kernelINS0_14default_configENS1_25partition_config_selectorILNS1_17partition_subalgoE8ElNS0_10empty_typeEbEEZZNS1_14partition_implILS5_8ELb0ES3_jPlPS6_PKS6_NS0_5tupleIJS9_S6_EEENSD_IJSA_SA_EEENS0_18inequality_wrapperIZN2at6native12_GLOBAL__N_124unique_dim_cuda_templateIN3c104HalfEEESt5tupleIJNSH_6TensorESO_SO_EERKSO_lbbbEUlllE0_EEPmJS6_EEE10hipError_tPvRmT3_T4_T5_T6_T7_T9_mT8_P12ihipStream_tbDpT10_ENKUlT_T0_E_clISt17integral_constantIbLb0EES1D_IbLb1EEEEDaS19_S1A_EUlS19_E_NS1_11comp_targetILNS1_3genE3ELNS1_11target_archE908ELNS1_3gpuE7ELNS1_3repE0EEENS1_30default_config_static_selectorELNS0_4arch9wavefront6targetE1EEEvT1_.kd
    .uniform_work_group_size: 1
    .uses_dynamic_stack: false
    .vgpr_count:     0
    .vgpr_spill_count: 0
    .wavefront_size: 64
  - .agpr_count:     0
    .args:
      - .offset:         0
        .size:           136
        .value_kind:     by_value
    .group_segment_fixed_size: 0
    .kernarg_segment_align: 8
    .kernarg_segment_size: 136
    .language:       OpenCL C
    .language_version:
      - 2
      - 0
    .max_flat_workgroup_size: 256
    .name:           _ZN7rocprim17ROCPRIM_400000_NS6detail17trampoline_kernelINS0_14default_configENS1_25partition_config_selectorILNS1_17partition_subalgoE8ElNS0_10empty_typeEbEEZZNS1_14partition_implILS5_8ELb0ES3_jPlPS6_PKS6_NS0_5tupleIJS9_S6_EEENSD_IJSA_SA_EEENS0_18inequality_wrapperIZN2at6native12_GLOBAL__N_124unique_dim_cuda_templateIN3c104HalfEEESt5tupleIJNSH_6TensorESO_SO_EERKSO_lbbbEUlllE0_EEPmJS6_EEE10hipError_tPvRmT3_T4_T5_T6_T7_T9_mT8_P12ihipStream_tbDpT10_ENKUlT_T0_E_clISt17integral_constantIbLb0EES1D_IbLb1EEEEDaS19_S1A_EUlS19_E_NS1_11comp_targetILNS1_3genE2ELNS1_11target_archE906ELNS1_3gpuE6ELNS1_3repE0EEENS1_30default_config_static_selectorELNS0_4arch9wavefront6targetE1EEEvT1_
    .private_segment_fixed_size: 0
    .sgpr_count:     6
    .sgpr_spill_count: 0
    .symbol:         _ZN7rocprim17ROCPRIM_400000_NS6detail17trampoline_kernelINS0_14default_configENS1_25partition_config_selectorILNS1_17partition_subalgoE8ElNS0_10empty_typeEbEEZZNS1_14partition_implILS5_8ELb0ES3_jPlPS6_PKS6_NS0_5tupleIJS9_S6_EEENSD_IJSA_SA_EEENS0_18inequality_wrapperIZN2at6native12_GLOBAL__N_124unique_dim_cuda_templateIN3c104HalfEEESt5tupleIJNSH_6TensorESO_SO_EERKSO_lbbbEUlllE0_EEPmJS6_EEE10hipError_tPvRmT3_T4_T5_T6_T7_T9_mT8_P12ihipStream_tbDpT10_ENKUlT_T0_E_clISt17integral_constantIbLb0EES1D_IbLb1EEEEDaS19_S1A_EUlS19_E_NS1_11comp_targetILNS1_3genE2ELNS1_11target_archE906ELNS1_3gpuE6ELNS1_3repE0EEENS1_30default_config_static_selectorELNS0_4arch9wavefront6targetE1EEEvT1_.kd
    .uniform_work_group_size: 1
    .uses_dynamic_stack: false
    .vgpr_count:     0
    .vgpr_spill_count: 0
    .wavefront_size: 64
  - .agpr_count:     0
    .args:
      - .offset:         0
        .size:           136
        .value_kind:     by_value
    .group_segment_fixed_size: 0
    .kernarg_segment_align: 8
    .kernarg_segment_size: 136
    .language:       OpenCL C
    .language_version:
      - 2
      - 0
    .max_flat_workgroup_size: 384
    .name:           _ZN7rocprim17ROCPRIM_400000_NS6detail17trampoline_kernelINS0_14default_configENS1_25partition_config_selectorILNS1_17partition_subalgoE8ElNS0_10empty_typeEbEEZZNS1_14partition_implILS5_8ELb0ES3_jPlPS6_PKS6_NS0_5tupleIJS9_S6_EEENSD_IJSA_SA_EEENS0_18inequality_wrapperIZN2at6native12_GLOBAL__N_124unique_dim_cuda_templateIN3c104HalfEEESt5tupleIJNSH_6TensorESO_SO_EERKSO_lbbbEUlllE0_EEPmJS6_EEE10hipError_tPvRmT3_T4_T5_T6_T7_T9_mT8_P12ihipStream_tbDpT10_ENKUlT_T0_E_clISt17integral_constantIbLb0EES1D_IbLb1EEEEDaS19_S1A_EUlS19_E_NS1_11comp_targetILNS1_3genE10ELNS1_11target_archE1200ELNS1_3gpuE4ELNS1_3repE0EEENS1_30default_config_static_selectorELNS0_4arch9wavefront6targetE1EEEvT1_
    .private_segment_fixed_size: 0
    .sgpr_count:     6
    .sgpr_spill_count: 0
    .symbol:         _ZN7rocprim17ROCPRIM_400000_NS6detail17trampoline_kernelINS0_14default_configENS1_25partition_config_selectorILNS1_17partition_subalgoE8ElNS0_10empty_typeEbEEZZNS1_14partition_implILS5_8ELb0ES3_jPlPS6_PKS6_NS0_5tupleIJS9_S6_EEENSD_IJSA_SA_EEENS0_18inequality_wrapperIZN2at6native12_GLOBAL__N_124unique_dim_cuda_templateIN3c104HalfEEESt5tupleIJNSH_6TensorESO_SO_EERKSO_lbbbEUlllE0_EEPmJS6_EEE10hipError_tPvRmT3_T4_T5_T6_T7_T9_mT8_P12ihipStream_tbDpT10_ENKUlT_T0_E_clISt17integral_constantIbLb0EES1D_IbLb1EEEEDaS19_S1A_EUlS19_E_NS1_11comp_targetILNS1_3genE10ELNS1_11target_archE1200ELNS1_3gpuE4ELNS1_3repE0EEENS1_30default_config_static_selectorELNS0_4arch9wavefront6targetE1EEEvT1_.kd
    .uniform_work_group_size: 1
    .uses_dynamic_stack: false
    .vgpr_count:     0
    .vgpr_spill_count: 0
    .wavefront_size: 64
  - .agpr_count:     0
    .args:
      - .offset:         0
        .size:           136
        .value_kind:     by_value
    .group_segment_fixed_size: 0
    .kernarg_segment_align: 8
    .kernarg_segment_size: 136
    .language:       OpenCL C
    .language_version:
      - 2
      - 0
    .max_flat_workgroup_size: 512
    .name:           _ZN7rocprim17ROCPRIM_400000_NS6detail17trampoline_kernelINS0_14default_configENS1_25partition_config_selectorILNS1_17partition_subalgoE8ElNS0_10empty_typeEbEEZZNS1_14partition_implILS5_8ELb0ES3_jPlPS6_PKS6_NS0_5tupleIJS9_S6_EEENSD_IJSA_SA_EEENS0_18inequality_wrapperIZN2at6native12_GLOBAL__N_124unique_dim_cuda_templateIN3c104HalfEEESt5tupleIJNSH_6TensorESO_SO_EERKSO_lbbbEUlllE0_EEPmJS6_EEE10hipError_tPvRmT3_T4_T5_T6_T7_T9_mT8_P12ihipStream_tbDpT10_ENKUlT_T0_E_clISt17integral_constantIbLb0EES1D_IbLb1EEEEDaS19_S1A_EUlS19_E_NS1_11comp_targetILNS1_3genE9ELNS1_11target_archE1100ELNS1_3gpuE3ELNS1_3repE0EEENS1_30default_config_static_selectorELNS0_4arch9wavefront6targetE1EEEvT1_
    .private_segment_fixed_size: 0
    .sgpr_count:     6
    .sgpr_spill_count: 0
    .symbol:         _ZN7rocprim17ROCPRIM_400000_NS6detail17trampoline_kernelINS0_14default_configENS1_25partition_config_selectorILNS1_17partition_subalgoE8ElNS0_10empty_typeEbEEZZNS1_14partition_implILS5_8ELb0ES3_jPlPS6_PKS6_NS0_5tupleIJS9_S6_EEENSD_IJSA_SA_EEENS0_18inequality_wrapperIZN2at6native12_GLOBAL__N_124unique_dim_cuda_templateIN3c104HalfEEESt5tupleIJNSH_6TensorESO_SO_EERKSO_lbbbEUlllE0_EEPmJS6_EEE10hipError_tPvRmT3_T4_T5_T6_T7_T9_mT8_P12ihipStream_tbDpT10_ENKUlT_T0_E_clISt17integral_constantIbLb0EES1D_IbLb1EEEEDaS19_S1A_EUlS19_E_NS1_11comp_targetILNS1_3genE9ELNS1_11target_archE1100ELNS1_3gpuE3ELNS1_3repE0EEENS1_30default_config_static_selectorELNS0_4arch9wavefront6targetE1EEEvT1_.kd
    .uniform_work_group_size: 1
    .uses_dynamic_stack: false
    .vgpr_count:     0
    .vgpr_spill_count: 0
    .wavefront_size: 64
  - .agpr_count:     0
    .args:
      - .offset:         0
        .size:           136
        .value_kind:     by_value
    .group_segment_fixed_size: 0
    .kernarg_segment_align: 8
    .kernarg_segment_size: 136
    .language:       OpenCL C
    .language_version:
      - 2
      - 0
    .max_flat_workgroup_size: 512
    .name:           _ZN7rocprim17ROCPRIM_400000_NS6detail17trampoline_kernelINS0_14default_configENS1_25partition_config_selectorILNS1_17partition_subalgoE8ElNS0_10empty_typeEbEEZZNS1_14partition_implILS5_8ELb0ES3_jPlPS6_PKS6_NS0_5tupleIJS9_S6_EEENSD_IJSA_SA_EEENS0_18inequality_wrapperIZN2at6native12_GLOBAL__N_124unique_dim_cuda_templateIN3c104HalfEEESt5tupleIJNSH_6TensorESO_SO_EERKSO_lbbbEUlllE0_EEPmJS6_EEE10hipError_tPvRmT3_T4_T5_T6_T7_T9_mT8_P12ihipStream_tbDpT10_ENKUlT_T0_E_clISt17integral_constantIbLb0EES1D_IbLb1EEEEDaS19_S1A_EUlS19_E_NS1_11comp_targetILNS1_3genE8ELNS1_11target_archE1030ELNS1_3gpuE2ELNS1_3repE0EEENS1_30default_config_static_selectorELNS0_4arch9wavefront6targetE1EEEvT1_
    .private_segment_fixed_size: 0
    .sgpr_count:     6
    .sgpr_spill_count: 0
    .symbol:         _ZN7rocprim17ROCPRIM_400000_NS6detail17trampoline_kernelINS0_14default_configENS1_25partition_config_selectorILNS1_17partition_subalgoE8ElNS0_10empty_typeEbEEZZNS1_14partition_implILS5_8ELb0ES3_jPlPS6_PKS6_NS0_5tupleIJS9_S6_EEENSD_IJSA_SA_EEENS0_18inequality_wrapperIZN2at6native12_GLOBAL__N_124unique_dim_cuda_templateIN3c104HalfEEESt5tupleIJNSH_6TensorESO_SO_EERKSO_lbbbEUlllE0_EEPmJS6_EEE10hipError_tPvRmT3_T4_T5_T6_T7_T9_mT8_P12ihipStream_tbDpT10_ENKUlT_T0_E_clISt17integral_constantIbLb0EES1D_IbLb1EEEEDaS19_S1A_EUlS19_E_NS1_11comp_targetILNS1_3genE8ELNS1_11target_archE1030ELNS1_3gpuE2ELNS1_3repE0EEENS1_30default_config_static_selectorELNS0_4arch9wavefront6targetE1EEEvT1_.kd
    .uniform_work_group_size: 1
    .uses_dynamic_stack: false
    .vgpr_count:     0
    .vgpr_spill_count: 0
    .wavefront_size: 64
  - .agpr_count:     0
    .args:
      - .offset:         0
        .size:           120
        .value_kind:     by_value
    .group_segment_fixed_size: 0
    .kernarg_segment_align: 8
    .kernarg_segment_size: 120
    .language:       OpenCL C
    .language_version:
      - 2
      - 0
    .max_flat_workgroup_size: 128
    .name:           _ZN7rocprim17ROCPRIM_400000_NS6detail17trampoline_kernelINS0_14default_configENS1_25partition_config_selectorILNS1_17partition_subalgoE9EllbEEZZNS1_14partition_implILS5_9ELb0ES3_jPlS8_PNS0_10empty_typeENS0_5tupleIJS8_S9_EEENSB_IJS8_SA_EEENS0_18inequality_wrapperIZN2at6native12_GLOBAL__N_124unique_dim_cuda_templateIN3c104HalfEEESt5tupleIJNSF_6TensorESM_SM_EERKSM_lbbbEUlllE0_EEPmJS9_EEE10hipError_tPvRmT3_T4_T5_T6_T7_T9_mT8_P12ihipStream_tbDpT10_ENKUlT_T0_E_clISt17integral_constantIbLb0EES1C_EEDaS17_S18_EUlS17_E_NS1_11comp_targetILNS1_3genE0ELNS1_11target_archE4294967295ELNS1_3gpuE0ELNS1_3repE0EEENS1_30default_config_static_selectorELNS0_4arch9wavefront6targetE1EEEvT1_
    .private_segment_fixed_size: 0
    .sgpr_count:     6
    .sgpr_spill_count: 0
    .symbol:         _ZN7rocprim17ROCPRIM_400000_NS6detail17trampoline_kernelINS0_14default_configENS1_25partition_config_selectorILNS1_17partition_subalgoE9EllbEEZZNS1_14partition_implILS5_9ELb0ES3_jPlS8_PNS0_10empty_typeENS0_5tupleIJS8_S9_EEENSB_IJS8_SA_EEENS0_18inequality_wrapperIZN2at6native12_GLOBAL__N_124unique_dim_cuda_templateIN3c104HalfEEESt5tupleIJNSF_6TensorESM_SM_EERKSM_lbbbEUlllE0_EEPmJS9_EEE10hipError_tPvRmT3_T4_T5_T6_T7_T9_mT8_P12ihipStream_tbDpT10_ENKUlT_T0_E_clISt17integral_constantIbLb0EES1C_EEDaS17_S18_EUlS17_E_NS1_11comp_targetILNS1_3genE0ELNS1_11target_archE4294967295ELNS1_3gpuE0ELNS1_3repE0EEENS1_30default_config_static_selectorELNS0_4arch9wavefront6targetE1EEEvT1_.kd
    .uniform_work_group_size: 1
    .uses_dynamic_stack: false
    .vgpr_count:     0
    .vgpr_spill_count: 0
    .wavefront_size: 64
  - .agpr_count:     0
    .args:
      - .offset:         0
        .size:           120
        .value_kind:     by_value
    .group_segment_fixed_size: 28684
    .kernarg_segment_align: 8
    .kernarg_segment_size: 120
    .language:       OpenCL C
    .language_version:
      - 2
      - 0
    .max_flat_workgroup_size: 512
    .name:           _ZN7rocprim17ROCPRIM_400000_NS6detail17trampoline_kernelINS0_14default_configENS1_25partition_config_selectorILNS1_17partition_subalgoE9EllbEEZZNS1_14partition_implILS5_9ELb0ES3_jPlS8_PNS0_10empty_typeENS0_5tupleIJS8_S9_EEENSB_IJS8_SA_EEENS0_18inequality_wrapperIZN2at6native12_GLOBAL__N_124unique_dim_cuda_templateIN3c104HalfEEESt5tupleIJNSF_6TensorESM_SM_EERKSM_lbbbEUlllE0_EEPmJS9_EEE10hipError_tPvRmT3_T4_T5_T6_T7_T9_mT8_P12ihipStream_tbDpT10_ENKUlT_T0_E_clISt17integral_constantIbLb0EES1C_EEDaS17_S18_EUlS17_E_NS1_11comp_targetILNS1_3genE5ELNS1_11target_archE942ELNS1_3gpuE9ELNS1_3repE0EEENS1_30default_config_static_selectorELNS0_4arch9wavefront6targetE1EEEvT1_
    .private_segment_fixed_size: 0
    .sgpr_count:     58
    .sgpr_spill_count: 0
    .symbol:         _ZN7rocprim17ROCPRIM_400000_NS6detail17trampoline_kernelINS0_14default_configENS1_25partition_config_selectorILNS1_17partition_subalgoE9EllbEEZZNS1_14partition_implILS5_9ELb0ES3_jPlS8_PNS0_10empty_typeENS0_5tupleIJS8_S9_EEENSB_IJS8_SA_EEENS0_18inequality_wrapperIZN2at6native12_GLOBAL__N_124unique_dim_cuda_templateIN3c104HalfEEESt5tupleIJNSF_6TensorESM_SM_EERKSM_lbbbEUlllE0_EEPmJS9_EEE10hipError_tPvRmT3_T4_T5_T6_T7_T9_mT8_P12ihipStream_tbDpT10_ENKUlT_T0_E_clISt17integral_constantIbLb0EES1C_EEDaS17_S18_EUlS17_E_NS1_11comp_targetILNS1_3genE5ELNS1_11target_archE942ELNS1_3gpuE9ELNS1_3repE0EEENS1_30default_config_static_selectorELNS0_4arch9wavefront6targetE1EEEvT1_.kd
    .uniform_work_group_size: 1
    .uses_dynamic_stack: false
    .vgpr_count:     66
    .vgpr_spill_count: 0
    .wavefront_size: 64
  - .agpr_count:     0
    .args:
      - .offset:         0
        .size:           120
        .value_kind:     by_value
    .group_segment_fixed_size: 0
    .kernarg_segment_align: 8
    .kernarg_segment_size: 120
    .language:       OpenCL C
    .language_version:
      - 2
      - 0
    .max_flat_workgroup_size: 128
    .name:           _ZN7rocprim17ROCPRIM_400000_NS6detail17trampoline_kernelINS0_14default_configENS1_25partition_config_selectorILNS1_17partition_subalgoE9EllbEEZZNS1_14partition_implILS5_9ELb0ES3_jPlS8_PNS0_10empty_typeENS0_5tupleIJS8_S9_EEENSB_IJS8_SA_EEENS0_18inequality_wrapperIZN2at6native12_GLOBAL__N_124unique_dim_cuda_templateIN3c104HalfEEESt5tupleIJNSF_6TensorESM_SM_EERKSM_lbbbEUlllE0_EEPmJS9_EEE10hipError_tPvRmT3_T4_T5_T6_T7_T9_mT8_P12ihipStream_tbDpT10_ENKUlT_T0_E_clISt17integral_constantIbLb0EES1C_EEDaS17_S18_EUlS17_E_NS1_11comp_targetILNS1_3genE4ELNS1_11target_archE910ELNS1_3gpuE8ELNS1_3repE0EEENS1_30default_config_static_selectorELNS0_4arch9wavefront6targetE1EEEvT1_
    .private_segment_fixed_size: 0
    .sgpr_count:     6
    .sgpr_spill_count: 0
    .symbol:         _ZN7rocprim17ROCPRIM_400000_NS6detail17trampoline_kernelINS0_14default_configENS1_25partition_config_selectorILNS1_17partition_subalgoE9EllbEEZZNS1_14partition_implILS5_9ELb0ES3_jPlS8_PNS0_10empty_typeENS0_5tupleIJS8_S9_EEENSB_IJS8_SA_EEENS0_18inequality_wrapperIZN2at6native12_GLOBAL__N_124unique_dim_cuda_templateIN3c104HalfEEESt5tupleIJNSF_6TensorESM_SM_EERKSM_lbbbEUlllE0_EEPmJS9_EEE10hipError_tPvRmT3_T4_T5_T6_T7_T9_mT8_P12ihipStream_tbDpT10_ENKUlT_T0_E_clISt17integral_constantIbLb0EES1C_EEDaS17_S18_EUlS17_E_NS1_11comp_targetILNS1_3genE4ELNS1_11target_archE910ELNS1_3gpuE8ELNS1_3repE0EEENS1_30default_config_static_selectorELNS0_4arch9wavefront6targetE1EEEvT1_.kd
    .uniform_work_group_size: 1
    .uses_dynamic_stack: false
    .vgpr_count:     0
    .vgpr_spill_count: 0
    .wavefront_size: 64
  - .agpr_count:     0
    .args:
      - .offset:         0
        .size:           120
        .value_kind:     by_value
    .group_segment_fixed_size: 0
    .kernarg_segment_align: 8
    .kernarg_segment_size: 120
    .language:       OpenCL C
    .language_version:
      - 2
      - 0
    .max_flat_workgroup_size: 128
    .name:           _ZN7rocprim17ROCPRIM_400000_NS6detail17trampoline_kernelINS0_14default_configENS1_25partition_config_selectorILNS1_17partition_subalgoE9EllbEEZZNS1_14partition_implILS5_9ELb0ES3_jPlS8_PNS0_10empty_typeENS0_5tupleIJS8_S9_EEENSB_IJS8_SA_EEENS0_18inequality_wrapperIZN2at6native12_GLOBAL__N_124unique_dim_cuda_templateIN3c104HalfEEESt5tupleIJNSF_6TensorESM_SM_EERKSM_lbbbEUlllE0_EEPmJS9_EEE10hipError_tPvRmT3_T4_T5_T6_T7_T9_mT8_P12ihipStream_tbDpT10_ENKUlT_T0_E_clISt17integral_constantIbLb0EES1C_EEDaS17_S18_EUlS17_E_NS1_11comp_targetILNS1_3genE3ELNS1_11target_archE908ELNS1_3gpuE7ELNS1_3repE0EEENS1_30default_config_static_selectorELNS0_4arch9wavefront6targetE1EEEvT1_
    .private_segment_fixed_size: 0
    .sgpr_count:     6
    .sgpr_spill_count: 0
    .symbol:         _ZN7rocprim17ROCPRIM_400000_NS6detail17trampoline_kernelINS0_14default_configENS1_25partition_config_selectorILNS1_17partition_subalgoE9EllbEEZZNS1_14partition_implILS5_9ELb0ES3_jPlS8_PNS0_10empty_typeENS0_5tupleIJS8_S9_EEENSB_IJS8_SA_EEENS0_18inequality_wrapperIZN2at6native12_GLOBAL__N_124unique_dim_cuda_templateIN3c104HalfEEESt5tupleIJNSF_6TensorESM_SM_EERKSM_lbbbEUlllE0_EEPmJS9_EEE10hipError_tPvRmT3_T4_T5_T6_T7_T9_mT8_P12ihipStream_tbDpT10_ENKUlT_T0_E_clISt17integral_constantIbLb0EES1C_EEDaS17_S18_EUlS17_E_NS1_11comp_targetILNS1_3genE3ELNS1_11target_archE908ELNS1_3gpuE7ELNS1_3repE0EEENS1_30default_config_static_selectorELNS0_4arch9wavefront6targetE1EEEvT1_.kd
    .uniform_work_group_size: 1
    .uses_dynamic_stack: false
    .vgpr_count:     0
    .vgpr_spill_count: 0
    .wavefront_size: 64
  - .agpr_count:     0
    .args:
      - .offset:         0
        .size:           120
        .value_kind:     by_value
    .group_segment_fixed_size: 0
    .kernarg_segment_align: 8
    .kernarg_segment_size: 120
    .language:       OpenCL C
    .language_version:
      - 2
      - 0
    .max_flat_workgroup_size: 192
    .name:           _ZN7rocprim17ROCPRIM_400000_NS6detail17trampoline_kernelINS0_14default_configENS1_25partition_config_selectorILNS1_17partition_subalgoE9EllbEEZZNS1_14partition_implILS5_9ELb0ES3_jPlS8_PNS0_10empty_typeENS0_5tupleIJS8_S9_EEENSB_IJS8_SA_EEENS0_18inequality_wrapperIZN2at6native12_GLOBAL__N_124unique_dim_cuda_templateIN3c104HalfEEESt5tupleIJNSF_6TensorESM_SM_EERKSM_lbbbEUlllE0_EEPmJS9_EEE10hipError_tPvRmT3_T4_T5_T6_T7_T9_mT8_P12ihipStream_tbDpT10_ENKUlT_T0_E_clISt17integral_constantIbLb0EES1C_EEDaS17_S18_EUlS17_E_NS1_11comp_targetILNS1_3genE2ELNS1_11target_archE906ELNS1_3gpuE6ELNS1_3repE0EEENS1_30default_config_static_selectorELNS0_4arch9wavefront6targetE1EEEvT1_
    .private_segment_fixed_size: 0
    .sgpr_count:     6
    .sgpr_spill_count: 0
    .symbol:         _ZN7rocprim17ROCPRIM_400000_NS6detail17trampoline_kernelINS0_14default_configENS1_25partition_config_selectorILNS1_17partition_subalgoE9EllbEEZZNS1_14partition_implILS5_9ELb0ES3_jPlS8_PNS0_10empty_typeENS0_5tupleIJS8_S9_EEENSB_IJS8_SA_EEENS0_18inequality_wrapperIZN2at6native12_GLOBAL__N_124unique_dim_cuda_templateIN3c104HalfEEESt5tupleIJNSF_6TensorESM_SM_EERKSM_lbbbEUlllE0_EEPmJS9_EEE10hipError_tPvRmT3_T4_T5_T6_T7_T9_mT8_P12ihipStream_tbDpT10_ENKUlT_T0_E_clISt17integral_constantIbLb0EES1C_EEDaS17_S18_EUlS17_E_NS1_11comp_targetILNS1_3genE2ELNS1_11target_archE906ELNS1_3gpuE6ELNS1_3repE0EEENS1_30default_config_static_selectorELNS0_4arch9wavefront6targetE1EEEvT1_.kd
    .uniform_work_group_size: 1
    .uses_dynamic_stack: false
    .vgpr_count:     0
    .vgpr_spill_count: 0
    .wavefront_size: 64
  - .agpr_count:     0
    .args:
      - .offset:         0
        .size:           120
        .value_kind:     by_value
    .group_segment_fixed_size: 0
    .kernarg_segment_align: 8
    .kernarg_segment_size: 120
    .language:       OpenCL C
    .language_version:
      - 2
      - 0
    .max_flat_workgroup_size: 384
    .name:           _ZN7rocprim17ROCPRIM_400000_NS6detail17trampoline_kernelINS0_14default_configENS1_25partition_config_selectorILNS1_17partition_subalgoE9EllbEEZZNS1_14partition_implILS5_9ELb0ES3_jPlS8_PNS0_10empty_typeENS0_5tupleIJS8_S9_EEENSB_IJS8_SA_EEENS0_18inequality_wrapperIZN2at6native12_GLOBAL__N_124unique_dim_cuda_templateIN3c104HalfEEESt5tupleIJNSF_6TensorESM_SM_EERKSM_lbbbEUlllE0_EEPmJS9_EEE10hipError_tPvRmT3_T4_T5_T6_T7_T9_mT8_P12ihipStream_tbDpT10_ENKUlT_T0_E_clISt17integral_constantIbLb0EES1C_EEDaS17_S18_EUlS17_E_NS1_11comp_targetILNS1_3genE10ELNS1_11target_archE1200ELNS1_3gpuE4ELNS1_3repE0EEENS1_30default_config_static_selectorELNS0_4arch9wavefront6targetE1EEEvT1_
    .private_segment_fixed_size: 0
    .sgpr_count:     6
    .sgpr_spill_count: 0
    .symbol:         _ZN7rocprim17ROCPRIM_400000_NS6detail17trampoline_kernelINS0_14default_configENS1_25partition_config_selectorILNS1_17partition_subalgoE9EllbEEZZNS1_14partition_implILS5_9ELb0ES3_jPlS8_PNS0_10empty_typeENS0_5tupleIJS8_S9_EEENSB_IJS8_SA_EEENS0_18inequality_wrapperIZN2at6native12_GLOBAL__N_124unique_dim_cuda_templateIN3c104HalfEEESt5tupleIJNSF_6TensorESM_SM_EERKSM_lbbbEUlllE0_EEPmJS9_EEE10hipError_tPvRmT3_T4_T5_T6_T7_T9_mT8_P12ihipStream_tbDpT10_ENKUlT_T0_E_clISt17integral_constantIbLb0EES1C_EEDaS17_S18_EUlS17_E_NS1_11comp_targetILNS1_3genE10ELNS1_11target_archE1200ELNS1_3gpuE4ELNS1_3repE0EEENS1_30default_config_static_selectorELNS0_4arch9wavefront6targetE1EEEvT1_.kd
    .uniform_work_group_size: 1
    .uses_dynamic_stack: false
    .vgpr_count:     0
    .vgpr_spill_count: 0
    .wavefront_size: 64
  - .agpr_count:     0
    .args:
      - .offset:         0
        .size:           120
        .value_kind:     by_value
    .group_segment_fixed_size: 0
    .kernarg_segment_align: 8
    .kernarg_segment_size: 120
    .language:       OpenCL C
    .language_version:
      - 2
      - 0
    .max_flat_workgroup_size: 512
    .name:           _ZN7rocprim17ROCPRIM_400000_NS6detail17trampoline_kernelINS0_14default_configENS1_25partition_config_selectorILNS1_17partition_subalgoE9EllbEEZZNS1_14partition_implILS5_9ELb0ES3_jPlS8_PNS0_10empty_typeENS0_5tupleIJS8_S9_EEENSB_IJS8_SA_EEENS0_18inequality_wrapperIZN2at6native12_GLOBAL__N_124unique_dim_cuda_templateIN3c104HalfEEESt5tupleIJNSF_6TensorESM_SM_EERKSM_lbbbEUlllE0_EEPmJS9_EEE10hipError_tPvRmT3_T4_T5_T6_T7_T9_mT8_P12ihipStream_tbDpT10_ENKUlT_T0_E_clISt17integral_constantIbLb0EES1C_EEDaS17_S18_EUlS17_E_NS1_11comp_targetILNS1_3genE9ELNS1_11target_archE1100ELNS1_3gpuE3ELNS1_3repE0EEENS1_30default_config_static_selectorELNS0_4arch9wavefront6targetE1EEEvT1_
    .private_segment_fixed_size: 0
    .sgpr_count:     6
    .sgpr_spill_count: 0
    .symbol:         _ZN7rocprim17ROCPRIM_400000_NS6detail17trampoline_kernelINS0_14default_configENS1_25partition_config_selectorILNS1_17partition_subalgoE9EllbEEZZNS1_14partition_implILS5_9ELb0ES3_jPlS8_PNS0_10empty_typeENS0_5tupleIJS8_S9_EEENSB_IJS8_SA_EEENS0_18inequality_wrapperIZN2at6native12_GLOBAL__N_124unique_dim_cuda_templateIN3c104HalfEEESt5tupleIJNSF_6TensorESM_SM_EERKSM_lbbbEUlllE0_EEPmJS9_EEE10hipError_tPvRmT3_T4_T5_T6_T7_T9_mT8_P12ihipStream_tbDpT10_ENKUlT_T0_E_clISt17integral_constantIbLb0EES1C_EEDaS17_S18_EUlS17_E_NS1_11comp_targetILNS1_3genE9ELNS1_11target_archE1100ELNS1_3gpuE3ELNS1_3repE0EEENS1_30default_config_static_selectorELNS0_4arch9wavefront6targetE1EEEvT1_.kd
    .uniform_work_group_size: 1
    .uses_dynamic_stack: false
    .vgpr_count:     0
    .vgpr_spill_count: 0
    .wavefront_size: 64
  - .agpr_count:     0
    .args:
      - .offset:         0
        .size:           120
        .value_kind:     by_value
    .group_segment_fixed_size: 0
    .kernarg_segment_align: 8
    .kernarg_segment_size: 120
    .language:       OpenCL C
    .language_version:
      - 2
      - 0
    .max_flat_workgroup_size: 512
    .name:           _ZN7rocprim17ROCPRIM_400000_NS6detail17trampoline_kernelINS0_14default_configENS1_25partition_config_selectorILNS1_17partition_subalgoE9EllbEEZZNS1_14partition_implILS5_9ELb0ES3_jPlS8_PNS0_10empty_typeENS0_5tupleIJS8_S9_EEENSB_IJS8_SA_EEENS0_18inequality_wrapperIZN2at6native12_GLOBAL__N_124unique_dim_cuda_templateIN3c104HalfEEESt5tupleIJNSF_6TensorESM_SM_EERKSM_lbbbEUlllE0_EEPmJS9_EEE10hipError_tPvRmT3_T4_T5_T6_T7_T9_mT8_P12ihipStream_tbDpT10_ENKUlT_T0_E_clISt17integral_constantIbLb0EES1C_EEDaS17_S18_EUlS17_E_NS1_11comp_targetILNS1_3genE8ELNS1_11target_archE1030ELNS1_3gpuE2ELNS1_3repE0EEENS1_30default_config_static_selectorELNS0_4arch9wavefront6targetE1EEEvT1_
    .private_segment_fixed_size: 0
    .sgpr_count:     6
    .sgpr_spill_count: 0
    .symbol:         _ZN7rocprim17ROCPRIM_400000_NS6detail17trampoline_kernelINS0_14default_configENS1_25partition_config_selectorILNS1_17partition_subalgoE9EllbEEZZNS1_14partition_implILS5_9ELb0ES3_jPlS8_PNS0_10empty_typeENS0_5tupleIJS8_S9_EEENSB_IJS8_SA_EEENS0_18inequality_wrapperIZN2at6native12_GLOBAL__N_124unique_dim_cuda_templateIN3c104HalfEEESt5tupleIJNSF_6TensorESM_SM_EERKSM_lbbbEUlllE0_EEPmJS9_EEE10hipError_tPvRmT3_T4_T5_T6_T7_T9_mT8_P12ihipStream_tbDpT10_ENKUlT_T0_E_clISt17integral_constantIbLb0EES1C_EEDaS17_S18_EUlS17_E_NS1_11comp_targetILNS1_3genE8ELNS1_11target_archE1030ELNS1_3gpuE2ELNS1_3repE0EEENS1_30default_config_static_selectorELNS0_4arch9wavefront6targetE1EEEvT1_.kd
    .uniform_work_group_size: 1
    .uses_dynamic_stack: false
    .vgpr_count:     0
    .vgpr_spill_count: 0
    .wavefront_size: 64
  - .agpr_count:     0
    .args:
      - .offset:         0
        .size:           136
        .value_kind:     by_value
    .group_segment_fixed_size: 0
    .kernarg_segment_align: 8
    .kernarg_segment_size: 136
    .language:       OpenCL C
    .language_version:
      - 2
      - 0
    .max_flat_workgroup_size: 128
    .name:           _ZN7rocprim17ROCPRIM_400000_NS6detail17trampoline_kernelINS0_14default_configENS1_25partition_config_selectorILNS1_17partition_subalgoE9EllbEEZZNS1_14partition_implILS5_9ELb0ES3_jPlS8_PNS0_10empty_typeENS0_5tupleIJS8_S9_EEENSB_IJS8_SA_EEENS0_18inequality_wrapperIZN2at6native12_GLOBAL__N_124unique_dim_cuda_templateIN3c104HalfEEESt5tupleIJNSF_6TensorESM_SM_EERKSM_lbbbEUlllE0_EEPmJS9_EEE10hipError_tPvRmT3_T4_T5_T6_T7_T9_mT8_P12ihipStream_tbDpT10_ENKUlT_T0_E_clISt17integral_constantIbLb1EES1C_EEDaS17_S18_EUlS17_E_NS1_11comp_targetILNS1_3genE0ELNS1_11target_archE4294967295ELNS1_3gpuE0ELNS1_3repE0EEENS1_30default_config_static_selectorELNS0_4arch9wavefront6targetE1EEEvT1_
    .private_segment_fixed_size: 0
    .sgpr_count:     6
    .sgpr_spill_count: 0
    .symbol:         _ZN7rocprim17ROCPRIM_400000_NS6detail17trampoline_kernelINS0_14default_configENS1_25partition_config_selectorILNS1_17partition_subalgoE9EllbEEZZNS1_14partition_implILS5_9ELb0ES3_jPlS8_PNS0_10empty_typeENS0_5tupleIJS8_S9_EEENSB_IJS8_SA_EEENS0_18inequality_wrapperIZN2at6native12_GLOBAL__N_124unique_dim_cuda_templateIN3c104HalfEEESt5tupleIJNSF_6TensorESM_SM_EERKSM_lbbbEUlllE0_EEPmJS9_EEE10hipError_tPvRmT3_T4_T5_T6_T7_T9_mT8_P12ihipStream_tbDpT10_ENKUlT_T0_E_clISt17integral_constantIbLb1EES1C_EEDaS17_S18_EUlS17_E_NS1_11comp_targetILNS1_3genE0ELNS1_11target_archE4294967295ELNS1_3gpuE0ELNS1_3repE0EEENS1_30default_config_static_selectorELNS0_4arch9wavefront6targetE1EEEvT1_.kd
    .uniform_work_group_size: 1
    .uses_dynamic_stack: false
    .vgpr_count:     0
    .vgpr_spill_count: 0
    .wavefront_size: 64
  - .agpr_count:     0
    .args:
      - .offset:         0
        .size:           136
        .value_kind:     by_value
    .group_segment_fixed_size: 28684
    .kernarg_segment_align: 8
    .kernarg_segment_size: 136
    .language:       OpenCL C
    .language_version:
      - 2
      - 0
    .max_flat_workgroup_size: 512
    .name:           _ZN7rocprim17ROCPRIM_400000_NS6detail17trampoline_kernelINS0_14default_configENS1_25partition_config_selectorILNS1_17partition_subalgoE9EllbEEZZNS1_14partition_implILS5_9ELb0ES3_jPlS8_PNS0_10empty_typeENS0_5tupleIJS8_S9_EEENSB_IJS8_SA_EEENS0_18inequality_wrapperIZN2at6native12_GLOBAL__N_124unique_dim_cuda_templateIN3c104HalfEEESt5tupleIJNSF_6TensorESM_SM_EERKSM_lbbbEUlllE0_EEPmJS9_EEE10hipError_tPvRmT3_T4_T5_T6_T7_T9_mT8_P12ihipStream_tbDpT10_ENKUlT_T0_E_clISt17integral_constantIbLb1EES1C_EEDaS17_S18_EUlS17_E_NS1_11comp_targetILNS1_3genE5ELNS1_11target_archE942ELNS1_3gpuE9ELNS1_3repE0EEENS1_30default_config_static_selectorELNS0_4arch9wavefront6targetE1EEEvT1_
    .private_segment_fixed_size: 0
    .sgpr_count:     64
    .sgpr_spill_count: 0
    .symbol:         _ZN7rocprim17ROCPRIM_400000_NS6detail17trampoline_kernelINS0_14default_configENS1_25partition_config_selectorILNS1_17partition_subalgoE9EllbEEZZNS1_14partition_implILS5_9ELb0ES3_jPlS8_PNS0_10empty_typeENS0_5tupleIJS8_S9_EEENSB_IJS8_SA_EEENS0_18inequality_wrapperIZN2at6native12_GLOBAL__N_124unique_dim_cuda_templateIN3c104HalfEEESt5tupleIJNSF_6TensorESM_SM_EERKSM_lbbbEUlllE0_EEPmJS9_EEE10hipError_tPvRmT3_T4_T5_T6_T7_T9_mT8_P12ihipStream_tbDpT10_ENKUlT_T0_E_clISt17integral_constantIbLb1EES1C_EEDaS17_S18_EUlS17_E_NS1_11comp_targetILNS1_3genE5ELNS1_11target_archE942ELNS1_3gpuE9ELNS1_3repE0EEENS1_30default_config_static_selectorELNS0_4arch9wavefront6targetE1EEEvT1_.kd
    .uniform_work_group_size: 1
    .uses_dynamic_stack: false
    .vgpr_count:     66
    .vgpr_spill_count: 0
    .wavefront_size: 64
  - .agpr_count:     0
    .args:
      - .offset:         0
        .size:           136
        .value_kind:     by_value
    .group_segment_fixed_size: 0
    .kernarg_segment_align: 8
    .kernarg_segment_size: 136
    .language:       OpenCL C
    .language_version:
      - 2
      - 0
    .max_flat_workgroup_size: 128
    .name:           _ZN7rocprim17ROCPRIM_400000_NS6detail17trampoline_kernelINS0_14default_configENS1_25partition_config_selectorILNS1_17partition_subalgoE9EllbEEZZNS1_14partition_implILS5_9ELb0ES3_jPlS8_PNS0_10empty_typeENS0_5tupleIJS8_S9_EEENSB_IJS8_SA_EEENS0_18inequality_wrapperIZN2at6native12_GLOBAL__N_124unique_dim_cuda_templateIN3c104HalfEEESt5tupleIJNSF_6TensorESM_SM_EERKSM_lbbbEUlllE0_EEPmJS9_EEE10hipError_tPvRmT3_T4_T5_T6_T7_T9_mT8_P12ihipStream_tbDpT10_ENKUlT_T0_E_clISt17integral_constantIbLb1EES1C_EEDaS17_S18_EUlS17_E_NS1_11comp_targetILNS1_3genE4ELNS1_11target_archE910ELNS1_3gpuE8ELNS1_3repE0EEENS1_30default_config_static_selectorELNS0_4arch9wavefront6targetE1EEEvT1_
    .private_segment_fixed_size: 0
    .sgpr_count:     6
    .sgpr_spill_count: 0
    .symbol:         _ZN7rocprim17ROCPRIM_400000_NS6detail17trampoline_kernelINS0_14default_configENS1_25partition_config_selectorILNS1_17partition_subalgoE9EllbEEZZNS1_14partition_implILS5_9ELb0ES3_jPlS8_PNS0_10empty_typeENS0_5tupleIJS8_S9_EEENSB_IJS8_SA_EEENS0_18inequality_wrapperIZN2at6native12_GLOBAL__N_124unique_dim_cuda_templateIN3c104HalfEEESt5tupleIJNSF_6TensorESM_SM_EERKSM_lbbbEUlllE0_EEPmJS9_EEE10hipError_tPvRmT3_T4_T5_T6_T7_T9_mT8_P12ihipStream_tbDpT10_ENKUlT_T0_E_clISt17integral_constantIbLb1EES1C_EEDaS17_S18_EUlS17_E_NS1_11comp_targetILNS1_3genE4ELNS1_11target_archE910ELNS1_3gpuE8ELNS1_3repE0EEENS1_30default_config_static_selectorELNS0_4arch9wavefront6targetE1EEEvT1_.kd
    .uniform_work_group_size: 1
    .uses_dynamic_stack: false
    .vgpr_count:     0
    .vgpr_spill_count: 0
    .wavefront_size: 64
  - .agpr_count:     0
    .args:
      - .offset:         0
        .size:           136
        .value_kind:     by_value
    .group_segment_fixed_size: 0
    .kernarg_segment_align: 8
    .kernarg_segment_size: 136
    .language:       OpenCL C
    .language_version:
      - 2
      - 0
    .max_flat_workgroup_size: 128
    .name:           _ZN7rocprim17ROCPRIM_400000_NS6detail17trampoline_kernelINS0_14default_configENS1_25partition_config_selectorILNS1_17partition_subalgoE9EllbEEZZNS1_14partition_implILS5_9ELb0ES3_jPlS8_PNS0_10empty_typeENS0_5tupleIJS8_S9_EEENSB_IJS8_SA_EEENS0_18inequality_wrapperIZN2at6native12_GLOBAL__N_124unique_dim_cuda_templateIN3c104HalfEEESt5tupleIJNSF_6TensorESM_SM_EERKSM_lbbbEUlllE0_EEPmJS9_EEE10hipError_tPvRmT3_T4_T5_T6_T7_T9_mT8_P12ihipStream_tbDpT10_ENKUlT_T0_E_clISt17integral_constantIbLb1EES1C_EEDaS17_S18_EUlS17_E_NS1_11comp_targetILNS1_3genE3ELNS1_11target_archE908ELNS1_3gpuE7ELNS1_3repE0EEENS1_30default_config_static_selectorELNS0_4arch9wavefront6targetE1EEEvT1_
    .private_segment_fixed_size: 0
    .sgpr_count:     6
    .sgpr_spill_count: 0
    .symbol:         _ZN7rocprim17ROCPRIM_400000_NS6detail17trampoline_kernelINS0_14default_configENS1_25partition_config_selectorILNS1_17partition_subalgoE9EllbEEZZNS1_14partition_implILS5_9ELb0ES3_jPlS8_PNS0_10empty_typeENS0_5tupleIJS8_S9_EEENSB_IJS8_SA_EEENS0_18inequality_wrapperIZN2at6native12_GLOBAL__N_124unique_dim_cuda_templateIN3c104HalfEEESt5tupleIJNSF_6TensorESM_SM_EERKSM_lbbbEUlllE0_EEPmJS9_EEE10hipError_tPvRmT3_T4_T5_T6_T7_T9_mT8_P12ihipStream_tbDpT10_ENKUlT_T0_E_clISt17integral_constantIbLb1EES1C_EEDaS17_S18_EUlS17_E_NS1_11comp_targetILNS1_3genE3ELNS1_11target_archE908ELNS1_3gpuE7ELNS1_3repE0EEENS1_30default_config_static_selectorELNS0_4arch9wavefront6targetE1EEEvT1_.kd
    .uniform_work_group_size: 1
    .uses_dynamic_stack: false
    .vgpr_count:     0
    .vgpr_spill_count: 0
    .wavefront_size: 64
  - .agpr_count:     0
    .args:
      - .offset:         0
        .size:           136
        .value_kind:     by_value
    .group_segment_fixed_size: 0
    .kernarg_segment_align: 8
    .kernarg_segment_size: 136
    .language:       OpenCL C
    .language_version:
      - 2
      - 0
    .max_flat_workgroup_size: 192
    .name:           _ZN7rocprim17ROCPRIM_400000_NS6detail17trampoline_kernelINS0_14default_configENS1_25partition_config_selectorILNS1_17partition_subalgoE9EllbEEZZNS1_14partition_implILS5_9ELb0ES3_jPlS8_PNS0_10empty_typeENS0_5tupleIJS8_S9_EEENSB_IJS8_SA_EEENS0_18inequality_wrapperIZN2at6native12_GLOBAL__N_124unique_dim_cuda_templateIN3c104HalfEEESt5tupleIJNSF_6TensorESM_SM_EERKSM_lbbbEUlllE0_EEPmJS9_EEE10hipError_tPvRmT3_T4_T5_T6_T7_T9_mT8_P12ihipStream_tbDpT10_ENKUlT_T0_E_clISt17integral_constantIbLb1EES1C_EEDaS17_S18_EUlS17_E_NS1_11comp_targetILNS1_3genE2ELNS1_11target_archE906ELNS1_3gpuE6ELNS1_3repE0EEENS1_30default_config_static_selectorELNS0_4arch9wavefront6targetE1EEEvT1_
    .private_segment_fixed_size: 0
    .sgpr_count:     6
    .sgpr_spill_count: 0
    .symbol:         _ZN7rocprim17ROCPRIM_400000_NS6detail17trampoline_kernelINS0_14default_configENS1_25partition_config_selectorILNS1_17partition_subalgoE9EllbEEZZNS1_14partition_implILS5_9ELb0ES3_jPlS8_PNS0_10empty_typeENS0_5tupleIJS8_S9_EEENSB_IJS8_SA_EEENS0_18inequality_wrapperIZN2at6native12_GLOBAL__N_124unique_dim_cuda_templateIN3c104HalfEEESt5tupleIJNSF_6TensorESM_SM_EERKSM_lbbbEUlllE0_EEPmJS9_EEE10hipError_tPvRmT3_T4_T5_T6_T7_T9_mT8_P12ihipStream_tbDpT10_ENKUlT_T0_E_clISt17integral_constantIbLb1EES1C_EEDaS17_S18_EUlS17_E_NS1_11comp_targetILNS1_3genE2ELNS1_11target_archE906ELNS1_3gpuE6ELNS1_3repE0EEENS1_30default_config_static_selectorELNS0_4arch9wavefront6targetE1EEEvT1_.kd
    .uniform_work_group_size: 1
    .uses_dynamic_stack: false
    .vgpr_count:     0
    .vgpr_spill_count: 0
    .wavefront_size: 64
  - .agpr_count:     0
    .args:
      - .offset:         0
        .size:           136
        .value_kind:     by_value
    .group_segment_fixed_size: 0
    .kernarg_segment_align: 8
    .kernarg_segment_size: 136
    .language:       OpenCL C
    .language_version:
      - 2
      - 0
    .max_flat_workgroup_size: 384
    .name:           _ZN7rocprim17ROCPRIM_400000_NS6detail17trampoline_kernelINS0_14default_configENS1_25partition_config_selectorILNS1_17partition_subalgoE9EllbEEZZNS1_14partition_implILS5_9ELb0ES3_jPlS8_PNS0_10empty_typeENS0_5tupleIJS8_S9_EEENSB_IJS8_SA_EEENS0_18inequality_wrapperIZN2at6native12_GLOBAL__N_124unique_dim_cuda_templateIN3c104HalfEEESt5tupleIJNSF_6TensorESM_SM_EERKSM_lbbbEUlllE0_EEPmJS9_EEE10hipError_tPvRmT3_T4_T5_T6_T7_T9_mT8_P12ihipStream_tbDpT10_ENKUlT_T0_E_clISt17integral_constantIbLb1EES1C_EEDaS17_S18_EUlS17_E_NS1_11comp_targetILNS1_3genE10ELNS1_11target_archE1200ELNS1_3gpuE4ELNS1_3repE0EEENS1_30default_config_static_selectorELNS0_4arch9wavefront6targetE1EEEvT1_
    .private_segment_fixed_size: 0
    .sgpr_count:     6
    .sgpr_spill_count: 0
    .symbol:         _ZN7rocprim17ROCPRIM_400000_NS6detail17trampoline_kernelINS0_14default_configENS1_25partition_config_selectorILNS1_17partition_subalgoE9EllbEEZZNS1_14partition_implILS5_9ELb0ES3_jPlS8_PNS0_10empty_typeENS0_5tupleIJS8_S9_EEENSB_IJS8_SA_EEENS0_18inequality_wrapperIZN2at6native12_GLOBAL__N_124unique_dim_cuda_templateIN3c104HalfEEESt5tupleIJNSF_6TensorESM_SM_EERKSM_lbbbEUlllE0_EEPmJS9_EEE10hipError_tPvRmT3_T4_T5_T6_T7_T9_mT8_P12ihipStream_tbDpT10_ENKUlT_T0_E_clISt17integral_constantIbLb1EES1C_EEDaS17_S18_EUlS17_E_NS1_11comp_targetILNS1_3genE10ELNS1_11target_archE1200ELNS1_3gpuE4ELNS1_3repE0EEENS1_30default_config_static_selectorELNS0_4arch9wavefront6targetE1EEEvT1_.kd
    .uniform_work_group_size: 1
    .uses_dynamic_stack: false
    .vgpr_count:     0
    .vgpr_spill_count: 0
    .wavefront_size: 64
  - .agpr_count:     0
    .args:
      - .offset:         0
        .size:           136
        .value_kind:     by_value
    .group_segment_fixed_size: 0
    .kernarg_segment_align: 8
    .kernarg_segment_size: 136
    .language:       OpenCL C
    .language_version:
      - 2
      - 0
    .max_flat_workgroup_size: 512
    .name:           _ZN7rocprim17ROCPRIM_400000_NS6detail17trampoline_kernelINS0_14default_configENS1_25partition_config_selectorILNS1_17partition_subalgoE9EllbEEZZNS1_14partition_implILS5_9ELb0ES3_jPlS8_PNS0_10empty_typeENS0_5tupleIJS8_S9_EEENSB_IJS8_SA_EEENS0_18inequality_wrapperIZN2at6native12_GLOBAL__N_124unique_dim_cuda_templateIN3c104HalfEEESt5tupleIJNSF_6TensorESM_SM_EERKSM_lbbbEUlllE0_EEPmJS9_EEE10hipError_tPvRmT3_T4_T5_T6_T7_T9_mT8_P12ihipStream_tbDpT10_ENKUlT_T0_E_clISt17integral_constantIbLb1EES1C_EEDaS17_S18_EUlS17_E_NS1_11comp_targetILNS1_3genE9ELNS1_11target_archE1100ELNS1_3gpuE3ELNS1_3repE0EEENS1_30default_config_static_selectorELNS0_4arch9wavefront6targetE1EEEvT1_
    .private_segment_fixed_size: 0
    .sgpr_count:     6
    .sgpr_spill_count: 0
    .symbol:         _ZN7rocprim17ROCPRIM_400000_NS6detail17trampoline_kernelINS0_14default_configENS1_25partition_config_selectorILNS1_17partition_subalgoE9EllbEEZZNS1_14partition_implILS5_9ELb0ES3_jPlS8_PNS0_10empty_typeENS0_5tupleIJS8_S9_EEENSB_IJS8_SA_EEENS0_18inequality_wrapperIZN2at6native12_GLOBAL__N_124unique_dim_cuda_templateIN3c104HalfEEESt5tupleIJNSF_6TensorESM_SM_EERKSM_lbbbEUlllE0_EEPmJS9_EEE10hipError_tPvRmT3_T4_T5_T6_T7_T9_mT8_P12ihipStream_tbDpT10_ENKUlT_T0_E_clISt17integral_constantIbLb1EES1C_EEDaS17_S18_EUlS17_E_NS1_11comp_targetILNS1_3genE9ELNS1_11target_archE1100ELNS1_3gpuE3ELNS1_3repE0EEENS1_30default_config_static_selectorELNS0_4arch9wavefront6targetE1EEEvT1_.kd
    .uniform_work_group_size: 1
    .uses_dynamic_stack: false
    .vgpr_count:     0
    .vgpr_spill_count: 0
    .wavefront_size: 64
  - .agpr_count:     0
    .args:
      - .offset:         0
        .size:           136
        .value_kind:     by_value
    .group_segment_fixed_size: 0
    .kernarg_segment_align: 8
    .kernarg_segment_size: 136
    .language:       OpenCL C
    .language_version:
      - 2
      - 0
    .max_flat_workgroup_size: 512
    .name:           _ZN7rocprim17ROCPRIM_400000_NS6detail17trampoline_kernelINS0_14default_configENS1_25partition_config_selectorILNS1_17partition_subalgoE9EllbEEZZNS1_14partition_implILS5_9ELb0ES3_jPlS8_PNS0_10empty_typeENS0_5tupleIJS8_S9_EEENSB_IJS8_SA_EEENS0_18inequality_wrapperIZN2at6native12_GLOBAL__N_124unique_dim_cuda_templateIN3c104HalfEEESt5tupleIJNSF_6TensorESM_SM_EERKSM_lbbbEUlllE0_EEPmJS9_EEE10hipError_tPvRmT3_T4_T5_T6_T7_T9_mT8_P12ihipStream_tbDpT10_ENKUlT_T0_E_clISt17integral_constantIbLb1EES1C_EEDaS17_S18_EUlS17_E_NS1_11comp_targetILNS1_3genE8ELNS1_11target_archE1030ELNS1_3gpuE2ELNS1_3repE0EEENS1_30default_config_static_selectorELNS0_4arch9wavefront6targetE1EEEvT1_
    .private_segment_fixed_size: 0
    .sgpr_count:     6
    .sgpr_spill_count: 0
    .symbol:         _ZN7rocprim17ROCPRIM_400000_NS6detail17trampoline_kernelINS0_14default_configENS1_25partition_config_selectorILNS1_17partition_subalgoE9EllbEEZZNS1_14partition_implILS5_9ELb0ES3_jPlS8_PNS0_10empty_typeENS0_5tupleIJS8_S9_EEENSB_IJS8_SA_EEENS0_18inequality_wrapperIZN2at6native12_GLOBAL__N_124unique_dim_cuda_templateIN3c104HalfEEESt5tupleIJNSF_6TensorESM_SM_EERKSM_lbbbEUlllE0_EEPmJS9_EEE10hipError_tPvRmT3_T4_T5_T6_T7_T9_mT8_P12ihipStream_tbDpT10_ENKUlT_T0_E_clISt17integral_constantIbLb1EES1C_EEDaS17_S18_EUlS17_E_NS1_11comp_targetILNS1_3genE8ELNS1_11target_archE1030ELNS1_3gpuE2ELNS1_3repE0EEENS1_30default_config_static_selectorELNS0_4arch9wavefront6targetE1EEEvT1_.kd
    .uniform_work_group_size: 1
    .uses_dynamic_stack: false
    .vgpr_count:     0
    .vgpr_spill_count: 0
    .wavefront_size: 64
  - .agpr_count:     0
    .args:
      - .offset:         0
        .size:           120
        .value_kind:     by_value
    .group_segment_fixed_size: 0
    .kernarg_segment_align: 8
    .kernarg_segment_size: 120
    .language:       OpenCL C
    .language_version:
      - 2
      - 0
    .max_flat_workgroup_size: 128
    .name:           _ZN7rocprim17ROCPRIM_400000_NS6detail17trampoline_kernelINS0_14default_configENS1_25partition_config_selectorILNS1_17partition_subalgoE9EllbEEZZNS1_14partition_implILS5_9ELb0ES3_jPlS8_PNS0_10empty_typeENS0_5tupleIJS8_S9_EEENSB_IJS8_SA_EEENS0_18inequality_wrapperIZN2at6native12_GLOBAL__N_124unique_dim_cuda_templateIN3c104HalfEEESt5tupleIJNSF_6TensorESM_SM_EERKSM_lbbbEUlllE0_EEPmJS9_EEE10hipError_tPvRmT3_T4_T5_T6_T7_T9_mT8_P12ihipStream_tbDpT10_ENKUlT_T0_E_clISt17integral_constantIbLb1EES1B_IbLb0EEEEDaS17_S18_EUlS17_E_NS1_11comp_targetILNS1_3genE0ELNS1_11target_archE4294967295ELNS1_3gpuE0ELNS1_3repE0EEENS1_30default_config_static_selectorELNS0_4arch9wavefront6targetE1EEEvT1_
    .private_segment_fixed_size: 0
    .sgpr_count:     6
    .sgpr_spill_count: 0
    .symbol:         _ZN7rocprim17ROCPRIM_400000_NS6detail17trampoline_kernelINS0_14default_configENS1_25partition_config_selectorILNS1_17partition_subalgoE9EllbEEZZNS1_14partition_implILS5_9ELb0ES3_jPlS8_PNS0_10empty_typeENS0_5tupleIJS8_S9_EEENSB_IJS8_SA_EEENS0_18inequality_wrapperIZN2at6native12_GLOBAL__N_124unique_dim_cuda_templateIN3c104HalfEEESt5tupleIJNSF_6TensorESM_SM_EERKSM_lbbbEUlllE0_EEPmJS9_EEE10hipError_tPvRmT3_T4_T5_T6_T7_T9_mT8_P12ihipStream_tbDpT10_ENKUlT_T0_E_clISt17integral_constantIbLb1EES1B_IbLb0EEEEDaS17_S18_EUlS17_E_NS1_11comp_targetILNS1_3genE0ELNS1_11target_archE4294967295ELNS1_3gpuE0ELNS1_3repE0EEENS1_30default_config_static_selectorELNS0_4arch9wavefront6targetE1EEEvT1_.kd
    .uniform_work_group_size: 1
    .uses_dynamic_stack: false
    .vgpr_count:     0
    .vgpr_spill_count: 0
    .wavefront_size: 64
  - .agpr_count:     0
    .args:
      - .offset:         0
        .size:           120
        .value_kind:     by_value
    .group_segment_fixed_size: 28684
    .kernarg_segment_align: 8
    .kernarg_segment_size: 120
    .language:       OpenCL C
    .language_version:
      - 2
      - 0
    .max_flat_workgroup_size: 512
    .name:           _ZN7rocprim17ROCPRIM_400000_NS6detail17trampoline_kernelINS0_14default_configENS1_25partition_config_selectorILNS1_17partition_subalgoE9EllbEEZZNS1_14partition_implILS5_9ELb0ES3_jPlS8_PNS0_10empty_typeENS0_5tupleIJS8_S9_EEENSB_IJS8_SA_EEENS0_18inequality_wrapperIZN2at6native12_GLOBAL__N_124unique_dim_cuda_templateIN3c104HalfEEESt5tupleIJNSF_6TensorESM_SM_EERKSM_lbbbEUlllE0_EEPmJS9_EEE10hipError_tPvRmT3_T4_T5_T6_T7_T9_mT8_P12ihipStream_tbDpT10_ENKUlT_T0_E_clISt17integral_constantIbLb1EES1B_IbLb0EEEEDaS17_S18_EUlS17_E_NS1_11comp_targetILNS1_3genE5ELNS1_11target_archE942ELNS1_3gpuE9ELNS1_3repE0EEENS1_30default_config_static_selectorELNS0_4arch9wavefront6targetE1EEEvT1_
    .private_segment_fixed_size: 0
    .sgpr_count:     58
    .sgpr_spill_count: 0
    .symbol:         _ZN7rocprim17ROCPRIM_400000_NS6detail17trampoline_kernelINS0_14default_configENS1_25partition_config_selectorILNS1_17partition_subalgoE9EllbEEZZNS1_14partition_implILS5_9ELb0ES3_jPlS8_PNS0_10empty_typeENS0_5tupleIJS8_S9_EEENSB_IJS8_SA_EEENS0_18inequality_wrapperIZN2at6native12_GLOBAL__N_124unique_dim_cuda_templateIN3c104HalfEEESt5tupleIJNSF_6TensorESM_SM_EERKSM_lbbbEUlllE0_EEPmJS9_EEE10hipError_tPvRmT3_T4_T5_T6_T7_T9_mT8_P12ihipStream_tbDpT10_ENKUlT_T0_E_clISt17integral_constantIbLb1EES1B_IbLb0EEEEDaS17_S18_EUlS17_E_NS1_11comp_targetILNS1_3genE5ELNS1_11target_archE942ELNS1_3gpuE9ELNS1_3repE0EEENS1_30default_config_static_selectorELNS0_4arch9wavefront6targetE1EEEvT1_.kd
    .uniform_work_group_size: 1
    .uses_dynamic_stack: false
    .vgpr_count:     66
    .vgpr_spill_count: 0
    .wavefront_size: 64
  - .agpr_count:     0
    .args:
      - .offset:         0
        .size:           120
        .value_kind:     by_value
    .group_segment_fixed_size: 0
    .kernarg_segment_align: 8
    .kernarg_segment_size: 120
    .language:       OpenCL C
    .language_version:
      - 2
      - 0
    .max_flat_workgroup_size: 128
    .name:           _ZN7rocprim17ROCPRIM_400000_NS6detail17trampoline_kernelINS0_14default_configENS1_25partition_config_selectorILNS1_17partition_subalgoE9EllbEEZZNS1_14partition_implILS5_9ELb0ES3_jPlS8_PNS0_10empty_typeENS0_5tupleIJS8_S9_EEENSB_IJS8_SA_EEENS0_18inequality_wrapperIZN2at6native12_GLOBAL__N_124unique_dim_cuda_templateIN3c104HalfEEESt5tupleIJNSF_6TensorESM_SM_EERKSM_lbbbEUlllE0_EEPmJS9_EEE10hipError_tPvRmT3_T4_T5_T6_T7_T9_mT8_P12ihipStream_tbDpT10_ENKUlT_T0_E_clISt17integral_constantIbLb1EES1B_IbLb0EEEEDaS17_S18_EUlS17_E_NS1_11comp_targetILNS1_3genE4ELNS1_11target_archE910ELNS1_3gpuE8ELNS1_3repE0EEENS1_30default_config_static_selectorELNS0_4arch9wavefront6targetE1EEEvT1_
    .private_segment_fixed_size: 0
    .sgpr_count:     6
    .sgpr_spill_count: 0
    .symbol:         _ZN7rocprim17ROCPRIM_400000_NS6detail17trampoline_kernelINS0_14default_configENS1_25partition_config_selectorILNS1_17partition_subalgoE9EllbEEZZNS1_14partition_implILS5_9ELb0ES3_jPlS8_PNS0_10empty_typeENS0_5tupleIJS8_S9_EEENSB_IJS8_SA_EEENS0_18inequality_wrapperIZN2at6native12_GLOBAL__N_124unique_dim_cuda_templateIN3c104HalfEEESt5tupleIJNSF_6TensorESM_SM_EERKSM_lbbbEUlllE0_EEPmJS9_EEE10hipError_tPvRmT3_T4_T5_T6_T7_T9_mT8_P12ihipStream_tbDpT10_ENKUlT_T0_E_clISt17integral_constantIbLb1EES1B_IbLb0EEEEDaS17_S18_EUlS17_E_NS1_11comp_targetILNS1_3genE4ELNS1_11target_archE910ELNS1_3gpuE8ELNS1_3repE0EEENS1_30default_config_static_selectorELNS0_4arch9wavefront6targetE1EEEvT1_.kd
    .uniform_work_group_size: 1
    .uses_dynamic_stack: false
    .vgpr_count:     0
    .vgpr_spill_count: 0
    .wavefront_size: 64
  - .agpr_count:     0
    .args:
      - .offset:         0
        .size:           120
        .value_kind:     by_value
    .group_segment_fixed_size: 0
    .kernarg_segment_align: 8
    .kernarg_segment_size: 120
    .language:       OpenCL C
    .language_version:
      - 2
      - 0
    .max_flat_workgroup_size: 128
    .name:           _ZN7rocprim17ROCPRIM_400000_NS6detail17trampoline_kernelINS0_14default_configENS1_25partition_config_selectorILNS1_17partition_subalgoE9EllbEEZZNS1_14partition_implILS5_9ELb0ES3_jPlS8_PNS0_10empty_typeENS0_5tupleIJS8_S9_EEENSB_IJS8_SA_EEENS0_18inequality_wrapperIZN2at6native12_GLOBAL__N_124unique_dim_cuda_templateIN3c104HalfEEESt5tupleIJNSF_6TensorESM_SM_EERKSM_lbbbEUlllE0_EEPmJS9_EEE10hipError_tPvRmT3_T4_T5_T6_T7_T9_mT8_P12ihipStream_tbDpT10_ENKUlT_T0_E_clISt17integral_constantIbLb1EES1B_IbLb0EEEEDaS17_S18_EUlS17_E_NS1_11comp_targetILNS1_3genE3ELNS1_11target_archE908ELNS1_3gpuE7ELNS1_3repE0EEENS1_30default_config_static_selectorELNS0_4arch9wavefront6targetE1EEEvT1_
    .private_segment_fixed_size: 0
    .sgpr_count:     6
    .sgpr_spill_count: 0
    .symbol:         _ZN7rocprim17ROCPRIM_400000_NS6detail17trampoline_kernelINS0_14default_configENS1_25partition_config_selectorILNS1_17partition_subalgoE9EllbEEZZNS1_14partition_implILS5_9ELb0ES3_jPlS8_PNS0_10empty_typeENS0_5tupleIJS8_S9_EEENSB_IJS8_SA_EEENS0_18inequality_wrapperIZN2at6native12_GLOBAL__N_124unique_dim_cuda_templateIN3c104HalfEEESt5tupleIJNSF_6TensorESM_SM_EERKSM_lbbbEUlllE0_EEPmJS9_EEE10hipError_tPvRmT3_T4_T5_T6_T7_T9_mT8_P12ihipStream_tbDpT10_ENKUlT_T0_E_clISt17integral_constantIbLb1EES1B_IbLb0EEEEDaS17_S18_EUlS17_E_NS1_11comp_targetILNS1_3genE3ELNS1_11target_archE908ELNS1_3gpuE7ELNS1_3repE0EEENS1_30default_config_static_selectorELNS0_4arch9wavefront6targetE1EEEvT1_.kd
    .uniform_work_group_size: 1
    .uses_dynamic_stack: false
    .vgpr_count:     0
    .vgpr_spill_count: 0
    .wavefront_size: 64
  - .agpr_count:     0
    .args:
      - .offset:         0
        .size:           120
        .value_kind:     by_value
    .group_segment_fixed_size: 0
    .kernarg_segment_align: 8
    .kernarg_segment_size: 120
    .language:       OpenCL C
    .language_version:
      - 2
      - 0
    .max_flat_workgroup_size: 192
    .name:           _ZN7rocprim17ROCPRIM_400000_NS6detail17trampoline_kernelINS0_14default_configENS1_25partition_config_selectorILNS1_17partition_subalgoE9EllbEEZZNS1_14partition_implILS5_9ELb0ES3_jPlS8_PNS0_10empty_typeENS0_5tupleIJS8_S9_EEENSB_IJS8_SA_EEENS0_18inequality_wrapperIZN2at6native12_GLOBAL__N_124unique_dim_cuda_templateIN3c104HalfEEESt5tupleIJNSF_6TensorESM_SM_EERKSM_lbbbEUlllE0_EEPmJS9_EEE10hipError_tPvRmT3_T4_T5_T6_T7_T9_mT8_P12ihipStream_tbDpT10_ENKUlT_T0_E_clISt17integral_constantIbLb1EES1B_IbLb0EEEEDaS17_S18_EUlS17_E_NS1_11comp_targetILNS1_3genE2ELNS1_11target_archE906ELNS1_3gpuE6ELNS1_3repE0EEENS1_30default_config_static_selectorELNS0_4arch9wavefront6targetE1EEEvT1_
    .private_segment_fixed_size: 0
    .sgpr_count:     6
    .sgpr_spill_count: 0
    .symbol:         _ZN7rocprim17ROCPRIM_400000_NS6detail17trampoline_kernelINS0_14default_configENS1_25partition_config_selectorILNS1_17partition_subalgoE9EllbEEZZNS1_14partition_implILS5_9ELb0ES3_jPlS8_PNS0_10empty_typeENS0_5tupleIJS8_S9_EEENSB_IJS8_SA_EEENS0_18inequality_wrapperIZN2at6native12_GLOBAL__N_124unique_dim_cuda_templateIN3c104HalfEEESt5tupleIJNSF_6TensorESM_SM_EERKSM_lbbbEUlllE0_EEPmJS9_EEE10hipError_tPvRmT3_T4_T5_T6_T7_T9_mT8_P12ihipStream_tbDpT10_ENKUlT_T0_E_clISt17integral_constantIbLb1EES1B_IbLb0EEEEDaS17_S18_EUlS17_E_NS1_11comp_targetILNS1_3genE2ELNS1_11target_archE906ELNS1_3gpuE6ELNS1_3repE0EEENS1_30default_config_static_selectorELNS0_4arch9wavefront6targetE1EEEvT1_.kd
    .uniform_work_group_size: 1
    .uses_dynamic_stack: false
    .vgpr_count:     0
    .vgpr_spill_count: 0
    .wavefront_size: 64
  - .agpr_count:     0
    .args:
      - .offset:         0
        .size:           120
        .value_kind:     by_value
    .group_segment_fixed_size: 0
    .kernarg_segment_align: 8
    .kernarg_segment_size: 120
    .language:       OpenCL C
    .language_version:
      - 2
      - 0
    .max_flat_workgroup_size: 384
    .name:           _ZN7rocprim17ROCPRIM_400000_NS6detail17trampoline_kernelINS0_14default_configENS1_25partition_config_selectorILNS1_17partition_subalgoE9EllbEEZZNS1_14partition_implILS5_9ELb0ES3_jPlS8_PNS0_10empty_typeENS0_5tupleIJS8_S9_EEENSB_IJS8_SA_EEENS0_18inequality_wrapperIZN2at6native12_GLOBAL__N_124unique_dim_cuda_templateIN3c104HalfEEESt5tupleIJNSF_6TensorESM_SM_EERKSM_lbbbEUlllE0_EEPmJS9_EEE10hipError_tPvRmT3_T4_T5_T6_T7_T9_mT8_P12ihipStream_tbDpT10_ENKUlT_T0_E_clISt17integral_constantIbLb1EES1B_IbLb0EEEEDaS17_S18_EUlS17_E_NS1_11comp_targetILNS1_3genE10ELNS1_11target_archE1200ELNS1_3gpuE4ELNS1_3repE0EEENS1_30default_config_static_selectorELNS0_4arch9wavefront6targetE1EEEvT1_
    .private_segment_fixed_size: 0
    .sgpr_count:     6
    .sgpr_spill_count: 0
    .symbol:         _ZN7rocprim17ROCPRIM_400000_NS6detail17trampoline_kernelINS0_14default_configENS1_25partition_config_selectorILNS1_17partition_subalgoE9EllbEEZZNS1_14partition_implILS5_9ELb0ES3_jPlS8_PNS0_10empty_typeENS0_5tupleIJS8_S9_EEENSB_IJS8_SA_EEENS0_18inequality_wrapperIZN2at6native12_GLOBAL__N_124unique_dim_cuda_templateIN3c104HalfEEESt5tupleIJNSF_6TensorESM_SM_EERKSM_lbbbEUlllE0_EEPmJS9_EEE10hipError_tPvRmT3_T4_T5_T6_T7_T9_mT8_P12ihipStream_tbDpT10_ENKUlT_T0_E_clISt17integral_constantIbLb1EES1B_IbLb0EEEEDaS17_S18_EUlS17_E_NS1_11comp_targetILNS1_3genE10ELNS1_11target_archE1200ELNS1_3gpuE4ELNS1_3repE0EEENS1_30default_config_static_selectorELNS0_4arch9wavefront6targetE1EEEvT1_.kd
    .uniform_work_group_size: 1
    .uses_dynamic_stack: false
    .vgpr_count:     0
    .vgpr_spill_count: 0
    .wavefront_size: 64
  - .agpr_count:     0
    .args:
      - .offset:         0
        .size:           120
        .value_kind:     by_value
    .group_segment_fixed_size: 0
    .kernarg_segment_align: 8
    .kernarg_segment_size: 120
    .language:       OpenCL C
    .language_version:
      - 2
      - 0
    .max_flat_workgroup_size: 512
    .name:           _ZN7rocprim17ROCPRIM_400000_NS6detail17trampoline_kernelINS0_14default_configENS1_25partition_config_selectorILNS1_17partition_subalgoE9EllbEEZZNS1_14partition_implILS5_9ELb0ES3_jPlS8_PNS0_10empty_typeENS0_5tupleIJS8_S9_EEENSB_IJS8_SA_EEENS0_18inequality_wrapperIZN2at6native12_GLOBAL__N_124unique_dim_cuda_templateIN3c104HalfEEESt5tupleIJNSF_6TensorESM_SM_EERKSM_lbbbEUlllE0_EEPmJS9_EEE10hipError_tPvRmT3_T4_T5_T6_T7_T9_mT8_P12ihipStream_tbDpT10_ENKUlT_T0_E_clISt17integral_constantIbLb1EES1B_IbLb0EEEEDaS17_S18_EUlS17_E_NS1_11comp_targetILNS1_3genE9ELNS1_11target_archE1100ELNS1_3gpuE3ELNS1_3repE0EEENS1_30default_config_static_selectorELNS0_4arch9wavefront6targetE1EEEvT1_
    .private_segment_fixed_size: 0
    .sgpr_count:     6
    .sgpr_spill_count: 0
    .symbol:         _ZN7rocprim17ROCPRIM_400000_NS6detail17trampoline_kernelINS0_14default_configENS1_25partition_config_selectorILNS1_17partition_subalgoE9EllbEEZZNS1_14partition_implILS5_9ELb0ES3_jPlS8_PNS0_10empty_typeENS0_5tupleIJS8_S9_EEENSB_IJS8_SA_EEENS0_18inequality_wrapperIZN2at6native12_GLOBAL__N_124unique_dim_cuda_templateIN3c104HalfEEESt5tupleIJNSF_6TensorESM_SM_EERKSM_lbbbEUlllE0_EEPmJS9_EEE10hipError_tPvRmT3_T4_T5_T6_T7_T9_mT8_P12ihipStream_tbDpT10_ENKUlT_T0_E_clISt17integral_constantIbLb1EES1B_IbLb0EEEEDaS17_S18_EUlS17_E_NS1_11comp_targetILNS1_3genE9ELNS1_11target_archE1100ELNS1_3gpuE3ELNS1_3repE0EEENS1_30default_config_static_selectorELNS0_4arch9wavefront6targetE1EEEvT1_.kd
    .uniform_work_group_size: 1
    .uses_dynamic_stack: false
    .vgpr_count:     0
    .vgpr_spill_count: 0
    .wavefront_size: 64
  - .agpr_count:     0
    .args:
      - .offset:         0
        .size:           120
        .value_kind:     by_value
    .group_segment_fixed_size: 0
    .kernarg_segment_align: 8
    .kernarg_segment_size: 120
    .language:       OpenCL C
    .language_version:
      - 2
      - 0
    .max_flat_workgroup_size: 512
    .name:           _ZN7rocprim17ROCPRIM_400000_NS6detail17trampoline_kernelINS0_14default_configENS1_25partition_config_selectorILNS1_17partition_subalgoE9EllbEEZZNS1_14partition_implILS5_9ELb0ES3_jPlS8_PNS0_10empty_typeENS0_5tupleIJS8_S9_EEENSB_IJS8_SA_EEENS0_18inequality_wrapperIZN2at6native12_GLOBAL__N_124unique_dim_cuda_templateIN3c104HalfEEESt5tupleIJNSF_6TensorESM_SM_EERKSM_lbbbEUlllE0_EEPmJS9_EEE10hipError_tPvRmT3_T4_T5_T6_T7_T9_mT8_P12ihipStream_tbDpT10_ENKUlT_T0_E_clISt17integral_constantIbLb1EES1B_IbLb0EEEEDaS17_S18_EUlS17_E_NS1_11comp_targetILNS1_3genE8ELNS1_11target_archE1030ELNS1_3gpuE2ELNS1_3repE0EEENS1_30default_config_static_selectorELNS0_4arch9wavefront6targetE1EEEvT1_
    .private_segment_fixed_size: 0
    .sgpr_count:     6
    .sgpr_spill_count: 0
    .symbol:         _ZN7rocprim17ROCPRIM_400000_NS6detail17trampoline_kernelINS0_14default_configENS1_25partition_config_selectorILNS1_17partition_subalgoE9EllbEEZZNS1_14partition_implILS5_9ELb0ES3_jPlS8_PNS0_10empty_typeENS0_5tupleIJS8_S9_EEENSB_IJS8_SA_EEENS0_18inequality_wrapperIZN2at6native12_GLOBAL__N_124unique_dim_cuda_templateIN3c104HalfEEESt5tupleIJNSF_6TensorESM_SM_EERKSM_lbbbEUlllE0_EEPmJS9_EEE10hipError_tPvRmT3_T4_T5_T6_T7_T9_mT8_P12ihipStream_tbDpT10_ENKUlT_T0_E_clISt17integral_constantIbLb1EES1B_IbLb0EEEEDaS17_S18_EUlS17_E_NS1_11comp_targetILNS1_3genE8ELNS1_11target_archE1030ELNS1_3gpuE2ELNS1_3repE0EEENS1_30default_config_static_selectorELNS0_4arch9wavefront6targetE1EEEvT1_.kd
    .uniform_work_group_size: 1
    .uses_dynamic_stack: false
    .vgpr_count:     0
    .vgpr_spill_count: 0
    .wavefront_size: 64
  - .agpr_count:     0
    .args:
      - .offset:         0
        .size:           136
        .value_kind:     by_value
    .group_segment_fixed_size: 0
    .kernarg_segment_align: 8
    .kernarg_segment_size: 136
    .language:       OpenCL C
    .language_version:
      - 2
      - 0
    .max_flat_workgroup_size: 128
    .name:           _ZN7rocprim17ROCPRIM_400000_NS6detail17trampoline_kernelINS0_14default_configENS1_25partition_config_selectorILNS1_17partition_subalgoE9EllbEEZZNS1_14partition_implILS5_9ELb0ES3_jPlS8_PNS0_10empty_typeENS0_5tupleIJS8_S9_EEENSB_IJS8_SA_EEENS0_18inequality_wrapperIZN2at6native12_GLOBAL__N_124unique_dim_cuda_templateIN3c104HalfEEESt5tupleIJNSF_6TensorESM_SM_EERKSM_lbbbEUlllE0_EEPmJS9_EEE10hipError_tPvRmT3_T4_T5_T6_T7_T9_mT8_P12ihipStream_tbDpT10_ENKUlT_T0_E_clISt17integral_constantIbLb0EES1B_IbLb1EEEEDaS17_S18_EUlS17_E_NS1_11comp_targetILNS1_3genE0ELNS1_11target_archE4294967295ELNS1_3gpuE0ELNS1_3repE0EEENS1_30default_config_static_selectorELNS0_4arch9wavefront6targetE1EEEvT1_
    .private_segment_fixed_size: 0
    .sgpr_count:     6
    .sgpr_spill_count: 0
    .symbol:         _ZN7rocprim17ROCPRIM_400000_NS6detail17trampoline_kernelINS0_14default_configENS1_25partition_config_selectorILNS1_17partition_subalgoE9EllbEEZZNS1_14partition_implILS5_9ELb0ES3_jPlS8_PNS0_10empty_typeENS0_5tupleIJS8_S9_EEENSB_IJS8_SA_EEENS0_18inequality_wrapperIZN2at6native12_GLOBAL__N_124unique_dim_cuda_templateIN3c104HalfEEESt5tupleIJNSF_6TensorESM_SM_EERKSM_lbbbEUlllE0_EEPmJS9_EEE10hipError_tPvRmT3_T4_T5_T6_T7_T9_mT8_P12ihipStream_tbDpT10_ENKUlT_T0_E_clISt17integral_constantIbLb0EES1B_IbLb1EEEEDaS17_S18_EUlS17_E_NS1_11comp_targetILNS1_3genE0ELNS1_11target_archE4294967295ELNS1_3gpuE0ELNS1_3repE0EEENS1_30default_config_static_selectorELNS0_4arch9wavefront6targetE1EEEvT1_.kd
    .uniform_work_group_size: 1
    .uses_dynamic_stack: false
    .vgpr_count:     0
    .vgpr_spill_count: 0
    .wavefront_size: 64
  - .agpr_count:     0
    .args:
      - .offset:         0
        .size:           136
        .value_kind:     by_value
    .group_segment_fixed_size: 28684
    .kernarg_segment_align: 8
    .kernarg_segment_size: 136
    .language:       OpenCL C
    .language_version:
      - 2
      - 0
    .max_flat_workgroup_size: 512
    .name:           _ZN7rocprim17ROCPRIM_400000_NS6detail17trampoline_kernelINS0_14default_configENS1_25partition_config_selectorILNS1_17partition_subalgoE9EllbEEZZNS1_14partition_implILS5_9ELb0ES3_jPlS8_PNS0_10empty_typeENS0_5tupleIJS8_S9_EEENSB_IJS8_SA_EEENS0_18inequality_wrapperIZN2at6native12_GLOBAL__N_124unique_dim_cuda_templateIN3c104HalfEEESt5tupleIJNSF_6TensorESM_SM_EERKSM_lbbbEUlllE0_EEPmJS9_EEE10hipError_tPvRmT3_T4_T5_T6_T7_T9_mT8_P12ihipStream_tbDpT10_ENKUlT_T0_E_clISt17integral_constantIbLb0EES1B_IbLb1EEEEDaS17_S18_EUlS17_E_NS1_11comp_targetILNS1_3genE5ELNS1_11target_archE942ELNS1_3gpuE9ELNS1_3repE0EEENS1_30default_config_static_selectorELNS0_4arch9wavefront6targetE1EEEvT1_
    .private_segment_fixed_size: 0
    .sgpr_count:     64
    .sgpr_spill_count: 0
    .symbol:         _ZN7rocprim17ROCPRIM_400000_NS6detail17trampoline_kernelINS0_14default_configENS1_25partition_config_selectorILNS1_17partition_subalgoE9EllbEEZZNS1_14partition_implILS5_9ELb0ES3_jPlS8_PNS0_10empty_typeENS0_5tupleIJS8_S9_EEENSB_IJS8_SA_EEENS0_18inequality_wrapperIZN2at6native12_GLOBAL__N_124unique_dim_cuda_templateIN3c104HalfEEESt5tupleIJNSF_6TensorESM_SM_EERKSM_lbbbEUlllE0_EEPmJS9_EEE10hipError_tPvRmT3_T4_T5_T6_T7_T9_mT8_P12ihipStream_tbDpT10_ENKUlT_T0_E_clISt17integral_constantIbLb0EES1B_IbLb1EEEEDaS17_S18_EUlS17_E_NS1_11comp_targetILNS1_3genE5ELNS1_11target_archE942ELNS1_3gpuE9ELNS1_3repE0EEENS1_30default_config_static_selectorELNS0_4arch9wavefront6targetE1EEEvT1_.kd
    .uniform_work_group_size: 1
    .uses_dynamic_stack: false
    .vgpr_count:     66
    .vgpr_spill_count: 0
    .wavefront_size: 64
  - .agpr_count:     0
    .args:
      - .offset:         0
        .size:           136
        .value_kind:     by_value
    .group_segment_fixed_size: 0
    .kernarg_segment_align: 8
    .kernarg_segment_size: 136
    .language:       OpenCL C
    .language_version:
      - 2
      - 0
    .max_flat_workgroup_size: 128
    .name:           _ZN7rocprim17ROCPRIM_400000_NS6detail17trampoline_kernelINS0_14default_configENS1_25partition_config_selectorILNS1_17partition_subalgoE9EllbEEZZNS1_14partition_implILS5_9ELb0ES3_jPlS8_PNS0_10empty_typeENS0_5tupleIJS8_S9_EEENSB_IJS8_SA_EEENS0_18inequality_wrapperIZN2at6native12_GLOBAL__N_124unique_dim_cuda_templateIN3c104HalfEEESt5tupleIJNSF_6TensorESM_SM_EERKSM_lbbbEUlllE0_EEPmJS9_EEE10hipError_tPvRmT3_T4_T5_T6_T7_T9_mT8_P12ihipStream_tbDpT10_ENKUlT_T0_E_clISt17integral_constantIbLb0EES1B_IbLb1EEEEDaS17_S18_EUlS17_E_NS1_11comp_targetILNS1_3genE4ELNS1_11target_archE910ELNS1_3gpuE8ELNS1_3repE0EEENS1_30default_config_static_selectorELNS0_4arch9wavefront6targetE1EEEvT1_
    .private_segment_fixed_size: 0
    .sgpr_count:     6
    .sgpr_spill_count: 0
    .symbol:         _ZN7rocprim17ROCPRIM_400000_NS6detail17trampoline_kernelINS0_14default_configENS1_25partition_config_selectorILNS1_17partition_subalgoE9EllbEEZZNS1_14partition_implILS5_9ELb0ES3_jPlS8_PNS0_10empty_typeENS0_5tupleIJS8_S9_EEENSB_IJS8_SA_EEENS0_18inequality_wrapperIZN2at6native12_GLOBAL__N_124unique_dim_cuda_templateIN3c104HalfEEESt5tupleIJNSF_6TensorESM_SM_EERKSM_lbbbEUlllE0_EEPmJS9_EEE10hipError_tPvRmT3_T4_T5_T6_T7_T9_mT8_P12ihipStream_tbDpT10_ENKUlT_T0_E_clISt17integral_constantIbLb0EES1B_IbLb1EEEEDaS17_S18_EUlS17_E_NS1_11comp_targetILNS1_3genE4ELNS1_11target_archE910ELNS1_3gpuE8ELNS1_3repE0EEENS1_30default_config_static_selectorELNS0_4arch9wavefront6targetE1EEEvT1_.kd
    .uniform_work_group_size: 1
    .uses_dynamic_stack: false
    .vgpr_count:     0
    .vgpr_spill_count: 0
    .wavefront_size: 64
  - .agpr_count:     0
    .args:
      - .offset:         0
        .size:           136
        .value_kind:     by_value
    .group_segment_fixed_size: 0
    .kernarg_segment_align: 8
    .kernarg_segment_size: 136
    .language:       OpenCL C
    .language_version:
      - 2
      - 0
    .max_flat_workgroup_size: 128
    .name:           _ZN7rocprim17ROCPRIM_400000_NS6detail17trampoline_kernelINS0_14default_configENS1_25partition_config_selectorILNS1_17partition_subalgoE9EllbEEZZNS1_14partition_implILS5_9ELb0ES3_jPlS8_PNS0_10empty_typeENS0_5tupleIJS8_S9_EEENSB_IJS8_SA_EEENS0_18inequality_wrapperIZN2at6native12_GLOBAL__N_124unique_dim_cuda_templateIN3c104HalfEEESt5tupleIJNSF_6TensorESM_SM_EERKSM_lbbbEUlllE0_EEPmJS9_EEE10hipError_tPvRmT3_T4_T5_T6_T7_T9_mT8_P12ihipStream_tbDpT10_ENKUlT_T0_E_clISt17integral_constantIbLb0EES1B_IbLb1EEEEDaS17_S18_EUlS17_E_NS1_11comp_targetILNS1_3genE3ELNS1_11target_archE908ELNS1_3gpuE7ELNS1_3repE0EEENS1_30default_config_static_selectorELNS0_4arch9wavefront6targetE1EEEvT1_
    .private_segment_fixed_size: 0
    .sgpr_count:     6
    .sgpr_spill_count: 0
    .symbol:         _ZN7rocprim17ROCPRIM_400000_NS6detail17trampoline_kernelINS0_14default_configENS1_25partition_config_selectorILNS1_17partition_subalgoE9EllbEEZZNS1_14partition_implILS5_9ELb0ES3_jPlS8_PNS0_10empty_typeENS0_5tupleIJS8_S9_EEENSB_IJS8_SA_EEENS0_18inequality_wrapperIZN2at6native12_GLOBAL__N_124unique_dim_cuda_templateIN3c104HalfEEESt5tupleIJNSF_6TensorESM_SM_EERKSM_lbbbEUlllE0_EEPmJS9_EEE10hipError_tPvRmT3_T4_T5_T6_T7_T9_mT8_P12ihipStream_tbDpT10_ENKUlT_T0_E_clISt17integral_constantIbLb0EES1B_IbLb1EEEEDaS17_S18_EUlS17_E_NS1_11comp_targetILNS1_3genE3ELNS1_11target_archE908ELNS1_3gpuE7ELNS1_3repE0EEENS1_30default_config_static_selectorELNS0_4arch9wavefront6targetE1EEEvT1_.kd
    .uniform_work_group_size: 1
    .uses_dynamic_stack: false
    .vgpr_count:     0
    .vgpr_spill_count: 0
    .wavefront_size: 64
  - .agpr_count:     0
    .args:
      - .offset:         0
        .size:           136
        .value_kind:     by_value
    .group_segment_fixed_size: 0
    .kernarg_segment_align: 8
    .kernarg_segment_size: 136
    .language:       OpenCL C
    .language_version:
      - 2
      - 0
    .max_flat_workgroup_size: 192
    .name:           _ZN7rocprim17ROCPRIM_400000_NS6detail17trampoline_kernelINS0_14default_configENS1_25partition_config_selectorILNS1_17partition_subalgoE9EllbEEZZNS1_14partition_implILS5_9ELb0ES3_jPlS8_PNS0_10empty_typeENS0_5tupleIJS8_S9_EEENSB_IJS8_SA_EEENS0_18inequality_wrapperIZN2at6native12_GLOBAL__N_124unique_dim_cuda_templateIN3c104HalfEEESt5tupleIJNSF_6TensorESM_SM_EERKSM_lbbbEUlllE0_EEPmJS9_EEE10hipError_tPvRmT3_T4_T5_T6_T7_T9_mT8_P12ihipStream_tbDpT10_ENKUlT_T0_E_clISt17integral_constantIbLb0EES1B_IbLb1EEEEDaS17_S18_EUlS17_E_NS1_11comp_targetILNS1_3genE2ELNS1_11target_archE906ELNS1_3gpuE6ELNS1_3repE0EEENS1_30default_config_static_selectorELNS0_4arch9wavefront6targetE1EEEvT1_
    .private_segment_fixed_size: 0
    .sgpr_count:     6
    .sgpr_spill_count: 0
    .symbol:         _ZN7rocprim17ROCPRIM_400000_NS6detail17trampoline_kernelINS0_14default_configENS1_25partition_config_selectorILNS1_17partition_subalgoE9EllbEEZZNS1_14partition_implILS5_9ELb0ES3_jPlS8_PNS0_10empty_typeENS0_5tupleIJS8_S9_EEENSB_IJS8_SA_EEENS0_18inequality_wrapperIZN2at6native12_GLOBAL__N_124unique_dim_cuda_templateIN3c104HalfEEESt5tupleIJNSF_6TensorESM_SM_EERKSM_lbbbEUlllE0_EEPmJS9_EEE10hipError_tPvRmT3_T4_T5_T6_T7_T9_mT8_P12ihipStream_tbDpT10_ENKUlT_T0_E_clISt17integral_constantIbLb0EES1B_IbLb1EEEEDaS17_S18_EUlS17_E_NS1_11comp_targetILNS1_3genE2ELNS1_11target_archE906ELNS1_3gpuE6ELNS1_3repE0EEENS1_30default_config_static_selectorELNS0_4arch9wavefront6targetE1EEEvT1_.kd
    .uniform_work_group_size: 1
    .uses_dynamic_stack: false
    .vgpr_count:     0
    .vgpr_spill_count: 0
    .wavefront_size: 64
  - .agpr_count:     0
    .args:
      - .offset:         0
        .size:           136
        .value_kind:     by_value
    .group_segment_fixed_size: 0
    .kernarg_segment_align: 8
    .kernarg_segment_size: 136
    .language:       OpenCL C
    .language_version:
      - 2
      - 0
    .max_flat_workgroup_size: 384
    .name:           _ZN7rocprim17ROCPRIM_400000_NS6detail17trampoline_kernelINS0_14default_configENS1_25partition_config_selectorILNS1_17partition_subalgoE9EllbEEZZNS1_14partition_implILS5_9ELb0ES3_jPlS8_PNS0_10empty_typeENS0_5tupleIJS8_S9_EEENSB_IJS8_SA_EEENS0_18inequality_wrapperIZN2at6native12_GLOBAL__N_124unique_dim_cuda_templateIN3c104HalfEEESt5tupleIJNSF_6TensorESM_SM_EERKSM_lbbbEUlllE0_EEPmJS9_EEE10hipError_tPvRmT3_T4_T5_T6_T7_T9_mT8_P12ihipStream_tbDpT10_ENKUlT_T0_E_clISt17integral_constantIbLb0EES1B_IbLb1EEEEDaS17_S18_EUlS17_E_NS1_11comp_targetILNS1_3genE10ELNS1_11target_archE1200ELNS1_3gpuE4ELNS1_3repE0EEENS1_30default_config_static_selectorELNS0_4arch9wavefront6targetE1EEEvT1_
    .private_segment_fixed_size: 0
    .sgpr_count:     6
    .sgpr_spill_count: 0
    .symbol:         _ZN7rocprim17ROCPRIM_400000_NS6detail17trampoline_kernelINS0_14default_configENS1_25partition_config_selectorILNS1_17partition_subalgoE9EllbEEZZNS1_14partition_implILS5_9ELb0ES3_jPlS8_PNS0_10empty_typeENS0_5tupleIJS8_S9_EEENSB_IJS8_SA_EEENS0_18inequality_wrapperIZN2at6native12_GLOBAL__N_124unique_dim_cuda_templateIN3c104HalfEEESt5tupleIJNSF_6TensorESM_SM_EERKSM_lbbbEUlllE0_EEPmJS9_EEE10hipError_tPvRmT3_T4_T5_T6_T7_T9_mT8_P12ihipStream_tbDpT10_ENKUlT_T0_E_clISt17integral_constantIbLb0EES1B_IbLb1EEEEDaS17_S18_EUlS17_E_NS1_11comp_targetILNS1_3genE10ELNS1_11target_archE1200ELNS1_3gpuE4ELNS1_3repE0EEENS1_30default_config_static_selectorELNS0_4arch9wavefront6targetE1EEEvT1_.kd
    .uniform_work_group_size: 1
    .uses_dynamic_stack: false
    .vgpr_count:     0
    .vgpr_spill_count: 0
    .wavefront_size: 64
  - .agpr_count:     0
    .args:
      - .offset:         0
        .size:           136
        .value_kind:     by_value
    .group_segment_fixed_size: 0
    .kernarg_segment_align: 8
    .kernarg_segment_size: 136
    .language:       OpenCL C
    .language_version:
      - 2
      - 0
    .max_flat_workgroup_size: 512
    .name:           _ZN7rocprim17ROCPRIM_400000_NS6detail17trampoline_kernelINS0_14default_configENS1_25partition_config_selectorILNS1_17partition_subalgoE9EllbEEZZNS1_14partition_implILS5_9ELb0ES3_jPlS8_PNS0_10empty_typeENS0_5tupleIJS8_S9_EEENSB_IJS8_SA_EEENS0_18inequality_wrapperIZN2at6native12_GLOBAL__N_124unique_dim_cuda_templateIN3c104HalfEEESt5tupleIJNSF_6TensorESM_SM_EERKSM_lbbbEUlllE0_EEPmJS9_EEE10hipError_tPvRmT3_T4_T5_T6_T7_T9_mT8_P12ihipStream_tbDpT10_ENKUlT_T0_E_clISt17integral_constantIbLb0EES1B_IbLb1EEEEDaS17_S18_EUlS17_E_NS1_11comp_targetILNS1_3genE9ELNS1_11target_archE1100ELNS1_3gpuE3ELNS1_3repE0EEENS1_30default_config_static_selectorELNS0_4arch9wavefront6targetE1EEEvT1_
    .private_segment_fixed_size: 0
    .sgpr_count:     6
    .sgpr_spill_count: 0
    .symbol:         _ZN7rocprim17ROCPRIM_400000_NS6detail17trampoline_kernelINS0_14default_configENS1_25partition_config_selectorILNS1_17partition_subalgoE9EllbEEZZNS1_14partition_implILS5_9ELb0ES3_jPlS8_PNS0_10empty_typeENS0_5tupleIJS8_S9_EEENSB_IJS8_SA_EEENS0_18inequality_wrapperIZN2at6native12_GLOBAL__N_124unique_dim_cuda_templateIN3c104HalfEEESt5tupleIJNSF_6TensorESM_SM_EERKSM_lbbbEUlllE0_EEPmJS9_EEE10hipError_tPvRmT3_T4_T5_T6_T7_T9_mT8_P12ihipStream_tbDpT10_ENKUlT_T0_E_clISt17integral_constantIbLb0EES1B_IbLb1EEEEDaS17_S18_EUlS17_E_NS1_11comp_targetILNS1_3genE9ELNS1_11target_archE1100ELNS1_3gpuE3ELNS1_3repE0EEENS1_30default_config_static_selectorELNS0_4arch9wavefront6targetE1EEEvT1_.kd
    .uniform_work_group_size: 1
    .uses_dynamic_stack: false
    .vgpr_count:     0
    .vgpr_spill_count: 0
    .wavefront_size: 64
  - .agpr_count:     0
    .args:
      - .offset:         0
        .size:           136
        .value_kind:     by_value
    .group_segment_fixed_size: 0
    .kernarg_segment_align: 8
    .kernarg_segment_size: 136
    .language:       OpenCL C
    .language_version:
      - 2
      - 0
    .max_flat_workgroup_size: 512
    .name:           _ZN7rocprim17ROCPRIM_400000_NS6detail17trampoline_kernelINS0_14default_configENS1_25partition_config_selectorILNS1_17partition_subalgoE9EllbEEZZNS1_14partition_implILS5_9ELb0ES3_jPlS8_PNS0_10empty_typeENS0_5tupleIJS8_S9_EEENSB_IJS8_SA_EEENS0_18inequality_wrapperIZN2at6native12_GLOBAL__N_124unique_dim_cuda_templateIN3c104HalfEEESt5tupleIJNSF_6TensorESM_SM_EERKSM_lbbbEUlllE0_EEPmJS9_EEE10hipError_tPvRmT3_T4_T5_T6_T7_T9_mT8_P12ihipStream_tbDpT10_ENKUlT_T0_E_clISt17integral_constantIbLb0EES1B_IbLb1EEEEDaS17_S18_EUlS17_E_NS1_11comp_targetILNS1_3genE8ELNS1_11target_archE1030ELNS1_3gpuE2ELNS1_3repE0EEENS1_30default_config_static_selectorELNS0_4arch9wavefront6targetE1EEEvT1_
    .private_segment_fixed_size: 0
    .sgpr_count:     6
    .sgpr_spill_count: 0
    .symbol:         _ZN7rocprim17ROCPRIM_400000_NS6detail17trampoline_kernelINS0_14default_configENS1_25partition_config_selectorILNS1_17partition_subalgoE9EllbEEZZNS1_14partition_implILS5_9ELb0ES3_jPlS8_PNS0_10empty_typeENS0_5tupleIJS8_S9_EEENSB_IJS8_SA_EEENS0_18inequality_wrapperIZN2at6native12_GLOBAL__N_124unique_dim_cuda_templateIN3c104HalfEEESt5tupleIJNSF_6TensorESM_SM_EERKSM_lbbbEUlllE0_EEPmJS9_EEE10hipError_tPvRmT3_T4_T5_T6_T7_T9_mT8_P12ihipStream_tbDpT10_ENKUlT_T0_E_clISt17integral_constantIbLb0EES1B_IbLb1EEEEDaS17_S18_EUlS17_E_NS1_11comp_targetILNS1_3genE8ELNS1_11target_archE1030ELNS1_3gpuE2ELNS1_3repE0EEENS1_30default_config_static_selectorELNS0_4arch9wavefront6targetE1EEEvT1_.kd
    .uniform_work_group_size: 1
    .uses_dynamic_stack: false
    .vgpr_count:     0
    .vgpr_spill_count: 0
    .wavefront_size: 64
  - .agpr_count:     0
    .args:
      - .offset:         0
        .size:           72
        .value_kind:     by_value
    .group_segment_fixed_size: 0
    .kernarg_segment_align: 8
    .kernarg_segment_size: 72
    .language:       OpenCL C
    .language_version:
      - 2
      - 0
    .max_flat_workgroup_size: 256
    .name:           _ZN7rocprim17ROCPRIM_400000_NS6detail17trampoline_kernelINS0_14default_configENS1_37merge_sort_block_sort_config_selectorIlNS0_10empty_typeEEEZNS1_21merge_sort_block_sortIS3_PlS8_PS5_S9_ZN2at6native12_GLOBAL__N_124unique_dim_cuda_templateItEESt5tupleIJNSA_6TensorESF_SF_EERKSF_lbbbEUlllE_EE10hipError_tT0_T1_T2_T3_mRjT4_P12ihipStream_tbNS1_7vsmem_tEEUlT_E_NS1_11comp_targetILNS1_3genE0ELNS1_11target_archE4294967295ELNS1_3gpuE0ELNS1_3repE0EEENS1_30default_config_static_selectorELNS0_4arch9wavefront6targetE1EEEvSM_
    .private_segment_fixed_size: 0
    .sgpr_count:     6
    .sgpr_spill_count: 0
    .symbol:         _ZN7rocprim17ROCPRIM_400000_NS6detail17trampoline_kernelINS0_14default_configENS1_37merge_sort_block_sort_config_selectorIlNS0_10empty_typeEEEZNS1_21merge_sort_block_sortIS3_PlS8_PS5_S9_ZN2at6native12_GLOBAL__N_124unique_dim_cuda_templateItEESt5tupleIJNSA_6TensorESF_SF_EERKSF_lbbbEUlllE_EE10hipError_tT0_T1_T2_T3_mRjT4_P12ihipStream_tbNS1_7vsmem_tEEUlT_E_NS1_11comp_targetILNS1_3genE0ELNS1_11target_archE4294967295ELNS1_3gpuE0ELNS1_3repE0EEENS1_30default_config_static_selectorELNS0_4arch9wavefront6targetE1EEEvSM_.kd
    .uniform_work_group_size: 1
    .uses_dynamic_stack: false
    .vgpr_count:     0
    .vgpr_spill_count: 0
    .wavefront_size: 64
  - .agpr_count:     0
    .args:
      - .offset:         0
        .size:           72
        .value_kind:     by_value
      - .offset:         72
        .size:           4
        .value_kind:     hidden_block_count_x
      - .offset:         76
        .size:           4
        .value_kind:     hidden_block_count_y
      - .offset:         80
        .size:           4
        .value_kind:     hidden_block_count_z
      - .offset:         84
        .size:           2
        .value_kind:     hidden_group_size_x
      - .offset:         86
        .size:           2
        .value_kind:     hidden_group_size_y
      - .offset:         88
        .size:           2
        .value_kind:     hidden_group_size_z
      - .offset:         90
        .size:           2
        .value_kind:     hidden_remainder_x
      - .offset:         92
        .size:           2
        .value_kind:     hidden_remainder_y
      - .offset:         94
        .size:           2
        .value_kind:     hidden_remainder_z
      - .offset:         112
        .size:           8
        .value_kind:     hidden_global_offset_x
      - .offset:         120
        .size:           8
        .value_kind:     hidden_global_offset_y
      - .offset:         128
        .size:           8
        .value_kind:     hidden_global_offset_z
      - .offset:         136
        .size:           2
        .value_kind:     hidden_grid_dims
      - .offset:         152
        .size:           8
        .value_kind:     hidden_hostcall_buffer
      - .offset:         160
        .size:           8
        .value_kind:     hidden_multigrid_sync_arg
      - .offset:         168
        .size:           8
        .value_kind:     hidden_heap_v1
      - .offset:         176
        .size:           8
        .value_kind:     hidden_default_queue
      - .offset:         184
        .size:           8
        .value_kind:     hidden_completion_action
      - .offset:         272
        .size:           8
        .value_kind:     hidden_queue_ptr
    .group_segment_fixed_size: 16896
    .kernarg_segment_align: 8
    .kernarg_segment_size: 328
    .language:       OpenCL C
    .language_version:
      - 2
      - 0
    .max_flat_workgroup_size: 256
    .name:           _ZN7rocprim17ROCPRIM_400000_NS6detail17trampoline_kernelINS0_14default_configENS1_37merge_sort_block_sort_config_selectorIlNS0_10empty_typeEEEZNS1_21merge_sort_block_sortIS3_PlS8_PS5_S9_ZN2at6native12_GLOBAL__N_124unique_dim_cuda_templateItEESt5tupleIJNSA_6TensorESF_SF_EERKSF_lbbbEUlllE_EE10hipError_tT0_T1_T2_T3_mRjT4_P12ihipStream_tbNS1_7vsmem_tEEUlT_E_NS1_11comp_targetILNS1_3genE5ELNS1_11target_archE942ELNS1_3gpuE9ELNS1_3repE0EEENS1_30default_config_static_selectorELNS0_4arch9wavefront6targetE1EEEvSM_
    .private_segment_fixed_size: 8
    .sgpr_count:     75
    .sgpr_spill_count: 0
    .symbol:         _ZN7rocprim17ROCPRIM_400000_NS6detail17trampoline_kernelINS0_14default_configENS1_37merge_sort_block_sort_config_selectorIlNS0_10empty_typeEEEZNS1_21merge_sort_block_sortIS3_PlS8_PS5_S9_ZN2at6native12_GLOBAL__N_124unique_dim_cuda_templateItEESt5tupleIJNSA_6TensorESF_SF_EERKSF_lbbbEUlllE_EE10hipError_tT0_T1_T2_T3_mRjT4_P12ihipStream_tbNS1_7vsmem_tEEUlT_E_NS1_11comp_targetILNS1_3genE5ELNS1_11target_archE942ELNS1_3gpuE9ELNS1_3repE0EEENS1_30default_config_static_selectorELNS0_4arch9wavefront6targetE1EEEvSM_.kd
    .uniform_work_group_size: 1
    .uses_dynamic_stack: false
    .vgpr_count:     129
    .vgpr_spill_count: 0
    .wavefront_size: 64
  - .agpr_count:     0
    .args:
      - .offset:         0
        .size:           72
        .value_kind:     by_value
    .group_segment_fixed_size: 0
    .kernarg_segment_align: 8
    .kernarg_segment_size: 72
    .language:       OpenCL C
    .language_version:
      - 2
      - 0
    .max_flat_workgroup_size: 256
    .name:           _ZN7rocprim17ROCPRIM_400000_NS6detail17trampoline_kernelINS0_14default_configENS1_37merge_sort_block_sort_config_selectorIlNS0_10empty_typeEEEZNS1_21merge_sort_block_sortIS3_PlS8_PS5_S9_ZN2at6native12_GLOBAL__N_124unique_dim_cuda_templateItEESt5tupleIJNSA_6TensorESF_SF_EERKSF_lbbbEUlllE_EE10hipError_tT0_T1_T2_T3_mRjT4_P12ihipStream_tbNS1_7vsmem_tEEUlT_E_NS1_11comp_targetILNS1_3genE4ELNS1_11target_archE910ELNS1_3gpuE8ELNS1_3repE0EEENS1_30default_config_static_selectorELNS0_4arch9wavefront6targetE1EEEvSM_
    .private_segment_fixed_size: 0
    .sgpr_count:     6
    .sgpr_spill_count: 0
    .symbol:         _ZN7rocprim17ROCPRIM_400000_NS6detail17trampoline_kernelINS0_14default_configENS1_37merge_sort_block_sort_config_selectorIlNS0_10empty_typeEEEZNS1_21merge_sort_block_sortIS3_PlS8_PS5_S9_ZN2at6native12_GLOBAL__N_124unique_dim_cuda_templateItEESt5tupleIJNSA_6TensorESF_SF_EERKSF_lbbbEUlllE_EE10hipError_tT0_T1_T2_T3_mRjT4_P12ihipStream_tbNS1_7vsmem_tEEUlT_E_NS1_11comp_targetILNS1_3genE4ELNS1_11target_archE910ELNS1_3gpuE8ELNS1_3repE0EEENS1_30default_config_static_selectorELNS0_4arch9wavefront6targetE1EEEvSM_.kd
    .uniform_work_group_size: 1
    .uses_dynamic_stack: false
    .vgpr_count:     0
    .vgpr_spill_count: 0
    .wavefront_size: 64
  - .agpr_count:     0
    .args:
      - .offset:         0
        .size:           72
        .value_kind:     by_value
    .group_segment_fixed_size: 0
    .kernarg_segment_align: 8
    .kernarg_segment_size: 72
    .language:       OpenCL C
    .language_version:
      - 2
      - 0
    .max_flat_workgroup_size: 256
    .name:           _ZN7rocprim17ROCPRIM_400000_NS6detail17trampoline_kernelINS0_14default_configENS1_37merge_sort_block_sort_config_selectorIlNS0_10empty_typeEEEZNS1_21merge_sort_block_sortIS3_PlS8_PS5_S9_ZN2at6native12_GLOBAL__N_124unique_dim_cuda_templateItEESt5tupleIJNSA_6TensorESF_SF_EERKSF_lbbbEUlllE_EE10hipError_tT0_T1_T2_T3_mRjT4_P12ihipStream_tbNS1_7vsmem_tEEUlT_E_NS1_11comp_targetILNS1_3genE3ELNS1_11target_archE908ELNS1_3gpuE7ELNS1_3repE0EEENS1_30default_config_static_selectorELNS0_4arch9wavefront6targetE1EEEvSM_
    .private_segment_fixed_size: 0
    .sgpr_count:     6
    .sgpr_spill_count: 0
    .symbol:         _ZN7rocprim17ROCPRIM_400000_NS6detail17trampoline_kernelINS0_14default_configENS1_37merge_sort_block_sort_config_selectorIlNS0_10empty_typeEEEZNS1_21merge_sort_block_sortIS3_PlS8_PS5_S9_ZN2at6native12_GLOBAL__N_124unique_dim_cuda_templateItEESt5tupleIJNSA_6TensorESF_SF_EERKSF_lbbbEUlllE_EE10hipError_tT0_T1_T2_T3_mRjT4_P12ihipStream_tbNS1_7vsmem_tEEUlT_E_NS1_11comp_targetILNS1_3genE3ELNS1_11target_archE908ELNS1_3gpuE7ELNS1_3repE0EEENS1_30default_config_static_selectorELNS0_4arch9wavefront6targetE1EEEvSM_.kd
    .uniform_work_group_size: 1
    .uses_dynamic_stack: false
    .vgpr_count:     0
    .vgpr_spill_count: 0
    .wavefront_size: 64
  - .agpr_count:     0
    .args:
      - .offset:         0
        .size:           72
        .value_kind:     by_value
    .group_segment_fixed_size: 0
    .kernarg_segment_align: 8
    .kernarg_segment_size: 72
    .language:       OpenCL C
    .language_version:
      - 2
      - 0
    .max_flat_workgroup_size: 256
    .name:           _ZN7rocprim17ROCPRIM_400000_NS6detail17trampoline_kernelINS0_14default_configENS1_37merge_sort_block_sort_config_selectorIlNS0_10empty_typeEEEZNS1_21merge_sort_block_sortIS3_PlS8_PS5_S9_ZN2at6native12_GLOBAL__N_124unique_dim_cuda_templateItEESt5tupleIJNSA_6TensorESF_SF_EERKSF_lbbbEUlllE_EE10hipError_tT0_T1_T2_T3_mRjT4_P12ihipStream_tbNS1_7vsmem_tEEUlT_E_NS1_11comp_targetILNS1_3genE2ELNS1_11target_archE906ELNS1_3gpuE6ELNS1_3repE0EEENS1_30default_config_static_selectorELNS0_4arch9wavefront6targetE1EEEvSM_
    .private_segment_fixed_size: 0
    .sgpr_count:     6
    .sgpr_spill_count: 0
    .symbol:         _ZN7rocprim17ROCPRIM_400000_NS6detail17trampoline_kernelINS0_14default_configENS1_37merge_sort_block_sort_config_selectorIlNS0_10empty_typeEEEZNS1_21merge_sort_block_sortIS3_PlS8_PS5_S9_ZN2at6native12_GLOBAL__N_124unique_dim_cuda_templateItEESt5tupleIJNSA_6TensorESF_SF_EERKSF_lbbbEUlllE_EE10hipError_tT0_T1_T2_T3_mRjT4_P12ihipStream_tbNS1_7vsmem_tEEUlT_E_NS1_11comp_targetILNS1_3genE2ELNS1_11target_archE906ELNS1_3gpuE6ELNS1_3repE0EEENS1_30default_config_static_selectorELNS0_4arch9wavefront6targetE1EEEvSM_.kd
    .uniform_work_group_size: 1
    .uses_dynamic_stack: false
    .vgpr_count:     0
    .vgpr_spill_count: 0
    .wavefront_size: 64
  - .agpr_count:     0
    .args:
      - .offset:         0
        .size:           72
        .value_kind:     by_value
    .group_segment_fixed_size: 0
    .kernarg_segment_align: 8
    .kernarg_segment_size: 72
    .language:       OpenCL C
    .language_version:
      - 2
      - 0
    .max_flat_workgroup_size: 256
    .name:           _ZN7rocprim17ROCPRIM_400000_NS6detail17trampoline_kernelINS0_14default_configENS1_37merge_sort_block_sort_config_selectorIlNS0_10empty_typeEEEZNS1_21merge_sort_block_sortIS3_PlS8_PS5_S9_ZN2at6native12_GLOBAL__N_124unique_dim_cuda_templateItEESt5tupleIJNSA_6TensorESF_SF_EERKSF_lbbbEUlllE_EE10hipError_tT0_T1_T2_T3_mRjT4_P12ihipStream_tbNS1_7vsmem_tEEUlT_E_NS1_11comp_targetILNS1_3genE10ELNS1_11target_archE1201ELNS1_3gpuE5ELNS1_3repE0EEENS1_30default_config_static_selectorELNS0_4arch9wavefront6targetE1EEEvSM_
    .private_segment_fixed_size: 0
    .sgpr_count:     6
    .sgpr_spill_count: 0
    .symbol:         _ZN7rocprim17ROCPRIM_400000_NS6detail17trampoline_kernelINS0_14default_configENS1_37merge_sort_block_sort_config_selectorIlNS0_10empty_typeEEEZNS1_21merge_sort_block_sortIS3_PlS8_PS5_S9_ZN2at6native12_GLOBAL__N_124unique_dim_cuda_templateItEESt5tupleIJNSA_6TensorESF_SF_EERKSF_lbbbEUlllE_EE10hipError_tT0_T1_T2_T3_mRjT4_P12ihipStream_tbNS1_7vsmem_tEEUlT_E_NS1_11comp_targetILNS1_3genE10ELNS1_11target_archE1201ELNS1_3gpuE5ELNS1_3repE0EEENS1_30default_config_static_selectorELNS0_4arch9wavefront6targetE1EEEvSM_.kd
    .uniform_work_group_size: 1
    .uses_dynamic_stack: false
    .vgpr_count:     0
    .vgpr_spill_count: 0
    .wavefront_size: 64
  - .agpr_count:     0
    .args:
      - .offset:         0
        .size:           72
        .value_kind:     by_value
    .group_segment_fixed_size: 0
    .kernarg_segment_align: 8
    .kernarg_segment_size: 72
    .language:       OpenCL C
    .language_version:
      - 2
      - 0
    .max_flat_workgroup_size: 512
    .name:           _ZN7rocprim17ROCPRIM_400000_NS6detail17trampoline_kernelINS0_14default_configENS1_37merge_sort_block_sort_config_selectorIlNS0_10empty_typeEEEZNS1_21merge_sort_block_sortIS3_PlS8_PS5_S9_ZN2at6native12_GLOBAL__N_124unique_dim_cuda_templateItEESt5tupleIJNSA_6TensorESF_SF_EERKSF_lbbbEUlllE_EE10hipError_tT0_T1_T2_T3_mRjT4_P12ihipStream_tbNS1_7vsmem_tEEUlT_E_NS1_11comp_targetILNS1_3genE10ELNS1_11target_archE1200ELNS1_3gpuE4ELNS1_3repE0EEENS1_30default_config_static_selectorELNS0_4arch9wavefront6targetE1EEEvSM_
    .private_segment_fixed_size: 0
    .sgpr_count:     6
    .sgpr_spill_count: 0
    .symbol:         _ZN7rocprim17ROCPRIM_400000_NS6detail17trampoline_kernelINS0_14default_configENS1_37merge_sort_block_sort_config_selectorIlNS0_10empty_typeEEEZNS1_21merge_sort_block_sortIS3_PlS8_PS5_S9_ZN2at6native12_GLOBAL__N_124unique_dim_cuda_templateItEESt5tupleIJNSA_6TensorESF_SF_EERKSF_lbbbEUlllE_EE10hipError_tT0_T1_T2_T3_mRjT4_P12ihipStream_tbNS1_7vsmem_tEEUlT_E_NS1_11comp_targetILNS1_3genE10ELNS1_11target_archE1200ELNS1_3gpuE4ELNS1_3repE0EEENS1_30default_config_static_selectorELNS0_4arch9wavefront6targetE1EEEvSM_.kd
    .uniform_work_group_size: 1
    .uses_dynamic_stack: false
    .vgpr_count:     0
    .vgpr_spill_count: 0
    .wavefront_size: 64
  - .agpr_count:     0
    .args:
      - .offset:         0
        .size:           72
        .value_kind:     by_value
    .group_segment_fixed_size: 0
    .kernarg_segment_align: 8
    .kernarg_segment_size: 72
    .language:       OpenCL C
    .language_version:
      - 2
      - 0
    .max_flat_workgroup_size: 256
    .name:           _ZN7rocprim17ROCPRIM_400000_NS6detail17trampoline_kernelINS0_14default_configENS1_37merge_sort_block_sort_config_selectorIlNS0_10empty_typeEEEZNS1_21merge_sort_block_sortIS3_PlS8_PS5_S9_ZN2at6native12_GLOBAL__N_124unique_dim_cuda_templateItEESt5tupleIJNSA_6TensorESF_SF_EERKSF_lbbbEUlllE_EE10hipError_tT0_T1_T2_T3_mRjT4_P12ihipStream_tbNS1_7vsmem_tEEUlT_E_NS1_11comp_targetILNS1_3genE9ELNS1_11target_archE1100ELNS1_3gpuE3ELNS1_3repE0EEENS1_30default_config_static_selectorELNS0_4arch9wavefront6targetE1EEEvSM_
    .private_segment_fixed_size: 0
    .sgpr_count:     6
    .sgpr_spill_count: 0
    .symbol:         _ZN7rocprim17ROCPRIM_400000_NS6detail17trampoline_kernelINS0_14default_configENS1_37merge_sort_block_sort_config_selectorIlNS0_10empty_typeEEEZNS1_21merge_sort_block_sortIS3_PlS8_PS5_S9_ZN2at6native12_GLOBAL__N_124unique_dim_cuda_templateItEESt5tupleIJNSA_6TensorESF_SF_EERKSF_lbbbEUlllE_EE10hipError_tT0_T1_T2_T3_mRjT4_P12ihipStream_tbNS1_7vsmem_tEEUlT_E_NS1_11comp_targetILNS1_3genE9ELNS1_11target_archE1100ELNS1_3gpuE3ELNS1_3repE0EEENS1_30default_config_static_selectorELNS0_4arch9wavefront6targetE1EEEvSM_.kd
    .uniform_work_group_size: 1
    .uses_dynamic_stack: false
    .vgpr_count:     0
    .vgpr_spill_count: 0
    .wavefront_size: 64
  - .agpr_count:     0
    .args:
      - .offset:         0
        .size:           72
        .value_kind:     by_value
    .group_segment_fixed_size: 0
    .kernarg_segment_align: 8
    .kernarg_segment_size: 72
    .language:       OpenCL C
    .language_version:
      - 2
      - 0
    .max_flat_workgroup_size: 256
    .name:           _ZN7rocprim17ROCPRIM_400000_NS6detail17trampoline_kernelINS0_14default_configENS1_37merge_sort_block_sort_config_selectorIlNS0_10empty_typeEEEZNS1_21merge_sort_block_sortIS3_PlS8_PS5_S9_ZN2at6native12_GLOBAL__N_124unique_dim_cuda_templateItEESt5tupleIJNSA_6TensorESF_SF_EERKSF_lbbbEUlllE_EE10hipError_tT0_T1_T2_T3_mRjT4_P12ihipStream_tbNS1_7vsmem_tEEUlT_E_NS1_11comp_targetILNS1_3genE8ELNS1_11target_archE1030ELNS1_3gpuE2ELNS1_3repE0EEENS1_30default_config_static_selectorELNS0_4arch9wavefront6targetE1EEEvSM_
    .private_segment_fixed_size: 0
    .sgpr_count:     6
    .sgpr_spill_count: 0
    .symbol:         _ZN7rocprim17ROCPRIM_400000_NS6detail17trampoline_kernelINS0_14default_configENS1_37merge_sort_block_sort_config_selectorIlNS0_10empty_typeEEEZNS1_21merge_sort_block_sortIS3_PlS8_PS5_S9_ZN2at6native12_GLOBAL__N_124unique_dim_cuda_templateItEESt5tupleIJNSA_6TensorESF_SF_EERKSF_lbbbEUlllE_EE10hipError_tT0_T1_T2_T3_mRjT4_P12ihipStream_tbNS1_7vsmem_tEEUlT_E_NS1_11comp_targetILNS1_3genE8ELNS1_11target_archE1030ELNS1_3gpuE2ELNS1_3repE0EEENS1_30default_config_static_selectorELNS0_4arch9wavefront6targetE1EEEvSM_.kd
    .uniform_work_group_size: 1
    .uses_dynamic_stack: false
    .vgpr_count:     0
    .vgpr_spill_count: 0
    .wavefront_size: 64
  - .agpr_count:     0
    .args:
      - .offset:         0
        .size:           56
        .value_kind:     by_value
    .group_segment_fixed_size: 0
    .kernarg_segment_align: 8
    .kernarg_segment_size: 56
    .language:       OpenCL C
    .language_version:
      - 2
      - 0
    .max_flat_workgroup_size: 128
    .name:           _ZN7rocprim17ROCPRIM_400000_NS6detail17trampoline_kernelINS0_14default_configENS1_38merge_sort_block_merge_config_selectorIlNS0_10empty_typeEEEZZNS1_27merge_sort_block_merge_implIS3_PlPS5_mZN2at6native12_GLOBAL__N_124unique_dim_cuda_templateItEESt5tupleIJNSA_6TensorESF_SF_EERKSF_lbbbEUlllE_EE10hipError_tT0_T1_T2_jT3_P12ihipStream_tbPNSt15iterator_traitsISL_E10value_typeEPNSR_ISM_E10value_typeEPSN_NS1_7vsmem_tEENKUlT_SL_SM_SN_E_clIS8_S8_S9_S9_EESK_S10_SL_SM_SN_EUlS10_E_NS1_11comp_targetILNS1_3genE0ELNS1_11target_archE4294967295ELNS1_3gpuE0ELNS1_3repE0EEENS1_48merge_mergepath_partition_config_static_selectorELNS0_4arch9wavefront6targetE1EEEvSM_
    .private_segment_fixed_size: 0
    .sgpr_count:     6
    .sgpr_spill_count: 0
    .symbol:         _ZN7rocprim17ROCPRIM_400000_NS6detail17trampoline_kernelINS0_14default_configENS1_38merge_sort_block_merge_config_selectorIlNS0_10empty_typeEEEZZNS1_27merge_sort_block_merge_implIS3_PlPS5_mZN2at6native12_GLOBAL__N_124unique_dim_cuda_templateItEESt5tupleIJNSA_6TensorESF_SF_EERKSF_lbbbEUlllE_EE10hipError_tT0_T1_T2_jT3_P12ihipStream_tbPNSt15iterator_traitsISL_E10value_typeEPNSR_ISM_E10value_typeEPSN_NS1_7vsmem_tEENKUlT_SL_SM_SN_E_clIS8_S8_S9_S9_EESK_S10_SL_SM_SN_EUlS10_E_NS1_11comp_targetILNS1_3genE0ELNS1_11target_archE4294967295ELNS1_3gpuE0ELNS1_3repE0EEENS1_48merge_mergepath_partition_config_static_selectorELNS0_4arch9wavefront6targetE1EEEvSM_.kd
    .uniform_work_group_size: 1
    .uses_dynamic_stack: false
    .vgpr_count:     0
    .vgpr_spill_count: 0
    .wavefront_size: 64
  - .agpr_count:     0
    .args:
      - .offset:         0
        .size:           56
        .value_kind:     by_value
    .group_segment_fixed_size: 0
    .kernarg_segment_align: 8
    .kernarg_segment_size: 56
    .language:       OpenCL C
    .language_version:
      - 2
      - 0
    .max_flat_workgroup_size: 128
    .name:           _ZN7rocprim17ROCPRIM_400000_NS6detail17trampoline_kernelINS0_14default_configENS1_38merge_sort_block_merge_config_selectorIlNS0_10empty_typeEEEZZNS1_27merge_sort_block_merge_implIS3_PlPS5_mZN2at6native12_GLOBAL__N_124unique_dim_cuda_templateItEESt5tupleIJNSA_6TensorESF_SF_EERKSF_lbbbEUlllE_EE10hipError_tT0_T1_T2_jT3_P12ihipStream_tbPNSt15iterator_traitsISL_E10value_typeEPNSR_ISM_E10value_typeEPSN_NS1_7vsmem_tEENKUlT_SL_SM_SN_E_clIS8_S8_S9_S9_EESK_S10_SL_SM_SN_EUlS10_E_NS1_11comp_targetILNS1_3genE10ELNS1_11target_archE1201ELNS1_3gpuE5ELNS1_3repE0EEENS1_48merge_mergepath_partition_config_static_selectorELNS0_4arch9wavefront6targetE1EEEvSM_
    .private_segment_fixed_size: 0
    .sgpr_count:     6
    .sgpr_spill_count: 0
    .symbol:         _ZN7rocprim17ROCPRIM_400000_NS6detail17trampoline_kernelINS0_14default_configENS1_38merge_sort_block_merge_config_selectorIlNS0_10empty_typeEEEZZNS1_27merge_sort_block_merge_implIS3_PlPS5_mZN2at6native12_GLOBAL__N_124unique_dim_cuda_templateItEESt5tupleIJNSA_6TensorESF_SF_EERKSF_lbbbEUlllE_EE10hipError_tT0_T1_T2_jT3_P12ihipStream_tbPNSt15iterator_traitsISL_E10value_typeEPNSR_ISM_E10value_typeEPSN_NS1_7vsmem_tEENKUlT_SL_SM_SN_E_clIS8_S8_S9_S9_EESK_S10_SL_SM_SN_EUlS10_E_NS1_11comp_targetILNS1_3genE10ELNS1_11target_archE1201ELNS1_3gpuE5ELNS1_3repE0EEENS1_48merge_mergepath_partition_config_static_selectorELNS0_4arch9wavefront6targetE1EEEvSM_.kd
    .uniform_work_group_size: 1
    .uses_dynamic_stack: false
    .vgpr_count:     0
    .vgpr_spill_count: 0
    .wavefront_size: 64
  - .agpr_count:     0
    .args:
      - .offset:         0
        .size:           56
        .value_kind:     by_value
    .group_segment_fixed_size: 0
    .kernarg_segment_align: 8
    .kernarg_segment_size: 56
    .language:       OpenCL C
    .language_version:
      - 2
      - 0
    .max_flat_workgroup_size: 128
    .name:           _ZN7rocprim17ROCPRIM_400000_NS6detail17trampoline_kernelINS0_14default_configENS1_38merge_sort_block_merge_config_selectorIlNS0_10empty_typeEEEZZNS1_27merge_sort_block_merge_implIS3_PlPS5_mZN2at6native12_GLOBAL__N_124unique_dim_cuda_templateItEESt5tupleIJNSA_6TensorESF_SF_EERKSF_lbbbEUlllE_EE10hipError_tT0_T1_T2_jT3_P12ihipStream_tbPNSt15iterator_traitsISL_E10value_typeEPNSR_ISM_E10value_typeEPSN_NS1_7vsmem_tEENKUlT_SL_SM_SN_E_clIS8_S8_S9_S9_EESK_S10_SL_SM_SN_EUlS10_E_NS1_11comp_targetILNS1_3genE5ELNS1_11target_archE942ELNS1_3gpuE9ELNS1_3repE0EEENS1_48merge_mergepath_partition_config_static_selectorELNS0_4arch9wavefront6targetE1EEEvSM_
    .private_segment_fixed_size: 0
    .sgpr_count:     42
    .sgpr_spill_count: 0
    .symbol:         _ZN7rocprim17ROCPRIM_400000_NS6detail17trampoline_kernelINS0_14default_configENS1_38merge_sort_block_merge_config_selectorIlNS0_10empty_typeEEEZZNS1_27merge_sort_block_merge_implIS3_PlPS5_mZN2at6native12_GLOBAL__N_124unique_dim_cuda_templateItEESt5tupleIJNSA_6TensorESF_SF_EERKSF_lbbbEUlllE_EE10hipError_tT0_T1_T2_jT3_P12ihipStream_tbPNSt15iterator_traitsISL_E10value_typeEPNSR_ISM_E10value_typeEPSN_NS1_7vsmem_tEENKUlT_SL_SM_SN_E_clIS8_S8_S9_S9_EESK_S10_SL_SM_SN_EUlS10_E_NS1_11comp_targetILNS1_3genE5ELNS1_11target_archE942ELNS1_3gpuE9ELNS1_3repE0EEENS1_48merge_mergepath_partition_config_static_selectorELNS0_4arch9wavefront6targetE1EEEvSM_.kd
    .uniform_work_group_size: 1
    .uses_dynamic_stack: false
    .vgpr_count:     23
    .vgpr_spill_count: 0
    .wavefront_size: 64
  - .agpr_count:     0
    .args:
      - .offset:         0
        .size:           56
        .value_kind:     by_value
    .group_segment_fixed_size: 0
    .kernarg_segment_align: 8
    .kernarg_segment_size: 56
    .language:       OpenCL C
    .language_version:
      - 2
      - 0
    .max_flat_workgroup_size: 128
    .name:           _ZN7rocprim17ROCPRIM_400000_NS6detail17trampoline_kernelINS0_14default_configENS1_38merge_sort_block_merge_config_selectorIlNS0_10empty_typeEEEZZNS1_27merge_sort_block_merge_implIS3_PlPS5_mZN2at6native12_GLOBAL__N_124unique_dim_cuda_templateItEESt5tupleIJNSA_6TensorESF_SF_EERKSF_lbbbEUlllE_EE10hipError_tT0_T1_T2_jT3_P12ihipStream_tbPNSt15iterator_traitsISL_E10value_typeEPNSR_ISM_E10value_typeEPSN_NS1_7vsmem_tEENKUlT_SL_SM_SN_E_clIS8_S8_S9_S9_EESK_S10_SL_SM_SN_EUlS10_E_NS1_11comp_targetILNS1_3genE4ELNS1_11target_archE910ELNS1_3gpuE8ELNS1_3repE0EEENS1_48merge_mergepath_partition_config_static_selectorELNS0_4arch9wavefront6targetE1EEEvSM_
    .private_segment_fixed_size: 0
    .sgpr_count:     6
    .sgpr_spill_count: 0
    .symbol:         _ZN7rocprim17ROCPRIM_400000_NS6detail17trampoline_kernelINS0_14default_configENS1_38merge_sort_block_merge_config_selectorIlNS0_10empty_typeEEEZZNS1_27merge_sort_block_merge_implIS3_PlPS5_mZN2at6native12_GLOBAL__N_124unique_dim_cuda_templateItEESt5tupleIJNSA_6TensorESF_SF_EERKSF_lbbbEUlllE_EE10hipError_tT0_T1_T2_jT3_P12ihipStream_tbPNSt15iterator_traitsISL_E10value_typeEPNSR_ISM_E10value_typeEPSN_NS1_7vsmem_tEENKUlT_SL_SM_SN_E_clIS8_S8_S9_S9_EESK_S10_SL_SM_SN_EUlS10_E_NS1_11comp_targetILNS1_3genE4ELNS1_11target_archE910ELNS1_3gpuE8ELNS1_3repE0EEENS1_48merge_mergepath_partition_config_static_selectorELNS0_4arch9wavefront6targetE1EEEvSM_.kd
    .uniform_work_group_size: 1
    .uses_dynamic_stack: false
    .vgpr_count:     0
    .vgpr_spill_count: 0
    .wavefront_size: 64
  - .agpr_count:     0
    .args:
      - .offset:         0
        .size:           56
        .value_kind:     by_value
    .group_segment_fixed_size: 0
    .kernarg_segment_align: 8
    .kernarg_segment_size: 56
    .language:       OpenCL C
    .language_version:
      - 2
      - 0
    .max_flat_workgroup_size: 128
    .name:           _ZN7rocprim17ROCPRIM_400000_NS6detail17trampoline_kernelINS0_14default_configENS1_38merge_sort_block_merge_config_selectorIlNS0_10empty_typeEEEZZNS1_27merge_sort_block_merge_implIS3_PlPS5_mZN2at6native12_GLOBAL__N_124unique_dim_cuda_templateItEESt5tupleIJNSA_6TensorESF_SF_EERKSF_lbbbEUlllE_EE10hipError_tT0_T1_T2_jT3_P12ihipStream_tbPNSt15iterator_traitsISL_E10value_typeEPNSR_ISM_E10value_typeEPSN_NS1_7vsmem_tEENKUlT_SL_SM_SN_E_clIS8_S8_S9_S9_EESK_S10_SL_SM_SN_EUlS10_E_NS1_11comp_targetILNS1_3genE3ELNS1_11target_archE908ELNS1_3gpuE7ELNS1_3repE0EEENS1_48merge_mergepath_partition_config_static_selectorELNS0_4arch9wavefront6targetE1EEEvSM_
    .private_segment_fixed_size: 0
    .sgpr_count:     6
    .sgpr_spill_count: 0
    .symbol:         _ZN7rocprim17ROCPRIM_400000_NS6detail17trampoline_kernelINS0_14default_configENS1_38merge_sort_block_merge_config_selectorIlNS0_10empty_typeEEEZZNS1_27merge_sort_block_merge_implIS3_PlPS5_mZN2at6native12_GLOBAL__N_124unique_dim_cuda_templateItEESt5tupleIJNSA_6TensorESF_SF_EERKSF_lbbbEUlllE_EE10hipError_tT0_T1_T2_jT3_P12ihipStream_tbPNSt15iterator_traitsISL_E10value_typeEPNSR_ISM_E10value_typeEPSN_NS1_7vsmem_tEENKUlT_SL_SM_SN_E_clIS8_S8_S9_S9_EESK_S10_SL_SM_SN_EUlS10_E_NS1_11comp_targetILNS1_3genE3ELNS1_11target_archE908ELNS1_3gpuE7ELNS1_3repE0EEENS1_48merge_mergepath_partition_config_static_selectorELNS0_4arch9wavefront6targetE1EEEvSM_.kd
    .uniform_work_group_size: 1
    .uses_dynamic_stack: false
    .vgpr_count:     0
    .vgpr_spill_count: 0
    .wavefront_size: 64
  - .agpr_count:     0
    .args:
      - .offset:         0
        .size:           56
        .value_kind:     by_value
    .group_segment_fixed_size: 0
    .kernarg_segment_align: 8
    .kernarg_segment_size: 56
    .language:       OpenCL C
    .language_version:
      - 2
      - 0
    .max_flat_workgroup_size: 128
    .name:           _ZN7rocprim17ROCPRIM_400000_NS6detail17trampoline_kernelINS0_14default_configENS1_38merge_sort_block_merge_config_selectorIlNS0_10empty_typeEEEZZNS1_27merge_sort_block_merge_implIS3_PlPS5_mZN2at6native12_GLOBAL__N_124unique_dim_cuda_templateItEESt5tupleIJNSA_6TensorESF_SF_EERKSF_lbbbEUlllE_EE10hipError_tT0_T1_T2_jT3_P12ihipStream_tbPNSt15iterator_traitsISL_E10value_typeEPNSR_ISM_E10value_typeEPSN_NS1_7vsmem_tEENKUlT_SL_SM_SN_E_clIS8_S8_S9_S9_EESK_S10_SL_SM_SN_EUlS10_E_NS1_11comp_targetILNS1_3genE2ELNS1_11target_archE906ELNS1_3gpuE6ELNS1_3repE0EEENS1_48merge_mergepath_partition_config_static_selectorELNS0_4arch9wavefront6targetE1EEEvSM_
    .private_segment_fixed_size: 0
    .sgpr_count:     6
    .sgpr_spill_count: 0
    .symbol:         _ZN7rocprim17ROCPRIM_400000_NS6detail17trampoline_kernelINS0_14default_configENS1_38merge_sort_block_merge_config_selectorIlNS0_10empty_typeEEEZZNS1_27merge_sort_block_merge_implIS3_PlPS5_mZN2at6native12_GLOBAL__N_124unique_dim_cuda_templateItEESt5tupleIJNSA_6TensorESF_SF_EERKSF_lbbbEUlllE_EE10hipError_tT0_T1_T2_jT3_P12ihipStream_tbPNSt15iterator_traitsISL_E10value_typeEPNSR_ISM_E10value_typeEPSN_NS1_7vsmem_tEENKUlT_SL_SM_SN_E_clIS8_S8_S9_S9_EESK_S10_SL_SM_SN_EUlS10_E_NS1_11comp_targetILNS1_3genE2ELNS1_11target_archE906ELNS1_3gpuE6ELNS1_3repE0EEENS1_48merge_mergepath_partition_config_static_selectorELNS0_4arch9wavefront6targetE1EEEvSM_.kd
    .uniform_work_group_size: 1
    .uses_dynamic_stack: false
    .vgpr_count:     0
    .vgpr_spill_count: 0
    .wavefront_size: 64
  - .agpr_count:     0
    .args:
      - .offset:         0
        .size:           56
        .value_kind:     by_value
    .group_segment_fixed_size: 0
    .kernarg_segment_align: 8
    .kernarg_segment_size: 56
    .language:       OpenCL C
    .language_version:
      - 2
      - 0
    .max_flat_workgroup_size: 128
    .name:           _ZN7rocprim17ROCPRIM_400000_NS6detail17trampoline_kernelINS0_14default_configENS1_38merge_sort_block_merge_config_selectorIlNS0_10empty_typeEEEZZNS1_27merge_sort_block_merge_implIS3_PlPS5_mZN2at6native12_GLOBAL__N_124unique_dim_cuda_templateItEESt5tupleIJNSA_6TensorESF_SF_EERKSF_lbbbEUlllE_EE10hipError_tT0_T1_T2_jT3_P12ihipStream_tbPNSt15iterator_traitsISL_E10value_typeEPNSR_ISM_E10value_typeEPSN_NS1_7vsmem_tEENKUlT_SL_SM_SN_E_clIS8_S8_S9_S9_EESK_S10_SL_SM_SN_EUlS10_E_NS1_11comp_targetILNS1_3genE9ELNS1_11target_archE1100ELNS1_3gpuE3ELNS1_3repE0EEENS1_48merge_mergepath_partition_config_static_selectorELNS0_4arch9wavefront6targetE1EEEvSM_
    .private_segment_fixed_size: 0
    .sgpr_count:     6
    .sgpr_spill_count: 0
    .symbol:         _ZN7rocprim17ROCPRIM_400000_NS6detail17trampoline_kernelINS0_14default_configENS1_38merge_sort_block_merge_config_selectorIlNS0_10empty_typeEEEZZNS1_27merge_sort_block_merge_implIS3_PlPS5_mZN2at6native12_GLOBAL__N_124unique_dim_cuda_templateItEESt5tupleIJNSA_6TensorESF_SF_EERKSF_lbbbEUlllE_EE10hipError_tT0_T1_T2_jT3_P12ihipStream_tbPNSt15iterator_traitsISL_E10value_typeEPNSR_ISM_E10value_typeEPSN_NS1_7vsmem_tEENKUlT_SL_SM_SN_E_clIS8_S8_S9_S9_EESK_S10_SL_SM_SN_EUlS10_E_NS1_11comp_targetILNS1_3genE9ELNS1_11target_archE1100ELNS1_3gpuE3ELNS1_3repE0EEENS1_48merge_mergepath_partition_config_static_selectorELNS0_4arch9wavefront6targetE1EEEvSM_.kd
    .uniform_work_group_size: 1
    .uses_dynamic_stack: false
    .vgpr_count:     0
    .vgpr_spill_count: 0
    .wavefront_size: 64
  - .agpr_count:     0
    .args:
      - .offset:         0
        .size:           56
        .value_kind:     by_value
    .group_segment_fixed_size: 0
    .kernarg_segment_align: 8
    .kernarg_segment_size: 56
    .language:       OpenCL C
    .language_version:
      - 2
      - 0
    .max_flat_workgroup_size: 128
    .name:           _ZN7rocprim17ROCPRIM_400000_NS6detail17trampoline_kernelINS0_14default_configENS1_38merge_sort_block_merge_config_selectorIlNS0_10empty_typeEEEZZNS1_27merge_sort_block_merge_implIS3_PlPS5_mZN2at6native12_GLOBAL__N_124unique_dim_cuda_templateItEESt5tupleIJNSA_6TensorESF_SF_EERKSF_lbbbEUlllE_EE10hipError_tT0_T1_T2_jT3_P12ihipStream_tbPNSt15iterator_traitsISL_E10value_typeEPNSR_ISM_E10value_typeEPSN_NS1_7vsmem_tEENKUlT_SL_SM_SN_E_clIS8_S8_S9_S9_EESK_S10_SL_SM_SN_EUlS10_E_NS1_11comp_targetILNS1_3genE8ELNS1_11target_archE1030ELNS1_3gpuE2ELNS1_3repE0EEENS1_48merge_mergepath_partition_config_static_selectorELNS0_4arch9wavefront6targetE1EEEvSM_
    .private_segment_fixed_size: 0
    .sgpr_count:     6
    .sgpr_spill_count: 0
    .symbol:         _ZN7rocprim17ROCPRIM_400000_NS6detail17trampoline_kernelINS0_14default_configENS1_38merge_sort_block_merge_config_selectorIlNS0_10empty_typeEEEZZNS1_27merge_sort_block_merge_implIS3_PlPS5_mZN2at6native12_GLOBAL__N_124unique_dim_cuda_templateItEESt5tupleIJNSA_6TensorESF_SF_EERKSF_lbbbEUlllE_EE10hipError_tT0_T1_T2_jT3_P12ihipStream_tbPNSt15iterator_traitsISL_E10value_typeEPNSR_ISM_E10value_typeEPSN_NS1_7vsmem_tEENKUlT_SL_SM_SN_E_clIS8_S8_S9_S9_EESK_S10_SL_SM_SN_EUlS10_E_NS1_11comp_targetILNS1_3genE8ELNS1_11target_archE1030ELNS1_3gpuE2ELNS1_3repE0EEENS1_48merge_mergepath_partition_config_static_selectorELNS0_4arch9wavefront6targetE1EEEvSM_.kd
    .uniform_work_group_size: 1
    .uses_dynamic_stack: false
    .vgpr_count:     0
    .vgpr_spill_count: 0
    .wavefront_size: 64
  - .agpr_count:     0
    .args:
      - .offset:         0
        .size:           88
        .value_kind:     by_value
    .group_segment_fixed_size: 0
    .kernarg_segment_align: 8
    .kernarg_segment_size: 88
    .language:       OpenCL C
    .language_version:
      - 2
      - 0
    .max_flat_workgroup_size: 128
    .name:           _ZN7rocprim17ROCPRIM_400000_NS6detail17trampoline_kernelINS0_14default_configENS1_38merge_sort_block_merge_config_selectorIlNS0_10empty_typeEEEZZNS1_27merge_sort_block_merge_implIS3_PlPS5_mZN2at6native12_GLOBAL__N_124unique_dim_cuda_templateItEESt5tupleIJNSA_6TensorESF_SF_EERKSF_lbbbEUlllE_EE10hipError_tT0_T1_T2_jT3_P12ihipStream_tbPNSt15iterator_traitsISL_E10value_typeEPNSR_ISM_E10value_typeEPSN_NS1_7vsmem_tEENKUlT_SL_SM_SN_E_clIS8_S8_S9_S9_EESK_S10_SL_SM_SN_EUlS10_E0_NS1_11comp_targetILNS1_3genE0ELNS1_11target_archE4294967295ELNS1_3gpuE0ELNS1_3repE0EEENS1_38merge_mergepath_config_static_selectorELNS0_4arch9wavefront6targetE1EEEvSM_
    .private_segment_fixed_size: 0
    .sgpr_count:     6
    .sgpr_spill_count: 0
    .symbol:         _ZN7rocprim17ROCPRIM_400000_NS6detail17trampoline_kernelINS0_14default_configENS1_38merge_sort_block_merge_config_selectorIlNS0_10empty_typeEEEZZNS1_27merge_sort_block_merge_implIS3_PlPS5_mZN2at6native12_GLOBAL__N_124unique_dim_cuda_templateItEESt5tupleIJNSA_6TensorESF_SF_EERKSF_lbbbEUlllE_EE10hipError_tT0_T1_T2_jT3_P12ihipStream_tbPNSt15iterator_traitsISL_E10value_typeEPNSR_ISM_E10value_typeEPSN_NS1_7vsmem_tEENKUlT_SL_SM_SN_E_clIS8_S8_S9_S9_EESK_S10_SL_SM_SN_EUlS10_E0_NS1_11comp_targetILNS1_3genE0ELNS1_11target_archE4294967295ELNS1_3gpuE0ELNS1_3repE0EEENS1_38merge_mergepath_config_static_selectorELNS0_4arch9wavefront6targetE1EEEvSM_.kd
    .uniform_work_group_size: 1
    .uses_dynamic_stack: false
    .vgpr_count:     0
    .vgpr_spill_count: 0
    .wavefront_size: 64
  - .agpr_count:     0
    .args:
      - .offset:         0
        .size:           88
        .value_kind:     by_value
    .group_segment_fixed_size: 0
    .kernarg_segment_align: 8
    .kernarg_segment_size: 88
    .language:       OpenCL C
    .language_version:
      - 2
      - 0
    .max_flat_workgroup_size: 512
    .name:           _ZN7rocprim17ROCPRIM_400000_NS6detail17trampoline_kernelINS0_14default_configENS1_38merge_sort_block_merge_config_selectorIlNS0_10empty_typeEEEZZNS1_27merge_sort_block_merge_implIS3_PlPS5_mZN2at6native12_GLOBAL__N_124unique_dim_cuda_templateItEESt5tupleIJNSA_6TensorESF_SF_EERKSF_lbbbEUlllE_EE10hipError_tT0_T1_T2_jT3_P12ihipStream_tbPNSt15iterator_traitsISL_E10value_typeEPNSR_ISM_E10value_typeEPSN_NS1_7vsmem_tEENKUlT_SL_SM_SN_E_clIS8_S8_S9_S9_EESK_S10_SL_SM_SN_EUlS10_E0_NS1_11comp_targetILNS1_3genE10ELNS1_11target_archE1201ELNS1_3gpuE5ELNS1_3repE0EEENS1_38merge_mergepath_config_static_selectorELNS0_4arch9wavefront6targetE1EEEvSM_
    .private_segment_fixed_size: 0
    .sgpr_count:     6
    .sgpr_spill_count: 0
    .symbol:         _ZN7rocprim17ROCPRIM_400000_NS6detail17trampoline_kernelINS0_14default_configENS1_38merge_sort_block_merge_config_selectorIlNS0_10empty_typeEEEZZNS1_27merge_sort_block_merge_implIS3_PlPS5_mZN2at6native12_GLOBAL__N_124unique_dim_cuda_templateItEESt5tupleIJNSA_6TensorESF_SF_EERKSF_lbbbEUlllE_EE10hipError_tT0_T1_T2_jT3_P12ihipStream_tbPNSt15iterator_traitsISL_E10value_typeEPNSR_ISM_E10value_typeEPSN_NS1_7vsmem_tEENKUlT_SL_SM_SN_E_clIS8_S8_S9_S9_EESK_S10_SL_SM_SN_EUlS10_E0_NS1_11comp_targetILNS1_3genE10ELNS1_11target_archE1201ELNS1_3gpuE5ELNS1_3repE0EEENS1_38merge_mergepath_config_static_selectorELNS0_4arch9wavefront6targetE1EEEvSM_.kd
    .uniform_work_group_size: 1
    .uses_dynamic_stack: false
    .vgpr_count:     0
    .vgpr_spill_count: 0
    .wavefront_size: 64
  - .agpr_count:     0
    .args:
      - .offset:         0
        .size:           88
        .value_kind:     by_value
      - .offset:         88
        .size:           4
        .value_kind:     hidden_block_count_x
      - .offset:         92
        .size:           4
        .value_kind:     hidden_block_count_y
      - .offset:         96
        .size:           4
        .value_kind:     hidden_block_count_z
      - .offset:         100
        .size:           2
        .value_kind:     hidden_group_size_x
      - .offset:         102
        .size:           2
        .value_kind:     hidden_group_size_y
      - .offset:         104
        .size:           2
        .value_kind:     hidden_group_size_z
      - .offset:         106
        .size:           2
        .value_kind:     hidden_remainder_x
      - .offset:         108
        .size:           2
        .value_kind:     hidden_remainder_y
      - .offset:         110
        .size:           2
        .value_kind:     hidden_remainder_z
      - .offset:         128
        .size:           8
        .value_kind:     hidden_global_offset_x
      - .offset:         136
        .size:           8
        .value_kind:     hidden_global_offset_y
      - .offset:         144
        .size:           8
        .value_kind:     hidden_global_offset_z
      - .offset:         152
        .size:           2
        .value_kind:     hidden_grid_dims
    .group_segment_fixed_size: 8448
    .kernarg_segment_align: 8
    .kernarg_segment_size: 344
    .language:       OpenCL C
    .language_version:
      - 2
      - 0
    .max_flat_workgroup_size: 128
    .name:           _ZN7rocprim17ROCPRIM_400000_NS6detail17trampoline_kernelINS0_14default_configENS1_38merge_sort_block_merge_config_selectorIlNS0_10empty_typeEEEZZNS1_27merge_sort_block_merge_implIS3_PlPS5_mZN2at6native12_GLOBAL__N_124unique_dim_cuda_templateItEESt5tupleIJNSA_6TensorESF_SF_EERKSF_lbbbEUlllE_EE10hipError_tT0_T1_T2_jT3_P12ihipStream_tbPNSt15iterator_traitsISL_E10value_typeEPNSR_ISM_E10value_typeEPSN_NS1_7vsmem_tEENKUlT_SL_SM_SN_E_clIS8_S8_S9_S9_EESK_S10_SL_SM_SN_EUlS10_E0_NS1_11comp_targetILNS1_3genE5ELNS1_11target_archE942ELNS1_3gpuE9ELNS1_3repE0EEENS1_38merge_mergepath_config_static_selectorELNS0_4arch9wavefront6targetE1EEEvSM_
    .private_segment_fixed_size: 0
    .sgpr_count:     60
    .sgpr_spill_count: 0
    .symbol:         _ZN7rocprim17ROCPRIM_400000_NS6detail17trampoline_kernelINS0_14default_configENS1_38merge_sort_block_merge_config_selectorIlNS0_10empty_typeEEEZZNS1_27merge_sort_block_merge_implIS3_PlPS5_mZN2at6native12_GLOBAL__N_124unique_dim_cuda_templateItEESt5tupleIJNSA_6TensorESF_SF_EERKSF_lbbbEUlllE_EE10hipError_tT0_T1_T2_jT3_P12ihipStream_tbPNSt15iterator_traitsISL_E10value_typeEPNSR_ISM_E10value_typeEPSN_NS1_7vsmem_tEENKUlT_SL_SM_SN_E_clIS8_S8_S9_S9_EESK_S10_SL_SM_SN_EUlS10_E0_NS1_11comp_targetILNS1_3genE5ELNS1_11target_archE942ELNS1_3gpuE9ELNS1_3repE0EEENS1_38merge_mergepath_config_static_selectorELNS0_4arch9wavefront6targetE1EEEvSM_.kd
    .uniform_work_group_size: 1
    .uses_dynamic_stack: false
    .vgpr_count:     40
    .vgpr_spill_count: 0
    .wavefront_size: 64
  - .agpr_count:     0
    .args:
      - .offset:         0
        .size:           88
        .value_kind:     by_value
    .group_segment_fixed_size: 0
    .kernarg_segment_align: 8
    .kernarg_segment_size: 88
    .language:       OpenCL C
    .language_version:
      - 2
      - 0
    .max_flat_workgroup_size: 256
    .name:           _ZN7rocprim17ROCPRIM_400000_NS6detail17trampoline_kernelINS0_14default_configENS1_38merge_sort_block_merge_config_selectorIlNS0_10empty_typeEEEZZNS1_27merge_sort_block_merge_implIS3_PlPS5_mZN2at6native12_GLOBAL__N_124unique_dim_cuda_templateItEESt5tupleIJNSA_6TensorESF_SF_EERKSF_lbbbEUlllE_EE10hipError_tT0_T1_T2_jT3_P12ihipStream_tbPNSt15iterator_traitsISL_E10value_typeEPNSR_ISM_E10value_typeEPSN_NS1_7vsmem_tEENKUlT_SL_SM_SN_E_clIS8_S8_S9_S9_EESK_S10_SL_SM_SN_EUlS10_E0_NS1_11comp_targetILNS1_3genE4ELNS1_11target_archE910ELNS1_3gpuE8ELNS1_3repE0EEENS1_38merge_mergepath_config_static_selectorELNS0_4arch9wavefront6targetE1EEEvSM_
    .private_segment_fixed_size: 0
    .sgpr_count:     6
    .sgpr_spill_count: 0
    .symbol:         _ZN7rocprim17ROCPRIM_400000_NS6detail17trampoline_kernelINS0_14default_configENS1_38merge_sort_block_merge_config_selectorIlNS0_10empty_typeEEEZZNS1_27merge_sort_block_merge_implIS3_PlPS5_mZN2at6native12_GLOBAL__N_124unique_dim_cuda_templateItEESt5tupleIJNSA_6TensorESF_SF_EERKSF_lbbbEUlllE_EE10hipError_tT0_T1_T2_jT3_P12ihipStream_tbPNSt15iterator_traitsISL_E10value_typeEPNSR_ISM_E10value_typeEPSN_NS1_7vsmem_tEENKUlT_SL_SM_SN_E_clIS8_S8_S9_S9_EESK_S10_SL_SM_SN_EUlS10_E0_NS1_11comp_targetILNS1_3genE4ELNS1_11target_archE910ELNS1_3gpuE8ELNS1_3repE0EEENS1_38merge_mergepath_config_static_selectorELNS0_4arch9wavefront6targetE1EEEvSM_.kd
    .uniform_work_group_size: 1
    .uses_dynamic_stack: false
    .vgpr_count:     0
    .vgpr_spill_count: 0
    .wavefront_size: 64
  - .agpr_count:     0
    .args:
      - .offset:         0
        .size:           88
        .value_kind:     by_value
    .group_segment_fixed_size: 0
    .kernarg_segment_align: 8
    .kernarg_segment_size: 88
    .language:       OpenCL C
    .language_version:
      - 2
      - 0
    .max_flat_workgroup_size: 128
    .name:           _ZN7rocprim17ROCPRIM_400000_NS6detail17trampoline_kernelINS0_14default_configENS1_38merge_sort_block_merge_config_selectorIlNS0_10empty_typeEEEZZNS1_27merge_sort_block_merge_implIS3_PlPS5_mZN2at6native12_GLOBAL__N_124unique_dim_cuda_templateItEESt5tupleIJNSA_6TensorESF_SF_EERKSF_lbbbEUlllE_EE10hipError_tT0_T1_T2_jT3_P12ihipStream_tbPNSt15iterator_traitsISL_E10value_typeEPNSR_ISM_E10value_typeEPSN_NS1_7vsmem_tEENKUlT_SL_SM_SN_E_clIS8_S8_S9_S9_EESK_S10_SL_SM_SN_EUlS10_E0_NS1_11comp_targetILNS1_3genE3ELNS1_11target_archE908ELNS1_3gpuE7ELNS1_3repE0EEENS1_38merge_mergepath_config_static_selectorELNS0_4arch9wavefront6targetE1EEEvSM_
    .private_segment_fixed_size: 0
    .sgpr_count:     6
    .sgpr_spill_count: 0
    .symbol:         _ZN7rocprim17ROCPRIM_400000_NS6detail17trampoline_kernelINS0_14default_configENS1_38merge_sort_block_merge_config_selectorIlNS0_10empty_typeEEEZZNS1_27merge_sort_block_merge_implIS3_PlPS5_mZN2at6native12_GLOBAL__N_124unique_dim_cuda_templateItEESt5tupleIJNSA_6TensorESF_SF_EERKSF_lbbbEUlllE_EE10hipError_tT0_T1_T2_jT3_P12ihipStream_tbPNSt15iterator_traitsISL_E10value_typeEPNSR_ISM_E10value_typeEPSN_NS1_7vsmem_tEENKUlT_SL_SM_SN_E_clIS8_S8_S9_S9_EESK_S10_SL_SM_SN_EUlS10_E0_NS1_11comp_targetILNS1_3genE3ELNS1_11target_archE908ELNS1_3gpuE7ELNS1_3repE0EEENS1_38merge_mergepath_config_static_selectorELNS0_4arch9wavefront6targetE1EEEvSM_.kd
    .uniform_work_group_size: 1
    .uses_dynamic_stack: false
    .vgpr_count:     0
    .vgpr_spill_count: 0
    .wavefront_size: 64
  - .agpr_count:     0
    .args:
      - .offset:         0
        .size:           88
        .value_kind:     by_value
    .group_segment_fixed_size: 0
    .kernarg_segment_align: 8
    .kernarg_segment_size: 88
    .language:       OpenCL C
    .language_version:
      - 2
      - 0
    .max_flat_workgroup_size: 256
    .name:           _ZN7rocprim17ROCPRIM_400000_NS6detail17trampoline_kernelINS0_14default_configENS1_38merge_sort_block_merge_config_selectorIlNS0_10empty_typeEEEZZNS1_27merge_sort_block_merge_implIS3_PlPS5_mZN2at6native12_GLOBAL__N_124unique_dim_cuda_templateItEESt5tupleIJNSA_6TensorESF_SF_EERKSF_lbbbEUlllE_EE10hipError_tT0_T1_T2_jT3_P12ihipStream_tbPNSt15iterator_traitsISL_E10value_typeEPNSR_ISM_E10value_typeEPSN_NS1_7vsmem_tEENKUlT_SL_SM_SN_E_clIS8_S8_S9_S9_EESK_S10_SL_SM_SN_EUlS10_E0_NS1_11comp_targetILNS1_3genE2ELNS1_11target_archE906ELNS1_3gpuE6ELNS1_3repE0EEENS1_38merge_mergepath_config_static_selectorELNS0_4arch9wavefront6targetE1EEEvSM_
    .private_segment_fixed_size: 0
    .sgpr_count:     6
    .sgpr_spill_count: 0
    .symbol:         _ZN7rocprim17ROCPRIM_400000_NS6detail17trampoline_kernelINS0_14default_configENS1_38merge_sort_block_merge_config_selectorIlNS0_10empty_typeEEEZZNS1_27merge_sort_block_merge_implIS3_PlPS5_mZN2at6native12_GLOBAL__N_124unique_dim_cuda_templateItEESt5tupleIJNSA_6TensorESF_SF_EERKSF_lbbbEUlllE_EE10hipError_tT0_T1_T2_jT3_P12ihipStream_tbPNSt15iterator_traitsISL_E10value_typeEPNSR_ISM_E10value_typeEPSN_NS1_7vsmem_tEENKUlT_SL_SM_SN_E_clIS8_S8_S9_S9_EESK_S10_SL_SM_SN_EUlS10_E0_NS1_11comp_targetILNS1_3genE2ELNS1_11target_archE906ELNS1_3gpuE6ELNS1_3repE0EEENS1_38merge_mergepath_config_static_selectorELNS0_4arch9wavefront6targetE1EEEvSM_.kd
    .uniform_work_group_size: 1
    .uses_dynamic_stack: false
    .vgpr_count:     0
    .vgpr_spill_count: 0
    .wavefront_size: 64
  - .agpr_count:     0
    .args:
      - .offset:         0
        .size:           88
        .value_kind:     by_value
    .group_segment_fixed_size: 0
    .kernarg_segment_align: 8
    .kernarg_segment_size: 88
    .language:       OpenCL C
    .language_version:
      - 2
      - 0
    .max_flat_workgroup_size: 512
    .name:           _ZN7rocprim17ROCPRIM_400000_NS6detail17trampoline_kernelINS0_14default_configENS1_38merge_sort_block_merge_config_selectorIlNS0_10empty_typeEEEZZNS1_27merge_sort_block_merge_implIS3_PlPS5_mZN2at6native12_GLOBAL__N_124unique_dim_cuda_templateItEESt5tupleIJNSA_6TensorESF_SF_EERKSF_lbbbEUlllE_EE10hipError_tT0_T1_T2_jT3_P12ihipStream_tbPNSt15iterator_traitsISL_E10value_typeEPNSR_ISM_E10value_typeEPSN_NS1_7vsmem_tEENKUlT_SL_SM_SN_E_clIS8_S8_S9_S9_EESK_S10_SL_SM_SN_EUlS10_E0_NS1_11comp_targetILNS1_3genE9ELNS1_11target_archE1100ELNS1_3gpuE3ELNS1_3repE0EEENS1_38merge_mergepath_config_static_selectorELNS0_4arch9wavefront6targetE1EEEvSM_
    .private_segment_fixed_size: 0
    .sgpr_count:     6
    .sgpr_spill_count: 0
    .symbol:         _ZN7rocprim17ROCPRIM_400000_NS6detail17trampoline_kernelINS0_14default_configENS1_38merge_sort_block_merge_config_selectorIlNS0_10empty_typeEEEZZNS1_27merge_sort_block_merge_implIS3_PlPS5_mZN2at6native12_GLOBAL__N_124unique_dim_cuda_templateItEESt5tupleIJNSA_6TensorESF_SF_EERKSF_lbbbEUlllE_EE10hipError_tT0_T1_T2_jT3_P12ihipStream_tbPNSt15iterator_traitsISL_E10value_typeEPNSR_ISM_E10value_typeEPSN_NS1_7vsmem_tEENKUlT_SL_SM_SN_E_clIS8_S8_S9_S9_EESK_S10_SL_SM_SN_EUlS10_E0_NS1_11comp_targetILNS1_3genE9ELNS1_11target_archE1100ELNS1_3gpuE3ELNS1_3repE0EEENS1_38merge_mergepath_config_static_selectorELNS0_4arch9wavefront6targetE1EEEvSM_.kd
    .uniform_work_group_size: 1
    .uses_dynamic_stack: false
    .vgpr_count:     0
    .vgpr_spill_count: 0
    .wavefront_size: 64
  - .agpr_count:     0
    .args:
      - .offset:         0
        .size:           88
        .value_kind:     by_value
    .group_segment_fixed_size: 0
    .kernarg_segment_align: 8
    .kernarg_segment_size: 88
    .language:       OpenCL C
    .language_version:
      - 2
      - 0
    .max_flat_workgroup_size: 1024
    .name:           _ZN7rocprim17ROCPRIM_400000_NS6detail17trampoline_kernelINS0_14default_configENS1_38merge_sort_block_merge_config_selectorIlNS0_10empty_typeEEEZZNS1_27merge_sort_block_merge_implIS3_PlPS5_mZN2at6native12_GLOBAL__N_124unique_dim_cuda_templateItEESt5tupleIJNSA_6TensorESF_SF_EERKSF_lbbbEUlllE_EE10hipError_tT0_T1_T2_jT3_P12ihipStream_tbPNSt15iterator_traitsISL_E10value_typeEPNSR_ISM_E10value_typeEPSN_NS1_7vsmem_tEENKUlT_SL_SM_SN_E_clIS8_S8_S9_S9_EESK_S10_SL_SM_SN_EUlS10_E0_NS1_11comp_targetILNS1_3genE8ELNS1_11target_archE1030ELNS1_3gpuE2ELNS1_3repE0EEENS1_38merge_mergepath_config_static_selectorELNS0_4arch9wavefront6targetE1EEEvSM_
    .private_segment_fixed_size: 0
    .sgpr_count:     6
    .sgpr_spill_count: 0
    .symbol:         _ZN7rocprim17ROCPRIM_400000_NS6detail17trampoline_kernelINS0_14default_configENS1_38merge_sort_block_merge_config_selectorIlNS0_10empty_typeEEEZZNS1_27merge_sort_block_merge_implIS3_PlPS5_mZN2at6native12_GLOBAL__N_124unique_dim_cuda_templateItEESt5tupleIJNSA_6TensorESF_SF_EERKSF_lbbbEUlllE_EE10hipError_tT0_T1_T2_jT3_P12ihipStream_tbPNSt15iterator_traitsISL_E10value_typeEPNSR_ISM_E10value_typeEPSN_NS1_7vsmem_tEENKUlT_SL_SM_SN_E_clIS8_S8_S9_S9_EESK_S10_SL_SM_SN_EUlS10_E0_NS1_11comp_targetILNS1_3genE8ELNS1_11target_archE1030ELNS1_3gpuE2ELNS1_3repE0EEENS1_38merge_mergepath_config_static_selectorELNS0_4arch9wavefront6targetE1EEEvSM_.kd
    .uniform_work_group_size: 1
    .uses_dynamic_stack: false
    .vgpr_count:     0
    .vgpr_spill_count: 0
    .wavefront_size: 64
  - .agpr_count:     0
    .args:
      - .offset:         0
        .size:           64
        .value_kind:     by_value
    .group_segment_fixed_size: 0
    .kernarg_segment_align: 8
    .kernarg_segment_size: 64
    .language:       OpenCL C
    .language_version:
      - 2
      - 0
    .max_flat_workgroup_size: 256
    .name:           _ZN7rocprim17ROCPRIM_400000_NS6detail17trampoline_kernelINS0_14default_configENS1_38merge_sort_block_merge_config_selectorIlNS0_10empty_typeEEEZZNS1_27merge_sort_block_merge_implIS3_PlPS5_mZN2at6native12_GLOBAL__N_124unique_dim_cuda_templateItEESt5tupleIJNSA_6TensorESF_SF_EERKSF_lbbbEUlllE_EE10hipError_tT0_T1_T2_jT3_P12ihipStream_tbPNSt15iterator_traitsISL_E10value_typeEPNSR_ISM_E10value_typeEPSN_NS1_7vsmem_tEENKUlT_SL_SM_SN_E_clIS8_S8_S9_S9_EESK_S10_SL_SM_SN_EUlS10_E1_NS1_11comp_targetILNS1_3genE0ELNS1_11target_archE4294967295ELNS1_3gpuE0ELNS1_3repE0EEENS1_36merge_oddeven_config_static_selectorELNS0_4arch9wavefront6targetE1EEEvSM_
    .private_segment_fixed_size: 0
    .sgpr_count:     6
    .sgpr_spill_count: 0
    .symbol:         _ZN7rocprim17ROCPRIM_400000_NS6detail17trampoline_kernelINS0_14default_configENS1_38merge_sort_block_merge_config_selectorIlNS0_10empty_typeEEEZZNS1_27merge_sort_block_merge_implIS3_PlPS5_mZN2at6native12_GLOBAL__N_124unique_dim_cuda_templateItEESt5tupleIJNSA_6TensorESF_SF_EERKSF_lbbbEUlllE_EE10hipError_tT0_T1_T2_jT3_P12ihipStream_tbPNSt15iterator_traitsISL_E10value_typeEPNSR_ISM_E10value_typeEPSN_NS1_7vsmem_tEENKUlT_SL_SM_SN_E_clIS8_S8_S9_S9_EESK_S10_SL_SM_SN_EUlS10_E1_NS1_11comp_targetILNS1_3genE0ELNS1_11target_archE4294967295ELNS1_3gpuE0ELNS1_3repE0EEENS1_36merge_oddeven_config_static_selectorELNS0_4arch9wavefront6targetE1EEEvSM_.kd
    .uniform_work_group_size: 1
    .uses_dynamic_stack: false
    .vgpr_count:     0
    .vgpr_spill_count: 0
    .wavefront_size: 64
  - .agpr_count:     0
    .args:
      - .offset:         0
        .size:           64
        .value_kind:     by_value
    .group_segment_fixed_size: 0
    .kernarg_segment_align: 8
    .kernarg_segment_size: 64
    .language:       OpenCL C
    .language_version:
      - 2
      - 0
    .max_flat_workgroup_size: 256
    .name:           _ZN7rocprim17ROCPRIM_400000_NS6detail17trampoline_kernelINS0_14default_configENS1_38merge_sort_block_merge_config_selectorIlNS0_10empty_typeEEEZZNS1_27merge_sort_block_merge_implIS3_PlPS5_mZN2at6native12_GLOBAL__N_124unique_dim_cuda_templateItEESt5tupleIJNSA_6TensorESF_SF_EERKSF_lbbbEUlllE_EE10hipError_tT0_T1_T2_jT3_P12ihipStream_tbPNSt15iterator_traitsISL_E10value_typeEPNSR_ISM_E10value_typeEPSN_NS1_7vsmem_tEENKUlT_SL_SM_SN_E_clIS8_S8_S9_S9_EESK_S10_SL_SM_SN_EUlS10_E1_NS1_11comp_targetILNS1_3genE10ELNS1_11target_archE1201ELNS1_3gpuE5ELNS1_3repE0EEENS1_36merge_oddeven_config_static_selectorELNS0_4arch9wavefront6targetE1EEEvSM_
    .private_segment_fixed_size: 0
    .sgpr_count:     6
    .sgpr_spill_count: 0
    .symbol:         _ZN7rocprim17ROCPRIM_400000_NS6detail17trampoline_kernelINS0_14default_configENS1_38merge_sort_block_merge_config_selectorIlNS0_10empty_typeEEEZZNS1_27merge_sort_block_merge_implIS3_PlPS5_mZN2at6native12_GLOBAL__N_124unique_dim_cuda_templateItEESt5tupleIJNSA_6TensorESF_SF_EERKSF_lbbbEUlllE_EE10hipError_tT0_T1_T2_jT3_P12ihipStream_tbPNSt15iterator_traitsISL_E10value_typeEPNSR_ISM_E10value_typeEPSN_NS1_7vsmem_tEENKUlT_SL_SM_SN_E_clIS8_S8_S9_S9_EESK_S10_SL_SM_SN_EUlS10_E1_NS1_11comp_targetILNS1_3genE10ELNS1_11target_archE1201ELNS1_3gpuE5ELNS1_3repE0EEENS1_36merge_oddeven_config_static_selectorELNS0_4arch9wavefront6targetE1EEEvSM_.kd
    .uniform_work_group_size: 1
    .uses_dynamic_stack: false
    .vgpr_count:     0
    .vgpr_spill_count: 0
    .wavefront_size: 64
  - .agpr_count:     0
    .args:
      - .offset:         0
        .size:           64
        .value_kind:     by_value
    .group_segment_fixed_size: 0
    .kernarg_segment_align: 8
    .kernarg_segment_size: 64
    .language:       OpenCL C
    .language_version:
      - 2
      - 0
    .max_flat_workgroup_size: 256
    .name:           _ZN7rocprim17ROCPRIM_400000_NS6detail17trampoline_kernelINS0_14default_configENS1_38merge_sort_block_merge_config_selectorIlNS0_10empty_typeEEEZZNS1_27merge_sort_block_merge_implIS3_PlPS5_mZN2at6native12_GLOBAL__N_124unique_dim_cuda_templateItEESt5tupleIJNSA_6TensorESF_SF_EERKSF_lbbbEUlllE_EE10hipError_tT0_T1_T2_jT3_P12ihipStream_tbPNSt15iterator_traitsISL_E10value_typeEPNSR_ISM_E10value_typeEPSN_NS1_7vsmem_tEENKUlT_SL_SM_SN_E_clIS8_S8_S9_S9_EESK_S10_SL_SM_SN_EUlS10_E1_NS1_11comp_targetILNS1_3genE5ELNS1_11target_archE942ELNS1_3gpuE9ELNS1_3repE0EEENS1_36merge_oddeven_config_static_selectorELNS0_4arch9wavefront6targetE1EEEvSM_
    .private_segment_fixed_size: 0
    .sgpr_count:     52
    .sgpr_spill_count: 0
    .symbol:         _ZN7rocprim17ROCPRIM_400000_NS6detail17trampoline_kernelINS0_14default_configENS1_38merge_sort_block_merge_config_selectorIlNS0_10empty_typeEEEZZNS1_27merge_sort_block_merge_implIS3_PlPS5_mZN2at6native12_GLOBAL__N_124unique_dim_cuda_templateItEESt5tupleIJNSA_6TensorESF_SF_EERKSF_lbbbEUlllE_EE10hipError_tT0_T1_T2_jT3_P12ihipStream_tbPNSt15iterator_traitsISL_E10value_typeEPNSR_ISM_E10value_typeEPSN_NS1_7vsmem_tEENKUlT_SL_SM_SN_E_clIS8_S8_S9_S9_EESK_S10_SL_SM_SN_EUlS10_E1_NS1_11comp_targetILNS1_3genE5ELNS1_11target_archE942ELNS1_3gpuE9ELNS1_3repE0EEENS1_36merge_oddeven_config_static_selectorELNS0_4arch9wavefront6targetE1EEEvSM_.kd
    .uniform_work_group_size: 1
    .uses_dynamic_stack: false
    .vgpr_count:     19
    .vgpr_spill_count: 0
    .wavefront_size: 64
  - .agpr_count:     0
    .args:
      - .offset:         0
        .size:           64
        .value_kind:     by_value
    .group_segment_fixed_size: 0
    .kernarg_segment_align: 8
    .kernarg_segment_size: 64
    .language:       OpenCL C
    .language_version:
      - 2
      - 0
    .max_flat_workgroup_size: 256
    .name:           _ZN7rocprim17ROCPRIM_400000_NS6detail17trampoline_kernelINS0_14default_configENS1_38merge_sort_block_merge_config_selectorIlNS0_10empty_typeEEEZZNS1_27merge_sort_block_merge_implIS3_PlPS5_mZN2at6native12_GLOBAL__N_124unique_dim_cuda_templateItEESt5tupleIJNSA_6TensorESF_SF_EERKSF_lbbbEUlllE_EE10hipError_tT0_T1_T2_jT3_P12ihipStream_tbPNSt15iterator_traitsISL_E10value_typeEPNSR_ISM_E10value_typeEPSN_NS1_7vsmem_tEENKUlT_SL_SM_SN_E_clIS8_S8_S9_S9_EESK_S10_SL_SM_SN_EUlS10_E1_NS1_11comp_targetILNS1_3genE4ELNS1_11target_archE910ELNS1_3gpuE8ELNS1_3repE0EEENS1_36merge_oddeven_config_static_selectorELNS0_4arch9wavefront6targetE1EEEvSM_
    .private_segment_fixed_size: 0
    .sgpr_count:     6
    .sgpr_spill_count: 0
    .symbol:         _ZN7rocprim17ROCPRIM_400000_NS6detail17trampoline_kernelINS0_14default_configENS1_38merge_sort_block_merge_config_selectorIlNS0_10empty_typeEEEZZNS1_27merge_sort_block_merge_implIS3_PlPS5_mZN2at6native12_GLOBAL__N_124unique_dim_cuda_templateItEESt5tupleIJNSA_6TensorESF_SF_EERKSF_lbbbEUlllE_EE10hipError_tT0_T1_T2_jT3_P12ihipStream_tbPNSt15iterator_traitsISL_E10value_typeEPNSR_ISM_E10value_typeEPSN_NS1_7vsmem_tEENKUlT_SL_SM_SN_E_clIS8_S8_S9_S9_EESK_S10_SL_SM_SN_EUlS10_E1_NS1_11comp_targetILNS1_3genE4ELNS1_11target_archE910ELNS1_3gpuE8ELNS1_3repE0EEENS1_36merge_oddeven_config_static_selectorELNS0_4arch9wavefront6targetE1EEEvSM_.kd
    .uniform_work_group_size: 1
    .uses_dynamic_stack: false
    .vgpr_count:     0
    .vgpr_spill_count: 0
    .wavefront_size: 64
  - .agpr_count:     0
    .args:
      - .offset:         0
        .size:           64
        .value_kind:     by_value
    .group_segment_fixed_size: 0
    .kernarg_segment_align: 8
    .kernarg_segment_size: 64
    .language:       OpenCL C
    .language_version:
      - 2
      - 0
    .max_flat_workgroup_size: 256
    .name:           _ZN7rocprim17ROCPRIM_400000_NS6detail17trampoline_kernelINS0_14default_configENS1_38merge_sort_block_merge_config_selectorIlNS0_10empty_typeEEEZZNS1_27merge_sort_block_merge_implIS3_PlPS5_mZN2at6native12_GLOBAL__N_124unique_dim_cuda_templateItEESt5tupleIJNSA_6TensorESF_SF_EERKSF_lbbbEUlllE_EE10hipError_tT0_T1_T2_jT3_P12ihipStream_tbPNSt15iterator_traitsISL_E10value_typeEPNSR_ISM_E10value_typeEPSN_NS1_7vsmem_tEENKUlT_SL_SM_SN_E_clIS8_S8_S9_S9_EESK_S10_SL_SM_SN_EUlS10_E1_NS1_11comp_targetILNS1_3genE3ELNS1_11target_archE908ELNS1_3gpuE7ELNS1_3repE0EEENS1_36merge_oddeven_config_static_selectorELNS0_4arch9wavefront6targetE1EEEvSM_
    .private_segment_fixed_size: 0
    .sgpr_count:     6
    .sgpr_spill_count: 0
    .symbol:         _ZN7rocprim17ROCPRIM_400000_NS6detail17trampoline_kernelINS0_14default_configENS1_38merge_sort_block_merge_config_selectorIlNS0_10empty_typeEEEZZNS1_27merge_sort_block_merge_implIS3_PlPS5_mZN2at6native12_GLOBAL__N_124unique_dim_cuda_templateItEESt5tupleIJNSA_6TensorESF_SF_EERKSF_lbbbEUlllE_EE10hipError_tT0_T1_T2_jT3_P12ihipStream_tbPNSt15iterator_traitsISL_E10value_typeEPNSR_ISM_E10value_typeEPSN_NS1_7vsmem_tEENKUlT_SL_SM_SN_E_clIS8_S8_S9_S9_EESK_S10_SL_SM_SN_EUlS10_E1_NS1_11comp_targetILNS1_3genE3ELNS1_11target_archE908ELNS1_3gpuE7ELNS1_3repE0EEENS1_36merge_oddeven_config_static_selectorELNS0_4arch9wavefront6targetE1EEEvSM_.kd
    .uniform_work_group_size: 1
    .uses_dynamic_stack: false
    .vgpr_count:     0
    .vgpr_spill_count: 0
    .wavefront_size: 64
  - .agpr_count:     0
    .args:
      - .offset:         0
        .size:           64
        .value_kind:     by_value
    .group_segment_fixed_size: 0
    .kernarg_segment_align: 8
    .kernarg_segment_size: 64
    .language:       OpenCL C
    .language_version:
      - 2
      - 0
    .max_flat_workgroup_size: 256
    .name:           _ZN7rocprim17ROCPRIM_400000_NS6detail17trampoline_kernelINS0_14default_configENS1_38merge_sort_block_merge_config_selectorIlNS0_10empty_typeEEEZZNS1_27merge_sort_block_merge_implIS3_PlPS5_mZN2at6native12_GLOBAL__N_124unique_dim_cuda_templateItEESt5tupleIJNSA_6TensorESF_SF_EERKSF_lbbbEUlllE_EE10hipError_tT0_T1_T2_jT3_P12ihipStream_tbPNSt15iterator_traitsISL_E10value_typeEPNSR_ISM_E10value_typeEPSN_NS1_7vsmem_tEENKUlT_SL_SM_SN_E_clIS8_S8_S9_S9_EESK_S10_SL_SM_SN_EUlS10_E1_NS1_11comp_targetILNS1_3genE2ELNS1_11target_archE906ELNS1_3gpuE6ELNS1_3repE0EEENS1_36merge_oddeven_config_static_selectorELNS0_4arch9wavefront6targetE1EEEvSM_
    .private_segment_fixed_size: 0
    .sgpr_count:     6
    .sgpr_spill_count: 0
    .symbol:         _ZN7rocprim17ROCPRIM_400000_NS6detail17trampoline_kernelINS0_14default_configENS1_38merge_sort_block_merge_config_selectorIlNS0_10empty_typeEEEZZNS1_27merge_sort_block_merge_implIS3_PlPS5_mZN2at6native12_GLOBAL__N_124unique_dim_cuda_templateItEESt5tupleIJNSA_6TensorESF_SF_EERKSF_lbbbEUlllE_EE10hipError_tT0_T1_T2_jT3_P12ihipStream_tbPNSt15iterator_traitsISL_E10value_typeEPNSR_ISM_E10value_typeEPSN_NS1_7vsmem_tEENKUlT_SL_SM_SN_E_clIS8_S8_S9_S9_EESK_S10_SL_SM_SN_EUlS10_E1_NS1_11comp_targetILNS1_3genE2ELNS1_11target_archE906ELNS1_3gpuE6ELNS1_3repE0EEENS1_36merge_oddeven_config_static_selectorELNS0_4arch9wavefront6targetE1EEEvSM_.kd
    .uniform_work_group_size: 1
    .uses_dynamic_stack: false
    .vgpr_count:     0
    .vgpr_spill_count: 0
    .wavefront_size: 64
  - .agpr_count:     0
    .args:
      - .offset:         0
        .size:           64
        .value_kind:     by_value
    .group_segment_fixed_size: 0
    .kernarg_segment_align: 8
    .kernarg_segment_size: 64
    .language:       OpenCL C
    .language_version:
      - 2
      - 0
    .max_flat_workgroup_size: 256
    .name:           _ZN7rocprim17ROCPRIM_400000_NS6detail17trampoline_kernelINS0_14default_configENS1_38merge_sort_block_merge_config_selectorIlNS0_10empty_typeEEEZZNS1_27merge_sort_block_merge_implIS3_PlPS5_mZN2at6native12_GLOBAL__N_124unique_dim_cuda_templateItEESt5tupleIJNSA_6TensorESF_SF_EERKSF_lbbbEUlllE_EE10hipError_tT0_T1_T2_jT3_P12ihipStream_tbPNSt15iterator_traitsISL_E10value_typeEPNSR_ISM_E10value_typeEPSN_NS1_7vsmem_tEENKUlT_SL_SM_SN_E_clIS8_S8_S9_S9_EESK_S10_SL_SM_SN_EUlS10_E1_NS1_11comp_targetILNS1_3genE9ELNS1_11target_archE1100ELNS1_3gpuE3ELNS1_3repE0EEENS1_36merge_oddeven_config_static_selectorELNS0_4arch9wavefront6targetE1EEEvSM_
    .private_segment_fixed_size: 0
    .sgpr_count:     6
    .sgpr_spill_count: 0
    .symbol:         _ZN7rocprim17ROCPRIM_400000_NS6detail17trampoline_kernelINS0_14default_configENS1_38merge_sort_block_merge_config_selectorIlNS0_10empty_typeEEEZZNS1_27merge_sort_block_merge_implIS3_PlPS5_mZN2at6native12_GLOBAL__N_124unique_dim_cuda_templateItEESt5tupleIJNSA_6TensorESF_SF_EERKSF_lbbbEUlllE_EE10hipError_tT0_T1_T2_jT3_P12ihipStream_tbPNSt15iterator_traitsISL_E10value_typeEPNSR_ISM_E10value_typeEPSN_NS1_7vsmem_tEENKUlT_SL_SM_SN_E_clIS8_S8_S9_S9_EESK_S10_SL_SM_SN_EUlS10_E1_NS1_11comp_targetILNS1_3genE9ELNS1_11target_archE1100ELNS1_3gpuE3ELNS1_3repE0EEENS1_36merge_oddeven_config_static_selectorELNS0_4arch9wavefront6targetE1EEEvSM_.kd
    .uniform_work_group_size: 1
    .uses_dynamic_stack: false
    .vgpr_count:     0
    .vgpr_spill_count: 0
    .wavefront_size: 64
  - .agpr_count:     0
    .args:
      - .offset:         0
        .size:           64
        .value_kind:     by_value
    .group_segment_fixed_size: 0
    .kernarg_segment_align: 8
    .kernarg_segment_size: 64
    .language:       OpenCL C
    .language_version:
      - 2
      - 0
    .max_flat_workgroup_size: 256
    .name:           _ZN7rocprim17ROCPRIM_400000_NS6detail17trampoline_kernelINS0_14default_configENS1_38merge_sort_block_merge_config_selectorIlNS0_10empty_typeEEEZZNS1_27merge_sort_block_merge_implIS3_PlPS5_mZN2at6native12_GLOBAL__N_124unique_dim_cuda_templateItEESt5tupleIJNSA_6TensorESF_SF_EERKSF_lbbbEUlllE_EE10hipError_tT0_T1_T2_jT3_P12ihipStream_tbPNSt15iterator_traitsISL_E10value_typeEPNSR_ISM_E10value_typeEPSN_NS1_7vsmem_tEENKUlT_SL_SM_SN_E_clIS8_S8_S9_S9_EESK_S10_SL_SM_SN_EUlS10_E1_NS1_11comp_targetILNS1_3genE8ELNS1_11target_archE1030ELNS1_3gpuE2ELNS1_3repE0EEENS1_36merge_oddeven_config_static_selectorELNS0_4arch9wavefront6targetE1EEEvSM_
    .private_segment_fixed_size: 0
    .sgpr_count:     6
    .sgpr_spill_count: 0
    .symbol:         _ZN7rocprim17ROCPRIM_400000_NS6detail17trampoline_kernelINS0_14default_configENS1_38merge_sort_block_merge_config_selectorIlNS0_10empty_typeEEEZZNS1_27merge_sort_block_merge_implIS3_PlPS5_mZN2at6native12_GLOBAL__N_124unique_dim_cuda_templateItEESt5tupleIJNSA_6TensorESF_SF_EERKSF_lbbbEUlllE_EE10hipError_tT0_T1_T2_jT3_P12ihipStream_tbPNSt15iterator_traitsISL_E10value_typeEPNSR_ISM_E10value_typeEPSN_NS1_7vsmem_tEENKUlT_SL_SM_SN_E_clIS8_S8_S9_S9_EESK_S10_SL_SM_SN_EUlS10_E1_NS1_11comp_targetILNS1_3genE8ELNS1_11target_archE1030ELNS1_3gpuE2ELNS1_3repE0EEENS1_36merge_oddeven_config_static_selectorELNS0_4arch9wavefront6targetE1EEEvSM_.kd
    .uniform_work_group_size: 1
    .uses_dynamic_stack: false
    .vgpr_count:     0
    .vgpr_spill_count: 0
    .wavefront_size: 64
  - .agpr_count:     0
    .args:
      - .offset:         0
        .size:           64
        .value_kind:     by_value
    .group_segment_fixed_size: 0
    .kernarg_segment_align: 8
    .kernarg_segment_size: 64
    .language:       OpenCL C
    .language_version:
      - 2
      - 0
    .max_flat_workgroup_size: 128
    .name:           _ZN7rocprim17ROCPRIM_400000_NS6detail17trampoline_kernelINS0_14default_configENS1_35adjacent_difference_config_selectorILb0ElEEZNS1_24adjacent_difference_implIS3_Lb0ELb0EPlS7_ZN2at6native12_GLOBAL__N_124unique_dim_cuda_templateItEESt5tupleIJNS8_6TensorESD_SD_EERKSD_lbbbEUlllE1_EE10hipError_tPvRmT2_T3_mT4_P12ihipStream_tbEUlT_E_NS1_11comp_targetILNS1_3genE0ELNS1_11target_archE4294967295ELNS1_3gpuE0ELNS1_3repE0EEENS1_30default_config_static_selectorELNS0_4arch9wavefront6targetE1EEEvT1_
    .private_segment_fixed_size: 0
    .sgpr_count:     6
    .sgpr_spill_count: 0
    .symbol:         _ZN7rocprim17ROCPRIM_400000_NS6detail17trampoline_kernelINS0_14default_configENS1_35adjacent_difference_config_selectorILb0ElEEZNS1_24adjacent_difference_implIS3_Lb0ELb0EPlS7_ZN2at6native12_GLOBAL__N_124unique_dim_cuda_templateItEESt5tupleIJNS8_6TensorESD_SD_EERKSD_lbbbEUlllE1_EE10hipError_tPvRmT2_T3_mT4_P12ihipStream_tbEUlT_E_NS1_11comp_targetILNS1_3genE0ELNS1_11target_archE4294967295ELNS1_3gpuE0ELNS1_3repE0EEENS1_30default_config_static_selectorELNS0_4arch9wavefront6targetE1EEEvT1_.kd
    .uniform_work_group_size: 1
    .uses_dynamic_stack: false
    .vgpr_count:     0
    .vgpr_spill_count: 0
    .wavefront_size: 64
  - .agpr_count:     0
    .args:
      - .offset:         0
        .size:           64
        .value_kind:     by_value
    .group_segment_fixed_size: 0
    .kernarg_segment_align: 8
    .kernarg_segment_size: 64
    .language:       OpenCL C
    .language_version:
      - 2
      - 0
    .max_flat_workgroup_size: 128
    .name:           _ZN7rocprim17ROCPRIM_400000_NS6detail17trampoline_kernelINS0_14default_configENS1_35adjacent_difference_config_selectorILb0ElEEZNS1_24adjacent_difference_implIS3_Lb0ELb0EPlS7_ZN2at6native12_GLOBAL__N_124unique_dim_cuda_templateItEESt5tupleIJNS8_6TensorESD_SD_EERKSD_lbbbEUlllE1_EE10hipError_tPvRmT2_T3_mT4_P12ihipStream_tbEUlT_E_NS1_11comp_targetILNS1_3genE10ELNS1_11target_archE1201ELNS1_3gpuE5ELNS1_3repE0EEENS1_30default_config_static_selectorELNS0_4arch9wavefront6targetE1EEEvT1_
    .private_segment_fixed_size: 0
    .sgpr_count:     6
    .sgpr_spill_count: 0
    .symbol:         _ZN7rocprim17ROCPRIM_400000_NS6detail17trampoline_kernelINS0_14default_configENS1_35adjacent_difference_config_selectorILb0ElEEZNS1_24adjacent_difference_implIS3_Lb0ELb0EPlS7_ZN2at6native12_GLOBAL__N_124unique_dim_cuda_templateItEESt5tupleIJNS8_6TensorESD_SD_EERKSD_lbbbEUlllE1_EE10hipError_tPvRmT2_T3_mT4_P12ihipStream_tbEUlT_E_NS1_11comp_targetILNS1_3genE10ELNS1_11target_archE1201ELNS1_3gpuE5ELNS1_3repE0EEENS1_30default_config_static_selectorELNS0_4arch9wavefront6targetE1EEEvT1_.kd
    .uniform_work_group_size: 1
    .uses_dynamic_stack: false
    .vgpr_count:     0
    .vgpr_spill_count: 0
    .wavefront_size: 64
  - .agpr_count:     0
    .args:
      - .offset:         0
        .size:           64
        .value_kind:     by_value
    .group_segment_fixed_size: 6656
    .kernarg_segment_align: 8
    .kernarg_segment_size: 64
    .language:       OpenCL C
    .language_version:
      - 2
      - 0
    .max_flat_workgroup_size: 64
    .name:           _ZN7rocprim17ROCPRIM_400000_NS6detail17trampoline_kernelINS0_14default_configENS1_35adjacent_difference_config_selectorILb0ElEEZNS1_24adjacent_difference_implIS3_Lb0ELb0EPlS7_ZN2at6native12_GLOBAL__N_124unique_dim_cuda_templateItEESt5tupleIJNS8_6TensorESD_SD_EERKSD_lbbbEUlllE1_EE10hipError_tPvRmT2_T3_mT4_P12ihipStream_tbEUlT_E_NS1_11comp_targetILNS1_3genE5ELNS1_11target_archE942ELNS1_3gpuE9ELNS1_3repE0EEENS1_30default_config_static_selectorELNS0_4arch9wavefront6targetE1EEEvT1_
    .private_segment_fixed_size: 0
    .sgpr_count:     44
    .sgpr_spill_count: 0
    .symbol:         _ZN7rocprim17ROCPRIM_400000_NS6detail17trampoline_kernelINS0_14default_configENS1_35adjacent_difference_config_selectorILb0ElEEZNS1_24adjacent_difference_implIS3_Lb0ELb0EPlS7_ZN2at6native12_GLOBAL__N_124unique_dim_cuda_templateItEESt5tupleIJNS8_6TensorESD_SD_EERKSD_lbbbEUlllE1_EE10hipError_tPvRmT2_T3_mT4_P12ihipStream_tbEUlT_E_NS1_11comp_targetILNS1_3genE5ELNS1_11target_archE942ELNS1_3gpuE9ELNS1_3repE0EEENS1_30default_config_static_selectorELNS0_4arch9wavefront6targetE1EEEvT1_.kd
    .uniform_work_group_size: 1
    .uses_dynamic_stack: false
    .vgpr_count:     84
    .vgpr_spill_count: 0
    .wavefront_size: 64
  - .agpr_count:     0
    .args:
      - .offset:         0
        .size:           64
        .value_kind:     by_value
    .group_segment_fixed_size: 0
    .kernarg_segment_align: 8
    .kernarg_segment_size: 64
    .language:       OpenCL C
    .language_version:
      - 2
      - 0
    .max_flat_workgroup_size: 256
    .name:           _ZN7rocprim17ROCPRIM_400000_NS6detail17trampoline_kernelINS0_14default_configENS1_35adjacent_difference_config_selectorILb0ElEEZNS1_24adjacent_difference_implIS3_Lb0ELb0EPlS7_ZN2at6native12_GLOBAL__N_124unique_dim_cuda_templateItEESt5tupleIJNS8_6TensorESD_SD_EERKSD_lbbbEUlllE1_EE10hipError_tPvRmT2_T3_mT4_P12ihipStream_tbEUlT_E_NS1_11comp_targetILNS1_3genE4ELNS1_11target_archE910ELNS1_3gpuE8ELNS1_3repE0EEENS1_30default_config_static_selectorELNS0_4arch9wavefront6targetE1EEEvT1_
    .private_segment_fixed_size: 0
    .sgpr_count:     6
    .sgpr_spill_count: 0
    .symbol:         _ZN7rocprim17ROCPRIM_400000_NS6detail17trampoline_kernelINS0_14default_configENS1_35adjacent_difference_config_selectorILb0ElEEZNS1_24adjacent_difference_implIS3_Lb0ELb0EPlS7_ZN2at6native12_GLOBAL__N_124unique_dim_cuda_templateItEESt5tupleIJNS8_6TensorESD_SD_EERKSD_lbbbEUlllE1_EE10hipError_tPvRmT2_T3_mT4_P12ihipStream_tbEUlT_E_NS1_11comp_targetILNS1_3genE4ELNS1_11target_archE910ELNS1_3gpuE8ELNS1_3repE0EEENS1_30default_config_static_selectorELNS0_4arch9wavefront6targetE1EEEvT1_.kd
    .uniform_work_group_size: 1
    .uses_dynamic_stack: false
    .vgpr_count:     0
    .vgpr_spill_count: 0
    .wavefront_size: 64
  - .agpr_count:     0
    .args:
      - .offset:         0
        .size:           64
        .value_kind:     by_value
    .group_segment_fixed_size: 0
    .kernarg_segment_align: 8
    .kernarg_segment_size: 64
    .language:       OpenCL C
    .language_version:
      - 2
      - 0
    .max_flat_workgroup_size: 128
    .name:           _ZN7rocprim17ROCPRIM_400000_NS6detail17trampoline_kernelINS0_14default_configENS1_35adjacent_difference_config_selectorILb0ElEEZNS1_24adjacent_difference_implIS3_Lb0ELb0EPlS7_ZN2at6native12_GLOBAL__N_124unique_dim_cuda_templateItEESt5tupleIJNS8_6TensorESD_SD_EERKSD_lbbbEUlllE1_EE10hipError_tPvRmT2_T3_mT4_P12ihipStream_tbEUlT_E_NS1_11comp_targetILNS1_3genE3ELNS1_11target_archE908ELNS1_3gpuE7ELNS1_3repE0EEENS1_30default_config_static_selectorELNS0_4arch9wavefront6targetE1EEEvT1_
    .private_segment_fixed_size: 0
    .sgpr_count:     6
    .sgpr_spill_count: 0
    .symbol:         _ZN7rocprim17ROCPRIM_400000_NS6detail17trampoline_kernelINS0_14default_configENS1_35adjacent_difference_config_selectorILb0ElEEZNS1_24adjacent_difference_implIS3_Lb0ELb0EPlS7_ZN2at6native12_GLOBAL__N_124unique_dim_cuda_templateItEESt5tupleIJNS8_6TensorESD_SD_EERKSD_lbbbEUlllE1_EE10hipError_tPvRmT2_T3_mT4_P12ihipStream_tbEUlT_E_NS1_11comp_targetILNS1_3genE3ELNS1_11target_archE908ELNS1_3gpuE7ELNS1_3repE0EEENS1_30default_config_static_selectorELNS0_4arch9wavefront6targetE1EEEvT1_.kd
    .uniform_work_group_size: 1
    .uses_dynamic_stack: false
    .vgpr_count:     0
    .vgpr_spill_count: 0
    .wavefront_size: 64
  - .agpr_count:     0
    .args:
      - .offset:         0
        .size:           64
        .value_kind:     by_value
    .group_segment_fixed_size: 0
    .kernarg_segment_align: 8
    .kernarg_segment_size: 64
    .language:       OpenCL C
    .language_version:
      - 2
      - 0
    .max_flat_workgroup_size: 128
    .name:           _ZN7rocprim17ROCPRIM_400000_NS6detail17trampoline_kernelINS0_14default_configENS1_35adjacent_difference_config_selectorILb0ElEEZNS1_24adjacent_difference_implIS3_Lb0ELb0EPlS7_ZN2at6native12_GLOBAL__N_124unique_dim_cuda_templateItEESt5tupleIJNS8_6TensorESD_SD_EERKSD_lbbbEUlllE1_EE10hipError_tPvRmT2_T3_mT4_P12ihipStream_tbEUlT_E_NS1_11comp_targetILNS1_3genE2ELNS1_11target_archE906ELNS1_3gpuE6ELNS1_3repE0EEENS1_30default_config_static_selectorELNS0_4arch9wavefront6targetE1EEEvT1_
    .private_segment_fixed_size: 0
    .sgpr_count:     6
    .sgpr_spill_count: 0
    .symbol:         _ZN7rocprim17ROCPRIM_400000_NS6detail17trampoline_kernelINS0_14default_configENS1_35adjacent_difference_config_selectorILb0ElEEZNS1_24adjacent_difference_implIS3_Lb0ELb0EPlS7_ZN2at6native12_GLOBAL__N_124unique_dim_cuda_templateItEESt5tupleIJNS8_6TensorESD_SD_EERKSD_lbbbEUlllE1_EE10hipError_tPvRmT2_T3_mT4_P12ihipStream_tbEUlT_E_NS1_11comp_targetILNS1_3genE2ELNS1_11target_archE906ELNS1_3gpuE6ELNS1_3repE0EEENS1_30default_config_static_selectorELNS0_4arch9wavefront6targetE1EEEvT1_.kd
    .uniform_work_group_size: 1
    .uses_dynamic_stack: false
    .vgpr_count:     0
    .vgpr_spill_count: 0
    .wavefront_size: 64
  - .agpr_count:     0
    .args:
      - .offset:         0
        .size:           64
        .value_kind:     by_value
    .group_segment_fixed_size: 0
    .kernarg_segment_align: 8
    .kernarg_segment_size: 64
    .language:       OpenCL C
    .language_version:
      - 2
      - 0
    .max_flat_workgroup_size: 512
    .name:           _ZN7rocprim17ROCPRIM_400000_NS6detail17trampoline_kernelINS0_14default_configENS1_35adjacent_difference_config_selectorILb0ElEEZNS1_24adjacent_difference_implIS3_Lb0ELb0EPlS7_ZN2at6native12_GLOBAL__N_124unique_dim_cuda_templateItEESt5tupleIJNS8_6TensorESD_SD_EERKSD_lbbbEUlllE1_EE10hipError_tPvRmT2_T3_mT4_P12ihipStream_tbEUlT_E_NS1_11comp_targetILNS1_3genE9ELNS1_11target_archE1100ELNS1_3gpuE3ELNS1_3repE0EEENS1_30default_config_static_selectorELNS0_4arch9wavefront6targetE1EEEvT1_
    .private_segment_fixed_size: 0
    .sgpr_count:     6
    .sgpr_spill_count: 0
    .symbol:         _ZN7rocprim17ROCPRIM_400000_NS6detail17trampoline_kernelINS0_14default_configENS1_35adjacent_difference_config_selectorILb0ElEEZNS1_24adjacent_difference_implIS3_Lb0ELb0EPlS7_ZN2at6native12_GLOBAL__N_124unique_dim_cuda_templateItEESt5tupleIJNS8_6TensorESD_SD_EERKSD_lbbbEUlllE1_EE10hipError_tPvRmT2_T3_mT4_P12ihipStream_tbEUlT_E_NS1_11comp_targetILNS1_3genE9ELNS1_11target_archE1100ELNS1_3gpuE3ELNS1_3repE0EEENS1_30default_config_static_selectorELNS0_4arch9wavefront6targetE1EEEvT1_.kd
    .uniform_work_group_size: 1
    .uses_dynamic_stack: false
    .vgpr_count:     0
    .vgpr_spill_count: 0
    .wavefront_size: 64
  - .agpr_count:     0
    .args:
      - .offset:         0
        .size:           64
        .value_kind:     by_value
    .group_segment_fixed_size: 0
    .kernarg_segment_align: 8
    .kernarg_segment_size: 64
    .language:       OpenCL C
    .language_version:
      - 2
      - 0
    .max_flat_workgroup_size: 1024
    .name:           _ZN7rocprim17ROCPRIM_400000_NS6detail17trampoline_kernelINS0_14default_configENS1_35adjacent_difference_config_selectorILb0ElEEZNS1_24adjacent_difference_implIS3_Lb0ELb0EPlS7_ZN2at6native12_GLOBAL__N_124unique_dim_cuda_templateItEESt5tupleIJNS8_6TensorESD_SD_EERKSD_lbbbEUlllE1_EE10hipError_tPvRmT2_T3_mT4_P12ihipStream_tbEUlT_E_NS1_11comp_targetILNS1_3genE8ELNS1_11target_archE1030ELNS1_3gpuE2ELNS1_3repE0EEENS1_30default_config_static_selectorELNS0_4arch9wavefront6targetE1EEEvT1_
    .private_segment_fixed_size: 0
    .sgpr_count:     6
    .sgpr_spill_count: 0
    .symbol:         _ZN7rocprim17ROCPRIM_400000_NS6detail17trampoline_kernelINS0_14default_configENS1_35adjacent_difference_config_selectorILb0ElEEZNS1_24adjacent_difference_implIS3_Lb0ELb0EPlS7_ZN2at6native12_GLOBAL__N_124unique_dim_cuda_templateItEESt5tupleIJNS8_6TensorESD_SD_EERKSD_lbbbEUlllE1_EE10hipError_tPvRmT2_T3_mT4_P12ihipStream_tbEUlT_E_NS1_11comp_targetILNS1_3genE8ELNS1_11target_archE1030ELNS1_3gpuE2ELNS1_3repE0EEENS1_30default_config_static_selectorELNS0_4arch9wavefront6targetE1EEEvT1_.kd
    .uniform_work_group_size: 1
    .uses_dynamic_stack: false
    .vgpr_count:     0
    .vgpr_spill_count: 0
    .wavefront_size: 64
  - .agpr_count:     0
    .args:
      - .offset:         0
        .size:           56
        .value_kind:     by_value
    .group_segment_fixed_size: 0
    .kernarg_segment_align: 8
    .kernarg_segment_size: 56
    .language:       OpenCL C
    .language_version:
      - 2
      - 0
    .max_flat_workgroup_size: 128
    .name:           _ZN7rocprim17ROCPRIM_400000_NS6detail17trampoline_kernelINS0_14default_configENS1_25transform_config_selectorIlLb0EEEZNS1_14transform_implILb0ES3_S5_NS0_18transform_iteratorINS0_17counting_iteratorImlEEZNS1_24adjacent_difference_implIS3_Lb1ELb0EPlSB_ZN2at6native12_GLOBAL__N_124unique_dim_cuda_templateItEESt5tupleIJNSC_6TensorESH_SH_EERKSH_lbbbEUlllE1_EE10hipError_tPvRmT2_T3_mT4_P12ihipStream_tbEUlmE_lEESB_NS0_8identityIvEEEESM_SP_SQ_mSR_ST_bEUlT_E_NS1_11comp_targetILNS1_3genE0ELNS1_11target_archE4294967295ELNS1_3gpuE0ELNS1_3repE0EEENS1_30default_config_static_selectorELNS0_4arch9wavefront6targetE1EEEvT1_
    .private_segment_fixed_size: 0
    .sgpr_count:     6
    .sgpr_spill_count: 0
    .symbol:         _ZN7rocprim17ROCPRIM_400000_NS6detail17trampoline_kernelINS0_14default_configENS1_25transform_config_selectorIlLb0EEEZNS1_14transform_implILb0ES3_S5_NS0_18transform_iteratorINS0_17counting_iteratorImlEEZNS1_24adjacent_difference_implIS3_Lb1ELb0EPlSB_ZN2at6native12_GLOBAL__N_124unique_dim_cuda_templateItEESt5tupleIJNSC_6TensorESH_SH_EERKSH_lbbbEUlllE1_EE10hipError_tPvRmT2_T3_mT4_P12ihipStream_tbEUlmE_lEESB_NS0_8identityIvEEEESM_SP_SQ_mSR_ST_bEUlT_E_NS1_11comp_targetILNS1_3genE0ELNS1_11target_archE4294967295ELNS1_3gpuE0ELNS1_3repE0EEENS1_30default_config_static_selectorELNS0_4arch9wavefront6targetE1EEEvT1_.kd
    .uniform_work_group_size: 1
    .uses_dynamic_stack: false
    .vgpr_count:     0
    .vgpr_spill_count: 0
    .wavefront_size: 64
  - .agpr_count:     0
    .args:
      - .offset:         0
        .size:           56
        .value_kind:     by_value
      - .offset:         56
        .size:           4
        .value_kind:     hidden_block_count_x
      - .offset:         60
        .size:           4
        .value_kind:     hidden_block_count_y
      - .offset:         64
        .size:           4
        .value_kind:     hidden_block_count_z
      - .offset:         68
        .size:           2
        .value_kind:     hidden_group_size_x
      - .offset:         70
        .size:           2
        .value_kind:     hidden_group_size_y
      - .offset:         72
        .size:           2
        .value_kind:     hidden_group_size_z
      - .offset:         74
        .size:           2
        .value_kind:     hidden_remainder_x
      - .offset:         76
        .size:           2
        .value_kind:     hidden_remainder_y
      - .offset:         78
        .size:           2
        .value_kind:     hidden_remainder_z
      - .offset:         96
        .size:           8
        .value_kind:     hidden_global_offset_x
      - .offset:         104
        .size:           8
        .value_kind:     hidden_global_offset_y
      - .offset:         112
        .size:           8
        .value_kind:     hidden_global_offset_z
      - .offset:         120
        .size:           2
        .value_kind:     hidden_grid_dims
    .group_segment_fixed_size: 0
    .kernarg_segment_align: 8
    .kernarg_segment_size: 312
    .language:       OpenCL C
    .language_version:
      - 2
      - 0
    .max_flat_workgroup_size: 512
    .name:           _ZN7rocprim17ROCPRIM_400000_NS6detail17trampoline_kernelINS0_14default_configENS1_25transform_config_selectorIlLb0EEEZNS1_14transform_implILb0ES3_S5_NS0_18transform_iteratorINS0_17counting_iteratorImlEEZNS1_24adjacent_difference_implIS3_Lb1ELb0EPlSB_ZN2at6native12_GLOBAL__N_124unique_dim_cuda_templateItEESt5tupleIJNSC_6TensorESH_SH_EERKSH_lbbbEUlllE1_EE10hipError_tPvRmT2_T3_mT4_P12ihipStream_tbEUlmE_lEESB_NS0_8identityIvEEEESM_SP_SQ_mSR_ST_bEUlT_E_NS1_11comp_targetILNS1_3genE5ELNS1_11target_archE942ELNS1_3gpuE9ELNS1_3repE0EEENS1_30default_config_static_selectorELNS0_4arch9wavefront6targetE1EEEvT1_
    .private_segment_fixed_size: 0
    .sgpr_count:     26
    .sgpr_spill_count: 0
    .symbol:         _ZN7rocprim17ROCPRIM_400000_NS6detail17trampoline_kernelINS0_14default_configENS1_25transform_config_selectorIlLb0EEEZNS1_14transform_implILb0ES3_S5_NS0_18transform_iteratorINS0_17counting_iteratorImlEEZNS1_24adjacent_difference_implIS3_Lb1ELb0EPlSB_ZN2at6native12_GLOBAL__N_124unique_dim_cuda_templateItEESt5tupleIJNSC_6TensorESH_SH_EERKSH_lbbbEUlllE1_EE10hipError_tPvRmT2_T3_mT4_P12ihipStream_tbEUlmE_lEESB_NS0_8identityIvEEEESM_SP_SQ_mSR_ST_bEUlT_E_NS1_11comp_targetILNS1_3genE5ELNS1_11target_archE942ELNS1_3gpuE9ELNS1_3repE0EEENS1_30default_config_static_selectorELNS0_4arch9wavefront6targetE1EEEvT1_.kd
    .uniform_work_group_size: 1
    .uses_dynamic_stack: false
    .vgpr_count:     12
    .vgpr_spill_count: 0
    .wavefront_size: 64
  - .agpr_count:     0
    .args:
      - .offset:         0
        .size:           56
        .value_kind:     by_value
    .group_segment_fixed_size: 0
    .kernarg_segment_align: 8
    .kernarg_segment_size: 56
    .language:       OpenCL C
    .language_version:
      - 2
      - 0
    .max_flat_workgroup_size: 256
    .name:           _ZN7rocprim17ROCPRIM_400000_NS6detail17trampoline_kernelINS0_14default_configENS1_25transform_config_selectorIlLb0EEEZNS1_14transform_implILb0ES3_S5_NS0_18transform_iteratorINS0_17counting_iteratorImlEEZNS1_24adjacent_difference_implIS3_Lb1ELb0EPlSB_ZN2at6native12_GLOBAL__N_124unique_dim_cuda_templateItEESt5tupleIJNSC_6TensorESH_SH_EERKSH_lbbbEUlllE1_EE10hipError_tPvRmT2_T3_mT4_P12ihipStream_tbEUlmE_lEESB_NS0_8identityIvEEEESM_SP_SQ_mSR_ST_bEUlT_E_NS1_11comp_targetILNS1_3genE4ELNS1_11target_archE910ELNS1_3gpuE8ELNS1_3repE0EEENS1_30default_config_static_selectorELNS0_4arch9wavefront6targetE1EEEvT1_
    .private_segment_fixed_size: 0
    .sgpr_count:     6
    .sgpr_spill_count: 0
    .symbol:         _ZN7rocprim17ROCPRIM_400000_NS6detail17trampoline_kernelINS0_14default_configENS1_25transform_config_selectorIlLb0EEEZNS1_14transform_implILb0ES3_S5_NS0_18transform_iteratorINS0_17counting_iteratorImlEEZNS1_24adjacent_difference_implIS3_Lb1ELb0EPlSB_ZN2at6native12_GLOBAL__N_124unique_dim_cuda_templateItEESt5tupleIJNSC_6TensorESH_SH_EERKSH_lbbbEUlllE1_EE10hipError_tPvRmT2_T3_mT4_P12ihipStream_tbEUlmE_lEESB_NS0_8identityIvEEEESM_SP_SQ_mSR_ST_bEUlT_E_NS1_11comp_targetILNS1_3genE4ELNS1_11target_archE910ELNS1_3gpuE8ELNS1_3repE0EEENS1_30default_config_static_selectorELNS0_4arch9wavefront6targetE1EEEvT1_.kd
    .uniform_work_group_size: 1
    .uses_dynamic_stack: false
    .vgpr_count:     0
    .vgpr_spill_count: 0
    .wavefront_size: 64
  - .agpr_count:     0
    .args:
      - .offset:         0
        .size:           56
        .value_kind:     by_value
    .group_segment_fixed_size: 0
    .kernarg_segment_align: 8
    .kernarg_segment_size: 56
    .language:       OpenCL C
    .language_version:
      - 2
      - 0
    .max_flat_workgroup_size: 128
    .name:           _ZN7rocprim17ROCPRIM_400000_NS6detail17trampoline_kernelINS0_14default_configENS1_25transform_config_selectorIlLb0EEEZNS1_14transform_implILb0ES3_S5_NS0_18transform_iteratorINS0_17counting_iteratorImlEEZNS1_24adjacent_difference_implIS3_Lb1ELb0EPlSB_ZN2at6native12_GLOBAL__N_124unique_dim_cuda_templateItEESt5tupleIJNSC_6TensorESH_SH_EERKSH_lbbbEUlllE1_EE10hipError_tPvRmT2_T3_mT4_P12ihipStream_tbEUlmE_lEESB_NS0_8identityIvEEEESM_SP_SQ_mSR_ST_bEUlT_E_NS1_11comp_targetILNS1_3genE3ELNS1_11target_archE908ELNS1_3gpuE7ELNS1_3repE0EEENS1_30default_config_static_selectorELNS0_4arch9wavefront6targetE1EEEvT1_
    .private_segment_fixed_size: 0
    .sgpr_count:     6
    .sgpr_spill_count: 0
    .symbol:         _ZN7rocprim17ROCPRIM_400000_NS6detail17trampoline_kernelINS0_14default_configENS1_25transform_config_selectorIlLb0EEEZNS1_14transform_implILb0ES3_S5_NS0_18transform_iteratorINS0_17counting_iteratorImlEEZNS1_24adjacent_difference_implIS3_Lb1ELb0EPlSB_ZN2at6native12_GLOBAL__N_124unique_dim_cuda_templateItEESt5tupleIJNSC_6TensorESH_SH_EERKSH_lbbbEUlllE1_EE10hipError_tPvRmT2_T3_mT4_P12ihipStream_tbEUlmE_lEESB_NS0_8identityIvEEEESM_SP_SQ_mSR_ST_bEUlT_E_NS1_11comp_targetILNS1_3genE3ELNS1_11target_archE908ELNS1_3gpuE7ELNS1_3repE0EEENS1_30default_config_static_selectorELNS0_4arch9wavefront6targetE1EEEvT1_.kd
    .uniform_work_group_size: 1
    .uses_dynamic_stack: false
    .vgpr_count:     0
    .vgpr_spill_count: 0
    .wavefront_size: 64
  - .agpr_count:     0
    .args:
      - .offset:         0
        .size:           56
        .value_kind:     by_value
    .group_segment_fixed_size: 0
    .kernarg_segment_align: 8
    .kernarg_segment_size: 56
    .language:       OpenCL C
    .language_version:
      - 2
      - 0
    .max_flat_workgroup_size: 512
    .name:           _ZN7rocprim17ROCPRIM_400000_NS6detail17trampoline_kernelINS0_14default_configENS1_25transform_config_selectorIlLb0EEEZNS1_14transform_implILb0ES3_S5_NS0_18transform_iteratorINS0_17counting_iteratorImlEEZNS1_24adjacent_difference_implIS3_Lb1ELb0EPlSB_ZN2at6native12_GLOBAL__N_124unique_dim_cuda_templateItEESt5tupleIJNSC_6TensorESH_SH_EERKSH_lbbbEUlllE1_EE10hipError_tPvRmT2_T3_mT4_P12ihipStream_tbEUlmE_lEESB_NS0_8identityIvEEEESM_SP_SQ_mSR_ST_bEUlT_E_NS1_11comp_targetILNS1_3genE2ELNS1_11target_archE906ELNS1_3gpuE6ELNS1_3repE0EEENS1_30default_config_static_selectorELNS0_4arch9wavefront6targetE1EEEvT1_
    .private_segment_fixed_size: 0
    .sgpr_count:     6
    .sgpr_spill_count: 0
    .symbol:         _ZN7rocprim17ROCPRIM_400000_NS6detail17trampoline_kernelINS0_14default_configENS1_25transform_config_selectorIlLb0EEEZNS1_14transform_implILb0ES3_S5_NS0_18transform_iteratorINS0_17counting_iteratorImlEEZNS1_24adjacent_difference_implIS3_Lb1ELb0EPlSB_ZN2at6native12_GLOBAL__N_124unique_dim_cuda_templateItEESt5tupleIJNSC_6TensorESH_SH_EERKSH_lbbbEUlllE1_EE10hipError_tPvRmT2_T3_mT4_P12ihipStream_tbEUlmE_lEESB_NS0_8identityIvEEEESM_SP_SQ_mSR_ST_bEUlT_E_NS1_11comp_targetILNS1_3genE2ELNS1_11target_archE906ELNS1_3gpuE6ELNS1_3repE0EEENS1_30default_config_static_selectorELNS0_4arch9wavefront6targetE1EEEvT1_.kd
    .uniform_work_group_size: 1
    .uses_dynamic_stack: false
    .vgpr_count:     0
    .vgpr_spill_count: 0
    .wavefront_size: 64
  - .agpr_count:     0
    .args:
      - .offset:         0
        .size:           56
        .value_kind:     by_value
    .group_segment_fixed_size: 0
    .kernarg_segment_align: 8
    .kernarg_segment_size: 56
    .language:       OpenCL C
    .language_version:
      - 2
      - 0
    .max_flat_workgroup_size: 1024
    .name:           _ZN7rocprim17ROCPRIM_400000_NS6detail17trampoline_kernelINS0_14default_configENS1_25transform_config_selectorIlLb0EEEZNS1_14transform_implILb0ES3_S5_NS0_18transform_iteratorINS0_17counting_iteratorImlEEZNS1_24adjacent_difference_implIS3_Lb1ELb0EPlSB_ZN2at6native12_GLOBAL__N_124unique_dim_cuda_templateItEESt5tupleIJNSC_6TensorESH_SH_EERKSH_lbbbEUlllE1_EE10hipError_tPvRmT2_T3_mT4_P12ihipStream_tbEUlmE_lEESB_NS0_8identityIvEEEESM_SP_SQ_mSR_ST_bEUlT_E_NS1_11comp_targetILNS1_3genE10ELNS1_11target_archE1201ELNS1_3gpuE5ELNS1_3repE0EEENS1_30default_config_static_selectorELNS0_4arch9wavefront6targetE1EEEvT1_
    .private_segment_fixed_size: 0
    .sgpr_count:     6
    .sgpr_spill_count: 0
    .symbol:         _ZN7rocprim17ROCPRIM_400000_NS6detail17trampoline_kernelINS0_14default_configENS1_25transform_config_selectorIlLb0EEEZNS1_14transform_implILb0ES3_S5_NS0_18transform_iteratorINS0_17counting_iteratorImlEEZNS1_24adjacent_difference_implIS3_Lb1ELb0EPlSB_ZN2at6native12_GLOBAL__N_124unique_dim_cuda_templateItEESt5tupleIJNSC_6TensorESH_SH_EERKSH_lbbbEUlllE1_EE10hipError_tPvRmT2_T3_mT4_P12ihipStream_tbEUlmE_lEESB_NS0_8identityIvEEEESM_SP_SQ_mSR_ST_bEUlT_E_NS1_11comp_targetILNS1_3genE10ELNS1_11target_archE1201ELNS1_3gpuE5ELNS1_3repE0EEENS1_30default_config_static_selectorELNS0_4arch9wavefront6targetE1EEEvT1_.kd
    .uniform_work_group_size: 1
    .uses_dynamic_stack: false
    .vgpr_count:     0
    .vgpr_spill_count: 0
    .wavefront_size: 64
  - .agpr_count:     0
    .args:
      - .offset:         0
        .size:           56
        .value_kind:     by_value
    .group_segment_fixed_size: 0
    .kernarg_segment_align: 8
    .kernarg_segment_size: 56
    .language:       OpenCL C
    .language_version:
      - 2
      - 0
    .max_flat_workgroup_size: 512
    .name:           _ZN7rocprim17ROCPRIM_400000_NS6detail17trampoline_kernelINS0_14default_configENS1_25transform_config_selectorIlLb0EEEZNS1_14transform_implILb0ES3_S5_NS0_18transform_iteratorINS0_17counting_iteratorImlEEZNS1_24adjacent_difference_implIS3_Lb1ELb0EPlSB_ZN2at6native12_GLOBAL__N_124unique_dim_cuda_templateItEESt5tupleIJNSC_6TensorESH_SH_EERKSH_lbbbEUlllE1_EE10hipError_tPvRmT2_T3_mT4_P12ihipStream_tbEUlmE_lEESB_NS0_8identityIvEEEESM_SP_SQ_mSR_ST_bEUlT_E_NS1_11comp_targetILNS1_3genE10ELNS1_11target_archE1200ELNS1_3gpuE4ELNS1_3repE0EEENS1_30default_config_static_selectorELNS0_4arch9wavefront6targetE1EEEvT1_
    .private_segment_fixed_size: 0
    .sgpr_count:     6
    .sgpr_spill_count: 0
    .symbol:         _ZN7rocprim17ROCPRIM_400000_NS6detail17trampoline_kernelINS0_14default_configENS1_25transform_config_selectorIlLb0EEEZNS1_14transform_implILb0ES3_S5_NS0_18transform_iteratorINS0_17counting_iteratorImlEEZNS1_24adjacent_difference_implIS3_Lb1ELb0EPlSB_ZN2at6native12_GLOBAL__N_124unique_dim_cuda_templateItEESt5tupleIJNSC_6TensorESH_SH_EERKSH_lbbbEUlllE1_EE10hipError_tPvRmT2_T3_mT4_P12ihipStream_tbEUlmE_lEESB_NS0_8identityIvEEEESM_SP_SQ_mSR_ST_bEUlT_E_NS1_11comp_targetILNS1_3genE10ELNS1_11target_archE1200ELNS1_3gpuE4ELNS1_3repE0EEENS1_30default_config_static_selectorELNS0_4arch9wavefront6targetE1EEEvT1_.kd
    .uniform_work_group_size: 1
    .uses_dynamic_stack: false
    .vgpr_count:     0
    .vgpr_spill_count: 0
    .wavefront_size: 64
  - .agpr_count:     0
    .args:
      - .offset:         0
        .size:           56
        .value_kind:     by_value
    .group_segment_fixed_size: 0
    .kernarg_segment_align: 8
    .kernarg_segment_size: 56
    .language:       OpenCL C
    .language_version:
      - 2
      - 0
    .max_flat_workgroup_size: 512
    .name:           _ZN7rocprim17ROCPRIM_400000_NS6detail17trampoline_kernelINS0_14default_configENS1_25transform_config_selectorIlLb0EEEZNS1_14transform_implILb0ES3_S5_NS0_18transform_iteratorINS0_17counting_iteratorImlEEZNS1_24adjacent_difference_implIS3_Lb1ELb0EPlSB_ZN2at6native12_GLOBAL__N_124unique_dim_cuda_templateItEESt5tupleIJNSC_6TensorESH_SH_EERKSH_lbbbEUlllE1_EE10hipError_tPvRmT2_T3_mT4_P12ihipStream_tbEUlmE_lEESB_NS0_8identityIvEEEESM_SP_SQ_mSR_ST_bEUlT_E_NS1_11comp_targetILNS1_3genE9ELNS1_11target_archE1100ELNS1_3gpuE3ELNS1_3repE0EEENS1_30default_config_static_selectorELNS0_4arch9wavefront6targetE1EEEvT1_
    .private_segment_fixed_size: 0
    .sgpr_count:     6
    .sgpr_spill_count: 0
    .symbol:         _ZN7rocprim17ROCPRIM_400000_NS6detail17trampoline_kernelINS0_14default_configENS1_25transform_config_selectorIlLb0EEEZNS1_14transform_implILb0ES3_S5_NS0_18transform_iteratorINS0_17counting_iteratorImlEEZNS1_24adjacent_difference_implIS3_Lb1ELb0EPlSB_ZN2at6native12_GLOBAL__N_124unique_dim_cuda_templateItEESt5tupleIJNSC_6TensorESH_SH_EERKSH_lbbbEUlllE1_EE10hipError_tPvRmT2_T3_mT4_P12ihipStream_tbEUlmE_lEESB_NS0_8identityIvEEEESM_SP_SQ_mSR_ST_bEUlT_E_NS1_11comp_targetILNS1_3genE9ELNS1_11target_archE1100ELNS1_3gpuE3ELNS1_3repE0EEENS1_30default_config_static_selectorELNS0_4arch9wavefront6targetE1EEEvT1_.kd
    .uniform_work_group_size: 1
    .uses_dynamic_stack: false
    .vgpr_count:     0
    .vgpr_spill_count: 0
    .wavefront_size: 64
  - .agpr_count:     0
    .args:
      - .offset:         0
        .size:           56
        .value_kind:     by_value
    .group_segment_fixed_size: 0
    .kernarg_segment_align: 8
    .kernarg_segment_size: 56
    .language:       OpenCL C
    .language_version:
      - 2
      - 0
    .max_flat_workgroup_size: 512
    .name:           _ZN7rocprim17ROCPRIM_400000_NS6detail17trampoline_kernelINS0_14default_configENS1_25transform_config_selectorIlLb0EEEZNS1_14transform_implILb0ES3_S5_NS0_18transform_iteratorINS0_17counting_iteratorImlEEZNS1_24adjacent_difference_implIS3_Lb1ELb0EPlSB_ZN2at6native12_GLOBAL__N_124unique_dim_cuda_templateItEESt5tupleIJNSC_6TensorESH_SH_EERKSH_lbbbEUlllE1_EE10hipError_tPvRmT2_T3_mT4_P12ihipStream_tbEUlmE_lEESB_NS0_8identityIvEEEESM_SP_SQ_mSR_ST_bEUlT_E_NS1_11comp_targetILNS1_3genE8ELNS1_11target_archE1030ELNS1_3gpuE2ELNS1_3repE0EEENS1_30default_config_static_selectorELNS0_4arch9wavefront6targetE1EEEvT1_
    .private_segment_fixed_size: 0
    .sgpr_count:     6
    .sgpr_spill_count: 0
    .symbol:         _ZN7rocprim17ROCPRIM_400000_NS6detail17trampoline_kernelINS0_14default_configENS1_25transform_config_selectorIlLb0EEEZNS1_14transform_implILb0ES3_S5_NS0_18transform_iteratorINS0_17counting_iteratorImlEEZNS1_24adjacent_difference_implIS3_Lb1ELb0EPlSB_ZN2at6native12_GLOBAL__N_124unique_dim_cuda_templateItEESt5tupleIJNSC_6TensorESH_SH_EERKSH_lbbbEUlllE1_EE10hipError_tPvRmT2_T3_mT4_P12ihipStream_tbEUlmE_lEESB_NS0_8identityIvEEEESM_SP_SQ_mSR_ST_bEUlT_E_NS1_11comp_targetILNS1_3genE8ELNS1_11target_archE1030ELNS1_3gpuE2ELNS1_3repE0EEENS1_30default_config_static_selectorELNS0_4arch9wavefront6targetE1EEEvT1_.kd
    .uniform_work_group_size: 1
    .uses_dynamic_stack: false
    .vgpr_count:     0
    .vgpr_spill_count: 0
    .wavefront_size: 64
  - .agpr_count:     0
    .args:
      - .offset:         0
        .size:           64
        .value_kind:     by_value
    .group_segment_fixed_size: 0
    .kernarg_segment_align: 8
    .kernarg_segment_size: 64
    .language:       OpenCL C
    .language_version:
      - 2
      - 0
    .max_flat_workgroup_size: 512
    .name:           _ZN7rocprim17ROCPRIM_400000_NS6detail17trampoline_kernelINS0_14default_configENS1_35adjacent_difference_config_selectorILb1ElEEZNS1_24adjacent_difference_implIS3_Lb1ELb0EPlS7_ZN2at6native12_GLOBAL__N_124unique_dim_cuda_templateItEESt5tupleIJNS8_6TensorESD_SD_EERKSD_lbbbEUlllE1_EE10hipError_tPvRmT2_T3_mT4_P12ihipStream_tbEUlT_E_NS1_11comp_targetILNS1_3genE0ELNS1_11target_archE4294967295ELNS1_3gpuE0ELNS1_3repE0EEENS1_30default_config_static_selectorELNS0_4arch9wavefront6targetE1EEEvT1_
    .private_segment_fixed_size: 0
    .sgpr_count:     6
    .sgpr_spill_count: 0
    .symbol:         _ZN7rocprim17ROCPRIM_400000_NS6detail17trampoline_kernelINS0_14default_configENS1_35adjacent_difference_config_selectorILb1ElEEZNS1_24adjacent_difference_implIS3_Lb1ELb0EPlS7_ZN2at6native12_GLOBAL__N_124unique_dim_cuda_templateItEESt5tupleIJNS8_6TensorESD_SD_EERKSD_lbbbEUlllE1_EE10hipError_tPvRmT2_T3_mT4_P12ihipStream_tbEUlT_E_NS1_11comp_targetILNS1_3genE0ELNS1_11target_archE4294967295ELNS1_3gpuE0ELNS1_3repE0EEENS1_30default_config_static_selectorELNS0_4arch9wavefront6targetE1EEEvT1_.kd
    .uniform_work_group_size: 1
    .uses_dynamic_stack: false
    .vgpr_count:     0
    .vgpr_spill_count: 0
    .wavefront_size: 64
  - .agpr_count:     0
    .args:
      - .offset:         0
        .size:           64
        .value_kind:     by_value
    .group_segment_fixed_size: 0
    .kernarg_segment_align: 8
    .kernarg_segment_size: 64
    .language:       OpenCL C
    .language_version:
      - 2
      - 0
    .max_flat_workgroup_size: 32
    .name:           _ZN7rocprim17ROCPRIM_400000_NS6detail17trampoline_kernelINS0_14default_configENS1_35adjacent_difference_config_selectorILb1ElEEZNS1_24adjacent_difference_implIS3_Lb1ELb0EPlS7_ZN2at6native12_GLOBAL__N_124unique_dim_cuda_templateItEESt5tupleIJNS8_6TensorESD_SD_EERKSD_lbbbEUlllE1_EE10hipError_tPvRmT2_T3_mT4_P12ihipStream_tbEUlT_E_NS1_11comp_targetILNS1_3genE10ELNS1_11target_archE1201ELNS1_3gpuE5ELNS1_3repE0EEENS1_30default_config_static_selectorELNS0_4arch9wavefront6targetE1EEEvT1_
    .private_segment_fixed_size: 0
    .sgpr_count:     6
    .sgpr_spill_count: 0
    .symbol:         _ZN7rocprim17ROCPRIM_400000_NS6detail17trampoline_kernelINS0_14default_configENS1_35adjacent_difference_config_selectorILb1ElEEZNS1_24adjacent_difference_implIS3_Lb1ELb0EPlS7_ZN2at6native12_GLOBAL__N_124unique_dim_cuda_templateItEESt5tupleIJNS8_6TensorESD_SD_EERKSD_lbbbEUlllE1_EE10hipError_tPvRmT2_T3_mT4_P12ihipStream_tbEUlT_E_NS1_11comp_targetILNS1_3genE10ELNS1_11target_archE1201ELNS1_3gpuE5ELNS1_3repE0EEENS1_30default_config_static_selectorELNS0_4arch9wavefront6targetE1EEEvT1_.kd
    .uniform_work_group_size: 1
    .uses_dynamic_stack: false
    .vgpr_count:     0
    .vgpr_spill_count: 0
    .wavefront_size: 64
  - .agpr_count:     0
    .args:
      - .offset:         0
        .size:           64
        .value_kind:     by_value
    .group_segment_fixed_size: 22528
    .kernarg_segment_align: 8
    .kernarg_segment_size: 64
    .language:       OpenCL C
    .language_version:
      - 2
      - 0
    .max_flat_workgroup_size: 256
    .name:           _ZN7rocprim17ROCPRIM_400000_NS6detail17trampoline_kernelINS0_14default_configENS1_35adjacent_difference_config_selectorILb1ElEEZNS1_24adjacent_difference_implIS3_Lb1ELb0EPlS7_ZN2at6native12_GLOBAL__N_124unique_dim_cuda_templateItEESt5tupleIJNS8_6TensorESD_SD_EERKSD_lbbbEUlllE1_EE10hipError_tPvRmT2_T3_mT4_P12ihipStream_tbEUlT_E_NS1_11comp_targetILNS1_3genE5ELNS1_11target_archE942ELNS1_3gpuE9ELNS1_3repE0EEENS1_30default_config_static_selectorELNS0_4arch9wavefront6targetE1EEEvT1_
    .private_segment_fixed_size: 0
    .sgpr_count:     44
    .sgpr_spill_count: 0
    .symbol:         _ZN7rocprim17ROCPRIM_400000_NS6detail17trampoline_kernelINS0_14default_configENS1_35adjacent_difference_config_selectorILb1ElEEZNS1_24adjacent_difference_implIS3_Lb1ELb0EPlS7_ZN2at6native12_GLOBAL__N_124unique_dim_cuda_templateItEESt5tupleIJNS8_6TensorESD_SD_EERKSD_lbbbEUlllE1_EE10hipError_tPvRmT2_T3_mT4_P12ihipStream_tbEUlT_E_NS1_11comp_targetILNS1_3genE5ELNS1_11target_archE942ELNS1_3gpuE9ELNS1_3repE0EEENS1_30default_config_static_selectorELNS0_4arch9wavefront6targetE1EEEvT1_.kd
    .uniform_work_group_size: 1
    .uses_dynamic_stack: false
    .vgpr_count:     70
    .vgpr_spill_count: 0
    .wavefront_size: 64
  - .agpr_count:     0
    .args:
      - .offset:         0
        .size:           64
        .value_kind:     by_value
    .group_segment_fixed_size: 0
    .kernarg_segment_align: 8
    .kernarg_segment_size: 64
    .language:       OpenCL C
    .language_version:
      - 2
      - 0
    .max_flat_workgroup_size: 512
    .name:           _ZN7rocprim17ROCPRIM_400000_NS6detail17trampoline_kernelINS0_14default_configENS1_35adjacent_difference_config_selectorILb1ElEEZNS1_24adjacent_difference_implIS3_Lb1ELb0EPlS7_ZN2at6native12_GLOBAL__N_124unique_dim_cuda_templateItEESt5tupleIJNS8_6TensorESD_SD_EERKSD_lbbbEUlllE1_EE10hipError_tPvRmT2_T3_mT4_P12ihipStream_tbEUlT_E_NS1_11comp_targetILNS1_3genE4ELNS1_11target_archE910ELNS1_3gpuE8ELNS1_3repE0EEENS1_30default_config_static_selectorELNS0_4arch9wavefront6targetE1EEEvT1_
    .private_segment_fixed_size: 0
    .sgpr_count:     6
    .sgpr_spill_count: 0
    .symbol:         _ZN7rocprim17ROCPRIM_400000_NS6detail17trampoline_kernelINS0_14default_configENS1_35adjacent_difference_config_selectorILb1ElEEZNS1_24adjacent_difference_implIS3_Lb1ELb0EPlS7_ZN2at6native12_GLOBAL__N_124unique_dim_cuda_templateItEESt5tupleIJNS8_6TensorESD_SD_EERKSD_lbbbEUlllE1_EE10hipError_tPvRmT2_T3_mT4_P12ihipStream_tbEUlT_E_NS1_11comp_targetILNS1_3genE4ELNS1_11target_archE910ELNS1_3gpuE8ELNS1_3repE0EEENS1_30default_config_static_selectorELNS0_4arch9wavefront6targetE1EEEvT1_.kd
    .uniform_work_group_size: 1
    .uses_dynamic_stack: false
    .vgpr_count:     0
    .vgpr_spill_count: 0
    .wavefront_size: 64
  - .agpr_count:     0
    .args:
      - .offset:         0
        .size:           64
        .value_kind:     by_value
    .group_segment_fixed_size: 0
    .kernarg_segment_align: 8
    .kernarg_segment_size: 64
    .language:       OpenCL C
    .language_version:
      - 2
      - 0
    .max_flat_workgroup_size: 512
    .name:           _ZN7rocprim17ROCPRIM_400000_NS6detail17trampoline_kernelINS0_14default_configENS1_35adjacent_difference_config_selectorILb1ElEEZNS1_24adjacent_difference_implIS3_Lb1ELb0EPlS7_ZN2at6native12_GLOBAL__N_124unique_dim_cuda_templateItEESt5tupleIJNS8_6TensorESD_SD_EERKSD_lbbbEUlllE1_EE10hipError_tPvRmT2_T3_mT4_P12ihipStream_tbEUlT_E_NS1_11comp_targetILNS1_3genE3ELNS1_11target_archE908ELNS1_3gpuE7ELNS1_3repE0EEENS1_30default_config_static_selectorELNS0_4arch9wavefront6targetE1EEEvT1_
    .private_segment_fixed_size: 0
    .sgpr_count:     6
    .sgpr_spill_count: 0
    .symbol:         _ZN7rocprim17ROCPRIM_400000_NS6detail17trampoline_kernelINS0_14default_configENS1_35adjacent_difference_config_selectorILb1ElEEZNS1_24adjacent_difference_implIS3_Lb1ELb0EPlS7_ZN2at6native12_GLOBAL__N_124unique_dim_cuda_templateItEESt5tupleIJNS8_6TensorESD_SD_EERKSD_lbbbEUlllE1_EE10hipError_tPvRmT2_T3_mT4_P12ihipStream_tbEUlT_E_NS1_11comp_targetILNS1_3genE3ELNS1_11target_archE908ELNS1_3gpuE7ELNS1_3repE0EEENS1_30default_config_static_selectorELNS0_4arch9wavefront6targetE1EEEvT1_.kd
    .uniform_work_group_size: 1
    .uses_dynamic_stack: false
    .vgpr_count:     0
    .vgpr_spill_count: 0
    .wavefront_size: 64
  - .agpr_count:     0
    .args:
      - .offset:         0
        .size:           64
        .value_kind:     by_value
    .group_segment_fixed_size: 0
    .kernarg_segment_align: 8
    .kernarg_segment_size: 64
    .language:       OpenCL C
    .language_version:
      - 2
      - 0
    .max_flat_workgroup_size: 128
    .name:           _ZN7rocprim17ROCPRIM_400000_NS6detail17trampoline_kernelINS0_14default_configENS1_35adjacent_difference_config_selectorILb1ElEEZNS1_24adjacent_difference_implIS3_Lb1ELb0EPlS7_ZN2at6native12_GLOBAL__N_124unique_dim_cuda_templateItEESt5tupleIJNS8_6TensorESD_SD_EERKSD_lbbbEUlllE1_EE10hipError_tPvRmT2_T3_mT4_P12ihipStream_tbEUlT_E_NS1_11comp_targetILNS1_3genE2ELNS1_11target_archE906ELNS1_3gpuE6ELNS1_3repE0EEENS1_30default_config_static_selectorELNS0_4arch9wavefront6targetE1EEEvT1_
    .private_segment_fixed_size: 0
    .sgpr_count:     6
    .sgpr_spill_count: 0
    .symbol:         _ZN7rocprim17ROCPRIM_400000_NS6detail17trampoline_kernelINS0_14default_configENS1_35adjacent_difference_config_selectorILb1ElEEZNS1_24adjacent_difference_implIS3_Lb1ELb0EPlS7_ZN2at6native12_GLOBAL__N_124unique_dim_cuda_templateItEESt5tupleIJNS8_6TensorESD_SD_EERKSD_lbbbEUlllE1_EE10hipError_tPvRmT2_T3_mT4_P12ihipStream_tbEUlT_E_NS1_11comp_targetILNS1_3genE2ELNS1_11target_archE906ELNS1_3gpuE6ELNS1_3repE0EEENS1_30default_config_static_selectorELNS0_4arch9wavefront6targetE1EEEvT1_.kd
    .uniform_work_group_size: 1
    .uses_dynamic_stack: false
    .vgpr_count:     0
    .vgpr_spill_count: 0
    .wavefront_size: 64
  - .agpr_count:     0
    .args:
      - .offset:         0
        .size:           64
        .value_kind:     by_value
    .group_segment_fixed_size: 0
    .kernarg_segment_align: 8
    .kernarg_segment_size: 64
    .language:       OpenCL C
    .language_version:
      - 2
      - 0
    .max_flat_workgroup_size: 128
    .name:           _ZN7rocprim17ROCPRIM_400000_NS6detail17trampoline_kernelINS0_14default_configENS1_35adjacent_difference_config_selectorILb1ElEEZNS1_24adjacent_difference_implIS3_Lb1ELb0EPlS7_ZN2at6native12_GLOBAL__N_124unique_dim_cuda_templateItEESt5tupleIJNS8_6TensorESD_SD_EERKSD_lbbbEUlllE1_EE10hipError_tPvRmT2_T3_mT4_P12ihipStream_tbEUlT_E_NS1_11comp_targetILNS1_3genE9ELNS1_11target_archE1100ELNS1_3gpuE3ELNS1_3repE0EEENS1_30default_config_static_selectorELNS0_4arch9wavefront6targetE1EEEvT1_
    .private_segment_fixed_size: 0
    .sgpr_count:     6
    .sgpr_spill_count: 0
    .symbol:         _ZN7rocprim17ROCPRIM_400000_NS6detail17trampoline_kernelINS0_14default_configENS1_35adjacent_difference_config_selectorILb1ElEEZNS1_24adjacent_difference_implIS3_Lb1ELb0EPlS7_ZN2at6native12_GLOBAL__N_124unique_dim_cuda_templateItEESt5tupleIJNS8_6TensorESD_SD_EERKSD_lbbbEUlllE1_EE10hipError_tPvRmT2_T3_mT4_P12ihipStream_tbEUlT_E_NS1_11comp_targetILNS1_3genE9ELNS1_11target_archE1100ELNS1_3gpuE3ELNS1_3repE0EEENS1_30default_config_static_selectorELNS0_4arch9wavefront6targetE1EEEvT1_.kd
    .uniform_work_group_size: 1
    .uses_dynamic_stack: false
    .vgpr_count:     0
    .vgpr_spill_count: 0
    .wavefront_size: 64
  - .agpr_count:     0
    .args:
      - .offset:         0
        .size:           64
        .value_kind:     by_value
    .group_segment_fixed_size: 0
    .kernarg_segment_align: 8
    .kernarg_segment_size: 64
    .language:       OpenCL C
    .language_version:
      - 2
      - 0
    .max_flat_workgroup_size: 32
    .name:           _ZN7rocprim17ROCPRIM_400000_NS6detail17trampoline_kernelINS0_14default_configENS1_35adjacent_difference_config_selectorILb1ElEEZNS1_24adjacent_difference_implIS3_Lb1ELb0EPlS7_ZN2at6native12_GLOBAL__N_124unique_dim_cuda_templateItEESt5tupleIJNS8_6TensorESD_SD_EERKSD_lbbbEUlllE1_EE10hipError_tPvRmT2_T3_mT4_P12ihipStream_tbEUlT_E_NS1_11comp_targetILNS1_3genE8ELNS1_11target_archE1030ELNS1_3gpuE2ELNS1_3repE0EEENS1_30default_config_static_selectorELNS0_4arch9wavefront6targetE1EEEvT1_
    .private_segment_fixed_size: 0
    .sgpr_count:     6
    .sgpr_spill_count: 0
    .symbol:         _ZN7rocprim17ROCPRIM_400000_NS6detail17trampoline_kernelINS0_14default_configENS1_35adjacent_difference_config_selectorILb1ElEEZNS1_24adjacent_difference_implIS3_Lb1ELb0EPlS7_ZN2at6native12_GLOBAL__N_124unique_dim_cuda_templateItEESt5tupleIJNS8_6TensorESD_SD_EERKSD_lbbbEUlllE1_EE10hipError_tPvRmT2_T3_mT4_P12ihipStream_tbEUlT_E_NS1_11comp_targetILNS1_3genE8ELNS1_11target_archE1030ELNS1_3gpuE2ELNS1_3repE0EEENS1_30default_config_static_selectorELNS0_4arch9wavefront6targetE1EEEvT1_.kd
    .uniform_work_group_size: 1
    .uses_dynamic_stack: false
    .vgpr_count:     0
    .vgpr_spill_count: 0
    .wavefront_size: 64
  - .agpr_count:     0
    .args:
      - .offset:         0
        .size:           120
        .value_kind:     by_value
    .group_segment_fixed_size: 0
    .kernarg_segment_align: 8
    .kernarg_segment_size: 120
    .language:       OpenCL C
    .language_version:
      - 2
      - 0
    .max_flat_workgroup_size: 512
    .name:           _ZN7rocprim17ROCPRIM_400000_NS6detail17trampoline_kernelINS0_14default_configENS1_25partition_config_selectorILNS1_17partition_subalgoE8ElNS0_10empty_typeEbEEZZNS1_14partition_implILS5_8ELb0ES3_jPlPS6_PKS6_NS0_5tupleIJS9_S6_EEENSD_IJSA_SA_EEENS0_18inequality_wrapperIZN2at6native12_GLOBAL__N_124unique_dim_cuda_templateItEESt5tupleIJNSH_6TensorESM_SM_EERKSM_lbbbEUlllE0_EEPmJS6_EEE10hipError_tPvRmT3_T4_T5_T6_T7_T9_mT8_P12ihipStream_tbDpT10_ENKUlT_T0_E_clISt17integral_constantIbLb0EES1C_EEDaS17_S18_EUlS17_E_NS1_11comp_targetILNS1_3genE0ELNS1_11target_archE4294967295ELNS1_3gpuE0ELNS1_3repE0EEENS1_30default_config_static_selectorELNS0_4arch9wavefront6targetE1EEEvT1_
    .private_segment_fixed_size: 0
    .sgpr_count:     6
    .sgpr_spill_count: 0
    .symbol:         _ZN7rocprim17ROCPRIM_400000_NS6detail17trampoline_kernelINS0_14default_configENS1_25partition_config_selectorILNS1_17partition_subalgoE8ElNS0_10empty_typeEbEEZZNS1_14partition_implILS5_8ELb0ES3_jPlPS6_PKS6_NS0_5tupleIJS9_S6_EEENSD_IJSA_SA_EEENS0_18inequality_wrapperIZN2at6native12_GLOBAL__N_124unique_dim_cuda_templateItEESt5tupleIJNSH_6TensorESM_SM_EERKSM_lbbbEUlllE0_EEPmJS6_EEE10hipError_tPvRmT3_T4_T5_T6_T7_T9_mT8_P12ihipStream_tbDpT10_ENKUlT_T0_E_clISt17integral_constantIbLb0EES1C_EEDaS17_S18_EUlS17_E_NS1_11comp_targetILNS1_3genE0ELNS1_11target_archE4294967295ELNS1_3gpuE0ELNS1_3repE0EEENS1_30default_config_static_selectorELNS0_4arch9wavefront6targetE1EEEvT1_.kd
    .uniform_work_group_size: 1
    .uses_dynamic_stack: false
    .vgpr_count:     0
    .vgpr_spill_count: 0
    .wavefront_size: 64
  - .agpr_count:     0
    .args:
      - .offset:         0
        .size:           120
        .value_kind:     by_value
    .group_segment_fixed_size: 28684
    .kernarg_segment_align: 8
    .kernarg_segment_size: 120
    .language:       OpenCL C
    .language_version:
      - 2
      - 0
    .max_flat_workgroup_size: 512
    .name:           _ZN7rocprim17ROCPRIM_400000_NS6detail17trampoline_kernelINS0_14default_configENS1_25partition_config_selectorILNS1_17partition_subalgoE8ElNS0_10empty_typeEbEEZZNS1_14partition_implILS5_8ELb0ES3_jPlPS6_PKS6_NS0_5tupleIJS9_S6_EEENSD_IJSA_SA_EEENS0_18inequality_wrapperIZN2at6native12_GLOBAL__N_124unique_dim_cuda_templateItEESt5tupleIJNSH_6TensorESM_SM_EERKSM_lbbbEUlllE0_EEPmJS6_EEE10hipError_tPvRmT3_T4_T5_T6_T7_T9_mT8_P12ihipStream_tbDpT10_ENKUlT_T0_E_clISt17integral_constantIbLb0EES1C_EEDaS17_S18_EUlS17_E_NS1_11comp_targetILNS1_3genE5ELNS1_11target_archE942ELNS1_3gpuE9ELNS1_3repE0EEENS1_30default_config_static_selectorELNS0_4arch9wavefront6targetE1EEEvT1_
    .private_segment_fixed_size: 0
    .sgpr_count:     58
    .sgpr_spill_count: 0
    .symbol:         _ZN7rocprim17ROCPRIM_400000_NS6detail17trampoline_kernelINS0_14default_configENS1_25partition_config_selectorILNS1_17partition_subalgoE8ElNS0_10empty_typeEbEEZZNS1_14partition_implILS5_8ELb0ES3_jPlPS6_PKS6_NS0_5tupleIJS9_S6_EEENSD_IJSA_SA_EEENS0_18inequality_wrapperIZN2at6native12_GLOBAL__N_124unique_dim_cuda_templateItEESt5tupleIJNSH_6TensorESM_SM_EERKSM_lbbbEUlllE0_EEPmJS6_EEE10hipError_tPvRmT3_T4_T5_T6_T7_T9_mT8_P12ihipStream_tbDpT10_ENKUlT_T0_E_clISt17integral_constantIbLb0EES1C_EEDaS17_S18_EUlS17_E_NS1_11comp_targetILNS1_3genE5ELNS1_11target_archE942ELNS1_3gpuE9ELNS1_3repE0EEENS1_30default_config_static_selectorELNS0_4arch9wavefront6targetE1EEEvT1_.kd
    .uniform_work_group_size: 1
    .uses_dynamic_stack: false
    .vgpr_count:     52
    .vgpr_spill_count: 0
    .wavefront_size: 64
  - .agpr_count:     0
    .args:
      - .offset:         0
        .size:           120
        .value_kind:     by_value
    .group_segment_fixed_size: 0
    .kernarg_segment_align: 8
    .kernarg_segment_size: 120
    .language:       OpenCL C
    .language_version:
      - 2
      - 0
    .max_flat_workgroup_size: 256
    .name:           _ZN7rocprim17ROCPRIM_400000_NS6detail17trampoline_kernelINS0_14default_configENS1_25partition_config_selectorILNS1_17partition_subalgoE8ElNS0_10empty_typeEbEEZZNS1_14partition_implILS5_8ELb0ES3_jPlPS6_PKS6_NS0_5tupleIJS9_S6_EEENSD_IJSA_SA_EEENS0_18inequality_wrapperIZN2at6native12_GLOBAL__N_124unique_dim_cuda_templateItEESt5tupleIJNSH_6TensorESM_SM_EERKSM_lbbbEUlllE0_EEPmJS6_EEE10hipError_tPvRmT3_T4_T5_T6_T7_T9_mT8_P12ihipStream_tbDpT10_ENKUlT_T0_E_clISt17integral_constantIbLb0EES1C_EEDaS17_S18_EUlS17_E_NS1_11comp_targetILNS1_3genE4ELNS1_11target_archE910ELNS1_3gpuE8ELNS1_3repE0EEENS1_30default_config_static_selectorELNS0_4arch9wavefront6targetE1EEEvT1_
    .private_segment_fixed_size: 0
    .sgpr_count:     6
    .sgpr_spill_count: 0
    .symbol:         _ZN7rocprim17ROCPRIM_400000_NS6detail17trampoline_kernelINS0_14default_configENS1_25partition_config_selectorILNS1_17partition_subalgoE8ElNS0_10empty_typeEbEEZZNS1_14partition_implILS5_8ELb0ES3_jPlPS6_PKS6_NS0_5tupleIJS9_S6_EEENSD_IJSA_SA_EEENS0_18inequality_wrapperIZN2at6native12_GLOBAL__N_124unique_dim_cuda_templateItEESt5tupleIJNSH_6TensorESM_SM_EERKSM_lbbbEUlllE0_EEPmJS6_EEE10hipError_tPvRmT3_T4_T5_T6_T7_T9_mT8_P12ihipStream_tbDpT10_ENKUlT_T0_E_clISt17integral_constantIbLb0EES1C_EEDaS17_S18_EUlS17_E_NS1_11comp_targetILNS1_3genE4ELNS1_11target_archE910ELNS1_3gpuE8ELNS1_3repE0EEENS1_30default_config_static_selectorELNS0_4arch9wavefront6targetE1EEEvT1_.kd
    .uniform_work_group_size: 1
    .uses_dynamic_stack: false
    .vgpr_count:     0
    .vgpr_spill_count: 0
    .wavefront_size: 64
  - .agpr_count:     0
    .args:
      - .offset:         0
        .size:           120
        .value_kind:     by_value
    .group_segment_fixed_size: 0
    .kernarg_segment_align: 8
    .kernarg_segment_size: 120
    .language:       OpenCL C
    .language_version:
      - 2
      - 0
    .max_flat_workgroup_size: 512
    .name:           _ZN7rocprim17ROCPRIM_400000_NS6detail17trampoline_kernelINS0_14default_configENS1_25partition_config_selectorILNS1_17partition_subalgoE8ElNS0_10empty_typeEbEEZZNS1_14partition_implILS5_8ELb0ES3_jPlPS6_PKS6_NS0_5tupleIJS9_S6_EEENSD_IJSA_SA_EEENS0_18inequality_wrapperIZN2at6native12_GLOBAL__N_124unique_dim_cuda_templateItEESt5tupleIJNSH_6TensorESM_SM_EERKSM_lbbbEUlllE0_EEPmJS6_EEE10hipError_tPvRmT3_T4_T5_T6_T7_T9_mT8_P12ihipStream_tbDpT10_ENKUlT_T0_E_clISt17integral_constantIbLb0EES1C_EEDaS17_S18_EUlS17_E_NS1_11comp_targetILNS1_3genE3ELNS1_11target_archE908ELNS1_3gpuE7ELNS1_3repE0EEENS1_30default_config_static_selectorELNS0_4arch9wavefront6targetE1EEEvT1_
    .private_segment_fixed_size: 0
    .sgpr_count:     6
    .sgpr_spill_count: 0
    .symbol:         _ZN7rocprim17ROCPRIM_400000_NS6detail17trampoline_kernelINS0_14default_configENS1_25partition_config_selectorILNS1_17partition_subalgoE8ElNS0_10empty_typeEbEEZZNS1_14partition_implILS5_8ELb0ES3_jPlPS6_PKS6_NS0_5tupleIJS9_S6_EEENSD_IJSA_SA_EEENS0_18inequality_wrapperIZN2at6native12_GLOBAL__N_124unique_dim_cuda_templateItEESt5tupleIJNSH_6TensorESM_SM_EERKSM_lbbbEUlllE0_EEPmJS6_EEE10hipError_tPvRmT3_T4_T5_T6_T7_T9_mT8_P12ihipStream_tbDpT10_ENKUlT_T0_E_clISt17integral_constantIbLb0EES1C_EEDaS17_S18_EUlS17_E_NS1_11comp_targetILNS1_3genE3ELNS1_11target_archE908ELNS1_3gpuE7ELNS1_3repE0EEENS1_30default_config_static_selectorELNS0_4arch9wavefront6targetE1EEEvT1_.kd
    .uniform_work_group_size: 1
    .uses_dynamic_stack: false
    .vgpr_count:     0
    .vgpr_spill_count: 0
    .wavefront_size: 64
  - .agpr_count:     0
    .args:
      - .offset:         0
        .size:           120
        .value_kind:     by_value
    .group_segment_fixed_size: 0
    .kernarg_segment_align: 8
    .kernarg_segment_size: 120
    .language:       OpenCL C
    .language_version:
      - 2
      - 0
    .max_flat_workgroup_size: 256
    .name:           _ZN7rocprim17ROCPRIM_400000_NS6detail17trampoline_kernelINS0_14default_configENS1_25partition_config_selectorILNS1_17partition_subalgoE8ElNS0_10empty_typeEbEEZZNS1_14partition_implILS5_8ELb0ES3_jPlPS6_PKS6_NS0_5tupleIJS9_S6_EEENSD_IJSA_SA_EEENS0_18inequality_wrapperIZN2at6native12_GLOBAL__N_124unique_dim_cuda_templateItEESt5tupleIJNSH_6TensorESM_SM_EERKSM_lbbbEUlllE0_EEPmJS6_EEE10hipError_tPvRmT3_T4_T5_T6_T7_T9_mT8_P12ihipStream_tbDpT10_ENKUlT_T0_E_clISt17integral_constantIbLb0EES1C_EEDaS17_S18_EUlS17_E_NS1_11comp_targetILNS1_3genE2ELNS1_11target_archE906ELNS1_3gpuE6ELNS1_3repE0EEENS1_30default_config_static_selectorELNS0_4arch9wavefront6targetE1EEEvT1_
    .private_segment_fixed_size: 0
    .sgpr_count:     6
    .sgpr_spill_count: 0
    .symbol:         _ZN7rocprim17ROCPRIM_400000_NS6detail17trampoline_kernelINS0_14default_configENS1_25partition_config_selectorILNS1_17partition_subalgoE8ElNS0_10empty_typeEbEEZZNS1_14partition_implILS5_8ELb0ES3_jPlPS6_PKS6_NS0_5tupleIJS9_S6_EEENSD_IJSA_SA_EEENS0_18inequality_wrapperIZN2at6native12_GLOBAL__N_124unique_dim_cuda_templateItEESt5tupleIJNSH_6TensorESM_SM_EERKSM_lbbbEUlllE0_EEPmJS6_EEE10hipError_tPvRmT3_T4_T5_T6_T7_T9_mT8_P12ihipStream_tbDpT10_ENKUlT_T0_E_clISt17integral_constantIbLb0EES1C_EEDaS17_S18_EUlS17_E_NS1_11comp_targetILNS1_3genE2ELNS1_11target_archE906ELNS1_3gpuE6ELNS1_3repE0EEENS1_30default_config_static_selectorELNS0_4arch9wavefront6targetE1EEEvT1_.kd
    .uniform_work_group_size: 1
    .uses_dynamic_stack: false
    .vgpr_count:     0
    .vgpr_spill_count: 0
    .wavefront_size: 64
  - .agpr_count:     0
    .args:
      - .offset:         0
        .size:           120
        .value_kind:     by_value
    .group_segment_fixed_size: 0
    .kernarg_segment_align: 8
    .kernarg_segment_size: 120
    .language:       OpenCL C
    .language_version:
      - 2
      - 0
    .max_flat_workgroup_size: 384
    .name:           _ZN7rocprim17ROCPRIM_400000_NS6detail17trampoline_kernelINS0_14default_configENS1_25partition_config_selectorILNS1_17partition_subalgoE8ElNS0_10empty_typeEbEEZZNS1_14partition_implILS5_8ELb0ES3_jPlPS6_PKS6_NS0_5tupleIJS9_S6_EEENSD_IJSA_SA_EEENS0_18inequality_wrapperIZN2at6native12_GLOBAL__N_124unique_dim_cuda_templateItEESt5tupleIJNSH_6TensorESM_SM_EERKSM_lbbbEUlllE0_EEPmJS6_EEE10hipError_tPvRmT3_T4_T5_T6_T7_T9_mT8_P12ihipStream_tbDpT10_ENKUlT_T0_E_clISt17integral_constantIbLb0EES1C_EEDaS17_S18_EUlS17_E_NS1_11comp_targetILNS1_3genE10ELNS1_11target_archE1200ELNS1_3gpuE4ELNS1_3repE0EEENS1_30default_config_static_selectorELNS0_4arch9wavefront6targetE1EEEvT1_
    .private_segment_fixed_size: 0
    .sgpr_count:     6
    .sgpr_spill_count: 0
    .symbol:         _ZN7rocprim17ROCPRIM_400000_NS6detail17trampoline_kernelINS0_14default_configENS1_25partition_config_selectorILNS1_17partition_subalgoE8ElNS0_10empty_typeEbEEZZNS1_14partition_implILS5_8ELb0ES3_jPlPS6_PKS6_NS0_5tupleIJS9_S6_EEENSD_IJSA_SA_EEENS0_18inequality_wrapperIZN2at6native12_GLOBAL__N_124unique_dim_cuda_templateItEESt5tupleIJNSH_6TensorESM_SM_EERKSM_lbbbEUlllE0_EEPmJS6_EEE10hipError_tPvRmT3_T4_T5_T6_T7_T9_mT8_P12ihipStream_tbDpT10_ENKUlT_T0_E_clISt17integral_constantIbLb0EES1C_EEDaS17_S18_EUlS17_E_NS1_11comp_targetILNS1_3genE10ELNS1_11target_archE1200ELNS1_3gpuE4ELNS1_3repE0EEENS1_30default_config_static_selectorELNS0_4arch9wavefront6targetE1EEEvT1_.kd
    .uniform_work_group_size: 1
    .uses_dynamic_stack: false
    .vgpr_count:     0
    .vgpr_spill_count: 0
    .wavefront_size: 64
  - .agpr_count:     0
    .args:
      - .offset:         0
        .size:           120
        .value_kind:     by_value
    .group_segment_fixed_size: 0
    .kernarg_segment_align: 8
    .kernarg_segment_size: 120
    .language:       OpenCL C
    .language_version:
      - 2
      - 0
    .max_flat_workgroup_size: 512
    .name:           _ZN7rocprim17ROCPRIM_400000_NS6detail17trampoline_kernelINS0_14default_configENS1_25partition_config_selectorILNS1_17partition_subalgoE8ElNS0_10empty_typeEbEEZZNS1_14partition_implILS5_8ELb0ES3_jPlPS6_PKS6_NS0_5tupleIJS9_S6_EEENSD_IJSA_SA_EEENS0_18inequality_wrapperIZN2at6native12_GLOBAL__N_124unique_dim_cuda_templateItEESt5tupleIJNSH_6TensorESM_SM_EERKSM_lbbbEUlllE0_EEPmJS6_EEE10hipError_tPvRmT3_T4_T5_T6_T7_T9_mT8_P12ihipStream_tbDpT10_ENKUlT_T0_E_clISt17integral_constantIbLb0EES1C_EEDaS17_S18_EUlS17_E_NS1_11comp_targetILNS1_3genE9ELNS1_11target_archE1100ELNS1_3gpuE3ELNS1_3repE0EEENS1_30default_config_static_selectorELNS0_4arch9wavefront6targetE1EEEvT1_
    .private_segment_fixed_size: 0
    .sgpr_count:     6
    .sgpr_spill_count: 0
    .symbol:         _ZN7rocprim17ROCPRIM_400000_NS6detail17trampoline_kernelINS0_14default_configENS1_25partition_config_selectorILNS1_17partition_subalgoE8ElNS0_10empty_typeEbEEZZNS1_14partition_implILS5_8ELb0ES3_jPlPS6_PKS6_NS0_5tupleIJS9_S6_EEENSD_IJSA_SA_EEENS0_18inequality_wrapperIZN2at6native12_GLOBAL__N_124unique_dim_cuda_templateItEESt5tupleIJNSH_6TensorESM_SM_EERKSM_lbbbEUlllE0_EEPmJS6_EEE10hipError_tPvRmT3_T4_T5_T6_T7_T9_mT8_P12ihipStream_tbDpT10_ENKUlT_T0_E_clISt17integral_constantIbLb0EES1C_EEDaS17_S18_EUlS17_E_NS1_11comp_targetILNS1_3genE9ELNS1_11target_archE1100ELNS1_3gpuE3ELNS1_3repE0EEENS1_30default_config_static_selectorELNS0_4arch9wavefront6targetE1EEEvT1_.kd
    .uniform_work_group_size: 1
    .uses_dynamic_stack: false
    .vgpr_count:     0
    .vgpr_spill_count: 0
    .wavefront_size: 64
  - .agpr_count:     0
    .args:
      - .offset:         0
        .size:           120
        .value_kind:     by_value
    .group_segment_fixed_size: 0
    .kernarg_segment_align: 8
    .kernarg_segment_size: 120
    .language:       OpenCL C
    .language_version:
      - 2
      - 0
    .max_flat_workgroup_size: 512
    .name:           _ZN7rocprim17ROCPRIM_400000_NS6detail17trampoline_kernelINS0_14default_configENS1_25partition_config_selectorILNS1_17partition_subalgoE8ElNS0_10empty_typeEbEEZZNS1_14partition_implILS5_8ELb0ES3_jPlPS6_PKS6_NS0_5tupleIJS9_S6_EEENSD_IJSA_SA_EEENS0_18inequality_wrapperIZN2at6native12_GLOBAL__N_124unique_dim_cuda_templateItEESt5tupleIJNSH_6TensorESM_SM_EERKSM_lbbbEUlllE0_EEPmJS6_EEE10hipError_tPvRmT3_T4_T5_T6_T7_T9_mT8_P12ihipStream_tbDpT10_ENKUlT_T0_E_clISt17integral_constantIbLb0EES1C_EEDaS17_S18_EUlS17_E_NS1_11comp_targetILNS1_3genE8ELNS1_11target_archE1030ELNS1_3gpuE2ELNS1_3repE0EEENS1_30default_config_static_selectorELNS0_4arch9wavefront6targetE1EEEvT1_
    .private_segment_fixed_size: 0
    .sgpr_count:     6
    .sgpr_spill_count: 0
    .symbol:         _ZN7rocprim17ROCPRIM_400000_NS6detail17trampoline_kernelINS0_14default_configENS1_25partition_config_selectorILNS1_17partition_subalgoE8ElNS0_10empty_typeEbEEZZNS1_14partition_implILS5_8ELb0ES3_jPlPS6_PKS6_NS0_5tupleIJS9_S6_EEENSD_IJSA_SA_EEENS0_18inequality_wrapperIZN2at6native12_GLOBAL__N_124unique_dim_cuda_templateItEESt5tupleIJNSH_6TensorESM_SM_EERKSM_lbbbEUlllE0_EEPmJS6_EEE10hipError_tPvRmT3_T4_T5_T6_T7_T9_mT8_P12ihipStream_tbDpT10_ENKUlT_T0_E_clISt17integral_constantIbLb0EES1C_EEDaS17_S18_EUlS17_E_NS1_11comp_targetILNS1_3genE8ELNS1_11target_archE1030ELNS1_3gpuE2ELNS1_3repE0EEENS1_30default_config_static_selectorELNS0_4arch9wavefront6targetE1EEEvT1_.kd
    .uniform_work_group_size: 1
    .uses_dynamic_stack: false
    .vgpr_count:     0
    .vgpr_spill_count: 0
    .wavefront_size: 64
  - .agpr_count:     0
    .args:
      - .offset:         0
        .size:           136
        .value_kind:     by_value
    .group_segment_fixed_size: 0
    .kernarg_segment_align: 8
    .kernarg_segment_size: 136
    .language:       OpenCL C
    .language_version:
      - 2
      - 0
    .max_flat_workgroup_size: 512
    .name:           _ZN7rocprim17ROCPRIM_400000_NS6detail17trampoline_kernelINS0_14default_configENS1_25partition_config_selectorILNS1_17partition_subalgoE8ElNS0_10empty_typeEbEEZZNS1_14partition_implILS5_8ELb0ES3_jPlPS6_PKS6_NS0_5tupleIJS9_S6_EEENSD_IJSA_SA_EEENS0_18inequality_wrapperIZN2at6native12_GLOBAL__N_124unique_dim_cuda_templateItEESt5tupleIJNSH_6TensorESM_SM_EERKSM_lbbbEUlllE0_EEPmJS6_EEE10hipError_tPvRmT3_T4_T5_T6_T7_T9_mT8_P12ihipStream_tbDpT10_ENKUlT_T0_E_clISt17integral_constantIbLb1EES1C_EEDaS17_S18_EUlS17_E_NS1_11comp_targetILNS1_3genE0ELNS1_11target_archE4294967295ELNS1_3gpuE0ELNS1_3repE0EEENS1_30default_config_static_selectorELNS0_4arch9wavefront6targetE1EEEvT1_
    .private_segment_fixed_size: 0
    .sgpr_count:     6
    .sgpr_spill_count: 0
    .symbol:         _ZN7rocprim17ROCPRIM_400000_NS6detail17trampoline_kernelINS0_14default_configENS1_25partition_config_selectorILNS1_17partition_subalgoE8ElNS0_10empty_typeEbEEZZNS1_14partition_implILS5_8ELb0ES3_jPlPS6_PKS6_NS0_5tupleIJS9_S6_EEENSD_IJSA_SA_EEENS0_18inequality_wrapperIZN2at6native12_GLOBAL__N_124unique_dim_cuda_templateItEESt5tupleIJNSH_6TensorESM_SM_EERKSM_lbbbEUlllE0_EEPmJS6_EEE10hipError_tPvRmT3_T4_T5_T6_T7_T9_mT8_P12ihipStream_tbDpT10_ENKUlT_T0_E_clISt17integral_constantIbLb1EES1C_EEDaS17_S18_EUlS17_E_NS1_11comp_targetILNS1_3genE0ELNS1_11target_archE4294967295ELNS1_3gpuE0ELNS1_3repE0EEENS1_30default_config_static_selectorELNS0_4arch9wavefront6targetE1EEEvT1_.kd
    .uniform_work_group_size: 1
    .uses_dynamic_stack: false
    .vgpr_count:     0
    .vgpr_spill_count: 0
    .wavefront_size: 64
  - .agpr_count:     0
    .args:
      - .offset:         0
        .size:           136
        .value_kind:     by_value
    .group_segment_fixed_size: 28684
    .kernarg_segment_align: 8
    .kernarg_segment_size: 136
    .language:       OpenCL C
    .language_version:
      - 2
      - 0
    .max_flat_workgroup_size: 512
    .name:           _ZN7rocprim17ROCPRIM_400000_NS6detail17trampoline_kernelINS0_14default_configENS1_25partition_config_selectorILNS1_17partition_subalgoE8ElNS0_10empty_typeEbEEZZNS1_14partition_implILS5_8ELb0ES3_jPlPS6_PKS6_NS0_5tupleIJS9_S6_EEENSD_IJSA_SA_EEENS0_18inequality_wrapperIZN2at6native12_GLOBAL__N_124unique_dim_cuda_templateItEESt5tupleIJNSH_6TensorESM_SM_EERKSM_lbbbEUlllE0_EEPmJS6_EEE10hipError_tPvRmT3_T4_T5_T6_T7_T9_mT8_P12ihipStream_tbDpT10_ENKUlT_T0_E_clISt17integral_constantIbLb1EES1C_EEDaS17_S18_EUlS17_E_NS1_11comp_targetILNS1_3genE5ELNS1_11target_archE942ELNS1_3gpuE9ELNS1_3repE0EEENS1_30default_config_static_selectorELNS0_4arch9wavefront6targetE1EEEvT1_
    .private_segment_fixed_size: 0
    .sgpr_count:     62
    .sgpr_spill_count: 0
    .symbol:         _ZN7rocprim17ROCPRIM_400000_NS6detail17trampoline_kernelINS0_14default_configENS1_25partition_config_selectorILNS1_17partition_subalgoE8ElNS0_10empty_typeEbEEZZNS1_14partition_implILS5_8ELb0ES3_jPlPS6_PKS6_NS0_5tupleIJS9_S6_EEENSD_IJSA_SA_EEENS0_18inequality_wrapperIZN2at6native12_GLOBAL__N_124unique_dim_cuda_templateItEESt5tupleIJNSH_6TensorESM_SM_EERKSM_lbbbEUlllE0_EEPmJS6_EEE10hipError_tPvRmT3_T4_T5_T6_T7_T9_mT8_P12ihipStream_tbDpT10_ENKUlT_T0_E_clISt17integral_constantIbLb1EES1C_EEDaS17_S18_EUlS17_E_NS1_11comp_targetILNS1_3genE5ELNS1_11target_archE942ELNS1_3gpuE9ELNS1_3repE0EEENS1_30default_config_static_selectorELNS0_4arch9wavefront6targetE1EEEvT1_.kd
    .uniform_work_group_size: 1
    .uses_dynamic_stack: false
    .vgpr_count:     52
    .vgpr_spill_count: 0
    .wavefront_size: 64
  - .agpr_count:     0
    .args:
      - .offset:         0
        .size:           136
        .value_kind:     by_value
    .group_segment_fixed_size: 0
    .kernarg_segment_align: 8
    .kernarg_segment_size: 136
    .language:       OpenCL C
    .language_version:
      - 2
      - 0
    .max_flat_workgroup_size: 256
    .name:           _ZN7rocprim17ROCPRIM_400000_NS6detail17trampoline_kernelINS0_14default_configENS1_25partition_config_selectorILNS1_17partition_subalgoE8ElNS0_10empty_typeEbEEZZNS1_14partition_implILS5_8ELb0ES3_jPlPS6_PKS6_NS0_5tupleIJS9_S6_EEENSD_IJSA_SA_EEENS0_18inequality_wrapperIZN2at6native12_GLOBAL__N_124unique_dim_cuda_templateItEESt5tupleIJNSH_6TensorESM_SM_EERKSM_lbbbEUlllE0_EEPmJS6_EEE10hipError_tPvRmT3_T4_T5_T6_T7_T9_mT8_P12ihipStream_tbDpT10_ENKUlT_T0_E_clISt17integral_constantIbLb1EES1C_EEDaS17_S18_EUlS17_E_NS1_11comp_targetILNS1_3genE4ELNS1_11target_archE910ELNS1_3gpuE8ELNS1_3repE0EEENS1_30default_config_static_selectorELNS0_4arch9wavefront6targetE1EEEvT1_
    .private_segment_fixed_size: 0
    .sgpr_count:     6
    .sgpr_spill_count: 0
    .symbol:         _ZN7rocprim17ROCPRIM_400000_NS6detail17trampoline_kernelINS0_14default_configENS1_25partition_config_selectorILNS1_17partition_subalgoE8ElNS0_10empty_typeEbEEZZNS1_14partition_implILS5_8ELb0ES3_jPlPS6_PKS6_NS0_5tupleIJS9_S6_EEENSD_IJSA_SA_EEENS0_18inequality_wrapperIZN2at6native12_GLOBAL__N_124unique_dim_cuda_templateItEESt5tupleIJNSH_6TensorESM_SM_EERKSM_lbbbEUlllE0_EEPmJS6_EEE10hipError_tPvRmT3_T4_T5_T6_T7_T9_mT8_P12ihipStream_tbDpT10_ENKUlT_T0_E_clISt17integral_constantIbLb1EES1C_EEDaS17_S18_EUlS17_E_NS1_11comp_targetILNS1_3genE4ELNS1_11target_archE910ELNS1_3gpuE8ELNS1_3repE0EEENS1_30default_config_static_selectorELNS0_4arch9wavefront6targetE1EEEvT1_.kd
    .uniform_work_group_size: 1
    .uses_dynamic_stack: false
    .vgpr_count:     0
    .vgpr_spill_count: 0
    .wavefront_size: 64
  - .agpr_count:     0
    .args:
      - .offset:         0
        .size:           136
        .value_kind:     by_value
    .group_segment_fixed_size: 0
    .kernarg_segment_align: 8
    .kernarg_segment_size: 136
    .language:       OpenCL C
    .language_version:
      - 2
      - 0
    .max_flat_workgroup_size: 512
    .name:           _ZN7rocprim17ROCPRIM_400000_NS6detail17trampoline_kernelINS0_14default_configENS1_25partition_config_selectorILNS1_17partition_subalgoE8ElNS0_10empty_typeEbEEZZNS1_14partition_implILS5_8ELb0ES3_jPlPS6_PKS6_NS0_5tupleIJS9_S6_EEENSD_IJSA_SA_EEENS0_18inequality_wrapperIZN2at6native12_GLOBAL__N_124unique_dim_cuda_templateItEESt5tupleIJNSH_6TensorESM_SM_EERKSM_lbbbEUlllE0_EEPmJS6_EEE10hipError_tPvRmT3_T4_T5_T6_T7_T9_mT8_P12ihipStream_tbDpT10_ENKUlT_T0_E_clISt17integral_constantIbLb1EES1C_EEDaS17_S18_EUlS17_E_NS1_11comp_targetILNS1_3genE3ELNS1_11target_archE908ELNS1_3gpuE7ELNS1_3repE0EEENS1_30default_config_static_selectorELNS0_4arch9wavefront6targetE1EEEvT1_
    .private_segment_fixed_size: 0
    .sgpr_count:     6
    .sgpr_spill_count: 0
    .symbol:         _ZN7rocprim17ROCPRIM_400000_NS6detail17trampoline_kernelINS0_14default_configENS1_25partition_config_selectorILNS1_17partition_subalgoE8ElNS0_10empty_typeEbEEZZNS1_14partition_implILS5_8ELb0ES3_jPlPS6_PKS6_NS0_5tupleIJS9_S6_EEENSD_IJSA_SA_EEENS0_18inequality_wrapperIZN2at6native12_GLOBAL__N_124unique_dim_cuda_templateItEESt5tupleIJNSH_6TensorESM_SM_EERKSM_lbbbEUlllE0_EEPmJS6_EEE10hipError_tPvRmT3_T4_T5_T6_T7_T9_mT8_P12ihipStream_tbDpT10_ENKUlT_T0_E_clISt17integral_constantIbLb1EES1C_EEDaS17_S18_EUlS17_E_NS1_11comp_targetILNS1_3genE3ELNS1_11target_archE908ELNS1_3gpuE7ELNS1_3repE0EEENS1_30default_config_static_selectorELNS0_4arch9wavefront6targetE1EEEvT1_.kd
    .uniform_work_group_size: 1
    .uses_dynamic_stack: false
    .vgpr_count:     0
    .vgpr_spill_count: 0
    .wavefront_size: 64
  - .agpr_count:     0
    .args:
      - .offset:         0
        .size:           136
        .value_kind:     by_value
    .group_segment_fixed_size: 0
    .kernarg_segment_align: 8
    .kernarg_segment_size: 136
    .language:       OpenCL C
    .language_version:
      - 2
      - 0
    .max_flat_workgroup_size: 256
    .name:           _ZN7rocprim17ROCPRIM_400000_NS6detail17trampoline_kernelINS0_14default_configENS1_25partition_config_selectorILNS1_17partition_subalgoE8ElNS0_10empty_typeEbEEZZNS1_14partition_implILS5_8ELb0ES3_jPlPS6_PKS6_NS0_5tupleIJS9_S6_EEENSD_IJSA_SA_EEENS0_18inequality_wrapperIZN2at6native12_GLOBAL__N_124unique_dim_cuda_templateItEESt5tupleIJNSH_6TensorESM_SM_EERKSM_lbbbEUlllE0_EEPmJS6_EEE10hipError_tPvRmT3_T4_T5_T6_T7_T9_mT8_P12ihipStream_tbDpT10_ENKUlT_T0_E_clISt17integral_constantIbLb1EES1C_EEDaS17_S18_EUlS17_E_NS1_11comp_targetILNS1_3genE2ELNS1_11target_archE906ELNS1_3gpuE6ELNS1_3repE0EEENS1_30default_config_static_selectorELNS0_4arch9wavefront6targetE1EEEvT1_
    .private_segment_fixed_size: 0
    .sgpr_count:     6
    .sgpr_spill_count: 0
    .symbol:         _ZN7rocprim17ROCPRIM_400000_NS6detail17trampoline_kernelINS0_14default_configENS1_25partition_config_selectorILNS1_17partition_subalgoE8ElNS0_10empty_typeEbEEZZNS1_14partition_implILS5_8ELb0ES3_jPlPS6_PKS6_NS0_5tupleIJS9_S6_EEENSD_IJSA_SA_EEENS0_18inequality_wrapperIZN2at6native12_GLOBAL__N_124unique_dim_cuda_templateItEESt5tupleIJNSH_6TensorESM_SM_EERKSM_lbbbEUlllE0_EEPmJS6_EEE10hipError_tPvRmT3_T4_T5_T6_T7_T9_mT8_P12ihipStream_tbDpT10_ENKUlT_T0_E_clISt17integral_constantIbLb1EES1C_EEDaS17_S18_EUlS17_E_NS1_11comp_targetILNS1_3genE2ELNS1_11target_archE906ELNS1_3gpuE6ELNS1_3repE0EEENS1_30default_config_static_selectorELNS0_4arch9wavefront6targetE1EEEvT1_.kd
    .uniform_work_group_size: 1
    .uses_dynamic_stack: false
    .vgpr_count:     0
    .vgpr_spill_count: 0
    .wavefront_size: 64
  - .agpr_count:     0
    .args:
      - .offset:         0
        .size:           136
        .value_kind:     by_value
    .group_segment_fixed_size: 0
    .kernarg_segment_align: 8
    .kernarg_segment_size: 136
    .language:       OpenCL C
    .language_version:
      - 2
      - 0
    .max_flat_workgroup_size: 384
    .name:           _ZN7rocprim17ROCPRIM_400000_NS6detail17trampoline_kernelINS0_14default_configENS1_25partition_config_selectorILNS1_17partition_subalgoE8ElNS0_10empty_typeEbEEZZNS1_14partition_implILS5_8ELb0ES3_jPlPS6_PKS6_NS0_5tupleIJS9_S6_EEENSD_IJSA_SA_EEENS0_18inequality_wrapperIZN2at6native12_GLOBAL__N_124unique_dim_cuda_templateItEESt5tupleIJNSH_6TensorESM_SM_EERKSM_lbbbEUlllE0_EEPmJS6_EEE10hipError_tPvRmT3_T4_T5_T6_T7_T9_mT8_P12ihipStream_tbDpT10_ENKUlT_T0_E_clISt17integral_constantIbLb1EES1C_EEDaS17_S18_EUlS17_E_NS1_11comp_targetILNS1_3genE10ELNS1_11target_archE1200ELNS1_3gpuE4ELNS1_3repE0EEENS1_30default_config_static_selectorELNS0_4arch9wavefront6targetE1EEEvT1_
    .private_segment_fixed_size: 0
    .sgpr_count:     6
    .sgpr_spill_count: 0
    .symbol:         _ZN7rocprim17ROCPRIM_400000_NS6detail17trampoline_kernelINS0_14default_configENS1_25partition_config_selectorILNS1_17partition_subalgoE8ElNS0_10empty_typeEbEEZZNS1_14partition_implILS5_8ELb0ES3_jPlPS6_PKS6_NS0_5tupleIJS9_S6_EEENSD_IJSA_SA_EEENS0_18inequality_wrapperIZN2at6native12_GLOBAL__N_124unique_dim_cuda_templateItEESt5tupleIJNSH_6TensorESM_SM_EERKSM_lbbbEUlllE0_EEPmJS6_EEE10hipError_tPvRmT3_T4_T5_T6_T7_T9_mT8_P12ihipStream_tbDpT10_ENKUlT_T0_E_clISt17integral_constantIbLb1EES1C_EEDaS17_S18_EUlS17_E_NS1_11comp_targetILNS1_3genE10ELNS1_11target_archE1200ELNS1_3gpuE4ELNS1_3repE0EEENS1_30default_config_static_selectorELNS0_4arch9wavefront6targetE1EEEvT1_.kd
    .uniform_work_group_size: 1
    .uses_dynamic_stack: false
    .vgpr_count:     0
    .vgpr_spill_count: 0
    .wavefront_size: 64
  - .agpr_count:     0
    .args:
      - .offset:         0
        .size:           136
        .value_kind:     by_value
    .group_segment_fixed_size: 0
    .kernarg_segment_align: 8
    .kernarg_segment_size: 136
    .language:       OpenCL C
    .language_version:
      - 2
      - 0
    .max_flat_workgroup_size: 512
    .name:           _ZN7rocprim17ROCPRIM_400000_NS6detail17trampoline_kernelINS0_14default_configENS1_25partition_config_selectorILNS1_17partition_subalgoE8ElNS0_10empty_typeEbEEZZNS1_14partition_implILS5_8ELb0ES3_jPlPS6_PKS6_NS0_5tupleIJS9_S6_EEENSD_IJSA_SA_EEENS0_18inequality_wrapperIZN2at6native12_GLOBAL__N_124unique_dim_cuda_templateItEESt5tupleIJNSH_6TensorESM_SM_EERKSM_lbbbEUlllE0_EEPmJS6_EEE10hipError_tPvRmT3_T4_T5_T6_T7_T9_mT8_P12ihipStream_tbDpT10_ENKUlT_T0_E_clISt17integral_constantIbLb1EES1C_EEDaS17_S18_EUlS17_E_NS1_11comp_targetILNS1_3genE9ELNS1_11target_archE1100ELNS1_3gpuE3ELNS1_3repE0EEENS1_30default_config_static_selectorELNS0_4arch9wavefront6targetE1EEEvT1_
    .private_segment_fixed_size: 0
    .sgpr_count:     6
    .sgpr_spill_count: 0
    .symbol:         _ZN7rocprim17ROCPRIM_400000_NS6detail17trampoline_kernelINS0_14default_configENS1_25partition_config_selectorILNS1_17partition_subalgoE8ElNS0_10empty_typeEbEEZZNS1_14partition_implILS5_8ELb0ES3_jPlPS6_PKS6_NS0_5tupleIJS9_S6_EEENSD_IJSA_SA_EEENS0_18inequality_wrapperIZN2at6native12_GLOBAL__N_124unique_dim_cuda_templateItEESt5tupleIJNSH_6TensorESM_SM_EERKSM_lbbbEUlllE0_EEPmJS6_EEE10hipError_tPvRmT3_T4_T5_T6_T7_T9_mT8_P12ihipStream_tbDpT10_ENKUlT_T0_E_clISt17integral_constantIbLb1EES1C_EEDaS17_S18_EUlS17_E_NS1_11comp_targetILNS1_3genE9ELNS1_11target_archE1100ELNS1_3gpuE3ELNS1_3repE0EEENS1_30default_config_static_selectorELNS0_4arch9wavefront6targetE1EEEvT1_.kd
    .uniform_work_group_size: 1
    .uses_dynamic_stack: false
    .vgpr_count:     0
    .vgpr_spill_count: 0
    .wavefront_size: 64
  - .agpr_count:     0
    .args:
      - .offset:         0
        .size:           136
        .value_kind:     by_value
    .group_segment_fixed_size: 0
    .kernarg_segment_align: 8
    .kernarg_segment_size: 136
    .language:       OpenCL C
    .language_version:
      - 2
      - 0
    .max_flat_workgroup_size: 512
    .name:           _ZN7rocprim17ROCPRIM_400000_NS6detail17trampoline_kernelINS0_14default_configENS1_25partition_config_selectorILNS1_17partition_subalgoE8ElNS0_10empty_typeEbEEZZNS1_14partition_implILS5_8ELb0ES3_jPlPS6_PKS6_NS0_5tupleIJS9_S6_EEENSD_IJSA_SA_EEENS0_18inequality_wrapperIZN2at6native12_GLOBAL__N_124unique_dim_cuda_templateItEESt5tupleIJNSH_6TensorESM_SM_EERKSM_lbbbEUlllE0_EEPmJS6_EEE10hipError_tPvRmT3_T4_T5_T6_T7_T9_mT8_P12ihipStream_tbDpT10_ENKUlT_T0_E_clISt17integral_constantIbLb1EES1C_EEDaS17_S18_EUlS17_E_NS1_11comp_targetILNS1_3genE8ELNS1_11target_archE1030ELNS1_3gpuE2ELNS1_3repE0EEENS1_30default_config_static_selectorELNS0_4arch9wavefront6targetE1EEEvT1_
    .private_segment_fixed_size: 0
    .sgpr_count:     6
    .sgpr_spill_count: 0
    .symbol:         _ZN7rocprim17ROCPRIM_400000_NS6detail17trampoline_kernelINS0_14default_configENS1_25partition_config_selectorILNS1_17partition_subalgoE8ElNS0_10empty_typeEbEEZZNS1_14partition_implILS5_8ELb0ES3_jPlPS6_PKS6_NS0_5tupleIJS9_S6_EEENSD_IJSA_SA_EEENS0_18inequality_wrapperIZN2at6native12_GLOBAL__N_124unique_dim_cuda_templateItEESt5tupleIJNSH_6TensorESM_SM_EERKSM_lbbbEUlllE0_EEPmJS6_EEE10hipError_tPvRmT3_T4_T5_T6_T7_T9_mT8_P12ihipStream_tbDpT10_ENKUlT_T0_E_clISt17integral_constantIbLb1EES1C_EEDaS17_S18_EUlS17_E_NS1_11comp_targetILNS1_3genE8ELNS1_11target_archE1030ELNS1_3gpuE2ELNS1_3repE0EEENS1_30default_config_static_selectorELNS0_4arch9wavefront6targetE1EEEvT1_.kd
    .uniform_work_group_size: 1
    .uses_dynamic_stack: false
    .vgpr_count:     0
    .vgpr_spill_count: 0
    .wavefront_size: 64
  - .agpr_count:     0
    .args:
      - .offset:         0
        .size:           120
        .value_kind:     by_value
    .group_segment_fixed_size: 0
    .kernarg_segment_align: 8
    .kernarg_segment_size: 120
    .language:       OpenCL C
    .language_version:
      - 2
      - 0
    .max_flat_workgroup_size: 512
    .name:           _ZN7rocprim17ROCPRIM_400000_NS6detail17trampoline_kernelINS0_14default_configENS1_25partition_config_selectorILNS1_17partition_subalgoE8ElNS0_10empty_typeEbEEZZNS1_14partition_implILS5_8ELb0ES3_jPlPS6_PKS6_NS0_5tupleIJS9_S6_EEENSD_IJSA_SA_EEENS0_18inequality_wrapperIZN2at6native12_GLOBAL__N_124unique_dim_cuda_templateItEESt5tupleIJNSH_6TensorESM_SM_EERKSM_lbbbEUlllE0_EEPmJS6_EEE10hipError_tPvRmT3_T4_T5_T6_T7_T9_mT8_P12ihipStream_tbDpT10_ENKUlT_T0_E_clISt17integral_constantIbLb1EES1B_IbLb0EEEEDaS17_S18_EUlS17_E_NS1_11comp_targetILNS1_3genE0ELNS1_11target_archE4294967295ELNS1_3gpuE0ELNS1_3repE0EEENS1_30default_config_static_selectorELNS0_4arch9wavefront6targetE1EEEvT1_
    .private_segment_fixed_size: 0
    .sgpr_count:     6
    .sgpr_spill_count: 0
    .symbol:         _ZN7rocprim17ROCPRIM_400000_NS6detail17trampoline_kernelINS0_14default_configENS1_25partition_config_selectorILNS1_17partition_subalgoE8ElNS0_10empty_typeEbEEZZNS1_14partition_implILS5_8ELb0ES3_jPlPS6_PKS6_NS0_5tupleIJS9_S6_EEENSD_IJSA_SA_EEENS0_18inequality_wrapperIZN2at6native12_GLOBAL__N_124unique_dim_cuda_templateItEESt5tupleIJNSH_6TensorESM_SM_EERKSM_lbbbEUlllE0_EEPmJS6_EEE10hipError_tPvRmT3_T4_T5_T6_T7_T9_mT8_P12ihipStream_tbDpT10_ENKUlT_T0_E_clISt17integral_constantIbLb1EES1B_IbLb0EEEEDaS17_S18_EUlS17_E_NS1_11comp_targetILNS1_3genE0ELNS1_11target_archE4294967295ELNS1_3gpuE0ELNS1_3repE0EEENS1_30default_config_static_selectorELNS0_4arch9wavefront6targetE1EEEvT1_.kd
    .uniform_work_group_size: 1
    .uses_dynamic_stack: false
    .vgpr_count:     0
    .vgpr_spill_count: 0
    .wavefront_size: 64
  - .agpr_count:     0
    .args:
      - .offset:         0
        .size:           120
        .value_kind:     by_value
    .group_segment_fixed_size: 28684
    .kernarg_segment_align: 8
    .kernarg_segment_size: 120
    .language:       OpenCL C
    .language_version:
      - 2
      - 0
    .max_flat_workgroup_size: 512
    .name:           _ZN7rocprim17ROCPRIM_400000_NS6detail17trampoline_kernelINS0_14default_configENS1_25partition_config_selectorILNS1_17partition_subalgoE8ElNS0_10empty_typeEbEEZZNS1_14partition_implILS5_8ELb0ES3_jPlPS6_PKS6_NS0_5tupleIJS9_S6_EEENSD_IJSA_SA_EEENS0_18inequality_wrapperIZN2at6native12_GLOBAL__N_124unique_dim_cuda_templateItEESt5tupleIJNSH_6TensorESM_SM_EERKSM_lbbbEUlllE0_EEPmJS6_EEE10hipError_tPvRmT3_T4_T5_T6_T7_T9_mT8_P12ihipStream_tbDpT10_ENKUlT_T0_E_clISt17integral_constantIbLb1EES1B_IbLb0EEEEDaS17_S18_EUlS17_E_NS1_11comp_targetILNS1_3genE5ELNS1_11target_archE942ELNS1_3gpuE9ELNS1_3repE0EEENS1_30default_config_static_selectorELNS0_4arch9wavefront6targetE1EEEvT1_
    .private_segment_fixed_size: 0
    .sgpr_count:     58
    .sgpr_spill_count: 0
    .symbol:         _ZN7rocprim17ROCPRIM_400000_NS6detail17trampoline_kernelINS0_14default_configENS1_25partition_config_selectorILNS1_17partition_subalgoE8ElNS0_10empty_typeEbEEZZNS1_14partition_implILS5_8ELb0ES3_jPlPS6_PKS6_NS0_5tupleIJS9_S6_EEENSD_IJSA_SA_EEENS0_18inequality_wrapperIZN2at6native12_GLOBAL__N_124unique_dim_cuda_templateItEESt5tupleIJNSH_6TensorESM_SM_EERKSM_lbbbEUlllE0_EEPmJS6_EEE10hipError_tPvRmT3_T4_T5_T6_T7_T9_mT8_P12ihipStream_tbDpT10_ENKUlT_T0_E_clISt17integral_constantIbLb1EES1B_IbLb0EEEEDaS17_S18_EUlS17_E_NS1_11comp_targetILNS1_3genE5ELNS1_11target_archE942ELNS1_3gpuE9ELNS1_3repE0EEENS1_30default_config_static_selectorELNS0_4arch9wavefront6targetE1EEEvT1_.kd
    .uniform_work_group_size: 1
    .uses_dynamic_stack: false
    .vgpr_count:     52
    .vgpr_spill_count: 0
    .wavefront_size: 64
  - .agpr_count:     0
    .args:
      - .offset:         0
        .size:           120
        .value_kind:     by_value
    .group_segment_fixed_size: 0
    .kernarg_segment_align: 8
    .kernarg_segment_size: 120
    .language:       OpenCL C
    .language_version:
      - 2
      - 0
    .max_flat_workgroup_size: 256
    .name:           _ZN7rocprim17ROCPRIM_400000_NS6detail17trampoline_kernelINS0_14default_configENS1_25partition_config_selectorILNS1_17partition_subalgoE8ElNS0_10empty_typeEbEEZZNS1_14partition_implILS5_8ELb0ES3_jPlPS6_PKS6_NS0_5tupleIJS9_S6_EEENSD_IJSA_SA_EEENS0_18inequality_wrapperIZN2at6native12_GLOBAL__N_124unique_dim_cuda_templateItEESt5tupleIJNSH_6TensorESM_SM_EERKSM_lbbbEUlllE0_EEPmJS6_EEE10hipError_tPvRmT3_T4_T5_T6_T7_T9_mT8_P12ihipStream_tbDpT10_ENKUlT_T0_E_clISt17integral_constantIbLb1EES1B_IbLb0EEEEDaS17_S18_EUlS17_E_NS1_11comp_targetILNS1_3genE4ELNS1_11target_archE910ELNS1_3gpuE8ELNS1_3repE0EEENS1_30default_config_static_selectorELNS0_4arch9wavefront6targetE1EEEvT1_
    .private_segment_fixed_size: 0
    .sgpr_count:     6
    .sgpr_spill_count: 0
    .symbol:         _ZN7rocprim17ROCPRIM_400000_NS6detail17trampoline_kernelINS0_14default_configENS1_25partition_config_selectorILNS1_17partition_subalgoE8ElNS0_10empty_typeEbEEZZNS1_14partition_implILS5_8ELb0ES3_jPlPS6_PKS6_NS0_5tupleIJS9_S6_EEENSD_IJSA_SA_EEENS0_18inequality_wrapperIZN2at6native12_GLOBAL__N_124unique_dim_cuda_templateItEESt5tupleIJNSH_6TensorESM_SM_EERKSM_lbbbEUlllE0_EEPmJS6_EEE10hipError_tPvRmT3_T4_T5_T6_T7_T9_mT8_P12ihipStream_tbDpT10_ENKUlT_T0_E_clISt17integral_constantIbLb1EES1B_IbLb0EEEEDaS17_S18_EUlS17_E_NS1_11comp_targetILNS1_3genE4ELNS1_11target_archE910ELNS1_3gpuE8ELNS1_3repE0EEENS1_30default_config_static_selectorELNS0_4arch9wavefront6targetE1EEEvT1_.kd
    .uniform_work_group_size: 1
    .uses_dynamic_stack: false
    .vgpr_count:     0
    .vgpr_spill_count: 0
    .wavefront_size: 64
  - .agpr_count:     0
    .args:
      - .offset:         0
        .size:           120
        .value_kind:     by_value
    .group_segment_fixed_size: 0
    .kernarg_segment_align: 8
    .kernarg_segment_size: 120
    .language:       OpenCL C
    .language_version:
      - 2
      - 0
    .max_flat_workgroup_size: 512
    .name:           _ZN7rocprim17ROCPRIM_400000_NS6detail17trampoline_kernelINS0_14default_configENS1_25partition_config_selectorILNS1_17partition_subalgoE8ElNS0_10empty_typeEbEEZZNS1_14partition_implILS5_8ELb0ES3_jPlPS6_PKS6_NS0_5tupleIJS9_S6_EEENSD_IJSA_SA_EEENS0_18inequality_wrapperIZN2at6native12_GLOBAL__N_124unique_dim_cuda_templateItEESt5tupleIJNSH_6TensorESM_SM_EERKSM_lbbbEUlllE0_EEPmJS6_EEE10hipError_tPvRmT3_T4_T5_T6_T7_T9_mT8_P12ihipStream_tbDpT10_ENKUlT_T0_E_clISt17integral_constantIbLb1EES1B_IbLb0EEEEDaS17_S18_EUlS17_E_NS1_11comp_targetILNS1_3genE3ELNS1_11target_archE908ELNS1_3gpuE7ELNS1_3repE0EEENS1_30default_config_static_selectorELNS0_4arch9wavefront6targetE1EEEvT1_
    .private_segment_fixed_size: 0
    .sgpr_count:     6
    .sgpr_spill_count: 0
    .symbol:         _ZN7rocprim17ROCPRIM_400000_NS6detail17trampoline_kernelINS0_14default_configENS1_25partition_config_selectorILNS1_17partition_subalgoE8ElNS0_10empty_typeEbEEZZNS1_14partition_implILS5_8ELb0ES3_jPlPS6_PKS6_NS0_5tupleIJS9_S6_EEENSD_IJSA_SA_EEENS0_18inequality_wrapperIZN2at6native12_GLOBAL__N_124unique_dim_cuda_templateItEESt5tupleIJNSH_6TensorESM_SM_EERKSM_lbbbEUlllE0_EEPmJS6_EEE10hipError_tPvRmT3_T4_T5_T6_T7_T9_mT8_P12ihipStream_tbDpT10_ENKUlT_T0_E_clISt17integral_constantIbLb1EES1B_IbLb0EEEEDaS17_S18_EUlS17_E_NS1_11comp_targetILNS1_3genE3ELNS1_11target_archE908ELNS1_3gpuE7ELNS1_3repE0EEENS1_30default_config_static_selectorELNS0_4arch9wavefront6targetE1EEEvT1_.kd
    .uniform_work_group_size: 1
    .uses_dynamic_stack: false
    .vgpr_count:     0
    .vgpr_spill_count: 0
    .wavefront_size: 64
  - .agpr_count:     0
    .args:
      - .offset:         0
        .size:           120
        .value_kind:     by_value
    .group_segment_fixed_size: 0
    .kernarg_segment_align: 8
    .kernarg_segment_size: 120
    .language:       OpenCL C
    .language_version:
      - 2
      - 0
    .max_flat_workgroup_size: 256
    .name:           _ZN7rocprim17ROCPRIM_400000_NS6detail17trampoline_kernelINS0_14default_configENS1_25partition_config_selectorILNS1_17partition_subalgoE8ElNS0_10empty_typeEbEEZZNS1_14partition_implILS5_8ELb0ES3_jPlPS6_PKS6_NS0_5tupleIJS9_S6_EEENSD_IJSA_SA_EEENS0_18inequality_wrapperIZN2at6native12_GLOBAL__N_124unique_dim_cuda_templateItEESt5tupleIJNSH_6TensorESM_SM_EERKSM_lbbbEUlllE0_EEPmJS6_EEE10hipError_tPvRmT3_T4_T5_T6_T7_T9_mT8_P12ihipStream_tbDpT10_ENKUlT_T0_E_clISt17integral_constantIbLb1EES1B_IbLb0EEEEDaS17_S18_EUlS17_E_NS1_11comp_targetILNS1_3genE2ELNS1_11target_archE906ELNS1_3gpuE6ELNS1_3repE0EEENS1_30default_config_static_selectorELNS0_4arch9wavefront6targetE1EEEvT1_
    .private_segment_fixed_size: 0
    .sgpr_count:     6
    .sgpr_spill_count: 0
    .symbol:         _ZN7rocprim17ROCPRIM_400000_NS6detail17trampoline_kernelINS0_14default_configENS1_25partition_config_selectorILNS1_17partition_subalgoE8ElNS0_10empty_typeEbEEZZNS1_14partition_implILS5_8ELb0ES3_jPlPS6_PKS6_NS0_5tupleIJS9_S6_EEENSD_IJSA_SA_EEENS0_18inequality_wrapperIZN2at6native12_GLOBAL__N_124unique_dim_cuda_templateItEESt5tupleIJNSH_6TensorESM_SM_EERKSM_lbbbEUlllE0_EEPmJS6_EEE10hipError_tPvRmT3_T4_T5_T6_T7_T9_mT8_P12ihipStream_tbDpT10_ENKUlT_T0_E_clISt17integral_constantIbLb1EES1B_IbLb0EEEEDaS17_S18_EUlS17_E_NS1_11comp_targetILNS1_3genE2ELNS1_11target_archE906ELNS1_3gpuE6ELNS1_3repE0EEENS1_30default_config_static_selectorELNS0_4arch9wavefront6targetE1EEEvT1_.kd
    .uniform_work_group_size: 1
    .uses_dynamic_stack: false
    .vgpr_count:     0
    .vgpr_spill_count: 0
    .wavefront_size: 64
  - .agpr_count:     0
    .args:
      - .offset:         0
        .size:           120
        .value_kind:     by_value
    .group_segment_fixed_size: 0
    .kernarg_segment_align: 8
    .kernarg_segment_size: 120
    .language:       OpenCL C
    .language_version:
      - 2
      - 0
    .max_flat_workgroup_size: 384
    .name:           _ZN7rocprim17ROCPRIM_400000_NS6detail17trampoline_kernelINS0_14default_configENS1_25partition_config_selectorILNS1_17partition_subalgoE8ElNS0_10empty_typeEbEEZZNS1_14partition_implILS5_8ELb0ES3_jPlPS6_PKS6_NS0_5tupleIJS9_S6_EEENSD_IJSA_SA_EEENS0_18inequality_wrapperIZN2at6native12_GLOBAL__N_124unique_dim_cuda_templateItEESt5tupleIJNSH_6TensorESM_SM_EERKSM_lbbbEUlllE0_EEPmJS6_EEE10hipError_tPvRmT3_T4_T5_T6_T7_T9_mT8_P12ihipStream_tbDpT10_ENKUlT_T0_E_clISt17integral_constantIbLb1EES1B_IbLb0EEEEDaS17_S18_EUlS17_E_NS1_11comp_targetILNS1_3genE10ELNS1_11target_archE1200ELNS1_3gpuE4ELNS1_3repE0EEENS1_30default_config_static_selectorELNS0_4arch9wavefront6targetE1EEEvT1_
    .private_segment_fixed_size: 0
    .sgpr_count:     6
    .sgpr_spill_count: 0
    .symbol:         _ZN7rocprim17ROCPRIM_400000_NS6detail17trampoline_kernelINS0_14default_configENS1_25partition_config_selectorILNS1_17partition_subalgoE8ElNS0_10empty_typeEbEEZZNS1_14partition_implILS5_8ELb0ES3_jPlPS6_PKS6_NS0_5tupleIJS9_S6_EEENSD_IJSA_SA_EEENS0_18inequality_wrapperIZN2at6native12_GLOBAL__N_124unique_dim_cuda_templateItEESt5tupleIJNSH_6TensorESM_SM_EERKSM_lbbbEUlllE0_EEPmJS6_EEE10hipError_tPvRmT3_T4_T5_T6_T7_T9_mT8_P12ihipStream_tbDpT10_ENKUlT_T0_E_clISt17integral_constantIbLb1EES1B_IbLb0EEEEDaS17_S18_EUlS17_E_NS1_11comp_targetILNS1_3genE10ELNS1_11target_archE1200ELNS1_3gpuE4ELNS1_3repE0EEENS1_30default_config_static_selectorELNS0_4arch9wavefront6targetE1EEEvT1_.kd
    .uniform_work_group_size: 1
    .uses_dynamic_stack: false
    .vgpr_count:     0
    .vgpr_spill_count: 0
    .wavefront_size: 64
  - .agpr_count:     0
    .args:
      - .offset:         0
        .size:           120
        .value_kind:     by_value
    .group_segment_fixed_size: 0
    .kernarg_segment_align: 8
    .kernarg_segment_size: 120
    .language:       OpenCL C
    .language_version:
      - 2
      - 0
    .max_flat_workgroup_size: 512
    .name:           _ZN7rocprim17ROCPRIM_400000_NS6detail17trampoline_kernelINS0_14default_configENS1_25partition_config_selectorILNS1_17partition_subalgoE8ElNS0_10empty_typeEbEEZZNS1_14partition_implILS5_8ELb0ES3_jPlPS6_PKS6_NS0_5tupleIJS9_S6_EEENSD_IJSA_SA_EEENS0_18inequality_wrapperIZN2at6native12_GLOBAL__N_124unique_dim_cuda_templateItEESt5tupleIJNSH_6TensorESM_SM_EERKSM_lbbbEUlllE0_EEPmJS6_EEE10hipError_tPvRmT3_T4_T5_T6_T7_T9_mT8_P12ihipStream_tbDpT10_ENKUlT_T0_E_clISt17integral_constantIbLb1EES1B_IbLb0EEEEDaS17_S18_EUlS17_E_NS1_11comp_targetILNS1_3genE9ELNS1_11target_archE1100ELNS1_3gpuE3ELNS1_3repE0EEENS1_30default_config_static_selectorELNS0_4arch9wavefront6targetE1EEEvT1_
    .private_segment_fixed_size: 0
    .sgpr_count:     6
    .sgpr_spill_count: 0
    .symbol:         _ZN7rocprim17ROCPRIM_400000_NS6detail17trampoline_kernelINS0_14default_configENS1_25partition_config_selectorILNS1_17partition_subalgoE8ElNS0_10empty_typeEbEEZZNS1_14partition_implILS5_8ELb0ES3_jPlPS6_PKS6_NS0_5tupleIJS9_S6_EEENSD_IJSA_SA_EEENS0_18inequality_wrapperIZN2at6native12_GLOBAL__N_124unique_dim_cuda_templateItEESt5tupleIJNSH_6TensorESM_SM_EERKSM_lbbbEUlllE0_EEPmJS6_EEE10hipError_tPvRmT3_T4_T5_T6_T7_T9_mT8_P12ihipStream_tbDpT10_ENKUlT_T0_E_clISt17integral_constantIbLb1EES1B_IbLb0EEEEDaS17_S18_EUlS17_E_NS1_11comp_targetILNS1_3genE9ELNS1_11target_archE1100ELNS1_3gpuE3ELNS1_3repE0EEENS1_30default_config_static_selectorELNS0_4arch9wavefront6targetE1EEEvT1_.kd
    .uniform_work_group_size: 1
    .uses_dynamic_stack: false
    .vgpr_count:     0
    .vgpr_spill_count: 0
    .wavefront_size: 64
  - .agpr_count:     0
    .args:
      - .offset:         0
        .size:           120
        .value_kind:     by_value
    .group_segment_fixed_size: 0
    .kernarg_segment_align: 8
    .kernarg_segment_size: 120
    .language:       OpenCL C
    .language_version:
      - 2
      - 0
    .max_flat_workgroup_size: 512
    .name:           _ZN7rocprim17ROCPRIM_400000_NS6detail17trampoline_kernelINS0_14default_configENS1_25partition_config_selectorILNS1_17partition_subalgoE8ElNS0_10empty_typeEbEEZZNS1_14partition_implILS5_8ELb0ES3_jPlPS6_PKS6_NS0_5tupleIJS9_S6_EEENSD_IJSA_SA_EEENS0_18inequality_wrapperIZN2at6native12_GLOBAL__N_124unique_dim_cuda_templateItEESt5tupleIJNSH_6TensorESM_SM_EERKSM_lbbbEUlllE0_EEPmJS6_EEE10hipError_tPvRmT3_T4_T5_T6_T7_T9_mT8_P12ihipStream_tbDpT10_ENKUlT_T0_E_clISt17integral_constantIbLb1EES1B_IbLb0EEEEDaS17_S18_EUlS17_E_NS1_11comp_targetILNS1_3genE8ELNS1_11target_archE1030ELNS1_3gpuE2ELNS1_3repE0EEENS1_30default_config_static_selectorELNS0_4arch9wavefront6targetE1EEEvT1_
    .private_segment_fixed_size: 0
    .sgpr_count:     6
    .sgpr_spill_count: 0
    .symbol:         _ZN7rocprim17ROCPRIM_400000_NS6detail17trampoline_kernelINS0_14default_configENS1_25partition_config_selectorILNS1_17partition_subalgoE8ElNS0_10empty_typeEbEEZZNS1_14partition_implILS5_8ELb0ES3_jPlPS6_PKS6_NS0_5tupleIJS9_S6_EEENSD_IJSA_SA_EEENS0_18inequality_wrapperIZN2at6native12_GLOBAL__N_124unique_dim_cuda_templateItEESt5tupleIJNSH_6TensorESM_SM_EERKSM_lbbbEUlllE0_EEPmJS6_EEE10hipError_tPvRmT3_T4_T5_T6_T7_T9_mT8_P12ihipStream_tbDpT10_ENKUlT_T0_E_clISt17integral_constantIbLb1EES1B_IbLb0EEEEDaS17_S18_EUlS17_E_NS1_11comp_targetILNS1_3genE8ELNS1_11target_archE1030ELNS1_3gpuE2ELNS1_3repE0EEENS1_30default_config_static_selectorELNS0_4arch9wavefront6targetE1EEEvT1_.kd
    .uniform_work_group_size: 1
    .uses_dynamic_stack: false
    .vgpr_count:     0
    .vgpr_spill_count: 0
    .wavefront_size: 64
  - .agpr_count:     0
    .args:
      - .offset:         0
        .size:           136
        .value_kind:     by_value
    .group_segment_fixed_size: 0
    .kernarg_segment_align: 8
    .kernarg_segment_size: 136
    .language:       OpenCL C
    .language_version:
      - 2
      - 0
    .max_flat_workgroup_size: 512
    .name:           _ZN7rocprim17ROCPRIM_400000_NS6detail17trampoline_kernelINS0_14default_configENS1_25partition_config_selectorILNS1_17partition_subalgoE8ElNS0_10empty_typeEbEEZZNS1_14partition_implILS5_8ELb0ES3_jPlPS6_PKS6_NS0_5tupleIJS9_S6_EEENSD_IJSA_SA_EEENS0_18inequality_wrapperIZN2at6native12_GLOBAL__N_124unique_dim_cuda_templateItEESt5tupleIJNSH_6TensorESM_SM_EERKSM_lbbbEUlllE0_EEPmJS6_EEE10hipError_tPvRmT3_T4_T5_T6_T7_T9_mT8_P12ihipStream_tbDpT10_ENKUlT_T0_E_clISt17integral_constantIbLb0EES1B_IbLb1EEEEDaS17_S18_EUlS17_E_NS1_11comp_targetILNS1_3genE0ELNS1_11target_archE4294967295ELNS1_3gpuE0ELNS1_3repE0EEENS1_30default_config_static_selectorELNS0_4arch9wavefront6targetE1EEEvT1_
    .private_segment_fixed_size: 0
    .sgpr_count:     6
    .sgpr_spill_count: 0
    .symbol:         _ZN7rocprim17ROCPRIM_400000_NS6detail17trampoline_kernelINS0_14default_configENS1_25partition_config_selectorILNS1_17partition_subalgoE8ElNS0_10empty_typeEbEEZZNS1_14partition_implILS5_8ELb0ES3_jPlPS6_PKS6_NS0_5tupleIJS9_S6_EEENSD_IJSA_SA_EEENS0_18inequality_wrapperIZN2at6native12_GLOBAL__N_124unique_dim_cuda_templateItEESt5tupleIJNSH_6TensorESM_SM_EERKSM_lbbbEUlllE0_EEPmJS6_EEE10hipError_tPvRmT3_T4_T5_T6_T7_T9_mT8_P12ihipStream_tbDpT10_ENKUlT_T0_E_clISt17integral_constantIbLb0EES1B_IbLb1EEEEDaS17_S18_EUlS17_E_NS1_11comp_targetILNS1_3genE0ELNS1_11target_archE4294967295ELNS1_3gpuE0ELNS1_3repE0EEENS1_30default_config_static_selectorELNS0_4arch9wavefront6targetE1EEEvT1_.kd
    .uniform_work_group_size: 1
    .uses_dynamic_stack: false
    .vgpr_count:     0
    .vgpr_spill_count: 0
    .wavefront_size: 64
  - .agpr_count:     0
    .args:
      - .offset:         0
        .size:           136
        .value_kind:     by_value
    .group_segment_fixed_size: 28684
    .kernarg_segment_align: 8
    .kernarg_segment_size: 136
    .language:       OpenCL C
    .language_version:
      - 2
      - 0
    .max_flat_workgroup_size: 512
    .name:           _ZN7rocprim17ROCPRIM_400000_NS6detail17trampoline_kernelINS0_14default_configENS1_25partition_config_selectorILNS1_17partition_subalgoE8ElNS0_10empty_typeEbEEZZNS1_14partition_implILS5_8ELb0ES3_jPlPS6_PKS6_NS0_5tupleIJS9_S6_EEENSD_IJSA_SA_EEENS0_18inequality_wrapperIZN2at6native12_GLOBAL__N_124unique_dim_cuda_templateItEESt5tupleIJNSH_6TensorESM_SM_EERKSM_lbbbEUlllE0_EEPmJS6_EEE10hipError_tPvRmT3_T4_T5_T6_T7_T9_mT8_P12ihipStream_tbDpT10_ENKUlT_T0_E_clISt17integral_constantIbLb0EES1B_IbLb1EEEEDaS17_S18_EUlS17_E_NS1_11comp_targetILNS1_3genE5ELNS1_11target_archE942ELNS1_3gpuE9ELNS1_3repE0EEENS1_30default_config_static_selectorELNS0_4arch9wavefront6targetE1EEEvT1_
    .private_segment_fixed_size: 0
    .sgpr_count:     62
    .sgpr_spill_count: 0
    .symbol:         _ZN7rocprim17ROCPRIM_400000_NS6detail17trampoline_kernelINS0_14default_configENS1_25partition_config_selectorILNS1_17partition_subalgoE8ElNS0_10empty_typeEbEEZZNS1_14partition_implILS5_8ELb0ES3_jPlPS6_PKS6_NS0_5tupleIJS9_S6_EEENSD_IJSA_SA_EEENS0_18inequality_wrapperIZN2at6native12_GLOBAL__N_124unique_dim_cuda_templateItEESt5tupleIJNSH_6TensorESM_SM_EERKSM_lbbbEUlllE0_EEPmJS6_EEE10hipError_tPvRmT3_T4_T5_T6_T7_T9_mT8_P12ihipStream_tbDpT10_ENKUlT_T0_E_clISt17integral_constantIbLb0EES1B_IbLb1EEEEDaS17_S18_EUlS17_E_NS1_11comp_targetILNS1_3genE5ELNS1_11target_archE942ELNS1_3gpuE9ELNS1_3repE0EEENS1_30default_config_static_selectorELNS0_4arch9wavefront6targetE1EEEvT1_.kd
    .uniform_work_group_size: 1
    .uses_dynamic_stack: false
    .vgpr_count:     52
    .vgpr_spill_count: 0
    .wavefront_size: 64
  - .agpr_count:     0
    .args:
      - .offset:         0
        .size:           136
        .value_kind:     by_value
    .group_segment_fixed_size: 0
    .kernarg_segment_align: 8
    .kernarg_segment_size: 136
    .language:       OpenCL C
    .language_version:
      - 2
      - 0
    .max_flat_workgroup_size: 256
    .name:           _ZN7rocprim17ROCPRIM_400000_NS6detail17trampoline_kernelINS0_14default_configENS1_25partition_config_selectorILNS1_17partition_subalgoE8ElNS0_10empty_typeEbEEZZNS1_14partition_implILS5_8ELb0ES3_jPlPS6_PKS6_NS0_5tupleIJS9_S6_EEENSD_IJSA_SA_EEENS0_18inequality_wrapperIZN2at6native12_GLOBAL__N_124unique_dim_cuda_templateItEESt5tupleIJNSH_6TensorESM_SM_EERKSM_lbbbEUlllE0_EEPmJS6_EEE10hipError_tPvRmT3_T4_T5_T6_T7_T9_mT8_P12ihipStream_tbDpT10_ENKUlT_T0_E_clISt17integral_constantIbLb0EES1B_IbLb1EEEEDaS17_S18_EUlS17_E_NS1_11comp_targetILNS1_3genE4ELNS1_11target_archE910ELNS1_3gpuE8ELNS1_3repE0EEENS1_30default_config_static_selectorELNS0_4arch9wavefront6targetE1EEEvT1_
    .private_segment_fixed_size: 0
    .sgpr_count:     6
    .sgpr_spill_count: 0
    .symbol:         _ZN7rocprim17ROCPRIM_400000_NS6detail17trampoline_kernelINS0_14default_configENS1_25partition_config_selectorILNS1_17partition_subalgoE8ElNS0_10empty_typeEbEEZZNS1_14partition_implILS5_8ELb0ES3_jPlPS6_PKS6_NS0_5tupleIJS9_S6_EEENSD_IJSA_SA_EEENS0_18inequality_wrapperIZN2at6native12_GLOBAL__N_124unique_dim_cuda_templateItEESt5tupleIJNSH_6TensorESM_SM_EERKSM_lbbbEUlllE0_EEPmJS6_EEE10hipError_tPvRmT3_T4_T5_T6_T7_T9_mT8_P12ihipStream_tbDpT10_ENKUlT_T0_E_clISt17integral_constantIbLb0EES1B_IbLb1EEEEDaS17_S18_EUlS17_E_NS1_11comp_targetILNS1_3genE4ELNS1_11target_archE910ELNS1_3gpuE8ELNS1_3repE0EEENS1_30default_config_static_selectorELNS0_4arch9wavefront6targetE1EEEvT1_.kd
    .uniform_work_group_size: 1
    .uses_dynamic_stack: false
    .vgpr_count:     0
    .vgpr_spill_count: 0
    .wavefront_size: 64
  - .agpr_count:     0
    .args:
      - .offset:         0
        .size:           136
        .value_kind:     by_value
    .group_segment_fixed_size: 0
    .kernarg_segment_align: 8
    .kernarg_segment_size: 136
    .language:       OpenCL C
    .language_version:
      - 2
      - 0
    .max_flat_workgroup_size: 512
    .name:           _ZN7rocprim17ROCPRIM_400000_NS6detail17trampoline_kernelINS0_14default_configENS1_25partition_config_selectorILNS1_17partition_subalgoE8ElNS0_10empty_typeEbEEZZNS1_14partition_implILS5_8ELb0ES3_jPlPS6_PKS6_NS0_5tupleIJS9_S6_EEENSD_IJSA_SA_EEENS0_18inequality_wrapperIZN2at6native12_GLOBAL__N_124unique_dim_cuda_templateItEESt5tupleIJNSH_6TensorESM_SM_EERKSM_lbbbEUlllE0_EEPmJS6_EEE10hipError_tPvRmT3_T4_T5_T6_T7_T9_mT8_P12ihipStream_tbDpT10_ENKUlT_T0_E_clISt17integral_constantIbLb0EES1B_IbLb1EEEEDaS17_S18_EUlS17_E_NS1_11comp_targetILNS1_3genE3ELNS1_11target_archE908ELNS1_3gpuE7ELNS1_3repE0EEENS1_30default_config_static_selectorELNS0_4arch9wavefront6targetE1EEEvT1_
    .private_segment_fixed_size: 0
    .sgpr_count:     6
    .sgpr_spill_count: 0
    .symbol:         _ZN7rocprim17ROCPRIM_400000_NS6detail17trampoline_kernelINS0_14default_configENS1_25partition_config_selectorILNS1_17partition_subalgoE8ElNS0_10empty_typeEbEEZZNS1_14partition_implILS5_8ELb0ES3_jPlPS6_PKS6_NS0_5tupleIJS9_S6_EEENSD_IJSA_SA_EEENS0_18inequality_wrapperIZN2at6native12_GLOBAL__N_124unique_dim_cuda_templateItEESt5tupleIJNSH_6TensorESM_SM_EERKSM_lbbbEUlllE0_EEPmJS6_EEE10hipError_tPvRmT3_T4_T5_T6_T7_T9_mT8_P12ihipStream_tbDpT10_ENKUlT_T0_E_clISt17integral_constantIbLb0EES1B_IbLb1EEEEDaS17_S18_EUlS17_E_NS1_11comp_targetILNS1_3genE3ELNS1_11target_archE908ELNS1_3gpuE7ELNS1_3repE0EEENS1_30default_config_static_selectorELNS0_4arch9wavefront6targetE1EEEvT1_.kd
    .uniform_work_group_size: 1
    .uses_dynamic_stack: false
    .vgpr_count:     0
    .vgpr_spill_count: 0
    .wavefront_size: 64
  - .agpr_count:     0
    .args:
      - .offset:         0
        .size:           136
        .value_kind:     by_value
    .group_segment_fixed_size: 0
    .kernarg_segment_align: 8
    .kernarg_segment_size: 136
    .language:       OpenCL C
    .language_version:
      - 2
      - 0
    .max_flat_workgroup_size: 256
    .name:           _ZN7rocprim17ROCPRIM_400000_NS6detail17trampoline_kernelINS0_14default_configENS1_25partition_config_selectorILNS1_17partition_subalgoE8ElNS0_10empty_typeEbEEZZNS1_14partition_implILS5_8ELb0ES3_jPlPS6_PKS6_NS0_5tupleIJS9_S6_EEENSD_IJSA_SA_EEENS0_18inequality_wrapperIZN2at6native12_GLOBAL__N_124unique_dim_cuda_templateItEESt5tupleIJNSH_6TensorESM_SM_EERKSM_lbbbEUlllE0_EEPmJS6_EEE10hipError_tPvRmT3_T4_T5_T6_T7_T9_mT8_P12ihipStream_tbDpT10_ENKUlT_T0_E_clISt17integral_constantIbLb0EES1B_IbLb1EEEEDaS17_S18_EUlS17_E_NS1_11comp_targetILNS1_3genE2ELNS1_11target_archE906ELNS1_3gpuE6ELNS1_3repE0EEENS1_30default_config_static_selectorELNS0_4arch9wavefront6targetE1EEEvT1_
    .private_segment_fixed_size: 0
    .sgpr_count:     6
    .sgpr_spill_count: 0
    .symbol:         _ZN7rocprim17ROCPRIM_400000_NS6detail17trampoline_kernelINS0_14default_configENS1_25partition_config_selectorILNS1_17partition_subalgoE8ElNS0_10empty_typeEbEEZZNS1_14partition_implILS5_8ELb0ES3_jPlPS6_PKS6_NS0_5tupleIJS9_S6_EEENSD_IJSA_SA_EEENS0_18inequality_wrapperIZN2at6native12_GLOBAL__N_124unique_dim_cuda_templateItEESt5tupleIJNSH_6TensorESM_SM_EERKSM_lbbbEUlllE0_EEPmJS6_EEE10hipError_tPvRmT3_T4_T5_T6_T7_T9_mT8_P12ihipStream_tbDpT10_ENKUlT_T0_E_clISt17integral_constantIbLb0EES1B_IbLb1EEEEDaS17_S18_EUlS17_E_NS1_11comp_targetILNS1_3genE2ELNS1_11target_archE906ELNS1_3gpuE6ELNS1_3repE0EEENS1_30default_config_static_selectorELNS0_4arch9wavefront6targetE1EEEvT1_.kd
    .uniform_work_group_size: 1
    .uses_dynamic_stack: false
    .vgpr_count:     0
    .vgpr_spill_count: 0
    .wavefront_size: 64
  - .agpr_count:     0
    .args:
      - .offset:         0
        .size:           136
        .value_kind:     by_value
    .group_segment_fixed_size: 0
    .kernarg_segment_align: 8
    .kernarg_segment_size: 136
    .language:       OpenCL C
    .language_version:
      - 2
      - 0
    .max_flat_workgroup_size: 384
    .name:           _ZN7rocprim17ROCPRIM_400000_NS6detail17trampoline_kernelINS0_14default_configENS1_25partition_config_selectorILNS1_17partition_subalgoE8ElNS0_10empty_typeEbEEZZNS1_14partition_implILS5_8ELb0ES3_jPlPS6_PKS6_NS0_5tupleIJS9_S6_EEENSD_IJSA_SA_EEENS0_18inequality_wrapperIZN2at6native12_GLOBAL__N_124unique_dim_cuda_templateItEESt5tupleIJNSH_6TensorESM_SM_EERKSM_lbbbEUlllE0_EEPmJS6_EEE10hipError_tPvRmT3_T4_T5_T6_T7_T9_mT8_P12ihipStream_tbDpT10_ENKUlT_T0_E_clISt17integral_constantIbLb0EES1B_IbLb1EEEEDaS17_S18_EUlS17_E_NS1_11comp_targetILNS1_3genE10ELNS1_11target_archE1200ELNS1_3gpuE4ELNS1_3repE0EEENS1_30default_config_static_selectorELNS0_4arch9wavefront6targetE1EEEvT1_
    .private_segment_fixed_size: 0
    .sgpr_count:     6
    .sgpr_spill_count: 0
    .symbol:         _ZN7rocprim17ROCPRIM_400000_NS6detail17trampoline_kernelINS0_14default_configENS1_25partition_config_selectorILNS1_17partition_subalgoE8ElNS0_10empty_typeEbEEZZNS1_14partition_implILS5_8ELb0ES3_jPlPS6_PKS6_NS0_5tupleIJS9_S6_EEENSD_IJSA_SA_EEENS0_18inequality_wrapperIZN2at6native12_GLOBAL__N_124unique_dim_cuda_templateItEESt5tupleIJNSH_6TensorESM_SM_EERKSM_lbbbEUlllE0_EEPmJS6_EEE10hipError_tPvRmT3_T4_T5_T6_T7_T9_mT8_P12ihipStream_tbDpT10_ENKUlT_T0_E_clISt17integral_constantIbLb0EES1B_IbLb1EEEEDaS17_S18_EUlS17_E_NS1_11comp_targetILNS1_3genE10ELNS1_11target_archE1200ELNS1_3gpuE4ELNS1_3repE0EEENS1_30default_config_static_selectorELNS0_4arch9wavefront6targetE1EEEvT1_.kd
    .uniform_work_group_size: 1
    .uses_dynamic_stack: false
    .vgpr_count:     0
    .vgpr_spill_count: 0
    .wavefront_size: 64
  - .agpr_count:     0
    .args:
      - .offset:         0
        .size:           136
        .value_kind:     by_value
    .group_segment_fixed_size: 0
    .kernarg_segment_align: 8
    .kernarg_segment_size: 136
    .language:       OpenCL C
    .language_version:
      - 2
      - 0
    .max_flat_workgroup_size: 512
    .name:           _ZN7rocprim17ROCPRIM_400000_NS6detail17trampoline_kernelINS0_14default_configENS1_25partition_config_selectorILNS1_17partition_subalgoE8ElNS0_10empty_typeEbEEZZNS1_14partition_implILS5_8ELb0ES3_jPlPS6_PKS6_NS0_5tupleIJS9_S6_EEENSD_IJSA_SA_EEENS0_18inequality_wrapperIZN2at6native12_GLOBAL__N_124unique_dim_cuda_templateItEESt5tupleIJNSH_6TensorESM_SM_EERKSM_lbbbEUlllE0_EEPmJS6_EEE10hipError_tPvRmT3_T4_T5_T6_T7_T9_mT8_P12ihipStream_tbDpT10_ENKUlT_T0_E_clISt17integral_constantIbLb0EES1B_IbLb1EEEEDaS17_S18_EUlS17_E_NS1_11comp_targetILNS1_3genE9ELNS1_11target_archE1100ELNS1_3gpuE3ELNS1_3repE0EEENS1_30default_config_static_selectorELNS0_4arch9wavefront6targetE1EEEvT1_
    .private_segment_fixed_size: 0
    .sgpr_count:     6
    .sgpr_spill_count: 0
    .symbol:         _ZN7rocprim17ROCPRIM_400000_NS6detail17trampoline_kernelINS0_14default_configENS1_25partition_config_selectorILNS1_17partition_subalgoE8ElNS0_10empty_typeEbEEZZNS1_14partition_implILS5_8ELb0ES3_jPlPS6_PKS6_NS0_5tupleIJS9_S6_EEENSD_IJSA_SA_EEENS0_18inequality_wrapperIZN2at6native12_GLOBAL__N_124unique_dim_cuda_templateItEESt5tupleIJNSH_6TensorESM_SM_EERKSM_lbbbEUlllE0_EEPmJS6_EEE10hipError_tPvRmT3_T4_T5_T6_T7_T9_mT8_P12ihipStream_tbDpT10_ENKUlT_T0_E_clISt17integral_constantIbLb0EES1B_IbLb1EEEEDaS17_S18_EUlS17_E_NS1_11comp_targetILNS1_3genE9ELNS1_11target_archE1100ELNS1_3gpuE3ELNS1_3repE0EEENS1_30default_config_static_selectorELNS0_4arch9wavefront6targetE1EEEvT1_.kd
    .uniform_work_group_size: 1
    .uses_dynamic_stack: false
    .vgpr_count:     0
    .vgpr_spill_count: 0
    .wavefront_size: 64
  - .agpr_count:     0
    .args:
      - .offset:         0
        .size:           136
        .value_kind:     by_value
    .group_segment_fixed_size: 0
    .kernarg_segment_align: 8
    .kernarg_segment_size: 136
    .language:       OpenCL C
    .language_version:
      - 2
      - 0
    .max_flat_workgroup_size: 512
    .name:           _ZN7rocprim17ROCPRIM_400000_NS6detail17trampoline_kernelINS0_14default_configENS1_25partition_config_selectorILNS1_17partition_subalgoE8ElNS0_10empty_typeEbEEZZNS1_14partition_implILS5_8ELb0ES3_jPlPS6_PKS6_NS0_5tupleIJS9_S6_EEENSD_IJSA_SA_EEENS0_18inequality_wrapperIZN2at6native12_GLOBAL__N_124unique_dim_cuda_templateItEESt5tupleIJNSH_6TensorESM_SM_EERKSM_lbbbEUlllE0_EEPmJS6_EEE10hipError_tPvRmT3_T4_T5_T6_T7_T9_mT8_P12ihipStream_tbDpT10_ENKUlT_T0_E_clISt17integral_constantIbLb0EES1B_IbLb1EEEEDaS17_S18_EUlS17_E_NS1_11comp_targetILNS1_3genE8ELNS1_11target_archE1030ELNS1_3gpuE2ELNS1_3repE0EEENS1_30default_config_static_selectorELNS0_4arch9wavefront6targetE1EEEvT1_
    .private_segment_fixed_size: 0
    .sgpr_count:     6
    .sgpr_spill_count: 0
    .symbol:         _ZN7rocprim17ROCPRIM_400000_NS6detail17trampoline_kernelINS0_14default_configENS1_25partition_config_selectorILNS1_17partition_subalgoE8ElNS0_10empty_typeEbEEZZNS1_14partition_implILS5_8ELb0ES3_jPlPS6_PKS6_NS0_5tupleIJS9_S6_EEENSD_IJSA_SA_EEENS0_18inequality_wrapperIZN2at6native12_GLOBAL__N_124unique_dim_cuda_templateItEESt5tupleIJNSH_6TensorESM_SM_EERKSM_lbbbEUlllE0_EEPmJS6_EEE10hipError_tPvRmT3_T4_T5_T6_T7_T9_mT8_P12ihipStream_tbDpT10_ENKUlT_T0_E_clISt17integral_constantIbLb0EES1B_IbLb1EEEEDaS17_S18_EUlS17_E_NS1_11comp_targetILNS1_3genE8ELNS1_11target_archE1030ELNS1_3gpuE2ELNS1_3repE0EEENS1_30default_config_static_selectorELNS0_4arch9wavefront6targetE1EEEvT1_.kd
    .uniform_work_group_size: 1
    .uses_dynamic_stack: false
    .vgpr_count:     0
    .vgpr_spill_count: 0
    .wavefront_size: 64
  - .agpr_count:     0
    .args:
      - .offset:         0
        .size:           120
        .value_kind:     by_value
    .group_segment_fixed_size: 0
    .kernarg_segment_align: 8
    .kernarg_segment_size: 120
    .language:       OpenCL C
    .language_version:
      - 2
      - 0
    .max_flat_workgroup_size: 128
    .name:           _ZN7rocprim17ROCPRIM_400000_NS6detail17trampoline_kernelINS0_14default_configENS1_25partition_config_selectorILNS1_17partition_subalgoE9EllbEEZZNS1_14partition_implILS5_9ELb0ES3_jPlS8_PNS0_10empty_typeENS0_5tupleIJS8_S9_EEENSB_IJS8_SA_EEENS0_18inequality_wrapperIZN2at6native12_GLOBAL__N_124unique_dim_cuda_templateItEESt5tupleIJNSF_6TensorESK_SK_EERKSK_lbbbEUlllE0_EEPmJS9_EEE10hipError_tPvRmT3_T4_T5_T6_T7_T9_mT8_P12ihipStream_tbDpT10_ENKUlT_T0_E_clISt17integral_constantIbLb0EES1A_EEDaS15_S16_EUlS15_E_NS1_11comp_targetILNS1_3genE0ELNS1_11target_archE4294967295ELNS1_3gpuE0ELNS1_3repE0EEENS1_30default_config_static_selectorELNS0_4arch9wavefront6targetE1EEEvT1_
    .private_segment_fixed_size: 0
    .sgpr_count:     6
    .sgpr_spill_count: 0
    .symbol:         _ZN7rocprim17ROCPRIM_400000_NS6detail17trampoline_kernelINS0_14default_configENS1_25partition_config_selectorILNS1_17partition_subalgoE9EllbEEZZNS1_14partition_implILS5_9ELb0ES3_jPlS8_PNS0_10empty_typeENS0_5tupleIJS8_S9_EEENSB_IJS8_SA_EEENS0_18inequality_wrapperIZN2at6native12_GLOBAL__N_124unique_dim_cuda_templateItEESt5tupleIJNSF_6TensorESK_SK_EERKSK_lbbbEUlllE0_EEPmJS9_EEE10hipError_tPvRmT3_T4_T5_T6_T7_T9_mT8_P12ihipStream_tbDpT10_ENKUlT_T0_E_clISt17integral_constantIbLb0EES1A_EEDaS15_S16_EUlS15_E_NS1_11comp_targetILNS1_3genE0ELNS1_11target_archE4294967295ELNS1_3gpuE0ELNS1_3repE0EEENS1_30default_config_static_selectorELNS0_4arch9wavefront6targetE1EEEvT1_.kd
    .uniform_work_group_size: 1
    .uses_dynamic_stack: false
    .vgpr_count:     0
    .vgpr_spill_count: 0
    .wavefront_size: 64
  - .agpr_count:     0
    .args:
      - .offset:         0
        .size:           120
        .value_kind:     by_value
    .group_segment_fixed_size: 28684
    .kernarg_segment_align: 8
    .kernarg_segment_size: 120
    .language:       OpenCL C
    .language_version:
      - 2
      - 0
    .max_flat_workgroup_size: 512
    .name:           _ZN7rocprim17ROCPRIM_400000_NS6detail17trampoline_kernelINS0_14default_configENS1_25partition_config_selectorILNS1_17partition_subalgoE9EllbEEZZNS1_14partition_implILS5_9ELb0ES3_jPlS8_PNS0_10empty_typeENS0_5tupleIJS8_S9_EEENSB_IJS8_SA_EEENS0_18inequality_wrapperIZN2at6native12_GLOBAL__N_124unique_dim_cuda_templateItEESt5tupleIJNSF_6TensorESK_SK_EERKSK_lbbbEUlllE0_EEPmJS9_EEE10hipError_tPvRmT3_T4_T5_T6_T7_T9_mT8_P12ihipStream_tbDpT10_ENKUlT_T0_E_clISt17integral_constantIbLb0EES1A_EEDaS15_S16_EUlS15_E_NS1_11comp_targetILNS1_3genE5ELNS1_11target_archE942ELNS1_3gpuE9ELNS1_3repE0EEENS1_30default_config_static_selectorELNS0_4arch9wavefront6targetE1EEEvT1_
    .private_segment_fixed_size: 0
    .sgpr_count:     58
    .sgpr_spill_count: 0
    .symbol:         _ZN7rocprim17ROCPRIM_400000_NS6detail17trampoline_kernelINS0_14default_configENS1_25partition_config_selectorILNS1_17partition_subalgoE9EllbEEZZNS1_14partition_implILS5_9ELb0ES3_jPlS8_PNS0_10empty_typeENS0_5tupleIJS8_S9_EEENSB_IJS8_SA_EEENS0_18inequality_wrapperIZN2at6native12_GLOBAL__N_124unique_dim_cuda_templateItEESt5tupleIJNSF_6TensorESK_SK_EERKSK_lbbbEUlllE0_EEPmJS9_EEE10hipError_tPvRmT3_T4_T5_T6_T7_T9_mT8_P12ihipStream_tbDpT10_ENKUlT_T0_E_clISt17integral_constantIbLb0EES1A_EEDaS15_S16_EUlS15_E_NS1_11comp_targetILNS1_3genE5ELNS1_11target_archE942ELNS1_3gpuE9ELNS1_3repE0EEENS1_30default_config_static_selectorELNS0_4arch9wavefront6targetE1EEEvT1_.kd
    .uniform_work_group_size: 1
    .uses_dynamic_stack: false
    .vgpr_count:     66
    .vgpr_spill_count: 0
    .wavefront_size: 64
  - .agpr_count:     0
    .args:
      - .offset:         0
        .size:           120
        .value_kind:     by_value
    .group_segment_fixed_size: 0
    .kernarg_segment_align: 8
    .kernarg_segment_size: 120
    .language:       OpenCL C
    .language_version:
      - 2
      - 0
    .max_flat_workgroup_size: 128
    .name:           _ZN7rocprim17ROCPRIM_400000_NS6detail17trampoline_kernelINS0_14default_configENS1_25partition_config_selectorILNS1_17partition_subalgoE9EllbEEZZNS1_14partition_implILS5_9ELb0ES3_jPlS8_PNS0_10empty_typeENS0_5tupleIJS8_S9_EEENSB_IJS8_SA_EEENS0_18inequality_wrapperIZN2at6native12_GLOBAL__N_124unique_dim_cuda_templateItEESt5tupleIJNSF_6TensorESK_SK_EERKSK_lbbbEUlllE0_EEPmJS9_EEE10hipError_tPvRmT3_T4_T5_T6_T7_T9_mT8_P12ihipStream_tbDpT10_ENKUlT_T0_E_clISt17integral_constantIbLb0EES1A_EEDaS15_S16_EUlS15_E_NS1_11comp_targetILNS1_3genE4ELNS1_11target_archE910ELNS1_3gpuE8ELNS1_3repE0EEENS1_30default_config_static_selectorELNS0_4arch9wavefront6targetE1EEEvT1_
    .private_segment_fixed_size: 0
    .sgpr_count:     6
    .sgpr_spill_count: 0
    .symbol:         _ZN7rocprim17ROCPRIM_400000_NS6detail17trampoline_kernelINS0_14default_configENS1_25partition_config_selectorILNS1_17partition_subalgoE9EllbEEZZNS1_14partition_implILS5_9ELb0ES3_jPlS8_PNS0_10empty_typeENS0_5tupleIJS8_S9_EEENSB_IJS8_SA_EEENS0_18inequality_wrapperIZN2at6native12_GLOBAL__N_124unique_dim_cuda_templateItEESt5tupleIJNSF_6TensorESK_SK_EERKSK_lbbbEUlllE0_EEPmJS9_EEE10hipError_tPvRmT3_T4_T5_T6_T7_T9_mT8_P12ihipStream_tbDpT10_ENKUlT_T0_E_clISt17integral_constantIbLb0EES1A_EEDaS15_S16_EUlS15_E_NS1_11comp_targetILNS1_3genE4ELNS1_11target_archE910ELNS1_3gpuE8ELNS1_3repE0EEENS1_30default_config_static_selectorELNS0_4arch9wavefront6targetE1EEEvT1_.kd
    .uniform_work_group_size: 1
    .uses_dynamic_stack: false
    .vgpr_count:     0
    .vgpr_spill_count: 0
    .wavefront_size: 64
  - .agpr_count:     0
    .args:
      - .offset:         0
        .size:           120
        .value_kind:     by_value
    .group_segment_fixed_size: 0
    .kernarg_segment_align: 8
    .kernarg_segment_size: 120
    .language:       OpenCL C
    .language_version:
      - 2
      - 0
    .max_flat_workgroup_size: 128
    .name:           _ZN7rocprim17ROCPRIM_400000_NS6detail17trampoline_kernelINS0_14default_configENS1_25partition_config_selectorILNS1_17partition_subalgoE9EllbEEZZNS1_14partition_implILS5_9ELb0ES3_jPlS8_PNS0_10empty_typeENS0_5tupleIJS8_S9_EEENSB_IJS8_SA_EEENS0_18inequality_wrapperIZN2at6native12_GLOBAL__N_124unique_dim_cuda_templateItEESt5tupleIJNSF_6TensorESK_SK_EERKSK_lbbbEUlllE0_EEPmJS9_EEE10hipError_tPvRmT3_T4_T5_T6_T7_T9_mT8_P12ihipStream_tbDpT10_ENKUlT_T0_E_clISt17integral_constantIbLb0EES1A_EEDaS15_S16_EUlS15_E_NS1_11comp_targetILNS1_3genE3ELNS1_11target_archE908ELNS1_3gpuE7ELNS1_3repE0EEENS1_30default_config_static_selectorELNS0_4arch9wavefront6targetE1EEEvT1_
    .private_segment_fixed_size: 0
    .sgpr_count:     6
    .sgpr_spill_count: 0
    .symbol:         _ZN7rocprim17ROCPRIM_400000_NS6detail17trampoline_kernelINS0_14default_configENS1_25partition_config_selectorILNS1_17partition_subalgoE9EllbEEZZNS1_14partition_implILS5_9ELb0ES3_jPlS8_PNS0_10empty_typeENS0_5tupleIJS8_S9_EEENSB_IJS8_SA_EEENS0_18inequality_wrapperIZN2at6native12_GLOBAL__N_124unique_dim_cuda_templateItEESt5tupleIJNSF_6TensorESK_SK_EERKSK_lbbbEUlllE0_EEPmJS9_EEE10hipError_tPvRmT3_T4_T5_T6_T7_T9_mT8_P12ihipStream_tbDpT10_ENKUlT_T0_E_clISt17integral_constantIbLb0EES1A_EEDaS15_S16_EUlS15_E_NS1_11comp_targetILNS1_3genE3ELNS1_11target_archE908ELNS1_3gpuE7ELNS1_3repE0EEENS1_30default_config_static_selectorELNS0_4arch9wavefront6targetE1EEEvT1_.kd
    .uniform_work_group_size: 1
    .uses_dynamic_stack: false
    .vgpr_count:     0
    .vgpr_spill_count: 0
    .wavefront_size: 64
  - .agpr_count:     0
    .args:
      - .offset:         0
        .size:           120
        .value_kind:     by_value
    .group_segment_fixed_size: 0
    .kernarg_segment_align: 8
    .kernarg_segment_size: 120
    .language:       OpenCL C
    .language_version:
      - 2
      - 0
    .max_flat_workgroup_size: 192
    .name:           _ZN7rocprim17ROCPRIM_400000_NS6detail17trampoline_kernelINS0_14default_configENS1_25partition_config_selectorILNS1_17partition_subalgoE9EllbEEZZNS1_14partition_implILS5_9ELb0ES3_jPlS8_PNS0_10empty_typeENS0_5tupleIJS8_S9_EEENSB_IJS8_SA_EEENS0_18inequality_wrapperIZN2at6native12_GLOBAL__N_124unique_dim_cuda_templateItEESt5tupleIJNSF_6TensorESK_SK_EERKSK_lbbbEUlllE0_EEPmJS9_EEE10hipError_tPvRmT3_T4_T5_T6_T7_T9_mT8_P12ihipStream_tbDpT10_ENKUlT_T0_E_clISt17integral_constantIbLb0EES1A_EEDaS15_S16_EUlS15_E_NS1_11comp_targetILNS1_3genE2ELNS1_11target_archE906ELNS1_3gpuE6ELNS1_3repE0EEENS1_30default_config_static_selectorELNS0_4arch9wavefront6targetE1EEEvT1_
    .private_segment_fixed_size: 0
    .sgpr_count:     6
    .sgpr_spill_count: 0
    .symbol:         _ZN7rocprim17ROCPRIM_400000_NS6detail17trampoline_kernelINS0_14default_configENS1_25partition_config_selectorILNS1_17partition_subalgoE9EllbEEZZNS1_14partition_implILS5_9ELb0ES3_jPlS8_PNS0_10empty_typeENS0_5tupleIJS8_S9_EEENSB_IJS8_SA_EEENS0_18inequality_wrapperIZN2at6native12_GLOBAL__N_124unique_dim_cuda_templateItEESt5tupleIJNSF_6TensorESK_SK_EERKSK_lbbbEUlllE0_EEPmJS9_EEE10hipError_tPvRmT3_T4_T5_T6_T7_T9_mT8_P12ihipStream_tbDpT10_ENKUlT_T0_E_clISt17integral_constantIbLb0EES1A_EEDaS15_S16_EUlS15_E_NS1_11comp_targetILNS1_3genE2ELNS1_11target_archE906ELNS1_3gpuE6ELNS1_3repE0EEENS1_30default_config_static_selectorELNS0_4arch9wavefront6targetE1EEEvT1_.kd
    .uniform_work_group_size: 1
    .uses_dynamic_stack: false
    .vgpr_count:     0
    .vgpr_spill_count: 0
    .wavefront_size: 64
  - .agpr_count:     0
    .args:
      - .offset:         0
        .size:           120
        .value_kind:     by_value
    .group_segment_fixed_size: 0
    .kernarg_segment_align: 8
    .kernarg_segment_size: 120
    .language:       OpenCL C
    .language_version:
      - 2
      - 0
    .max_flat_workgroup_size: 384
    .name:           _ZN7rocprim17ROCPRIM_400000_NS6detail17trampoline_kernelINS0_14default_configENS1_25partition_config_selectorILNS1_17partition_subalgoE9EllbEEZZNS1_14partition_implILS5_9ELb0ES3_jPlS8_PNS0_10empty_typeENS0_5tupleIJS8_S9_EEENSB_IJS8_SA_EEENS0_18inequality_wrapperIZN2at6native12_GLOBAL__N_124unique_dim_cuda_templateItEESt5tupleIJNSF_6TensorESK_SK_EERKSK_lbbbEUlllE0_EEPmJS9_EEE10hipError_tPvRmT3_T4_T5_T6_T7_T9_mT8_P12ihipStream_tbDpT10_ENKUlT_T0_E_clISt17integral_constantIbLb0EES1A_EEDaS15_S16_EUlS15_E_NS1_11comp_targetILNS1_3genE10ELNS1_11target_archE1200ELNS1_3gpuE4ELNS1_3repE0EEENS1_30default_config_static_selectorELNS0_4arch9wavefront6targetE1EEEvT1_
    .private_segment_fixed_size: 0
    .sgpr_count:     6
    .sgpr_spill_count: 0
    .symbol:         _ZN7rocprim17ROCPRIM_400000_NS6detail17trampoline_kernelINS0_14default_configENS1_25partition_config_selectorILNS1_17partition_subalgoE9EllbEEZZNS1_14partition_implILS5_9ELb0ES3_jPlS8_PNS0_10empty_typeENS0_5tupleIJS8_S9_EEENSB_IJS8_SA_EEENS0_18inequality_wrapperIZN2at6native12_GLOBAL__N_124unique_dim_cuda_templateItEESt5tupleIJNSF_6TensorESK_SK_EERKSK_lbbbEUlllE0_EEPmJS9_EEE10hipError_tPvRmT3_T4_T5_T6_T7_T9_mT8_P12ihipStream_tbDpT10_ENKUlT_T0_E_clISt17integral_constantIbLb0EES1A_EEDaS15_S16_EUlS15_E_NS1_11comp_targetILNS1_3genE10ELNS1_11target_archE1200ELNS1_3gpuE4ELNS1_3repE0EEENS1_30default_config_static_selectorELNS0_4arch9wavefront6targetE1EEEvT1_.kd
    .uniform_work_group_size: 1
    .uses_dynamic_stack: false
    .vgpr_count:     0
    .vgpr_spill_count: 0
    .wavefront_size: 64
  - .agpr_count:     0
    .args:
      - .offset:         0
        .size:           120
        .value_kind:     by_value
    .group_segment_fixed_size: 0
    .kernarg_segment_align: 8
    .kernarg_segment_size: 120
    .language:       OpenCL C
    .language_version:
      - 2
      - 0
    .max_flat_workgroup_size: 512
    .name:           _ZN7rocprim17ROCPRIM_400000_NS6detail17trampoline_kernelINS0_14default_configENS1_25partition_config_selectorILNS1_17partition_subalgoE9EllbEEZZNS1_14partition_implILS5_9ELb0ES3_jPlS8_PNS0_10empty_typeENS0_5tupleIJS8_S9_EEENSB_IJS8_SA_EEENS0_18inequality_wrapperIZN2at6native12_GLOBAL__N_124unique_dim_cuda_templateItEESt5tupleIJNSF_6TensorESK_SK_EERKSK_lbbbEUlllE0_EEPmJS9_EEE10hipError_tPvRmT3_T4_T5_T6_T7_T9_mT8_P12ihipStream_tbDpT10_ENKUlT_T0_E_clISt17integral_constantIbLb0EES1A_EEDaS15_S16_EUlS15_E_NS1_11comp_targetILNS1_3genE9ELNS1_11target_archE1100ELNS1_3gpuE3ELNS1_3repE0EEENS1_30default_config_static_selectorELNS0_4arch9wavefront6targetE1EEEvT1_
    .private_segment_fixed_size: 0
    .sgpr_count:     6
    .sgpr_spill_count: 0
    .symbol:         _ZN7rocprim17ROCPRIM_400000_NS6detail17trampoline_kernelINS0_14default_configENS1_25partition_config_selectorILNS1_17partition_subalgoE9EllbEEZZNS1_14partition_implILS5_9ELb0ES3_jPlS8_PNS0_10empty_typeENS0_5tupleIJS8_S9_EEENSB_IJS8_SA_EEENS0_18inequality_wrapperIZN2at6native12_GLOBAL__N_124unique_dim_cuda_templateItEESt5tupleIJNSF_6TensorESK_SK_EERKSK_lbbbEUlllE0_EEPmJS9_EEE10hipError_tPvRmT3_T4_T5_T6_T7_T9_mT8_P12ihipStream_tbDpT10_ENKUlT_T0_E_clISt17integral_constantIbLb0EES1A_EEDaS15_S16_EUlS15_E_NS1_11comp_targetILNS1_3genE9ELNS1_11target_archE1100ELNS1_3gpuE3ELNS1_3repE0EEENS1_30default_config_static_selectorELNS0_4arch9wavefront6targetE1EEEvT1_.kd
    .uniform_work_group_size: 1
    .uses_dynamic_stack: false
    .vgpr_count:     0
    .vgpr_spill_count: 0
    .wavefront_size: 64
  - .agpr_count:     0
    .args:
      - .offset:         0
        .size:           120
        .value_kind:     by_value
    .group_segment_fixed_size: 0
    .kernarg_segment_align: 8
    .kernarg_segment_size: 120
    .language:       OpenCL C
    .language_version:
      - 2
      - 0
    .max_flat_workgroup_size: 512
    .name:           _ZN7rocprim17ROCPRIM_400000_NS6detail17trampoline_kernelINS0_14default_configENS1_25partition_config_selectorILNS1_17partition_subalgoE9EllbEEZZNS1_14partition_implILS5_9ELb0ES3_jPlS8_PNS0_10empty_typeENS0_5tupleIJS8_S9_EEENSB_IJS8_SA_EEENS0_18inequality_wrapperIZN2at6native12_GLOBAL__N_124unique_dim_cuda_templateItEESt5tupleIJNSF_6TensorESK_SK_EERKSK_lbbbEUlllE0_EEPmJS9_EEE10hipError_tPvRmT3_T4_T5_T6_T7_T9_mT8_P12ihipStream_tbDpT10_ENKUlT_T0_E_clISt17integral_constantIbLb0EES1A_EEDaS15_S16_EUlS15_E_NS1_11comp_targetILNS1_3genE8ELNS1_11target_archE1030ELNS1_3gpuE2ELNS1_3repE0EEENS1_30default_config_static_selectorELNS0_4arch9wavefront6targetE1EEEvT1_
    .private_segment_fixed_size: 0
    .sgpr_count:     6
    .sgpr_spill_count: 0
    .symbol:         _ZN7rocprim17ROCPRIM_400000_NS6detail17trampoline_kernelINS0_14default_configENS1_25partition_config_selectorILNS1_17partition_subalgoE9EllbEEZZNS1_14partition_implILS5_9ELb0ES3_jPlS8_PNS0_10empty_typeENS0_5tupleIJS8_S9_EEENSB_IJS8_SA_EEENS0_18inequality_wrapperIZN2at6native12_GLOBAL__N_124unique_dim_cuda_templateItEESt5tupleIJNSF_6TensorESK_SK_EERKSK_lbbbEUlllE0_EEPmJS9_EEE10hipError_tPvRmT3_T4_T5_T6_T7_T9_mT8_P12ihipStream_tbDpT10_ENKUlT_T0_E_clISt17integral_constantIbLb0EES1A_EEDaS15_S16_EUlS15_E_NS1_11comp_targetILNS1_3genE8ELNS1_11target_archE1030ELNS1_3gpuE2ELNS1_3repE0EEENS1_30default_config_static_selectorELNS0_4arch9wavefront6targetE1EEEvT1_.kd
    .uniform_work_group_size: 1
    .uses_dynamic_stack: false
    .vgpr_count:     0
    .vgpr_spill_count: 0
    .wavefront_size: 64
  - .agpr_count:     0
    .args:
      - .offset:         0
        .size:           136
        .value_kind:     by_value
    .group_segment_fixed_size: 0
    .kernarg_segment_align: 8
    .kernarg_segment_size: 136
    .language:       OpenCL C
    .language_version:
      - 2
      - 0
    .max_flat_workgroup_size: 128
    .name:           _ZN7rocprim17ROCPRIM_400000_NS6detail17trampoline_kernelINS0_14default_configENS1_25partition_config_selectorILNS1_17partition_subalgoE9EllbEEZZNS1_14partition_implILS5_9ELb0ES3_jPlS8_PNS0_10empty_typeENS0_5tupleIJS8_S9_EEENSB_IJS8_SA_EEENS0_18inequality_wrapperIZN2at6native12_GLOBAL__N_124unique_dim_cuda_templateItEESt5tupleIJNSF_6TensorESK_SK_EERKSK_lbbbEUlllE0_EEPmJS9_EEE10hipError_tPvRmT3_T4_T5_T6_T7_T9_mT8_P12ihipStream_tbDpT10_ENKUlT_T0_E_clISt17integral_constantIbLb1EES1A_EEDaS15_S16_EUlS15_E_NS1_11comp_targetILNS1_3genE0ELNS1_11target_archE4294967295ELNS1_3gpuE0ELNS1_3repE0EEENS1_30default_config_static_selectorELNS0_4arch9wavefront6targetE1EEEvT1_
    .private_segment_fixed_size: 0
    .sgpr_count:     6
    .sgpr_spill_count: 0
    .symbol:         _ZN7rocprim17ROCPRIM_400000_NS6detail17trampoline_kernelINS0_14default_configENS1_25partition_config_selectorILNS1_17partition_subalgoE9EllbEEZZNS1_14partition_implILS5_9ELb0ES3_jPlS8_PNS0_10empty_typeENS0_5tupleIJS8_S9_EEENSB_IJS8_SA_EEENS0_18inequality_wrapperIZN2at6native12_GLOBAL__N_124unique_dim_cuda_templateItEESt5tupleIJNSF_6TensorESK_SK_EERKSK_lbbbEUlllE0_EEPmJS9_EEE10hipError_tPvRmT3_T4_T5_T6_T7_T9_mT8_P12ihipStream_tbDpT10_ENKUlT_T0_E_clISt17integral_constantIbLb1EES1A_EEDaS15_S16_EUlS15_E_NS1_11comp_targetILNS1_3genE0ELNS1_11target_archE4294967295ELNS1_3gpuE0ELNS1_3repE0EEENS1_30default_config_static_selectorELNS0_4arch9wavefront6targetE1EEEvT1_.kd
    .uniform_work_group_size: 1
    .uses_dynamic_stack: false
    .vgpr_count:     0
    .vgpr_spill_count: 0
    .wavefront_size: 64
  - .agpr_count:     0
    .args:
      - .offset:         0
        .size:           136
        .value_kind:     by_value
    .group_segment_fixed_size: 28684
    .kernarg_segment_align: 8
    .kernarg_segment_size: 136
    .language:       OpenCL C
    .language_version:
      - 2
      - 0
    .max_flat_workgroup_size: 512
    .name:           _ZN7rocprim17ROCPRIM_400000_NS6detail17trampoline_kernelINS0_14default_configENS1_25partition_config_selectorILNS1_17partition_subalgoE9EllbEEZZNS1_14partition_implILS5_9ELb0ES3_jPlS8_PNS0_10empty_typeENS0_5tupleIJS8_S9_EEENSB_IJS8_SA_EEENS0_18inequality_wrapperIZN2at6native12_GLOBAL__N_124unique_dim_cuda_templateItEESt5tupleIJNSF_6TensorESK_SK_EERKSK_lbbbEUlllE0_EEPmJS9_EEE10hipError_tPvRmT3_T4_T5_T6_T7_T9_mT8_P12ihipStream_tbDpT10_ENKUlT_T0_E_clISt17integral_constantIbLb1EES1A_EEDaS15_S16_EUlS15_E_NS1_11comp_targetILNS1_3genE5ELNS1_11target_archE942ELNS1_3gpuE9ELNS1_3repE0EEENS1_30default_config_static_selectorELNS0_4arch9wavefront6targetE1EEEvT1_
    .private_segment_fixed_size: 0
    .sgpr_count:     64
    .sgpr_spill_count: 0
    .symbol:         _ZN7rocprim17ROCPRIM_400000_NS6detail17trampoline_kernelINS0_14default_configENS1_25partition_config_selectorILNS1_17partition_subalgoE9EllbEEZZNS1_14partition_implILS5_9ELb0ES3_jPlS8_PNS0_10empty_typeENS0_5tupleIJS8_S9_EEENSB_IJS8_SA_EEENS0_18inequality_wrapperIZN2at6native12_GLOBAL__N_124unique_dim_cuda_templateItEESt5tupleIJNSF_6TensorESK_SK_EERKSK_lbbbEUlllE0_EEPmJS9_EEE10hipError_tPvRmT3_T4_T5_T6_T7_T9_mT8_P12ihipStream_tbDpT10_ENKUlT_T0_E_clISt17integral_constantIbLb1EES1A_EEDaS15_S16_EUlS15_E_NS1_11comp_targetILNS1_3genE5ELNS1_11target_archE942ELNS1_3gpuE9ELNS1_3repE0EEENS1_30default_config_static_selectorELNS0_4arch9wavefront6targetE1EEEvT1_.kd
    .uniform_work_group_size: 1
    .uses_dynamic_stack: false
    .vgpr_count:     66
    .vgpr_spill_count: 0
    .wavefront_size: 64
  - .agpr_count:     0
    .args:
      - .offset:         0
        .size:           136
        .value_kind:     by_value
    .group_segment_fixed_size: 0
    .kernarg_segment_align: 8
    .kernarg_segment_size: 136
    .language:       OpenCL C
    .language_version:
      - 2
      - 0
    .max_flat_workgroup_size: 128
    .name:           _ZN7rocprim17ROCPRIM_400000_NS6detail17trampoline_kernelINS0_14default_configENS1_25partition_config_selectorILNS1_17partition_subalgoE9EllbEEZZNS1_14partition_implILS5_9ELb0ES3_jPlS8_PNS0_10empty_typeENS0_5tupleIJS8_S9_EEENSB_IJS8_SA_EEENS0_18inequality_wrapperIZN2at6native12_GLOBAL__N_124unique_dim_cuda_templateItEESt5tupleIJNSF_6TensorESK_SK_EERKSK_lbbbEUlllE0_EEPmJS9_EEE10hipError_tPvRmT3_T4_T5_T6_T7_T9_mT8_P12ihipStream_tbDpT10_ENKUlT_T0_E_clISt17integral_constantIbLb1EES1A_EEDaS15_S16_EUlS15_E_NS1_11comp_targetILNS1_3genE4ELNS1_11target_archE910ELNS1_3gpuE8ELNS1_3repE0EEENS1_30default_config_static_selectorELNS0_4arch9wavefront6targetE1EEEvT1_
    .private_segment_fixed_size: 0
    .sgpr_count:     6
    .sgpr_spill_count: 0
    .symbol:         _ZN7rocprim17ROCPRIM_400000_NS6detail17trampoline_kernelINS0_14default_configENS1_25partition_config_selectorILNS1_17partition_subalgoE9EllbEEZZNS1_14partition_implILS5_9ELb0ES3_jPlS8_PNS0_10empty_typeENS0_5tupleIJS8_S9_EEENSB_IJS8_SA_EEENS0_18inequality_wrapperIZN2at6native12_GLOBAL__N_124unique_dim_cuda_templateItEESt5tupleIJNSF_6TensorESK_SK_EERKSK_lbbbEUlllE0_EEPmJS9_EEE10hipError_tPvRmT3_T4_T5_T6_T7_T9_mT8_P12ihipStream_tbDpT10_ENKUlT_T0_E_clISt17integral_constantIbLb1EES1A_EEDaS15_S16_EUlS15_E_NS1_11comp_targetILNS1_3genE4ELNS1_11target_archE910ELNS1_3gpuE8ELNS1_3repE0EEENS1_30default_config_static_selectorELNS0_4arch9wavefront6targetE1EEEvT1_.kd
    .uniform_work_group_size: 1
    .uses_dynamic_stack: false
    .vgpr_count:     0
    .vgpr_spill_count: 0
    .wavefront_size: 64
  - .agpr_count:     0
    .args:
      - .offset:         0
        .size:           136
        .value_kind:     by_value
    .group_segment_fixed_size: 0
    .kernarg_segment_align: 8
    .kernarg_segment_size: 136
    .language:       OpenCL C
    .language_version:
      - 2
      - 0
    .max_flat_workgroup_size: 128
    .name:           _ZN7rocprim17ROCPRIM_400000_NS6detail17trampoline_kernelINS0_14default_configENS1_25partition_config_selectorILNS1_17partition_subalgoE9EllbEEZZNS1_14partition_implILS5_9ELb0ES3_jPlS8_PNS0_10empty_typeENS0_5tupleIJS8_S9_EEENSB_IJS8_SA_EEENS0_18inequality_wrapperIZN2at6native12_GLOBAL__N_124unique_dim_cuda_templateItEESt5tupleIJNSF_6TensorESK_SK_EERKSK_lbbbEUlllE0_EEPmJS9_EEE10hipError_tPvRmT3_T4_T5_T6_T7_T9_mT8_P12ihipStream_tbDpT10_ENKUlT_T0_E_clISt17integral_constantIbLb1EES1A_EEDaS15_S16_EUlS15_E_NS1_11comp_targetILNS1_3genE3ELNS1_11target_archE908ELNS1_3gpuE7ELNS1_3repE0EEENS1_30default_config_static_selectorELNS0_4arch9wavefront6targetE1EEEvT1_
    .private_segment_fixed_size: 0
    .sgpr_count:     6
    .sgpr_spill_count: 0
    .symbol:         _ZN7rocprim17ROCPRIM_400000_NS6detail17trampoline_kernelINS0_14default_configENS1_25partition_config_selectorILNS1_17partition_subalgoE9EllbEEZZNS1_14partition_implILS5_9ELb0ES3_jPlS8_PNS0_10empty_typeENS0_5tupleIJS8_S9_EEENSB_IJS8_SA_EEENS0_18inequality_wrapperIZN2at6native12_GLOBAL__N_124unique_dim_cuda_templateItEESt5tupleIJNSF_6TensorESK_SK_EERKSK_lbbbEUlllE0_EEPmJS9_EEE10hipError_tPvRmT3_T4_T5_T6_T7_T9_mT8_P12ihipStream_tbDpT10_ENKUlT_T0_E_clISt17integral_constantIbLb1EES1A_EEDaS15_S16_EUlS15_E_NS1_11comp_targetILNS1_3genE3ELNS1_11target_archE908ELNS1_3gpuE7ELNS1_3repE0EEENS1_30default_config_static_selectorELNS0_4arch9wavefront6targetE1EEEvT1_.kd
    .uniform_work_group_size: 1
    .uses_dynamic_stack: false
    .vgpr_count:     0
    .vgpr_spill_count: 0
    .wavefront_size: 64
  - .agpr_count:     0
    .args:
      - .offset:         0
        .size:           136
        .value_kind:     by_value
    .group_segment_fixed_size: 0
    .kernarg_segment_align: 8
    .kernarg_segment_size: 136
    .language:       OpenCL C
    .language_version:
      - 2
      - 0
    .max_flat_workgroup_size: 192
    .name:           _ZN7rocprim17ROCPRIM_400000_NS6detail17trampoline_kernelINS0_14default_configENS1_25partition_config_selectorILNS1_17partition_subalgoE9EllbEEZZNS1_14partition_implILS5_9ELb0ES3_jPlS8_PNS0_10empty_typeENS0_5tupleIJS8_S9_EEENSB_IJS8_SA_EEENS0_18inequality_wrapperIZN2at6native12_GLOBAL__N_124unique_dim_cuda_templateItEESt5tupleIJNSF_6TensorESK_SK_EERKSK_lbbbEUlllE0_EEPmJS9_EEE10hipError_tPvRmT3_T4_T5_T6_T7_T9_mT8_P12ihipStream_tbDpT10_ENKUlT_T0_E_clISt17integral_constantIbLb1EES1A_EEDaS15_S16_EUlS15_E_NS1_11comp_targetILNS1_3genE2ELNS1_11target_archE906ELNS1_3gpuE6ELNS1_3repE0EEENS1_30default_config_static_selectorELNS0_4arch9wavefront6targetE1EEEvT1_
    .private_segment_fixed_size: 0
    .sgpr_count:     6
    .sgpr_spill_count: 0
    .symbol:         _ZN7rocprim17ROCPRIM_400000_NS6detail17trampoline_kernelINS0_14default_configENS1_25partition_config_selectorILNS1_17partition_subalgoE9EllbEEZZNS1_14partition_implILS5_9ELb0ES3_jPlS8_PNS0_10empty_typeENS0_5tupleIJS8_S9_EEENSB_IJS8_SA_EEENS0_18inequality_wrapperIZN2at6native12_GLOBAL__N_124unique_dim_cuda_templateItEESt5tupleIJNSF_6TensorESK_SK_EERKSK_lbbbEUlllE0_EEPmJS9_EEE10hipError_tPvRmT3_T4_T5_T6_T7_T9_mT8_P12ihipStream_tbDpT10_ENKUlT_T0_E_clISt17integral_constantIbLb1EES1A_EEDaS15_S16_EUlS15_E_NS1_11comp_targetILNS1_3genE2ELNS1_11target_archE906ELNS1_3gpuE6ELNS1_3repE0EEENS1_30default_config_static_selectorELNS0_4arch9wavefront6targetE1EEEvT1_.kd
    .uniform_work_group_size: 1
    .uses_dynamic_stack: false
    .vgpr_count:     0
    .vgpr_spill_count: 0
    .wavefront_size: 64
  - .agpr_count:     0
    .args:
      - .offset:         0
        .size:           136
        .value_kind:     by_value
    .group_segment_fixed_size: 0
    .kernarg_segment_align: 8
    .kernarg_segment_size: 136
    .language:       OpenCL C
    .language_version:
      - 2
      - 0
    .max_flat_workgroup_size: 384
    .name:           _ZN7rocprim17ROCPRIM_400000_NS6detail17trampoline_kernelINS0_14default_configENS1_25partition_config_selectorILNS1_17partition_subalgoE9EllbEEZZNS1_14partition_implILS5_9ELb0ES3_jPlS8_PNS0_10empty_typeENS0_5tupleIJS8_S9_EEENSB_IJS8_SA_EEENS0_18inequality_wrapperIZN2at6native12_GLOBAL__N_124unique_dim_cuda_templateItEESt5tupleIJNSF_6TensorESK_SK_EERKSK_lbbbEUlllE0_EEPmJS9_EEE10hipError_tPvRmT3_T4_T5_T6_T7_T9_mT8_P12ihipStream_tbDpT10_ENKUlT_T0_E_clISt17integral_constantIbLb1EES1A_EEDaS15_S16_EUlS15_E_NS1_11comp_targetILNS1_3genE10ELNS1_11target_archE1200ELNS1_3gpuE4ELNS1_3repE0EEENS1_30default_config_static_selectorELNS0_4arch9wavefront6targetE1EEEvT1_
    .private_segment_fixed_size: 0
    .sgpr_count:     6
    .sgpr_spill_count: 0
    .symbol:         _ZN7rocprim17ROCPRIM_400000_NS6detail17trampoline_kernelINS0_14default_configENS1_25partition_config_selectorILNS1_17partition_subalgoE9EllbEEZZNS1_14partition_implILS5_9ELb0ES3_jPlS8_PNS0_10empty_typeENS0_5tupleIJS8_S9_EEENSB_IJS8_SA_EEENS0_18inequality_wrapperIZN2at6native12_GLOBAL__N_124unique_dim_cuda_templateItEESt5tupleIJNSF_6TensorESK_SK_EERKSK_lbbbEUlllE0_EEPmJS9_EEE10hipError_tPvRmT3_T4_T5_T6_T7_T9_mT8_P12ihipStream_tbDpT10_ENKUlT_T0_E_clISt17integral_constantIbLb1EES1A_EEDaS15_S16_EUlS15_E_NS1_11comp_targetILNS1_3genE10ELNS1_11target_archE1200ELNS1_3gpuE4ELNS1_3repE0EEENS1_30default_config_static_selectorELNS0_4arch9wavefront6targetE1EEEvT1_.kd
    .uniform_work_group_size: 1
    .uses_dynamic_stack: false
    .vgpr_count:     0
    .vgpr_spill_count: 0
    .wavefront_size: 64
  - .agpr_count:     0
    .args:
      - .offset:         0
        .size:           136
        .value_kind:     by_value
    .group_segment_fixed_size: 0
    .kernarg_segment_align: 8
    .kernarg_segment_size: 136
    .language:       OpenCL C
    .language_version:
      - 2
      - 0
    .max_flat_workgroup_size: 512
    .name:           _ZN7rocprim17ROCPRIM_400000_NS6detail17trampoline_kernelINS0_14default_configENS1_25partition_config_selectorILNS1_17partition_subalgoE9EllbEEZZNS1_14partition_implILS5_9ELb0ES3_jPlS8_PNS0_10empty_typeENS0_5tupleIJS8_S9_EEENSB_IJS8_SA_EEENS0_18inequality_wrapperIZN2at6native12_GLOBAL__N_124unique_dim_cuda_templateItEESt5tupleIJNSF_6TensorESK_SK_EERKSK_lbbbEUlllE0_EEPmJS9_EEE10hipError_tPvRmT3_T4_T5_T6_T7_T9_mT8_P12ihipStream_tbDpT10_ENKUlT_T0_E_clISt17integral_constantIbLb1EES1A_EEDaS15_S16_EUlS15_E_NS1_11comp_targetILNS1_3genE9ELNS1_11target_archE1100ELNS1_3gpuE3ELNS1_3repE0EEENS1_30default_config_static_selectorELNS0_4arch9wavefront6targetE1EEEvT1_
    .private_segment_fixed_size: 0
    .sgpr_count:     6
    .sgpr_spill_count: 0
    .symbol:         _ZN7rocprim17ROCPRIM_400000_NS6detail17trampoline_kernelINS0_14default_configENS1_25partition_config_selectorILNS1_17partition_subalgoE9EllbEEZZNS1_14partition_implILS5_9ELb0ES3_jPlS8_PNS0_10empty_typeENS0_5tupleIJS8_S9_EEENSB_IJS8_SA_EEENS0_18inequality_wrapperIZN2at6native12_GLOBAL__N_124unique_dim_cuda_templateItEESt5tupleIJNSF_6TensorESK_SK_EERKSK_lbbbEUlllE0_EEPmJS9_EEE10hipError_tPvRmT3_T4_T5_T6_T7_T9_mT8_P12ihipStream_tbDpT10_ENKUlT_T0_E_clISt17integral_constantIbLb1EES1A_EEDaS15_S16_EUlS15_E_NS1_11comp_targetILNS1_3genE9ELNS1_11target_archE1100ELNS1_3gpuE3ELNS1_3repE0EEENS1_30default_config_static_selectorELNS0_4arch9wavefront6targetE1EEEvT1_.kd
    .uniform_work_group_size: 1
    .uses_dynamic_stack: false
    .vgpr_count:     0
    .vgpr_spill_count: 0
    .wavefront_size: 64
  - .agpr_count:     0
    .args:
      - .offset:         0
        .size:           136
        .value_kind:     by_value
    .group_segment_fixed_size: 0
    .kernarg_segment_align: 8
    .kernarg_segment_size: 136
    .language:       OpenCL C
    .language_version:
      - 2
      - 0
    .max_flat_workgroup_size: 512
    .name:           _ZN7rocprim17ROCPRIM_400000_NS6detail17trampoline_kernelINS0_14default_configENS1_25partition_config_selectorILNS1_17partition_subalgoE9EllbEEZZNS1_14partition_implILS5_9ELb0ES3_jPlS8_PNS0_10empty_typeENS0_5tupleIJS8_S9_EEENSB_IJS8_SA_EEENS0_18inequality_wrapperIZN2at6native12_GLOBAL__N_124unique_dim_cuda_templateItEESt5tupleIJNSF_6TensorESK_SK_EERKSK_lbbbEUlllE0_EEPmJS9_EEE10hipError_tPvRmT3_T4_T5_T6_T7_T9_mT8_P12ihipStream_tbDpT10_ENKUlT_T0_E_clISt17integral_constantIbLb1EES1A_EEDaS15_S16_EUlS15_E_NS1_11comp_targetILNS1_3genE8ELNS1_11target_archE1030ELNS1_3gpuE2ELNS1_3repE0EEENS1_30default_config_static_selectorELNS0_4arch9wavefront6targetE1EEEvT1_
    .private_segment_fixed_size: 0
    .sgpr_count:     6
    .sgpr_spill_count: 0
    .symbol:         _ZN7rocprim17ROCPRIM_400000_NS6detail17trampoline_kernelINS0_14default_configENS1_25partition_config_selectorILNS1_17partition_subalgoE9EllbEEZZNS1_14partition_implILS5_9ELb0ES3_jPlS8_PNS0_10empty_typeENS0_5tupleIJS8_S9_EEENSB_IJS8_SA_EEENS0_18inequality_wrapperIZN2at6native12_GLOBAL__N_124unique_dim_cuda_templateItEESt5tupleIJNSF_6TensorESK_SK_EERKSK_lbbbEUlllE0_EEPmJS9_EEE10hipError_tPvRmT3_T4_T5_T6_T7_T9_mT8_P12ihipStream_tbDpT10_ENKUlT_T0_E_clISt17integral_constantIbLb1EES1A_EEDaS15_S16_EUlS15_E_NS1_11comp_targetILNS1_3genE8ELNS1_11target_archE1030ELNS1_3gpuE2ELNS1_3repE0EEENS1_30default_config_static_selectorELNS0_4arch9wavefront6targetE1EEEvT1_.kd
    .uniform_work_group_size: 1
    .uses_dynamic_stack: false
    .vgpr_count:     0
    .vgpr_spill_count: 0
    .wavefront_size: 64
  - .agpr_count:     0
    .args:
      - .offset:         0
        .size:           120
        .value_kind:     by_value
    .group_segment_fixed_size: 0
    .kernarg_segment_align: 8
    .kernarg_segment_size: 120
    .language:       OpenCL C
    .language_version:
      - 2
      - 0
    .max_flat_workgroup_size: 128
    .name:           _ZN7rocprim17ROCPRIM_400000_NS6detail17trampoline_kernelINS0_14default_configENS1_25partition_config_selectorILNS1_17partition_subalgoE9EllbEEZZNS1_14partition_implILS5_9ELb0ES3_jPlS8_PNS0_10empty_typeENS0_5tupleIJS8_S9_EEENSB_IJS8_SA_EEENS0_18inequality_wrapperIZN2at6native12_GLOBAL__N_124unique_dim_cuda_templateItEESt5tupleIJNSF_6TensorESK_SK_EERKSK_lbbbEUlllE0_EEPmJS9_EEE10hipError_tPvRmT3_T4_T5_T6_T7_T9_mT8_P12ihipStream_tbDpT10_ENKUlT_T0_E_clISt17integral_constantIbLb1EES19_IbLb0EEEEDaS15_S16_EUlS15_E_NS1_11comp_targetILNS1_3genE0ELNS1_11target_archE4294967295ELNS1_3gpuE0ELNS1_3repE0EEENS1_30default_config_static_selectorELNS0_4arch9wavefront6targetE1EEEvT1_
    .private_segment_fixed_size: 0
    .sgpr_count:     6
    .sgpr_spill_count: 0
    .symbol:         _ZN7rocprim17ROCPRIM_400000_NS6detail17trampoline_kernelINS0_14default_configENS1_25partition_config_selectorILNS1_17partition_subalgoE9EllbEEZZNS1_14partition_implILS5_9ELb0ES3_jPlS8_PNS0_10empty_typeENS0_5tupleIJS8_S9_EEENSB_IJS8_SA_EEENS0_18inequality_wrapperIZN2at6native12_GLOBAL__N_124unique_dim_cuda_templateItEESt5tupleIJNSF_6TensorESK_SK_EERKSK_lbbbEUlllE0_EEPmJS9_EEE10hipError_tPvRmT3_T4_T5_T6_T7_T9_mT8_P12ihipStream_tbDpT10_ENKUlT_T0_E_clISt17integral_constantIbLb1EES19_IbLb0EEEEDaS15_S16_EUlS15_E_NS1_11comp_targetILNS1_3genE0ELNS1_11target_archE4294967295ELNS1_3gpuE0ELNS1_3repE0EEENS1_30default_config_static_selectorELNS0_4arch9wavefront6targetE1EEEvT1_.kd
    .uniform_work_group_size: 1
    .uses_dynamic_stack: false
    .vgpr_count:     0
    .vgpr_spill_count: 0
    .wavefront_size: 64
  - .agpr_count:     0
    .args:
      - .offset:         0
        .size:           120
        .value_kind:     by_value
    .group_segment_fixed_size: 28684
    .kernarg_segment_align: 8
    .kernarg_segment_size: 120
    .language:       OpenCL C
    .language_version:
      - 2
      - 0
    .max_flat_workgroup_size: 512
    .name:           _ZN7rocprim17ROCPRIM_400000_NS6detail17trampoline_kernelINS0_14default_configENS1_25partition_config_selectorILNS1_17partition_subalgoE9EllbEEZZNS1_14partition_implILS5_9ELb0ES3_jPlS8_PNS0_10empty_typeENS0_5tupleIJS8_S9_EEENSB_IJS8_SA_EEENS0_18inequality_wrapperIZN2at6native12_GLOBAL__N_124unique_dim_cuda_templateItEESt5tupleIJNSF_6TensorESK_SK_EERKSK_lbbbEUlllE0_EEPmJS9_EEE10hipError_tPvRmT3_T4_T5_T6_T7_T9_mT8_P12ihipStream_tbDpT10_ENKUlT_T0_E_clISt17integral_constantIbLb1EES19_IbLb0EEEEDaS15_S16_EUlS15_E_NS1_11comp_targetILNS1_3genE5ELNS1_11target_archE942ELNS1_3gpuE9ELNS1_3repE0EEENS1_30default_config_static_selectorELNS0_4arch9wavefront6targetE1EEEvT1_
    .private_segment_fixed_size: 0
    .sgpr_count:     58
    .sgpr_spill_count: 0
    .symbol:         _ZN7rocprim17ROCPRIM_400000_NS6detail17trampoline_kernelINS0_14default_configENS1_25partition_config_selectorILNS1_17partition_subalgoE9EllbEEZZNS1_14partition_implILS5_9ELb0ES3_jPlS8_PNS0_10empty_typeENS0_5tupleIJS8_S9_EEENSB_IJS8_SA_EEENS0_18inequality_wrapperIZN2at6native12_GLOBAL__N_124unique_dim_cuda_templateItEESt5tupleIJNSF_6TensorESK_SK_EERKSK_lbbbEUlllE0_EEPmJS9_EEE10hipError_tPvRmT3_T4_T5_T6_T7_T9_mT8_P12ihipStream_tbDpT10_ENKUlT_T0_E_clISt17integral_constantIbLb1EES19_IbLb0EEEEDaS15_S16_EUlS15_E_NS1_11comp_targetILNS1_3genE5ELNS1_11target_archE942ELNS1_3gpuE9ELNS1_3repE0EEENS1_30default_config_static_selectorELNS0_4arch9wavefront6targetE1EEEvT1_.kd
    .uniform_work_group_size: 1
    .uses_dynamic_stack: false
    .vgpr_count:     66
    .vgpr_spill_count: 0
    .wavefront_size: 64
  - .agpr_count:     0
    .args:
      - .offset:         0
        .size:           120
        .value_kind:     by_value
    .group_segment_fixed_size: 0
    .kernarg_segment_align: 8
    .kernarg_segment_size: 120
    .language:       OpenCL C
    .language_version:
      - 2
      - 0
    .max_flat_workgroup_size: 128
    .name:           _ZN7rocprim17ROCPRIM_400000_NS6detail17trampoline_kernelINS0_14default_configENS1_25partition_config_selectorILNS1_17partition_subalgoE9EllbEEZZNS1_14partition_implILS5_9ELb0ES3_jPlS8_PNS0_10empty_typeENS0_5tupleIJS8_S9_EEENSB_IJS8_SA_EEENS0_18inequality_wrapperIZN2at6native12_GLOBAL__N_124unique_dim_cuda_templateItEESt5tupleIJNSF_6TensorESK_SK_EERKSK_lbbbEUlllE0_EEPmJS9_EEE10hipError_tPvRmT3_T4_T5_T6_T7_T9_mT8_P12ihipStream_tbDpT10_ENKUlT_T0_E_clISt17integral_constantIbLb1EES19_IbLb0EEEEDaS15_S16_EUlS15_E_NS1_11comp_targetILNS1_3genE4ELNS1_11target_archE910ELNS1_3gpuE8ELNS1_3repE0EEENS1_30default_config_static_selectorELNS0_4arch9wavefront6targetE1EEEvT1_
    .private_segment_fixed_size: 0
    .sgpr_count:     6
    .sgpr_spill_count: 0
    .symbol:         _ZN7rocprim17ROCPRIM_400000_NS6detail17trampoline_kernelINS0_14default_configENS1_25partition_config_selectorILNS1_17partition_subalgoE9EllbEEZZNS1_14partition_implILS5_9ELb0ES3_jPlS8_PNS0_10empty_typeENS0_5tupleIJS8_S9_EEENSB_IJS8_SA_EEENS0_18inequality_wrapperIZN2at6native12_GLOBAL__N_124unique_dim_cuda_templateItEESt5tupleIJNSF_6TensorESK_SK_EERKSK_lbbbEUlllE0_EEPmJS9_EEE10hipError_tPvRmT3_T4_T5_T6_T7_T9_mT8_P12ihipStream_tbDpT10_ENKUlT_T0_E_clISt17integral_constantIbLb1EES19_IbLb0EEEEDaS15_S16_EUlS15_E_NS1_11comp_targetILNS1_3genE4ELNS1_11target_archE910ELNS1_3gpuE8ELNS1_3repE0EEENS1_30default_config_static_selectorELNS0_4arch9wavefront6targetE1EEEvT1_.kd
    .uniform_work_group_size: 1
    .uses_dynamic_stack: false
    .vgpr_count:     0
    .vgpr_spill_count: 0
    .wavefront_size: 64
  - .agpr_count:     0
    .args:
      - .offset:         0
        .size:           120
        .value_kind:     by_value
    .group_segment_fixed_size: 0
    .kernarg_segment_align: 8
    .kernarg_segment_size: 120
    .language:       OpenCL C
    .language_version:
      - 2
      - 0
    .max_flat_workgroup_size: 128
    .name:           _ZN7rocprim17ROCPRIM_400000_NS6detail17trampoline_kernelINS0_14default_configENS1_25partition_config_selectorILNS1_17partition_subalgoE9EllbEEZZNS1_14partition_implILS5_9ELb0ES3_jPlS8_PNS0_10empty_typeENS0_5tupleIJS8_S9_EEENSB_IJS8_SA_EEENS0_18inequality_wrapperIZN2at6native12_GLOBAL__N_124unique_dim_cuda_templateItEESt5tupleIJNSF_6TensorESK_SK_EERKSK_lbbbEUlllE0_EEPmJS9_EEE10hipError_tPvRmT3_T4_T5_T6_T7_T9_mT8_P12ihipStream_tbDpT10_ENKUlT_T0_E_clISt17integral_constantIbLb1EES19_IbLb0EEEEDaS15_S16_EUlS15_E_NS1_11comp_targetILNS1_3genE3ELNS1_11target_archE908ELNS1_3gpuE7ELNS1_3repE0EEENS1_30default_config_static_selectorELNS0_4arch9wavefront6targetE1EEEvT1_
    .private_segment_fixed_size: 0
    .sgpr_count:     6
    .sgpr_spill_count: 0
    .symbol:         _ZN7rocprim17ROCPRIM_400000_NS6detail17trampoline_kernelINS0_14default_configENS1_25partition_config_selectorILNS1_17partition_subalgoE9EllbEEZZNS1_14partition_implILS5_9ELb0ES3_jPlS8_PNS0_10empty_typeENS0_5tupleIJS8_S9_EEENSB_IJS8_SA_EEENS0_18inequality_wrapperIZN2at6native12_GLOBAL__N_124unique_dim_cuda_templateItEESt5tupleIJNSF_6TensorESK_SK_EERKSK_lbbbEUlllE0_EEPmJS9_EEE10hipError_tPvRmT3_T4_T5_T6_T7_T9_mT8_P12ihipStream_tbDpT10_ENKUlT_T0_E_clISt17integral_constantIbLb1EES19_IbLb0EEEEDaS15_S16_EUlS15_E_NS1_11comp_targetILNS1_3genE3ELNS1_11target_archE908ELNS1_3gpuE7ELNS1_3repE0EEENS1_30default_config_static_selectorELNS0_4arch9wavefront6targetE1EEEvT1_.kd
    .uniform_work_group_size: 1
    .uses_dynamic_stack: false
    .vgpr_count:     0
    .vgpr_spill_count: 0
    .wavefront_size: 64
  - .agpr_count:     0
    .args:
      - .offset:         0
        .size:           120
        .value_kind:     by_value
    .group_segment_fixed_size: 0
    .kernarg_segment_align: 8
    .kernarg_segment_size: 120
    .language:       OpenCL C
    .language_version:
      - 2
      - 0
    .max_flat_workgroup_size: 192
    .name:           _ZN7rocprim17ROCPRIM_400000_NS6detail17trampoline_kernelINS0_14default_configENS1_25partition_config_selectorILNS1_17partition_subalgoE9EllbEEZZNS1_14partition_implILS5_9ELb0ES3_jPlS8_PNS0_10empty_typeENS0_5tupleIJS8_S9_EEENSB_IJS8_SA_EEENS0_18inequality_wrapperIZN2at6native12_GLOBAL__N_124unique_dim_cuda_templateItEESt5tupleIJNSF_6TensorESK_SK_EERKSK_lbbbEUlllE0_EEPmJS9_EEE10hipError_tPvRmT3_T4_T5_T6_T7_T9_mT8_P12ihipStream_tbDpT10_ENKUlT_T0_E_clISt17integral_constantIbLb1EES19_IbLb0EEEEDaS15_S16_EUlS15_E_NS1_11comp_targetILNS1_3genE2ELNS1_11target_archE906ELNS1_3gpuE6ELNS1_3repE0EEENS1_30default_config_static_selectorELNS0_4arch9wavefront6targetE1EEEvT1_
    .private_segment_fixed_size: 0
    .sgpr_count:     6
    .sgpr_spill_count: 0
    .symbol:         _ZN7rocprim17ROCPRIM_400000_NS6detail17trampoline_kernelINS0_14default_configENS1_25partition_config_selectorILNS1_17partition_subalgoE9EllbEEZZNS1_14partition_implILS5_9ELb0ES3_jPlS8_PNS0_10empty_typeENS0_5tupleIJS8_S9_EEENSB_IJS8_SA_EEENS0_18inequality_wrapperIZN2at6native12_GLOBAL__N_124unique_dim_cuda_templateItEESt5tupleIJNSF_6TensorESK_SK_EERKSK_lbbbEUlllE0_EEPmJS9_EEE10hipError_tPvRmT3_T4_T5_T6_T7_T9_mT8_P12ihipStream_tbDpT10_ENKUlT_T0_E_clISt17integral_constantIbLb1EES19_IbLb0EEEEDaS15_S16_EUlS15_E_NS1_11comp_targetILNS1_3genE2ELNS1_11target_archE906ELNS1_3gpuE6ELNS1_3repE0EEENS1_30default_config_static_selectorELNS0_4arch9wavefront6targetE1EEEvT1_.kd
    .uniform_work_group_size: 1
    .uses_dynamic_stack: false
    .vgpr_count:     0
    .vgpr_spill_count: 0
    .wavefront_size: 64
  - .agpr_count:     0
    .args:
      - .offset:         0
        .size:           120
        .value_kind:     by_value
    .group_segment_fixed_size: 0
    .kernarg_segment_align: 8
    .kernarg_segment_size: 120
    .language:       OpenCL C
    .language_version:
      - 2
      - 0
    .max_flat_workgroup_size: 384
    .name:           _ZN7rocprim17ROCPRIM_400000_NS6detail17trampoline_kernelINS0_14default_configENS1_25partition_config_selectorILNS1_17partition_subalgoE9EllbEEZZNS1_14partition_implILS5_9ELb0ES3_jPlS8_PNS0_10empty_typeENS0_5tupleIJS8_S9_EEENSB_IJS8_SA_EEENS0_18inequality_wrapperIZN2at6native12_GLOBAL__N_124unique_dim_cuda_templateItEESt5tupleIJNSF_6TensorESK_SK_EERKSK_lbbbEUlllE0_EEPmJS9_EEE10hipError_tPvRmT3_T4_T5_T6_T7_T9_mT8_P12ihipStream_tbDpT10_ENKUlT_T0_E_clISt17integral_constantIbLb1EES19_IbLb0EEEEDaS15_S16_EUlS15_E_NS1_11comp_targetILNS1_3genE10ELNS1_11target_archE1200ELNS1_3gpuE4ELNS1_3repE0EEENS1_30default_config_static_selectorELNS0_4arch9wavefront6targetE1EEEvT1_
    .private_segment_fixed_size: 0
    .sgpr_count:     6
    .sgpr_spill_count: 0
    .symbol:         _ZN7rocprim17ROCPRIM_400000_NS6detail17trampoline_kernelINS0_14default_configENS1_25partition_config_selectorILNS1_17partition_subalgoE9EllbEEZZNS1_14partition_implILS5_9ELb0ES3_jPlS8_PNS0_10empty_typeENS0_5tupleIJS8_S9_EEENSB_IJS8_SA_EEENS0_18inequality_wrapperIZN2at6native12_GLOBAL__N_124unique_dim_cuda_templateItEESt5tupleIJNSF_6TensorESK_SK_EERKSK_lbbbEUlllE0_EEPmJS9_EEE10hipError_tPvRmT3_T4_T5_T6_T7_T9_mT8_P12ihipStream_tbDpT10_ENKUlT_T0_E_clISt17integral_constantIbLb1EES19_IbLb0EEEEDaS15_S16_EUlS15_E_NS1_11comp_targetILNS1_3genE10ELNS1_11target_archE1200ELNS1_3gpuE4ELNS1_3repE0EEENS1_30default_config_static_selectorELNS0_4arch9wavefront6targetE1EEEvT1_.kd
    .uniform_work_group_size: 1
    .uses_dynamic_stack: false
    .vgpr_count:     0
    .vgpr_spill_count: 0
    .wavefront_size: 64
  - .agpr_count:     0
    .args:
      - .offset:         0
        .size:           120
        .value_kind:     by_value
    .group_segment_fixed_size: 0
    .kernarg_segment_align: 8
    .kernarg_segment_size: 120
    .language:       OpenCL C
    .language_version:
      - 2
      - 0
    .max_flat_workgroup_size: 512
    .name:           _ZN7rocprim17ROCPRIM_400000_NS6detail17trampoline_kernelINS0_14default_configENS1_25partition_config_selectorILNS1_17partition_subalgoE9EllbEEZZNS1_14partition_implILS5_9ELb0ES3_jPlS8_PNS0_10empty_typeENS0_5tupleIJS8_S9_EEENSB_IJS8_SA_EEENS0_18inequality_wrapperIZN2at6native12_GLOBAL__N_124unique_dim_cuda_templateItEESt5tupleIJNSF_6TensorESK_SK_EERKSK_lbbbEUlllE0_EEPmJS9_EEE10hipError_tPvRmT3_T4_T5_T6_T7_T9_mT8_P12ihipStream_tbDpT10_ENKUlT_T0_E_clISt17integral_constantIbLb1EES19_IbLb0EEEEDaS15_S16_EUlS15_E_NS1_11comp_targetILNS1_3genE9ELNS1_11target_archE1100ELNS1_3gpuE3ELNS1_3repE0EEENS1_30default_config_static_selectorELNS0_4arch9wavefront6targetE1EEEvT1_
    .private_segment_fixed_size: 0
    .sgpr_count:     6
    .sgpr_spill_count: 0
    .symbol:         _ZN7rocprim17ROCPRIM_400000_NS6detail17trampoline_kernelINS0_14default_configENS1_25partition_config_selectorILNS1_17partition_subalgoE9EllbEEZZNS1_14partition_implILS5_9ELb0ES3_jPlS8_PNS0_10empty_typeENS0_5tupleIJS8_S9_EEENSB_IJS8_SA_EEENS0_18inequality_wrapperIZN2at6native12_GLOBAL__N_124unique_dim_cuda_templateItEESt5tupleIJNSF_6TensorESK_SK_EERKSK_lbbbEUlllE0_EEPmJS9_EEE10hipError_tPvRmT3_T4_T5_T6_T7_T9_mT8_P12ihipStream_tbDpT10_ENKUlT_T0_E_clISt17integral_constantIbLb1EES19_IbLb0EEEEDaS15_S16_EUlS15_E_NS1_11comp_targetILNS1_3genE9ELNS1_11target_archE1100ELNS1_3gpuE3ELNS1_3repE0EEENS1_30default_config_static_selectorELNS0_4arch9wavefront6targetE1EEEvT1_.kd
    .uniform_work_group_size: 1
    .uses_dynamic_stack: false
    .vgpr_count:     0
    .vgpr_spill_count: 0
    .wavefront_size: 64
  - .agpr_count:     0
    .args:
      - .offset:         0
        .size:           120
        .value_kind:     by_value
    .group_segment_fixed_size: 0
    .kernarg_segment_align: 8
    .kernarg_segment_size: 120
    .language:       OpenCL C
    .language_version:
      - 2
      - 0
    .max_flat_workgroup_size: 512
    .name:           _ZN7rocprim17ROCPRIM_400000_NS6detail17trampoline_kernelINS0_14default_configENS1_25partition_config_selectorILNS1_17partition_subalgoE9EllbEEZZNS1_14partition_implILS5_9ELb0ES3_jPlS8_PNS0_10empty_typeENS0_5tupleIJS8_S9_EEENSB_IJS8_SA_EEENS0_18inequality_wrapperIZN2at6native12_GLOBAL__N_124unique_dim_cuda_templateItEESt5tupleIJNSF_6TensorESK_SK_EERKSK_lbbbEUlllE0_EEPmJS9_EEE10hipError_tPvRmT3_T4_T5_T6_T7_T9_mT8_P12ihipStream_tbDpT10_ENKUlT_T0_E_clISt17integral_constantIbLb1EES19_IbLb0EEEEDaS15_S16_EUlS15_E_NS1_11comp_targetILNS1_3genE8ELNS1_11target_archE1030ELNS1_3gpuE2ELNS1_3repE0EEENS1_30default_config_static_selectorELNS0_4arch9wavefront6targetE1EEEvT1_
    .private_segment_fixed_size: 0
    .sgpr_count:     6
    .sgpr_spill_count: 0
    .symbol:         _ZN7rocprim17ROCPRIM_400000_NS6detail17trampoline_kernelINS0_14default_configENS1_25partition_config_selectorILNS1_17partition_subalgoE9EllbEEZZNS1_14partition_implILS5_9ELb0ES3_jPlS8_PNS0_10empty_typeENS0_5tupleIJS8_S9_EEENSB_IJS8_SA_EEENS0_18inequality_wrapperIZN2at6native12_GLOBAL__N_124unique_dim_cuda_templateItEESt5tupleIJNSF_6TensorESK_SK_EERKSK_lbbbEUlllE0_EEPmJS9_EEE10hipError_tPvRmT3_T4_T5_T6_T7_T9_mT8_P12ihipStream_tbDpT10_ENKUlT_T0_E_clISt17integral_constantIbLb1EES19_IbLb0EEEEDaS15_S16_EUlS15_E_NS1_11comp_targetILNS1_3genE8ELNS1_11target_archE1030ELNS1_3gpuE2ELNS1_3repE0EEENS1_30default_config_static_selectorELNS0_4arch9wavefront6targetE1EEEvT1_.kd
    .uniform_work_group_size: 1
    .uses_dynamic_stack: false
    .vgpr_count:     0
    .vgpr_spill_count: 0
    .wavefront_size: 64
  - .agpr_count:     0
    .args:
      - .offset:         0
        .size:           136
        .value_kind:     by_value
    .group_segment_fixed_size: 0
    .kernarg_segment_align: 8
    .kernarg_segment_size: 136
    .language:       OpenCL C
    .language_version:
      - 2
      - 0
    .max_flat_workgroup_size: 128
    .name:           _ZN7rocprim17ROCPRIM_400000_NS6detail17trampoline_kernelINS0_14default_configENS1_25partition_config_selectorILNS1_17partition_subalgoE9EllbEEZZNS1_14partition_implILS5_9ELb0ES3_jPlS8_PNS0_10empty_typeENS0_5tupleIJS8_S9_EEENSB_IJS8_SA_EEENS0_18inequality_wrapperIZN2at6native12_GLOBAL__N_124unique_dim_cuda_templateItEESt5tupleIJNSF_6TensorESK_SK_EERKSK_lbbbEUlllE0_EEPmJS9_EEE10hipError_tPvRmT3_T4_T5_T6_T7_T9_mT8_P12ihipStream_tbDpT10_ENKUlT_T0_E_clISt17integral_constantIbLb0EES19_IbLb1EEEEDaS15_S16_EUlS15_E_NS1_11comp_targetILNS1_3genE0ELNS1_11target_archE4294967295ELNS1_3gpuE0ELNS1_3repE0EEENS1_30default_config_static_selectorELNS0_4arch9wavefront6targetE1EEEvT1_
    .private_segment_fixed_size: 0
    .sgpr_count:     6
    .sgpr_spill_count: 0
    .symbol:         _ZN7rocprim17ROCPRIM_400000_NS6detail17trampoline_kernelINS0_14default_configENS1_25partition_config_selectorILNS1_17partition_subalgoE9EllbEEZZNS1_14partition_implILS5_9ELb0ES3_jPlS8_PNS0_10empty_typeENS0_5tupleIJS8_S9_EEENSB_IJS8_SA_EEENS0_18inequality_wrapperIZN2at6native12_GLOBAL__N_124unique_dim_cuda_templateItEESt5tupleIJNSF_6TensorESK_SK_EERKSK_lbbbEUlllE0_EEPmJS9_EEE10hipError_tPvRmT3_T4_T5_T6_T7_T9_mT8_P12ihipStream_tbDpT10_ENKUlT_T0_E_clISt17integral_constantIbLb0EES19_IbLb1EEEEDaS15_S16_EUlS15_E_NS1_11comp_targetILNS1_3genE0ELNS1_11target_archE4294967295ELNS1_3gpuE0ELNS1_3repE0EEENS1_30default_config_static_selectorELNS0_4arch9wavefront6targetE1EEEvT1_.kd
    .uniform_work_group_size: 1
    .uses_dynamic_stack: false
    .vgpr_count:     0
    .vgpr_spill_count: 0
    .wavefront_size: 64
  - .agpr_count:     0
    .args:
      - .offset:         0
        .size:           136
        .value_kind:     by_value
    .group_segment_fixed_size: 28684
    .kernarg_segment_align: 8
    .kernarg_segment_size: 136
    .language:       OpenCL C
    .language_version:
      - 2
      - 0
    .max_flat_workgroup_size: 512
    .name:           _ZN7rocprim17ROCPRIM_400000_NS6detail17trampoline_kernelINS0_14default_configENS1_25partition_config_selectorILNS1_17partition_subalgoE9EllbEEZZNS1_14partition_implILS5_9ELb0ES3_jPlS8_PNS0_10empty_typeENS0_5tupleIJS8_S9_EEENSB_IJS8_SA_EEENS0_18inequality_wrapperIZN2at6native12_GLOBAL__N_124unique_dim_cuda_templateItEESt5tupleIJNSF_6TensorESK_SK_EERKSK_lbbbEUlllE0_EEPmJS9_EEE10hipError_tPvRmT3_T4_T5_T6_T7_T9_mT8_P12ihipStream_tbDpT10_ENKUlT_T0_E_clISt17integral_constantIbLb0EES19_IbLb1EEEEDaS15_S16_EUlS15_E_NS1_11comp_targetILNS1_3genE5ELNS1_11target_archE942ELNS1_3gpuE9ELNS1_3repE0EEENS1_30default_config_static_selectorELNS0_4arch9wavefront6targetE1EEEvT1_
    .private_segment_fixed_size: 0
    .sgpr_count:     64
    .sgpr_spill_count: 0
    .symbol:         _ZN7rocprim17ROCPRIM_400000_NS6detail17trampoline_kernelINS0_14default_configENS1_25partition_config_selectorILNS1_17partition_subalgoE9EllbEEZZNS1_14partition_implILS5_9ELb0ES3_jPlS8_PNS0_10empty_typeENS0_5tupleIJS8_S9_EEENSB_IJS8_SA_EEENS0_18inequality_wrapperIZN2at6native12_GLOBAL__N_124unique_dim_cuda_templateItEESt5tupleIJNSF_6TensorESK_SK_EERKSK_lbbbEUlllE0_EEPmJS9_EEE10hipError_tPvRmT3_T4_T5_T6_T7_T9_mT8_P12ihipStream_tbDpT10_ENKUlT_T0_E_clISt17integral_constantIbLb0EES19_IbLb1EEEEDaS15_S16_EUlS15_E_NS1_11comp_targetILNS1_3genE5ELNS1_11target_archE942ELNS1_3gpuE9ELNS1_3repE0EEENS1_30default_config_static_selectorELNS0_4arch9wavefront6targetE1EEEvT1_.kd
    .uniform_work_group_size: 1
    .uses_dynamic_stack: false
    .vgpr_count:     66
    .vgpr_spill_count: 0
    .wavefront_size: 64
  - .agpr_count:     0
    .args:
      - .offset:         0
        .size:           136
        .value_kind:     by_value
    .group_segment_fixed_size: 0
    .kernarg_segment_align: 8
    .kernarg_segment_size: 136
    .language:       OpenCL C
    .language_version:
      - 2
      - 0
    .max_flat_workgroup_size: 128
    .name:           _ZN7rocprim17ROCPRIM_400000_NS6detail17trampoline_kernelINS0_14default_configENS1_25partition_config_selectorILNS1_17partition_subalgoE9EllbEEZZNS1_14partition_implILS5_9ELb0ES3_jPlS8_PNS0_10empty_typeENS0_5tupleIJS8_S9_EEENSB_IJS8_SA_EEENS0_18inequality_wrapperIZN2at6native12_GLOBAL__N_124unique_dim_cuda_templateItEESt5tupleIJNSF_6TensorESK_SK_EERKSK_lbbbEUlllE0_EEPmJS9_EEE10hipError_tPvRmT3_T4_T5_T6_T7_T9_mT8_P12ihipStream_tbDpT10_ENKUlT_T0_E_clISt17integral_constantIbLb0EES19_IbLb1EEEEDaS15_S16_EUlS15_E_NS1_11comp_targetILNS1_3genE4ELNS1_11target_archE910ELNS1_3gpuE8ELNS1_3repE0EEENS1_30default_config_static_selectorELNS0_4arch9wavefront6targetE1EEEvT1_
    .private_segment_fixed_size: 0
    .sgpr_count:     6
    .sgpr_spill_count: 0
    .symbol:         _ZN7rocprim17ROCPRIM_400000_NS6detail17trampoline_kernelINS0_14default_configENS1_25partition_config_selectorILNS1_17partition_subalgoE9EllbEEZZNS1_14partition_implILS5_9ELb0ES3_jPlS8_PNS0_10empty_typeENS0_5tupleIJS8_S9_EEENSB_IJS8_SA_EEENS0_18inequality_wrapperIZN2at6native12_GLOBAL__N_124unique_dim_cuda_templateItEESt5tupleIJNSF_6TensorESK_SK_EERKSK_lbbbEUlllE0_EEPmJS9_EEE10hipError_tPvRmT3_T4_T5_T6_T7_T9_mT8_P12ihipStream_tbDpT10_ENKUlT_T0_E_clISt17integral_constantIbLb0EES19_IbLb1EEEEDaS15_S16_EUlS15_E_NS1_11comp_targetILNS1_3genE4ELNS1_11target_archE910ELNS1_3gpuE8ELNS1_3repE0EEENS1_30default_config_static_selectorELNS0_4arch9wavefront6targetE1EEEvT1_.kd
    .uniform_work_group_size: 1
    .uses_dynamic_stack: false
    .vgpr_count:     0
    .vgpr_spill_count: 0
    .wavefront_size: 64
  - .agpr_count:     0
    .args:
      - .offset:         0
        .size:           136
        .value_kind:     by_value
    .group_segment_fixed_size: 0
    .kernarg_segment_align: 8
    .kernarg_segment_size: 136
    .language:       OpenCL C
    .language_version:
      - 2
      - 0
    .max_flat_workgroup_size: 128
    .name:           _ZN7rocprim17ROCPRIM_400000_NS6detail17trampoline_kernelINS0_14default_configENS1_25partition_config_selectorILNS1_17partition_subalgoE9EllbEEZZNS1_14partition_implILS5_9ELb0ES3_jPlS8_PNS0_10empty_typeENS0_5tupleIJS8_S9_EEENSB_IJS8_SA_EEENS0_18inequality_wrapperIZN2at6native12_GLOBAL__N_124unique_dim_cuda_templateItEESt5tupleIJNSF_6TensorESK_SK_EERKSK_lbbbEUlllE0_EEPmJS9_EEE10hipError_tPvRmT3_T4_T5_T6_T7_T9_mT8_P12ihipStream_tbDpT10_ENKUlT_T0_E_clISt17integral_constantIbLb0EES19_IbLb1EEEEDaS15_S16_EUlS15_E_NS1_11comp_targetILNS1_3genE3ELNS1_11target_archE908ELNS1_3gpuE7ELNS1_3repE0EEENS1_30default_config_static_selectorELNS0_4arch9wavefront6targetE1EEEvT1_
    .private_segment_fixed_size: 0
    .sgpr_count:     6
    .sgpr_spill_count: 0
    .symbol:         _ZN7rocprim17ROCPRIM_400000_NS6detail17trampoline_kernelINS0_14default_configENS1_25partition_config_selectorILNS1_17partition_subalgoE9EllbEEZZNS1_14partition_implILS5_9ELb0ES3_jPlS8_PNS0_10empty_typeENS0_5tupleIJS8_S9_EEENSB_IJS8_SA_EEENS0_18inequality_wrapperIZN2at6native12_GLOBAL__N_124unique_dim_cuda_templateItEESt5tupleIJNSF_6TensorESK_SK_EERKSK_lbbbEUlllE0_EEPmJS9_EEE10hipError_tPvRmT3_T4_T5_T6_T7_T9_mT8_P12ihipStream_tbDpT10_ENKUlT_T0_E_clISt17integral_constantIbLb0EES19_IbLb1EEEEDaS15_S16_EUlS15_E_NS1_11comp_targetILNS1_3genE3ELNS1_11target_archE908ELNS1_3gpuE7ELNS1_3repE0EEENS1_30default_config_static_selectorELNS0_4arch9wavefront6targetE1EEEvT1_.kd
    .uniform_work_group_size: 1
    .uses_dynamic_stack: false
    .vgpr_count:     0
    .vgpr_spill_count: 0
    .wavefront_size: 64
  - .agpr_count:     0
    .args:
      - .offset:         0
        .size:           136
        .value_kind:     by_value
    .group_segment_fixed_size: 0
    .kernarg_segment_align: 8
    .kernarg_segment_size: 136
    .language:       OpenCL C
    .language_version:
      - 2
      - 0
    .max_flat_workgroup_size: 192
    .name:           _ZN7rocprim17ROCPRIM_400000_NS6detail17trampoline_kernelINS0_14default_configENS1_25partition_config_selectorILNS1_17partition_subalgoE9EllbEEZZNS1_14partition_implILS5_9ELb0ES3_jPlS8_PNS0_10empty_typeENS0_5tupleIJS8_S9_EEENSB_IJS8_SA_EEENS0_18inequality_wrapperIZN2at6native12_GLOBAL__N_124unique_dim_cuda_templateItEESt5tupleIJNSF_6TensorESK_SK_EERKSK_lbbbEUlllE0_EEPmJS9_EEE10hipError_tPvRmT3_T4_T5_T6_T7_T9_mT8_P12ihipStream_tbDpT10_ENKUlT_T0_E_clISt17integral_constantIbLb0EES19_IbLb1EEEEDaS15_S16_EUlS15_E_NS1_11comp_targetILNS1_3genE2ELNS1_11target_archE906ELNS1_3gpuE6ELNS1_3repE0EEENS1_30default_config_static_selectorELNS0_4arch9wavefront6targetE1EEEvT1_
    .private_segment_fixed_size: 0
    .sgpr_count:     6
    .sgpr_spill_count: 0
    .symbol:         _ZN7rocprim17ROCPRIM_400000_NS6detail17trampoline_kernelINS0_14default_configENS1_25partition_config_selectorILNS1_17partition_subalgoE9EllbEEZZNS1_14partition_implILS5_9ELb0ES3_jPlS8_PNS0_10empty_typeENS0_5tupleIJS8_S9_EEENSB_IJS8_SA_EEENS0_18inequality_wrapperIZN2at6native12_GLOBAL__N_124unique_dim_cuda_templateItEESt5tupleIJNSF_6TensorESK_SK_EERKSK_lbbbEUlllE0_EEPmJS9_EEE10hipError_tPvRmT3_T4_T5_T6_T7_T9_mT8_P12ihipStream_tbDpT10_ENKUlT_T0_E_clISt17integral_constantIbLb0EES19_IbLb1EEEEDaS15_S16_EUlS15_E_NS1_11comp_targetILNS1_3genE2ELNS1_11target_archE906ELNS1_3gpuE6ELNS1_3repE0EEENS1_30default_config_static_selectorELNS0_4arch9wavefront6targetE1EEEvT1_.kd
    .uniform_work_group_size: 1
    .uses_dynamic_stack: false
    .vgpr_count:     0
    .vgpr_spill_count: 0
    .wavefront_size: 64
  - .agpr_count:     0
    .args:
      - .offset:         0
        .size:           136
        .value_kind:     by_value
    .group_segment_fixed_size: 0
    .kernarg_segment_align: 8
    .kernarg_segment_size: 136
    .language:       OpenCL C
    .language_version:
      - 2
      - 0
    .max_flat_workgroup_size: 384
    .name:           _ZN7rocprim17ROCPRIM_400000_NS6detail17trampoline_kernelINS0_14default_configENS1_25partition_config_selectorILNS1_17partition_subalgoE9EllbEEZZNS1_14partition_implILS5_9ELb0ES3_jPlS8_PNS0_10empty_typeENS0_5tupleIJS8_S9_EEENSB_IJS8_SA_EEENS0_18inequality_wrapperIZN2at6native12_GLOBAL__N_124unique_dim_cuda_templateItEESt5tupleIJNSF_6TensorESK_SK_EERKSK_lbbbEUlllE0_EEPmJS9_EEE10hipError_tPvRmT3_T4_T5_T6_T7_T9_mT8_P12ihipStream_tbDpT10_ENKUlT_T0_E_clISt17integral_constantIbLb0EES19_IbLb1EEEEDaS15_S16_EUlS15_E_NS1_11comp_targetILNS1_3genE10ELNS1_11target_archE1200ELNS1_3gpuE4ELNS1_3repE0EEENS1_30default_config_static_selectorELNS0_4arch9wavefront6targetE1EEEvT1_
    .private_segment_fixed_size: 0
    .sgpr_count:     6
    .sgpr_spill_count: 0
    .symbol:         _ZN7rocprim17ROCPRIM_400000_NS6detail17trampoline_kernelINS0_14default_configENS1_25partition_config_selectorILNS1_17partition_subalgoE9EllbEEZZNS1_14partition_implILS5_9ELb0ES3_jPlS8_PNS0_10empty_typeENS0_5tupleIJS8_S9_EEENSB_IJS8_SA_EEENS0_18inequality_wrapperIZN2at6native12_GLOBAL__N_124unique_dim_cuda_templateItEESt5tupleIJNSF_6TensorESK_SK_EERKSK_lbbbEUlllE0_EEPmJS9_EEE10hipError_tPvRmT3_T4_T5_T6_T7_T9_mT8_P12ihipStream_tbDpT10_ENKUlT_T0_E_clISt17integral_constantIbLb0EES19_IbLb1EEEEDaS15_S16_EUlS15_E_NS1_11comp_targetILNS1_3genE10ELNS1_11target_archE1200ELNS1_3gpuE4ELNS1_3repE0EEENS1_30default_config_static_selectorELNS0_4arch9wavefront6targetE1EEEvT1_.kd
    .uniform_work_group_size: 1
    .uses_dynamic_stack: false
    .vgpr_count:     0
    .vgpr_spill_count: 0
    .wavefront_size: 64
  - .agpr_count:     0
    .args:
      - .offset:         0
        .size:           136
        .value_kind:     by_value
    .group_segment_fixed_size: 0
    .kernarg_segment_align: 8
    .kernarg_segment_size: 136
    .language:       OpenCL C
    .language_version:
      - 2
      - 0
    .max_flat_workgroup_size: 512
    .name:           _ZN7rocprim17ROCPRIM_400000_NS6detail17trampoline_kernelINS0_14default_configENS1_25partition_config_selectorILNS1_17partition_subalgoE9EllbEEZZNS1_14partition_implILS5_9ELb0ES3_jPlS8_PNS0_10empty_typeENS0_5tupleIJS8_S9_EEENSB_IJS8_SA_EEENS0_18inequality_wrapperIZN2at6native12_GLOBAL__N_124unique_dim_cuda_templateItEESt5tupleIJNSF_6TensorESK_SK_EERKSK_lbbbEUlllE0_EEPmJS9_EEE10hipError_tPvRmT3_T4_T5_T6_T7_T9_mT8_P12ihipStream_tbDpT10_ENKUlT_T0_E_clISt17integral_constantIbLb0EES19_IbLb1EEEEDaS15_S16_EUlS15_E_NS1_11comp_targetILNS1_3genE9ELNS1_11target_archE1100ELNS1_3gpuE3ELNS1_3repE0EEENS1_30default_config_static_selectorELNS0_4arch9wavefront6targetE1EEEvT1_
    .private_segment_fixed_size: 0
    .sgpr_count:     6
    .sgpr_spill_count: 0
    .symbol:         _ZN7rocprim17ROCPRIM_400000_NS6detail17trampoline_kernelINS0_14default_configENS1_25partition_config_selectorILNS1_17partition_subalgoE9EllbEEZZNS1_14partition_implILS5_9ELb0ES3_jPlS8_PNS0_10empty_typeENS0_5tupleIJS8_S9_EEENSB_IJS8_SA_EEENS0_18inequality_wrapperIZN2at6native12_GLOBAL__N_124unique_dim_cuda_templateItEESt5tupleIJNSF_6TensorESK_SK_EERKSK_lbbbEUlllE0_EEPmJS9_EEE10hipError_tPvRmT3_T4_T5_T6_T7_T9_mT8_P12ihipStream_tbDpT10_ENKUlT_T0_E_clISt17integral_constantIbLb0EES19_IbLb1EEEEDaS15_S16_EUlS15_E_NS1_11comp_targetILNS1_3genE9ELNS1_11target_archE1100ELNS1_3gpuE3ELNS1_3repE0EEENS1_30default_config_static_selectorELNS0_4arch9wavefront6targetE1EEEvT1_.kd
    .uniform_work_group_size: 1
    .uses_dynamic_stack: false
    .vgpr_count:     0
    .vgpr_spill_count: 0
    .wavefront_size: 64
  - .agpr_count:     0
    .args:
      - .offset:         0
        .size:           136
        .value_kind:     by_value
    .group_segment_fixed_size: 0
    .kernarg_segment_align: 8
    .kernarg_segment_size: 136
    .language:       OpenCL C
    .language_version:
      - 2
      - 0
    .max_flat_workgroup_size: 512
    .name:           _ZN7rocprim17ROCPRIM_400000_NS6detail17trampoline_kernelINS0_14default_configENS1_25partition_config_selectorILNS1_17partition_subalgoE9EllbEEZZNS1_14partition_implILS5_9ELb0ES3_jPlS8_PNS0_10empty_typeENS0_5tupleIJS8_S9_EEENSB_IJS8_SA_EEENS0_18inequality_wrapperIZN2at6native12_GLOBAL__N_124unique_dim_cuda_templateItEESt5tupleIJNSF_6TensorESK_SK_EERKSK_lbbbEUlllE0_EEPmJS9_EEE10hipError_tPvRmT3_T4_T5_T6_T7_T9_mT8_P12ihipStream_tbDpT10_ENKUlT_T0_E_clISt17integral_constantIbLb0EES19_IbLb1EEEEDaS15_S16_EUlS15_E_NS1_11comp_targetILNS1_3genE8ELNS1_11target_archE1030ELNS1_3gpuE2ELNS1_3repE0EEENS1_30default_config_static_selectorELNS0_4arch9wavefront6targetE1EEEvT1_
    .private_segment_fixed_size: 0
    .sgpr_count:     6
    .sgpr_spill_count: 0
    .symbol:         _ZN7rocprim17ROCPRIM_400000_NS6detail17trampoline_kernelINS0_14default_configENS1_25partition_config_selectorILNS1_17partition_subalgoE9EllbEEZZNS1_14partition_implILS5_9ELb0ES3_jPlS8_PNS0_10empty_typeENS0_5tupleIJS8_S9_EEENSB_IJS8_SA_EEENS0_18inequality_wrapperIZN2at6native12_GLOBAL__N_124unique_dim_cuda_templateItEESt5tupleIJNSF_6TensorESK_SK_EERKSK_lbbbEUlllE0_EEPmJS9_EEE10hipError_tPvRmT3_T4_T5_T6_T7_T9_mT8_P12ihipStream_tbDpT10_ENKUlT_T0_E_clISt17integral_constantIbLb0EES19_IbLb1EEEEDaS15_S16_EUlS15_E_NS1_11comp_targetILNS1_3genE8ELNS1_11target_archE1030ELNS1_3gpuE2ELNS1_3repE0EEENS1_30default_config_static_selectorELNS0_4arch9wavefront6targetE1EEEvT1_.kd
    .uniform_work_group_size: 1
    .uses_dynamic_stack: false
    .vgpr_count:     0
    .vgpr_spill_count: 0
    .wavefront_size: 64
  - .agpr_count:     0
    .args:
      - .offset:         0
        .size:           72
        .value_kind:     by_value
    .group_segment_fixed_size: 0
    .kernarg_segment_align: 8
    .kernarg_segment_size: 72
    .language:       OpenCL C
    .language_version:
      - 2
      - 0
    .max_flat_workgroup_size: 256
    .name:           _ZN7rocprim17ROCPRIM_400000_NS6detail17trampoline_kernelINS0_14default_configENS1_37merge_sort_block_sort_config_selectorIlNS0_10empty_typeEEEZNS1_21merge_sort_block_sortIS3_PlS8_PS5_S9_ZN2at6native12_GLOBAL__N_124unique_dim_cuda_templateIjEESt5tupleIJNSA_6TensorESF_SF_EERKSF_lbbbEUlllE_EE10hipError_tT0_T1_T2_T3_mRjT4_P12ihipStream_tbNS1_7vsmem_tEEUlT_E_NS1_11comp_targetILNS1_3genE0ELNS1_11target_archE4294967295ELNS1_3gpuE0ELNS1_3repE0EEENS1_30default_config_static_selectorELNS0_4arch9wavefront6targetE1EEEvSM_
    .private_segment_fixed_size: 0
    .sgpr_count:     6
    .sgpr_spill_count: 0
    .symbol:         _ZN7rocprim17ROCPRIM_400000_NS6detail17trampoline_kernelINS0_14default_configENS1_37merge_sort_block_sort_config_selectorIlNS0_10empty_typeEEEZNS1_21merge_sort_block_sortIS3_PlS8_PS5_S9_ZN2at6native12_GLOBAL__N_124unique_dim_cuda_templateIjEESt5tupleIJNSA_6TensorESF_SF_EERKSF_lbbbEUlllE_EE10hipError_tT0_T1_T2_T3_mRjT4_P12ihipStream_tbNS1_7vsmem_tEEUlT_E_NS1_11comp_targetILNS1_3genE0ELNS1_11target_archE4294967295ELNS1_3gpuE0ELNS1_3repE0EEENS1_30default_config_static_selectorELNS0_4arch9wavefront6targetE1EEEvSM_.kd
    .uniform_work_group_size: 1
    .uses_dynamic_stack: false
    .vgpr_count:     0
    .vgpr_spill_count: 0
    .wavefront_size: 64
  - .agpr_count:     0
    .args:
      - .offset:         0
        .size:           72
        .value_kind:     by_value
      - .offset:         72
        .size:           4
        .value_kind:     hidden_block_count_x
      - .offset:         76
        .size:           4
        .value_kind:     hidden_block_count_y
      - .offset:         80
        .size:           4
        .value_kind:     hidden_block_count_z
      - .offset:         84
        .size:           2
        .value_kind:     hidden_group_size_x
      - .offset:         86
        .size:           2
        .value_kind:     hidden_group_size_y
      - .offset:         88
        .size:           2
        .value_kind:     hidden_group_size_z
      - .offset:         90
        .size:           2
        .value_kind:     hidden_remainder_x
      - .offset:         92
        .size:           2
        .value_kind:     hidden_remainder_y
      - .offset:         94
        .size:           2
        .value_kind:     hidden_remainder_z
      - .offset:         112
        .size:           8
        .value_kind:     hidden_global_offset_x
      - .offset:         120
        .size:           8
        .value_kind:     hidden_global_offset_y
      - .offset:         128
        .size:           8
        .value_kind:     hidden_global_offset_z
      - .offset:         136
        .size:           2
        .value_kind:     hidden_grid_dims
      - .offset:         152
        .size:           8
        .value_kind:     hidden_hostcall_buffer
      - .offset:         160
        .size:           8
        .value_kind:     hidden_multigrid_sync_arg
      - .offset:         168
        .size:           8
        .value_kind:     hidden_heap_v1
      - .offset:         176
        .size:           8
        .value_kind:     hidden_default_queue
      - .offset:         184
        .size:           8
        .value_kind:     hidden_completion_action
      - .offset:         272
        .size:           8
        .value_kind:     hidden_queue_ptr
    .group_segment_fixed_size: 16896
    .kernarg_segment_align: 8
    .kernarg_segment_size: 328
    .language:       OpenCL C
    .language_version:
      - 2
      - 0
    .max_flat_workgroup_size: 256
    .name:           _ZN7rocprim17ROCPRIM_400000_NS6detail17trampoline_kernelINS0_14default_configENS1_37merge_sort_block_sort_config_selectorIlNS0_10empty_typeEEEZNS1_21merge_sort_block_sortIS3_PlS8_PS5_S9_ZN2at6native12_GLOBAL__N_124unique_dim_cuda_templateIjEESt5tupleIJNSA_6TensorESF_SF_EERKSF_lbbbEUlllE_EE10hipError_tT0_T1_T2_T3_mRjT4_P12ihipStream_tbNS1_7vsmem_tEEUlT_E_NS1_11comp_targetILNS1_3genE5ELNS1_11target_archE942ELNS1_3gpuE9ELNS1_3repE0EEENS1_30default_config_static_selectorELNS0_4arch9wavefront6targetE1EEEvSM_
    .private_segment_fixed_size: 8
    .sgpr_count:     75
    .sgpr_spill_count: 0
    .symbol:         _ZN7rocprim17ROCPRIM_400000_NS6detail17trampoline_kernelINS0_14default_configENS1_37merge_sort_block_sort_config_selectorIlNS0_10empty_typeEEEZNS1_21merge_sort_block_sortIS3_PlS8_PS5_S9_ZN2at6native12_GLOBAL__N_124unique_dim_cuda_templateIjEESt5tupleIJNSA_6TensorESF_SF_EERKSF_lbbbEUlllE_EE10hipError_tT0_T1_T2_T3_mRjT4_P12ihipStream_tbNS1_7vsmem_tEEUlT_E_NS1_11comp_targetILNS1_3genE5ELNS1_11target_archE942ELNS1_3gpuE9ELNS1_3repE0EEENS1_30default_config_static_selectorELNS0_4arch9wavefront6targetE1EEEvSM_.kd
    .uniform_work_group_size: 1
    .uses_dynamic_stack: false
    .vgpr_count:     129
    .vgpr_spill_count: 0
    .wavefront_size: 64
  - .agpr_count:     0
    .args:
      - .offset:         0
        .size:           72
        .value_kind:     by_value
    .group_segment_fixed_size: 0
    .kernarg_segment_align: 8
    .kernarg_segment_size: 72
    .language:       OpenCL C
    .language_version:
      - 2
      - 0
    .max_flat_workgroup_size: 256
    .name:           _ZN7rocprim17ROCPRIM_400000_NS6detail17trampoline_kernelINS0_14default_configENS1_37merge_sort_block_sort_config_selectorIlNS0_10empty_typeEEEZNS1_21merge_sort_block_sortIS3_PlS8_PS5_S9_ZN2at6native12_GLOBAL__N_124unique_dim_cuda_templateIjEESt5tupleIJNSA_6TensorESF_SF_EERKSF_lbbbEUlllE_EE10hipError_tT0_T1_T2_T3_mRjT4_P12ihipStream_tbNS1_7vsmem_tEEUlT_E_NS1_11comp_targetILNS1_3genE4ELNS1_11target_archE910ELNS1_3gpuE8ELNS1_3repE0EEENS1_30default_config_static_selectorELNS0_4arch9wavefront6targetE1EEEvSM_
    .private_segment_fixed_size: 0
    .sgpr_count:     6
    .sgpr_spill_count: 0
    .symbol:         _ZN7rocprim17ROCPRIM_400000_NS6detail17trampoline_kernelINS0_14default_configENS1_37merge_sort_block_sort_config_selectorIlNS0_10empty_typeEEEZNS1_21merge_sort_block_sortIS3_PlS8_PS5_S9_ZN2at6native12_GLOBAL__N_124unique_dim_cuda_templateIjEESt5tupleIJNSA_6TensorESF_SF_EERKSF_lbbbEUlllE_EE10hipError_tT0_T1_T2_T3_mRjT4_P12ihipStream_tbNS1_7vsmem_tEEUlT_E_NS1_11comp_targetILNS1_3genE4ELNS1_11target_archE910ELNS1_3gpuE8ELNS1_3repE0EEENS1_30default_config_static_selectorELNS0_4arch9wavefront6targetE1EEEvSM_.kd
    .uniform_work_group_size: 1
    .uses_dynamic_stack: false
    .vgpr_count:     0
    .vgpr_spill_count: 0
    .wavefront_size: 64
  - .agpr_count:     0
    .args:
      - .offset:         0
        .size:           72
        .value_kind:     by_value
    .group_segment_fixed_size: 0
    .kernarg_segment_align: 8
    .kernarg_segment_size: 72
    .language:       OpenCL C
    .language_version:
      - 2
      - 0
    .max_flat_workgroup_size: 256
    .name:           _ZN7rocprim17ROCPRIM_400000_NS6detail17trampoline_kernelINS0_14default_configENS1_37merge_sort_block_sort_config_selectorIlNS0_10empty_typeEEEZNS1_21merge_sort_block_sortIS3_PlS8_PS5_S9_ZN2at6native12_GLOBAL__N_124unique_dim_cuda_templateIjEESt5tupleIJNSA_6TensorESF_SF_EERKSF_lbbbEUlllE_EE10hipError_tT0_T1_T2_T3_mRjT4_P12ihipStream_tbNS1_7vsmem_tEEUlT_E_NS1_11comp_targetILNS1_3genE3ELNS1_11target_archE908ELNS1_3gpuE7ELNS1_3repE0EEENS1_30default_config_static_selectorELNS0_4arch9wavefront6targetE1EEEvSM_
    .private_segment_fixed_size: 0
    .sgpr_count:     6
    .sgpr_spill_count: 0
    .symbol:         _ZN7rocprim17ROCPRIM_400000_NS6detail17trampoline_kernelINS0_14default_configENS1_37merge_sort_block_sort_config_selectorIlNS0_10empty_typeEEEZNS1_21merge_sort_block_sortIS3_PlS8_PS5_S9_ZN2at6native12_GLOBAL__N_124unique_dim_cuda_templateIjEESt5tupleIJNSA_6TensorESF_SF_EERKSF_lbbbEUlllE_EE10hipError_tT0_T1_T2_T3_mRjT4_P12ihipStream_tbNS1_7vsmem_tEEUlT_E_NS1_11comp_targetILNS1_3genE3ELNS1_11target_archE908ELNS1_3gpuE7ELNS1_3repE0EEENS1_30default_config_static_selectorELNS0_4arch9wavefront6targetE1EEEvSM_.kd
    .uniform_work_group_size: 1
    .uses_dynamic_stack: false
    .vgpr_count:     0
    .vgpr_spill_count: 0
    .wavefront_size: 64
  - .agpr_count:     0
    .args:
      - .offset:         0
        .size:           72
        .value_kind:     by_value
    .group_segment_fixed_size: 0
    .kernarg_segment_align: 8
    .kernarg_segment_size: 72
    .language:       OpenCL C
    .language_version:
      - 2
      - 0
    .max_flat_workgroup_size: 256
    .name:           _ZN7rocprim17ROCPRIM_400000_NS6detail17trampoline_kernelINS0_14default_configENS1_37merge_sort_block_sort_config_selectorIlNS0_10empty_typeEEEZNS1_21merge_sort_block_sortIS3_PlS8_PS5_S9_ZN2at6native12_GLOBAL__N_124unique_dim_cuda_templateIjEESt5tupleIJNSA_6TensorESF_SF_EERKSF_lbbbEUlllE_EE10hipError_tT0_T1_T2_T3_mRjT4_P12ihipStream_tbNS1_7vsmem_tEEUlT_E_NS1_11comp_targetILNS1_3genE2ELNS1_11target_archE906ELNS1_3gpuE6ELNS1_3repE0EEENS1_30default_config_static_selectorELNS0_4arch9wavefront6targetE1EEEvSM_
    .private_segment_fixed_size: 0
    .sgpr_count:     6
    .sgpr_spill_count: 0
    .symbol:         _ZN7rocprim17ROCPRIM_400000_NS6detail17trampoline_kernelINS0_14default_configENS1_37merge_sort_block_sort_config_selectorIlNS0_10empty_typeEEEZNS1_21merge_sort_block_sortIS3_PlS8_PS5_S9_ZN2at6native12_GLOBAL__N_124unique_dim_cuda_templateIjEESt5tupleIJNSA_6TensorESF_SF_EERKSF_lbbbEUlllE_EE10hipError_tT0_T1_T2_T3_mRjT4_P12ihipStream_tbNS1_7vsmem_tEEUlT_E_NS1_11comp_targetILNS1_3genE2ELNS1_11target_archE906ELNS1_3gpuE6ELNS1_3repE0EEENS1_30default_config_static_selectorELNS0_4arch9wavefront6targetE1EEEvSM_.kd
    .uniform_work_group_size: 1
    .uses_dynamic_stack: false
    .vgpr_count:     0
    .vgpr_spill_count: 0
    .wavefront_size: 64
  - .agpr_count:     0
    .args:
      - .offset:         0
        .size:           72
        .value_kind:     by_value
    .group_segment_fixed_size: 0
    .kernarg_segment_align: 8
    .kernarg_segment_size: 72
    .language:       OpenCL C
    .language_version:
      - 2
      - 0
    .max_flat_workgroup_size: 256
    .name:           _ZN7rocprim17ROCPRIM_400000_NS6detail17trampoline_kernelINS0_14default_configENS1_37merge_sort_block_sort_config_selectorIlNS0_10empty_typeEEEZNS1_21merge_sort_block_sortIS3_PlS8_PS5_S9_ZN2at6native12_GLOBAL__N_124unique_dim_cuda_templateIjEESt5tupleIJNSA_6TensorESF_SF_EERKSF_lbbbEUlllE_EE10hipError_tT0_T1_T2_T3_mRjT4_P12ihipStream_tbNS1_7vsmem_tEEUlT_E_NS1_11comp_targetILNS1_3genE10ELNS1_11target_archE1201ELNS1_3gpuE5ELNS1_3repE0EEENS1_30default_config_static_selectorELNS0_4arch9wavefront6targetE1EEEvSM_
    .private_segment_fixed_size: 0
    .sgpr_count:     6
    .sgpr_spill_count: 0
    .symbol:         _ZN7rocprim17ROCPRIM_400000_NS6detail17trampoline_kernelINS0_14default_configENS1_37merge_sort_block_sort_config_selectorIlNS0_10empty_typeEEEZNS1_21merge_sort_block_sortIS3_PlS8_PS5_S9_ZN2at6native12_GLOBAL__N_124unique_dim_cuda_templateIjEESt5tupleIJNSA_6TensorESF_SF_EERKSF_lbbbEUlllE_EE10hipError_tT0_T1_T2_T3_mRjT4_P12ihipStream_tbNS1_7vsmem_tEEUlT_E_NS1_11comp_targetILNS1_3genE10ELNS1_11target_archE1201ELNS1_3gpuE5ELNS1_3repE0EEENS1_30default_config_static_selectorELNS0_4arch9wavefront6targetE1EEEvSM_.kd
    .uniform_work_group_size: 1
    .uses_dynamic_stack: false
    .vgpr_count:     0
    .vgpr_spill_count: 0
    .wavefront_size: 64
  - .agpr_count:     0
    .args:
      - .offset:         0
        .size:           72
        .value_kind:     by_value
    .group_segment_fixed_size: 0
    .kernarg_segment_align: 8
    .kernarg_segment_size: 72
    .language:       OpenCL C
    .language_version:
      - 2
      - 0
    .max_flat_workgroup_size: 512
    .name:           _ZN7rocprim17ROCPRIM_400000_NS6detail17trampoline_kernelINS0_14default_configENS1_37merge_sort_block_sort_config_selectorIlNS0_10empty_typeEEEZNS1_21merge_sort_block_sortIS3_PlS8_PS5_S9_ZN2at6native12_GLOBAL__N_124unique_dim_cuda_templateIjEESt5tupleIJNSA_6TensorESF_SF_EERKSF_lbbbEUlllE_EE10hipError_tT0_T1_T2_T3_mRjT4_P12ihipStream_tbNS1_7vsmem_tEEUlT_E_NS1_11comp_targetILNS1_3genE10ELNS1_11target_archE1200ELNS1_3gpuE4ELNS1_3repE0EEENS1_30default_config_static_selectorELNS0_4arch9wavefront6targetE1EEEvSM_
    .private_segment_fixed_size: 0
    .sgpr_count:     6
    .sgpr_spill_count: 0
    .symbol:         _ZN7rocprim17ROCPRIM_400000_NS6detail17trampoline_kernelINS0_14default_configENS1_37merge_sort_block_sort_config_selectorIlNS0_10empty_typeEEEZNS1_21merge_sort_block_sortIS3_PlS8_PS5_S9_ZN2at6native12_GLOBAL__N_124unique_dim_cuda_templateIjEESt5tupleIJNSA_6TensorESF_SF_EERKSF_lbbbEUlllE_EE10hipError_tT0_T1_T2_T3_mRjT4_P12ihipStream_tbNS1_7vsmem_tEEUlT_E_NS1_11comp_targetILNS1_3genE10ELNS1_11target_archE1200ELNS1_3gpuE4ELNS1_3repE0EEENS1_30default_config_static_selectorELNS0_4arch9wavefront6targetE1EEEvSM_.kd
    .uniform_work_group_size: 1
    .uses_dynamic_stack: false
    .vgpr_count:     0
    .vgpr_spill_count: 0
    .wavefront_size: 64
  - .agpr_count:     0
    .args:
      - .offset:         0
        .size:           72
        .value_kind:     by_value
    .group_segment_fixed_size: 0
    .kernarg_segment_align: 8
    .kernarg_segment_size: 72
    .language:       OpenCL C
    .language_version:
      - 2
      - 0
    .max_flat_workgroup_size: 256
    .name:           _ZN7rocprim17ROCPRIM_400000_NS6detail17trampoline_kernelINS0_14default_configENS1_37merge_sort_block_sort_config_selectorIlNS0_10empty_typeEEEZNS1_21merge_sort_block_sortIS3_PlS8_PS5_S9_ZN2at6native12_GLOBAL__N_124unique_dim_cuda_templateIjEESt5tupleIJNSA_6TensorESF_SF_EERKSF_lbbbEUlllE_EE10hipError_tT0_T1_T2_T3_mRjT4_P12ihipStream_tbNS1_7vsmem_tEEUlT_E_NS1_11comp_targetILNS1_3genE9ELNS1_11target_archE1100ELNS1_3gpuE3ELNS1_3repE0EEENS1_30default_config_static_selectorELNS0_4arch9wavefront6targetE1EEEvSM_
    .private_segment_fixed_size: 0
    .sgpr_count:     6
    .sgpr_spill_count: 0
    .symbol:         _ZN7rocprim17ROCPRIM_400000_NS6detail17trampoline_kernelINS0_14default_configENS1_37merge_sort_block_sort_config_selectorIlNS0_10empty_typeEEEZNS1_21merge_sort_block_sortIS3_PlS8_PS5_S9_ZN2at6native12_GLOBAL__N_124unique_dim_cuda_templateIjEESt5tupleIJNSA_6TensorESF_SF_EERKSF_lbbbEUlllE_EE10hipError_tT0_T1_T2_T3_mRjT4_P12ihipStream_tbNS1_7vsmem_tEEUlT_E_NS1_11comp_targetILNS1_3genE9ELNS1_11target_archE1100ELNS1_3gpuE3ELNS1_3repE0EEENS1_30default_config_static_selectorELNS0_4arch9wavefront6targetE1EEEvSM_.kd
    .uniform_work_group_size: 1
    .uses_dynamic_stack: false
    .vgpr_count:     0
    .vgpr_spill_count: 0
    .wavefront_size: 64
  - .agpr_count:     0
    .args:
      - .offset:         0
        .size:           72
        .value_kind:     by_value
    .group_segment_fixed_size: 0
    .kernarg_segment_align: 8
    .kernarg_segment_size: 72
    .language:       OpenCL C
    .language_version:
      - 2
      - 0
    .max_flat_workgroup_size: 256
    .name:           _ZN7rocprim17ROCPRIM_400000_NS6detail17trampoline_kernelINS0_14default_configENS1_37merge_sort_block_sort_config_selectorIlNS0_10empty_typeEEEZNS1_21merge_sort_block_sortIS3_PlS8_PS5_S9_ZN2at6native12_GLOBAL__N_124unique_dim_cuda_templateIjEESt5tupleIJNSA_6TensorESF_SF_EERKSF_lbbbEUlllE_EE10hipError_tT0_T1_T2_T3_mRjT4_P12ihipStream_tbNS1_7vsmem_tEEUlT_E_NS1_11comp_targetILNS1_3genE8ELNS1_11target_archE1030ELNS1_3gpuE2ELNS1_3repE0EEENS1_30default_config_static_selectorELNS0_4arch9wavefront6targetE1EEEvSM_
    .private_segment_fixed_size: 0
    .sgpr_count:     6
    .sgpr_spill_count: 0
    .symbol:         _ZN7rocprim17ROCPRIM_400000_NS6detail17trampoline_kernelINS0_14default_configENS1_37merge_sort_block_sort_config_selectorIlNS0_10empty_typeEEEZNS1_21merge_sort_block_sortIS3_PlS8_PS5_S9_ZN2at6native12_GLOBAL__N_124unique_dim_cuda_templateIjEESt5tupleIJNSA_6TensorESF_SF_EERKSF_lbbbEUlllE_EE10hipError_tT0_T1_T2_T3_mRjT4_P12ihipStream_tbNS1_7vsmem_tEEUlT_E_NS1_11comp_targetILNS1_3genE8ELNS1_11target_archE1030ELNS1_3gpuE2ELNS1_3repE0EEENS1_30default_config_static_selectorELNS0_4arch9wavefront6targetE1EEEvSM_.kd
    .uniform_work_group_size: 1
    .uses_dynamic_stack: false
    .vgpr_count:     0
    .vgpr_spill_count: 0
    .wavefront_size: 64
  - .agpr_count:     0
    .args:
      - .offset:         0
        .size:           56
        .value_kind:     by_value
    .group_segment_fixed_size: 0
    .kernarg_segment_align: 8
    .kernarg_segment_size: 56
    .language:       OpenCL C
    .language_version:
      - 2
      - 0
    .max_flat_workgroup_size: 128
    .name:           _ZN7rocprim17ROCPRIM_400000_NS6detail17trampoline_kernelINS0_14default_configENS1_38merge_sort_block_merge_config_selectorIlNS0_10empty_typeEEEZZNS1_27merge_sort_block_merge_implIS3_PlPS5_mZN2at6native12_GLOBAL__N_124unique_dim_cuda_templateIjEESt5tupleIJNSA_6TensorESF_SF_EERKSF_lbbbEUlllE_EE10hipError_tT0_T1_T2_jT3_P12ihipStream_tbPNSt15iterator_traitsISL_E10value_typeEPNSR_ISM_E10value_typeEPSN_NS1_7vsmem_tEENKUlT_SL_SM_SN_E_clIS8_S8_S9_S9_EESK_S10_SL_SM_SN_EUlS10_E_NS1_11comp_targetILNS1_3genE0ELNS1_11target_archE4294967295ELNS1_3gpuE0ELNS1_3repE0EEENS1_48merge_mergepath_partition_config_static_selectorELNS0_4arch9wavefront6targetE1EEEvSM_
    .private_segment_fixed_size: 0
    .sgpr_count:     6
    .sgpr_spill_count: 0
    .symbol:         _ZN7rocprim17ROCPRIM_400000_NS6detail17trampoline_kernelINS0_14default_configENS1_38merge_sort_block_merge_config_selectorIlNS0_10empty_typeEEEZZNS1_27merge_sort_block_merge_implIS3_PlPS5_mZN2at6native12_GLOBAL__N_124unique_dim_cuda_templateIjEESt5tupleIJNSA_6TensorESF_SF_EERKSF_lbbbEUlllE_EE10hipError_tT0_T1_T2_jT3_P12ihipStream_tbPNSt15iterator_traitsISL_E10value_typeEPNSR_ISM_E10value_typeEPSN_NS1_7vsmem_tEENKUlT_SL_SM_SN_E_clIS8_S8_S9_S9_EESK_S10_SL_SM_SN_EUlS10_E_NS1_11comp_targetILNS1_3genE0ELNS1_11target_archE4294967295ELNS1_3gpuE0ELNS1_3repE0EEENS1_48merge_mergepath_partition_config_static_selectorELNS0_4arch9wavefront6targetE1EEEvSM_.kd
    .uniform_work_group_size: 1
    .uses_dynamic_stack: false
    .vgpr_count:     0
    .vgpr_spill_count: 0
    .wavefront_size: 64
  - .agpr_count:     0
    .args:
      - .offset:         0
        .size:           56
        .value_kind:     by_value
    .group_segment_fixed_size: 0
    .kernarg_segment_align: 8
    .kernarg_segment_size: 56
    .language:       OpenCL C
    .language_version:
      - 2
      - 0
    .max_flat_workgroup_size: 128
    .name:           _ZN7rocprim17ROCPRIM_400000_NS6detail17trampoline_kernelINS0_14default_configENS1_38merge_sort_block_merge_config_selectorIlNS0_10empty_typeEEEZZNS1_27merge_sort_block_merge_implIS3_PlPS5_mZN2at6native12_GLOBAL__N_124unique_dim_cuda_templateIjEESt5tupleIJNSA_6TensorESF_SF_EERKSF_lbbbEUlllE_EE10hipError_tT0_T1_T2_jT3_P12ihipStream_tbPNSt15iterator_traitsISL_E10value_typeEPNSR_ISM_E10value_typeEPSN_NS1_7vsmem_tEENKUlT_SL_SM_SN_E_clIS8_S8_S9_S9_EESK_S10_SL_SM_SN_EUlS10_E_NS1_11comp_targetILNS1_3genE10ELNS1_11target_archE1201ELNS1_3gpuE5ELNS1_3repE0EEENS1_48merge_mergepath_partition_config_static_selectorELNS0_4arch9wavefront6targetE1EEEvSM_
    .private_segment_fixed_size: 0
    .sgpr_count:     6
    .sgpr_spill_count: 0
    .symbol:         _ZN7rocprim17ROCPRIM_400000_NS6detail17trampoline_kernelINS0_14default_configENS1_38merge_sort_block_merge_config_selectorIlNS0_10empty_typeEEEZZNS1_27merge_sort_block_merge_implIS3_PlPS5_mZN2at6native12_GLOBAL__N_124unique_dim_cuda_templateIjEESt5tupleIJNSA_6TensorESF_SF_EERKSF_lbbbEUlllE_EE10hipError_tT0_T1_T2_jT3_P12ihipStream_tbPNSt15iterator_traitsISL_E10value_typeEPNSR_ISM_E10value_typeEPSN_NS1_7vsmem_tEENKUlT_SL_SM_SN_E_clIS8_S8_S9_S9_EESK_S10_SL_SM_SN_EUlS10_E_NS1_11comp_targetILNS1_3genE10ELNS1_11target_archE1201ELNS1_3gpuE5ELNS1_3repE0EEENS1_48merge_mergepath_partition_config_static_selectorELNS0_4arch9wavefront6targetE1EEEvSM_.kd
    .uniform_work_group_size: 1
    .uses_dynamic_stack: false
    .vgpr_count:     0
    .vgpr_spill_count: 0
    .wavefront_size: 64
  - .agpr_count:     0
    .args:
      - .offset:         0
        .size:           56
        .value_kind:     by_value
    .group_segment_fixed_size: 0
    .kernarg_segment_align: 8
    .kernarg_segment_size: 56
    .language:       OpenCL C
    .language_version:
      - 2
      - 0
    .max_flat_workgroup_size: 128
    .name:           _ZN7rocprim17ROCPRIM_400000_NS6detail17trampoline_kernelINS0_14default_configENS1_38merge_sort_block_merge_config_selectorIlNS0_10empty_typeEEEZZNS1_27merge_sort_block_merge_implIS3_PlPS5_mZN2at6native12_GLOBAL__N_124unique_dim_cuda_templateIjEESt5tupleIJNSA_6TensorESF_SF_EERKSF_lbbbEUlllE_EE10hipError_tT0_T1_T2_jT3_P12ihipStream_tbPNSt15iterator_traitsISL_E10value_typeEPNSR_ISM_E10value_typeEPSN_NS1_7vsmem_tEENKUlT_SL_SM_SN_E_clIS8_S8_S9_S9_EESK_S10_SL_SM_SN_EUlS10_E_NS1_11comp_targetILNS1_3genE5ELNS1_11target_archE942ELNS1_3gpuE9ELNS1_3repE0EEENS1_48merge_mergepath_partition_config_static_selectorELNS0_4arch9wavefront6targetE1EEEvSM_
    .private_segment_fixed_size: 0
    .sgpr_count:     42
    .sgpr_spill_count: 0
    .symbol:         _ZN7rocprim17ROCPRIM_400000_NS6detail17trampoline_kernelINS0_14default_configENS1_38merge_sort_block_merge_config_selectorIlNS0_10empty_typeEEEZZNS1_27merge_sort_block_merge_implIS3_PlPS5_mZN2at6native12_GLOBAL__N_124unique_dim_cuda_templateIjEESt5tupleIJNSA_6TensorESF_SF_EERKSF_lbbbEUlllE_EE10hipError_tT0_T1_T2_jT3_P12ihipStream_tbPNSt15iterator_traitsISL_E10value_typeEPNSR_ISM_E10value_typeEPSN_NS1_7vsmem_tEENKUlT_SL_SM_SN_E_clIS8_S8_S9_S9_EESK_S10_SL_SM_SN_EUlS10_E_NS1_11comp_targetILNS1_3genE5ELNS1_11target_archE942ELNS1_3gpuE9ELNS1_3repE0EEENS1_48merge_mergepath_partition_config_static_selectorELNS0_4arch9wavefront6targetE1EEEvSM_.kd
    .uniform_work_group_size: 1
    .uses_dynamic_stack: false
    .vgpr_count:     23
    .vgpr_spill_count: 0
    .wavefront_size: 64
  - .agpr_count:     0
    .args:
      - .offset:         0
        .size:           56
        .value_kind:     by_value
    .group_segment_fixed_size: 0
    .kernarg_segment_align: 8
    .kernarg_segment_size: 56
    .language:       OpenCL C
    .language_version:
      - 2
      - 0
    .max_flat_workgroup_size: 128
    .name:           _ZN7rocprim17ROCPRIM_400000_NS6detail17trampoline_kernelINS0_14default_configENS1_38merge_sort_block_merge_config_selectorIlNS0_10empty_typeEEEZZNS1_27merge_sort_block_merge_implIS3_PlPS5_mZN2at6native12_GLOBAL__N_124unique_dim_cuda_templateIjEESt5tupleIJNSA_6TensorESF_SF_EERKSF_lbbbEUlllE_EE10hipError_tT0_T1_T2_jT3_P12ihipStream_tbPNSt15iterator_traitsISL_E10value_typeEPNSR_ISM_E10value_typeEPSN_NS1_7vsmem_tEENKUlT_SL_SM_SN_E_clIS8_S8_S9_S9_EESK_S10_SL_SM_SN_EUlS10_E_NS1_11comp_targetILNS1_3genE4ELNS1_11target_archE910ELNS1_3gpuE8ELNS1_3repE0EEENS1_48merge_mergepath_partition_config_static_selectorELNS0_4arch9wavefront6targetE1EEEvSM_
    .private_segment_fixed_size: 0
    .sgpr_count:     6
    .sgpr_spill_count: 0
    .symbol:         _ZN7rocprim17ROCPRIM_400000_NS6detail17trampoline_kernelINS0_14default_configENS1_38merge_sort_block_merge_config_selectorIlNS0_10empty_typeEEEZZNS1_27merge_sort_block_merge_implIS3_PlPS5_mZN2at6native12_GLOBAL__N_124unique_dim_cuda_templateIjEESt5tupleIJNSA_6TensorESF_SF_EERKSF_lbbbEUlllE_EE10hipError_tT0_T1_T2_jT3_P12ihipStream_tbPNSt15iterator_traitsISL_E10value_typeEPNSR_ISM_E10value_typeEPSN_NS1_7vsmem_tEENKUlT_SL_SM_SN_E_clIS8_S8_S9_S9_EESK_S10_SL_SM_SN_EUlS10_E_NS1_11comp_targetILNS1_3genE4ELNS1_11target_archE910ELNS1_3gpuE8ELNS1_3repE0EEENS1_48merge_mergepath_partition_config_static_selectorELNS0_4arch9wavefront6targetE1EEEvSM_.kd
    .uniform_work_group_size: 1
    .uses_dynamic_stack: false
    .vgpr_count:     0
    .vgpr_spill_count: 0
    .wavefront_size: 64
  - .agpr_count:     0
    .args:
      - .offset:         0
        .size:           56
        .value_kind:     by_value
    .group_segment_fixed_size: 0
    .kernarg_segment_align: 8
    .kernarg_segment_size: 56
    .language:       OpenCL C
    .language_version:
      - 2
      - 0
    .max_flat_workgroup_size: 128
    .name:           _ZN7rocprim17ROCPRIM_400000_NS6detail17trampoline_kernelINS0_14default_configENS1_38merge_sort_block_merge_config_selectorIlNS0_10empty_typeEEEZZNS1_27merge_sort_block_merge_implIS3_PlPS5_mZN2at6native12_GLOBAL__N_124unique_dim_cuda_templateIjEESt5tupleIJNSA_6TensorESF_SF_EERKSF_lbbbEUlllE_EE10hipError_tT0_T1_T2_jT3_P12ihipStream_tbPNSt15iterator_traitsISL_E10value_typeEPNSR_ISM_E10value_typeEPSN_NS1_7vsmem_tEENKUlT_SL_SM_SN_E_clIS8_S8_S9_S9_EESK_S10_SL_SM_SN_EUlS10_E_NS1_11comp_targetILNS1_3genE3ELNS1_11target_archE908ELNS1_3gpuE7ELNS1_3repE0EEENS1_48merge_mergepath_partition_config_static_selectorELNS0_4arch9wavefront6targetE1EEEvSM_
    .private_segment_fixed_size: 0
    .sgpr_count:     6
    .sgpr_spill_count: 0
    .symbol:         _ZN7rocprim17ROCPRIM_400000_NS6detail17trampoline_kernelINS0_14default_configENS1_38merge_sort_block_merge_config_selectorIlNS0_10empty_typeEEEZZNS1_27merge_sort_block_merge_implIS3_PlPS5_mZN2at6native12_GLOBAL__N_124unique_dim_cuda_templateIjEESt5tupleIJNSA_6TensorESF_SF_EERKSF_lbbbEUlllE_EE10hipError_tT0_T1_T2_jT3_P12ihipStream_tbPNSt15iterator_traitsISL_E10value_typeEPNSR_ISM_E10value_typeEPSN_NS1_7vsmem_tEENKUlT_SL_SM_SN_E_clIS8_S8_S9_S9_EESK_S10_SL_SM_SN_EUlS10_E_NS1_11comp_targetILNS1_3genE3ELNS1_11target_archE908ELNS1_3gpuE7ELNS1_3repE0EEENS1_48merge_mergepath_partition_config_static_selectorELNS0_4arch9wavefront6targetE1EEEvSM_.kd
    .uniform_work_group_size: 1
    .uses_dynamic_stack: false
    .vgpr_count:     0
    .vgpr_spill_count: 0
    .wavefront_size: 64
  - .agpr_count:     0
    .args:
      - .offset:         0
        .size:           56
        .value_kind:     by_value
    .group_segment_fixed_size: 0
    .kernarg_segment_align: 8
    .kernarg_segment_size: 56
    .language:       OpenCL C
    .language_version:
      - 2
      - 0
    .max_flat_workgroup_size: 128
    .name:           _ZN7rocprim17ROCPRIM_400000_NS6detail17trampoline_kernelINS0_14default_configENS1_38merge_sort_block_merge_config_selectorIlNS0_10empty_typeEEEZZNS1_27merge_sort_block_merge_implIS3_PlPS5_mZN2at6native12_GLOBAL__N_124unique_dim_cuda_templateIjEESt5tupleIJNSA_6TensorESF_SF_EERKSF_lbbbEUlllE_EE10hipError_tT0_T1_T2_jT3_P12ihipStream_tbPNSt15iterator_traitsISL_E10value_typeEPNSR_ISM_E10value_typeEPSN_NS1_7vsmem_tEENKUlT_SL_SM_SN_E_clIS8_S8_S9_S9_EESK_S10_SL_SM_SN_EUlS10_E_NS1_11comp_targetILNS1_3genE2ELNS1_11target_archE906ELNS1_3gpuE6ELNS1_3repE0EEENS1_48merge_mergepath_partition_config_static_selectorELNS0_4arch9wavefront6targetE1EEEvSM_
    .private_segment_fixed_size: 0
    .sgpr_count:     6
    .sgpr_spill_count: 0
    .symbol:         _ZN7rocprim17ROCPRIM_400000_NS6detail17trampoline_kernelINS0_14default_configENS1_38merge_sort_block_merge_config_selectorIlNS0_10empty_typeEEEZZNS1_27merge_sort_block_merge_implIS3_PlPS5_mZN2at6native12_GLOBAL__N_124unique_dim_cuda_templateIjEESt5tupleIJNSA_6TensorESF_SF_EERKSF_lbbbEUlllE_EE10hipError_tT0_T1_T2_jT3_P12ihipStream_tbPNSt15iterator_traitsISL_E10value_typeEPNSR_ISM_E10value_typeEPSN_NS1_7vsmem_tEENKUlT_SL_SM_SN_E_clIS8_S8_S9_S9_EESK_S10_SL_SM_SN_EUlS10_E_NS1_11comp_targetILNS1_3genE2ELNS1_11target_archE906ELNS1_3gpuE6ELNS1_3repE0EEENS1_48merge_mergepath_partition_config_static_selectorELNS0_4arch9wavefront6targetE1EEEvSM_.kd
    .uniform_work_group_size: 1
    .uses_dynamic_stack: false
    .vgpr_count:     0
    .vgpr_spill_count: 0
    .wavefront_size: 64
  - .agpr_count:     0
    .args:
      - .offset:         0
        .size:           56
        .value_kind:     by_value
    .group_segment_fixed_size: 0
    .kernarg_segment_align: 8
    .kernarg_segment_size: 56
    .language:       OpenCL C
    .language_version:
      - 2
      - 0
    .max_flat_workgroup_size: 128
    .name:           _ZN7rocprim17ROCPRIM_400000_NS6detail17trampoline_kernelINS0_14default_configENS1_38merge_sort_block_merge_config_selectorIlNS0_10empty_typeEEEZZNS1_27merge_sort_block_merge_implIS3_PlPS5_mZN2at6native12_GLOBAL__N_124unique_dim_cuda_templateIjEESt5tupleIJNSA_6TensorESF_SF_EERKSF_lbbbEUlllE_EE10hipError_tT0_T1_T2_jT3_P12ihipStream_tbPNSt15iterator_traitsISL_E10value_typeEPNSR_ISM_E10value_typeEPSN_NS1_7vsmem_tEENKUlT_SL_SM_SN_E_clIS8_S8_S9_S9_EESK_S10_SL_SM_SN_EUlS10_E_NS1_11comp_targetILNS1_3genE9ELNS1_11target_archE1100ELNS1_3gpuE3ELNS1_3repE0EEENS1_48merge_mergepath_partition_config_static_selectorELNS0_4arch9wavefront6targetE1EEEvSM_
    .private_segment_fixed_size: 0
    .sgpr_count:     6
    .sgpr_spill_count: 0
    .symbol:         _ZN7rocprim17ROCPRIM_400000_NS6detail17trampoline_kernelINS0_14default_configENS1_38merge_sort_block_merge_config_selectorIlNS0_10empty_typeEEEZZNS1_27merge_sort_block_merge_implIS3_PlPS5_mZN2at6native12_GLOBAL__N_124unique_dim_cuda_templateIjEESt5tupleIJNSA_6TensorESF_SF_EERKSF_lbbbEUlllE_EE10hipError_tT0_T1_T2_jT3_P12ihipStream_tbPNSt15iterator_traitsISL_E10value_typeEPNSR_ISM_E10value_typeEPSN_NS1_7vsmem_tEENKUlT_SL_SM_SN_E_clIS8_S8_S9_S9_EESK_S10_SL_SM_SN_EUlS10_E_NS1_11comp_targetILNS1_3genE9ELNS1_11target_archE1100ELNS1_3gpuE3ELNS1_3repE0EEENS1_48merge_mergepath_partition_config_static_selectorELNS0_4arch9wavefront6targetE1EEEvSM_.kd
    .uniform_work_group_size: 1
    .uses_dynamic_stack: false
    .vgpr_count:     0
    .vgpr_spill_count: 0
    .wavefront_size: 64
  - .agpr_count:     0
    .args:
      - .offset:         0
        .size:           56
        .value_kind:     by_value
    .group_segment_fixed_size: 0
    .kernarg_segment_align: 8
    .kernarg_segment_size: 56
    .language:       OpenCL C
    .language_version:
      - 2
      - 0
    .max_flat_workgroup_size: 128
    .name:           _ZN7rocprim17ROCPRIM_400000_NS6detail17trampoline_kernelINS0_14default_configENS1_38merge_sort_block_merge_config_selectorIlNS0_10empty_typeEEEZZNS1_27merge_sort_block_merge_implIS3_PlPS5_mZN2at6native12_GLOBAL__N_124unique_dim_cuda_templateIjEESt5tupleIJNSA_6TensorESF_SF_EERKSF_lbbbEUlllE_EE10hipError_tT0_T1_T2_jT3_P12ihipStream_tbPNSt15iterator_traitsISL_E10value_typeEPNSR_ISM_E10value_typeEPSN_NS1_7vsmem_tEENKUlT_SL_SM_SN_E_clIS8_S8_S9_S9_EESK_S10_SL_SM_SN_EUlS10_E_NS1_11comp_targetILNS1_3genE8ELNS1_11target_archE1030ELNS1_3gpuE2ELNS1_3repE0EEENS1_48merge_mergepath_partition_config_static_selectorELNS0_4arch9wavefront6targetE1EEEvSM_
    .private_segment_fixed_size: 0
    .sgpr_count:     6
    .sgpr_spill_count: 0
    .symbol:         _ZN7rocprim17ROCPRIM_400000_NS6detail17trampoline_kernelINS0_14default_configENS1_38merge_sort_block_merge_config_selectorIlNS0_10empty_typeEEEZZNS1_27merge_sort_block_merge_implIS3_PlPS5_mZN2at6native12_GLOBAL__N_124unique_dim_cuda_templateIjEESt5tupleIJNSA_6TensorESF_SF_EERKSF_lbbbEUlllE_EE10hipError_tT0_T1_T2_jT3_P12ihipStream_tbPNSt15iterator_traitsISL_E10value_typeEPNSR_ISM_E10value_typeEPSN_NS1_7vsmem_tEENKUlT_SL_SM_SN_E_clIS8_S8_S9_S9_EESK_S10_SL_SM_SN_EUlS10_E_NS1_11comp_targetILNS1_3genE8ELNS1_11target_archE1030ELNS1_3gpuE2ELNS1_3repE0EEENS1_48merge_mergepath_partition_config_static_selectorELNS0_4arch9wavefront6targetE1EEEvSM_.kd
    .uniform_work_group_size: 1
    .uses_dynamic_stack: false
    .vgpr_count:     0
    .vgpr_spill_count: 0
    .wavefront_size: 64
  - .agpr_count:     0
    .args:
      - .offset:         0
        .size:           88
        .value_kind:     by_value
    .group_segment_fixed_size: 0
    .kernarg_segment_align: 8
    .kernarg_segment_size: 88
    .language:       OpenCL C
    .language_version:
      - 2
      - 0
    .max_flat_workgroup_size: 128
    .name:           _ZN7rocprim17ROCPRIM_400000_NS6detail17trampoline_kernelINS0_14default_configENS1_38merge_sort_block_merge_config_selectorIlNS0_10empty_typeEEEZZNS1_27merge_sort_block_merge_implIS3_PlPS5_mZN2at6native12_GLOBAL__N_124unique_dim_cuda_templateIjEESt5tupleIJNSA_6TensorESF_SF_EERKSF_lbbbEUlllE_EE10hipError_tT0_T1_T2_jT3_P12ihipStream_tbPNSt15iterator_traitsISL_E10value_typeEPNSR_ISM_E10value_typeEPSN_NS1_7vsmem_tEENKUlT_SL_SM_SN_E_clIS8_S8_S9_S9_EESK_S10_SL_SM_SN_EUlS10_E0_NS1_11comp_targetILNS1_3genE0ELNS1_11target_archE4294967295ELNS1_3gpuE0ELNS1_3repE0EEENS1_38merge_mergepath_config_static_selectorELNS0_4arch9wavefront6targetE1EEEvSM_
    .private_segment_fixed_size: 0
    .sgpr_count:     6
    .sgpr_spill_count: 0
    .symbol:         _ZN7rocprim17ROCPRIM_400000_NS6detail17trampoline_kernelINS0_14default_configENS1_38merge_sort_block_merge_config_selectorIlNS0_10empty_typeEEEZZNS1_27merge_sort_block_merge_implIS3_PlPS5_mZN2at6native12_GLOBAL__N_124unique_dim_cuda_templateIjEESt5tupleIJNSA_6TensorESF_SF_EERKSF_lbbbEUlllE_EE10hipError_tT0_T1_T2_jT3_P12ihipStream_tbPNSt15iterator_traitsISL_E10value_typeEPNSR_ISM_E10value_typeEPSN_NS1_7vsmem_tEENKUlT_SL_SM_SN_E_clIS8_S8_S9_S9_EESK_S10_SL_SM_SN_EUlS10_E0_NS1_11comp_targetILNS1_3genE0ELNS1_11target_archE4294967295ELNS1_3gpuE0ELNS1_3repE0EEENS1_38merge_mergepath_config_static_selectorELNS0_4arch9wavefront6targetE1EEEvSM_.kd
    .uniform_work_group_size: 1
    .uses_dynamic_stack: false
    .vgpr_count:     0
    .vgpr_spill_count: 0
    .wavefront_size: 64
  - .agpr_count:     0
    .args:
      - .offset:         0
        .size:           88
        .value_kind:     by_value
    .group_segment_fixed_size: 0
    .kernarg_segment_align: 8
    .kernarg_segment_size: 88
    .language:       OpenCL C
    .language_version:
      - 2
      - 0
    .max_flat_workgroup_size: 512
    .name:           _ZN7rocprim17ROCPRIM_400000_NS6detail17trampoline_kernelINS0_14default_configENS1_38merge_sort_block_merge_config_selectorIlNS0_10empty_typeEEEZZNS1_27merge_sort_block_merge_implIS3_PlPS5_mZN2at6native12_GLOBAL__N_124unique_dim_cuda_templateIjEESt5tupleIJNSA_6TensorESF_SF_EERKSF_lbbbEUlllE_EE10hipError_tT0_T1_T2_jT3_P12ihipStream_tbPNSt15iterator_traitsISL_E10value_typeEPNSR_ISM_E10value_typeEPSN_NS1_7vsmem_tEENKUlT_SL_SM_SN_E_clIS8_S8_S9_S9_EESK_S10_SL_SM_SN_EUlS10_E0_NS1_11comp_targetILNS1_3genE10ELNS1_11target_archE1201ELNS1_3gpuE5ELNS1_3repE0EEENS1_38merge_mergepath_config_static_selectorELNS0_4arch9wavefront6targetE1EEEvSM_
    .private_segment_fixed_size: 0
    .sgpr_count:     6
    .sgpr_spill_count: 0
    .symbol:         _ZN7rocprim17ROCPRIM_400000_NS6detail17trampoline_kernelINS0_14default_configENS1_38merge_sort_block_merge_config_selectorIlNS0_10empty_typeEEEZZNS1_27merge_sort_block_merge_implIS3_PlPS5_mZN2at6native12_GLOBAL__N_124unique_dim_cuda_templateIjEESt5tupleIJNSA_6TensorESF_SF_EERKSF_lbbbEUlllE_EE10hipError_tT0_T1_T2_jT3_P12ihipStream_tbPNSt15iterator_traitsISL_E10value_typeEPNSR_ISM_E10value_typeEPSN_NS1_7vsmem_tEENKUlT_SL_SM_SN_E_clIS8_S8_S9_S9_EESK_S10_SL_SM_SN_EUlS10_E0_NS1_11comp_targetILNS1_3genE10ELNS1_11target_archE1201ELNS1_3gpuE5ELNS1_3repE0EEENS1_38merge_mergepath_config_static_selectorELNS0_4arch9wavefront6targetE1EEEvSM_.kd
    .uniform_work_group_size: 1
    .uses_dynamic_stack: false
    .vgpr_count:     0
    .vgpr_spill_count: 0
    .wavefront_size: 64
  - .agpr_count:     0
    .args:
      - .offset:         0
        .size:           88
        .value_kind:     by_value
      - .offset:         88
        .size:           4
        .value_kind:     hidden_block_count_x
      - .offset:         92
        .size:           4
        .value_kind:     hidden_block_count_y
      - .offset:         96
        .size:           4
        .value_kind:     hidden_block_count_z
      - .offset:         100
        .size:           2
        .value_kind:     hidden_group_size_x
      - .offset:         102
        .size:           2
        .value_kind:     hidden_group_size_y
      - .offset:         104
        .size:           2
        .value_kind:     hidden_group_size_z
      - .offset:         106
        .size:           2
        .value_kind:     hidden_remainder_x
      - .offset:         108
        .size:           2
        .value_kind:     hidden_remainder_y
      - .offset:         110
        .size:           2
        .value_kind:     hidden_remainder_z
      - .offset:         128
        .size:           8
        .value_kind:     hidden_global_offset_x
      - .offset:         136
        .size:           8
        .value_kind:     hidden_global_offset_y
      - .offset:         144
        .size:           8
        .value_kind:     hidden_global_offset_z
      - .offset:         152
        .size:           2
        .value_kind:     hidden_grid_dims
    .group_segment_fixed_size: 8448
    .kernarg_segment_align: 8
    .kernarg_segment_size: 344
    .language:       OpenCL C
    .language_version:
      - 2
      - 0
    .max_flat_workgroup_size: 128
    .name:           _ZN7rocprim17ROCPRIM_400000_NS6detail17trampoline_kernelINS0_14default_configENS1_38merge_sort_block_merge_config_selectorIlNS0_10empty_typeEEEZZNS1_27merge_sort_block_merge_implIS3_PlPS5_mZN2at6native12_GLOBAL__N_124unique_dim_cuda_templateIjEESt5tupleIJNSA_6TensorESF_SF_EERKSF_lbbbEUlllE_EE10hipError_tT0_T1_T2_jT3_P12ihipStream_tbPNSt15iterator_traitsISL_E10value_typeEPNSR_ISM_E10value_typeEPSN_NS1_7vsmem_tEENKUlT_SL_SM_SN_E_clIS8_S8_S9_S9_EESK_S10_SL_SM_SN_EUlS10_E0_NS1_11comp_targetILNS1_3genE5ELNS1_11target_archE942ELNS1_3gpuE9ELNS1_3repE0EEENS1_38merge_mergepath_config_static_selectorELNS0_4arch9wavefront6targetE1EEEvSM_
    .private_segment_fixed_size: 0
    .sgpr_count:     60
    .sgpr_spill_count: 0
    .symbol:         _ZN7rocprim17ROCPRIM_400000_NS6detail17trampoline_kernelINS0_14default_configENS1_38merge_sort_block_merge_config_selectorIlNS0_10empty_typeEEEZZNS1_27merge_sort_block_merge_implIS3_PlPS5_mZN2at6native12_GLOBAL__N_124unique_dim_cuda_templateIjEESt5tupleIJNSA_6TensorESF_SF_EERKSF_lbbbEUlllE_EE10hipError_tT0_T1_T2_jT3_P12ihipStream_tbPNSt15iterator_traitsISL_E10value_typeEPNSR_ISM_E10value_typeEPSN_NS1_7vsmem_tEENKUlT_SL_SM_SN_E_clIS8_S8_S9_S9_EESK_S10_SL_SM_SN_EUlS10_E0_NS1_11comp_targetILNS1_3genE5ELNS1_11target_archE942ELNS1_3gpuE9ELNS1_3repE0EEENS1_38merge_mergepath_config_static_selectorELNS0_4arch9wavefront6targetE1EEEvSM_.kd
    .uniform_work_group_size: 1
    .uses_dynamic_stack: false
    .vgpr_count:     40
    .vgpr_spill_count: 0
    .wavefront_size: 64
  - .agpr_count:     0
    .args:
      - .offset:         0
        .size:           88
        .value_kind:     by_value
    .group_segment_fixed_size: 0
    .kernarg_segment_align: 8
    .kernarg_segment_size: 88
    .language:       OpenCL C
    .language_version:
      - 2
      - 0
    .max_flat_workgroup_size: 256
    .name:           _ZN7rocprim17ROCPRIM_400000_NS6detail17trampoline_kernelINS0_14default_configENS1_38merge_sort_block_merge_config_selectorIlNS0_10empty_typeEEEZZNS1_27merge_sort_block_merge_implIS3_PlPS5_mZN2at6native12_GLOBAL__N_124unique_dim_cuda_templateIjEESt5tupleIJNSA_6TensorESF_SF_EERKSF_lbbbEUlllE_EE10hipError_tT0_T1_T2_jT3_P12ihipStream_tbPNSt15iterator_traitsISL_E10value_typeEPNSR_ISM_E10value_typeEPSN_NS1_7vsmem_tEENKUlT_SL_SM_SN_E_clIS8_S8_S9_S9_EESK_S10_SL_SM_SN_EUlS10_E0_NS1_11comp_targetILNS1_3genE4ELNS1_11target_archE910ELNS1_3gpuE8ELNS1_3repE0EEENS1_38merge_mergepath_config_static_selectorELNS0_4arch9wavefront6targetE1EEEvSM_
    .private_segment_fixed_size: 0
    .sgpr_count:     6
    .sgpr_spill_count: 0
    .symbol:         _ZN7rocprim17ROCPRIM_400000_NS6detail17trampoline_kernelINS0_14default_configENS1_38merge_sort_block_merge_config_selectorIlNS0_10empty_typeEEEZZNS1_27merge_sort_block_merge_implIS3_PlPS5_mZN2at6native12_GLOBAL__N_124unique_dim_cuda_templateIjEESt5tupleIJNSA_6TensorESF_SF_EERKSF_lbbbEUlllE_EE10hipError_tT0_T1_T2_jT3_P12ihipStream_tbPNSt15iterator_traitsISL_E10value_typeEPNSR_ISM_E10value_typeEPSN_NS1_7vsmem_tEENKUlT_SL_SM_SN_E_clIS8_S8_S9_S9_EESK_S10_SL_SM_SN_EUlS10_E0_NS1_11comp_targetILNS1_3genE4ELNS1_11target_archE910ELNS1_3gpuE8ELNS1_3repE0EEENS1_38merge_mergepath_config_static_selectorELNS0_4arch9wavefront6targetE1EEEvSM_.kd
    .uniform_work_group_size: 1
    .uses_dynamic_stack: false
    .vgpr_count:     0
    .vgpr_spill_count: 0
    .wavefront_size: 64
  - .agpr_count:     0
    .args:
      - .offset:         0
        .size:           88
        .value_kind:     by_value
    .group_segment_fixed_size: 0
    .kernarg_segment_align: 8
    .kernarg_segment_size: 88
    .language:       OpenCL C
    .language_version:
      - 2
      - 0
    .max_flat_workgroup_size: 128
    .name:           _ZN7rocprim17ROCPRIM_400000_NS6detail17trampoline_kernelINS0_14default_configENS1_38merge_sort_block_merge_config_selectorIlNS0_10empty_typeEEEZZNS1_27merge_sort_block_merge_implIS3_PlPS5_mZN2at6native12_GLOBAL__N_124unique_dim_cuda_templateIjEESt5tupleIJNSA_6TensorESF_SF_EERKSF_lbbbEUlllE_EE10hipError_tT0_T1_T2_jT3_P12ihipStream_tbPNSt15iterator_traitsISL_E10value_typeEPNSR_ISM_E10value_typeEPSN_NS1_7vsmem_tEENKUlT_SL_SM_SN_E_clIS8_S8_S9_S9_EESK_S10_SL_SM_SN_EUlS10_E0_NS1_11comp_targetILNS1_3genE3ELNS1_11target_archE908ELNS1_3gpuE7ELNS1_3repE0EEENS1_38merge_mergepath_config_static_selectorELNS0_4arch9wavefront6targetE1EEEvSM_
    .private_segment_fixed_size: 0
    .sgpr_count:     6
    .sgpr_spill_count: 0
    .symbol:         _ZN7rocprim17ROCPRIM_400000_NS6detail17trampoline_kernelINS0_14default_configENS1_38merge_sort_block_merge_config_selectorIlNS0_10empty_typeEEEZZNS1_27merge_sort_block_merge_implIS3_PlPS5_mZN2at6native12_GLOBAL__N_124unique_dim_cuda_templateIjEESt5tupleIJNSA_6TensorESF_SF_EERKSF_lbbbEUlllE_EE10hipError_tT0_T1_T2_jT3_P12ihipStream_tbPNSt15iterator_traitsISL_E10value_typeEPNSR_ISM_E10value_typeEPSN_NS1_7vsmem_tEENKUlT_SL_SM_SN_E_clIS8_S8_S9_S9_EESK_S10_SL_SM_SN_EUlS10_E0_NS1_11comp_targetILNS1_3genE3ELNS1_11target_archE908ELNS1_3gpuE7ELNS1_3repE0EEENS1_38merge_mergepath_config_static_selectorELNS0_4arch9wavefront6targetE1EEEvSM_.kd
    .uniform_work_group_size: 1
    .uses_dynamic_stack: false
    .vgpr_count:     0
    .vgpr_spill_count: 0
    .wavefront_size: 64
  - .agpr_count:     0
    .args:
      - .offset:         0
        .size:           88
        .value_kind:     by_value
    .group_segment_fixed_size: 0
    .kernarg_segment_align: 8
    .kernarg_segment_size: 88
    .language:       OpenCL C
    .language_version:
      - 2
      - 0
    .max_flat_workgroup_size: 256
    .name:           _ZN7rocprim17ROCPRIM_400000_NS6detail17trampoline_kernelINS0_14default_configENS1_38merge_sort_block_merge_config_selectorIlNS0_10empty_typeEEEZZNS1_27merge_sort_block_merge_implIS3_PlPS5_mZN2at6native12_GLOBAL__N_124unique_dim_cuda_templateIjEESt5tupleIJNSA_6TensorESF_SF_EERKSF_lbbbEUlllE_EE10hipError_tT0_T1_T2_jT3_P12ihipStream_tbPNSt15iterator_traitsISL_E10value_typeEPNSR_ISM_E10value_typeEPSN_NS1_7vsmem_tEENKUlT_SL_SM_SN_E_clIS8_S8_S9_S9_EESK_S10_SL_SM_SN_EUlS10_E0_NS1_11comp_targetILNS1_3genE2ELNS1_11target_archE906ELNS1_3gpuE6ELNS1_3repE0EEENS1_38merge_mergepath_config_static_selectorELNS0_4arch9wavefront6targetE1EEEvSM_
    .private_segment_fixed_size: 0
    .sgpr_count:     6
    .sgpr_spill_count: 0
    .symbol:         _ZN7rocprim17ROCPRIM_400000_NS6detail17trampoline_kernelINS0_14default_configENS1_38merge_sort_block_merge_config_selectorIlNS0_10empty_typeEEEZZNS1_27merge_sort_block_merge_implIS3_PlPS5_mZN2at6native12_GLOBAL__N_124unique_dim_cuda_templateIjEESt5tupleIJNSA_6TensorESF_SF_EERKSF_lbbbEUlllE_EE10hipError_tT0_T1_T2_jT3_P12ihipStream_tbPNSt15iterator_traitsISL_E10value_typeEPNSR_ISM_E10value_typeEPSN_NS1_7vsmem_tEENKUlT_SL_SM_SN_E_clIS8_S8_S9_S9_EESK_S10_SL_SM_SN_EUlS10_E0_NS1_11comp_targetILNS1_3genE2ELNS1_11target_archE906ELNS1_3gpuE6ELNS1_3repE0EEENS1_38merge_mergepath_config_static_selectorELNS0_4arch9wavefront6targetE1EEEvSM_.kd
    .uniform_work_group_size: 1
    .uses_dynamic_stack: false
    .vgpr_count:     0
    .vgpr_spill_count: 0
    .wavefront_size: 64
  - .agpr_count:     0
    .args:
      - .offset:         0
        .size:           88
        .value_kind:     by_value
    .group_segment_fixed_size: 0
    .kernarg_segment_align: 8
    .kernarg_segment_size: 88
    .language:       OpenCL C
    .language_version:
      - 2
      - 0
    .max_flat_workgroup_size: 512
    .name:           _ZN7rocprim17ROCPRIM_400000_NS6detail17trampoline_kernelINS0_14default_configENS1_38merge_sort_block_merge_config_selectorIlNS0_10empty_typeEEEZZNS1_27merge_sort_block_merge_implIS3_PlPS5_mZN2at6native12_GLOBAL__N_124unique_dim_cuda_templateIjEESt5tupleIJNSA_6TensorESF_SF_EERKSF_lbbbEUlllE_EE10hipError_tT0_T1_T2_jT3_P12ihipStream_tbPNSt15iterator_traitsISL_E10value_typeEPNSR_ISM_E10value_typeEPSN_NS1_7vsmem_tEENKUlT_SL_SM_SN_E_clIS8_S8_S9_S9_EESK_S10_SL_SM_SN_EUlS10_E0_NS1_11comp_targetILNS1_3genE9ELNS1_11target_archE1100ELNS1_3gpuE3ELNS1_3repE0EEENS1_38merge_mergepath_config_static_selectorELNS0_4arch9wavefront6targetE1EEEvSM_
    .private_segment_fixed_size: 0
    .sgpr_count:     6
    .sgpr_spill_count: 0
    .symbol:         _ZN7rocprim17ROCPRIM_400000_NS6detail17trampoline_kernelINS0_14default_configENS1_38merge_sort_block_merge_config_selectorIlNS0_10empty_typeEEEZZNS1_27merge_sort_block_merge_implIS3_PlPS5_mZN2at6native12_GLOBAL__N_124unique_dim_cuda_templateIjEESt5tupleIJNSA_6TensorESF_SF_EERKSF_lbbbEUlllE_EE10hipError_tT0_T1_T2_jT3_P12ihipStream_tbPNSt15iterator_traitsISL_E10value_typeEPNSR_ISM_E10value_typeEPSN_NS1_7vsmem_tEENKUlT_SL_SM_SN_E_clIS8_S8_S9_S9_EESK_S10_SL_SM_SN_EUlS10_E0_NS1_11comp_targetILNS1_3genE9ELNS1_11target_archE1100ELNS1_3gpuE3ELNS1_3repE0EEENS1_38merge_mergepath_config_static_selectorELNS0_4arch9wavefront6targetE1EEEvSM_.kd
    .uniform_work_group_size: 1
    .uses_dynamic_stack: false
    .vgpr_count:     0
    .vgpr_spill_count: 0
    .wavefront_size: 64
  - .agpr_count:     0
    .args:
      - .offset:         0
        .size:           88
        .value_kind:     by_value
    .group_segment_fixed_size: 0
    .kernarg_segment_align: 8
    .kernarg_segment_size: 88
    .language:       OpenCL C
    .language_version:
      - 2
      - 0
    .max_flat_workgroup_size: 1024
    .name:           _ZN7rocprim17ROCPRIM_400000_NS6detail17trampoline_kernelINS0_14default_configENS1_38merge_sort_block_merge_config_selectorIlNS0_10empty_typeEEEZZNS1_27merge_sort_block_merge_implIS3_PlPS5_mZN2at6native12_GLOBAL__N_124unique_dim_cuda_templateIjEESt5tupleIJNSA_6TensorESF_SF_EERKSF_lbbbEUlllE_EE10hipError_tT0_T1_T2_jT3_P12ihipStream_tbPNSt15iterator_traitsISL_E10value_typeEPNSR_ISM_E10value_typeEPSN_NS1_7vsmem_tEENKUlT_SL_SM_SN_E_clIS8_S8_S9_S9_EESK_S10_SL_SM_SN_EUlS10_E0_NS1_11comp_targetILNS1_3genE8ELNS1_11target_archE1030ELNS1_3gpuE2ELNS1_3repE0EEENS1_38merge_mergepath_config_static_selectorELNS0_4arch9wavefront6targetE1EEEvSM_
    .private_segment_fixed_size: 0
    .sgpr_count:     6
    .sgpr_spill_count: 0
    .symbol:         _ZN7rocprim17ROCPRIM_400000_NS6detail17trampoline_kernelINS0_14default_configENS1_38merge_sort_block_merge_config_selectorIlNS0_10empty_typeEEEZZNS1_27merge_sort_block_merge_implIS3_PlPS5_mZN2at6native12_GLOBAL__N_124unique_dim_cuda_templateIjEESt5tupleIJNSA_6TensorESF_SF_EERKSF_lbbbEUlllE_EE10hipError_tT0_T1_T2_jT3_P12ihipStream_tbPNSt15iterator_traitsISL_E10value_typeEPNSR_ISM_E10value_typeEPSN_NS1_7vsmem_tEENKUlT_SL_SM_SN_E_clIS8_S8_S9_S9_EESK_S10_SL_SM_SN_EUlS10_E0_NS1_11comp_targetILNS1_3genE8ELNS1_11target_archE1030ELNS1_3gpuE2ELNS1_3repE0EEENS1_38merge_mergepath_config_static_selectorELNS0_4arch9wavefront6targetE1EEEvSM_.kd
    .uniform_work_group_size: 1
    .uses_dynamic_stack: false
    .vgpr_count:     0
    .vgpr_spill_count: 0
    .wavefront_size: 64
  - .agpr_count:     0
    .args:
      - .offset:         0
        .size:           64
        .value_kind:     by_value
    .group_segment_fixed_size: 0
    .kernarg_segment_align: 8
    .kernarg_segment_size: 64
    .language:       OpenCL C
    .language_version:
      - 2
      - 0
    .max_flat_workgroup_size: 256
    .name:           _ZN7rocprim17ROCPRIM_400000_NS6detail17trampoline_kernelINS0_14default_configENS1_38merge_sort_block_merge_config_selectorIlNS0_10empty_typeEEEZZNS1_27merge_sort_block_merge_implIS3_PlPS5_mZN2at6native12_GLOBAL__N_124unique_dim_cuda_templateIjEESt5tupleIJNSA_6TensorESF_SF_EERKSF_lbbbEUlllE_EE10hipError_tT0_T1_T2_jT3_P12ihipStream_tbPNSt15iterator_traitsISL_E10value_typeEPNSR_ISM_E10value_typeEPSN_NS1_7vsmem_tEENKUlT_SL_SM_SN_E_clIS8_S8_S9_S9_EESK_S10_SL_SM_SN_EUlS10_E1_NS1_11comp_targetILNS1_3genE0ELNS1_11target_archE4294967295ELNS1_3gpuE0ELNS1_3repE0EEENS1_36merge_oddeven_config_static_selectorELNS0_4arch9wavefront6targetE1EEEvSM_
    .private_segment_fixed_size: 0
    .sgpr_count:     6
    .sgpr_spill_count: 0
    .symbol:         _ZN7rocprim17ROCPRIM_400000_NS6detail17trampoline_kernelINS0_14default_configENS1_38merge_sort_block_merge_config_selectorIlNS0_10empty_typeEEEZZNS1_27merge_sort_block_merge_implIS3_PlPS5_mZN2at6native12_GLOBAL__N_124unique_dim_cuda_templateIjEESt5tupleIJNSA_6TensorESF_SF_EERKSF_lbbbEUlllE_EE10hipError_tT0_T1_T2_jT3_P12ihipStream_tbPNSt15iterator_traitsISL_E10value_typeEPNSR_ISM_E10value_typeEPSN_NS1_7vsmem_tEENKUlT_SL_SM_SN_E_clIS8_S8_S9_S9_EESK_S10_SL_SM_SN_EUlS10_E1_NS1_11comp_targetILNS1_3genE0ELNS1_11target_archE4294967295ELNS1_3gpuE0ELNS1_3repE0EEENS1_36merge_oddeven_config_static_selectorELNS0_4arch9wavefront6targetE1EEEvSM_.kd
    .uniform_work_group_size: 1
    .uses_dynamic_stack: false
    .vgpr_count:     0
    .vgpr_spill_count: 0
    .wavefront_size: 64
  - .agpr_count:     0
    .args:
      - .offset:         0
        .size:           64
        .value_kind:     by_value
    .group_segment_fixed_size: 0
    .kernarg_segment_align: 8
    .kernarg_segment_size: 64
    .language:       OpenCL C
    .language_version:
      - 2
      - 0
    .max_flat_workgroup_size: 256
    .name:           _ZN7rocprim17ROCPRIM_400000_NS6detail17trampoline_kernelINS0_14default_configENS1_38merge_sort_block_merge_config_selectorIlNS0_10empty_typeEEEZZNS1_27merge_sort_block_merge_implIS3_PlPS5_mZN2at6native12_GLOBAL__N_124unique_dim_cuda_templateIjEESt5tupleIJNSA_6TensorESF_SF_EERKSF_lbbbEUlllE_EE10hipError_tT0_T1_T2_jT3_P12ihipStream_tbPNSt15iterator_traitsISL_E10value_typeEPNSR_ISM_E10value_typeEPSN_NS1_7vsmem_tEENKUlT_SL_SM_SN_E_clIS8_S8_S9_S9_EESK_S10_SL_SM_SN_EUlS10_E1_NS1_11comp_targetILNS1_3genE10ELNS1_11target_archE1201ELNS1_3gpuE5ELNS1_3repE0EEENS1_36merge_oddeven_config_static_selectorELNS0_4arch9wavefront6targetE1EEEvSM_
    .private_segment_fixed_size: 0
    .sgpr_count:     6
    .sgpr_spill_count: 0
    .symbol:         _ZN7rocprim17ROCPRIM_400000_NS6detail17trampoline_kernelINS0_14default_configENS1_38merge_sort_block_merge_config_selectorIlNS0_10empty_typeEEEZZNS1_27merge_sort_block_merge_implIS3_PlPS5_mZN2at6native12_GLOBAL__N_124unique_dim_cuda_templateIjEESt5tupleIJNSA_6TensorESF_SF_EERKSF_lbbbEUlllE_EE10hipError_tT0_T1_T2_jT3_P12ihipStream_tbPNSt15iterator_traitsISL_E10value_typeEPNSR_ISM_E10value_typeEPSN_NS1_7vsmem_tEENKUlT_SL_SM_SN_E_clIS8_S8_S9_S9_EESK_S10_SL_SM_SN_EUlS10_E1_NS1_11comp_targetILNS1_3genE10ELNS1_11target_archE1201ELNS1_3gpuE5ELNS1_3repE0EEENS1_36merge_oddeven_config_static_selectorELNS0_4arch9wavefront6targetE1EEEvSM_.kd
    .uniform_work_group_size: 1
    .uses_dynamic_stack: false
    .vgpr_count:     0
    .vgpr_spill_count: 0
    .wavefront_size: 64
  - .agpr_count:     0
    .args:
      - .offset:         0
        .size:           64
        .value_kind:     by_value
    .group_segment_fixed_size: 0
    .kernarg_segment_align: 8
    .kernarg_segment_size: 64
    .language:       OpenCL C
    .language_version:
      - 2
      - 0
    .max_flat_workgroup_size: 256
    .name:           _ZN7rocprim17ROCPRIM_400000_NS6detail17trampoline_kernelINS0_14default_configENS1_38merge_sort_block_merge_config_selectorIlNS0_10empty_typeEEEZZNS1_27merge_sort_block_merge_implIS3_PlPS5_mZN2at6native12_GLOBAL__N_124unique_dim_cuda_templateIjEESt5tupleIJNSA_6TensorESF_SF_EERKSF_lbbbEUlllE_EE10hipError_tT0_T1_T2_jT3_P12ihipStream_tbPNSt15iterator_traitsISL_E10value_typeEPNSR_ISM_E10value_typeEPSN_NS1_7vsmem_tEENKUlT_SL_SM_SN_E_clIS8_S8_S9_S9_EESK_S10_SL_SM_SN_EUlS10_E1_NS1_11comp_targetILNS1_3genE5ELNS1_11target_archE942ELNS1_3gpuE9ELNS1_3repE0EEENS1_36merge_oddeven_config_static_selectorELNS0_4arch9wavefront6targetE1EEEvSM_
    .private_segment_fixed_size: 0
    .sgpr_count:     52
    .sgpr_spill_count: 0
    .symbol:         _ZN7rocprim17ROCPRIM_400000_NS6detail17trampoline_kernelINS0_14default_configENS1_38merge_sort_block_merge_config_selectorIlNS0_10empty_typeEEEZZNS1_27merge_sort_block_merge_implIS3_PlPS5_mZN2at6native12_GLOBAL__N_124unique_dim_cuda_templateIjEESt5tupleIJNSA_6TensorESF_SF_EERKSF_lbbbEUlllE_EE10hipError_tT0_T1_T2_jT3_P12ihipStream_tbPNSt15iterator_traitsISL_E10value_typeEPNSR_ISM_E10value_typeEPSN_NS1_7vsmem_tEENKUlT_SL_SM_SN_E_clIS8_S8_S9_S9_EESK_S10_SL_SM_SN_EUlS10_E1_NS1_11comp_targetILNS1_3genE5ELNS1_11target_archE942ELNS1_3gpuE9ELNS1_3repE0EEENS1_36merge_oddeven_config_static_selectorELNS0_4arch9wavefront6targetE1EEEvSM_.kd
    .uniform_work_group_size: 1
    .uses_dynamic_stack: false
    .vgpr_count:     19
    .vgpr_spill_count: 0
    .wavefront_size: 64
  - .agpr_count:     0
    .args:
      - .offset:         0
        .size:           64
        .value_kind:     by_value
    .group_segment_fixed_size: 0
    .kernarg_segment_align: 8
    .kernarg_segment_size: 64
    .language:       OpenCL C
    .language_version:
      - 2
      - 0
    .max_flat_workgroup_size: 256
    .name:           _ZN7rocprim17ROCPRIM_400000_NS6detail17trampoline_kernelINS0_14default_configENS1_38merge_sort_block_merge_config_selectorIlNS0_10empty_typeEEEZZNS1_27merge_sort_block_merge_implIS3_PlPS5_mZN2at6native12_GLOBAL__N_124unique_dim_cuda_templateIjEESt5tupleIJNSA_6TensorESF_SF_EERKSF_lbbbEUlllE_EE10hipError_tT0_T1_T2_jT3_P12ihipStream_tbPNSt15iterator_traitsISL_E10value_typeEPNSR_ISM_E10value_typeEPSN_NS1_7vsmem_tEENKUlT_SL_SM_SN_E_clIS8_S8_S9_S9_EESK_S10_SL_SM_SN_EUlS10_E1_NS1_11comp_targetILNS1_3genE4ELNS1_11target_archE910ELNS1_3gpuE8ELNS1_3repE0EEENS1_36merge_oddeven_config_static_selectorELNS0_4arch9wavefront6targetE1EEEvSM_
    .private_segment_fixed_size: 0
    .sgpr_count:     6
    .sgpr_spill_count: 0
    .symbol:         _ZN7rocprim17ROCPRIM_400000_NS6detail17trampoline_kernelINS0_14default_configENS1_38merge_sort_block_merge_config_selectorIlNS0_10empty_typeEEEZZNS1_27merge_sort_block_merge_implIS3_PlPS5_mZN2at6native12_GLOBAL__N_124unique_dim_cuda_templateIjEESt5tupleIJNSA_6TensorESF_SF_EERKSF_lbbbEUlllE_EE10hipError_tT0_T1_T2_jT3_P12ihipStream_tbPNSt15iterator_traitsISL_E10value_typeEPNSR_ISM_E10value_typeEPSN_NS1_7vsmem_tEENKUlT_SL_SM_SN_E_clIS8_S8_S9_S9_EESK_S10_SL_SM_SN_EUlS10_E1_NS1_11comp_targetILNS1_3genE4ELNS1_11target_archE910ELNS1_3gpuE8ELNS1_3repE0EEENS1_36merge_oddeven_config_static_selectorELNS0_4arch9wavefront6targetE1EEEvSM_.kd
    .uniform_work_group_size: 1
    .uses_dynamic_stack: false
    .vgpr_count:     0
    .vgpr_spill_count: 0
    .wavefront_size: 64
  - .agpr_count:     0
    .args:
      - .offset:         0
        .size:           64
        .value_kind:     by_value
    .group_segment_fixed_size: 0
    .kernarg_segment_align: 8
    .kernarg_segment_size: 64
    .language:       OpenCL C
    .language_version:
      - 2
      - 0
    .max_flat_workgroup_size: 256
    .name:           _ZN7rocprim17ROCPRIM_400000_NS6detail17trampoline_kernelINS0_14default_configENS1_38merge_sort_block_merge_config_selectorIlNS0_10empty_typeEEEZZNS1_27merge_sort_block_merge_implIS3_PlPS5_mZN2at6native12_GLOBAL__N_124unique_dim_cuda_templateIjEESt5tupleIJNSA_6TensorESF_SF_EERKSF_lbbbEUlllE_EE10hipError_tT0_T1_T2_jT3_P12ihipStream_tbPNSt15iterator_traitsISL_E10value_typeEPNSR_ISM_E10value_typeEPSN_NS1_7vsmem_tEENKUlT_SL_SM_SN_E_clIS8_S8_S9_S9_EESK_S10_SL_SM_SN_EUlS10_E1_NS1_11comp_targetILNS1_3genE3ELNS1_11target_archE908ELNS1_3gpuE7ELNS1_3repE0EEENS1_36merge_oddeven_config_static_selectorELNS0_4arch9wavefront6targetE1EEEvSM_
    .private_segment_fixed_size: 0
    .sgpr_count:     6
    .sgpr_spill_count: 0
    .symbol:         _ZN7rocprim17ROCPRIM_400000_NS6detail17trampoline_kernelINS0_14default_configENS1_38merge_sort_block_merge_config_selectorIlNS0_10empty_typeEEEZZNS1_27merge_sort_block_merge_implIS3_PlPS5_mZN2at6native12_GLOBAL__N_124unique_dim_cuda_templateIjEESt5tupleIJNSA_6TensorESF_SF_EERKSF_lbbbEUlllE_EE10hipError_tT0_T1_T2_jT3_P12ihipStream_tbPNSt15iterator_traitsISL_E10value_typeEPNSR_ISM_E10value_typeEPSN_NS1_7vsmem_tEENKUlT_SL_SM_SN_E_clIS8_S8_S9_S9_EESK_S10_SL_SM_SN_EUlS10_E1_NS1_11comp_targetILNS1_3genE3ELNS1_11target_archE908ELNS1_3gpuE7ELNS1_3repE0EEENS1_36merge_oddeven_config_static_selectorELNS0_4arch9wavefront6targetE1EEEvSM_.kd
    .uniform_work_group_size: 1
    .uses_dynamic_stack: false
    .vgpr_count:     0
    .vgpr_spill_count: 0
    .wavefront_size: 64
  - .agpr_count:     0
    .args:
      - .offset:         0
        .size:           64
        .value_kind:     by_value
    .group_segment_fixed_size: 0
    .kernarg_segment_align: 8
    .kernarg_segment_size: 64
    .language:       OpenCL C
    .language_version:
      - 2
      - 0
    .max_flat_workgroup_size: 256
    .name:           _ZN7rocprim17ROCPRIM_400000_NS6detail17trampoline_kernelINS0_14default_configENS1_38merge_sort_block_merge_config_selectorIlNS0_10empty_typeEEEZZNS1_27merge_sort_block_merge_implIS3_PlPS5_mZN2at6native12_GLOBAL__N_124unique_dim_cuda_templateIjEESt5tupleIJNSA_6TensorESF_SF_EERKSF_lbbbEUlllE_EE10hipError_tT0_T1_T2_jT3_P12ihipStream_tbPNSt15iterator_traitsISL_E10value_typeEPNSR_ISM_E10value_typeEPSN_NS1_7vsmem_tEENKUlT_SL_SM_SN_E_clIS8_S8_S9_S9_EESK_S10_SL_SM_SN_EUlS10_E1_NS1_11comp_targetILNS1_3genE2ELNS1_11target_archE906ELNS1_3gpuE6ELNS1_3repE0EEENS1_36merge_oddeven_config_static_selectorELNS0_4arch9wavefront6targetE1EEEvSM_
    .private_segment_fixed_size: 0
    .sgpr_count:     6
    .sgpr_spill_count: 0
    .symbol:         _ZN7rocprim17ROCPRIM_400000_NS6detail17trampoline_kernelINS0_14default_configENS1_38merge_sort_block_merge_config_selectorIlNS0_10empty_typeEEEZZNS1_27merge_sort_block_merge_implIS3_PlPS5_mZN2at6native12_GLOBAL__N_124unique_dim_cuda_templateIjEESt5tupleIJNSA_6TensorESF_SF_EERKSF_lbbbEUlllE_EE10hipError_tT0_T1_T2_jT3_P12ihipStream_tbPNSt15iterator_traitsISL_E10value_typeEPNSR_ISM_E10value_typeEPSN_NS1_7vsmem_tEENKUlT_SL_SM_SN_E_clIS8_S8_S9_S9_EESK_S10_SL_SM_SN_EUlS10_E1_NS1_11comp_targetILNS1_3genE2ELNS1_11target_archE906ELNS1_3gpuE6ELNS1_3repE0EEENS1_36merge_oddeven_config_static_selectorELNS0_4arch9wavefront6targetE1EEEvSM_.kd
    .uniform_work_group_size: 1
    .uses_dynamic_stack: false
    .vgpr_count:     0
    .vgpr_spill_count: 0
    .wavefront_size: 64
  - .agpr_count:     0
    .args:
      - .offset:         0
        .size:           64
        .value_kind:     by_value
    .group_segment_fixed_size: 0
    .kernarg_segment_align: 8
    .kernarg_segment_size: 64
    .language:       OpenCL C
    .language_version:
      - 2
      - 0
    .max_flat_workgroup_size: 256
    .name:           _ZN7rocprim17ROCPRIM_400000_NS6detail17trampoline_kernelINS0_14default_configENS1_38merge_sort_block_merge_config_selectorIlNS0_10empty_typeEEEZZNS1_27merge_sort_block_merge_implIS3_PlPS5_mZN2at6native12_GLOBAL__N_124unique_dim_cuda_templateIjEESt5tupleIJNSA_6TensorESF_SF_EERKSF_lbbbEUlllE_EE10hipError_tT0_T1_T2_jT3_P12ihipStream_tbPNSt15iterator_traitsISL_E10value_typeEPNSR_ISM_E10value_typeEPSN_NS1_7vsmem_tEENKUlT_SL_SM_SN_E_clIS8_S8_S9_S9_EESK_S10_SL_SM_SN_EUlS10_E1_NS1_11comp_targetILNS1_3genE9ELNS1_11target_archE1100ELNS1_3gpuE3ELNS1_3repE0EEENS1_36merge_oddeven_config_static_selectorELNS0_4arch9wavefront6targetE1EEEvSM_
    .private_segment_fixed_size: 0
    .sgpr_count:     6
    .sgpr_spill_count: 0
    .symbol:         _ZN7rocprim17ROCPRIM_400000_NS6detail17trampoline_kernelINS0_14default_configENS1_38merge_sort_block_merge_config_selectorIlNS0_10empty_typeEEEZZNS1_27merge_sort_block_merge_implIS3_PlPS5_mZN2at6native12_GLOBAL__N_124unique_dim_cuda_templateIjEESt5tupleIJNSA_6TensorESF_SF_EERKSF_lbbbEUlllE_EE10hipError_tT0_T1_T2_jT3_P12ihipStream_tbPNSt15iterator_traitsISL_E10value_typeEPNSR_ISM_E10value_typeEPSN_NS1_7vsmem_tEENKUlT_SL_SM_SN_E_clIS8_S8_S9_S9_EESK_S10_SL_SM_SN_EUlS10_E1_NS1_11comp_targetILNS1_3genE9ELNS1_11target_archE1100ELNS1_3gpuE3ELNS1_3repE0EEENS1_36merge_oddeven_config_static_selectorELNS0_4arch9wavefront6targetE1EEEvSM_.kd
    .uniform_work_group_size: 1
    .uses_dynamic_stack: false
    .vgpr_count:     0
    .vgpr_spill_count: 0
    .wavefront_size: 64
  - .agpr_count:     0
    .args:
      - .offset:         0
        .size:           64
        .value_kind:     by_value
    .group_segment_fixed_size: 0
    .kernarg_segment_align: 8
    .kernarg_segment_size: 64
    .language:       OpenCL C
    .language_version:
      - 2
      - 0
    .max_flat_workgroup_size: 256
    .name:           _ZN7rocprim17ROCPRIM_400000_NS6detail17trampoline_kernelINS0_14default_configENS1_38merge_sort_block_merge_config_selectorIlNS0_10empty_typeEEEZZNS1_27merge_sort_block_merge_implIS3_PlPS5_mZN2at6native12_GLOBAL__N_124unique_dim_cuda_templateIjEESt5tupleIJNSA_6TensorESF_SF_EERKSF_lbbbEUlllE_EE10hipError_tT0_T1_T2_jT3_P12ihipStream_tbPNSt15iterator_traitsISL_E10value_typeEPNSR_ISM_E10value_typeEPSN_NS1_7vsmem_tEENKUlT_SL_SM_SN_E_clIS8_S8_S9_S9_EESK_S10_SL_SM_SN_EUlS10_E1_NS1_11comp_targetILNS1_3genE8ELNS1_11target_archE1030ELNS1_3gpuE2ELNS1_3repE0EEENS1_36merge_oddeven_config_static_selectorELNS0_4arch9wavefront6targetE1EEEvSM_
    .private_segment_fixed_size: 0
    .sgpr_count:     6
    .sgpr_spill_count: 0
    .symbol:         _ZN7rocprim17ROCPRIM_400000_NS6detail17trampoline_kernelINS0_14default_configENS1_38merge_sort_block_merge_config_selectorIlNS0_10empty_typeEEEZZNS1_27merge_sort_block_merge_implIS3_PlPS5_mZN2at6native12_GLOBAL__N_124unique_dim_cuda_templateIjEESt5tupleIJNSA_6TensorESF_SF_EERKSF_lbbbEUlllE_EE10hipError_tT0_T1_T2_jT3_P12ihipStream_tbPNSt15iterator_traitsISL_E10value_typeEPNSR_ISM_E10value_typeEPSN_NS1_7vsmem_tEENKUlT_SL_SM_SN_E_clIS8_S8_S9_S9_EESK_S10_SL_SM_SN_EUlS10_E1_NS1_11comp_targetILNS1_3genE8ELNS1_11target_archE1030ELNS1_3gpuE2ELNS1_3repE0EEENS1_36merge_oddeven_config_static_selectorELNS0_4arch9wavefront6targetE1EEEvSM_.kd
    .uniform_work_group_size: 1
    .uses_dynamic_stack: false
    .vgpr_count:     0
    .vgpr_spill_count: 0
    .wavefront_size: 64
  - .agpr_count:     0
    .args:
      - .offset:         0
        .size:           64
        .value_kind:     by_value
    .group_segment_fixed_size: 0
    .kernarg_segment_align: 8
    .kernarg_segment_size: 64
    .language:       OpenCL C
    .language_version:
      - 2
      - 0
    .max_flat_workgroup_size: 128
    .name:           _ZN7rocprim17ROCPRIM_400000_NS6detail17trampoline_kernelINS0_14default_configENS1_35adjacent_difference_config_selectorILb0ElEEZNS1_24adjacent_difference_implIS3_Lb0ELb0EPlS7_ZN2at6native12_GLOBAL__N_124unique_dim_cuda_templateIjEESt5tupleIJNS8_6TensorESD_SD_EERKSD_lbbbEUlllE1_EE10hipError_tPvRmT2_T3_mT4_P12ihipStream_tbEUlT_E_NS1_11comp_targetILNS1_3genE0ELNS1_11target_archE4294967295ELNS1_3gpuE0ELNS1_3repE0EEENS1_30default_config_static_selectorELNS0_4arch9wavefront6targetE1EEEvT1_
    .private_segment_fixed_size: 0
    .sgpr_count:     6
    .sgpr_spill_count: 0
    .symbol:         _ZN7rocprim17ROCPRIM_400000_NS6detail17trampoline_kernelINS0_14default_configENS1_35adjacent_difference_config_selectorILb0ElEEZNS1_24adjacent_difference_implIS3_Lb0ELb0EPlS7_ZN2at6native12_GLOBAL__N_124unique_dim_cuda_templateIjEESt5tupleIJNS8_6TensorESD_SD_EERKSD_lbbbEUlllE1_EE10hipError_tPvRmT2_T3_mT4_P12ihipStream_tbEUlT_E_NS1_11comp_targetILNS1_3genE0ELNS1_11target_archE4294967295ELNS1_3gpuE0ELNS1_3repE0EEENS1_30default_config_static_selectorELNS0_4arch9wavefront6targetE1EEEvT1_.kd
    .uniform_work_group_size: 1
    .uses_dynamic_stack: false
    .vgpr_count:     0
    .vgpr_spill_count: 0
    .wavefront_size: 64
  - .agpr_count:     0
    .args:
      - .offset:         0
        .size:           64
        .value_kind:     by_value
    .group_segment_fixed_size: 0
    .kernarg_segment_align: 8
    .kernarg_segment_size: 64
    .language:       OpenCL C
    .language_version:
      - 2
      - 0
    .max_flat_workgroup_size: 128
    .name:           _ZN7rocprim17ROCPRIM_400000_NS6detail17trampoline_kernelINS0_14default_configENS1_35adjacent_difference_config_selectorILb0ElEEZNS1_24adjacent_difference_implIS3_Lb0ELb0EPlS7_ZN2at6native12_GLOBAL__N_124unique_dim_cuda_templateIjEESt5tupleIJNS8_6TensorESD_SD_EERKSD_lbbbEUlllE1_EE10hipError_tPvRmT2_T3_mT4_P12ihipStream_tbEUlT_E_NS1_11comp_targetILNS1_3genE10ELNS1_11target_archE1201ELNS1_3gpuE5ELNS1_3repE0EEENS1_30default_config_static_selectorELNS0_4arch9wavefront6targetE1EEEvT1_
    .private_segment_fixed_size: 0
    .sgpr_count:     6
    .sgpr_spill_count: 0
    .symbol:         _ZN7rocprim17ROCPRIM_400000_NS6detail17trampoline_kernelINS0_14default_configENS1_35adjacent_difference_config_selectorILb0ElEEZNS1_24adjacent_difference_implIS3_Lb0ELb0EPlS7_ZN2at6native12_GLOBAL__N_124unique_dim_cuda_templateIjEESt5tupleIJNS8_6TensorESD_SD_EERKSD_lbbbEUlllE1_EE10hipError_tPvRmT2_T3_mT4_P12ihipStream_tbEUlT_E_NS1_11comp_targetILNS1_3genE10ELNS1_11target_archE1201ELNS1_3gpuE5ELNS1_3repE0EEENS1_30default_config_static_selectorELNS0_4arch9wavefront6targetE1EEEvT1_.kd
    .uniform_work_group_size: 1
    .uses_dynamic_stack: false
    .vgpr_count:     0
    .vgpr_spill_count: 0
    .wavefront_size: 64
  - .agpr_count:     0
    .args:
      - .offset:         0
        .size:           64
        .value_kind:     by_value
    .group_segment_fixed_size: 6656
    .kernarg_segment_align: 8
    .kernarg_segment_size: 64
    .language:       OpenCL C
    .language_version:
      - 2
      - 0
    .max_flat_workgroup_size: 64
    .name:           _ZN7rocprim17ROCPRIM_400000_NS6detail17trampoline_kernelINS0_14default_configENS1_35adjacent_difference_config_selectorILb0ElEEZNS1_24adjacent_difference_implIS3_Lb0ELb0EPlS7_ZN2at6native12_GLOBAL__N_124unique_dim_cuda_templateIjEESt5tupleIJNS8_6TensorESD_SD_EERKSD_lbbbEUlllE1_EE10hipError_tPvRmT2_T3_mT4_P12ihipStream_tbEUlT_E_NS1_11comp_targetILNS1_3genE5ELNS1_11target_archE942ELNS1_3gpuE9ELNS1_3repE0EEENS1_30default_config_static_selectorELNS0_4arch9wavefront6targetE1EEEvT1_
    .private_segment_fixed_size: 0
    .sgpr_count:     44
    .sgpr_spill_count: 0
    .symbol:         _ZN7rocprim17ROCPRIM_400000_NS6detail17trampoline_kernelINS0_14default_configENS1_35adjacent_difference_config_selectorILb0ElEEZNS1_24adjacent_difference_implIS3_Lb0ELb0EPlS7_ZN2at6native12_GLOBAL__N_124unique_dim_cuda_templateIjEESt5tupleIJNS8_6TensorESD_SD_EERKSD_lbbbEUlllE1_EE10hipError_tPvRmT2_T3_mT4_P12ihipStream_tbEUlT_E_NS1_11comp_targetILNS1_3genE5ELNS1_11target_archE942ELNS1_3gpuE9ELNS1_3repE0EEENS1_30default_config_static_selectorELNS0_4arch9wavefront6targetE1EEEvT1_.kd
    .uniform_work_group_size: 1
    .uses_dynamic_stack: false
    .vgpr_count:     84
    .vgpr_spill_count: 0
    .wavefront_size: 64
  - .agpr_count:     0
    .args:
      - .offset:         0
        .size:           64
        .value_kind:     by_value
    .group_segment_fixed_size: 0
    .kernarg_segment_align: 8
    .kernarg_segment_size: 64
    .language:       OpenCL C
    .language_version:
      - 2
      - 0
    .max_flat_workgroup_size: 256
    .name:           _ZN7rocprim17ROCPRIM_400000_NS6detail17trampoline_kernelINS0_14default_configENS1_35adjacent_difference_config_selectorILb0ElEEZNS1_24adjacent_difference_implIS3_Lb0ELb0EPlS7_ZN2at6native12_GLOBAL__N_124unique_dim_cuda_templateIjEESt5tupleIJNS8_6TensorESD_SD_EERKSD_lbbbEUlllE1_EE10hipError_tPvRmT2_T3_mT4_P12ihipStream_tbEUlT_E_NS1_11comp_targetILNS1_3genE4ELNS1_11target_archE910ELNS1_3gpuE8ELNS1_3repE0EEENS1_30default_config_static_selectorELNS0_4arch9wavefront6targetE1EEEvT1_
    .private_segment_fixed_size: 0
    .sgpr_count:     6
    .sgpr_spill_count: 0
    .symbol:         _ZN7rocprim17ROCPRIM_400000_NS6detail17trampoline_kernelINS0_14default_configENS1_35adjacent_difference_config_selectorILb0ElEEZNS1_24adjacent_difference_implIS3_Lb0ELb0EPlS7_ZN2at6native12_GLOBAL__N_124unique_dim_cuda_templateIjEESt5tupleIJNS8_6TensorESD_SD_EERKSD_lbbbEUlllE1_EE10hipError_tPvRmT2_T3_mT4_P12ihipStream_tbEUlT_E_NS1_11comp_targetILNS1_3genE4ELNS1_11target_archE910ELNS1_3gpuE8ELNS1_3repE0EEENS1_30default_config_static_selectorELNS0_4arch9wavefront6targetE1EEEvT1_.kd
    .uniform_work_group_size: 1
    .uses_dynamic_stack: false
    .vgpr_count:     0
    .vgpr_spill_count: 0
    .wavefront_size: 64
  - .agpr_count:     0
    .args:
      - .offset:         0
        .size:           64
        .value_kind:     by_value
    .group_segment_fixed_size: 0
    .kernarg_segment_align: 8
    .kernarg_segment_size: 64
    .language:       OpenCL C
    .language_version:
      - 2
      - 0
    .max_flat_workgroup_size: 128
    .name:           _ZN7rocprim17ROCPRIM_400000_NS6detail17trampoline_kernelINS0_14default_configENS1_35adjacent_difference_config_selectorILb0ElEEZNS1_24adjacent_difference_implIS3_Lb0ELb0EPlS7_ZN2at6native12_GLOBAL__N_124unique_dim_cuda_templateIjEESt5tupleIJNS8_6TensorESD_SD_EERKSD_lbbbEUlllE1_EE10hipError_tPvRmT2_T3_mT4_P12ihipStream_tbEUlT_E_NS1_11comp_targetILNS1_3genE3ELNS1_11target_archE908ELNS1_3gpuE7ELNS1_3repE0EEENS1_30default_config_static_selectorELNS0_4arch9wavefront6targetE1EEEvT1_
    .private_segment_fixed_size: 0
    .sgpr_count:     6
    .sgpr_spill_count: 0
    .symbol:         _ZN7rocprim17ROCPRIM_400000_NS6detail17trampoline_kernelINS0_14default_configENS1_35adjacent_difference_config_selectorILb0ElEEZNS1_24adjacent_difference_implIS3_Lb0ELb0EPlS7_ZN2at6native12_GLOBAL__N_124unique_dim_cuda_templateIjEESt5tupleIJNS8_6TensorESD_SD_EERKSD_lbbbEUlllE1_EE10hipError_tPvRmT2_T3_mT4_P12ihipStream_tbEUlT_E_NS1_11comp_targetILNS1_3genE3ELNS1_11target_archE908ELNS1_3gpuE7ELNS1_3repE0EEENS1_30default_config_static_selectorELNS0_4arch9wavefront6targetE1EEEvT1_.kd
    .uniform_work_group_size: 1
    .uses_dynamic_stack: false
    .vgpr_count:     0
    .vgpr_spill_count: 0
    .wavefront_size: 64
  - .agpr_count:     0
    .args:
      - .offset:         0
        .size:           64
        .value_kind:     by_value
    .group_segment_fixed_size: 0
    .kernarg_segment_align: 8
    .kernarg_segment_size: 64
    .language:       OpenCL C
    .language_version:
      - 2
      - 0
    .max_flat_workgroup_size: 128
    .name:           _ZN7rocprim17ROCPRIM_400000_NS6detail17trampoline_kernelINS0_14default_configENS1_35adjacent_difference_config_selectorILb0ElEEZNS1_24adjacent_difference_implIS3_Lb0ELb0EPlS7_ZN2at6native12_GLOBAL__N_124unique_dim_cuda_templateIjEESt5tupleIJNS8_6TensorESD_SD_EERKSD_lbbbEUlllE1_EE10hipError_tPvRmT2_T3_mT4_P12ihipStream_tbEUlT_E_NS1_11comp_targetILNS1_3genE2ELNS1_11target_archE906ELNS1_3gpuE6ELNS1_3repE0EEENS1_30default_config_static_selectorELNS0_4arch9wavefront6targetE1EEEvT1_
    .private_segment_fixed_size: 0
    .sgpr_count:     6
    .sgpr_spill_count: 0
    .symbol:         _ZN7rocprim17ROCPRIM_400000_NS6detail17trampoline_kernelINS0_14default_configENS1_35adjacent_difference_config_selectorILb0ElEEZNS1_24adjacent_difference_implIS3_Lb0ELb0EPlS7_ZN2at6native12_GLOBAL__N_124unique_dim_cuda_templateIjEESt5tupleIJNS8_6TensorESD_SD_EERKSD_lbbbEUlllE1_EE10hipError_tPvRmT2_T3_mT4_P12ihipStream_tbEUlT_E_NS1_11comp_targetILNS1_3genE2ELNS1_11target_archE906ELNS1_3gpuE6ELNS1_3repE0EEENS1_30default_config_static_selectorELNS0_4arch9wavefront6targetE1EEEvT1_.kd
    .uniform_work_group_size: 1
    .uses_dynamic_stack: false
    .vgpr_count:     0
    .vgpr_spill_count: 0
    .wavefront_size: 64
  - .agpr_count:     0
    .args:
      - .offset:         0
        .size:           64
        .value_kind:     by_value
    .group_segment_fixed_size: 0
    .kernarg_segment_align: 8
    .kernarg_segment_size: 64
    .language:       OpenCL C
    .language_version:
      - 2
      - 0
    .max_flat_workgroup_size: 512
    .name:           _ZN7rocprim17ROCPRIM_400000_NS6detail17trampoline_kernelINS0_14default_configENS1_35adjacent_difference_config_selectorILb0ElEEZNS1_24adjacent_difference_implIS3_Lb0ELb0EPlS7_ZN2at6native12_GLOBAL__N_124unique_dim_cuda_templateIjEESt5tupleIJNS8_6TensorESD_SD_EERKSD_lbbbEUlllE1_EE10hipError_tPvRmT2_T3_mT4_P12ihipStream_tbEUlT_E_NS1_11comp_targetILNS1_3genE9ELNS1_11target_archE1100ELNS1_3gpuE3ELNS1_3repE0EEENS1_30default_config_static_selectorELNS0_4arch9wavefront6targetE1EEEvT1_
    .private_segment_fixed_size: 0
    .sgpr_count:     6
    .sgpr_spill_count: 0
    .symbol:         _ZN7rocprim17ROCPRIM_400000_NS6detail17trampoline_kernelINS0_14default_configENS1_35adjacent_difference_config_selectorILb0ElEEZNS1_24adjacent_difference_implIS3_Lb0ELb0EPlS7_ZN2at6native12_GLOBAL__N_124unique_dim_cuda_templateIjEESt5tupleIJNS8_6TensorESD_SD_EERKSD_lbbbEUlllE1_EE10hipError_tPvRmT2_T3_mT4_P12ihipStream_tbEUlT_E_NS1_11comp_targetILNS1_3genE9ELNS1_11target_archE1100ELNS1_3gpuE3ELNS1_3repE0EEENS1_30default_config_static_selectorELNS0_4arch9wavefront6targetE1EEEvT1_.kd
    .uniform_work_group_size: 1
    .uses_dynamic_stack: false
    .vgpr_count:     0
    .vgpr_spill_count: 0
    .wavefront_size: 64
  - .agpr_count:     0
    .args:
      - .offset:         0
        .size:           64
        .value_kind:     by_value
    .group_segment_fixed_size: 0
    .kernarg_segment_align: 8
    .kernarg_segment_size: 64
    .language:       OpenCL C
    .language_version:
      - 2
      - 0
    .max_flat_workgroup_size: 1024
    .name:           _ZN7rocprim17ROCPRIM_400000_NS6detail17trampoline_kernelINS0_14default_configENS1_35adjacent_difference_config_selectorILb0ElEEZNS1_24adjacent_difference_implIS3_Lb0ELb0EPlS7_ZN2at6native12_GLOBAL__N_124unique_dim_cuda_templateIjEESt5tupleIJNS8_6TensorESD_SD_EERKSD_lbbbEUlllE1_EE10hipError_tPvRmT2_T3_mT4_P12ihipStream_tbEUlT_E_NS1_11comp_targetILNS1_3genE8ELNS1_11target_archE1030ELNS1_3gpuE2ELNS1_3repE0EEENS1_30default_config_static_selectorELNS0_4arch9wavefront6targetE1EEEvT1_
    .private_segment_fixed_size: 0
    .sgpr_count:     6
    .sgpr_spill_count: 0
    .symbol:         _ZN7rocprim17ROCPRIM_400000_NS6detail17trampoline_kernelINS0_14default_configENS1_35adjacent_difference_config_selectorILb0ElEEZNS1_24adjacent_difference_implIS3_Lb0ELb0EPlS7_ZN2at6native12_GLOBAL__N_124unique_dim_cuda_templateIjEESt5tupleIJNS8_6TensorESD_SD_EERKSD_lbbbEUlllE1_EE10hipError_tPvRmT2_T3_mT4_P12ihipStream_tbEUlT_E_NS1_11comp_targetILNS1_3genE8ELNS1_11target_archE1030ELNS1_3gpuE2ELNS1_3repE0EEENS1_30default_config_static_selectorELNS0_4arch9wavefront6targetE1EEEvT1_.kd
    .uniform_work_group_size: 1
    .uses_dynamic_stack: false
    .vgpr_count:     0
    .vgpr_spill_count: 0
    .wavefront_size: 64
  - .agpr_count:     0
    .args:
      - .offset:         0
        .size:           56
        .value_kind:     by_value
    .group_segment_fixed_size: 0
    .kernarg_segment_align: 8
    .kernarg_segment_size: 56
    .language:       OpenCL C
    .language_version:
      - 2
      - 0
    .max_flat_workgroup_size: 128
    .name:           _ZN7rocprim17ROCPRIM_400000_NS6detail17trampoline_kernelINS0_14default_configENS1_25transform_config_selectorIlLb0EEEZNS1_14transform_implILb0ES3_S5_NS0_18transform_iteratorINS0_17counting_iteratorImlEEZNS1_24adjacent_difference_implIS3_Lb1ELb0EPlSB_ZN2at6native12_GLOBAL__N_124unique_dim_cuda_templateIjEESt5tupleIJNSC_6TensorESH_SH_EERKSH_lbbbEUlllE1_EE10hipError_tPvRmT2_T3_mT4_P12ihipStream_tbEUlmE_lEESB_NS0_8identityIvEEEESM_SP_SQ_mSR_ST_bEUlT_E_NS1_11comp_targetILNS1_3genE0ELNS1_11target_archE4294967295ELNS1_3gpuE0ELNS1_3repE0EEENS1_30default_config_static_selectorELNS0_4arch9wavefront6targetE1EEEvT1_
    .private_segment_fixed_size: 0
    .sgpr_count:     6
    .sgpr_spill_count: 0
    .symbol:         _ZN7rocprim17ROCPRIM_400000_NS6detail17trampoline_kernelINS0_14default_configENS1_25transform_config_selectorIlLb0EEEZNS1_14transform_implILb0ES3_S5_NS0_18transform_iteratorINS0_17counting_iteratorImlEEZNS1_24adjacent_difference_implIS3_Lb1ELb0EPlSB_ZN2at6native12_GLOBAL__N_124unique_dim_cuda_templateIjEESt5tupleIJNSC_6TensorESH_SH_EERKSH_lbbbEUlllE1_EE10hipError_tPvRmT2_T3_mT4_P12ihipStream_tbEUlmE_lEESB_NS0_8identityIvEEEESM_SP_SQ_mSR_ST_bEUlT_E_NS1_11comp_targetILNS1_3genE0ELNS1_11target_archE4294967295ELNS1_3gpuE0ELNS1_3repE0EEENS1_30default_config_static_selectorELNS0_4arch9wavefront6targetE1EEEvT1_.kd
    .uniform_work_group_size: 1
    .uses_dynamic_stack: false
    .vgpr_count:     0
    .vgpr_spill_count: 0
    .wavefront_size: 64
  - .agpr_count:     0
    .args:
      - .offset:         0
        .size:           56
        .value_kind:     by_value
      - .offset:         56
        .size:           4
        .value_kind:     hidden_block_count_x
      - .offset:         60
        .size:           4
        .value_kind:     hidden_block_count_y
      - .offset:         64
        .size:           4
        .value_kind:     hidden_block_count_z
      - .offset:         68
        .size:           2
        .value_kind:     hidden_group_size_x
      - .offset:         70
        .size:           2
        .value_kind:     hidden_group_size_y
      - .offset:         72
        .size:           2
        .value_kind:     hidden_group_size_z
      - .offset:         74
        .size:           2
        .value_kind:     hidden_remainder_x
      - .offset:         76
        .size:           2
        .value_kind:     hidden_remainder_y
      - .offset:         78
        .size:           2
        .value_kind:     hidden_remainder_z
      - .offset:         96
        .size:           8
        .value_kind:     hidden_global_offset_x
      - .offset:         104
        .size:           8
        .value_kind:     hidden_global_offset_y
      - .offset:         112
        .size:           8
        .value_kind:     hidden_global_offset_z
      - .offset:         120
        .size:           2
        .value_kind:     hidden_grid_dims
    .group_segment_fixed_size: 0
    .kernarg_segment_align: 8
    .kernarg_segment_size: 312
    .language:       OpenCL C
    .language_version:
      - 2
      - 0
    .max_flat_workgroup_size: 512
    .name:           _ZN7rocprim17ROCPRIM_400000_NS6detail17trampoline_kernelINS0_14default_configENS1_25transform_config_selectorIlLb0EEEZNS1_14transform_implILb0ES3_S5_NS0_18transform_iteratorINS0_17counting_iteratorImlEEZNS1_24adjacent_difference_implIS3_Lb1ELb0EPlSB_ZN2at6native12_GLOBAL__N_124unique_dim_cuda_templateIjEESt5tupleIJNSC_6TensorESH_SH_EERKSH_lbbbEUlllE1_EE10hipError_tPvRmT2_T3_mT4_P12ihipStream_tbEUlmE_lEESB_NS0_8identityIvEEEESM_SP_SQ_mSR_ST_bEUlT_E_NS1_11comp_targetILNS1_3genE5ELNS1_11target_archE942ELNS1_3gpuE9ELNS1_3repE0EEENS1_30default_config_static_selectorELNS0_4arch9wavefront6targetE1EEEvT1_
    .private_segment_fixed_size: 0
    .sgpr_count:     26
    .sgpr_spill_count: 0
    .symbol:         _ZN7rocprim17ROCPRIM_400000_NS6detail17trampoline_kernelINS0_14default_configENS1_25transform_config_selectorIlLb0EEEZNS1_14transform_implILb0ES3_S5_NS0_18transform_iteratorINS0_17counting_iteratorImlEEZNS1_24adjacent_difference_implIS3_Lb1ELb0EPlSB_ZN2at6native12_GLOBAL__N_124unique_dim_cuda_templateIjEESt5tupleIJNSC_6TensorESH_SH_EERKSH_lbbbEUlllE1_EE10hipError_tPvRmT2_T3_mT4_P12ihipStream_tbEUlmE_lEESB_NS0_8identityIvEEEESM_SP_SQ_mSR_ST_bEUlT_E_NS1_11comp_targetILNS1_3genE5ELNS1_11target_archE942ELNS1_3gpuE9ELNS1_3repE0EEENS1_30default_config_static_selectorELNS0_4arch9wavefront6targetE1EEEvT1_.kd
    .uniform_work_group_size: 1
    .uses_dynamic_stack: false
    .vgpr_count:     12
    .vgpr_spill_count: 0
    .wavefront_size: 64
  - .agpr_count:     0
    .args:
      - .offset:         0
        .size:           56
        .value_kind:     by_value
    .group_segment_fixed_size: 0
    .kernarg_segment_align: 8
    .kernarg_segment_size: 56
    .language:       OpenCL C
    .language_version:
      - 2
      - 0
    .max_flat_workgroup_size: 256
    .name:           _ZN7rocprim17ROCPRIM_400000_NS6detail17trampoline_kernelINS0_14default_configENS1_25transform_config_selectorIlLb0EEEZNS1_14transform_implILb0ES3_S5_NS0_18transform_iteratorINS0_17counting_iteratorImlEEZNS1_24adjacent_difference_implIS3_Lb1ELb0EPlSB_ZN2at6native12_GLOBAL__N_124unique_dim_cuda_templateIjEESt5tupleIJNSC_6TensorESH_SH_EERKSH_lbbbEUlllE1_EE10hipError_tPvRmT2_T3_mT4_P12ihipStream_tbEUlmE_lEESB_NS0_8identityIvEEEESM_SP_SQ_mSR_ST_bEUlT_E_NS1_11comp_targetILNS1_3genE4ELNS1_11target_archE910ELNS1_3gpuE8ELNS1_3repE0EEENS1_30default_config_static_selectorELNS0_4arch9wavefront6targetE1EEEvT1_
    .private_segment_fixed_size: 0
    .sgpr_count:     6
    .sgpr_spill_count: 0
    .symbol:         _ZN7rocprim17ROCPRIM_400000_NS6detail17trampoline_kernelINS0_14default_configENS1_25transform_config_selectorIlLb0EEEZNS1_14transform_implILb0ES3_S5_NS0_18transform_iteratorINS0_17counting_iteratorImlEEZNS1_24adjacent_difference_implIS3_Lb1ELb0EPlSB_ZN2at6native12_GLOBAL__N_124unique_dim_cuda_templateIjEESt5tupleIJNSC_6TensorESH_SH_EERKSH_lbbbEUlllE1_EE10hipError_tPvRmT2_T3_mT4_P12ihipStream_tbEUlmE_lEESB_NS0_8identityIvEEEESM_SP_SQ_mSR_ST_bEUlT_E_NS1_11comp_targetILNS1_3genE4ELNS1_11target_archE910ELNS1_3gpuE8ELNS1_3repE0EEENS1_30default_config_static_selectorELNS0_4arch9wavefront6targetE1EEEvT1_.kd
    .uniform_work_group_size: 1
    .uses_dynamic_stack: false
    .vgpr_count:     0
    .vgpr_spill_count: 0
    .wavefront_size: 64
  - .agpr_count:     0
    .args:
      - .offset:         0
        .size:           56
        .value_kind:     by_value
    .group_segment_fixed_size: 0
    .kernarg_segment_align: 8
    .kernarg_segment_size: 56
    .language:       OpenCL C
    .language_version:
      - 2
      - 0
    .max_flat_workgroup_size: 128
    .name:           _ZN7rocprim17ROCPRIM_400000_NS6detail17trampoline_kernelINS0_14default_configENS1_25transform_config_selectorIlLb0EEEZNS1_14transform_implILb0ES3_S5_NS0_18transform_iteratorINS0_17counting_iteratorImlEEZNS1_24adjacent_difference_implIS3_Lb1ELb0EPlSB_ZN2at6native12_GLOBAL__N_124unique_dim_cuda_templateIjEESt5tupleIJNSC_6TensorESH_SH_EERKSH_lbbbEUlllE1_EE10hipError_tPvRmT2_T3_mT4_P12ihipStream_tbEUlmE_lEESB_NS0_8identityIvEEEESM_SP_SQ_mSR_ST_bEUlT_E_NS1_11comp_targetILNS1_3genE3ELNS1_11target_archE908ELNS1_3gpuE7ELNS1_3repE0EEENS1_30default_config_static_selectorELNS0_4arch9wavefront6targetE1EEEvT1_
    .private_segment_fixed_size: 0
    .sgpr_count:     6
    .sgpr_spill_count: 0
    .symbol:         _ZN7rocprim17ROCPRIM_400000_NS6detail17trampoline_kernelINS0_14default_configENS1_25transform_config_selectorIlLb0EEEZNS1_14transform_implILb0ES3_S5_NS0_18transform_iteratorINS0_17counting_iteratorImlEEZNS1_24adjacent_difference_implIS3_Lb1ELb0EPlSB_ZN2at6native12_GLOBAL__N_124unique_dim_cuda_templateIjEESt5tupleIJNSC_6TensorESH_SH_EERKSH_lbbbEUlllE1_EE10hipError_tPvRmT2_T3_mT4_P12ihipStream_tbEUlmE_lEESB_NS0_8identityIvEEEESM_SP_SQ_mSR_ST_bEUlT_E_NS1_11comp_targetILNS1_3genE3ELNS1_11target_archE908ELNS1_3gpuE7ELNS1_3repE0EEENS1_30default_config_static_selectorELNS0_4arch9wavefront6targetE1EEEvT1_.kd
    .uniform_work_group_size: 1
    .uses_dynamic_stack: false
    .vgpr_count:     0
    .vgpr_spill_count: 0
    .wavefront_size: 64
  - .agpr_count:     0
    .args:
      - .offset:         0
        .size:           56
        .value_kind:     by_value
    .group_segment_fixed_size: 0
    .kernarg_segment_align: 8
    .kernarg_segment_size: 56
    .language:       OpenCL C
    .language_version:
      - 2
      - 0
    .max_flat_workgroup_size: 512
    .name:           _ZN7rocprim17ROCPRIM_400000_NS6detail17trampoline_kernelINS0_14default_configENS1_25transform_config_selectorIlLb0EEEZNS1_14transform_implILb0ES3_S5_NS0_18transform_iteratorINS0_17counting_iteratorImlEEZNS1_24adjacent_difference_implIS3_Lb1ELb0EPlSB_ZN2at6native12_GLOBAL__N_124unique_dim_cuda_templateIjEESt5tupleIJNSC_6TensorESH_SH_EERKSH_lbbbEUlllE1_EE10hipError_tPvRmT2_T3_mT4_P12ihipStream_tbEUlmE_lEESB_NS0_8identityIvEEEESM_SP_SQ_mSR_ST_bEUlT_E_NS1_11comp_targetILNS1_3genE2ELNS1_11target_archE906ELNS1_3gpuE6ELNS1_3repE0EEENS1_30default_config_static_selectorELNS0_4arch9wavefront6targetE1EEEvT1_
    .private_segment_fixed_size: 0
    .sgpr_count:     6
    .sgpr_spill_count: 0
    .symbol:         _ZN7rocprim17ROCPRIM_400000_NS6detail17trampoline_kernelINS0_14default_configENS1_25transform_config_selectorIlLb0EEEZNS1_14transform_implILb0ES3_S5_NS0_18transform_iteratorINS0_17counting_iteratorImlEEZNS1_24adjacent_difference_implIS3_Lb1ELb0EPlSB_ZN2at6native12_GLOBAL__N_124unique_dim_cuda_templateIjEESt5tupleIJNSC_6TensorESH_SH_EERKSH_lbbbEUlllE1_EE10hipError_tPvRmT2_T3_mT4_P12ihipStream_tbEUlmE_lEESB_NS0_8identityIvEEEESM_SP_SQ_mSR_ST_bEUlT_E_NS1_11comp_targetILNS1_3genE2ELNS1_11target_archE906ELNS1_3gpuE6ELNS1_3repE0EEENS1_30default_config_static_selectorELNS0_4arch9wavefront6targetE1EEEvT1_.kd
    .uniform_work_group_size: 1
    .uses_dynamic_stack: false
    .vgpr_count:     0
    .vgpr_spill_count: 0
    .wavefront_size: 64
  - .agpr_count:     0
    .args:
      - .offset:         0
        .size:           56
        .value_kind:     by_value
    .group_segment_fixed_size: 0
    .kernarg_segment_align: 8
    .kernarg_segment_size: 56
    .language:       OpenCL C
    .language_version:
      - 2
      - 0
    .max_flat_workgroup_size: 1024
    .name:           _ZN7rocprim17ROCPRIM_400000_NS6detail17trampoline_kernelINS0_14default_configENS1_25transform_config_selectorIlLb0EEEZNS1_14transform_implILb0ES3_S5_NS0_18transform_iteratorINS0_17counting_iteratorImlEEZNS1_24adjacent_difference_implIS3_Lb1ELb0EPlSB_ZN2at6native12_GLOBAL__N_124unique_dim_cuda_templateIjEESt5tupleIJNSC_6TensorESH_SH_EERKSH_lbbbEUlllE1_EE10hipError_tPvRmT2_T3_mT4_P12ihipStream_tbEUlmE_lEESB_NS0_8identityIvEEEESM_SP_SQ_mSR_ST_bEUlT_E_NS1_11comp_targetILNS1_3genE10ELNS1_11target_archE1201ELNS1_3gpuE5ELNS1_3repE0EEENS1_30default_config_static_selectorELNS0_4arch9wavefront6targetE1EEEvT1_
    .private_segment_fixed_size: 0
    .sgpr_count:     6
    .sgpr_spill_count: 0
    .symbol:         _ZN7rocprim17ROCPRIM_400000_NS6detail17trampoline_kernelINS0_14default_configENS1_25transform_config_selectorIlLb0EEEZNS1_14transform_implILb0ES3_S5_NS0_18transform_iteratorINS0_17counting_iteratorImlEEZNS1_24adjacent_difference_implIS3_Lb1ELb0EPlSB_ZN2at6native12_GLOBAL__N_124unique_dim_cuda_templateIjEESt5tupleIJNSC_6TensorESH_SH_EERKSH_lbbbEUlllE1_EE10hipError_tPvRmT2_T3_mT4_P12ihipStream_tbEUlmE_lEESB_NS0_8identityIvEEEESM_SP_SQ_mSR_ST_bEUlT_E_NS1_11comp_targetILNS1_3genE10ELNS1_11target_archE1201ELNS1_3gpuE5ELNS1_3repE0EEENS1_30default_config_static_selectorELNS0_4arch9wavefront6targetE1EEEvT1_.kd
    .uniform_work_group_size: 1
    .uses_dynamic_stack: false
    .vgpr_count:     0
    .vgpr_spill_count: 0
    .wavefront_size: 64
  - .agpr_count:     0
    .args:
      - .offset:         0
        .size:           56
        .value_kind:     by_value
    .group_segment_fixed_size: 0
    .kernarg_segment_align: 8
    .kernarg_segment_size: 56
    .language:       OpenCL C
    .language_version:
      - 2
      - 0
    .max_flat_workgroup_size: 512
    .name:           _ZN7rocprim17ROCPRIM_400000_NS6detail17trampoline_kernelINS0_14default_configENS1_25transform_config_selectorIlLb0EEEZNS1_14transform_implILb0ES3_S5_NS0_18transform_iteratorINS0_17counting_iteratorImlEEZNS1_24adjacent_difference_implIS3_Lb1ELb0EPlSB_ZN2at6native12_GLOBAL__N_124unique_dim_cuda_templateIjEESt5tupleIJNSC_6TensorESH_SH_EERKSH_lbbbEUlllE1_EE10hipError_tPvRmT2_T3_mT4_P12ihipStream_tbEUlmE_lEESB_NS0_8identityIvEEEESM_SP_SQ_mSR_ST_bEUlT_E_NS1_11comp_targetILNS1_3genE10ELNS1_11target_archE1200ELNS1_3gpuE4ELNS1_3repE0EEENS1_30default_config_static_selectorELNS0_4arch9wavefront6targetE1EEEvT1_
    .private_segment_fixed_size: 0
    .sgpr_count:     6
    .sgpr_spill_count: 0
    .symbol:         _ZN7rocprim17ROCPRIM_400000_NS6detail17trampoline_kernelINS0_14default_configENS1_25transform_config_selectorIlLb0EEEZNS1_14transform_implILb0ES3_S5_NS0_18transform_iteratorINS0_17counting_iteratorImlEEZNS1_24adjacent_difference_implIS3_Lb1ELb0EPlSB_ZN2at6native12_GLOBAL__N_124unique_dim_cuda_templateIjEESt5tupleIJNSC_6TensorESH_SH_EERKSH_lbbbEUlllE1_EE10hipError_tPvRmT2_T3_mT4_P12ihipStream_tbEUlmE_lEESB_NS0_8identityIvEEEESM_SP_SQ_mSR_ST_bEUlT_E_NS1_11comp_targetILNS1_3genE10ELNS1_11target_archE1200ELNS1_3gpuE4ELNS1_3repE0EEENS1_30default_config_static_selectorELNS0_4arch9wavefront6targetE1EEEvT1_.kd
    .uniform_work_group_size: 1
    .uses_dynamic_stack: false
    .vgpr_count:     0
    .vgpr_spill_count: 0
    .wavefront_size: 64
  - .agpr_count:     0
    .args:
      - .offset:         0
        .size:           56
        .value_kind:     by_value
    .group_segment_fixed_size: 0
    .kernarg_segment_align: 8
    .kernarg_segment_size: 56
    .language:       OpenCL C
    .language_version:
      - 2
      - 0
    .max_flat_workgroup_size: 512
    .name:           _ZN7rocprim17ROCPRIM_400000_NS6detail17trampoline_kernelINS0_14default_configENS1_25transform_config_selectorIlLb0EEEZNS1_14transform_implILb0ES3_S5_NS0_18transform_iteratorINS0_17counting_iteratorImlEEZNS1_24adjacent_difference_implIS3_Lb1ELb0EPlSB_ZN2at6native12_GLOBAL__N_124unique_dim_cuda_templateIjEESt5tupleIJNSC_6TensorESH_SH_EERKSH_lbbbEUlllE1_EE10hipError_tPvRmT2_T3_mT4_P12ihipStream_tbEUlmE_lEESB_NS0_8identityIvEEEESM_SP_SQ_mSR_ST_bEUlT_E_NS1_11comp_targetILNS1_3genE9ELNS1_11target_archE1100ELNS1_3gpuE3ELNS1_3repE0EEENS1_30default_config_static_selectorELNS0_4arch9wavefront6targetE1EEEvT1_
    .private_segment_fixed_size: 0
    .sgpr_count:     6
    .sgpr_spill_count: 0
    .symbol:         _ZN7rocprim17ROCPRIM_400000_NS6detail17trampoline_kernelINS0_14default_configENS1_25transform_config_selectorIlLb0EEEZNS1_14transform_implILb0ES3_S5_NS0_18transform_iteratorINS0_17counting_iteratorImlEEZNS1_24adjacent_difference_implIS3_Lb1ELb0EPlSB_ZN2at6native12_GLOBAL__N_124unique_dim_cuda_templateIjEESt5tupleIJNSC_6TensorESH_SH_EERKSH_lbbbEUlllE1_EE10hipError_tPvRmT2_T3_mT4_P12ihipStream_tbEUlmE_lEESB_NS0_8identityIvEEEESM_SP_SQ_mSR_ST_bEUlT_E_NS1_11comp_targetILNS1_3genE9ELNS1_11target_archE1100ELNS1_3gpuE3ELNS1_3repE0EEENS1_30default_config_static_selectorELNS0_4arch9wavefront6targetE1EEEvT1_.kd
    .uniform_work_group_size: 1
    .uses_dynamic_stack: false
    .vgpr_count:     0
    .vgpr_spill_count: 0
    .wavefront_size: 64
  - .agpr_count:     0
    .args:
      - .offset:         0
        .size:           56
        .value_kind:     by_value
    .group_segment_fixed_size: 0
    .kernarg_segment_align: 8
    .kernarg_segment_size: 56
    .language:       OpenCL C
    .language_version:
      - 2
      - 0
    .max_flat_workgroup_size: 512
    .name:           _ZN7rocprim17ROCPRIM_400000_NS6detail17trampoline_kernelINS0_14default_configENS1_25transform_config_selectorIlLb0EEEZNS1_14transform_implILb0ES3_S5_NS0_18transform_iteratorINS0_17counting_iteratorImlEEZNS1_24adjacent_difference_implIS3_Lb1ELb0EPlSB_ZN2at6native12_GLOBAL__N_124unique_dim_cuda_templateIjEESt5tupleIJNSC_6TensorESH_SH_EERKSH_lbbbEUlllE1_EE10hipError_tPvRmT2_T3_mT4_P12ihipStream_tbEUlmE_lEESB_NS0_8identityIvEEEESM_SP_SQ_mSR_ST_bEUlT_E_NS1_11comp_targetILNS1_3genE8ELNS1_11target_archE1030ELNS1_3gpuE2ELNS1_3repE0EEENS1_30default_config_static_selectorELNS0_4arch9wavefront6targetE1EEEvT1_
    .private_segment_fixed_size: 0
    .sgpr_count:     6
    .sgpr_spill_count: 0
    .symbol:         _ZN7rocprim17ROCPRIM_400000_NS6detail17trampoline_kernelINS0_14default_configENS1_25transform_config_selectorIlLb0EEEZNS1_14transform_implILb0ES3_S5_NS0_18transform_iteratorINS0_17counting_iteratorImlEEZNS1_24adjacent_difference_implIS3_Lb1ELb0EPlSB_ZN2at6native12_GLOBAL__N_124unique_dim_cuda_templateIjEESt5tupleIJNSC_6TensorESH_SH_EERKSH_lbbbEUlllE1_EE10hipError_tPvRmT2_T3_mT4_P12ihipStream_tbEUlmE_lEESB_NS0_8identityIvEEEESM_SP_SQ_mSR_ST_bEUlT_E_NS1_11comp_targetILNS1_3genE8ELNS1_11target_archE1030ELNS1_3gpuE2ELNS1_3repE0EEENS1_30default_config_static_selectorELNS0_4arch9wavefront6targetE1EEEvT1_.kd
    .uniform_work_group_size: 1
    .uses_dynamic_stack: false
    .vgpr_count:     0
    .vgpr_spill_count: 0
    .wavefront_size: 64
  - .agpr_count:     0
    .args:
      - .offset:         0
        .size:           64
        .value_kind:     by_value
    .group_segment_fixed_size: 0
    .kernarg_segment_align: 8
    .kernarg_segment_size: 64
    .language:       OpenCL C
    .language_version:
      - 2
      - 0
    .max_flat_workgroup_size: 512
    .name:           _ZN7rocprim17ROCPRIM_400000_NS6detail17trampoline_kernelINS0_14default_configENS1_35adjacent_difference_config_selectorILb1ElEEZNS1_24adjacent_difference_implIS3_Lb1ELb0EPlS7_ZN2at6native12_GLOBAL__N_124unique_dim_cuda_templateIjEESt5tupleIJNS8_6TensorESD_SD_EERKSD_lbbbEUlllE1_EE10hipError_tPvRmT2_T3_mT4_P12ihipStream_tbEUlT_E_NS1_11comp_targetILNS1_3genE0ELNS1_11target_archE4294967295ELNS1_3gpuE0ELNS1_3repE0EEENS1_30default_config_static_selectorELNS0_4arch9wavefront6targetE1EEEvT1_
    .private_segment_fixed_size: 0
    .sgpr_count:     6
    .sgpr_spill_count: 0
    .symbol:         _ZN7rocprim17ROCPRIM_400000_NS6detail17trampoline_kernelINS0_14default_configENS1_35adjacent_difference_config_selectorILb1ElEEZNS1_24adjacent_difference_implIS3_Lb1ELb0EPlS7_ZN2at6native12_GLOBAL__N_124unique_dim_cuda_templateIjEESt5tupleIJNS8_6TensorESD_SD_EERKSD_lbbbEUlllE1_EE10hipError_tPvRmT2_T3_mT4_P12ihipStream_tbEUlT_E_NS1_11comp_targetILNS1_3genE0ELNS1_11target_archE4294967295ELNS1_3gpuE0ELNS1_3repE0EEENS1_30default_config_static_selectorELNS0_4arch9wavefront6targetE1EEEvT1_.kd
    .uniform_work_group_size: 1
    .uses_dynamic_stack: false
    .vgpr_count:     0
    .vgpr_spill_count: 0
    .wavefront_size: 64
  - .agpr_count:     0
    .args:
      - .offset:         0
        .size:           64
        .value_kind:     by_value
    .group_segment_fixed_size: 0
    .kernarg_segment_align: 8
    .kernarg_segment_size: 64
    .language:       OpenCL C
    .language_version:
      - 2
      - 0
    .max_flat_workgroup_size: 32
    .name:           _ZN7rocprim17ROCPRIM_400000_NS6detail17trampoline_kernelINS0_14default_configENS1_35adjacent_difference_config_selectorILb1ElEEZNS1_24adjacent_difference_implIS3_Lb1ELb0EPlS7_ZN2at6native12_GLOBAL__N_124unique_dim_cuda_templateIjEESt5tupleIJNS8_6TensorESD_SD_EERKSD_lbbbEUlllE1_EE10hipError_tPvRmT2_T3_mT4_P12ihipStream_tbEUlT_E_NS1_11comp_targetILNS1_3genE10ELNS1_11target_archE1201ELNS1_3gpuE5ELNS1_3repE0EEENS1_30default_config_static_selectorELNS0_4arch9wavefront6targetE1EEEvT1_
    .private_segment_fixed_size: 0
    .sgpr_count:     6
    .sgpr_spill_count: 0
    .symbol:         _ZN7rocprim17ROCPRIM_400000_NS6detail17trampoline_kernelINS0_14default_configENS1_35adjacent_difference_config_selectorILb1ElEEZNS1_24adjacent_difference_implIS3_Lb1ELb0EPlS7_ZN2at6native12_GLOBAL__N_124unique_dim_cuda_templateIjEESt5tupleIJNS8_6TensorESD_SD_EERKSD_lbbbEUlllE1_EE10hipError_tPvRmT2_T3_mT4_P12ihipStream_tbEUlT_E_NS1_11comp_targetILNS1_3genE10ELNS1_11target_archE1201ELNS1_3gpuE5ELNS1_3repE0EEENS1_30default_config_static_selectorELNS0_4arch9wavefront6targetE1EEEvT1_.kd
    .uniform_work_group_size: 1
    .uses_dynamic_stack: false
    .vgpr_count:     0
    .vgpr_spill_count: 0
    .wavefront_size: 64
  - .agpr_count:     0
    .args:
      - .offset:         0
        .size:           64
        .value_kind:     by_value
    .group_segment_fixed_size: 22528
    .kernarg_segment_align: 8
    .kernarg_segment_size: 64
    .language:       OpenCL C
    .language_version:
      - 2
      - 0
    .max_flat_workgroup_size: 256
    .name:           _ZN7rocprim17ROCPRIM_400000_NS6detail17trampoline_kernelINS0_14default_configENS1_35adjacent_difference_config_selectorILb1ElEEZNS1_24adjacent_difference_implIS3_Lb1ELb0EPlS7_ZN2at6native12_GLOBAL__N_124unique_dim_cuda_templateIjEESt5tupleIJNS8_6TensorESD_SD_EERKSD_lbbbEUlllE1_EE10hipError_tPvRmT2_T3_mT4_P12ihipStream_tbEUlT_E_NS1_11comp_targetILNS1_3genE5ELNS1_11target_archE942ELNS1_3gpuE9ELNS1_3repE0EEENS1_30default_config_static_selectorELNS0_4arch9wavefront6targetE1EEEvT1_
    .private_segment_fixed_size: 0
    .sgpr_count:     44
    .sgpr_spill_count: 0
    .symbol:         _ZN7rocprim17ROCPRIM_400000_NS6detail17trampoline_kernelINS0_14default_configENS1_35adjacent_difference_config_selectorILb1ElEEZNS1_24adjacent_difference_implIS3_Lb1ELb0EPlS7_ZN2at6native12_GLOBAL__N_124unique_dim_cuda_templateIjEESt5tupleIJNS8_6TensorESD_SD_EERKSD_lbbbEUlllE1_EE10hipError_tPvRmT2_T3_mT4_P12ihipStream_tbEUlT_E_NS1_11comp_targetILNS1_3genE5ELNS1_11target_archE942ELNS1_3gpuE9ELNS1_3repE0EEENS1_30default_config_static_selectorELNS0_4arch9wavefront6targetE1EEEvT1_.kd
    .uniform_work_group_size: 1
    .uses_dynamic_stack: false
    .vgpr_count:     70
    .vgpr_spill_count: 0
    .wavefront_size: 64
  - .agpr_count:     0
    .args:
      - .offset:         0
        .size:           64
        .value_kind:     by_value
    .group_segment_fixed_size: 0
    .kernarg_segment_align: 8
    .kernarg_segment_size: 64
    .language:       OpenCL C
    .language_version:
      - 2
      - 0
    .max_flat_workgroup_size: 512
    .name:           _ZN7rocprim17ROCPRIM_400000_NS6detail17trampoline_kernelINS0_14default_configENS1_35adjacent_difference_config_selectorILb1ElEEZNS1_24adjacent_difference_implIS3_Lb1ELb0EPlS7_ZN2at6native12_GLOBAL__N_124unique_dim_cuda_templateIjEESt5tupleIJNS8_6TensorESD_SD_EERKSD_lbbbEUlllE1_EE10hipError_tPvRmT2_T3_mT4_P12ihipStream_tbEUlT_E_NS1_11comp_targetILNS1_3genE4ELNS1_11target_archE910ELNS1_3gpuE8ELNS1_3repE0EEENS1_30default_config_static_selectorELNS0_4arch9wavefront6targetE1EEEvT1_
    .private_segment_fixed_size: 0
    .sgpr_count:     6
    .sgpr_spill_count: 0
    .symbol:         _ZN7rocprim17ROCPRIM_400000_NS6detail17trampoline_kernelINS0_14default_configENS1_35adjacent_difference_config_selectorILb1ElEEZNS1_24adjacent_difference_implIS3_Lb1ELb0EPlS7_ZN2at6native12_GLOBAL__N_124unique_dim_cuda_templateIjEESt5tupleIJNS8_6TensorESD_SD_EERKSD_lbbbEUlllE1_EE10hipError_tPvRmT2_T3_mT4_P12ihipStream_tbEUlT_E_NS1_11comp_targetILNS1_3genE4ELNS1_11target_archE910ELNS1_3gpuE8ELNS1_3repE0EEENS1_30default_config_static_selectorELNS0_4arch9wavefront6targetE1EEEvT1_.kd
    .uniform_work_group_size: 1
    .uses_dynamic_stack: false
    .vgpr_count:     0
    .vgpr_spill_count: 0
    .wavefront_size: 64
  - .agpr_count:     0
    .args:
      - .offset:         0
        .size:           64
        .value_kind:     by_value
    .group_segment_fixed_size: 0
    .kernarg_segment_align: 8
    .kernarg_segment_size: 64
    .language:       OpenCL C
    .language_version:
      - 2
      - 0
    .max_flat_workgroup_size: 512
    .name:           _ZN7rocprim17ROCPRIM_400000_NS6detail17trampoline_kernelINS0_14default_configENS1_35adjacent_difference_config_selectorILb1ElEEZNS1_24adjacent_difference_implIS3_Lb1ELb0EPlS7_ZN2at6native12_GLOBAL__N_124unique_dim_cuda_templateIjEESt5tupleIJNS8_6TensorESD_SD_EERKSD_lbbbEUlllE1_EE10hipError_tPvRmT2_T3_mT4_P12ihipStream_tbEUlT_E_NS1_11comp_targetILNS1_3genE3ELNS1_11target_archE908ELNS1_3gpuE7ELNS1_3repE0EEENS1_30default_config_static_selectorELNS0_4arch9wavefront6targetE1EEEvT1_
    .private_segment_fixed_size: 0
    .sgpr_count:     6
    .sgpr_spill_count: 0
    .symbol:         _ZN7rocprim17ROCPRIM_400000_NS6detail17trampoline_kernelINS0_14default_configENS1_35adjacent_difference_config_selectorILb1ElEEZNS1_24adjacent_difference_implIS3_Lb1ELb0EPlS7_ZN2at6native12_GLOBAL__N_124unique_dim_cuda_templateIjEESt5tupleIJNS8_6TensorESD_SD_EERKSD_lbbbEUlllE1_EE10hipError_tPvRmT2_T3_mT4_P12ihipStream_tbEUlT_E_NS1_11comp_targetILNS1_3genE3ELNS1_11target_archE908ELNS1_3gpuE7ELNS1_3repE0EEENS1_30default_config_static_selectorELNS0_4arch9wavefront6targetE1EEEvT1_.kd
    .uniform_work_group_size: 1
    .uses_dynamic_stack: false
    .vgpr_count:     0
    .vgpr_spill_count: 0
    .wavefront_size: 64
  - .agpr_count:     0
    .args:
      - .offset:         0
        .size:           64
        .value_kind:     by_value
    .group_segment_fixed_size: 0
    .kernarg_segment_align: 8
    .kernarg_segment_size: 64
    .language:       OpenCL C
    .language_version:
      - 2
      - 0
    .max_flat_workgroup_size: 128
    .name:           _ZN7rocprim17ROCPRIM_400000_NS6detail17trampoline_kernelINS0_14default_configENS1_35adjacent_difference_config_selectorILb1ElEEZNS1_24adjacent_difference_implIS3_Lb1ELb0EPlS7_ZN2at6native12_GLOBAL__N_124unique_dim_cuda_templateIjEESt5tupleIJNS8_6TensorESD_SD_EERKSD_lbbbEUlllE1_EE10hipError_tPvRmT2_T3_mT4_P12ihipStream_tbEUlT_E_NS1_11comp_targetILNS1_3genE2ELNS1_11target_archE906ELNS1_3gpuE6ELNS1_3repE0EEENS1_30default_config_static_selectorELNS0_4arch9wavefront6targetE1EEEvT1_
    .private_segment_fixed_size: 0
    .sgpr_count:     6
    .sgpr_spill_count: 0
    .symbol:         _ZN7rocprim17ROCPRIM_400000_NS6detail17trampoline_kernelINS0_14default_configENS1_35adjacent_difference_config_selectorILb1ElEEZNS1_24adjacent_difference_implIS3_Lb1ELb0EPlS7_ZN2at6native12_GLOBAL__N_124unique_dim_cuda_templateIjEESt5tupleIJNS8_6TensorESD_SD_EERKSD_lbbbEUlllE1_EE10hipError_tPvRmT2_T3_mT4_P12ihipStream_tbEUlT_E_NS1_11comp_targetILNS1_3genE2ELNS1_11target_archE906ELNS1_3gpuE6ELNS1_3repE0EEENS1_30default_config_static_selectorELNS0_4arch9wavefront6targetE1EEEvT1_.kd
    .uniform_work_group_size: 1
    .uses_dynamic_stack: false
    .vgpr_count:     0
    .vgpr_spill_count: 0
    .wavefront_size: 64
  - .agpr_count:     0
    .args:
      - .offset:         0
        .size:           64
        .value_kind:     by_value
    .group_segment_fixed_size: 0
    .kernarg_segment_align: 8
    .kernarg_segment_size: 64
    .language:       OpenCL C
    .language_version:
      - 2
      - 0
    .max_flat_workgroup_size: 128
    .name:           _ZN7rocprim17ROCPRIM_400000_NS6detail17trampoline_kernelINS0_14default_configENS1_35adjacent_difference_config_selectorILb1ElEEZNS1_24adjacent_difference_implIS3_Lb1ELb0EPlS7_ZN2at6native12_GLOBAL__N_124unique_dim_cuda_templateIjEESt5tupleIJNS8_6TensorESD_SD_EERKSD_lbbbEUlllE1_EE10hipError_tPvRmT2_T3_mT4_P12ihipStream_tbEUlT_E_NS1_11comp_targetILNS1_3genE9ELNS1_11target_archE1100ELNS1_3gpuE3ELNS1_3repE0EEENS1_30default_config_static_selectorELNS0_4arch9wavefront6targetE1EEEvT1_
    .private_segment_fixed_size: 0
    .sgpr_count:     6
    .sgpr_spill_count: 0
    .symbol:         _ZN7rocprim17ROCPRIM_400000_NS6detail17trampoline_kernelINS0_14default_configENS1_35adjacent_difference_config_selectorILb1ElEEZNS1_24adjacent_difference_implIS3_Lb1ELb0EPlS7_ZN2at6native12_GLOBAL__N_124unique_dim_cuda_templateIjEESt5tupleIJNS8_6TensorESD_SD_EERKSD_lbbbEUlllE1_EE10hipError_tPvRmT2_T3_mT4_P12ihipStream_tbEUlT_E_NS1_11comp_targetILNS1_3genE9ELNS1_11target_archE1100ELNS1_3gpuE3ELNS1_3repE0EEENS1_30default_config_static_selectorELNS0_4arch9wavefront6targetE1EEEvT1_.kd
    .uniform_work_group_size: 1
    .uses_dynamic_stack: false
    .vgpr_count:     0
    .vgpr_spill_count: 0
    .wavefront_size: 64
  - .agpr_count:     0
    .args:
      - .offset:         0
        .size:           64
        .value_kind:     by_value
    .group_segment_fixed_size: 0
    .kernarg_segment_align: 8
    .kernarg_segment_size: 64
    .language:       OpenCL C
    .language_version:
      - 2
      - 0
    .max_flat_workgroup_size: 32
    .name:           _ZN7rocprim17ROCPRIM_400000_NS6detail17trampoline_kernelINS0_14default_configENS1_35adjacent_difference_config_selectorILb1ElEEZNS1_24adjacent_difference_implIS3_Lb1ELb0EPlS7_ZN2at6native12_GLOBAL__N_124unique_dim_cuda_templateIjEESt5tupleIJNS8_6TensorESD_SD_EERKSD_lbbbEUlllE1_EE10hipError_tPvRmT2_T3_mT4_P12ihipStream_tbEUlT_E_NS1_11comp_targetILNS1_3genE8ELNS1_11target_archE1030ELNS1_3gpuE2ELNS1_3repE0EEENS1_30default_config_static_selectorELNS0_4arch9wavefront6targetE1EEEvT1_
    .private_segment_fixed_size: 0
    .sgpr_count:     6
    .sgpr_spill_count: 0
    .symbol:         _ZN7rocprim17ROCPRIM_400000_NS6detail17trampoline_kernelINS0_14default_configENS1_35adjacent_difference_config_selectorILb1ElEEZNS1_24adjacent_difference_implIS3_Lb1ELb0EPlS7_ZN2at6native12_GLOBAL__N_124unique_dim_cuda_templateIjEESt5tupleIJNS8_6TensorESD_SD_EERKSD_lbbbEUlllE1_EE10hipError_tPvRmT2_T3_mT4_P12ihipStream_tbEUlT_E_NS1_11comp_targetILNS1_3genE8ELNS1_11target_archE1030ELNS1_3gpuE2ELNS1_3repE0EEENS1_30default_config_static_selectorELNS0_4arch9wavefront6targetE1EEEvT1_.kd
    .uniform_work_group_size: 1
    .uses_dynamic_stack: false
    .vgpr_count:     0
    .vgpr_spill_count: 0
    .wavefront_size: 64
  - .agpr_count:     0
    .args:
      - .offset:         0
        .size:           120
        .value_kind:     by_value
    .group_segment_fixed_size: 0
    .kernarg_segment_align: 8
    .kernarg_segment_size: 120
    .language:       OpenCL C
    .language_version:
      - 2
      - 0
    .max_flat_workgroup_size: 512
    .name:           _ZN7rocprim17ROCPRIM_400000_NS6detail17trampoline_kernelINS0_14default_configENS1_25partition_config_selectorILNS1_17partition_subalgoE8ElNS0_10empty_typeEbEEZZNS1_14partition_implILS5_8ELb0ES3_jPlPS6_PKS6_NS0_5tupleIJS9_S6_EEENSD_IJSA_SA_EEENS0_18inequality_wrapperIZN2at6native12_GLOBAL__N_124unique_dim_cuda_templateIjEESt5tupleIJNSH_6TensorESM_SM_EERKSM_lbbbEUlllE0_EEPmJS6_EEE10hipError_tPvRmT3_T4_T5_T6_T7_T9_mT8_P12ihipStream_tbDpT10_ENKUlT_T0_E_clISt17integral_constantIbLb0EES1C_EEDaS17_S18_EUlS17_E_NS1_11comp_targetILNS1_3genE0ELNS1_11target_archE4294967295ELNS1_3gpuE0ELNS1_3repE0EEENS1_30default_config_static_selectorELNS0_4arch9wavefront6targetE1EEEvT1_
    .private_segment_fixed_size: 0
    .sgpr_count:     6
    .sgpr_spill_count: 0
    .symbol:         _ZN7rocprim17ROCPRIM_400000_NS6detail17trampoline_kernelINS0_14default_configENS1_25partition_config_selectorILNS1_17partition_subalgoE8ElNS0_10empty_typeEbEEZZNS1_14partition_implILS5_8ELb0ES3_jPlPS6_PKS6_NS0_5tupleIJS9_S6_EEENSD_IJSA_SA_EEENS0_18inequality_wrapperIZN2at6native12_GLOBAL__N_124unique_dim_cuda_templateIjEESt5tupleIJNSH_6TensorESM_SM_EERKSM_lbbbEUlllE0_EEPmJS6_EEE10hipError_tPvRmT3_T4_T5_T6_T7_T9_mT8_P12ihipStream_tbDpT10_ENKUlT_T0_E_clISt17integral_constantIbLb0EES1C_EEDaS17_S18_EUlS17_E_NS1_11comp_targetILNS1_3genE0ELNS1_11target_archE4294967295ELNS1_3gpuE0ELNS1_3repE0EEENS1_30default_config_static_selectorELNS0_4arch9wavefront6targetE1EEEvT1_.kd
    .uniform_work_group_size: 1
    .uses_dynamic_stack: false
    .vgpr_count:     0
    .vgpr_spill_count: 0
    .wavefront_size: 64
  - .agpr_count:     0
    .args:
      - .offset:         0
        .size:           120
        .value_kind:     by_value
    .group_segment_fixed_size: 28684
    .kernarg_segment_align: 8
    .kernarg_segment_size: 120
    .language:       OpenCL C
    .language_version:
      - 2
      - 0
    .max_flat_workgroup_size: 512
    .name:           _ZN7rocprim17ROCPRIM_400000_NS6detail17trampoline_kernelINS0_14default_configENS1_25partition_config_selectorILNS1_17partition_subalgoE8ElNS0_10empty_typeEbEEZZNS1_14partition_implILS5_8ELb0ES3_jPlPS6_PKS6_NS0_5tupleIJS9_S6_EEENSD_IJSA_SA_EEENS0_18inequality_wrapperIZN2at6native12_GLOBAL__N_124unique_dim_cuda_templateIjEESt5tupleIJNSH_6TensorESM_SM_EERKSM_lbbbEUlllE0_EEPmJS6_EEE10hipError_tPvRmT3_T4_T5_T6_T7_T9_mT8_P12ihipStream_tbDpT10_ENKUlT_T0_E_clISt17integral_constantIbLb0EES1C_EEDaS17_S18_EUlS17_E_NS1_11comp_targetILNS1_3genE5ELNS1_11target_archE942ELNS1_3gpuE9ELNS1_3repE0EEENS1_30default_config_static_selectorELNS0_4arch9wavefront6targetE1EEEvT1_
    .private_segment_fixed_size: 0
    .sgpr_count:     58
    .sgpr_spill_count: 0
    .symbol:         _ZN7rocprim17ROCPRIM_400000_NS6detail17trampoline_kernelINS0_14default_configENS1_25partition_config_selectorILNS1_17partition_subalgoE8ElNS0_10empty_typeEbEEZZNS1_14partition_implILS5_8ELb0ES3_jPlPS6_PKS6_NS0_5tupleIJS9_S6_EEENSD_IJSA_SA_EEENS0_18inequality_wrapperIZN2at6native12_GLOBAL__N_124unique_dim_cuda_templateIjEESt5tupleIJNSH_6TensorESM_SM_EERKSM_lbbbEUlllE0_EEPmJS6_EEE10hipError_tPvRmT3_T4_T5_T6_T7_T9_mT8_P12ihipStream_tbDpT10_ENKUlT_T0_E_clISt17integral_constantIbLb0EES1C_EEDaS17_S18_EUlS17_E_NS1_11comp_targetILNS1_3genE5ELNS1_11target_archE942ELNS1_3gpuE9ELNS1_3repE0EEENS1_30default_config_static_selectorELNS0_4arch9wavefront6targetE1EEEvT1_.kd
    .uniform_work_group_size: 1
    .uses_dynamic_stack: false
    .vgpr_count:     52
    .vgpr_spill_count: 0
    .wavefront_size: 64
  - .agpr_count:     0
    .args:
      - .offset:         0
        .size:           120
        .value_kind:     by_value
    .group_segment_fixed_size: 0
    .kernarg_segment_align: 8
    .kernarg_segment_size: 120
    .language:       OpenCL C
    .language_version:
      - 2
      - 0
    .max_flat_workgroup_size: 256
    .name:           _ZN7rocprim17ROCPRIM_400000_NS6detail17trampoline_kernelINS0_14default_configENS1_25partition_config_selectorILNS1_17partition_subalgoE8ElNS0_10empty_typeEbEEZZNS1_14partition_implILS5_8ELb0ES3_jPlPS6_PKS6_NS0_5tupleIJS9_S6_EEENSD_IJSA_SA_EEENS0_18inequality_wrapperIZN2at6native12_GLOBAL__N_124unique_dim_cuda_templateIjEESt5tupleIJNSH_6TensorESM_SM_EERKSM_lbbbEUlllE0_EEPmJS6_EEE10hipError_tPvRmT3_T4_T5_T6_T7_T9_mT8_P12ihipStream_tbDpT10_ENKUlT_T0_E_clISt17integral_constantIbLb0EES1C_EEDaS17_S18_EUlS17_E_NS1_11comp_targetILNS1_3genE4ELNS1_11target_archE910ELNS1_3gpuE8ELNS1_3repE0EEENS1_30default_config_static_selectorELNS0_4arch9wavefront6targetE1EEEvT1_
    .private_segment_fixed_size: 0
    .sgpr_count:     6
    .sgpr_spill_count: 0
    .symbol:         _ZN7rocprim17ROCPRIM_400000_NS6detail17trampoline_kernelINS0_14default_configENS1_25partition_config_selectorILNS1_17partition_subalgoE8ElNS0_10empty_typeEbEEZZNS1_14partition_implILS5_8ELb0ES3_jPlPS6_PKS6_NS0_5tupleIJS9_S6_EEENSD_IJSA_SA_EEENS0_18inequality_wrapperIZN2at6native12_GLOBAL__N_124unique_dim_cuda_templateIjEESt5tupleIJNSH_6TensorESM_SM_EERKSM_lbbbEUlllE0_EEPmJS6_EEE10hipError_tPvRmT3_T4_T5_T6_T7_T9_mT8_P12ihipStream_tbDpT10_ENKUlT_T0_E_clISt17integral_constantIbLb0EES1C_EEDaS17_S18_EUlS17_E_NS1_11comp_targetILNS1_3genE4ELNS1_11target_archE910ELNS1_3gpuE8ELNS1_3repE0EEENS1_30default_config_static_selectorELNS0_4arch9wavefront6targetE1EEEvT1_.kd
    .uniform_work_group_size: 1
    .uses_dynamic_stack: false
    .vgpr_count:     0
    .vgpr_spill_count: 0
    .wavefront_size: 64
  - .agpr_count:     0
    .args:
      - .offset:         0
        .size:           120
        .value_kind:     by_value
    .group_segment_fixed_size: 0
    .kernarg_segment_align: 8
    .kernarg_segment_size: 120
    .language:       OpenCL C
    .language_version:
      - 2
      - 0
    .max_flat_workgroup_size: 512
    .name:           _ZN7rocprim17ROCPRIM_400000_NS6detail17trampoline_kernelINS0_14default_configENS1_25partition_config_selectorILNS1_17partition_subalgoE8ElNS0_10empty_typeEbEEZZNS1_14partition_implILS5_8ELb0ES3_jPlPS6_PKS6_NS0_5tupleIJS9_S6_EEENSD_IJSA_SA_EEENS0_18inequality_wrapperIZN2at6native12_GLOBAL__N_124unique_dim_cuda_templateIjEESt5tupleIJNSH_6TensorESM_SM_EERKSM_lbbbEUlllE0_EEPmJS6_EEE10hipError_tPvRmT3_T4_T5_T6_T7_T9_mT8_P12ihipStream_tbDpT10_ENKUlT_T0_E_clISt17integral_constantIbLb0EES1C_EEDaS17_S18_EUlS17_E_NS1_11comp_targetILNS1_3genE3ELNS1_11target_archE908ELNS1_3gpuE7ELNS1_3repE0EEENS1_30default_config_static_selectorELNS0_4arch9wavefront6targetE1EEEvT1_
    .private_segment_fixed_size: 0
    .sgpr_count:     6
    .sgpr_spill_count: 0
    .symbol:         _ZN7rocprim17ROCPRIM_400000_NS6detail17trampoline_kernelINS0_14default_configENS1_25partition_config_selectorILNS1_17partition_subalgoE8ElNS0_10empty_typeEbEEZZNS1_14partition_implILS5_8ELb0ES3_jPlPS6_PKS6_NS0_5tupleIJS9_S6_EEENSD_IJSA_SA_EEENS0_18inequality_wrapperIZN2at6native12_GLOBAL__N_124unique_dim_cuda_templateIjEESt5tupleIJNSH_6TensorESM_SM_EERKSM_lbbbEUlllE0_EEPmJS6_EEE10hipError_tPvRmT3_T4_T5_T6_T7_T9_mT8_P12ihipStream_tbDpT10_ENKUlT_T0_E_clISt17integral_constantIbLb0EES1C_EEDaS17_S18_EUlS17_E_NS1_11comp_targetILNS1_3genE3ELNS1_11target_archE908ELNS1_3gpuE7ELNS1_3repE0EEENS1_30default_config_static_selectorELNS0_4arch9wavefront6targetE1EEEvT1_.kd
    .uniform_work_group_size: 1
    .uses_dynamic_stack: false
    .vgpr_count:     0
    .vgpr_spill_count: 0
    .wavefront_size: 64
  - .agpr_count:     0
    .args:
      - .offset:         0
        .size:           120
        .value_kind:     by_value
    .group_segment_fixed_size: 0
    .kernarg_segment_align: 8
    .kernarg_segment_size: 120
    .language:       OpenCL C
    .language_version:
      - 2
      - 0
    .max_flat_workgroup_size: 256
    .name:           _ZN7rocprim17ROCPRIM_400000_NS6detail17trampoline_kernelINS0_14default_configENS1_25partition_config_selectorILNS1_17partition_subalgoE8ElNS0_10empty_typeEbEEZZNS1_14partition_implILS5_8ELb0ES3_jPlPS6_PKS6_NS0_5tupleIJS9_S6_EEENSD_IJSA_SA_EEENS0_18inequality_wrapperIZN2at6native12_GLOBAL__N_124unique_dim_cuda_templateIjEESt5tupleIJNSH_6TensorESM_SM_EERKSM_lbbbEUlllE0_EEPmJS6_EEE10hipError_tPvRmT3_T4_T5_T6_T7_T9_mT8_P12ihipStream_tbDpT10_ENKUlT_T0_E_clISt17integral_constantIbLb0EES1C_EEDaS17_S18_EUlS17_E_NS1_11comp_targetILNS1_3genE2ELNS1_11target_archE906ELNS1_3gpuE6ELNS1_3repE0EEENS1_30default_config_static_selectorELNS0_4arch9wavefront6targetE1EEEvT1_
    .private_segment_fixed_size: 0
    .sgpr_count:     6
    .sgpr_spill_count: 0
    .symbol:         _ZN7rocprim17ROCPRIM_400000_NS6detail17trampoline_kernelINS0_14default_configENS1_25partition_config_selectorILNS1_17partition_subalgoE8ElNS0_10empty_typeEbEEZZNS1_14partition_implILS5_8ELb0ES3_jPlPS6_PKS6_NS0_5tupleIJS9_S6_EEENSD_IJSA_SA_EEENS0_18inequality_wrapperIZN2at6native12_GLOBAL__N_124unique_dim_cuda_templateIjEESt5tupleIJNSH_6TensorESM_SM_EERKSM_lbbbEUlllE0_EEPmJS6_EEE10hipError_tPvRmT3_T4_T5_T6_T7_T9_mT8_P12ihipStream_tbDpT10_ENKUlT_T0_E_clISt17integral_constantIbLb0EES1C_EEDaS17_S18_EUlS17_E_NS1_11comp_targetILNS1_3genE2ELNS1_11target_archE906ELNS1_3gpuE6ELNS1_3repE0EEENS1_30default_config_static_selectorELNS0_4arch9wavefront6targetE1EEEvT1_.kd
    .uniform_work_group_size: 1
    .uses_dynamic_stack: false
    .vgpr_count:     0
    .vgpr_spill_count: 0
    .wavefront_size: 64
  - .agpr_count:     0
    .args:
      - .offset:         0
        .size:           120
        .value_kind:     by_value
    .group_segment_fixed_size: 0
    .kernarg_segment_align: 8
    .kernarg_segment_size: 120
    .language:       OpenCL C
    .language_version:
      - 2
      - 0
    .max_flat_workgroup_size: 384
    .name:           _ZN7rocprim17ROCPRIM_400000_NS6detail17trampoline_kernelINS0_14default_configENS1_25partition_config_selectorILNS1_17partition_subalgoE8ElNS0_10empty_typeEbEEZZNS1_14partition_implILS5_8ELb0ES3_jPlPS6_PKS6_NS0_5tupleIJS9_S6_EEENSD_IJSA_SA_EEENS0_18inequality_wrapperIZN2at6native12_GLOBAL__N_124unique_dim_cuda_templateIjEESt5tupleIJNSH_6TensorESM_SM_EERKSM_lbbbEUlllE0_EEPmJS6_EEE10hipError_tPvRmT3_T4_T5_T6_T7_T9_mT8_P12ihipStream_tbDpT10_ENKUlT_T0_E_clISt17integral_constantIbLb0EES1C_EEDaS17_S18_EUlS17_E_NS1_11comp_targetILNS1_3genE10ELNS1_11target_archE1200ELNS1_3gpuE4ELNS1_3repE0EEENS1_30default_config_static_selectorELNS0_4arch9wavefront6targetE1EEEvT1_
    .private_segment_fixed_size: 0
    .sgpr_count:     6
    .sgpr_spill_count: 0
    .symbol:         _ZN7rocprim17ROCPRIM_400000_NS6detail17trampoline_kernelINS0_14default_configENS1_25partition_config_selectorILNS1_17partition_subalgoE8ElNS0_10empty_typeEbEEZZNS1_14partition_implILS5_8ELb0ES3_jPlPS6_PKS6_NS0_5tupleIJS9_S6_EEENSD_IJSA_SA_EEENS0_18inequality_wrapperIZN2at6native12_GLOBAL__N_124unique_dim_cuda_templateIjEESt5tupleIJNSH_6TensorESM_SM_EERKSM_lbbbEUlllE0_EEPmJS6_EEE10hipError_tPvRmT3_T4_T5_T6_T7_T9_mT8_P12ihipStream_tbDpT10_ENKUlT_T0_E_clISt17integral_constantIbLb0EES1C_EEDaS17_S18_EUlS17_E_NS1_11comp_targetILNS1_3genE10ELNS1_11target_archE1200ELNS1_3gpuE4ELNS1_3repE0EEENS1_30default_config_static_selectorELNS0_4arch9wavefront6targetE1EEEvT1_.kd
    .uniform_work_group_size: 1
    .uses_dynamic_stack: false
    .vgpr_count:     0
    .vgpr_spill_count: 0
    .wavefront_size: 64
  - .agpr_count:     0
    .args:
      - .offset:         0
        .size:           120
        .value_kind:     by_value
    .group_segment_fixed_size: 0
    .kernarg_segment_align: 8
    .kernarg_segment_size: 120
    .language:       OpenCL C
    .language_version:
      - 2
      - 0
    .max_flat_workgroup_size: 512
    .name:           _ZN7rocprim17ROCPRIM_400000_NS6detail17trampoline_kernelINS0_14default_configENS1_25partition_config_selectorILNS1_17partition_subalgoE8ElNS0_10empty_typeEbEEZZNS1_14partition_implILS5_8ELb0ES3_jPlPS6_PKS6_NS0_5tupleIJS9_S6_EEENSD_IJSA_SA_EEENS0_18inequality_wrapperIZN2at6native12_GLOBAL__N_124unique_dim_cuda_templateIjEESt5tupleIJNSH_6TensorESM_SM_EERKSM_lbbbEUlllE0_EEPmJS6_EEE10hipError_tPvRmT3_T4_T5_T6_T7_T9_mT8_P12ihipStream_tbDpT10_ENKUlT_T0_E_clISt17integral_constantIbLb0EES1C_EEDaS17_S18_EUlS17_E_NS1_11comp_targetILNS1_3genE9ELNS1_11target_archE1100ELNS1_3gpuE3ELNS1_3repE0EEENS1_30default_config_static_selectorELNS0_4arch9wavefront6targetE1EEEvT1_
    .private_segment_fixed_size: 0
    .sgpr_count:     6
    .sgpr_spill_count: 0
    .symbol:         _ZN7rocprim17ROCPRIM_400000_NS6detail17trampoline_kernelINS0_14default_configENS1_25partition_config_selectorILNS1_17partition_subalgoE8ElNS0_10empty_typeEbEEZZNS1_14partition_implILS5_8ELb0ES3_jPlPS6_PKS6_NS0_5tupleIJS9_S6_EEENSD_IJSA_SA_EEENS0_18inequality_wrapperIZN2at6native12_GLOBAL__N_124unique_dim_cuda_templateIjEESt5tupleIJNSH_6TensorESM_SM_EERKSM_lbbbEUlllE0_EEPmJS6_EEE10hipError_tPvRmT3_T4_T5_T6_T7_T9_mT8_P12ihipStream_tbDpT10_ENKUlT_T0_E_clISt17integral_constantIbLb0EES1C_EEDaS17_S18_EUlS17_E_NS1_11comp_targetILNS1_3genE9ELNS1_11target_archE1100ELNS1_3gpuE3ELNS1_3repE0EEENS1_30default_config_static_selectorELNS0_4arch9wavefront6targetE1EEEvT1_.kd
    .uniform_work_group_size: 1
    .uses_dynamic_stack: false
    .vgpr_count:     0
    .vgpr_spill_count: 0
    .wavefront_size: 64
  - .agpr_count:     0
    .args:
      - .offset:         0
        .size:           120
        .value_kind:     by_value
    .group_segment_fixed_size: 0
    .kernarg_segment_align: 8
    .kernarg_segment_size: 120
    .language:       OpenCL C
    .language_version:
      - 2
      - 0
    .max_flat_workgroup_size: 512
    .name:           _ZN7rocprim17ROCPRIM_400000_NS6detail17trampoline_kernelINS0_14default_configENS1_25partition_config_selectorILNS1_17partition_subalgoE8ElNS0_10empty_typeEbEEZZNS1_14partition_implILS5_8ELb0ES3_jPlPS6_PKS6_NS0_5tupleIJS9_S6_EEENSD_IJSA_SA_EEENS0_18inequality_wrapperIZN2at6native12_GLOBAL__N_124unique_dim_cuda_templateIjEESt5tupleIJNSH_6TensorESM_SM_EERKSM_lbbbEUlllE0_EEPmJS6_EEE10hipError_tPvRmT3_T4_T5_T6_T7_T9_mT8_P12ihipStream_tbDpT10_ENKUlT_T0_E_clISt17integral_constantIbLb0EES1C_EEDaS17_S18_EUlS17_E_NS1_11comp_targetILNS1_3genE8ELNS1_11target_archE1030ELNS1_3gpuE2ELNS1_3repE0EEENS1_30default_config_static_selectorELNS0_4arch9wavefront6targetE1EEEvT1_
    .private_segment_fixed_size: 0
    .sgpr_count:     6
    .sgpr_spill_count: 0
    .symbol:         _ZN7rocprim17ROCPRIM_400000_NS6detail17trampoline_kernelINS0_14default_configENS1_25partition_config_selectorILNS1_17partition_subalgoE8ElNS0_10empty_typeEbEEZZNS1_14partition_implILS5_8ELb0ES3_jPlPS6_PKS6_NS0_5tupleIJS9_S6_EEENSD_IJSA_SA_EEENS0_18inequality_wrapperIZN2at6native12_GLOBAL__N_124unique_dim_cuda_templateIjEESt5tupleIJNSH_6TensorESM_SM_EERKSM_lbbbEUlllE0_EEPmJS6_EEE10hipError_tPvRmT3_T4_T5_T6_T7_T9_mT8_P12ihipStream_tbDpT10_ENKUlT_T0_E_clISt17integral_constantIbLb0EES1C_EEDaS17_S18_EUlS17_E_NS1_11comp_targetILNS1_3genE8ELNS1_11target_archE1030ELNS1_3gpuE2ELNS1_3repE0EEENS1_30default_config_static_selectorELNS0_4arch9wavefront6targetE1EEEvT1_.kd
    .uniform_work_group_size: 1
    .uses_dynamic_stack: false
    .vgpr_count:     0
    .vgpr_spill_count: 0
    .wavefront_size: 64
  - .agpr_count:     0
    .args:
      - .offset:         0
        .size:           136
        .value_kind:     by_value
    .group_segment_fixed_size: 0
    .kernarg_segment_align: 8
    .kernarg_segment_size: 136
    .language:       OpenCL C
    .language_version:
      - 2
      - 0
    .max_flat_workgroup_size: 512
    .name:           _ZN7rocprim17ROCPRIM_400000_NS6detail17trampoline_kernelINS0_14default_configENS1_25partition_config_selectorILNS1_17partition_subalgoE8ElNS0_10empty_typeEbEEZZNS1_14partition_implILS5_8ELb0ES3_jPlPS6_PKS6_NS0_5tupleIJS9_S6_EEENSD_IJSA_SA_EEENS0_18inequality_wrapperIZN2at6native12_GLOBAL__N_124unique_dim_cuda_templateIjEESt5tupleIJNSH_6TensorESM_SM_EERKSM_lbbbEUlllE0_EEPmJS6_EEE10hipError_tPvRmT3_T4_T5_T6_T7_T9_mT8_P12ihipStream_tbDpT10_ENKUlT_T0_E_clISt17integral_constantIbLb1EES1C_EEDaS17_S18_EUlS17_E_NS1_11comp_targetILNS1_3genE0ELNS1_11target_archE4294967295ELNS1_3gpuE0ELNS1_3repE0EEENS1_30default_config_static_selectorELNS0_4arch9wavefront6targetE1EEEvT1_
    .private_segment_fixed_size: 0
    .sgpr_count:     6
    .sgpr_spill_count: 0
    .symbol:         _ZN7rocprim17ROCPRIM_400000_NS6detail17trampoline_kernelINS0_14default_configENS1_25partition_config_selectorILNS1_17partition_subalgoE8ElNS0_10empty_typeEbEEZZNS1_14partition_implILS5_8ELb0ES3_jPlPS6_PKS6_NS0_5tupleIJS9_S6_EEENSD_IJSA_SA_EEENS0_18inequality_wrapperIZN2at6native12_GLOBAL__N_124unique_dim_cuda_templateIjEESt5tupleIJNSH_6TensorESM_SM_EERKSM_lbbbEUlllE0_EEPmJS6_EEE10hipError_tPvRmT3_T4_T5_T6_T7_T9_mT8_P12ihipStream_tbDpT10_ENKUlT_T0_E_clISt17integral_constantIbLb1EES1C_EEDaS17_S18_EUlS17_E_NS1_11comp_targetILNS1_3genE0ELNS1_11target_archE4294967295ELNS1_3gpuE0ELNS1_3repE0EEENS1_30default_config_static_selectorELNS0_4arch9wavefront6targetE1EEEvT1_.kd
    .uniform_work_group_size: 1
    .uses_dynamic_stack: false
    .vgpr_count:     0
    .vgpr_spill_count: 0
    .wavefront_size: 64
  - .agpr_count:     0
    .args:
      - .offset:         0
        .size:           136
        .value_kind:     by_value
    .group_segment_fixed_size: 28684
    .kernarg_segment_align: 8
    .kernarg_segment_size: 136
    .language:       OpenCL C
    .language_version:
      - 2
      - 0
    .max_flat_workgroup_size: 512
    .name:           _ZN7rocprim17ROCPRIM_400000_NS6detail17trampoline_kernelINS0_14default_configENS1_25partition_config_selectorILNS1_17partition_subalgoE8ElNS0_10empty_typeEbEEZZNS1_14partition_implILS5_8ELb0ES3_jPlPS6_PKS6_NS0_5tupleIJS9_S6_EEENSD_IJSA_SA_EEENS0_18inequality_wrapperIZN2at6native12_GLOBAL__N_124unique_dim_cuda_templateIjEESt5tupleIJNSH_6TensorESM_SM_EERKSM_lbbbEUlllE0_EEPmJS6_EEE10hipError_tPvRmT3_T4_T5_T6_T7_T9_mT8_P12ihipStream_tbDpT10_ENKUlT_T0_E_clISt17integral_constantIbLb1EES1C_EEDaS17_S18_EUlS17_E_NS1_11comp_targetILNS1_3genE5ELNS1_11target_archE942ELNS1_3gpuE9ELNS1_3repE0EEENS1_30default_config_static_selectorELNS0_4arch9wavefront6targetE1EEEvT1_
    .private_segment_fixed_size: 0
    .sgpr_count:     62
    .sgpr_spill_count: 0
    .symbol:         _ZN7rocprim17ROCPRIM_400000_NS6detail17trampoline_kernelINS0_14default_configENS1_25partition_config_selectorILNS1_17partition_subalgoE8ElNS0_10empty_typeEbEEZZNS1_14partition_implILS5_8ELb0ES3_jPlPS6_PKS6_NS0_5tupleIJS9_S6_EEENSD_IJSA_SA_EEENS0_18inequality_wrapperIZN2at6native12_GLOBAL__N_124unique_dim_cuda_templateIjEESt5tupleIJNSH_6TensorESM_SM_EERKSM_lbbbEUlllE0_EEPmJS6_EEE10hipError_tPvRmT3_T4_T5_T6_T7_T9_mT8_P12ihipStream_tbDpT10_ENKUlT_T0_E_clISt17integral_constantIbLb1EES1C_EEDaS17_S18_EUlS17_E_NS1_11comp_targetILNS1_3genE5ELNS1_11target_archE942ELNS1_3gpuE9ELNS1_3repE0EEENS1_30default_config_static_selectorELNS0_4arch9wavefront6targetE1EEEvT1_.kd
    .uniform_work_group_size: 1
    .uses_dynamic_stack: false
    .vgpr_count:     52
    .vgpr_spill_count: 0
    .wavefront_size: 64
  - .agpr_count:     0
    .args:
      - .offset:         0
        .size:           136
        .value_kind:     by_value
    .group_segment_fixed_size: 0
    .kernarg_segment_align: 8
    .kernarg_segment_size: 136
    .language:       OpenCL C
    .language_version:
      - 2
      - 0
    .max_flat_workgroup_size: 256
    .name:           _ZN7rocprim17ROCPRIM_400000_NS6detail17trampoline_kernelINS0_14default_configENS1_25partition_config_selectorILNS1_17partition_subalgoE8ElNS0_10empty_typeEbEEZZNS1_14partition_implILS5_8ELb0ES3_jPlPS6_PKS6_NS0_5tupleIJS9_S6_EEENSD_IJSA_SA_EEENS0_18inequality_wrapperIZN2at6native12_GLOBAL__N_124unique_dim_cuda_templateIjEESt5tupleIJNSH_6TensorESM_SM_EERKSM_lbbbEUlllE0_EEPmJS6_EEE10hipError_tPvRmT3_T4_T5_T6_T7_T9_mT8_P12ihipStream_tbDpT10_ENKUlT_T0_E_clISt17integral_constantIbLb1EES1C_EEDaS17_S18_EUlS17_E_NS1_11comp_targetILNS1_3genE4ELNS1_11target_archE910ELNS1_3gpuE8ELNS1_3repE0EEENS1_30default_config_static_selectorELNS0_4arch9wavefront6targetE1EEEvT1_
    .private_segment_fixed_size: 0
    .sgpr_count:     6
    .sgpr_spill_count: 0
    .symbol:         _ZN7rocprim17ROCPRIM_400000_NS6detail17trampoline_kernelINS0_14default_configENS1_25partition_config_selectorILNS1_17partition_subalgoE8ElNS0_10empty_typeEbEEZZNS1_14partition_implILS5_8ELb0ES3_jPlPS6_PKS6_NS0_5tupleIJS9_S6_EEENSD_IJSA_SA_EEENS0_18inequality_wrapperIZN2at6native12_GLOBAL__N_124unique_dim_cuda_templateIjEESt5tupleIJNSH_6TensorESM_SM_EERKSM_lbbbEUlllE0_EEPmJS6_EEE10hipError_tPvRmT3_T4_T5_T6_T7_T9_mT8_P12ihipStream_tbDpT10_ENKUlT_T0_E_clISt17integral_constantIbLb1EES1C_EEDaS17_S18_EUlS17_E_NS1_11comp_targetILNS1_3genE4ELNS1_11target_archE910ELNS1_3gpuE8ELNS1_3repE0EEENS1_30default_config_static_selectorELNS0_4arch9wavefront6targetE1EEEvT1_.kd
    .uniform_work_group_size: 1
    .uses_dynamic_stack: false
    .vgpr_count:     0
    .vgpr_spill_count: 0
    .wavefront_size: 64
  - .agpr_count:     0
    .args:
      - .offset:         0
        .size:           136
        .value_kind:     by_value
    .group_segment_fixed_size: 0
    .kernarg_segment_align: 8
    .kernarg_segment_size: 136
    .language:       OpenCL C
    .language_version:
      - 2
      - 0
    .max_flat_workgroup_size: 512
    .name:           _ZN7rocprim17ROCPRIM_400000_NS6detail17trampoline_kernelINS0_14default_configENS1_25partition_config_selectorILNS1_17partition_subalgoE8ElNS0_10empty_typeEbEEZZNS1_14partition_implILS5_8ELb0ES3_jPlPS6_PKS6_NS0_5tupleIJS9_S6_EEENSD_IJSA_SA_EEENS0_18inequality_wrapperIZN2at6native12_GLOBAL__N_124unique_dim_cuda_templateIjEESt5tupleIJNSH_6TensorESM_SM_EERKSM_lbbbEUlllE0_EEPmJS6_EEE10hipError_tPvRmT3_T4_T5_T6_T7_T9_mT8_P12ihipStream_tbDpT10_ENKUlT_T0_E_clISt17integral_constantIbLb1EES1C_EEDaS17_S18_EUlS17_E_NS1_11comp_targetILNS1_3genE3ELNS1_11target_archE908ELNS1_3gpuE7ELNS1_3repE0EEENS1_30default_config_static_selectorELNS0_4arch9wavefront6targetE1EEEvT1_
    .private_segment_fixed_size: 0
    .sgpr_count:     6
    .sgpr_spill_count: 0
    .symbol:         _ZN7rocprim17ROCPRIM_400000_NS6detail17trampoline_kernelINS0_14default_configENS1_25partition_config_selectorILNS1_17partition_subalgoE8ElNS0_10empty_typeEbEEZZNS1_14partition_implILS5_8ELb0ES3_jPlPS6_PKS6_NS0_5tupleIJS9_S6_EEENSD_IJSA_SA_EEENS0_18inequality_wrapperIZN2at6native12_GLOBAL__N_124unique_dim_cuda_templateIjEESt5tupleIJNSH_6TensorESM_SM_EERKSM_lbbbEUlllE0_EEPmJS6_EEE10hipError_tPvRmT3_T4_T5_T6_T7_T9_mT8_P12ihipStream_tbDpT10_ENKUlT_T0_E_clISt17integral_constantIbLb1EES1C_EEDaS17_S18_EUlS17_E_NS1_11comp_targetILNS1_3genE3ELNS1_11target_archE908ELNS1_3gpuE7ELNS1_3repE0EEENS1_30default_config_static_selectorELNS0_4arch9wavefront6targetE1EEEvT1_.kd
    .uniform_work_group_size: 1
    .uses_dynamic_stack: false
    .vgpr_count:     0
    .vgpr_spill_count: 0
    .wavefront_size: 64
  - .agpr_count:     0
    .args:
      - .offset:         0
        .size:           136
        .value_kind:     by_value
    .group_segment_fixed_size: 0
    .kernarg_segment_align: 8
    .kernarg_segment_size: 136
    .language:       OpenCL C
    .language_version:
      - 2
      - 0
    .max_flat_workgroup_size: 256
    .name:           _ZN7rocprim17ROCPRIM_400000_NS6detail17trampoline_kernelINS0_14default_configENS1_25partition_config_selectorILNS1_17partition_subalgoE8ElNS0_10empty_typeEbEEZZNS1_14partition_implILS5_8ELb0ES3_jPlPS6_PKS6_NS0_5tupleIJS9_S6_EEENSD_IJSA_SA_EEENS0_18inequality_wrapperIZN2at6native12_GLOBAL__N_124unique_dim_cuda_templateIjEESt5tupleIJNSH_6TensorESM_SM_EERKSM_lbbbEUlllE0_EEPmJS6_EEE10hipError_tPvRmT3_T4_T5_T6_T7_T9_mT8_P12ihipStream_tbDpT10_ENKUlT_T0_E_clISt17integral_constantIbLb1EES1C_EEDaS17_S18_EUlS17_E_NS1_11comp_targetILNS1_3genE2ELNS1_11target_archE906ELNS1_3gpuE6ELNS1_3repE0EEENS1_30default_config_static_selectorELNS0_4arch9wavefront6targetE1EEEvT1_
    .private_segment_fixed_size: 0
    .sgpr_count:     6
    .sgpr_spill_count: 0
    .symbol:         _ZN7rocprim17ROCPRIM_400000_NS6detail17trampoline_kernelINS0_14default_configENS1_25partition_config_selectorILNS1_17partition_subalgoE8ElNS0_10empty_typeEbEEZZNS1_14partition_implILS5_8ELb0ES3_jPlPS6_PKS6_NS0_5tupleIJS9_S6_EEENSD_IJSA_SA_EEENS0_18inequality_wrapperIZN2at6native12_GLOBAL__N_124unique_dim_cuda_templateIjEESt5tupleIJNSH_6TensorESM_SM_EERKSM_lbbbEUlllE0_EEPmJS6_EEE10hipError_tPvRmT3_T4_T5_T6_T7_T9_mT8_P12ihipStream_tbDpT10_ENKUlT_T0_E_clISt17integral_constantIbLb1EES1C_EEDaS17_S18_EUlS17_E_NS1_11comp_targetILNS1_3genE2ELNS1_11target_archE906ELNS1_3gpuE6ELNS1_3repE0EEENS1_30default_config_static_selectorELNS0_4arch9wavefront6targetE1EEEvT1_.kd
    .uniform_work_group_size: 1
    .uses_dynamic_stack: false
    .vgpr_count:     0
    .vgpr_spill_count: 0
    .wavefront_size: 64
  - .agpr_count:     0
    .args:
      - .offset:         0
        .size:           136
        .value_kind:     by_value
    .group_segment_fixed_size: 0
    .kernarg_segment_align: 8
    .kernarg_segment_size: 136
    .language:       OpenCL C
    .language_version:
      - 2
      - 0
    .max_flat_workgroup_size: 384
    .name:           _ZN7rocprim17ROCPRIM_400000_NS6detail17trampoline_kernelINS0_14default_configENS1_25partition_config_selectorILNS1_17partition_subalgoE8ElNS0_10empty_typeEbEEZZNS1_14partition_implILS5_8ELb0ES3_jPlPS6_PKS6_NS0_5tupleIJS9_S6_EEENSD_IJSA_SA_EEENS0_18inequality_wrapperIZN2at6native12_GLOBAL__N_124unique_dim_cuda_templateIjEESt5tupleIJNSH_6TensorESM_SM_EERKSM_lbbbEUlllE0_EEPmJS6_EEE10hipError_tPvRmT3_T4_T5_T6_T7_T9_mT8_P12ihipStream_tbDpT10_ENKUlT_T0_E_clISt17integral_constantIbLb1EES1C_EEDaS17_S18_EUlS17_E_NS1_11comp_targetILNS1_3genE10ELNS1_11target_archE1200ELNS1_3gpuE4ELNS1_3repE0EEENS1_30default_config_static_selectorELNS0_4arch9wavefront6targetE1EEEvT1_
    .private_segment_fixed_size: 0
    .sgpr_count:     6
    .sgpr_spill_count: 0
    .symbol:         _ZN7rocprim17ROCPRIM_400000_NS6detail17trampoline_kernelINS0_14default_configENS1_25partition_config_selectorILNS1_17partition_subalgoE8ElNS0_10empty_typeEbEEZZNS1_14partition_implILS5_8ELb0ES3_jPlPS6_PKS6_NS0_5tupleIJS9_S6_EEENSD_IJSA_SA_EEENS0_18inequality_wrapperIZN2at6native12_GLOBAL__N_124unique_dim_cuda_templateIjEESt5tupleIJNSH_6TensorESM_SM_EERKSM_lbbbEUlllE0_EEPmJS6_EEE10hipError_tPvRmT3_T4_T5_T6_T7_T9_mT8_P12ihipStream_tbDpT10_ENKUlT_T0_E_clISt17integral_constantIbLb1EES1C_EEDaS17_S18_EUlS17_E_NS1_11comp_targetILNS1_3genE10ELNS1_11target_archE1200ELNS1_3gpuE4ELNS1_3repE0EEENS1_30default_config_static_selectorELNS0_4arch9wavefront6targetE1EEEvT1_.kd
    .uniform_work_group_size: 1
    .uses_dynamic_stack: false
    .vgpr_count:     0
    .vgpr_spill_count: 0
    .wavefront_size: 64
  - .agpr_count:     0
    .args:
      - .offset:         0
        .size:           136
        .value_kind:     by_value
    .group_segment_fixed_size: 0
    .kernarg_segment_align: 8
    .kernarg_segment_size: 136
    .language:       OpenCL C
    .language_version:
      - 2
      - 0
    .max_flat_workgroup_size: 512
    .name:           _ZN7rocprim17ROCPRIM_400000_NS6detail17trampoline_kernelINS0_14default_configENS1_25partition_config_selectorILNS1_17partition_subalgoE8ElNS0_10empty_typeEbEEZZNS1_14partition_implILS5_8ELb0ES3_jPlPS6_PKS6_NS0_5tupleIJS9_S6_EEENSD_IJSA_SA_EEENS0_18inequality_wrapperIZN2at6native12_GLOBAL__N_124unique_dim_cuda_templateIjEESt5tupleIJNSH_6TensorESM_SM_EERKSM_lbbbEUlllE0_EEPmJS6_EEE10hipError_tPvRmT3_T4_T5_T6_T7_T9_mT8_P12ihipStream_tbDpT10_ENKUlT_T0_E_clISt17integral_constantIbLb1EES1C_EEDaS17_S18_EUlS17_E_NS1_11comp_targetILNS1_3genE9ELNS1_11target_archE1100ELNS1_3gpuE3ELNS1_3repE0EEENS1_30default_config_static_selectorELNS0_4arch9wavefront6targetE1EEEvT1_
    .private_segment_fixed_size: 0
    .sgpr_count:     6
    .sgpr_spill_count: 0
    .symbol:         _ZN7rocprim17ROCPRIM_400000_NS6detail17trampoline_kernelINS0_14default_configENS1_25partition_config_selectorILNS1_17partition_subalgoE8ElNS0_10empty_typeEbEEZZNS1_14partition_implILS5_8ELb0ES3_jPlPS6_PKS6_NS0_5tupleIJS9_S6_EEENSD_IJSA_SA_EEENS0_18inequality_wrapperIZN2at6native12_GLOBAL__N_124unique_dim_cuda_templateIjEESt5tupleIJNSH_6TensorESM_SM_EERKSM_lbbbEUlllE0_EEPmJS6_EEE10hipError_tPvRmT3_T4_T5_T6_T7_T9_mT8_P12ihipStream_tbDpT10_ENKUlT_T0_E_clISt17integral_constantIbLb1EES1C_EEDaS17_S18_EUlS17_E_NS1_11comp_targetILNS1_3genE9ELNS1_11target_archE1100ELNS1_3gpuE3ELNS1_3repE0EEENS1_30default_config_static_selectorELNS0_4arch9wavefront6targetE1EEEvT1_.kd
    .uniform_work_group_size: 1
    .uses_dynamic_stack: false
    .vgpr_count:     0
    .vgpr_spill_count: 0
    .wavefront_size: 64
  - .agpr_count:     0
    .args:
      - .offset:         0
        .size:           136
        .value_kind:     by_value
    .group_segment_fixed_size: 0
    .kernarg_segment_align: 8
    .kernarg_segment_size: 136
    .language:       OpenCL C
    .language_version:
      - 2
      - 0
    .max_flat_workgroup_size: 512
    .name:           _ZN7rocprim17ROCPRIM_400000_NS6detail17trampoline_kernelINS0_14default_configENS1_25partition_config_selectorILNS1_17partition_subalgoE8ElNS0_10empty_typeEbEEZZNS1_14partition_implILS5_8ELb0ES3_jPlPS6_PKS6_NS0_5tupleIJS9_S6_EEENSD_IJSA_SA_EEENS0_18inequality_wrapperIZN2at6native12_GLOBAL__N_124unique_dim_cuda_templateIjEESt5tupleIJNSH_6TensorESM_SM_EERKSM_lbbbEUlllE0_EEPmJS6_EEE10hipError_tPvRmT3_T4_T5_T6_T7_T9_mT8_P12ihipStream_tbDpT10_ENKUlT_T0_E_clISt17integral_constantIbLb1EES1C_EEDaS17_S18_EUlS17_E_NS1_11comp_targetILNS1_3genE8ELNS1_11target_archE1030ELNS1_3gpuE2ELNS1_3repE0EEENS1_30default_config_static_selectorELNS0_4arch9wavefront6targetE1EEEvT1_
    .private_segment_fixed_size: 0
    .sgpr_count:     6
    .sgpr_spill_count: 0
    .symbol:         _ZN7rocprim17ROCPRIM_400000_NS6detail17trampoline_kernelINS0_14default_configENS1_25partition_config_selectorILNS1_17partition_subalgoE8ElNS0_10empty_typeEbEEZZNS1_14partition_implILS5_8ELb0ES3_jPlPS6_PKS6_NS0_5tupleIJS9_S6_EEENSD_IJSA_SA_EEENS0_18inequality_wrapperIZN2at6native12_GLOBAL__N_124unique_dim_cuda_templateIjEESt5tupleIJNSH_6TensorESM_SM_EERKSM_lbbbEUlllE0_EEPmJS6_EEE10hipError_tPvRmT3_T4_T5_T6_T7_T9_mT8_P12ihipStream_tbDpT10_ENKUlT_T0_E_clISt17integral_constantIbLb1EES1C_EEDaS17_S18_EUlS17_E_NS1_11comp_targetILNS1_3genE8ELNS1_11target_archE1030ELNS1_3gpuE2ELNS1_3repE0EEENS1_30default_config_static_selectorELNS0_4arch9wavefront6targetE1EEEvT1_.kd
    .uniform_work_group_size: 1
    .uses_dynamic_stack: false
    .vgpr_count:     0
    .vgpr_spill_count: 0
    .wavefront_size: 64
  - .agpr_count:     0
    .args:
      - .offset:         0
        .size:           120
        .value_kind:     by_value
    .group_segment_fixed_size: 0
    .kernarg_segment_align: 8
    .kernarg_segment_size: 120
    .language:       OpenCL C
    .language_version:
      - 2
      - 0
    .max_flat_workgroup_size: 512
    .name:           _ZN7rocprim17ROCPRIM_400000_NS6detail17trampoline_kernelINS0_14default_configENS1_25partition_config_selectorILNS1_17partition_subalgoE8ElNS0_10empty_typeEbEEZZNS1_14partition_implILS5_8ELb0ES3_jPlPS6_PKS6_NS0_5tupleIJS9_S6_EEENSD_IJSA_SA_EEENS0_18inequality_wrapperIZN2at6native12_GLOBAL__N_124unique_dim_cuda_templateIjEESt5tupleIJNSH_6TensorESM_SM_EERKSM_lbbbEUlllE0_EEPmJS6_EEE10hipError_tPvRmT3_T4_T5_T6_T7_T9_mT8_P12ihipStream_tbDpT10_ENKUlT_T0_E_clISt17integral_constantIbLb1EES1B_IbLb0EEEEDaS17_S18_EUlS17_E_NS1_11comp_targetILNS1_3genE0ELNS1_11target_archE4294967295ELNS1_3gpuE0ELNS1_3repE0EEENS1_30default_config_static_selectorELNS0_4arch9wavefront6targetE1EEEvT1_
    .private_segment_fixed_size: 0
    .sgpr_count:     6
    .sgpr_spill_count: 0
    .symbol:         _ZN7rocprim17ROCPRIM_400000_NS6detail17trampoline_kernelINS0_14default_configENS1_25partition_config_selectorILNS1_17partition_subalgoE8ElNS0_10empty_typeEbEEZZNS1_14partition_implILS5_8ELb0ES3_jPlPS6_PKS6_NS0_5tupleIJS9_S6_EEENSD_IJSA_SA_EEENS0_18inequality_wrapperIZN2at6native12_GLOBAL__N_124unique_dim_cuda_templateIjEESt5tupleIJNSH_6TensorESM_SM_EERKSM_lbbbEUlllE0_EEPmJS6_EEE10hipError_tPvRmT3_T4_T5_T6_T7_T9_mT8_P12ihipStream_tbDpT10_ENKUlT_T0_E_clISt17integral_constantIbLb1EES1B_IbLb0EEEEDaS17_S18_EUlS17_E_NS1_11comp_targetILNS1_3genE0ELNS1_11target_archE4294967295ELNS1_3gpuE0ELNS1_3repE0EEENS1_30default_config_static_selectorELNS0_4arch9wavefront6targetE1EEEvT1_.kd
    .uniform_work_group_size: 1
    .uses_dynamic_stack: false
    .vgpr_count:     0
    .vgpr_spill_count: 0
    .wavefront_size: 64
  - .agpr_count:     0
    .args:
      - .offset:         0
        .size:           120
        .value_kind:     by_value
    .group_segment_fixed_size: 28684
    .kernarg_segment_align: 8
    .kernarg_segment_size: 120
    .language:       OpenCL C
    .language_version:
      - 2
      - 0
    .max_flat_workgroup_size: 512
    .name:           _ZN7rocprim17ROCPRIM_400000_NS6detail17trampoline_kernelINS0_14default_configENS1_25partition_config_selectorILNS1_17partition_subalgoE8ElNS0_10empty_typeEbEEZZNS1_14partition_implILS5_8ELb0ES3_jPlPS6_PKS6_NS0_5tupleIJS9_S6_EEENSD_IJSA_SA_EEENS0_18inequality_wrapperIZN2at6native12_GLOBAL__N_124unique_dim_cuda_templateIjEESt5tupleIJNSH_6TensorESM_SM_EERKSM_lbbbEUlllE0_EEPmJS6_EEE10hipError_tPvRmT3_T4_T5_T6_T7_T9_mT8_P12ihipStream_tbDpT10_ENKUlT_T0_E_clISt17integral_constantIbLb1EES1B_IbLb0EEEEDaS17_S18_EUlS17_E_NS1_11comp_targetILNS1_3genE5ELNS1_11target_archE942ELNS1_3gpuE9ELNS1_3repE0EEENS1_30default_config_static_selectorELNS0_4arch9wavefront6targetE1EEEvT1_
    .private_segment_fixed_size: 0
    .sgpr_count:     58
    .sgpr_spill_count: 0
    .symbol:         _ZN7rocprim17ROCPRIM_400000_NS6detail17trampoline_kernelINS0_14default_configENS1_25partition_config_selectorILNS1_17partition_subalgoE8ElNS0_10empty_typeEbEEZZNS1_14partition_implILS5_8ELb0ES3_jPlPS6_PKS6_NS0_5tupleIJS9_S6_EEENSD_IJSA_SA_EEENS0_18inequality_wrapperIZN2at6native12_GLOBAL__N_124unique_dim_cuda_templateIjEESt5tupleIJNSH_6TensorESM_SM_EERKSM_lbbbEUlllE0_EEPmJS6_EEE10hipError_tPvRmT3_T4_T5_T6_T7_T9_mT8_P12ihipStream_tbDpT10_ENKUlT_T0_E_clISt17integral_constantIbLb1EES1B_IbLb0EEEEDaS17_S18_EUlS17_E_NS1_11comp_targetILNS1_3genE5ELNS1_11target_archE942ELNS1_3gpuE9ELNS1_3repE0EEENS1_30default_config_static_selectorELNS0_4arch9wavefront6targetE1EEEvT1_.kd
    .uniform_work_group_size: 1
    .uses_dynamic_stack: false
    .vgpr_count:     52
    .vgpr_spill_count: 0
    .wavefront_size: 64
  - .agpr_count:     0
    .args:
      - .offset:         0
        .size:           120
        .value_kind:     by_value
    .group_segment_fixed_size: 0
    .kernarg_segment_align: 8
    .kernarg_segment_size: 120
    .language:       OpenCL C
    .language_version:
      - 2
      - 0
    .max_flat_workgroup_size: 256
    .name:           _ZN7rocprim17ROCPRIM_400000_NS6detail17trampoline_kernelINS0_14default_configENS1_25partition_config_selectorILNS1_17partition_subalgoE8ElNS0_10empty_typeEbEEZZNS1_14partition_implILS5_8ELb0ES3_jPlPS6_PKS6_NS0_5tupleIJS9_S6_EEENSD_IJSA_SA_EEENS0_18inequality_wrapperIZN2at6native12_GLOBAL__N_124unique_dim_cuda_templateIjEESt5tupleIJNSH_6TensorESM_SM_EERKSM_lbbbEUlllE0_EEPmJS6_EEE10hipError_tPvRmT3_T4_T5_T6_T7_T9_mT8_P12ihipStream_tbDpT10_ENKUlT_T0_E_clISt17integral_constantIbLb1EES1B_IbLb0EEEEDaS17_S18_EUlS17_E_NS1_11comp_targetILNS1_3genE4ELNS1_11target_archE910ELNS1_3gpuE8ELNS1_3repE0EEENS1_30default_config_static_selectorELNS0_4arch9wavefront6targetE1EEEvT1_
    .private_segment_fixed_size: 0
    .sgpr_count:     6
    .sgpr_spill_count: 0
    .symbol:         _ZN7rocprim17ROCPRIM_400000_NS6detail17trampoline_kernelINS0_14default_configENS1_25partition_config_selectorILNS1_17partition_subalgoE8ElNS0_10empty_typeEbEEZZNS1_14partition_implILS5_8ELb0ES3_jPlPS6_PKS6_NS0_5tupleIJS9_S6_EEENSD_IJSA_SA_EEENS0_18inequality_wrapperIZN2at6native12_GLOBAL__N_124unique_dim_cuda_templateIjEESt5tupleIJNSH_6TensorESM_SM_EERKSM_lbbbEUlllE0_EEPmJS6_EEE10hipError_tPvRmT3_T4_T5_T6_T7_T9_mT8_P12ihipStream_tbDpT10_ENKUlT_T0_E_clISt17integral_constantIbLb1EES1B_IbLb0EEEEDaS17_S18_EUlS17_E_NS1_11comp_targetILNS1_3genE4ELNS1_11target_archE910ELNS1_3gpuE8ELNS1_3repE0EEENS1_30default_config_static_selectorELNS0_4arch9wavefront6targetE1EEEvT1_.kd
    .uniform_work_group_size: 1
    .uses_dynamic_stack: false
    .vgpr_count:     0
    .vgpr_spill_count: 0
    .wavefront_size: 64
  - .agpr_count:     0
    .args:
      - .offset:         0
        .size:           120
        .value_kind:     by_value
    .group_segment_fixed_size: 0
    .kernarg_segment_align: 8
    .kernarg_segment_size: 120
    .language:       OpenCL C
    .language_version:
      - 2
      - 0
    .max_flat_workgroup_size: 512
    .name:           _ZN7rocprim17ROCPRIM_400000_NS6detail17trampoline_kernelINS0_14default_configENS1_25partition_config_selectorILNS1_17partition_subalgoE8ElNS0_10empty_typeEbEEZZNS1_14partition_implILS5_8ELb0ES3_jPlPS6_PKS6_NS0_5tupleIJS9_S6_EEENSD_IJSA_SA_EEENS0_18inequality_wrapperIZN2at6native12_GLOBAL__N_124unique_dim_cuda_templateIjEESt5tupleIJNSH_6TensorESM_SM_EERKSM_lbbbEUlllE0_EEPmJS6_EEE10hipError_tPvRmT3_T4_T5_T6_T7_T9_mT8_P12ihipStream_tbDpT10_ENKUlT_T0_E_clISt17integral_constantIbLb1EES1B_IbLb0EEEEDaS17_S18_EUlS17_E_NS1_11comp_targetILNS1_3genE3ELNS1_11target_archE908ELNS1_3gpuE7ELNS1_3repE0EEENS1_30default_config_static_selectorELNS0_4arch9wavefront6targetE1EEEvT1_
    .private_segment_fixed_size: 0
    .sgpr_count:     6
    .sgpr_spill_count: 0
    .symbol:         _ZN7rocprim17ROCPRIM_400000_NS6detail17trampoline_kernelINS0_14default_configENS1_25partition_config_selectorILNS1_17partition_subalgoE8ElNS0_10empty_typeEbEEZZNS1_14partition_implILS5_8ELb0ES3_jPlPS6_PKS6_NS0_5tupleIJS9_S6_EEENSD_IJSA_SA_EEENS0_18inequality_wrapperIZN2at6native12_GLOBAL__N_124unique_dim_cuda_templateIjEESt5tupleIJNSH_6TensorESM_SM_EERKSM_lbbbEUlllE0_EEPmJS6_EEE10hipError_tPvRmT3_T4_T5_T6_T7_T9_mT8_P12ihipStream_tbDpT10_ENKUlT_T0_E_clISt17integral_constantIbLb1EES1B_IbLb0EEEEDaS17_S18_EUlS17_E_NS1_11comp_targetILNS1_3genE3ELNS1_11target_archE908ELNS1_3gpuE7ELNS1_3repE0EEENS1_30default_config_static_selectorELNS0_4arch9wavefront6targetE1EEEvT1_.kd
    .uniform_work_group_size: 1
    .uses_dynamic_stack: false
    .vgpr_count:     0
    .vgpr_spill_count: 0
    .wavefront_size: 64
  - .agpr_count:     0
    .args:
      - .offset:         0
        .size:           120
        .value_kind:     by_value
    .group_segment_fixed_size: 0
    .kernarg_segment_align: 8
    .kernarg_segment_size: 120
    .language:       OpenCL C
    .language_version:
      - 2
      - 0
    .max_flat_workgroup_size: 256
    .name:           _ZN7rocprim17ROCPRIM_400000_NS6detail17trampoline_kernelINS0_14default_configENS1_25partition_config_selectorILNS1_17partition_subalgoE8ElNS0_10empty_typeEbEEZZNS1_14partition_implILS5_8ELb0ES3_jPlPS6_PKS6_NS0_5tupleIJS9_S6_EEENSD_IJSA_SA_EEENS0_18inequality_wrapperIZN2at6native12_GLOBAL__N_124unique_dim_cuda_templateIjEESt5tupleIJNSH_6TensorESM_SM_EERKSM_lbbbEUlllE0_EEPmJS6_EEE10hipError_tPvRmT3_T4_T5_T6_T7_T9_mT8_P12ihipStream_tbDpT10_ENKUlT_T0_E_clISt17integral_constantIbLb1EES1B_IbLb0EEEEDaS17_S18_EUlS17_E_NS1_11comp_targetILNS1_3genE2ELNS1_11target_archE906ELNS1_3gpuE6ELNS1_3repE0EEENS1_30default_config_static_selectorELNS0_4arch9wavefront6targetE1EEEvT1_
    .private_segment_fixed_size: 0
    .sgpr_count:     6
    .sgpr_spill_count: 0
    .symbol:         _ZN7rocprim17ROCPRIM_400000_NS6detail17trampoline_kernelINS0_14default_configENS1_25partition_config_selectorILNS1_17partition_subalgoE8ElNS0_10empty_typeEbEEZZNS1_14partition_implILS5_8ELb0ES3_jPlPS6_PKS6_NS0_5tupleIJS9_S6_EEENSD_IJSA_SA_EEENS0_18inequality_wrapperIZN2at6native12_GLOBAL__N_124unique_dim_cuda_templateIjEESt5tupleIJNSH_6TensorESM_SM_EERKSM_lbbbEUlllE0_EEPmJS6_EEE10hipError_tPvRmT3_T4_T5_T6_T7_T9_mT8_P12ihipStream_tbDpT10_ENKUlT_T0_E_clISt17integral_constantIbLb1EES1B_IbLb0EEEEDaS17_S18_EUlS17_E_NS1_11comp_targetILNS1_3genE2ELNS1_11target_archE906ELNS1_3gpuE6ELNS1_3repE0EEENS1_30default_config_static_selectorELNS0_4arch9wavefront6targetE1EEEvT1_.kd
    .uniform_work_group_size: 1
    .uses_dynamic_stack: false
    .vgpr_count:     0
    .vgpr_spill_count: 0
    .wavefront_size: 64
  - .agpr_count:     0
    .args:
      - .offset:         0
        .size:           120
        .value_kind:     by_value
    .group_segment_fixed_size: 0
    .kernarg_segment_align: 8
    .kernarg_segment_size: 120
    .language:       OpenCL C
    .language_version:
      - 2
      - 0
    .max_flat_workgroup_size: 384
    .name:           _ZN7rocprim17ROCPRIM_400000_NS6detail17trampoline_kernelINS0_14default_configENS1_25partition_config_selectorILNS1_17partition_subalgoE8ElNS0_10empty_typeEbEEZZNS1_14partition_implILS5_8ELb0ES3_jPlPS6_PKS6_NS0_5tupleIJS9_S6_EEENSD_IJSA_SA_EEENS0_18inequality_wrapperIZN2at6native12_GLOBAL__N_124unique_dim_cuda_templateIjEESt5tupleIJNSH_6TensorESM_SM_EERKSM_lbbbEUlllE0_EEPmJS6_EEE10hipError_tPvRmT3_T4_T5_T6_T7_T9_mT8_P12ihipStream_tbDpT10_ENKUlT_T0_E_clISt17integral_constantIbLb1EES1B_IbLb0EEEEDaS17_S18_EUlS17_E_NS1_11comp_targetILNS1_3genE10ELNS1_11target_archE1200ELNS1_3gpuE4ELNS1_3repE0EEENS1_30default_config_static_selectorELNS0_4arch9wavefront6targetE1EEEvT1_
    .private_segment_fixed_size: 0
    .sgpr_count:     6
    .sgpr_spill_count: 0
    .symbol:         _ZN7rocprim17ROCPRIM_400000_NS6detail17trampoline_kernelINS0_14default_configENS1_25partition_config_selectorILNS1_17partition_subalgoE8ElNS0_10empty_typeEbEEZZNS1_14partition_implILS5_8ELb0ES3_jPlPS6_PKS6_NS0_5tupleIJS9_S6_EEENSD_IJSA_SA_EEENS0_18inequality_wrapperIZN2at6native12_GLOBAL__N_124unique_dim_cuda_templateIjEESt5tupleIJNSH_6TensorESM_SM_EERKSM_lbbbEUlllE0_EEPmJS6_EEE10hipError_tPvRmT3_T4_T5_T6_T7_T9_mT8_P12ihipStream_tbDpT10_ENKUlT_T0_E_clISt17integral_constantIbLb1EES1B_IbLb0EEEEDaS17_S18_EUlS17_E_NS1_11comp_targetILNS1_3genE10ELNS1_11target_archE1200ELNS1_3gpuE4ELNS1_3repE0EEENS1_30default_config_static_selectorELNS0_4arch9wavefront6targetE1EEEvT1_.kd
    .uniform_work_group_size: 1
    .uses_dynamic_stack: false
    .vgpr_count:     0
    .vgpr_spill_count: 0
    .wavefront_size: 64
  - .agpr_count:     0
    .args:
      - .offset:         0
        .size:           120
        .value_kind:     by_value
    .group_segment_fixed_size: 0
    .kernarg_segment_align: 8
    .kernarg_segment_size: 120
    .language:       OpenCL C
    .language_version:
      - 2
      - 0
    .max_flat_workgroup_size: 512
    .name:           _ZN7rocprim17ROCPRIM_400000_NS6detail17trampoline_kernelINS0_14default_configENS1_25partition_config_selectorILNS1_17partition_subalgoE8ElNS0_10empty_typeEbEEZZNS1_14partition_implILS5_8ELb0ES3_jPlPS6_PKS6_NS0_5tupleIJS9_S6_EEENSD_IJSA_SA_EEENS0_18inequality_wrapperIZN2at6native12_GLOBAL__N_124unique_dim_cuda_templateIjEESt5tupleIJNSH_6TensorESM_SM_EERKSM_lbbbEUlllE0_EEPmJS6_EEE10hipError_tPvRmT3_T4_T5_T6_T7_T9_mT8_P12ihipStream_tbDpT10_ENKUlT_T0_E_clISt17integral_constantIbLb1EES1B_IbLb0EEEEDaS17_S18_EUlS17_E_NS1_11comp_targetILNS1_3genE9ELNS1_11target_archE1100ELNS1_3gpuE3ELNS1_3repE0EEENS1_30default_config_static_selectorELNS0_4arch9wavefront6targetE1EEEvT1_
    .private_segment_fixed_size: 0
    .sgpr_count:     6
    .sgpr_spill_count: 0
    .symbol:         _ZN7rocprim17ROCPRIM_400000_NS6detail17trampoline_kernelINS0_14default_configENS1_25partition_config_selectorILNS1_17partition_subalgoE8ElNS0_10empty_typeEbEEZZNS1_14partition_implILS5_8ELb0ES3_jPlPS6_PKS6_NS0_5tupleIJS9_S6_EEENSD_IJSA_SA_EEENS0_18inequality_wrapperIZN2at6native12_GLOBAL__N_124unique_dim_cuda_templateIjEESt5tupleIJNSH_6TensorESM_SM_EERKSM_lbbbEUlllE0_EEPmJS6_EEE10hipError_tPvRmT3_T4_T5_T6_T7_T9_mT8_P12ihipStream_tbDpT10_ENKUlT_T0_E_clISt17integral_constantIbLb1EES1B_IbLb0EEEEDaS17_S18_EUlS17_E_NS1_11comp_targetILNS1_3genE9ELNS1_11target_archE1100ELNS1_3gpuE3ELNS1_3repE0EEENS1_30default_config_static_selectorELNS0_4arch9wavefront6targetE1EEEvT1_.kd
    .uniform_work_group_size: 1
    .uses_dynamic_stack: false
    .vgpr_count:     0
    .vgpr_spill_count: 0
    .wavefront_size: 64
  - .agpr_count:     0
    .args:
      - .offset:         0
        .size:           120
        .value_kind:     by_value
    .group_segment_fixed_size: 0
    .kernarg_segment_align: 8
    .kernarg_segment_size: 120
    .language:       OpenCL C
    .language_version:
      - 2
      - 0
    .max_flat_workgroup_size: 512
    .name:           _ZN7rocprim17ROCPRIM_400000_NS6detail17trampoline_kernelINS0_14default_configENS1_25partition_config_selectorILNS1_17partition_subalgoE8ElNS0_10empty_typeEbEEZZNS1_14partition_implILS5_8ELb0ES3_jPlPS6_PKS6_NS0_5tupleIJS9_S6_EEENSD_IJSA_SA_EEENS0_18inequality_wrapperIZN2at6native12_GLOBAL__N_124unique_dim_cuda_templateIjEESt5tupleIJNSH_6TensorESM_SM_EERKSM_lbbbEUlllE0_EEPmJS6_EEE10hipError_tPvRmT3_T4_T5_T6_T7_T9_mT8_P12ihipStream_tbDpT10_ENKUlT_T0_E_clISt17integral_constantIbLb1EES1B_IbLb0EEEEDaS17_S18_EUlS17_E_NS1_11comp_targetILNS1_3genE8ELNS1_11target_archE1030ELNS1_3gpuE2ELNS1_3repE0EEENS1_30default_config_static_selectorELNS0_4arch9wavefront6targetE1EEEvT1_
    .private_segment_fixed_size: 0
    .sgpr_count:     6
    .sgpr_spill_count: 0
    .symbol:         _ZN7rocprim17ROCPRIM_400000_NS6detail17trampoline_kernelINS0_14default_configENS1_25partition_config_selectorILNS1_17partition_subalgoE8ElNS0_10empty_typeEbEEZZNS1_14partition_implILS5_8ELb0ES3_jPlPS6_PKS6_NS0_5tupleIJS9_S6_EEENSD_IJSA_SA_EEENS0_18inequality_wrapperIZN2at6native12_GLOBAL__N_124unique_dim_cuda_templateIjEESt5tupleIJNSH_6TensorESM_SM_EERKSM_lbbbEUlllE0_EEPmJS6_EEE10hipError_tPvRmT3_T4_T5_T6_T7_T9_mT8_P12ihipStream_tbDpT10_ENKUlT_T0_E_clISt17integral_constantIbLb1EES1B_IbLb0EEEEDaS17_S18_EUlS17_E_NS1_11comp_targetILNS1_3genE8ELNS1_11target_archE1030ELNS1_3gpuE2ELNS1_3repE0EEENS1_30default_config_static_selectorELNS0_4arch9wavefront6targetE1EEEvT1_.kd
    .uniform_work_group_size: 1
    .uses_dynamic_stack: false
    .vgpr_count:     0
    .vgpr_spill_count: 0
    .wavefront_size: 64
  - .agpr_count:     0
    .args:
      - .offset:         0
        .size:           136
        .value_kind:     by_value
    .group_segment_fixed_size: 0
    .kernarg_segment_align: 8
    .kernarg_segment_size: 136
    .language:       OpenCL C
    .language_version:
      - 2
      - 0
    .max_flat_workgroup_size: 512
    .name:           _ZN7rocprim17ROCPRIM_400000_NS6detail17trampoline_kernelINS0_14default_configENS1_25partition_config_selectorILNS1_17partition_subalgoE8ElNS0_10empty_typeEbEEZZNS1_14partition_implILS5_8ELb0ES3_jPlPS6_PKS6_NS0_5tupleIJS9_S6_EEENSD_IJSA_SA_EEENS0_18inequality_wrapperIZN2at6native12_GLOBAL__N_124unique_dim_cuda_templateIjEESt5tupleIJNSH_6TensorESM_SM_EERKSM_lbbbEUlllE0_EEPmJS6_EEE10hipError_tPvRmT3_T4_T5_T6_T7_T9_mT8_P12ihipStream_tbDpT10_ENKUlT_T0_E_clISt17integral_constantIbLb0EES1B_IbLb1EEEEDaS17_S18_EUlS17_E_NS1_11comp_targetILNS1_3genE0ELNS1_11target_archE4294967295ELNS1_3gpuE0ELNS1_3repE0EEENS1_30default_config_static_selectorELNS0_4arch9wavefront6targetE1EEEvT1_
    .private_segment_fixed_size: 0
    .sgpr_count:     6
    .sgpr_spill_count: 0
    .symbol:         _ZN7rocprim17ROCPRIM_400000_NS6detail17trampoline_kernelINS0_14default_configENS1_25partition_config_selectorILNS1_17partition_subalgoE8ElNS0_10empty_typeEbEEZZNS1_14partition_implILS5_8ELb0ES3_jPlPS6_PKS6_NS0_5tupleIJS9_S6_EEENSD_IJSA_SA_EEENS0_18inequality_wrapperIZN2at6native12_GLOBAL__N_124unique_dim_cuda_templateIjEESt5tupleIJNSH_6TensorESM_SM_EERKSM_lbbbEUlllE0_EEPmJS6_EEE10hipError_tPvRmT3_T4_T5_T6_T7_T9_mT8_P12ihipStream_tbDpT10_ENKUlT_T0_E_clISt17integral_constantIbLb0EES1B_IbLb1EEEEDaS17_S18_EUlS17_E_NS1_11comp_targetILNS1_3genE0ELNS1_11target_archE4294967295ELNS1_3gpuE0ELNS1_3repE0EEENS1_30default_config_static_selectorELNS0_4arch9wavefront6targetE1EEEvT1_.kd
    .uniform_work_group_size: 1
    .uses_dynamic_stack: false
    .vgpr_count:     0
    .vgpr_spill_count: 0
    .wavefront_size: 64
  - .agpr_count:     0
    .args:
      - .offset:         0
        .size:           136
        .value_kind:     by_value
    .group_segment_fixed_size: 28684
    .kernarg_segment_align: 8
    .kernarg_segment_size: 136
    .language:       OpenCL C
    .language_version:
      - 2
      - 0
    .max_flat_workgroup_size: 512
    .name:           _ZN7rocprim17ROCPRIM_400000_NS6detail17trampoline_kernelINS0_14default_configENS1_25partition_config_selectorILNS1_17partition_subalgoE8ElNS0_10empty_typeEbEEZZNS1_14partition_implILS5_8ELb0ES3_jPlPS6_PKS6_NS0_5tupleIJS9_S6_EEENSD_IJSA_SA_EEENS0_18inequality_wrapperIZN2at6native12_GLOBAL__N_124unique_dim_cuda_templateIjEESt5tupleIJNSH_6TensorESM_SM_EERKSM_lbbbEUlllE0_EEPmJS6_EEE10hipError_tPvRmT3_T4_T5_T6_T7_T9_mT8_P12ihipStream_tbDpT10_ENKUlT_T0_E_clISt17integral_constantIbLb0EES1B_IbLb1EEEEDaS17_S18_EUlS17_E_NS1_11comp_targetILNS1_3genE5ELNS1_11target_archE942ELNS1_3gpuE9ELNS1_3repE0EEENS1_30default_config_static_selectorELNS0_4arch9wavefront6targetE1EEEvT1_
    .private_segment_fixed_size: 0
    .sgpr_count:     62
    .sgpr_spill_count: 0
    .symbol:         _ZN7rocprim17ROCPRIM_400000_NS6detail17trampoline_kernelINS0_14default_configENS1_25partition_config_selectorILNS1_17partition_subalgoE8ElNS0_10empty_typeEbEEZZNS1_14partition_implILS5_8ELb0ES3_jPlPS6_PKS6_NS0_5tupleIJS9_S6_EEENSD_IJSA_SA_EEENS0_18inequality_wrapperIZN2at6native12_GLOBAL__N_124unique_dim_cuda_templateIjEESt5tupleIJNSH_6TensorESM_SM_EERKSM_lbbbEUlllE0_EEPmJS6_EEE10hipError_tPvRmT3_T4_T5_T6_T7_T9_mT8_P12ihipStream_tbDpT10_ENKUlT_T0_E_clISt17integral_constantIbLb0EES1B_IbLb1EEEEDaS17_S18_EUlS17_E_NS1_11comp_targetILNS1_3genE5ELNS1_11target_archE942ELNS1_3gpuE9ELNS1_3repE0EEENS1_30default_config_static_selectorELNS0_4arch9wavefront6targetE1EEEvT1_.kd
    .uniform_work_group_size: 1
    .uses_dynamic_stack: false
    .vgpr_count:     52
    .vgpr_spill_count: 0
    .wavefront_size: 64
  - .agpr_count:     0
    .args:
      - .offset:         0
        .size:           136
        .value_kind:     by_value
    .group_segment_fixed_size: 0
    .kernarg_segment_align: 8
    .kernarg_segment_size: 136
    .language:       OpenCL C
    .language_version:
      - 2
      - 0
    .max_flat_workgroup_size: 256
    .name:           _ZN7rocprim17ROCPRIM_400000_NS6detail17trampoline_kernelINS0_14default_configENS1_25partition_config_selectorILNS1_17partition_subalgoE8ElNS0_10empty_typeEbEEZZNS1_14partition_implILS5_8ELb0ES3_jPlPS6_PKS6_NS0_5tupleIJS9_S6_EEENSD_IJSA_SA_EEENS0_18inequality_wrapperIZN2at6native12_GLOBAL__N_124unique_dim_cuda_templateIjEESt5tupleIJNSH_6TensorESM_SM_EERKSM_lbbbEUlllE0_EEPmJS6_EEE10hipError_tPvRmT3_T4_T5_T6_T7_T9_mT8_P12ihipStream_tbDpT10_ENKUlT_T0_E_clISt17integral_constantIbLb0EES1B_IbLb1EEEEDaS17_S18_EUlS17_E_NS1_11comp_targetILNS1_3genE4ELNS1_11target_archE910ELNS1_3gpuE8ELNS1_3repE0EEENS1_30default_config_static_selectorELNS0_4arch9wavefront6targetE1EEEvT1_
    .private_segment_fixed_size: 0
    .sgpr_count:     6
    .sgpr_spill_count: 0
    .symbol:         _ZN7rocprim17ROCPRIM_400000_NS6detail17trampoline_kernelINS0_14default_configENS1_25partition_config_selectorILNS1_17partition_subalgoE8ElNS0_10empty_typeEbEEZZNS1_14partition_implILS5_8ELb0ES3_jPlPS6_PKS6_NS0_5tupleIJS9_S6_EEENSD_IJSA_SA_EEENS0_18inequality_wrapperIZN2at6native12_GLOBAL__N_124unique_dim_cuda_templateIjEESt5tupleIJNSH_6TensorESM_SM_EERKSM_lbbbEUlllE0_EEPmJS6_EEE10hipError_tPvRmT3_T4_T5_T6_T7_T9_mT8_P12ihipStream_tbDpT10_ENKUlT_T0_E_clISt17integral_constantIbLb0EES1B_IbLb1EEEEDaS17_S18_EUlS17_E_NS1_11comp_targetILNS1_3genE4ELNS1_11target_archE910ELNS1_3gpuE8ELNS1_3repE0EEENS1_30default_config_static_selectorELNS0_4arch9wavefront6targetE1EEEvT1_.kd
    .uniform_work_group_size: 1
    .uses_dynamic_stack: false
    .vgpr_count:     0
    .vgpr_spill_count: 0
    .wavefront_size: 64
  - .agpr_count:     0
    .args:
      - .offset:         0
        .size:           136
        .value_kind:     by_value
    .group_segment_fixed_size: 0
    .kernarg_segment_align: 8
    .kernarg_segment_size: 136
    .language:       OpenCL C
    .language_version:
      - 2
      - 0
    .max_flat_workgroup_size: 512
    .name:           _ZN7rocprim17ROCPRIM_400000_NS6detail17trampoline_kernelINS0_14default_configENS1_25partition_config_selectorILNS1_17partition_subalgoE8ElNS0_10empty_typeEbEEZZNS1_14partition_implILS5_8ELb0ES3_jPlPS6_PKS6_NS0_5tupleIJS9_S6_EEENSD_IJSA_SA_EEENS0_18inequality_wrapperIZN2at6native12_GLOBAL__N_124unique_dim_cuda_templateIjEESt5tupleIJNSH_6TensorESM_SM_EERKSM_lbbbEUlllE0_EEPmJS6_EEE10hipError_tPvRmT3_T4_T5_T6_T7_T9_mT8_P12ihipStream_tbDpT10_ENKUlT_T0_E_clISt17integral_constantIbLb0EES1B_IbLb1EEEEDaS17_S18_EUlS17_E_NS1_11comp_targetILNS1_3genE3ELNS1_11target_archE908ELNS1_3gpuE7ELNS1_3repE0EEENS1_30default_config_static_selectorELNS0_4arch9wavefront6targetE1EEEvT1_
    .private_segment_fixed_size: 0
    .sgpr_count:     6
    .sgpr_spill_count: 0
    .symbol:         _ZN7rocprim17ROCPRIM_400000_NS6detail17trampoline_kernelINS0_14default_configENS1_25partition_config_selectorILNS1_17partition_subalgoE8ElNS0_10empty_typeEbEEZZNS1_14partition_implILS5_8ELb0ES3_jPlPS6_PKS6_NS0_5tupleIJS9_S6_EEENSD_IJSA_SA_EEENS0_18inequality_wrapperIZN2at6native12_GLOBAL__N_124unique_dim_cuda_templateIjEESt5tupleIJNSH_6TensorESM_SM_EERKSM_lbbbEUlllE0_EEPmJS6_EEE10hipError_tPvRmT3_T4_T5_T6_T7_T9_mT8_P12ihipStream_tbDpT10_ENKUlT_T0_E_clISt17integral_constantIbLb0EES1B_IbLb1EEEEDaS17_S18_EUlS17_E_NS1_11comp_targetILNS1_3genE3ELNS1_11target_archE908ELNS1_3gpuE7ELNS1_3repE0EEENS1_30default_config_static_selectorELNS0_4arch9wavefront6targetE1EEEvT1_.kd
    .uniform_work_group_size: 1
    .uses_dynamic_stack: false
    .vgpr_count:     0
    .vgpr_spill_count: 0
    .wavefront_size: 64
  - .agpr_count:     0
    .args:
      - .offset:         0
        .size:           136
        .value_kind:     by_value
    .group_segment_fixed_size: 0
    .kernarg_segment_align: 8
    .kernarg_segment_size: 136
    .language:       OpenCL C
    .language_version:
      - 2
      - 0
    .max_flat_workgroup_size: 256
    .name:           _ZN7rocprim17ROCPRIM_400000_NS6detail17trampoline_kernelINS0_14default_configENS1_25partition_config_selectorILNS1_17partition_subalgoE8ElNS0_10empty_typeEbEEZZNS1_14partition_implILS5_8ELb0ES3_jPlPS6_PKS6_NS0_5tupleIJS9_S6_EEENSD_IJSA_SA_EEENS0_18inequality_wrapperIZN2at6native12_GLOBAL__N_124unique_dim_cuda_templateIjEESt5tupleIJNSH_6TensorESM_SM_EERKSM_lbbbEUlllE0_EEPmJS6_EEE10hipError_tPvRmT3_T4_T5_T6_T7_T9_mT8_P12ihipStream_tbDpT10_ENKUlT_T0_E_clISt17integral_constantIbLb0EES1B_IbLb1EEEEDaS17_S18_EUlS17_E_NS1_11comp_targetILNS1_3genE2ELNS1_11target_archE906ELNS1_3gpuE6ELNS1_3repE0EEENS1_30default_config_static_selectorELNS0_4arch9wavefront6targetE1EEEvT1_
    .private_segment_fixed_size: 0
    .sgpr_count:     6
    .sgpr_spill_count: 0
    .symbol:         _ZN7rocprim17ROCPRIM_400000_NS6detail17trampoline_kernelINS0_14default_configENS1_25partition_config_selectorILNS1_17partition_subalgoE8ElNS0_10empty_typeEbEEZZNS1_14partition_implILS5_8ELb0ES3_jPlPS6_PKS6_NS0_5tupleIJS9_S6_EEENSD_IJSA_SA_EEENS0_18inequality_wrapperIZN2at6native12_GLOBAL__N_124unique_dim_cuda_templateIjEESt5tupleIJNSH_6TensorESM_SM_EERKSM_lbbbEUlllE0_EEPmJS6_EEE10hipError_tPvRmT3_T4_T5_T6_T7_T9_mT8_P12ihipStream_tbDpT10_ENKUlT_T0_E_clISt17integral_constantIbLb0EES1B_IbLb1EEEEDaS17_S18_EUlS17_E_NS1_11comp_targetILNS1_3genE2ELNS1_11target_archE906ELNS1_3gpuE6ELNS1_3repE0EEENS1_30default_config_static_selectorELNS0_4arch9wavefront6targetE1EEEvT1_.kd
    .uniform_work_group_size: 1
    .uses_dynamic_stack: false
    .vgpr_count:     0
    .vgpr_spill_count: 0
    .wavefront_size: 64
  - .agpr_count:     0
    .args:
      - .offset:         0
        .size:           136
        .value_kind:     by_value
    .group_segment_fixed_size: 0
    .kernarg_segment_align: 8
    .kernarg_segment_size: 136
    .language:       OpenCL C
    .language_version:
      - 2
      - 0
    .max_flat_workgroup_size: 384
    .name:           _ZN7rocprim17ROCPRIM_400000_NS6detail17trampoline_kernelINS0_14default_configENS1_25partition_config_selectorILNS1_17partition_subalgoE8ElNS0_10empty_typeEbEEZZNS1_14partition_implILS5_8ELb0ES3_jPlPS6_PKS6_NS0_5tupleIJS9_S6_EEENSD_IJSA_SA_EEENS0_18inequality_wrapperIZN2at6native12_GLOBAL__N_124unique_dim_cuda_templateIjEESt5tupleIJNSH_6TensorESM_SM_EERKSM_lbbbEUlllE0_EEPmJS6_EEE10hipError_tPvRmT3_T4_T5_T6_T7_T9_mT8_P12ihipStream_tbDpT10_ENKUlT_T0_E_clISt17integral_constantIbLb0EES1B_IbLb1EEEEDaS17_S18_EUlS17_E_NS1_11comp_targetILNS1_3genE10ELNS1_11target_archE1200ELNS1_3gpuE4ELNS1_3repE0EEENS1_30default_config_static_selectorELNS0_4arch9wavefront6targetE1EEEvT1_
    .private_segment_fixed_size: 0
    .sgpr_count:     6
    .sgpr_spill_count: 0
    .symbol:         _ZN7rocprim17ROCPRIM_400000_NS6detail17trampoline_kernelINS0_14default_configENS1_25partition_config_selectorILNS1_17partition_subalgoE8ElNS0_10empty_typeEbEEZZNS1_14partition_implILS5_8ELb0ES3_jPlPS6_PKS6_NS0_5tupleIJS9_S6_EEENSD_IJSA_SA_EEENS0_18inequality_wrapperIZN2at6native12_GLOBAL__N_124unique_dim_cuda_templateIjEESt5tupleIJNSH_6TensorESM_SM_EERKSM_lbbbEUlllE0_EEPmJS6_EEE10hipError_tPvRmT3_T4_T5_T6_T7_T9_mT8_P12ihipStream_tbDpT10_ENKUlT_T0_E_clISt17integral_constantIbLb0EES1B_IbLb1EEEEDaS17_S18_EUlS17_E_NS1_11comp_targetILNS1_3genE10ELNS1_11target_archE1200ELNS1_3gpuE4ELNS1_3repE0EEENS1_30default_config_static_selectorELNS0_4arch9wavefront6targetE1EEEvT1_.kd
    .uniform_work_group_size: 1
    .uses_dynamic_stack: false
    .vgpr_count:     0
    .vgpr_spill_count: 0
    .wavefront_size: 64
  - .agpr_count:     0
    .args:
      - .offset:         0
        .size:           136
        .value_kind:     by_value
    .group_segment_fixed_size: 0
    .kernarg_segment_align: 8
    .kernarg_segment_size: 136
    .language:       OpenCL C
    .language_version:
      - 2
      - 0
    .max_flat_workgroup_size: 512
    .name:           _ZN7rocprim17ROCPRIM_400000_NS6detail17trampoline_kernelINS0_14default_configENS1_25partition_config_selectorILNS1_17partition_subalgoE8ElNS0_10empty_typeEbEEZZNS1_14partition_implILS5_8ELb0ES3_jPlPS6_PKS6_NS0_5tupleIJS9_S6_EEENSD_IJSA_SA_EEENS0_18inequality_wrapperIZN2at6native12_GLOBAL__N_124unique_dim_cuda_templateIjEESt5tupleIJNSH_6TensorESM_SM_EERKSM_lbbbEUlllE0_EEPmJS6_EEE10hipError_tPvRmT3_T4_T5_T6_T7_T9_mT8_P12ihipStream_tbDpT10_ENKUlT_T0_E_clISt17integral_constantIbLb0EES1B_IbLb1EEEEDaS17_S18_EUlS17_E_NS1_11comp_targetILNS1_3genE9ELNS1_11target_archE1100ELNS1_3gpuE3ELNS1_3repE0EEENS1_30default_config_static_selectorELNS0_4arch9wavefront6targetE1EEEvT1_
    .private_segment_fixed_size: 0
    .sgpr_count:     6
    .sgpr_spill_count: 0
    .symbol:         _ZN7rocprim17ROCPRIM_400000_NS6detail17trampoline_kernelINS0_14default_configENS1_25partition_config_selectorILNS1_17partition_subalgoE8ElNS0_10empty_typeEbEEZZNS1_14partition_implILS5_8ELb0ES3_jPlPS6_PKS6_NS0_5tupleIJS9_S6_EEENSD_IJSA_SA_EEENS0_18inequality_wrapperIZN2at6native12_GLOBAL__N_124unique_dim_cuda_templateIjEESt5tupleIJNSH_6TensorESM_SM_EERKSM_lbbbEUlllE0_EEPmJS6_EEE10hipError_tPvRmT3_T4_T5_T6_T7_T9_mT8_P12ihipStream_tbDpT10_ENKUlT_T0_E_clISt17integral_constantIbLb0EES1B_IbLb1EEEEDaS17_S18_EUlS17_E_NS1_11comp_targetILNS1_3genE9ELNS1_11target_archE1100ELNS1_3gpuE3ELNS1_3repE0EEENS1_30default_config_static_selectorELNS0_4arch9wavefront6targetE1EEEvT1_.kd
    .uniform_work_group_size: 1
    .uses_dynamic_stack: false
    .vgpr_count:     0
    .vgpr_spill_count: 0
    .wavefront_size: 64
  - .agpr_count:     0
    .args:
      - .offset:         0
        .size:           136
        .value_kind:     by_value
    .group_segment_fixed_size: 0
    .kernarg_segment_align: 8
    .kernarg_segment_size: 136
    .language:       OpenCL C
    .language_version:
      - 2
      - 0
    .max_flat_workgroup_size: 512
    .name:           _ZN7rocprim17ROCPRIM_400000_NS6detail17trampoline_kernelINS0_14default_configENS1_25partition_config_selectorILNS1_17partition_subalgoE8ElNS0_10empty_typeEbEEZZNS1_14partition_implILS5_8ELb0ES3_jPlPS6_PKS6_NS0_5tupleIJS9_S6_EEENSD_IJSA_SA_EEENS0_18inequality_wrapperIZN2at6native12_GLOBAL__N_124unique_dim_cuda_templateIjEESt5tupleIJNSH_6TensorESM_SM_EERKSM_lbbbEUlllE0_EEPmJS6_EEE10hipError_tPvRmT3_T4_T5_T6_T7_T9_mT8_P12ihipStream_tbDpT10_ENKUlT_T0_E_clISt17integral_constantIbLb0EES1B_IbLb1EEEEDaS17_S18_EUlS17_E_NS1_11comp_targetILNS1_3genE8ELNS1_11target_archE1030ELNS1_3gpuE2ELNS1_3repE0EEENS1_30default_config_static_selectorELNS0_4arch9wavefront6targetE1EEEvT1_
    .private_segment_fixed_size: 0
    .sgpr_count:     6
    .sgpr_spill_count: 0
    .symbol:         _ZN7rocprim17ROCPRIM_400000_NS6detail17trampoline_kernelINS0_14default_configENS1_25partition_config_selectorILNS1_17partition_subalgoE8ElNS0_10empty_typeEbEEZZNS1_14partition_implILS5_8ELb0ES3_jPlPS6_PKS6_NS0_5tupleIJS9_S6_EEENSD_IJSA_SA_EEENS0_18inequality_wrapperIZN2at6native12_GLOBAL__N_124unique_dim_cuda_templateIjEESt5tupleIJNSH_6TensorESM_SM_EERKSM_lbbbEUlllE0_EEPmJS6_EEE10hipError_tPvRmT3_T4_T5_T6_T7_T9_mT8_P12ihipStream_tbDpT10_ENKUlT_T0_E_clISt17integral_constantIbLb0EES1B_IbLb1EEEEDaS17_S18_EUlS17_E_NS1_11comp_targetILNS1_3genE8ELNS1_11target_archE1030ELNS1_3gpuE2ELNS1_3repE0EEENS1_30default_config_static_selectorELNS0_4arch9wavefront6targetE1EEEvT1_.kd
    .uniform_work_group_size: 1
    .uses_dynamic_stack: false
    .vgpr_count:     0
    .vgpr_spill_count: 0
    .wavefront_size: 64
  - .agpr_count:     0
    .args:
      - .offset:         0
        .size:           120
        .value_kind:     by_value
    .group_segment_fixed_size: 0
    .kernarg_segment_align: 8
    .kernarg_segment_size: 120
    .language:       OpenCL C
    .language_version:
      - 2
      - 0
    .max_flat_workgroup_size: 128
    .name:           _ZN7rocprim17ROCPRIM_400000_NS6detail17trampoline_kernelINS0_14default_configENS1_25partition_config_selectorILNS1_17partition_subalgoE9EllbEEZZNS1_14partition_implILS5_9ELb0ES3_jPlS8_PNS0_10empty_typeENS0_5tupleIJS8_S9_EEENSB_IJS8_SA_EEENS0_18inequality_wrapperIZN2at6native12_GLOBAL__N_124unique_dim_cuda_templateIjEESt5tupleIJNSF_6TensorESK_SK_EERKSK_lbbbEUlllE0_EEPmJS9_EEE10hipError_tPvRmT3_T4_T5_T6_T7_T9_mT8_P12ihipStream_tbDpT10_ENKUlT_T0_E_clISt17integral_constantIbLb0EES1A_EEDaS15_S16_EUlS15_E_NS1_11comp_targetILNS1_3genE0ELNS1_11target_archE4294967295ELNS1_3gpuE0ELNS1_3repE0EEENS1_30default_config_static_selectorELNS0_4arch9wavefront6targetE1EEEvT1_
    .private_segment_fixed_size: 0
    .sgpr_count:     6
    .sgpr_spill_count: 0
    .symbol:         _ZN7rocprim17ROCPRIM_400000_NS6detail17trampoline_kernelINS0_14default_configENS1_25partition_config_selectorILNS1_17partition_subalgoE9EllbEEZZNS1_14partition_implILS5_9ELb0ES3_jPlS8_PNS0_10empty_typeENS0_5tupleIJS8_S9_EEENSB_IJS8_SA_EEENS0_18inequality_wrapperIZN2at6native12_GLOBAL__N_124unique_dim_cuda_templateIjEESt5tupleIJNSF_6TensorESK_SK_EERKSK_lbbbEUlllE0_EEPmJS9_EEE10hipError_tPvRmT3_T4_T5_T6_T7_T9_mT8_P12ihipStream_tbDpT10_ENKUlT_T0_E_clISt17integral_constantIbLb0EES1A_EEDaS15_S16_EUlS15_E_NS1_11comp_targetILNS1_3genE0ELNS1_11target_archE4294967295ELNS1_3gpuE0ELNS1_3repE0EEENS1_30default_config_static_selectorELNS0_4arch9wavefront6targetE1EEEvT1_.kd
    .uniform_work_group_size: 1
    .uses_dynamic_stack: false
    .vgpr_count:     0
    .vgpr_spill_count: 0
    .wavefront_size: 64
  - .agpr_count:     0
    .args:
      - .offset:         0
        .size:           120
        .value_kind:     by_value
    .group_segment_fixed_size: 28684
    .kernarg_segment_align: 8
    .kernarg_segment_size: 120
    .language:       OpenCL C
    .language_version:
      - 2
      - 0
    .max_flat_workgroup_size: 512
    .name:           _ZN7rocprim17ROCPRIM_400000_NS6detail17trampoline_kernelINS0_14default_configENS1_25partition_config_selectorILNS1_17partition_subalgoE9EllbEEZZNS1_14partition_implILS5_9ELb0ES3_jPlS8_PNS0_10empty_typeENS0_5tupleIJS8_S9_EEENSB_IJS8_SA_EEENS0_18inequality_wrapperIZN2at6native12_GLOBAL__N_124unique_dim_cuda_templateIjEESt5tupleIJNSF_6TensorESK_SK_EERKSK_lbbbEUlllE0_EEPmJS9_EEE10hipError_tPvRmT3_T4_T5_T6_T7_T9_mT8_P12ihipStream_tbDpT10_ENKUlT_T0_E_clISt17integral_constantIbLb0EES1A_EEDaS15_S16_EUlS15_E_NS1_11comp_targetILNS1_3genE5ELNS1_11target_archE942ELNS1_3gpuE9ELNS1_3repE0EEENS1_30default_config_static_selectorELNS0_4arch9wavefront6targetE1EEEvT1_
    .private_segment_fixed_size: 0
    .sgpr_count:     58
    .sgpr_spill_count: 0
    .symbol:         _ZN7rocprim17ROCPRIM_400000_NS6detail17trampoline_kernelINS0_14default_configENS1_25partition_config_selectorILNS1_17partition_subalgoE9EllbEEZZNS1_14partition_implILS5_9ELb0ES3_jPlS8_PNS0_10empty_typeENS0_5tupleIJS8_S9_EEENSB_IJS8_SA_EEENS0_18inequality_wrapperIZN2at6native12_GLOBAL__N_124unique_dim_cuda_templateIjEESt5tupleIJNSF_6TensorESK_SK_EERKSK_lbbbEUlllE0_EEPmJS9_EEE10hipError_tPvRmT3_T4_T5_T6_T7_T9_mT8_P12ihipStream_tbDpT10_ENKUlT_T0_E_clISt17integral_constantIbLb0EES1A_EEDaS15_S16_EUlS15_E_NS1_11comp_targetILNS1_3genE5ELNS1_11target_archE942ELNS1_3gpuE9ELNS1_3repE0EEENS1_30default_config_static_selectorELNS0_4arch9wavefront6targetE1EEEvT1_.kd
    .uniform_work_group_size: 1
    .uses_dynamic_stack: false
    .vgpr_count:     66
    .vgpr_spill_count: 0
    .wavefront_size: 64
  - .agpr_count:     0
    .args:
      - .offset:         0
        .size:           120
        .value_kind:     by_value
    .group_segment_fixed_size: 0
    .kernarg_segment_align: 8
    .kernarg_segment_size: 120
    .language:       OpenCL C
    .language_version:
      - 2
      - 0
    .max_flat_workgroup_size: 128
    .name:           _ZN7rocprim17ROCPRIM_400000_NS6detail17trampoline_kernelINS0_14default_configENS1_25partition_config_selectorILNS1_17partition_subalgoE9EllbEEZZNS1_14partition_implILS5_9ELb0ES3_jPlS8_PNS0_10empty_typeENS0_5tupleIJS8_S9_EEENSB_IJS8_SA_EEENS0_18inequality_wrapperIZN2at6native12_GLOBAL__N_124unique_dim_cuda_templateIjEESt5tupleIJNSF_6TensorESK_SK_EERKSK_lbbbEUlllE0_EEPmJS9_EEE10hipError_tPvRmT3_T4_T5_T6_T7_T9_mT8_P12ihipStream_tbDpT10_ENKUlT_T0_E_clISt17integral_constantIbLb0EES1A_EEDaS15_S16_EUlS15_E_NS1_11comp_targetILNS1_3genE4ELNS1_11target_archE910ELNS1_3gpuE8ELNS1_3repE0EEENS1_30default_config_static_selectorELNS0_4arch9wavefront6targetE1EEEvT1_
    .private_segment_fixed_size: 0
    .sgpr_count:     6
    .sgpr_spill_count: 0
    .symbol:         _ZN7rocprim17ROCPRIM_400000_NS6detail17trampoline_kernelINS0_14default_configENS1_25partition_config_selectorILNS1_17partition_subalgoE9EllbEEZZNS1_14partition_implILS5_9ELb0ES3_jPlS8_PNS0_10empty_typeENS0_5tupleIJS8_S9_EEENSB_IJS8_SA_EEENS0_18inequality_wrapperIZN2at6native12_GLOBAL__N_124unique_dim_cuda_templateIjEESt5tupleIJNSF_6TensorESK_SK_EERKSK_lbbbEUlllE0_EEPmJS9_EEE10hipError_tPvRmT3_T4_T5_T6_T7_T9_mT8_P12ihipStream_tbDpT10_ENKUlT_T0_E_clISt17integral_constantIbLb0EES1A_EEDaS15_S16_EUlS15_E_NS1_11comp_targetILNS1_3genE4ELNS1_11target_archE910ELNS1_3gpuE8ELNS1_3repE0EEENS1_30default_config_static_selectorELNS0_4arch9wavefront6targetE1EEEvT1_.kd
    .uniform_work_group_size: 1
    .uses_dynamic_stack: false
    .vgpr_count:     0
    .vgpr_spill_count: 0
    .wavefront_size: 64
  - .agpr_count:     0
    .args:
      - .offset:         0
        .size:           120
        .value_kind:     by_value
    .group_segment_fixed_size: 0
    .kernarg_segment_align: 8
    .kernarg_segment_size: 120
    .language:       OpenCL C
    .language_version:
      - 2
      - 0
    .max_flat_workgroup_size: 128
    .name:           _ZN7rocprim17ROCPRIM_400000_NS6detail17trampoline_kernelINS0_14default_configENS1_25partition_config_selectorILNS1_17partition_subalgoE9EllbEEZZNS1_14partition_implILS5_9ELb0ES3_jPlS8_PNS0_10empty_typeENS0_5tupleIJS8_S9_EEENSB_IJS8_SA_EEENS0_18inequality_wrapperIZN2at6native12_GLOBAL__N_124unique_dim_cuda_templateIjEESt5tupleIJNSF_6TensorESK_SK_EERKSK_lbbbEUlllE0_EEPmJS9_EEE10hipError_tPvRmT3_T4_T5_T6_T7_T9_mT8_P12ihipStream_tbDpT10_ENKUlT_T0_E_clISt17integral_constantIbLb0EES1A_EEDaS15_S16_EUlS15_E_NS1_11comp_targetILNS1_3genE3ELNS1_11target_archE908ELNS1_3gpuE7ELNS1_3repE0EEENS1_30default_config_static_selectorELNS0_4arch9wavefront6targetE1EEEvT1_
    .private_segment_fixed_size: 0
    .sgpr_count:     6
    .sgpr_spill_count: 0
    .symbol:         _ZN7rocprim17ROCPRIM_400000_NS6detail17trampoline_kernelINS0_14default_configENS1_25partition_config_selectorILNS1_17partition_subalgoE9EllbEEZZNS1_14partition_implILS5_9ELb0ES3_jPlS8_PNS0_10empty_typeENS0_5tupleIJS8_S9_EEENSB_IJS8_SA_EEENS0_18inequality_wrapperIZN2at6native12_GLOBAL__N_124unique_dim_cuda_templateIjEESt5tupleIJNSF_6TensorESK_SK_EERKSK_lbbbEUlllE0_EEPmJS9_EEE10hipError_tPvRmT3_T4_T5_T6_T7_T9_mT8_P12ihipStream_tbDpT10_ENKUlT_T0_E_clISt17integral_constantIbLb0EES1A_EEDaS15_S16_EUlS15_E_NS1_11comp_targetILNS1_3genE3ELNS1_11target_archE908ELNS1_3gpuE7ELNS1_3repE0EEENS1_30default_config_static_selectorELNS0_4arch9wavefront6targetE1EEEvT1_.kd
    .uniform_work_group_size: 1
    .uses_dynamic_stack: false
    .vgpr_count:     0
    .vgpr_spill_count: 0
    .wavefront_size: 64
  - .agpr_count:     0
    .args:
      - .offset:         0
        .size:           120
        .value_kind:     by_value
    .group_segment_fixed_size: 0
    .kernarg_segment_align: 8
    .kernarg_segment_size: 120
    .language:       OpenCL C
    .language_version:
      - 2
      - 0
    .max_flat_workgroup_size: 192
    .name:           _ZN7rocprim17ROCPRIM_400000_NS6detail17trampoline_kernelINS0_14default_configENS1_25partition_config_selectorILNS1_17partition_subalgoE9EllbEEZZNS1_14partition_implILS5_9ELb0ES3_jPlS8_PNS0_10empty_typeENS0_5tupleIJS8_S9_EEENSB_IJS8_SA_EEENS0_18inequality_wrapperIZN2at6native12_GLOBAL__N_124unique_dim_cuda_templateIjEESt5tupleIJNSF_6TensorESK_SK_EERKSK_lbbbEUlllE0_EEPmJS9_EEE10hipError_tPvRmT3_T4_T5_T6_T7_T9_mT8_P12ihipStream_tbDpT10_ENKUlT_T0_E_clISt17integral_constantIbLb0EES1A_EEDaS15_S16_EUlS15_E_NS1_11comp_targetILNS1_3genE2ELNS1_11target_archE906ELNS1_3gpuE6ELNS1_3repE0EEENS1_30default_config_static_selectorELNS0_4arch9wavefront6targetE1EEEvT1_
    .private_segment_fixed_size: 0
    .sgpr_count:     6
    .sgpr_spill_count: 0
    .symbol:         _ZN7rocprim17ROCPRIM_400000_NS6detail17trampoline_kernelINS0_14default_configENS1_25partition_config_selectorILNS1_17partition_subalgoE9EllbEEZZNS1_14partition_implILS5_9ELb0ES3_jPlS8_PNS0_10empty_typeENS0_5tupleIJS8_S9_EEENSB_IJS8_SA_EEENS0_18inequality_wrapperIZN2at6native12_GLOBAL__N_124unique_dim_cuda_templateIjEESt5tupleIJNSF_6TensorESK_SK_EERKSK_lbbbEUlllE0_EEPmJS9_EEE10hipError_tPvRmT3_T4_T5_T6_T7_T9_mT8_P12ihipStream_tbDpT10_ENKUlT_T0_E_clISt17integral_constantIbLb0EES1A_EEDaS15_S16_EUlS15_E_NS1_11comp_targetILNS1_3genE2ELNS1_11target_archE906ELNS1_3gpuE6ELNS1_3repE0EEENS1_30default_config_static_selectorELNS0_4arch9wavefront6targetE1EEEvT1_.kd
    .uniform_work_group_size: 1
    .uses_dynamic_stack: false
    .vgpr_count:     0
    .vgpr_spill_count: 0
    .wavefront_size: 64
  - .agpr_count:     0
    .args:
      - .offset:         0
        .size:           120
        .value_kind:     by_value
    .group_segment_fixed_size: 0
    .kernarg_segment_align: 8
    .kernarg_segment_size: 120
    .language:       OpenCL C
    .language_version:
      - 2
      - 0
    .max_flat_workgroup_size: 384
    .name:           _ZN7rocprim17ROCPRIM_400000_NS6detail17trampoline_kernelINS0_14default_configENS1_25partition_config_selectorILNS1_17partition_subalgoE9EllbEEZZNS1_14partition_implILS5_9ELb0ES3_jPlS8_PNS0_10empty_typeENS0_5tupleIJS8_S9_EEENSB_IJS8_SA_EEENS0_18inequality_wrapperIZN2at6native12_GLOBAL__N_124unique_dim_cuda_templateIjEESt5tupleIJNSF_6TensorESK_SK_EERKSK_lbbbEUlllE0_EEPmJS9_EEE10hipError_tPvRmT3_T4_T5_T6_T7_T9_mT8_P12ihipStream_tbDpT10_ENKUlT_T0_E_clISt17integral_constantIbLb0EES1A_EEDaS15_S16_EUlS15_E_NS1_11comp_targetILNS1_3genE10ELNS1_11target_archE1200ELNS1_3gpuE4ELNS1_3repE0EEENS1_30default_config_static_selectorELNS0_4arch9wavefront6targetE1EEEvT1_
    .private_segment_fixed_size: 0
    .sgpr_count:     6
    .sgpr_spill_count: 0
    .symbol:         _ZN7rocprim17ROCPRIM_400000_NS6detail17trampoline_kernelINS0_14default_configENS1_25partition_config_selectorILNS1_17partition_subalgoE9EllbEEZZNS1_14partition_implILS5_9ELb0ES3_jPlS8_PNS0_10empty_typeENS0_5tupleIJS8_S9_EEENSB_IJS8_SA_EEENS0_18inequality_wrapperIZN2at6native12_GLOBAL__N_124unique_dim_cuda_templateIjEESt5tupleIJNSF_6TensorESK_SK_EERKSK_lbbbEUlllE0_EEPmJS9_EEE10hipError_tPvRmT3_T4_T5_T6_T7_T9_mT8_P12ihipStream_tbDpT10_ENKUlT_T0_E_clISt17integral_constantIbLb0EES1A_EEDaS15_S16_EUlS15_E_NS1_11comp_targetILNS1_3genE10ELNS1_11target_archE1200ELNS1_3gpuE4ELNS1_3repE0EEENS1_30default_config_static_selectorELNS0_4arch9wavefront6targetE1EEEvT1_.kd
    .uniform_work_group_size: 1
    .uses_dynamic_stack: false
    .vgpr_count:     0
    .vgpr_spill_count: 0
    .wavefront_size: 64
  - .agpr_count:     0
    .args:
      - .offset:         0
        .size:           120
        .value_kind:     by_value
    .group_segment_fixed_size: 0
    .kernarg_segment_align: 8
    .kernarg_segment_size: 120
    .language:       OpenCL C
    .language_version:
      - 2
      - 0
    .max_flat_workgroup_size: 512
    .name:           _ZN7rocprim17ROCPRIM_400000_NS6detail17trampoline_kernelINS0_14default_configENS1_25partition_config_selectorILNS1_17partition_subalgoE9EllbEEZZNS1_14partition_implILS5_9ELb0ES3_jPlS8_PNS0_10empty_typeENS0_5tupleIJS8_S9_EEENSB_IJS8_SA_EEENS0_18inequality_wrapperIZN2at6native12_GLOBAL__N_124unique_dim_cuda_templateIjEESt5tupleIJNSF_6TensorESK_SK_EERKSK_lbbbEUlllE0_EEPmJS9_EEE10hipError_tPvRmT3_T4_T5_T6_T7_T9_mT8_P12ihipStream_tbDpT10_ENKUlT_T0_E_clISt17integral_constantIbLb0EES1A_EEDaS15_S16_EUlS15_E_NS1_11comp_targetILNS1_3genE9ELNS1_11target_archE1100ELNS1_3gpuE3ELNS1_3repE0EEENS1_30default_config_static_selectorELNS0_4arch9wavefront6targetE1EEEvT1_
    .private_segment_fixed_size: 0
    .sgpr_count:     6
    .sgpr_spill_count: 0
    .symbol:         _ZN7rocprim17ROCPRIM_400000_NS6detail17trampoline_kernelINS0_14default_configENS1_25partition_config_selectorILNS1_17partition_subalgoE9EllbEEZZNS1_14partition_implILS5_9ELb0ES3_jPlS8_PNS0_10empty_typeENS0_5tupleIJS8_S9_EEENSB_IJS8_SA_EEENS0_18inequality_wrapperIZN2at6native12_GLOBAL__N_124unique_dim_cuda_templateIjEESt5tupleIJNSF_6TensorESK_SK_EERKSK_lbbbEUlllE0_EEPmJS9_EEE10hipError_tPvRmT3_T4_T5_T6_T7_T9_mT8_P12ihipStream_tbDpT10_ENKUlT_T0_E_clISt17integral_constantIbLb0EES1A_EEDaS15_S16_EUlS15_E_NS1_11comp_targetILNS1_3genE9ELNS1_11target_archE1100ELNS1_3gpuE3ELNS1_3repE0EEENS1_30default_config_static_selectorELNS0_4arch9wavefront6targetE1EEEvT1_.kd
    .uniform_work_group_size: 1
    .uses_dynamic_stack: false
    .vgpr_count:     0
    .vgpr_spill_count: 0
    .wavefront_size: 64
  - .agpr_count:     0
    .args:
      - .offset:         0
        .size:           120
        .value_kind:     by_value
    .group_segment_fixed_size: 0
    .kernarg_segment_align: 8
    .kernarg_segment_size: 120
    .language:       OpenCL C
    .language_version:
      - 2
      - 0
    .max_flat_workgroup_size: 512
    .name:           _ZN7rocprim17ROCPRIM_400000_NS6detail17trampoline_kernelINS0_14default_configENS1_25partition_config_selectorILNS1_17partition_subalgoE9EllbEEZZNS1_14partition_implILS5_9ELb0ES3_jPlS8_PNS0_10empty_typeENS0_5tupleIJS8_S9_EEENSB_IJS8_SA_EEENS0_18inequality_wrapperIZN2at6native12_GLOBAL__N_124unique_dim_cuda_templateIjEESt5tupleIJNSF_6TensorESK_SK_EERKSK_lbbbEUlllE0_EEPmJS9_EEE10hipError_tPvRmT3_T4_T5_T6_T7_T9_mT8_P12ihipStream_tbDpT10_ENKUlT_T0_E_clISt17integral_constantIbLb0EES1A_EEDaS15_S16_EUlS15_E_NS1_11comp_targetILNS1_3genE8ELNS1_11target_archE1030ELNS1_3gpuE2ELNS1_3repE0EEENS1_30default_config_static_selectorELNS0_4arch9wavefront6targetE1EEEvT1_
    .private_segment_fixed_size: 0
    .sgpr_count:     6
    .sgpr_spill_count: 0
    .symbol:         _ZN7rocprim17ROCPRIM_400000_NS6detail17trampoline_kernelINS0_14default_configENS1_25partition_config_selectorILNS1_17partition_subalgoE9EllbEEZZNS1_14partition_implILS5_9ELb0ES3_jPlS8_PNS0_10empty_typeENS0_5tupleIJS8_S9_EEENSB_IJS8_SA_EEENS0_18inequality_wrapperIZN2at6native12_GLOBAL__N_124unique_dim_cuda_templateIjEESt5tupleIJNSF_6TensorESK_SK_EERKSK_lbbbEUlllE0_EEPmJS9_EEE10hipError_tPvRmT3_T4_T5_T6_T7_T9_mT8_P12ihipStream_tbDpT10_ENKUlT_T0_E_clISt17integral_constantIbLb0EES1A_EEDaS15_S16_EUlS15_E_NS1_11comp_targetILNS1_3genE8ELNS1_11target_archE1030ELNS1_3gpuE2ELNS1_3repE0EEENS1_30default_config_static_selectorELNS0_4arch9wavefront6targetE1EEEvT1_.kd
    .uniform_work_group_size: 1
    .uses_dynamic_stack: false
    .vgpr_count:     0
    .vgpr_spill_count: 0
    .wavefront_size: 64
  - .agpr_count:     0
    .args:
      - .offset:         0
        .size:           136
        .value_kind:     by_value
    .group_segment_fixed_size: 0
    .kernarg_segment_align: 8
    .kernarg_segment_size: 136
    .language:       OpenCL C
    .language_version:
      - 2
      - 0
    .max_flat_workgroup_size: 128
    .name:           _ZN7rocprim17ROCPRIM_400000_NS6detail17trampoline_kernelINS0_14default_configENS1_25partition_config_selectorILNS1_17partition_subalgoE9EllbEEZZNS1_14partition_implILS5_9ELb0ES3_jPlS8_PNS0_10empty_typeENS0_5tupleIJS8_S9_EEENSB_IJS8_SA_EEENS0_18inequality_wrapperIZN2at6native12_GLOBAL__N_124unique_dim_cuda_templateIjEESt5tupleIJNSF_6TensorESK_SK_EERKSK_lbbbEUlllE0_EEPmJS9_EEE10hipError_tPvRmT3_T4_T5_T6_T7_T9_mT8_P12ihipStream_tbDpT10_ENKUlT_T0_E_clISt17integral_constantIbLb1EES1A_EEDaS15_S16_EUlS15_E_NS1_11comp_targetILNS1_3genE0ELNS1_11target_archE4294967295ELNS1_3gpuE0ELNS1_3repE0EEENS1_30default_config_static_selectorELNS0_4arch9wavefront6targetE1EEEvT1_
    .private_segment_fixed_size: 0
    .sgpr_count:     6
    .sgpr_spill_count: 0
    .symbol:         _ZN7rocprim17ROCPRIM_400000_NS6detail17trampoline_kernelINS0_14default_configENS1_25partition_config_selectorILNS1_17partition_subalgoE9EllbEEZZNS1_14partition_implILS5_9ELb0ES3_jPlS8_PNS0_10empty_typeENS0_5tupleIJS8_S9_EEENSB_IJS8_SA_EEENS0_18inequality_wrapperIZN2at6native12_GLOBAL__N_124unique_dim_cuda_templateIjEESt5tupleIJNSF_6TensorESK_SK_EERKSK_lbbbEUlllE0_EEPmJS9_EEE10hipError_tPvRmT3_T4_T5_T6_T7_T9_mT8_P12ihipStream_tbDpT10_ENKUlT_T0_E_clISt17integral_constantIbLb1EES1A_EEDaS15_S16_EUlS15_E_NS1_11comp_targetILNS1_3genE0ELNS1_11target_archE4294967295ELNS1_3gpuE0ELNS1_3repE0EEENS1_30default_config_static_selectorELNS0_4arch9wavefront6targetE1EEEvT1_.kd
    .uniform_work_group_size: 1
    .uses_dynamic_stack: false
    .vgpr_count:     0
    .vgpr_spill_count: 0
    .wavefront_size: 64
  - .agpr_count:     0
    .args:
      - .offset:         0
        .size:           136
        .value_kind:     by_value
    .group_segment_fixed_size: 28684
    .kernarg_segment_align: 8
    .kernarg_segment_size: 136
    .language:       OpenCL C
    .language_version:
      - 2
      - 0
    .max_flat_workgroup_size: 512
    .name:           _ZN7rocprim17ROCPRIM_400000_NS6detail17trampoline_kernelINS0_14default_configENS1_25partition_config_selectorILNS1_17partition_subalgoE9EllbEEZZNS1_14partition_implILS5_9ELb0ES3_jPlS8_PNS0_10empty_typeENS0_5tupleIJS8_S9_EEENSB_IJS8_SA_EEENS0_18inequality_wrapperIZN2at6native12_GLOBAL__N_124unique_dim_cuda_templateIjEESt5tupleIJNSF_6TensorESK_SK_EERKSK_lbbbEUlllE0_EEPmJS9_EEE10hipError_tPvRmT3_T4_T5_T6_T7_T9_mT8_P12ihipStream_tbDpT10_ENKUlT_T0_E_clISt17integral_constantIbLb1EES1A_EEDaS15_S16_EUlS15_E_NS1_11comp_targetILNS1_3genE5ELNS1_11target_archE942ELNS1_3gpuE9ELNS1_3repE0EEENS1_30default_config_static_selectorELNS0_4arch9wavefront6targetE1EEEvT1_
    .private_segment_fixed_size: 0
    .sgpr_count:     64
    .sgpr_spill_count: 0
    .symbol:         _ZN7rocprim17ROCPRIM_400000_NS6detail17trampoline_kernelINS0_14default_configENS1_25partition_config_selectorILNS1_17partition_subalgoE9EllbEEZZNS1_14partition_implILS5_9ELb0ES3_jPlS8_PNS0_10empty_typeENS0_5tupleIJS8_S9_EEENSB_IJS8_SA_EEENS0_18inequality_wrapperIZN2at6native12_GLOBAL__N_124unique_dim_cuda_templateIjEESt5tupleIJNSF_6TensorESK_SK_EERKSK_lbbbEUlllE0_EEPmJS9_EEE10hipError_tPvRmT3_T4_T5_T6_T7_T9_mT8_P12ihipStream_tbDpT10_ENKUlT_T0_E_clISt17integral_constantIbLb1EES1A_EEDaS15_S16_EUlS15_E_NS1_11comp_targetILNS1_3genE5ELNS1_11target_archE942ELNS1_3gpuE9ELNS1_3repE0EEENS1_30default_config_static_selectorELNS0_4arch9wavefront6targetE1EEEvT1_.kd
    .uniform_work_group_size: 1
    .uses_dynamic_stack: false
    .vgpr_count:     66
    .vgpr_spill_count: 0
    .wavefront_size: 64
  - .agpr_count:     0
    .args:
      - .offset:         0
        .size:           136
        .value_kind:     by_value
    .group_segment_fixed_size: 0
    .kernarg_segment_align: 8
    .kernarg_segment_size: 136
    .language:       OpenCL C
    .language_version:
      - 2
      - 0
    .max_flat_workgroup_size: 128
    .name:           _ZN7rocprim17ROCPRIM_400000_NS6detail17trampoline_kernelINS0_14default_configENS1_25partition_config_selectorILNS1_17partition_subalgoE9EllbEEZZNS1_14partition_implILS5_9ELb0ES3_jPlS8_PNS0_10empty_typeENS0_5tupleIJS8_S9_EEENSB_IJS8_SA_EEENS0_18inequality_wrapperIZN2at6native12_GLOBAL__N_124unique_dim_cuda_templateIjEESt5tupleIJNSF_6TensorESK_SK_EERKSK_lbbbEUlllE0_EEPmJS9_EEE10hipError_tPvRmT3_T4_T5_T6_T7_T9_mT8_P12ihipStream_tbDpT10_ENKUlT_T0_E_clISt17integral_constantIbLb1EES1A_EEDaS15_S16_EUlS15_E_NS1_11comp_targetILNS1_3genE4ELNS1_11target_archE910ELNS1_3gpuE8ELNS1_3repE0EEENS1_30default_config_static_selectorELNS0_4arch9wavefront6targetE1EEEvT1_
    .private_segment_fixed_size: 0
    .sgpr_count:     6
    .sgpr_spill_count: 0
    .symbol:         _ZN7rocprim17ROCPRIM_400000_NS6detail17trampoline_kernelINS0_14default_configENS1_25partition_config_selectorILNS1_17partition_subalgoE9EllbEEZZNS1_14partition_implILS5_9ELb0ES3_jPlS8_PNS0_10empty_typeENS0_5tupleIJS8_S9_EEENSB_IJS8_SA_EEENS0_18inequality_wrapperIZN2at6native12_GLOBAL__N_124unique_dim_cuda_templateIjEESt5tupleIJNSF_6TensorESK_SK_EERKSK_lbbbEUlllE0_EEPmJS9_EEE10hipError_tPvRmT3_T4_T5_T6_T7_T9_mT8_P12ihipStream_tbDpT10_ENKUlT_T0_E_clISt17integral_constantIbLb1EES1A_EEDaS15_S16_EUlS15_E_NS1_11comp_targetILNS1_3genE4ELNS1_11target_archE910ELNS1_3gpuE8ELNS1_3repE0EEENS1_30default_config_static_selectorELNS0_4arch9wavefront6targetE1EEEvT1_.kd
    .uniform_work_group_size: 1
    .uses_dynamic_stack: false
    .vgpr_count:     0
    .vgpr_spill_count: 0
    .wavefront_size: 64
  - .agpr_count:     0
    .args:
      - .offset:         0
        .size:           136
        .value_kind:     by_value
    .group_segment_fixed_size: 0
    .kernarg_segment_align: 8
    .kernarg_segment_size: 136
    .language:       OpenCL C
    .language_version:
      - 2
      - 0
    .max_flat_workgroup_size: 128
    .name:           _ZN7rocprim17ROCPRIM_400000_NS6detail17trampoline_kernelINS0_14default_configENS1_25partition_config_selectorILNS1_17partition_subalgoE9EllbEEZZNS1_14partition_implILS5_9ELb0ES3_jPlS8_PNS0_10empty_typeENS0_5tupleIJS8_S9_EEENSB_IJS8_SA_EEENS0_18inequality_wrapperIZN2at6native12_GLOBAL__N_124unique_dim_cuda_templateIjEESt5tupleIJNSF_6TensorESK_SK_EERKSK_lbbbEUlllE0_EEPmJS9_EEE10hipError_tPvRmT3_T4_T5_T6_T7_T9_mT8_P12ihipStream_tbDpT10_ENKUlT_T0_E_clISt17integral_constantIbLb1EES1A_EEDaS15_S16_EUlS15_E_NS1_11comp_targetILNS1_3genE3ELNS1_11target_archE908ELNS1_3gpuE7ELNS1_3repE0EEENS1_30default_config_static_selectorELNS0_4arch9wavefront6targetE1EEEvT1_
    .private_segment_fixed_size: 0
    .sgpr_count:     6
    .sgpr_spill_count: 0
    .symbol:         _ZN7rocprim17ROCPRIM_400000_NS6detail17trampoline_kernelINS0_14default_configENS1_25partition_config_selectorILNS1_17partition_subalgoE9EllbEEZZNS1_14partition_implILS5_9ELb0ES3_jPlS8_PNS0_10empty_typeENS0_5tupleIJS8_S9_EEENSB_IJS8_SA_EEENS0_18inequality_wrapperIZN2at6native12_GLOBAL__N_124unique_dim_cuda_templateIjEESt5tupleIJNSF_6TensorESK_SK_EERKSK_lbbbEUlllE0_EEPmJS9_EEE10hipError_tPvRmT3_T4_T5_T6_T7_T9_mT8_P12ihipStream_tbDpT10_ENKUlT_T0_E_clISt17integral_constantIbLb1EES1A_EEDaS15_S16_EUlS15_E_NS1_11comp_targetILNS1_3genE3ELNS1_11target_archE908ELNS1_3gpuE7ELNS1_3repE0EEENS1_30default_config_static_selectorELNS0_4arch9wavefront6targetE1EEEvT1_.kd
    .uniform_work_group_size: 1
    .uses_dynamic_stack: false
    .vgpr_count:     0
    .vgpr_spill_count: 0
    .wavefront_size: 64
  - .agpr_count:     0
    .args:
      - .offset:         0
        .size:           136
        .value_kind:     by_value
    .group_segment_fixed_size: 0
    .kernarg_segment_align: 8
    .kernarg_segment_size: 136
    .language:       OpenCL C
    .language_version:
      - 2
      - 0
    .max_flat_workgroup_size: 192
    .name:           _ZN7rocprim17ROCPRIM_400000_NS6detail17trampoline_kernelINS0_14default_configENS1_25partition_config_selectorILNS1_17partition_subalgoE9EllbEEZZNS1_14partition_implILS5_9ELb0ES3_jPlS8_PNS0_10empty_typeENS0_5tupleIJS8_S9_EEENSB_IJS8_SA_EEENS0_18inequality_wrapperIZN2at6native12_GLOBAL__N_124unique_dim_cuda_templateIjEESt5tupleIJNSF_6TensorESK_SK_EERKSK_lbbbEUlllE0_EEPmJS9_EEE10hipError_tPvRmT3_T4_T5_T6_T7_T9_mT8_P12ihipStream_tbDpT10_ENKUlT_T0_E_clISt17integral_constantIbLb1EES1A_EEDaS15_S16_EUlS15_E_NS1_11comp_targetILNS1_3genE2ELNS1_11target_archE906ELNS1_3gpuE6ELNS1_3repE0EEENS1_30default_config_static_selectorELNS0_4arch9wavefront6targetE1EEEvT1_
    .private_segment_fixed_size: 0
    .sgpr_count:     6
    .sgpr_spill_count: 0
    .symbol:         _ZN7rocprim17ROCPRIM_400000_NS6detail17trampoline_kernelINS0_14default_configENS1_25partition_config_selectorILNS1_17partition_subalgoE9EllbEEZZNS1_14partition_implILS5_9ELb0ES3_jPlS8_PNS0_10empty_typeENS0_5tupleIJS8_S9_EEENSB_IJS8_SA_EEENS0_18inequality_wrapperIZN2at6native12_GLOBAL__N_124unique_dim_cuda_templateIjEESt5tupleIJNSF_6TensorESK_SK_EERKSK_lbbbEUlllE0_EEPmJS9_EEE10hipError_tPvRmT3_T4_T5_T6_T7_T9_mT8_P12ihipStream_tbDpT10_ENKUlT_T0_E_clISt17integral_constantIbLb1EES1A_EEDaS15_S16_EUlS15_E_NS1_11comp_targetILNS1_3genE2ELNS1_11target_archE906ELNS1_3gpuE6ELNS1_3repE0EEENS1_30default_config_static_selectorELNS0_4arch9wavefront6targetE1EEEvT1_.kd
    .uniform_work_group_size: 1
    .uses_dynamic_stack: false
    .vgpr_count:     0
    .vgpr_spill_count: 0
    .wavefront_size: 64
  - .agpr_count:     0
    .args:
      - .offset:         0
        .size:           136
        .value_kind:     by_value
    .group_segment_fixed_size: 0
    .kernarg_segment_align: 8
    .kernarg_segment_size: 136
    .language:       OpenCL C
    .language_version:
      - 2
      - 0
    .max_flat_workgroup_size: 384
    .name:           _ZN7rocprim17ROCPRIM_400000_NS6detail17trampoline_kernelINS0_14default_configENS1_25partition_config_selectorILNS1_17partition_subalgoE9EllbEEZZNS1_14partition_implILS5_9ELb0ES3_jPlS8_PNS0_10empty_typeENS0_5tupleIJS8_S9_EEENSB_IJS8_SA_EEENS0_18inequality_wrapperIZN2at6native12_GLOBAL__N_124unique_dim_cuda_templateIjEESt5tupleIJNSF_6TensorESK_SK_EERKSK_lbbbEUlllE0_EEPmJS9_EEE10hipError_tPvRmT3_T4_T5_T6_T7_T9_mT8_P12ihipStream_tbDpT10_ENKUlT_T0_E_clISt17integral_constantIbLb1EES1A_EEDaS15_S16_EUlS15_E_NS1_11comp_targetILNS1_3genE10ELNS1_11target_archE1200ELNS1_3gpuE4ELNS1_3repE0EEENS1_30default_config_static_selectorELNS0_4arch9wavefront6targetE1EEEvT1_
    .private_segment_fixed_size: 0
    .sgpr_count:     6
    .sgpr_spill_count: 0
    .symbol:         _ZN7rocprim17ROCPRIM_400000_NS6detail17trampoline_kernelINS0_14default_configENS1_25partition_config_selectorILNS1_17partition_subalgoE9EllbEEZZNS1_14partition_implILS5_9ELb0ES3_jPlS8_PNS0_10empty_typeENS0_5tupleIJS8_S9_EEENSB_IJS8_SA_EEENS0_18inequality_wrapperIZN2at6native12_GLOBAL__N_124unique_dim_cuda_templateIjEESt5tupleIJNSF_6TensorESK_SK_EERKSK_lbbbEUlllE0_EEPmJS9_EEE10hipError_tPvRmT3_T4_T5_T6_T7_T9_mT8_P12ihipStream_tbDpT10_ENKUlT_T0_E_clISt17integral_constantIbLb1EES1A_EEDaS15_S16_EUlS15_E_NS1_11comp_targetILNS1_3genE10ELNS1_11target_archE1200ELNS1_3gpuE4ELNS1_3repE0EEENS1_30default_config_static_selectorELNS0_4arch9wavefront6targetE1EEEvT1_.kd
    .uniform_work_group_size: 1
    .uses_dynamic_stack: false
    .vgpr_count:     0
    .vgpr_spill_count: 0
    .wavefront_size: 64
  - .agpr_count:     0
    .args:
      - .offset:         0
        .size:           136
        .value_kind:     by_value
    .group_segment_fixed_size: 0
    .kernarg_segment_align: 8
    .kernarg_segment_size: 136
    .language:       OpenCL C
    .language_version:
      - 2
      - 0
    .max_flat_workgroup_size: 512
    .name:           _ZN7rocprim17ROCPRIM_400000_NS6detail17trampoline_kernelINS0_14default_configENS1_25partition_config_selectorILNS1_17partition_subalgoE9EllbEEZZNS1_14partition_implILS5_9ELb0ES3_jPlS8_PNS0_10empty_typeENS0_5tupleIJS8_S9_EEENSB_IJS8_SA_EEENS0_18inequality_wrapperIZN2at6native12_GLOBAL__N_124unique_dim_cuda_templateIjEESt5tupleIJNSF_6TensorESK_SK_EERKSK_lbbbEUlllE0_EEPmJS9_EEE10hipError_tPvRmT3_T4_T5_T6_T7_T9_mT8_P12ihipStream_tbDpT10_ENKUlT_T0_E_clISt17integral_constantIbLb1EES1A_EEDaS15_S16_EUlS15_E_NS1_11comp_targetILNS1_3genE9ELNS1_11target_archE1100ELNS1_3gpuE3ELNS1_3repE0EEENS1_30default_config_static_selectorELNS0_4arch9wavefront6targetE1EEEvT1_
    .private_segment_fixed_size: 0
    .sgpr_count:     6
    .sgpr_spill_count: 0
    .symbol:         _ZN7rocprim17ROCPRIM_400000_NS6detail17trampoline_kernelINS0_14default_configENS1_25partition_config_selectorILNS1_17partition_subalgoE9EllbEEZZNS1_14partition_implILS5_9ELb0ES3_jPlS8_PNS0_10empty_typeENS0_5tupleIJS8_S9_EEENSB_IJS8_SA_EEENS0_18inequality_wrapperIZN2at6native12_GLOBAL__N_124unique_dim_cuda_templateIjEESt5tupleIJNSF_6TensorESK_SK_EERKSK_lbbbEUlllE0_EEPmJS9_EEE10hipError_tPvRmT3_T4_T5_T6_T7_T9_mT8_P12ihipStream_tbDpT10_ENKUlT_T0_E_clISt17integral_constantIbLb1EES1A_EEDaS15_S16_EUlS15_E_NS1_11comp_targetILNS1_3genE9ELNS1_11target_archE1100ELNS1_3gpuE3ELNS1_3repE0EEENS1_30default_config_static_selectorELNS0_4arch9wavefront6targetE1EEEvT1_.kd
    .uniform_work_group_size: 1
    .uses_dynamic_stack: false
    .vgpr_count:     0
    .vgpr_spill_count: 0
    .wavefront_size: 64
  - .agpr_count:     0
    .args:
      - .offset:         0
        .size:           136
        .value_kind:     by_value
    .group_segment_fixed_size: 0
    .kernarg_segment_align: 8
    .kernarg_segment_size: 136
    .language:       OpenCL C
    .language_version:
      - 2
      - 0
    .max_flat_workgroup_size: 512
    .name:           _ZN7rocprim17ROCPRIM_400000_NS6detail17trampoline_kernelINS0_14default_configENS1_25partition_config_selectorILNS1_17partition_subalgoE9EllbEEZZNS1_14partition_implILS5_9ELb0ES3_jPlS8_PNS0_10empty_typeENS0_5tupleIJS8_S9_EEENSB_IJS8_SA_EEENS0_18inequality_wrapperIZN2at6native12_GLOBAL__N_124unique_dim_cuda_templateIjEESt5tupleIJNSF_6TensorESK_SK_EERKSK_lbbbEUlllE0_EEPmJS9_EEE10hipError_tPvRmT3_T4_T5_T6_T7_T9_mT8_P12ihipStream_tbDpT10_ENKUlT_T0_E_clISt17integral_constantIbLb1EES1A_EEDaS15_S16_EUlS15_E_NS1_11comp_targetILNS1_3genE8ELNS1_11target_archE1030ELNS1_3gpuE2ELNS1_3repE0EEENS1_30default_config_static_selectorELNS0_4arch9wavefront6targetE1EEEvT1_
    .private_segment_fixed_size: 0
    .sgpr_count:     6
    .sgpr_spill_count: 0
    .symbol:         _ZN7rocprim17ROCPRIM_400000_NS6detail17trampoline_kernelINS0_14default_configENS1_25partition_config_selectorILNS1_17partition_subalgoE9EllbEEZZNS1_14partition_implILS5_9ELb0ES3_jPlS8_PNS0_10empty_typeENS0_5tupleIJS8_S9_EEENSB_IJS8_SA_EEENS0_18inequality_wrapperIZN2at6native12_GLOBAL__N_124unique_dim_cuda_templateIjEESt5tupleIJNSF_6TensorESK_SK_EERKSK_lbbbEUlllE0_EEPmJS9_EEE10hipError_tPvRmT3_T4_T5_T6_T7_T9_mT8_P12ihipStream_tbDpT10_ENKUlT_T0_E_clISt17integral_constantIbLb1EES1A_EEDaS15_S16_EUlS15_E_NS1_11comp_targetILNS1_3genE8ELNS1_11target_archE1030ELNS1_3gpuE2ELNS1_3repE0EEENS1_30default_config_static_selectorELNS0_4arch9wavefront6targetE1EEEvT1_.kd
    .uniform_work_group_size: 1
    .uses_dynamic_stack: false
    .vgpr_count:     0
    .vgpr_spill_count: 0
    .wavefront_size: 64
  - .agpr_count:     0
    .args:
      - .offset:         0
        .size:           120
        .value_kind:     by_value
    .group_segment_fixed_size: 0
    .kernarg_segment_align: 8
    .kernarg_segment_size: 120
    .language:       OpenCL C
    .language_version:
      - 2
      - 0
    .max_flat_workgroup_size: 128
    .name:           _ZN7rocprim17ROCPRIM_400000_NS6detail17trampoline_kernelINS0_14default_configENS1_25partition_config_selectorILNS1_17partition_subalgoE9EllbEEZZNS1_14partition_implILS5_9ELb0ES3_jPlS8_PNS0_10empty_typeENS0_5tupleIJS8_S9_EEENSB_IJS8_SA_EEENS0_18inequality_wrapperIZN2at6native12_GLOBAL__N_124unique_dim_cuda_templateIjEESt5tupleIJNSF_6TensorESK_SK_EERKSK_lbbbEUlllE0_EEPmJS9_EEE10hipError_tPvRmT3_T4_T5_T6_T7_T9_mT8_P12ihipStream_tbDpT10_ENKUlT_T0_E_clISt17integral_constantIbLb1EES19_IbLb0EEEEDaS15_S16_EUlS15_E_NS1_11comp_targetILNS1_3genE0ELNS1_11target_archE4294967295ELNS1_3gpuE0ELNS1_3repE0EEENS1_30default_config_static_selectorELNS0_4arch9wavefront6targetE1EEEvT1_
    .private_segment_fixed_size: 0
    .sgpr_count:     6
    .sgpr_spill_count: 0
    .symbol:         _ZN7rocprim17ROCPRIM_400000_NS6detail17trampoline_kernelINS0_14default_configENS1_25partition_config_selectorILNS1_17partition_subalgoE9EllbEEZZNS1_14partition_implILS5_9ELb0ES3_jPlS8_PNS0_10empty_typeENS0_5tupleIJS8_S9_EEENSB_IJS8_SA_EEENS0_18inequality_wrapperIZN2at6native12_GLOBAL__N_124unique_dim_cuda_templateIjEESt5tupleIJNSF_6TensorESK_SK_EERKSK_lbbbEUlllE0_EEPmJS9_EEE10hipError_tPvRmT3_T4_T5_T6_T7_T9_mT8_P12ihipStream_tbDpT10_ENKUlT_T0_E_clISt17integral_constantIbLb1EES19_IbLb0EEEEDaS15_S16_EUlS15_E_NS1_11comp_targetILNS1_3genE0ELNS1_11target_archE4294967295ELNS1_3gpuE0ELNS1_3repE0EEENS1_30default_config_static_selectorELNS0_4arch9wavefront6targetE1EEEvT1_.kd
    .uniform_work_group_size: 1
    .uses_dynamic_stack: false
    .vgpr_count:     0
    .vgpr_spill_count: 0
    .wavefront_size: 64
  - .agpr_count:     0
    .args:
      - .offset:         0
        .size:           120
        .value_kind:     by_value
    .group_segment_fixed_size: 28684
    .kernarg_segment_align: 8
    .kernarg_segment_size: 120
    .language:       OpenCL C
    .language_version:
      - 2
      - 0
    .max_flat_workgroup_size: 512
    .name:           _ZN7rocprim17ROCPRIM_400000_NS6detail17trampoline_kernelINS0_14default_configENS1_25partition_config_selectorILNS1_17partition_subalgoE9EllbEEZZNS1_14partition_implILS5_9ELb0ES3_jPlS8_PNS0_10empty_typeENS0_5tupleIJS8_S9_EEENSB_IJS8_SA_EEENS0_18inequality_wrapperIZN2at6native12_GLOBAL__N_124unique_dim_cuda_templateIjEESt5tupleIJNSF_6TensorESK_SK_EERKSK_lbbbEUlllE0_EEPmJS9_EEE10hipError_tPvRmT3_T4_T5_T6_T7_T9_mT8_P12ihipStream_tbDpT10_ENKUlT_T0_E_clISt17integral_constantIbLb1EES19_IbLb0EEEEDaS15_S16_EUlS15_E_NS1_11comp_targetILNS1_3genE5ELNS1_11target_archE942ELNS1_3gpuE9ELNS1_3repE0EEENS1_30default_config_static_selectorELNS0_4arch9wavefront6targetE1EEEvT1_
    .private_segment_fixed_size: 0
    .sgpr_count:     58
    .sgpr_spill_count: 0
    .symbol:         _ZN7rocprim17ROCPRIM_400000_NS6detail17trampoline_kernelINS0_14default_configENS1_25partition_config_selectorILNS1_17partition_subalgoE9EllbEEZZNS1_14partition_implILS5_9ELb0ES3_jPlS8_PNS0_10empty_typeENS0_5tupleIJS8_S9_EEENSB_IJS8_SA_EEENS0_18inequality_wrapperIZN2at6native12_GLOBAL__N_124unique_dim_cuda_templateIjEESt5tupleIJNSF_6TensorESK_SK_EERKSK_lbbbEUlllE0_EEPmJS9_EEE10hipError_tPvRmT3_T4_T5_T6_T7_T9_mT8_P12ihipStream_tbDpT10_ENKUlT_T0_E_clISt17integral_constantIbLb1EES19_IbLb0EEEEDaS15_S16_EUlS15_E_NS1_11comp_targetILNS1_3genE5ELNS1_11target_archE942ELNS1_3gpuE9ELNS1_3repE0EEENS1_30default_config_static_selectorELNS0_4arch9wavefront6targetE1EEEvT1_.kd
    .uniform_work_group_size: 1
    .uses_dynamic_stack: false
    .vgpr_count:     66
    .vgpr_spill_count: 0
    .wavefront_size: 64
  - .agpr_count:     0
    .args:
      - .offset:         0
        .size:           120
        .value_kind:     by_value
    .group_segment_fixed_size: 0
    .kernarg_segment_align: 8
    .kernarg_segment_size: 120
    .language:       OpenCL C
    .language_version:
      - 2
      - 0
    .max_flat_workgroup_size: 128
    .name:           _ZN7rocprim17ROCPRIM_400000_NS6detail17trampoline_kernelINS0_14default_configENS1_25partition_config_selectorILNS1_17partition_subalgoE9EllbEEZZNS1_14partition_implILS5_9ELb0ES3_jPlS8_PNS0_10empty_typeENS0_5tupleIJS8_S9_EEENSB_IJS8_SA_EEENS0_18inequality_wrapperIZN2at6native12_GLOBAL__N_124unique_dim_cuda_templateIjEESt5tupleIJNSF_6TensorESK_SK_EERKSK_lbbbEUlllE0_EEPmJS9_EEE10hipError_tPvRmT3_T4_T5_T6_T7_T9_mT8_P12ihipStream_tbDpT10_ENKUlT_T0_E_clISt17integral_constantIbLb1EES19_IbLb0EEEEDaS15_S16_EUlS15_E_NS1_11comp_targetILNS1_3genE4ELNS1_11target_archE910ELNS1_3gpuE8ELNS1_3repE0EEENS1_30default_config_static_selectorELNS0_4arch9wavefront6targetE1EEEvT1_
    .private_segment_fixed_size: 0
    .sgpr_count:     6
    .sgpr_spill_count: 0
    .symbol:         _ZN7rocprim17ROCPRIM_400000_NS6detail17trampoline_kernelINS0_14default_configENS1_25partition_config_selectorILNS1_17partition_subalgoE9EllbEEZZNS1_14partition_implILS5_9ELb0ES3_jPlS8_PNS0_10empty_typeENS0_5tupleIJS8_S9_EEENSB_IJS8_SA_EEENS0_18inequality_wrapperIZN2at6native12_GLOBAL__N_124unique_dim_cuda_templateIjEESt5tupleIJNSF_6TensorESK_SK_EERKSK_lbbbEUlllE0_EEPmJS9_EEE10hipError_tPvRmT3_T4_T5_T6_T7_T9_mT8_P12ihipStream_tbDpT10_ENKUlT_T0_E_clISt17integral_constantIbLb1EES19_IbLb0EEEEDaS15_S16_EUlS15_E_NS1_11comp_targetILNS1_3genE4ELNS1_11target_archE910ELNS1_3gpuE8ELNS1_3repE0EEENS1_30default_config_static_selectorELNS0_4arch9wavefront6targetE1EEEvT1_.kd
    .uniform_work_group_size: 1
    .uses_dynamic_stack: false
    .vgpr_count:     0
    .vgpr_spill_count: 0
    .wavefront_size: 64
  - .agpr_count:     0
    .args:
      - .offset:         0
        .size:           120
        .value_kind:     by_value
    .group_segment_fixed_size: 0
    .kernarg_segment_align: 8
    .kernarg_segment_size: 120
    .language:       OpenCL C
    .language_version:
      - 2
      - 0
    .max_flat_workgroup_size: 128
    .name:           _ZN7rocprim17ROCPRIM_400000_NS6detail17trampoline_kernelINS0_14default_configENS1_25partition_config_selectorILNS1_17partition_subalgoE9EllbEEZZNS1_14partition_implILS5_9ELb0ES3_jPlS8_PNS0_10empty_typeENS0_5tupleIJS8_S9_EEENSB_IJS8_SA_EEENS0_18inequality_wrapperIZN2at6native12_GLOBAL__N_124unique_dim_cuda_templateIjEESt5tupleIJNSF_6TensorESK_SK_EERKSK_lbbbEUlllE0_EEPmJS9_EEE10hipError_tPvRmT3_T4_T5_T6_T7_T9_mT8_P12ihipStream_tbDpT10_ENKUlT_T0_E_clISt17integral_constantIbLb1EES19_IbLb0EEEEDaS15_S16_EUlS15_E_NS1_11comp_targetILNS1_3genE3ELNS1_11target_archE908ELNS1_3gpuE7ELNS1_3repE0EEENS1_30default_config_static_selectorELNS0_4arch9wavefront6targetE1EEEvT1_
    .private_segment_fixed_size: 0
    .sgpr_count:     6
    .sgpr_spill_count: 0
    .symbol:         _ZN7rocprim17ROCPRIM_400000_NS6detail17trampoline_kernelINS0_14default_configENS1_25partition_config_selectorILNS1_17partition_subalgoE9EllbEEZZNS1_14partition_implILS5_9ELb0ES3_jPlS8_PNS0_10empty_typeENS0_5tupleIJS8_S9_EEENSB_IJS8_SA_EEENS0_18inequality_wrapperIZN2at6native12_GLOBAL__N_124unique_dim_cuda_templateIjEESt5tupleIJNSF_6TensorESK_SK_EERKSK_lbbbEUlllE0_EEPmJS9_EEE10hipError_tPvRmT3_T4_T5_T6_T7_T9_mT8_P12ihipStream_tbDpT10_ENKUlT_T0_E_clISt17integral_constantIbLb1EES19_IbLb0EEEEDaS15_S16_EUlS15_E_NS1_11comp_targetILNS1_3genE3ELNS1_11target_archE908ELNS1_3gpuE7ELNS1_3repE0EEENS1_30default_config_static_selectorELNS0_4arch9wavefront6targetE1EEEvT1_.kd
    .uniform_work_group_size: 1
    .uses_dynamic_stack: false
    .vgpr_count:     0
    .vgpr_spill_count: 0
    .wavefront_size: 64
  - .agpr_count:     0
    .args:
      - .offset:         0
        .size:           120
        .value_kind:     by_value
    .group_segment_fixed_size: 0
    .kernarg_segment_align: 8
    .kernarg_segment_size: 120
    .language:       OpenCL C
    .language_version:
      - 2
      - 0
    .max_flat_workgroup_size: 192
    .name:           _ZN7rocprim17ROCPRIM_400000_NS6detail17trampoline_kernelINS0_14default_configENS1_25partition_config_selectorILNS1_17partition_subalgoE9EllbEEZZNS1_14partition_implILS5_9ELb0ES3_jPlS8_PNS0_10empty_typeENS0_5tupleIJS8_S9_EEENSB_IJS8_SA_EEENS0_18inequality_wrapperIZN2at6native12_GLOBAL__N_124unique_dim_cuda_templateIjEESt5tupleIJNSF_6TensorESK_SK_EERKSK_lbbbEUlllE0_EEPmJS9_EEE10hipError_tPvRmT3_T4_T5_T6_T7_T9_mT8_P12ihipStream_tbDpT10_ENKUlT_T0_E_clISt17integral_constantIbLb1EES19_IbLb0EEEEDaS15_S16_EUlS15_E_NS1_11comp_targetILNS1_3genE2ELNS1_11target_archE906ELNS1_3gpuE6ELNS1_3repE0EEENS1_30default_config_static_selectorELNS0_4arch9wavefront6targetE1EEEvT1_
    .private_segment_fixed_size: 0
    .sgpr_count:     6
    .sgpr_spill_count: 0
    .symbol:         _ZN7rocprim17ROCPRIM_400000_NS6detail17trampoline_kernelINS0_14default_configENS1_25partition_config_selectorILNS1_17partition_subalgoE9EllbEEZZNS1_14partition_implILS5_9ELb0ES3_jPlS8_PNS0_10empty_typeENS0_5tupleIJS8_S9_EEENSB_IJS8_SA_EEENS0_18inequality_wrapperIZN2at6native12_GLOBAL__N_124unique_dim_cuda_templateIjEESt5tupleIJNSF_6TensorESK_SK_EERKSK_lbbbEUlllE0_EEPmJS9_EEE10hipError_tPvRmT3_T4_T5_T6_T7_T9_mT8_P12ihipStream_tbDpT10_ENKUlT_T0_E_clISt17integral_constantIbLb1EES19_IbLb0EEEEDaS15_S16_EUlS15_E_NS1_11comp_targetILNS1_3genE2ELNS1_11target_archE906ELNS1_3gpuE6ELNS1_3repE0EEENS1_30default_config_static_selectorELNS0_4arch9wavefront6targetE1EEEvT1_.kd
    .uniform_work_group_size: 1
    .uses_dynamic_stack: false
    .vgpr_count:     0
    .vgpr_spill_count: 0
    .wavefront_size: 64
  - .agpr_count:     0
    .args:
      - .offset:         0
        .size:           120
        .value_kind:     by_value
    .group_segment_fixed_size: 0
    .kernarg_segment_align: 8
    .kernarg_segment_size: 120
    .language:       OpenCL C
    .language_version:
      - 2
      - 0
    .max_flat_workgroup_size: 384
    .name:           _ZN7rocprim17ROCPRIM_400000_NS6detail17trampoline_kernelINS0_14default_configENS1_25partition_config_selectorILNS1_17partition_subalgoE9EllbEEZZNS1_14partition_implILS5_9ELb0ES3_jPlS8_PNS0_10empty_typeENS0_5tupleIJS8_S9_EEENSB_IJS8_SA_EEENS0_18inequality_wrapperIZN2at6native12_GLOBAL__N_124unique_dim_cuda_templateIjEESt5tupleIJNSF_6TensorESK_SK_EERKSK_lbbbEUlllE0_EEPmJS9_EEE10hipError_tPvRmT3_T4_T5_T6_T7_T9_mT8_P12ihipStream_tbDpT10_ENKUlT_T0_E_clISt17integral_constantIbLb1EES19_IbLb0EEEEDaS15_S16_EUlS15_E_NS1_11comp_targetILNS1_3genE10ELNS1_11target_archE1200ELNS1_3gpuE4ELNS1_3repE0EEENS1_30default_config_static_selectorELNS0_4arch9wavefront6targetE1EEEvT1_
    .private_segment_fixed_size: 0
    .sgpr_count:     6
    .sgpr_spill_count: 0
    .symbol:         _ZN7rocprim17ROCPRIM_400000_NS6detail17trampoline_kernelINS0_14default_configENS1_25partition_config_selectorILNS1_17partition_subalgoE9EllbEEZZNS1_14partition_implILS5_9ELb0ES3_jPlS8_PNS0_10empty_typeENS0_5tupleIJS8_S9_EEENSB_IJS8_SA_EEENS0_18inequality_wrapperIZN2at6native12_GLOBAL__N_124unique_dim_cuda_templateIjEESt5tupleIJNSF_6TensorESK_SK_EERKSK_lbbbEUlllE0_EEPmJS9_EEE10hipError_tPvRmT3_T4_T5_T6_T7_T9_mT8_P12ihipStream_tbDpT10_ENKUlT_T0_E_clISt17integral_constantIbLb1EES19_IbLb0EEEEDaS15_S16_EUlS15_E_NS1_11comp_targetILNS1_3genE10ELNS1_11target_archE1200ELNS1_3gpuE4ELNS1_3repE0EEENS1_30default_config_static_selectorELNS0_4arch9wavefront6targetE1EEEvT1_.kd
    .uniform_work_group_size: 1
    .uses_dynamic_stack: false
    .vgpr_count:     0
    .vgpr_spill_count: 0
    .wavefront_size: 64
  - .agpr_count:     0
    .args:
      - .offset:         0
        .size:           120
        .value_kind:     by_value
    .group_segment_fixed_size: 0
    .kernarg_segment_align: 8
    .kernarg_segment_size: 120
    .language:       OpenCL C
    .language_version:
      - 2
      - 0
    .max_flat_workgroup_size: 512
    .name:           _ZN7rocprim17ROCPRIM_400000_NS6detail17trampoline_kernelINS0_14default_configENS1_25partition_config_selectorILNS1_17partition_subalgoE9EllbEEZZNS1_14partition_implILS5_9ELb0ES3_jPlS8_PNS0_10empty_typeENS0_5tupleIJS8_S9_EEENSB_IJS8_SA_EEENS0_18inequality_wrapperIZN2at6native12_GLOBAL__N_124unique_dim_cuda_templateIjEESt5tupleIJNSF_6TensorESK_SK_EERKSK_lbbbEUlllE0_EEPmJS9_EEE10hipError_tPvRmT3_T4_T5_T6_T7_T9_mT8_P12ihipStream_tbDpT10_ENKUlT_T0_E_clISt17integral_constantIbLb1EES19_IbLb0EEEEDaS15_S16_EUlS15_E_NS1_11comp_targetILNS1_3genE9ELNS1_11target_archE1100ELNS1_3gpuE3ELNS1_3repE0EEENS1_30default_config_static_selectorELNS0_4arch9wavefront6targetE1EEEvT1_
    .private_segment_fixed_size: 0
    .sgpr_count:     6
    .sgpr_spill_count: 0
    .symbol:         _ZN7rocprim17ROCPRIM_400000_NS6detail17trampoline_kernelINS0_14default_configENS1_25partition_config_selectorILNS1_17partition_subalgoE9EllbEEZZNS1_14partition_implILS5_9ELb0ES3_jPlS8_PNS0_10empty_typeENS0_5tupleIJS8_S9_EEENSB_IJS8_SA_EEENS0_18inequality_wrapperIZN2at6native12_GLOBAL__N_124unique_dim_cuda_templateIjEESt5tupleIJNSF_6TensorESK_SK_EERKSK_lbbbEUlllE0_EEPmJS9_EEE10hipError_tPvRmT3_T4_T5_T6_T7_T9_mT8_P12ihipStream_tbDpT10_ENKUlT_T0_E_clISt17integral_constantIbLb1EES19_IbLb0EEEEDaS15_S16_EUlS15_E_NS1_11comp_targetILNS1_3genE9ELNS1_11target_archE1100ELNS1_3gpuE3ELNS1_3repE0EEENS1_30default_config_static_selectorELNS0_4arch9wavefront6targetE1EEEvT1_.kd
    .uniform_work_group_size: 1
    .uses_dynamic_stack: false
    .vgpr_count:     0
    .vgpr_spill_count: 0
    .wavefront_size: 64
  - .agpr_count:     0
    .args:
      - .offset:         0
        .size:           120
        .value_kind:     by_value
    .group_segment_fixed_size: 0
    .kernarg_segment_align: 8
    .kernarg_segment_size: 120
    .language:       OpenCL C
    .language_version:
      - 2
      - 0
    .max_flat_workgroup_size: 512
    .name:           _ZN7rocprim17ROCPRIM_400000_NS6detail17trampoline_kernelINS0_14default_configENS1_25partition_config_selectorILNS1_17partition_subalgoE9EllbEEZZNS1_14partition_implILS5_9ELb0ES3_jPlS8_PNS0_10empty_typeENS0_5tupleIJS8_S9_EEENSB_IJS8_SA_EEENS0_18inequality_wrapperIZN2at6native12_GLOBAL__N_124unique_dim_cuda_templateIjEESt5tupleIJNSF_6TensorESK_SK_EERKSK_lbbbEUlllE0_EEPmJS9_EEE10hipError_tPvRmT3_T4_T5_T6_T7_T9_mT8_P12ihipStream_tbDpT10_ENKUlT_T0_E_clISt17integral_constantIbLb1EES19_IbLb0EEEEDaS15_S16_EUlS15_E_NS1_11comp_targetILNS1_3genE8ELNS1_11target_archE1030ELNS1_3gpuE2ELNS1_3repE0EEENS1_30default_config_static_selectorELNS0_4arch9wavefront6targetE1EEEvT1_
    .private_segment_fixed_size: 0
    .sgpr_count:     6
    .sgpr_spill_count: 0
    .symbol:         _ZN7rocprim17ROCPRIM_400000_NS6detail17trampoline_kernelINS0_14default_configENS1_25partition_config_selectorILNS1_17partition_subalgoE9EllbEEZZNS1_14partition_implILS5_9ELb0ES3_jPlS8_PNS0_10empty_typeENS0_5tupleIJS8_S9_EEENSB_IJS8_SA_EEENS0_18inequality_wrapperIZN2at6native12_GLOBAL__N_124unique_dim_cuda_templateIjEESt5tupleIJNSF_6TensorESK_SK_EERKSK_lbbbEUlllE0_EEPmJS9_EEE10hipError_tPvRmT3_T4_T5_T6_T7_T9_mT8_P12ihipStream_tbDpT10_ENKUlT_T0_E_clISt17integral_constantIbLb1EES19_IbLb0EEEEDaS15_S16_EUlS15_E_NS1_11comp_targetILNS1_3genE8ELNS1_11target_archE1030ELNS1_3gpuE2ELNS1_3repE0EEENS1_30default_config_static_selectorELNS0_4arch9wavefront6targetE1EEEvT1_.kd
    .uniform_work_group_size: 1
    .uses_dynamic_stack: false
    .vgpr_count:     0
    .vgpr_spill_count: 0
    .wavefront_size: 64
  - .agpr_count:     0
    .args:
      - .offset:         0
        .size:           136
        .value_kind:     by_value
    .group_segment_fixed_size: 0
    .kernarg_segment_align: 8
    .kernarg_segment_size: 136
    .language:       OpenCL C
    .language_version:
      - 2
      - 0
    .max_flat_workgroup_size: 128
    .name:           _ZN7rocprim17ROCPRIM_400000_NS6detail17trampoline_kernelINS0_14default_configENS1_25partition_config_selectorILNS1_17partition_subalgoE9EllbEEZZNS1_14partition_implILS5_9ELb0ES3_jPlS8_PNS0_10empty_typeENS0_5tupleIJS8_S9_EEENSB_IJS8_SA_EEENS0_18inequality_wrapperIZN2at6native12_GLOBAL__N_124unique_dim_cuda_templateIjEESt5tupleIJNSF_6TensorESK_SK_EERKSK_lbbbEUlllE0_EEPmJS9_EEE10hipError_tPvRmT3_T4_T5_T6_T7_T9_mT8_P12ihipStream_tbDpT10_ENKUlT_T0_E_clISt17integral_constantIbLb0EES19_IbLb1EEEEDaS15_S16_EUlS15_E_NS1_11comp_targetILNS1_3genE0ELNS1_11target_archE4294967295ELNS1_3gpuE0ELNS1_3repE0EEENS1_30default_config_static_selectorELNS0_4arch9wavefront6targetE1EEEvT1_
    .private_segment_fixed_size: 0
    .sgpr_count:     6
    .sgpr_spill_count: 0
    .symbol:         _ZN7rocprim17ROCPRIM_400000_NS6detail17trampoline_kernelINS0_14default_configENS1_25partition_config_selectorILNS1_17partition_subalgoE9EllbEEZZNS1_14partition_implILS5_9ELb0ES3_jPlS8_PNS0_10empty_typeENS0_5tupleIJS8_S9_EEENSB_IJS8_SA_EEENS0_18inequality_wrapperIZN2at6native12_GLOBAL__N_124unique_dim_cuda_templateIjEESt5tupleIJNSF_6TensorESK_SK_EERKSK_lbbbEUlllE0_EEPmJS9_EEE10hipError_tPvRmT3_T4_T5_T6_T7_T9_mT8_P12ihipStream_tbDpT10_ENKUlT_T0_E_clISt17integral_constantIbLb0EES19_IbLb1EEEEDaS15_S16_EUlS15_E_NS1_11comp_targetILNS1_3genE0ELNS1_11target_archE4294967295ELNS1_3gpuE0ELNS1_3repE0EEENS1_30default_config_static_selectorELNS0_4arch9wavefront6targetE1EEEvT1_.kd
    .uniform_work_group_size: 1
    .uses_dynamic_stack: false
    .vgpr_count:     0
    .vgpr_spill_count: 0
    .wavefront_size: 64
  - .agpr_count:     0
    .args:
      - .offset:         0
        .size:           136
        .value_kind:     by_value
    .group_segment_fixed_size: 28684
    .kernarg_segment_align: 8
    .kernarg_segment_size: 136
    .language:       OpenCL C
    .language_version:
      - 2
      - 0
    .max_flat_workgroup_size: 512
    .name:           _ZN7rocprim17ROCPRIM_400000_NS6detail17trampoline_kernelINS0_14default_configENS1_25partition_config_selectorILNS1_17partition_subalgoE9EllbEEZZNS1_14partition_implILS5_9ELb0ES3_jPlS8_PNS0_10empty_typeENS0_5tupleIJS8_S9_EEENSB_IJS8_SA_EEENS0_18inequality_wrapperIZN2at6native12_GLOBAL__N_124unique_dim_cuda_templateIjEESt5tupleIJNSF_6TensorESK_SK_EERKSK_lbbbEUlllE0_EEPmJS9_EEE10hipError_tPvRmT3_T4_T5_T6_T7_T9_mT8_P12ihipStream_tbDpT10_ENKUlT_T0_E_clISt17integral_constantIbLb0EES19_IbLb1EEEEDaS15_S16_EUlS15_E_NS1_11comp_targetILNS1_3genE5ELNS1_11target_archE942ELNS1_3gpuE9ELNS1_3repE0EEENS1_30default_config_static_selectorELNS0_4arch9wavefront6targetE1EEEvT1_
    .private_segment_fixed_size: 0
    .sgpr_count:     64
    .sgpr_spill_count: 0
    .symbol:         _ZN7rocprim17ROCPRIM_400000_NS6detail17trampoline_kernelINS0_14default_configENS1_25partition_config_selectorILNS1_17partition_subalgoE9EllbEEZZNS1_14partition_implILS5_9ELb0ES3_jPlS8_PNS0_10empty_typeENS0_5tupleIJS8_S9_EEENSB_IJS8_SA_EEENS0_18inequality_wrapperIZN2at6native12_GLOBAL__N_124unique_dim_cuda_templateIjEESt5tupleIJNSF_6TensorESK_SK_EERKSK_lbbbEUlllE0_EEPmJS9_EEE10hipError_tPvRmT3_T4_T5_T6_T7_T9_mT8_P12ihipStream_tbDpT10_ENKUlT_T0_E_clISt17integral_constantIbLb0EES19_IbLb1EEEEDaS15_S16_EUlS15_E_NS1_11comp_targetILNS1_3genE5ELNS1_11target_archE942ELNS1_3gpuE9ELNS1_3repE0EEENS1_30default_config_static_selectorELNS0_4arch9wavefront6targetE1EEEvT1_.kd
    .uniform_work_group_size: 1
    .uses_dynamic_stack: false
    .vgpr_count:     66
    .vgpr_spill_count: 0
    .wavefront_size: 64
  - .agpr_count:     0
    .args:
      - .offset:         0
        .size:           136
        .value_kind:     by_value
    .group_segment_fixed_size: 0
    .kernarg_segment_align: 8
    .kernarg_segment_size: 136
    .language:       OpenCL C
    .language_version:
      - 2
      - 0
    .max_flat_workgroup_size: 128
    .name:           _ZN7rocprim17ROCPRIM_400000_NS6detail17trampoline_kernelINS0_14default_configENS1_25partition_config_selectorILNS1_17partition_subalgoE9EllbEEZZNS1_14partition_implILS5_9ELb0ES3_jPlS8_PNS0_10empty_typeENS0_5tupleIJS8_S9_EEENSB_IJS8_SA_EEENS0_18inequality_wrapperIZN2at6native12_GLOBAL__N_124unique_dim_cuda_templateIjEESt5tupleIJNSF_6TensorESK_SK_EERKSK_lbbbEUlllE0_EEPmJS9_EEE10hipError_tPvRmT3_T4_T5_T6_T7_T9_mT8_P12ihipStream_tbDpT10_ENKUlT_T0_E_clISt17integral_constantIbLb0EES19_IbLb1EEEEDaS15_S16_EUlS15_E_NS1_11comp_targetILNS1_3genE4ELNS1_11target_archE910ELNS1_3gpuE8ELNS1_3repE0EEENS1_30default_config_static_selectorELNS0_4arch9wavefront6targetE1EEEvT1_
    .private_segment_fixed_size: 0
    .sgpr_count:     6
    .sgpr_spill_count: 0
    .symbol:         _ZN7rocprim17ROCPRIM_400000_NS6detail17trampoline_kernelINS0_14default_configENS1_25partition_config_selectorILNS1_17partition_subalgoE9EllbEEZZNS1_14partition_implILS5_9ELb0ES3_jPlS8_PNS0_10empty_typeENS0_5tupleIJS8_S9_EEENSB_IJS8_SA_EEENS0_18inequality_wrapperIZN2at6native12_GLOBAL__N_124unique_dim_cuda_templateIjEESt5tupleIJNSF_6TensorESK_SK_EERKSK_lbbbEUlllE0_EEPmJS9_EEE10hipError_tPvRmT3_T4_T5_T6_T7_T9_mT8_P12ihipStream_tbDpT10_ENKUlT_T0_E_clISt17integral_constantIbLb0EES19_IbLb1EEEEDaS15_S16_EUlS15_E_NS1_11comp_targetILNS1_3genE4ELNS1_11target_archE910ELNS1_3gpuE8ELNS1_3repE0EEENS1_30default_config_static_selectorELNS0_4arch9wavefront6targetE1EEEvT1_.kd
    .uniform_work_group_size: 1
    .uses_dynamic_stack: false
    .vgpr_count:     0
    .vgpr_spill_count: 0
    .wavefront_size: 64
  - .agpr_count:     0
    .args:
      - .offset:         0
        .size:           136
        .value_kind:     by_value
    .group_segment_fixed_size: 0
    .kernarg_segment_align: 8
    .kernarg_segment_size: 136
    .language:       OpenCL C
    .language_version:
      - 2
      - 0
    .max_flat_workgroup_size: 128
    .name:           _ZN7rocprim17ROCPRIM_400000_NS6detail17trampoline_kernelINS0_14default_configENS1_25partition_config_selectorILNS1_17partition_subalgoE9EllbEEZZNS1_14partition_implILS5_9ELb0ES3_jPlS8_PNS0_10empty_typeENS0_5tupleIJS8_S9_EEENSB_IJS8_SA_EEENS0_18inequality_wrapperIZN2at6native12_GLOBAL__N_124unique_dim_cuda_templateIjEESt5tupleIJNSF_6TensorESK_SK_EERKSK_lbbbEUlllE0_EEPmJS9_EEE10hipError_tPvRmT3_T4_T5_T6_T7_T9_mT8_P12ihipStream_tbDpT10_ENKUlT_T0_E_clISt17integral_constantIbLb0EES19_IbLb1EEEEDaS15_S16_EUlS15_E_NS1_11comp_targetILNS1_3genE3ELNS1_11target_archE908ELNS1_3gpuE7ELNS1_3repE0EEENS1_30default_config_static_selectorELNS0_4arch9wavefront6targetE1EEEvT1_
    .private_segment_fixed_size: 0
    .sgpr_count:     6
    .sgpr_spill_count: 0
    .symbol:         _ZN7rocprim17ROCPRIM_400000_NS6detail17trampoline_kernelINS0_14default_configENS1_25partition_config_selectorILNS1_17partition_subalgoE9EllbEEZZNS1_14partition_implILS5_9ELb0ES3_jPlS8_PNS0_10empty_typeENS0_5tupleIJS8_S9_EEENSB_IJS8_SA_EEENS0_18inequality_wrapperIZN2at6native12_GLOBAL__N_124unique_dim_cuda_templateIjEESt5tupleIJNSF_6TensorESK_SK_EERKSK_lbbbEUlllE0_EEPmJS9_EEE10hipError_tPvRmT3_T4_T5_T6_T7_T9_mT8_P12ihipStream_tbDpT10_ENKUlT_T0_E_clISt17integral_constantIbLb0EES19_IbLb1EEEEDaS15_S16_EUlS15_E_NS1_11comp_targetILNS1_3genE3ELNS1_11target_archE908ELNS1_3gpuE7ELNS1_3repE0EEENS1_30default_config_static_selectorELNS0_4arch9wavefront6targetE1EEEvT1_.kd
    .uniform_work_group_size: 1
    .uses_dynamic_stack: false
    .vgpr_count:     0
    .vgpr_spill_count: 0
    .wavefront_size: 64
  - .agpr_count:     0
    .args:
      - .offset:         0
        .size:           136
        .value_kind:     by_value
    .group_segment_fixed_size: 0
    .kernarg_segment_align: 8
    .kernarg_segment_size: 136
    .language:       OpenCL C
    .language_version:
      - 2
      - 0
    .max_flat_workgroup_size: 192
    .name:           _ZN7rocprim17ROCPRIM_400000_NS6detail17trampoline_kernelINS0_14default_configENS1_25partition_config_selectorILNS1_17partition_subalgoE9EllbEEZZNS1_14partition_implILS5_9ELb0ES3_jPlS8_PNS0_10empty_typeENS0_5tupleIJS8_S9_EEENSB_IJS8_SA_EEENS0_18inequality_wrapperIZN2at6native12_GLOBAL__N_124unique_dim_cuda_templateIjEESt5tupleIJNSF_6TensorESK_SK_EERKSK_lbbbEUlllE0_EEPmJS9_EEE10hipError_tPvRmT3_T4_T5_T6_T7_T9_mT8_P12ihipStream_tbDpT10_ENKUlT_T0_E_clISt17integral_constantIbLb0EES19_IbLb1EEEEDaS15_S16_EUlS15_E_NS1_11comp_targetILNS1_3genE2ELNS1_11target_archE906ELNS1_3gpuE6ELNS1_3repE0EEENS1_30default_config_static_selectorELNS0_4arch9wavefront6targetE1EEEvT1_
    .private_segment_fixed_size: 0
    .sgpr_count:     6
    .sgpr_spill_count: 0
    .symbol:         _ZN7rocprim17ROCPRIM_400000_NS6detail17trampoline_kernelINS0_14default_configENS1_25partition_config_selectorILNS1_17partition_subalgoE9EllbEEZZNS1_14partition_implILS5_9ELb0ES3_jPlS8_PNS0_10empty_typeENS0_5tupleIJS8_S9_EEENSB_IJS8_SA_EEENS0_18inequality_wrapperIZN2at6native12_GLOBAL__N_124unique_dim_cuda_templateIjEESt5tupleIJNSF_6TensorESK_SK_EERKSK_lbbbEUlllE0_EEPmJS9_EEE10hipError_tPvRmT3_T4_T5_T6_T7_T9_mT8_P12ihipStream_tbDpT10_ENKUlT_T0_E_clISt17integral_constantIbLb0EES19_IbLb1EEEEDaS15_S16_EUlS15_E_NS1_11comp_targetILNS1_3genE2ELNS1_11target_archE906ELNS1_3gpuE6ELNS1_3repE0EEENS1_30default_config_static_selectorELNS0_4arch9wavefront6targetE1EEEvT1_.kd
    .uniform_work_group_size: 1
    .uses_dynamic_stack: false
    .vgpr_count:     0
    .vgpr_spill_count: 0
    .wavefront_size: 64
  - .agpr_count:     0
    .args:
      - .offset:         0
        .size:           136
        .value_kind:     by_value
    .group_segment_fixed_size: 0
    .kernarg_segment_align: 8
    .kernarg_segment_size: 136
    .language:       OpenCL C
    .language_version:
      - 2
      - 0
    .max_flat_workgroup_size: 384
    .name:           _ZN7rocprim17ROCPRIM_400000_NS6detail17trampoline_kernelINS0_14default_configENS1_25partition_config_selectorILNS1_17partition_subalgoE9EllbEEZZNS1_14partition_implILS5_9ELb0ES3_jPlS8_PNS0_10empty_typeENS0_5tupleIJS8_S9_EEENSB_IJS8_SA_EEENS0_18inequality_wrapperIZN2at6native12_GLOBAL__N_124unique_dim_cuda_templateIjEESt5tupleIJNSF_6TensorESK_SK_EERKSK_lbbbEUlllE0_EEPmJS9_EEE10hipError_tPvRmT3_T4_T5_T6_T7_T9_mT8_P12ihipStream_tbDpT10_ENKUlT_T0_E_clISt17integral_constantIbLb0EES19_IbLb1EEEEDaS15_S16_EUlS15_E_NS1_11comp_targetILNS1_3genE10ELNS1_11target_archE1200ELNS1_3gpuE4ELNS1_3repE0EEENS1_30default_config_static_selectorELNS0_4arch9wavefront6targetE1EEEvT1_
    .private_segment_fixed_size: 0
    .sgpr_count:     6
    .sgpr_spill_count: 0
    .symbol:         _ZN7rocprim17ROCPRIM_400000_NS6detail17trampoline_kernelINS0_14default_configENS1_25partition_config_selectorILNS1_17partition_subalgoE9EllbEEZZNS1_14partition_implILS5_9ELb0ES3_jPlS8_PNS0_10empty_typeENS0_5tupleIJS8_S9_EEENSB_IJS8_SA_EEENS0_18inequality_wrapperIZN2at6native12_GLOBAL__N_124unique_dim_cuda_templateIjEESt5tupleIJNSF_6TensorESK_SK_EERKSK_lbbbEUlllE0_EEPmJS9_EEE10hipError_tPvRmT3_T4_T5_T6_T7_T9_mT8_P12ihipStream_tbDpT10_ENKUlT_T0_E_clISt17integral_constantIbLb0EES19_IbLb1EEEEDaS15_S16_EUlS15_E_NS1_11comp_targetILNS1_3genE10ELNS1_11target_archE1200ELNS1_3gpuE4ELNS1_3repE0EEENS1_30default_config_static_selectorELNS0_4arch9wavefront6targetE1EEEvT1_.kd
    .uniform_work_group_size: 1
    .uses_dynamic_stack: false
    .vgpr_count:     0
    .vgpr_spill_count: 0
    .wavefront_size: 64
  - .agpr_count:     0
    .args:
      - .offset:         0
        .size:           136
        .value_kind:     by_value
    .group_segment_fixed_size: 0
    .kernarg_segment_align: 8
    .kernarg_segment_size: 136
    .language:       OpenCL C
    .language_version:
      - 2
      - 0
    .max_flat_workgroup_size: 512
    .name:           _ZN7rocprim17ROCPRIM_400000_NS6detail17trampoline_kernelINS0_14default_configENS1_25partition_config_selectorILNS1_17partition_subalgoE9EllbEEZZNS1_14partition_implILS5_9ELb0ES3_jPlS8_PNS0_10empty_typeENS0_5tupleIJS8_S9_EEENSB_IJS8_SA_EEENS0_18inequality_wrapperIZN2at6native12_GLOBAL__N_124unique_dim_cuda_templateIjEESt5tupleIJNSF_6TensorESK_SK_EERKSK_lbbbEUlllE0_EEPmJS9_EEE10hipError_tPvRmT3_T4_T5_T6_T7_T9_mT8_P12ihipStream_tbDpT10_ENKUlT_T0_E_clISt17integral_constantIbLb0EES19_IbLb1EEEEDaS15_S16_EUlS15_E_NS1_11comp_targetILNS1_3genE9ELNS1_11target_archE1100ELNS1_3gpuE3ELNS1_3repE0EEENS1_30default_config_static_selectorELNS0_4arch9wavefront6targetE1EEEvT1_
    .private_segment_fixed_size: 0
    .sgpr_count:     6
    .sgpr_spill_count: 0
    .symbol:         _ZN7rocprim17ROCPRIM_400000_NS6detail17trampoline_kernelINS0_14default_configENS1_25partition_config_selectorILNS1_17partition_subalgoE9EllbEEZZNS1_14partition_implILS5_9ELb0ES3_jPlS8_PNS0_10empty_typeENS0_5tupleIJS8_S9_EEENSB_IJS8_SA_EEENS0_18inequality_wrapperIZN2at6native12_GLOBAL__N_124unique_dim_cuda_templateIjEESt5tupleIJNSF_6TensorESK_SK_EERKSK_lbbbEUlllE0_EEPmJS9_EEE10hipError_tPvRmT3_T4_T5_T6_T7_T9_mT8_P12ihipStream_tbDpT10_ENKUlT_T0_E_clISt17integral_constantIbLb0EES19_IbLb1EEEEDaS15_S16_EUlS15_E_NS1_11comp_targetILNS1_3genE9ELNS1_11target_archE1100ELNS1_3gpuE3ELNS1_3repE0EEENS1_30default_config_static_selectorELNS0_4arch9wavefront6targetE1EEEvT1_.kd
    .uniform_work_group_size: 1
    .uses_dynamic_stack: false
    .vgpr_count:     0
    .vgpr_spill_count: 0
    .wavefront_size: 64
  - .agpr_count:     0
    .args:
      - .offset:         0
        .size:           136
        .value_kind:     by_value
    .group_segment_fixed_size: 0
    .kernarg_segment_align: 8
    .kernarg_segment_size: 136
    .language:       OpenCL C
    .language_version:
      - 2
      - 0
    .max_flat_workgroup_size: 512
    .name:           _ZN7rocprim17ROCPRIM_400000_NS6detail17trampoline_kernelINS0_14default_configENS1_25partition_config_selectorILNS1_17partition_subalgoE9EllbEEZZNS1_14partition_implILS5_9ELb0ES3_jPlS8_PNS0_10empty_typeENS0_5tupleIJS8_S9_EEENSB_IJS8_SA_EEENS0_18inequality_wrapperIZN2at6native12_GLOBAL__N_124unique_dim_cuda_templateIjEESt5tupleIJNSF_6TensorESK_SK_EERKSK_lbbbEUlllE0_EEPmJS9_EEE10hipError_tPvRmT3_T4_T5_T6_T7_T9_mT8_P12ihipStream_tbDpT10_ENKUlT_T0_E_clISt17integral_constantIbLb0EES19_IbLb1EEEEDaS15_S16_EUlS15_E_NS1_11comp_targetILNS1_3genE8ELNS1_11target_archE1030ELNS1_3gpuE2ELNS1_3repE0EEENS1_30default_config_static_selectorELNS0_4arch9wavefront6targetE1EEEvT1_
    .private_segment_fixed_size: 0
    .sgpr_count:     6
    .sgpr_spill_count: 0
    .symbol:         _ZN7rocprim17ROCPRIM_400000_NS6detail17trampoline_kernelINS0_14default_configENS1_25partition_config_selectorILNS1_17partition_subalgoE9EllbEEZZNS1_14partition_implILS5_9ELb0ES3_jPlS8_PNS0_10empty_typeENS0_5tupleIJS8_S9_EEENSB_IJS8_SA_EEENS0_18inequality_wrapperIZN2at6native12_GLOBAL__N_124unique_dim_cuda_templateIjEESt5tupleIJNSF_6TensorESK_SK_EERKSK_lbbbEUlllE0_EEPmJS9_EEE10hipError_tPvRmT3_T4_T5_T6_T7_T9_mT8_P12ihipStream_tbDpT10_ENKUlT_T0_E_clISt17integral_constantIbLb0EES19_IbLb1EEEEDaS15_S16_EUlS15_E_NS1_11comp_targetILNS1_3genE8ELNS1_11target_archE1030ELNS1_3gpuE2ELNS1_3repE0EEENS1_30default_config_static_selectorELNS0_4arch9wavefront6targetE1EEEvT1_.kd
    .uniform_work_group_size: 1
    .uses_dynamic_stack: false
    .vgpr_count:     0
    .vgpr_spill_count: 0
    .wavefront_size: 64
  - .agpr_count:     0
    .args:
      - .offset:         0
        .size:           72
        .value_kind:     by_value
    .group_segment_fixed_size: 0
    .kernarg_segment_align: 8
    .kernarg_segment_size: 72
    .language:       OpenCL C
    .language_version:
      - 2
      - 0
    .max_flat_workgroup_size: 256
    .name:           _ZN7rocprim17ROCPRIM_400000_NS6detail17trampoline_kernelINS0_14default_configENS1_37merge_sort_block_sort_config_selectorIlNS0_10empty_typeEEEZNS1_21merge_sort_block_sortIS3_PlS8_PS5_S9_ZN2at6native12_GLOBAL__N_124unique_dim_cuda_templateImEESt5tupleIJNSA_6TensorESF_SF_EERKSF_lbbbEUlllE_EE10hipError_tT0_T1_T2_T3_mRjT4_P12ihipStream_tbNS1_7vsmem_tEEUlT_E_NS1_11comp_targetILNS1_3genE0ELNS1_11target_archE4294967295ELNS1_3gpuE0ELNS1_3repE0EEENS1_30default_config_static_selectorELNS0_4arch9wavefront6targetE1EEEvSM_
    .private_segment_fixed_size: 0
    .sgpr_count:     6
    .sgpr_spill_count: 0
    .symbol:         _ZN7rocprim17ROCPRIM_400000_NS6detail17trampoline_kernelINS0_14default_configENS1_37merge_sort_block_sort_config_selectorIlNS0_10empty_typeEEEZNS1_21merge_sort_block_sortIS3_PlS8_PS5_S9_ZN2at6native12_GLOBAL__N_124unique_dim_cuda_templateImEESt5tupleIJNSA_6TensorESF_SF_EERKSF_lbbbEUlllE_EE10hipError_tT0_T1_T2_T3_mRjT4_P12ihipStream_tbNS1_7vsmem_tEEUlT_E_NS1_11comp_targetILNS1_3genE0ELNS1_11target_archE4294967295ELNS1_3gpuE0ELNS1_3repE0EEENS1_30default_config_static_selectorELNS0_4arch9wavefront6targetE1EEEvSM_.kd
    .uniform_work_group_size: 1
    .uses_dynamic_stack: false
    .vgpr_count:     0
    .vgpr_spill_count: 0
    .wavefront_size: 64
  - .agpr_count:     0
    .args:
      - .offset:         0
        .size:           72
        .value_kind:     by_value
      - .offset:         72
        .size:           4
        .value_kind:     hidden_block_count_x
      - .offset:         76
        .size:           4
        .value_kind:     hidden_block_count_y
      - .offset:         80
        .size:           4
        .value_kind:     hidden_block_count_z
      - .offset:         84
        .size:           2
        .value_kind:     hidden_group_size_x
      - .offset:         86
        .size:           2
        .value_kind:     hidden_group_size_y
      - .offset:         88
        .size:           2
        .value_kind:     hidden_group_size_z
      - .offset:         90
        .size:           2
        .value_kind:     hidden_remainder_x
      - .offset:         92
        .size:           2
        .value_kind:     hidden_remainder_y
      - .offset:         94
        .size:           2
        .value_kind:     hidden_remainder_z
      - .offset:         112
        .size:           8
        .value_kind:     hidden_global_offset_x
      - .offset:         120
        .size:           8
        .value_kind:     hidden_global_offset_y
      - .offset:         128
        .size:           8
        .value_kind:     hidden_global_offset_z
      - .offset:         136
        .size:           2
        .value_kind:     hidden_grid_dims
      - .offset:         152
        .size:           8
        .value_kind:     hidden_hostcall_buffer
      - .offset:         160
        .size:           8
        .value_kind:     hidden_multigrid_sync_arg
      - .offset:         168
        .size:           8
        .value_kind:     hidden_heap_v1
      - .offset:         176
        .size:           8
        .value_kind:     hidden_default_queue
      - .offset:         184
        .size:           8
        .value_kind:     hidden_completion_action
      - .offset:         272
        .size:           8
        .value_kind:     hidden_queue_ptr
    .group_segment_fixed_size: 16896
    .kernarg_segment_align: 8
    .kernarg_segment_size: 328
    .language:       OpenCL C
    .language_version:
      - 2
      - 0
    .max_flat_workgroup_size: 256
    .name:           _ZN7rocprim17ROCPRIM_400000_NS6detail17trampoline_kernelINS0_14default_configENS1_37merge_sort_block_sort_config_selectorIlNS0_10empty_typeEEEZNS1_21merge_sort_block_sortIS3_PlS8_PS5_S9_ZN2at6native12_GLOBAL__N_124unique_dim_cuda_templateImEESt5tupleIJNSA_6TensorESF_SF_EERKSF_lbbbEUlllE_EE10hipError_tT0_T1_T2_T3_mRjT4_P12ihipStream_tbNS1_7vsmem_tEEUlT_E_NS1_11comp_targetILNS1_3genE5ELNS1_11target_archE942ELNS1_3gpuE9ELNS1_3repE0EEENS1_30default_config_static_selectorELNS0_4arch9wavefront6targetE1EEEvSM_
    .private_segment_fixed_size: 8
    .sgpr_count:     75
    .sgpr_spill_count: 0
    .symbol:         _ZN7rocprim17ROCPRIM_400000_NS6detail17trampoline_kernelINS0_14default_configENS1_37merge_sort_block_sort_config_selectorIlNS0_10empty_typeEEEZNS1_21merge_sort_block_sortIS3_PlS8_PS5_S9_ZN2at6native12_GLOBAL__N_124unique_dim_cuda_templateImEESt5tupleIJNSA_6TensorESF_SF_EERKSF_lbbbEUlllE_EE10hipError_tT0_T1_T2_T3_mRjT4_P12ihipStream_tbNS1_7vsmem_tEEUlT_E_NS1_11comp_targetILNS1_3genE5ELNS1_11target_archE942ELNS1_3gpuE9ELNS1_3repE0EEENS1_30default_config_static_selectorELNS0_4arch9wavefront6targetE1EEEvSM_.kd
    .uniform_work_group_size: 1
    .uses_dynamic_stack: false
    .vgpr_count:     129
    .vgpr_spill_count: 0
    .wavefront_size: 64
  - .agpr_count:     0
    .args:
      - .offset:         0
        .size:           72
        .value_kind:     by_value
    .group_segment_fixed_size: 0
    .kernarg_segment_align: 8
    .kernarg_segment_size: 72
    .language:       OpenCL C
    .language_version:
      - 2
      - 0
    .max_flat_workgroup_size: 256
    .name:           _ZN7rocprim17ROCPRIM_400000_NS6detail17trampoline_kernelINS0_14default_configENS1_37merge_sort_block_sort_config_selectorIlNS0_10empty_typeEEEZNS1_21merge_sort_block_sortIS3_PlS8_PS5_S9_ZN2at6native12_GLOBAL__N_124unique_dim_cuda_templateImEESt5tupleIJNSA_6TensorESF_SF_EERKSF_lbbbEUlllE_EE10hipError_tT0_T1_T2_T3_mRjT4_P12ihipStream_tbNS1_7vsmem_tEEUlT_E_NS1_11comp_targetILNS1_3genE4ELNS1_11target_archE910ELNS1_3gpuE8ELNS1_3repE0EEENS1_30default_config_static_selectorELNS0_4arch9wavefront6targetE1EEEvSM_
    .private_segment_fixed_size: 0
    .sgpr_count:     6
    .sgpr_spill_count: 0
    .symbol:         _ZN7rocprim17ROCPRIM_400000_NS6detail17trampoline_kernelINS0_14default_configENS1_37merge_sort_block_sort_config_selectorIlNS0_10empty_typeEEEZNS1_21merge_sort_block_sortIS3_PlS8_PS5_S9_ZN2at6native12_GLOBAL__N_124unique_dim_cuda_templateImEESt5tupleIJNSA_6TensorESF_SF_EERKSF_lbbbEUlllE_EE10hipError_tT0_T1_T2_T3_mRjT4_P12ihipStream_tbNS1_7vsmem_tEEUlT_E_NS1_11comp_targetILNS1_3genE4ELNS1_11target_archE910ELNS1_3gpuE8ELNS1_3repE0EEENS1_30default_config_static_selectorELNS0_4arch9wavefront6targetE1EEEvSM_.kd
    .uniform_work_group_size: 1
    .uses_dynamic_stack: false
    .vgpr_count:     0
    .vgpr_spill_count: 0
    .wavefront_size: 64
  - .agpr_count:     0
    .args:
      - .offset:         0
        .size:           72
        .value_kind:     by_value
    .group_segment_fixed_size: 0
    .kernarg_segment_align: 8
    .kernarg_segment_size: 72
    .language:       OpenCL C
    .language_version:
      - 2
      - 0
    .max_flat_workgroup_size: 256
    .name:           _ZN7rocprim17ROCPRIM_400000_NS6detail17trampoline_kernelINS0_14default_configENS1_37merge_sort_block_sort_config_selectorIlNS0_10empty_typeEEEZNS1_21merge_sort_block_sortIS3_PlS8_PS5_S9_ZN2at6native12_GLOBAL__N_124unique_dim_cuda_templateImEESt5tupleIJNSA_6TensorESF_SF_EERKSF_lbbbEUlllE_EE10hipError_tT0_T1_T2_T3_mRjT4_P12ihipStream_tbNS1_7vsmem_tEEUlT_E_NS1_11comp_targetILNS1_3genE3ELNS1_11target_archE908ELNS1_3gpuE7ELNS1_3repE0EEENS1_30default_config_static_selectorELNS0_4arch9wavefront6targetE1EEEvSM_
    .private_segment_fixed_size: 0
    .sgpr_count:     6
    .sgpr_spill_count: 0
    .symbol:         _ZN7rocprim17ROCPRIM_400000_NS6detail17trampoline_kernelINS0_14default_configENS1_37merge_sort_block_sort_config_selectorIlNS0_10empty_typeEEEZNS1_21merge_sort_block_sortIS3_PlS8_PS5_S9_ZN2at6native12_GLOBAL__N_124unique_dim_cuda_templateImEESt5tupleIJNSA_6TensorESF_SF_EERKSF_lbbbEUlllE_EE10hipError_tT0_T1_T2_T3_mRjT4_P12ihipStream_tbNS1_7vsmem_tEEUlT_E_NS1_11comp_targetILNS1_3genE3ELNS1_11target_archE908ELNS1_3gpuE7ELNS1_3repE0EEENS1_30default_config_static_selectorELNS0_4arch9wavefront6targetE1EEEvSM_.kd
    .uniform_work_group_size: 1
    .uses_dynamic_stack: false
    .vgpr_count:     0
    .vgpr_spill_count: 0
    .wavefront_size: 64
  - .agpr_count:     0
    .args:
      - .offset:         0
        .size:           72
        .value_kind:     by_value
    .group_segment_fixed_size: 0
    .kernarg_segment_align: 8
    .kernarg_segment_size: 72
    .language:       OpenCL C
    .language_version:
      - 2
      - 0
    .max_flat_workgroup_size: 256
    .name:           _ZN7rocprim17ROCPRIM_400000_NS6detail17trampoline_kernelINS0_14default_configENS1_37merge_sort_block_sort_config_selectorIlNS0_10empty_typeEEEZNS1_21merge_sort_block_sortIS3_PlS8_PS5_S9_ZN2at6native12_GLOBAL__N_124unique_dim_cuda_templateImEESt5tupleIJNSA_6TensorESF_SF_EERKSF_lbbbEUlllE_EE10hipError_tT0_T1_T2_T3_mRjT4_P12ihipStream_tbNS1_7vsmem_tEEUlT_E_NS1_11comp_targetILNS1_3genE2ELNS1_11target_archE906ELNS1_3gpuE6ELNS1_3repE0EEENS1_30default_config_static_selectorELNS0_4arch9wavefront6targetE1EEEvSM_
    .private_segment_fixed_size: 0
    .sgpr_count:     6
    .sgpr_spill_count: 0
    .symbol:         _ZN7rocprim17ROCPRIM_400000_NS6detail17trampoline_kernelINS0_14default_configENS1_37merge_sort_block_sort_config_selectorIlNS0_10empty_typeEEEZNS1_21merge_sort_block_sortIS3_PlS8_PS5_S9_ZN2at6native12_GLOBAL__N_124unique_dim_cuda_templateImEESt5tupleIJNSA_6TensorESF_SF_EERKSF_lbbbEUlllE_EE10hipError_tT0_T1_T2_T3_mRjT4_P12ihipStream_tbNS1_7vsmem_tEEUlT_E_NS1_11comp_targetILNS1_3genE2ELNS1_11target_archE906ELNS1_3gpuE6ELNS1_3repE0EEENS1_30default_config_static_selectorELNS0_4arch9wavefront6targetE1EEEvSM_.kd
    .uniform_work_group_size: 1
    .uses_dynamic_stack: false
    .vgpr_count:     0
    .vgpr_spill_count: 0
    .wavefront_size: 64
  - .agpr_count:     0
    .args:
      - .offset:         0
        .size:           72
        .value_kind:     by_value
    .group_segment_fixed_size: 0
    .kernarg_segment_align: 8
    .kernarg_segment_size: 72
    .language:       OpenCL C
    .language_version:
      - 2
      - 0
    .max_flat_workgroup_size: 256
    .name:           _ZN7rocprim17ROCPRIM_400000_NS6detail17trampoline_kernelINS0_14default_configENS1_37merge_sort_block_sort_config_selectorIlNS0_10empty_typeEEEZNS1_21merge_sort_block_sortIS3_PlS8_PS5_S9_ZN2at6native12_GLOBAL__N_124unique_dim_cuda_templateImEESt5tupleIJNSA_6TensorESF_SF_EERKSF_lbbbEUlllE_EE10hipError_tT0_T1_T2_T3_mRjT4_P12ihipStream_tbNS1_7vsmem_tEEUlT_E_NS1_11comp_targetILNS1_3genE10ELNS1_11target_archE1201ELNS1_3gpuE5ELNS1_3repE0EEENS1_30default_config_static_selectorELNS0_4arch9wavefront6targetE1EEEvSM_
    .private_segment_fixed_size: 0
    .sgpr_count:     6
    .sgpr_spill_count: 0
    .symbol:         _ZN7rocprim17ROCPRIM_400000_NS6detail17trampoline_kernelINS0_14default_configENS1_37merge_sort_block_sort_config_selectorIlNS0_10empty_typeEEEZNS1_21merge_sort_block_sortIS3_PlS8_PS5_S9_ZN2at6native12_GLOBAL__N_124unique_dim_cuda_templateImEESt5tupleIJNSA_6TensorESF_SF_EERKSF_lbbbEUlllE_EE10hipError_tT0_T1_T2_T3_mRjT4_P12ihipStream_tbNS1_7vsmem_tEEUlT_E_NS1_11comp_targetILNS1_3genE10ELNS1_11target_archE1201ELNS1_3gpuE5ELNS1_3repE0EEENS1_30default_config_static_selectorELNS0_4arch9wavefront6targetE1EEEvSM_.kd
    .uniform_work_group_size: 1
    .uses_dynamic_stack: false
    .vgpr_count:     0
    .vgpr_spill_count: 0
    .wavefront_size: 64
  - .agpr_count:     0
    .args:
      - .offset:         0
        .size:           72
        .value_kind:     by_value
    .group_segment_fixed_size: 0
    .kernarg_segment_align: 8
    .kernarg_segment_size: 72
    .language:       OpenCL C
    .language_version:
      - 2
      - 0
    .max_flat_workgroup_size: 512
    .name:           _ZN7rocprim17ROCPRIM_400000_NS6detail17trampoline_kernelINS0_14default_configENS1_37merge_sort_block_sort_config_selectorIlNS0_10empty_typeEEEZNS1_21merge_sort_block_sortIS3_PlS8_PS5_S9_ZN2at6native12_GLOBAL__N_124unique_dim_cuda_templateImEESt5tupleIJNSA_6TensorESF_SF_EERKSF_lbbbEUlllE_EE10hipError_tT0_T1_T2_T3_mRjT4_P12ihipStream_tbNS1_7vsmem_tEEUlT_E_NS1_11comp_targetILNS1_3genE10ELNS1_11target_archE1200ELNS1_3gpuE4ELNS1_3repE0EEENS1_30default_config_static_selectorELNS0_4arch9wavefront6targetE1EEEvSM_
    .private_segment_fixed_size: 0
    .sgpr_count:     6
    .sgpr_spill_count: 0
    .symbol:         _ZN7rocprim17ROCPRIM_400000_NS6detail17trampoline_kernelINS0_14default_configENS1_37merge_sort_block_sort_config_selectorIlNS0_10empty_typeEEEZNS1_21merge_sort_block_sortIS3_PlS8_PS5_S9_ZN2at6native12_GLOBAL__N_124unique_dim_cuda_templateImEESt5tupleIJNSA_6TensorESF_SF_EERKSF_lbbbEUlllE_EE10hipError_tT0_T1_T2_T3_mRjT4_P12ihipStream_tbNS1_7vsmem_tEEUlT_E_NS1_11comp_targetILNS1_3genE10ELNS1_11target_archE1200ELNS1_3gpuE4ELNS1_3repE0EEENS1_30default_config_static_selectorELNS0_4arch9wavefront6targetE1EEEvSM_.kd
    .uniform_work_group_size: 1
    .uses_dynamic_stack: false
    .vgpr_count:     0
    .vgpr_spill_count: 0
    .wavefront_size: 64
  - .agpr_count:     0
    .args:
      - .offset:         0
        .size:           72
        .value_kind:     by_value
    .group_segment_fixed_size: 0
    .kernarg_segment_align: 8
    .kernarg_segment_size: 72
    .language:       OpenCL C
    .language_version:
      - 2
      - 0
    .max_flat_workgroup_size: 256
    .name:           _ZN7rocprim17ROCPRIM_400000_NS6detail17trampoline_kernelINS0_14default_configENS1_37merge_sort_block_sort_config_selectorIlNS0_10empty_typeEEEZNS1_21merge_sort_block_sortIS3_PlS8_PS5_S9_ZN2at6native12_GLOBAL__N_124unique_dim_cuda_templateImEESt5tupleIJNSA_6TensorESF_SF_EERKSF_lbbbEUlllE_EE10hipError_tT0_T1_T2_T3_mRjT4_P12ihipStream_tbNS1_7vsmem_tEEUlT_E_NS1_11comp_targetILNS1_3genE9ELNS1_11target_archE1100ELNS1_3gpuE3ELNS1_3repE0EEENS1_30default_config_static_selectorELNS0_4arch9wavefront6targetE1EEEvSM_
    .private_segment_fixed_size: 0
    .sgpr_count:     6
    .sgpr_spill_count: 0
    .symbol:         _ZN7rocprim17ROCPRIM_400000_NS6detail17trampoline_kernelINS0_14default_configENS1_37merge_sort_block_sort_config_selectorIlNS0_10empty_typeEEEZNS1_21merge_sort_block_sortIS3_PlS8_PS5_S9_ZN2at6native12_GLOBAL__N_124unique_dim_cuda_templateImEESt5tupleIJNSA_6TensorESF_SF_EERKSF_lbbbEUlllE_EE10hipError_tT0_T1_T2_T3_mRjT4_P12ihipStream_tbNS1_7vsmem_tEEUlT_E_NS1_11comp_targetILNS1_3genE9ELNS1_11target_archE1100ELNS1_3gpuE3ELNS1_3repE0EEENS1_30default_config_static_selectorELNS0_4arch9wavefront6targetE1EEEvSM_.kd
    .uniform_work_group_size: 1
    .uses_dynamic_stack: false
    .vgpr_count:     0
    .vgpr_spill_count: 0
    .wavefront_size: 64
  - .agpr_count:     0
    .args:
      - .offset:         0
        .size:           72
        .value_kind:     by_value
    .group_segment_fixed_size: 0
    .kernarg_segment_align: 8
    .kernarg_segment_size: 72
    .language:       OpenCL C
    .language_version:
      - 2
      - 0
    .max_flat_workgroup_size: 256
    .name:           _ZN7rocprim17ROCPRIM_400000_NS6detail17trampoline_kernelINS0_14default_configENS1_37merge_sort_block_sort_config_selectorIlNS0_10empty_typeEEEZNS1_21merge_sort_block_sortIS3_PlS8_PS5_S9_ZN2at6native12_GLOBAL__N_124unique_dim_cuda_templateImEESt5tupleIJNSA_6TensorESF_SF_EERKSF_lbbbEUlllE_EE10hipError_tT0_T1_T2_T3_mRjT4_P12ihipStream_tbNS1_7vsmem_tEEUlT_E_NS1_11comp_targetILNS1_3genE8ELNS1_11target_archE1030ELNS1_3gpuE2ELNS1_3repE0EEENS1_30default_config_static_selectorELNS0_4arch9wavefront6targetE1EEEvSM_
    .private_segment_fixed_size: 0
    .sgpr_count:     6
    .sgpr_spill_count: 0
    .symbol:         _ZN7rocprim17ROCPRIM_400000_NS6detail17trampoline_kernelINS0_14default_configENS1_37merge_sort_block_sort_config_selectorIlNS0_10empty_typeEEEZNS1_21merge_sort_block_sortIS3_PlS8_PS5_S9_ZN2at6native12_GLOBAL__N_124unique_dim_cuda_templateImEESt5tupleIJNSA_6TensorESF_SF_EERKSF_lbbbEUlllE_EE10hipError_tT0_T1_T2_T3_mRjT4_P12ihipStream_tbNS1_7vsmem_tEEUlT_E_NS1_11comp_targetILNS1_3genE8ELNS1_11target_archE1030ELNS1_3gpuE2ELNS1_3repE0EEENS1_30default_config_static_selectorELNS0_4arch9wavefront6targetE1EEEvSM_.kd
    .uniform_work_group_size: 1
    .uses_dynamic_stack: false
    .vgpr_count:     0
    .vgpr_spill_count: 0
    .wavefront_size: 64
  - .agpr_count:     0
    .args:
      - .offset:         0
        .size:           56
        .value_kind:     by_value
    .group_segment_fixed_size: 0
    .kernarg_segment_align: 8
    .kernarg_segment_size: 56
    .language:       OpenCL C
    .language_version:
      - 2
      - 0
    .max_flat_workgroup_size: 128
    .name:           _ZN7rocprim17ROCPRIM_400000_NS6detail17trampoline_kernelINS0_14default_configENS1_38merge_sort_block_merge_config_selectorIlNS0_10empty_typeEEEZZNS1_27merge_sort_block_merge_implIS3_PlPS5_mZN2at6native12_GLOBAL__N_124unique_dim_cuda_templateImEESt5tupleIJNSA_6TensorESF_SF_EERKSF_lbbbEUlllE_EE10hipError_tT0_T1_T2_jT3_P12ihipStream_tbPNSt15iterator_traitsISL_E10value_typeEPNSR_ISM_E10value_typeEPSN_NS1_7vsmem_tEENKUlT_SL_SM_SN_E_clIS8_S8_S9_S9_EESK_S10_SL_SM_SN_EUlS10_E_NS1_11comp_targetILNS1_3genE0ELNS1_11target_archE4294967295ELNS1_3gpuE0ELNS1_3repE0EEENS1_48merge_mergepath_partition_config_static_selectorELNS0_4arch9wavefront6targetE1EEEvSM_
    .private_segment_fixed_size: 0
    .sgpr_count:     6
    .sgpr_spill_count: 0
    .symbol:         _ZN7rocprim17ROCPRIM_400000_NS6detail17trampoline_kernelINS0_14default_configENS1_38merge_sort_block_merge_config_selectorIlNS0_10empty_typeEEEZZNS1_27merge_sort_block_merge_implIS3_PlPS5_mZN2at6native12_GLOBAL__N_124unique_dim_cuda_templateImEESt5tupleIJNSA_6TensorESF_SF_EERKSF_lbbbEUlllE_EE10hipError_tT0_T1_T2_jT3_P12ihipStream_tbPNSt15iterator_traitsISL_E10value_typeEPNSR_ISM_E10value_typeEPSN_NS1_7vsmem_tEENKUlT_SL_SM_SN_E_clIS8_S8_S9_S9_EESK_S10_SL_SM_SN_EUlS10_E_NS1_11comp_targetILNS1_3genE0ELNS1_11target_archE4294967295ELNS1_3gpuE0ELNS1_3repE0EEENS1_48merge_mergepath_partition_config_static_selectorELNS0_4arch9wavefront6targetE1EEEvSM_.kd
    .uniform_work_group_size: 1
    .uses_dynamic_stack: false
    .vgpr_count:     0
    .vgpr_spill_count: 0
    .wavefront_size: 64
  - .agpr_count:     0
    .args:
      - .offset:         0
        .size:           56
        .value_kind:     by_value
    .group_segment_fixed_size: 0
    .kernarg_segment_align: 8
    .kernarg_segment_size: 56
    .language:       OpenCL C
    .language_version:
      - 2
      - 0
    .max_flat_workgroup_size: 128
    .name:           _ZN7rocprim17ROCPRIM_400000_NS6detail17trampoline_kernelINS0_14default_configENS1_38merge_sort_block_merge_config_selectorIlNS0_10empty_typeEEEZZNS1_27merge_sort_block_merge_implIS3_PlPS5_mZN2at6native12_GLOBAL__N_124unique_dim_cuda_templateImEESt5tupleIJNSA_6TensorESF_SF_EERKSF_lbbbEUlllE_EE10hipError_tT0_T1_T2_jT3_P12ihipStream_tbPNSt15iterator_traitsISL_E10value_typeEPNSR_ISM_E10value_typeEPSN_NS1_7vsmem_tEENKUlT_SL_SM_SN_E_clIS8_S8_S9_S9_EESK_S10_SL_SM_SN_EUlS10_E_NS1_11comp_targetILNS1_3genE10ELNS1_11target_archE1201ELNS1_3gpuE5ELNS1_3repE0EEENS1_48merge_mergepath_partition_config_static_selectorELNS0_4arch9wavefront6targetE1EEEvSM_
    .private_segment_fixed_size: 0
    .sgpr_count:     6
    .sgpr_spill_count: 0
    .symbol:         _ZN7rocprim17ROCPRIM_400000_NS6detail17trampoline_kernelINS0_14default_configENS1_38merge_sort_block_merge_config_selectorIlNS0_10empty_typeEEEZZNS1_27merge_sort_block_merge_implIS3_PlPS5_mZN2at6native12_GLOBAL__N_124unique_dim_cuda_templateImEESt5tupleIJNSA_6TensorESF_SF_EERKSF_lbbbEUlllE_EE10hipError_tT0_T1_T2_jT3_P12ihipStream_tbPNSt15iterator_traitsISL_E10value_typeEPNSR_ISM_E10value_typeEPSN_NS1_7vsmem_tEENKUlT_SL_SM_SN_E_clIS8_S8_S9_S9_EESK_S10_SL_SM_SN_EUlS10_E_NS1_11comp_targetILNS1_3genE10ELNS1_11target_archE1201ELNS1_3gpuE5ELNS1_3repE0EEENS1_48merge_mergepath_partition_config_static_selectorELNS0_4arch9wavefront6targetE1EEEvSM_.kd
    .uniform_work_group_size: 1
    .uses_dynamic_stack: false
    .vgpr_count:     0
    .vgpr_spill_count: 0
    .wavefront_size: 64
  - .agpr_count:     0
    .args:
      - .offset:         0
        .size:           56
        .value_kind:     by_value
    .group_segment_fixed_size: 0
    .kernarg_segment_align: 8
    .kernarg_segment_size: 56
    .language:       OpenCL C
    .language_version:
      - 2
      - 0
    .max_flat_workgroup_size: 128
    .name:           _ZN7rocprim17ROCPRIM_400000_NS6detail17trampoline_kernelINS0_14default_configENS1_38merge_sort_block_merge_config_selectorIlNS0_10empty_typeEEEZZNS1_27merge_sort_block_merge_implIS3_PlPS5_mZN2at6native12_GLOBAL__N_124unique_dim_cuda_templateImEESt5tupleIJNSA_6TensorESF_SF_EERKSF_lbbbEUlllE_EE10hipError_tT0_T1_T2_jT3_P12ihipStream_tbPNSt15iterator_traitsISL_E10value_typeEPNSR_ISM_E10value_typeEPSN_NS1_7vsmem_tEENKUlT_SL_SM_SN_E_clIS8_S8_S9_S9_EESK_S10_SL_SM_SN_EUlS10_E_NS1_11comp_targetILNS1_3genE5ELNS1_11target_archE942ELNS1_3gpuE9ELNS1_3repE0EEENS1_48merge_mergepath_partition_config_static_selectorELNS0_4arch9wavefront6targetE1EEEvSM_
    .private_segment_fixed_size: 0
    .sgpr_count:     42
    .sgpr_spill_count: 0
    .symbol:         _ZN7rocprim17ROCPRIM_400000_NS6detail17trampoline_kernelINS0_14default_configENS1_38merge_sort_block_merge_config_selectorIlNS0_10empty_typeEEEZZNS1_27merge_sort_block_merge_implIS3_PlPS5_mZN2at6native12_GLOBAL__N_124unique_dim_cuda_templateImEESt5tupleIJNSA_6TensorESF_SF_EERKSF_lbbbEUlllE_EE10hipError_tT0_T1_T2_jT3_P12ihipStream_tbPNSt15iterator_traitsISL_E10value_typeEPNSR_ISM_E10value_typeEPSN_NS1_7vsmem_tEENKUlT_SL_SM_SN_E_clIS8_S8_S9_S9_EESK_S10_SL_SM_SN_EUlS10_E_NS1_11comp_targetILNS1_3genE5ELNS1_11target_archE942ELNS1_3gpuE9ELNS1_3repE0EEENS1_48merge_mergepath_partition_config_static_selectorELNS0_4arch9wavefront6targetE1EEEvSM_.kd
    .uniform_work_group_size: 1
    .uses_dynamic_stack: false
    .vgpr_count:     23
    .vgpr_spill_count: 0
    .wavefront_size: 64
  - .agpr_count:     0
    .args:
      - .offset:         0
        .size:           56
        .value_kind:     by_value
    .group_segment_fixed_size: 0
    .kernarg_segment_align: 8
    .kernarg_segment_size: 56
    .language:       OpenCL C
    .language_version:
      - 2
      - 0
    .max_flat_workgroup_size: 128
    .name:           _ZN7rocprim17ROCPRIM_400000_NS6detail17trampoline_kernelINS0_14default_configENS1_38merge_sort_block_merge_config_selectorIlNS0_10empty_typeEEEZZNS1_27merge_sort_block_merge_implIS3_PlPS5_mZN2at6native12_GLOBAL__N_124unique_dim_cuda_templateImEESt5tupleIJNSA_6TensorESF_SF_EERKSF_lbbbEUlllE_EE10hipError_tT0_T1_T2_jT3_P12ihipStream_tbPNSt15iterator_traitsISL_E10value_typeEPNSR_ISM_E10value_typeEPSN_NS1_7vsmem_tEENKUlT_SL_SM_SN_E_clIS8_S8_S9_S9_EESK_S10_SL_SM_SN_EUlS10_E_NS1_11comp_targetILNS1_3genE4ELNS1_11target_archE910ELNS1_3gpuE8ELNS1_3repE0EEENS1_48merge_mergepath_partition_config_static_selectorELNS0_4arch9wavefront6targetE1EEEvSM_
    .private_segment_fixed_size: 0
    .sgpr_count:     6
    .sgpr_spill_count: 0
    .symbol:         _ZN7rocprim17ROCPRIM_400000_NS6detail17trampoline_kernelINS0_14default_configENS1_38merge_sort_block_merge_config_selectorIlNS0_10empty_typeEEEZZNS1_27merge_sort_block_merge_implIS3_PlPS5_mZN2at6native12_GLOBAL__N_124unique_dim_cuda_templateImEESt5tupleIJNSA_6TensorESF_SF_EERKSF_lbbbEUlllE_EE10hipError_tT0_T1_T2_jT3_P12ihipStream_tbPNSt15iterator_traitsISL_E10value_typeEPNSR_ISM_E10value_typeEPSN_NS1_7vsmem_tEENKUlT_SL_SM_SN_E_clIS8_S8_S9_S9_EESK_S10_SL_SM_SN_EUlS10_E_NS1_11comp_targetILNS1_3genE4ELNS1_11target_archE910ELNS1_3gpuE8ELNS1_3repE0EEENS1_48merge_mergepath_partition_config_static_selectorELNS0_4arch9wavefront6targetE1EEEvSM_.kd
    .uniform_work_group_size: 1
    .uses_dynamic_stack: false
    .vgpr_count:     0
    .vgpr_spill_count: 0
    .wavefront_size: 64
  - .agpr_count:     0
    .args:
      - .offset:         0
        .size:           56
        .value_kind:     by_value
    .group_segment_fixed_size: 0
    .kernarg_segment_align: 8
    .kernarg_segment_size: 56
    .language:       OpenCL C
    .language_version:
      - 2
      - 0
    .max_flat_workgroup_size: 128
    .name:           _ZN7rocprim17ROCPRIM_400000_NS6detail17trampoline_kernelINS0_14default_configENS1_38merge_sort_block_merge_config_selectorIlNS0_10empty_typeEEEZZNS1_27merge_sort_block_merge_implIS3_PlPS5_mZN2at6native12_GLOBAL__N_124unique_dim_cuda_templateImEESt5tupleIJNSA_6TensorESF_SF_EERKSF_lbbbEUlllE_EE10hipError_tT0_T1_T2_jT3_P12ihipStream_tbPNSt15iterator_traitsISL_E10value_typeEPNSR_ISM_E10value_typeEPSN_NS1_7vsmem_tEENKUlT_SL_SM_SN_E_clIS8_S8_S9_S9_EESK_S10_SL_SM_SN_EUlS10_E_NS1_11comp_targetILNS1_3genE3ELNS1_11target_archE908ELNS1_3gpuE7ELNS1_3repE0EEENS1_48merge_mergepath_partition_config_static_selectorELNS0_4arch9wavefront6targetE1EEEvSM_
    .private_segment_fixed_size: 0
    .sgpr_count:     6
    .sgpr_spill_count: 0
    .symbol:         _ZN7rocprim17ROCPRIM_400000_NS6detail17trampoline_kernelINS0_14default_configENS1_38merge_sort_block_merge_config_selectorIlNS0_10empty_typeEEEZZNS1_27merge_sort_block_merge_implIS3_PlPS5_mZN2at6native12_GLOBAL__N_124unique_dim_cuda_templateImEESt5tupleIJNSA_6TensorESF_SF_EERKSF_lbbbEUlllE_EE10hipError_tT0_T1_T2_jT3_P12ihipStream_tbPNSt15iterator_traitsISL_E10value_typeEPNSR_ISM_E10value_typeEPSN_NS1_7vsmem_tEENKUlT_SL_SM_SN_E_clIS8_S8_S9_S9_EESK_S10_SL_SM_SN_EUlS10_E_NS1_11comp_targetILNS1_3genE3ELNS1_11target_archE908ELNS1_3gpuE7ELNS1_3repE0EEENS1_48merge_mergepath_partition_config_static_selectorELNS0_4arch9wavefront6targetE1EEEvSM_.kd
    .uniform_work_group_size: 1
    .uses_dynamic_stack: false
    .vgpr_count:     0
    .vgpr_spill_count: 0
    .wavefront_size: 64
  - .agpr_count:     0
    .args:
      - .offset:         0
        .size:           56
        .value_kind:     by_value
    .group_segment_fixed_size: 0
    .kernarg_segment_align: 8
    .kernarg_segment_size: 56
    .language:       OpenCL C
    .language_version:
      - 2
      - 0
    .max_flat_workgroup_size: 128
    .name:           _ZN7rocprim17ROCPRIM_400000_NS6detail17trampoline_kernelINS0_14default_configENS1_38merge_sort_block_merge_config_selectorIlNS0_10empty_typeEEEZZNS1_27merge_sort_block_merge_implIS3_PlPS5_mZN2at6native12_GLOBAL__N_124unique_dim_cuda_templateImEESt5tupleIJNSA_6TensorESF_SF_EERKSF_lbbbEUlllE_EE10hipError_tT0_T1_T2_jT3_P12ihipStream_tbPNSt15iterator_traitsISL_E10value_typeEPNSR_ISM_E10value_typeEPSN_NS1_7vsmem_tEENKUlT_SL_SM_SN_E_clIS8_S8_S9_S9_EESK_S10_SL_SM_SN_EUlS10_E_NS1_11comp_targetILNS1_3genE2ELNS1_11target_archE906ELNS1_3gpuE6ELNS1_3repE0EEENS1_48merge_mergepath_partition_config_static_selectorELNS0_4arch9wavefront6targetE1EEEvSM_
    .private_segment_fixed_size: 0
    .sgpr_count:     6
    .sgpr_spill_count: 0
    .symbol:         _ZN7rocprim17ROCPRIM_400000_NS6detail17trampoline_kernelINS0_14default_configENS1_38merge_sort_block_merge_config_selectorIlNS0_10empty_typeEEEZZNS1_27merge_sort_block_merge_implIS3_PlPS5_mZN2at6native12_GLOBAL__N_124unique_dim_cuda_templateImEESt5tupleIJNSA_6TensorESF_SF_EERKSF_lbbbEUlllE_EE10hipError_tT0_T1_T2_jT3_P12ihipStream_tbPNSt15iterator_traitsISL_E10value_typeEPNSR_ISM_E10value_typeEPSN_NS1_7vsmem_tEENKUlT_SL_SM_SN_E_clIS8_S8_S9_S9_EESK_S10_SL_SM_SN_EUlS10_E_NS1_11comp_targetILNS1_3genE2ELNS1_11target_archE906ELNS1_3gpuE6ELNS1_3repE0EEENS1_48merge_mergepath_partition_config_static_selectorELNS0_4arch9wavefront6targetE1EEEvSM_.kd
    .uniform_work_group_size: 1
    .uses_dynamic_stack: false
    .vgpr_count:     0
    .vgpr_spill_count: 0
    .wavefront_size: 64
  - .agpr_count:     0
    .args:
      - .offset:         0
        .size:           56
        .value_kind:     by_value
    .group_segment_fixed_size: 0
    .kernarg_segment_align: 8
    .kernarg_segment_size: 56
    .language:       OpenCL C
    .language_version:
      - 2
      - 0
    .max_flat_workgroup_size: 128
    .name:           _ZN7rocprim17ROCPRIM_400000_NS6detail17trampoline_kernelINS0_14default_configENS1_38merge_sort_block_merge_config_selectorIlNS0_10empty_typeEEEZZNS1_27merge_sort_block_merge_implIS3_PlPS5_mZN2at6native12_GLOBAL__N_124unique_dim_cuda_templateImEESt5tupleIJNSA_6TensorESF_SF_EERKSF_lbbbEUlllE_EE10hipError_tT0_T1_T2_jT3_P12ihipStream_tbPNSt15iterator_traitsISL_E10value_typeEPNSR_ISM_E10value_typeEPSN_NS1_7vsmem_tEENKUlT_SL_SM_SN_E_clIS8_S8_S9_S9_EESK_S10_SL_SM_SN_EUlS10_E_NS1_11comp_targetILNS1_3genE9ELNS1_11target_archE1100ELNS1_3gpuE3ELNS1_3repE0EEENS1_48merge_mergepath_partition_config_static_selectorELNS0_4arch9wavefront6targetE1EEEvSM_
    .private_segment_fixed_size: 0
    .sgpr_count:     6
    .sgpr_spill_count: 0
    .symbol:         _ZN7rocprim17ROCPRIM_400000_NS6detail17trampoline_kernelINS0_14default_configENS1_38merge_sort_block_merge_config_selectorIlNS0_10empty_typeEEEZZNS1_27merge_sort_block_merge_implIS3_PlPS5_mZN2at6native12_GLOBAL__N_124unique_dim_cuda_templateImEESt5tupleIJNSA_6TensorESF_SF_EERKSF_lbbbEUlllE_EE10hipError_tT0_T1_T2_jT3_P12ihipStream_tbPNSt15iterator_traitsISL_E10value_typeEPNSR_ISM_E10value_typeEPSN_NS1_7vsmem_tEENKUlT_SL_SM_SN_E_clIS8_S8_S9_S9_EESK_S10_SL_SM_SN_EUlS10_E_NS1_11comp_targetILNS1_3genE9ELNS1_11target_archE1100ELNS1_3gpuE3ELNS1_3repE0EEENS1_48merge_mergepath_partition_config_static_selectorELNS0_4arch9wavefront6targetE1EEEvSM_.kd
    .uniform_work_group_size: 1
    .uses_dynamic_stack: false
    .vgpr_count:     0
    .vgpr_spill_count: 0
    .wavefront_size: 64
  - .agpr_count:     0
    .args:
      - .offset:         0
        .size:           56
        .value_kind:     by_value
    .group_segment_fixed_size: 0
    .kernarg_segment_align: 8
    .kernarg_segment_size: 56
    .language:       OpenCL C
    .language_version:
      - 2
      - 0
    .max_flat_workgroup_size: 128
    .name:           _ZN7rocprim17ROCPRIM_400000_NS6detail17trampoline_kernelINS0_14default_configENS1_38merge_sort_block_merge_config_selectorIlNS0_10empty_typeEEEZZNS1_27merge_sort_block_merge_implIS3_PlPS5_mZN2at6native12_GLOBAL__N_124unique_dim_cuda_templateImEESt5tupleIJNSA_6TensorESF_SF_EERKSF_lbbbEUlllE_EE10hipError_tT0_T1_T2_jT3_P12ihipStream_tbPNSt15iterator_traitsISL_E10value_typeEPNSR_ISM_E10value_typeEPSN_NS1_7vsmem_tEENKUlT_SL_SM_SN_E_clIS8_S8_S9_S9_EESK_S10_SL_SM_SN_EUlS10_E_NS1_11comp_targetILNS1_3genE8ELNS1_11target_archE1030ELNS1_3gpuE2ELNS1_3repE0EEENS1_48merge_mergepath_partition_config_static_selectorELNS0_4arch9wavefront6targetE1EEEvSM_
    .private_segment_fixed_size: 0
    .sgpr_count:     6
    .sgpr_spill_count: 0
    .symbol:         _ZN7rocprim17ROCPRIM_400000_NS6detail17trampoline_kernelINS0_14default_configENS1_38merge_sort_block_merge_config_selectorIlNS0_10empty_typeEEEZZNS1_27merge_sort_block_merge_implIS3_PlPS5_mZN2at6native12_GLOBAL__N_124unique_dim_cuda_templateImEESt5tupleIJNSA_6TensorESF_SF_EERKSF_lbbbEUlllE_EE10hipError_tT0_T1_T2_jT3_P12ihipStream_tbPNSt15iterator_traitsISL_E10value_typeEPNSR_ISM_E10value_typeEPSN_NS1_7vsmem_tEENKUlT_SL_SM_SN_E_clIS8_S8_S9_S9_EESK_S10_SL_SM_SN_EUlS10_E_NS1_11comp_targetILNS1_3genE8ELNS1_11target_archE1030ELNS1_3gpuE2ELNS1_3repE0EEENS1_48merge_mergepath_partition_config_static_selectorELNS0_4arch9wavefront6targetE1EEEvSM_.kd
    .uniform_work_group_size: 1
    .uses_dynamic_stack: false
    .vgpr_count:     0
    .vgpr_spill_count: 0
    .wavefront_size: 64
  - .agpr_count:     0
    .args:
      - .offset:         0
        .size:           88
        .value_kind:     by_value
    .group_segment_fixed_size: 0
    .kernarg_segment_align: 8
    .kernarg_segment_size: 88
    .language:       OpenCL C
    .language_version:
      - 2
      - 0
    .max_flat_workgroup_size: 128
    .name:           _ZN7rocprim17ROCPRIM_400000_NS6detail17trampoline_kernelINS0_14default_configENS1_38merge_sort_block_merge_config_selectorIlNS0_10empty_typeEEEZZNS1_27merge_sort_block_merge_implIS3_PlPS5_mZN2at6native12_GLOBAL__N_124unique_dim_cuda_templateImEESt5tupleIJNSA_6TensorESF_SF_EERKSF_lbbbEUlllE_EE10hipError_tT0_T1_T2_jT3_P12ihipStream_tbPNSt15iterator_traitsISL_E10value_typeEPNSR_ISM_E10value_typeEPSN_NS1_7vsmem_tEENKUlT_SL_SM_SN_E_clIS8_S8_S9_S9_EESK_S10_SL_SM_SN_EUlS10_E0_NS1_11comp_targetILNS1_3genE0ELNS1_11target_archE4294967295ELNS1_3gpuE0ELNS1_3repE0EEENS1_38merge_mergepath_config_static_selectorELNS0_4arch9wavefront6targetE1EEEvSM_
    .private_segment_fixed_size: 0
    .sgpr_count:     6
    .sgpr_spill_count: 0
    .symbol:         _ZN7rocprim17ROCPRIM_400000_NS6detail17trampoline_kernelINS0_14default_configENS1_38merge_sort_block_merge_config_selectorIlNS0_10empty_typeEEEZZNS1_27merge_sort_block_merge_implIS3_PlPS5_mZN2at6native12_GLOBAL__N_124unique_dim_cuda_templateImEESt5tupleIJNSA_6TensorESF_SF_EERKSF_lbbbEUlllE_EE10hipError_tT0_T1_T2_jT3_P12ihipStream_tbPNSt15iterator_traitsISL_E10value_typeEPNSR_ISM_E10value_typeEPSN_NS1_7vsmem_tEENKUlT_SL_SM_SN_E_clIS8_S8_S9_S9_EESK_S10_SL_SM_SN_EUlS10_E0_NS1_11comp_targetILNS1_3genE0ELNS1_11target_archE4294967295ELNS1_3gpuE0ELNS1_3repE0EEENS1_38merge_mergepath_config_static_selectorELNS0_4arch9wavefront6targetE1EEEvSM_.kd
    .uniform_work_group_size: 1
    .uses_dynamic_stack: false
    .vgpr_count:     0
    .vgpr_spill_count: 0
    .wavefront_size: 64
  - .agpr_count:     0
    .args:
      - .offset:         0
        .size:           88
        .value_kind:     by_value
    .group_segment_fixed_size: 0
    .kernarg_segment_align: 8
    .kernarg_segment_size: 88
    .language:       OpenCL C
    .language_version:
      - 2
      - 0
    .max_flat_workgroup_size: 512
    .name:           _ZN7rocprim17ROCPRIM_400000_NS6detail17trampoline_kernelINS0_14default_configENS1_38merge_sort_block_merge_config_selectorIlNS0_10empty_typeEEEZZNS1_27merge_sort_block_merge_implIS3_PlPS5_mZN2at6native12_GLOBAL__N_124unique_dim_cuda_templateImEESt5tupleIJNSA_6TensorESF_SF_EERKSF_lbbbEUlllE_EE10hipError_tT0_T1_T2_jT3_P12ihipStream_tbPNSt15iterator_traitsISL_E10value_typeEPNSR_ISM_E10value_typeEPSN_NS1_7vsmem_tEENKUlT_SL_SM_SN_E_clIS8_S8_S9_S9_EESK_S10_SL_SM_SN_EUlS10_E0_NS1_11comp_targetILNS1_3genE10ELNS1_11target_archE1201ELNS1_3gpuE5ELNS1_3repE0EEENS1_38merge_mergepath_config_static_selectorELNS0_4arch9wavefront6targetE1EEEvSM_
    .private_segment_fixed_size: 0
    .sgpr_count:     6
    .sgpr_spill_count: 0
    .symbol:         _ZN7rocprim17ROCPRIM_400000_NS6detail17trampoline_kernelINS0_14default_configENS1_38merge_sort_block_merge_config_selectorIlNS0_10empty_typeEEEZZNS1_27merge_sort_block_merge_implIS3_PlPS5_mZN2at6native12_GLOBAL__N_124unique_dim_cuda_templateImEESt5tupleIJNSA_6TensorESF_SF_EERKSF_lbbbEUlllE_EE10hipError_tT0_T1_T2_jT3_P12ihipStream_tbPNSt15iterator_traitsISL_E10value_typeEPNSR_ISM_E10value_typeEPSN_NS1_7vsmem_tEENKUlT_SL_SM_SN_E_clIS8_S8_S9_S9_EESK_S10_SL_SM_SN_EUlS10_E0_NS1_11comp_targetILNS1_3genE10ELNS1_11target_archE1201ELNS1_3gpuE5ELNS1_3repE0EEENS1_38merge_mergepath_config_static_selectorELNS0_4arch9wavefront6targetE1EEEvSM_.kd
    .uniform_work_group_size: 1
    .uses_dynamic_stack: false
    .vgpr_count:     0
    .vgpr_spill_count: 0
    .wavefront_size: 64
  - .agpr_count:     0
    .args:
      - .offset:         0
        .size:           88
        .value_kind:     by_value
      - .offset:         88
        .size:           4
        .value_kind:     hidden_block_count_x
      - .offset:         92
        .size:           4
        .value_kind:     hidden_block_count_y
      - .offset:         96
        .size:           4
        .value_kind:     hidden_block_count_z
      - .offset:         100
        .size:           2
        .value_kind:     hidden_group_size_x
      - .offset:         102
        .size:           2
        .value_kind:     hidden_group_size_y
      - .offset:         104
        .size:           2
        .value_kind:     hidden_group_size_z
      - .offset:         106
        .size:           2
        .value_kind:     hidden_remainder_x
      - .offset:         108
        .size:           2
        .value_kind:     hidden_remainder_y
      - .offset:         110
        .size:           2
        .value_kind:     hidden_remainder_z
      - .offset:         128
        .size:           8
        .value_kind:     hidden_global_offset_x
      - .offset:         136
        .size:           8
        .value_kind:     hidden_global_offset_y
      - .offset:         144
        .size:           8
        .value_kind:     hidden_global_offset_z
      - .offset:         152
        .size:           2
        .value_kind:     hidden_grid_dims
    .group_segment_fixed_size: 8448
    .kernarg_segment_align: 8
    .kernarg_segment_size: 344
    .language:       OpenCL C
    .language_version:
      - 2
      - 0
    .max_flat_workgroup_size: 128
    .name:           _ZN7rocprim17ROCPRIM_400000_NS6detail17trampoline_kernelINS0_14default_configENS1_38merge_sort_block_merge_config_selectorIlNS0_10empty_typeEEEZZNS1_27merge_sort_block_merge_implIS3_PlPS5_mZN2at6native12_GLOBAL__N_124unique_dim_cuda_templateImEESt5tupleIJNSA_6TensorESF_SF_EERKSF_lbbbEUlllE_EE10hipError_tT0_T1_T2_jT3_P12ihipStream_tbPNSt15iterator_traitsISL_E10value_typeEPNSR_ISM_E10value_typeEPSN_NS1_7vsmem_tEENKUlT_SL_SM_SN_E_clIS8_S8_S9_S9_EESK_S10_SL_SM_SN_EUlS10_E0_NS1_11comp_targetILNS1_3genE5ELNS1_11target_archE942ELNS1_3gpuE9ELNS1_3repE0EEENS1_38merge_mergepath_config_static_selectorELNS0_4arch9wavefront6targetE1EEEvSM_
    .private_segment_fixed_size: 0
    .sgpr_count:     60
    .sgpr_spill_count: 0
    .symbol:         _ZN7rocprim17ROCPRIM_400000_NS6detail17trampoline_kernelINS0_14default_configENS1_38merge_sort_block_merge_config_selectorIlNS0_10empty_typeEEEZZNS1_27merge_sort_block_merge_implIS3_PlPS5_mZN2at6native12_GLOBAL__N_124unique_dim_cuda_templateImEESt5tupleIJNSA_6TensorESF_SF_EERKSF_lbbbEUlllE_EE10hipError_tT0_T1_T2_jT3_P12ihipStream_tbPNSt15iterator_traitsISL_E10value_typeEPNSR_ISM_E10value_typeEPSN_NS1_7vsmem_tEENKUlT_SL_SM_SN_E_clIS8_S8_S9_S9_EESK_S10_SL_SM_SN_EUlS10_E0_NS1_11comp_targetILNS1_3genE5ELNS1_11target_archE942ELNS1_3gpuE9ELNS1_3repE0EEENS1_38merge_mergepath_config_static_selectorELNS0_4arch9wavefront6targetE1EEEvSM_.kd
    .uniform_work_group_size: 1
    .uses_dynamic_stack: false
    .vgpr_count:     42
    .vgpr_spill_count: 0
    .wavefront_size: 64
  - .agpr_count:     0
    .args:
      - .offset:         0
        .size:           88
        .value_kind:     by_value
    .group_segment_fixed_size: 0
    .kernarg_segment_align: 8
    .kernarg_segment_size: 88
    .language:       OpenCL C
    .language_version:
      - 2
      - 0
    .max_flat_workgroup_size: 256
    .name:           _ZN7rocprim17ROCPRIM_400000_NS6detail17trampoline_kernelINS0_14default_configENS1_38merge_sort_block_merge_config_selectorIlNS0_10empty_typeEEEZZNS1_27merge_sort_block_merge_implIS3_PlPS5_mZN2at6native12_GLOBAL__N_124unique_dim_cuda_templateImEESt5tupleIJNSA_6TensorESF_SF_EERKSF_lbbbEUlllE_EE10hipError_tT0_T1_T2_jT3_P12ihipStream_tbPNSt15iterator_traitsISL_E10value_typeEPNSR_ISM_E10value_typeEPSN_NS1_7vsmem_tEENKUlT_SL_SM_SN_E_clIS8_S8_S9_S9_EESK_S10_SL_SM_SN_EUlS10_E0_NS1_11comp_targetILNS1_3genE4ELNS1_11target_archE910ELNS1_3gpuE8ELNS1_3repE0EEENS1_38merge_mergepath_config_static_selectorELNS0_4arch9wavefront6targetE1EEEvSM_
    .private_segment_fixed_size: 0
    .sgpr_count:     6
    .sgpr_spill_count: 0
    .symbol:         _ZN7rocprim17ROCPRIM_400000_NS6detail17trampoline_kernelINS0_14default_configENS1_38merge_sort_block_merge_config_selectorIlNS0_10empty_typeEEEZZNS1_27merge_sort_block_merge_implIS3_PlPS5_mZN2at6native12_GLOBAL__N_124unique_dim_cuda_templateImEESt5tupleIJNSA_6TensorESF_SF_EERKSF_lbbbEUlllE_EE10hipError_tT0_T1_T2_jT3_P12ihipStream_tbPNSt15iterator_traitsISL_E10value_typeEPNSR_ISM_E10value_typeEPSN_NS1_7vsmem_tEENKUlT_SL_SM_SN_E_clIS8_S8_S9_S9_EESK_S10_SL_SM_SN_EUlS10_E0_NS1_11comp_targetILNS1_3genE4ELNS1_11target_archE910ELNS1_3gpuE8ELNS1_3repE0EEENS1_38merge_mergepath_config_static_selectorELNS0_4arch9wavefront6targetE1EEEvSM_.kd
    .uniform_work_group_size: 1
    .uses_dynamic_stack: false
    .vgpr_count:     0
    .vgpr_spill_count: 0
    .wavefront_size: 64
  - .agpr_count:     0
    .args:
      - .offset:         0
        .size:           88
        .value_kind:     by_value
    .group_segment_fixed_size: 0
    .kernarg_segment_align: 8
    .kernarg_segment_size: 88
    .language:       OpenCL C
    .language_version:
      - 2
      - 0
    .max_flat_workgroup_size: 128
    .name:           _ZN7rocprim17ROCPRIM_400000_NS6detail17trampoline_kernelINS0_14default_configENS1_38merge_sort_block_merge_config_selectorIlNS0_10empty_typeEEEZZNS1_27merge_sort_block_merge_implIS3_PlPS5_mZN2at6native12_GLOBAL__N_124unique_dim_cuda_templateImEESt5tupleIJNSA_6TensorESF_SF_EERKSF_lbbbEUlllE_EE10hipError_tT0_T1_T2_jT3_P12ihipStream_tbPNSt15iterator_traitsISL_E10value_typeEPNSR_ISM_E10value_typeEPSN_NS1_7vsmem_tEENKUlT_SL_SM_SN_E_clIS8_S8_S9_S9_EESK_S10_SL_SM_SN_EUlS10_E0_NS1_11comp_targetILNS1_3genE3ELNS1_11target_archE908ELNS1_3gpuE7ELNS1_3repE0EEENS1_38merge_mergepath_config_static_selectorELNS0_4arch9wavefront6targetE1EEEvSM_
    .private_segment_fixed_size: 0
    .sgpr_count:     6
    .sgpr_spill_count: 0
    .symbol:         _ZN7rocprim17ROCPRIM_400000_NS6detail17trampoline_kernelINS0_14default_configENS1_38merge_sort_block_merge_config_selectorIlNS0_10empty_typeEEEZZNS1_27merge_sort_block_merge_implIS3_PlPS5_mZN2at6native12_GLOBAL__N_124unique_dim_cuda_templateImEESt5tupleIJNSA_6TensorESF_SF_EERKSF_lbbbEUlllE_EE10hipError_tT0_T1_T2_jT3_P12ihipStream_tbPNSt15iterator_traitsISL_E10value_typeEPNSR_ISM_E10value_typeEPSN_NS1_7vsmem_tEENKUlT_SL_SM_SN_E_clIS8_S8_S9_S9_EESK_S10_SL_SM_SN_EUlS10_E0_NS1_11comp_targetILNS1_3genE3ELNS1_11target_archE908ELNS1_3gpuE7ELNS1_3repE0EEENS1_38merge_mergepath_config_static_selectorELNS0_4arch9wavefront6targetE1EEEvSM_.kd
    .uniform_work_group_size: 1
    .uses_dynamic_stack: false
    .vgpr_count:     0
    .vgpr_spill_count: 0
    .wavefront_size: 64
  - .agpr_count:     0
    .args:
      - .offset:         0
        .size:           88
        .value_kind:     by_value
    .group_segment_fixed_size: 0
    .kernarg_segment_align: 8
    .kernarg_segment_size: 88
    .language:       OpenCL C
    .language_version:
      - 2
      - 0
    .max_flat_workgroup_size: 256
    .name:           _ZN7rocprim17ROCPRIM_400000_NS6detail17trampoline_kernelINS0_14default_configENS1_38merge_sort_block_merge_config_selectorIlNS0_10empty_typeEEEZZNS1_27merge_sort_block_merge_implIS3_PlPS5_mZN2at6native12_GLOBAL__N_124unique_dim_cuda_templateImEESt5tupleIJNSA_6TensorESF_SF_EERKSF_lbbbEUlllE_EE10hipError_tT0_T1_T2_jT3_P12ihipStream_tbPNSt15iterator_traitsISL_E10value_typeEPNSR_ISM_E10value_typeEPSN_NS1_7vsmem_tEENKUlT_SL_SM_SN_E_clIS8_S8_S9_S9_EESK_S10_SL_SM_SN_EUlS10_E0_NS1_11comp_targetILNS1_3genE2ELNS1_11target_archE906ELNS1_3gpuE6ELNS1_3repE0EEENS1_38merge_mergepath_config_static_selectorELNS0_4arch9wavefront6targetE1EEEvSM_
    .private_segment_fixed_size: 0
    .sgpr_count:     6
    .sgpr_spill_count: 0
    .symbol:         _ZN7rocprim17ROCPRIM_400000_NS6detail17trampoline_kernelINS0_14default_configENS1_38merge_sort_block_merge_config_selectorIlNS0_10empty_typeEEEZZNS1_27merge_sort_block_merge_implIS3_PlPS5_mZN2at6native12_GLOBAL__N_124unique_dim_cuda_templateImEESt5tupleIJNSA_6TensorESF_SF_EERKSF_lbbbEUlllE_EE10hipError_tT0_T1_T2_jT3_P12ihipStream_tbPNSt15iterator_traitsISL_E10value_typeEPNSR_ISM_E10value_typeEPSN_NS1_7vsmem_tEENKUlT_SL_SM_SN_E_clIS8_S8_S9_S9_EESK_S10_SL_SM_SN_EUlS10_E0_NS1_11comp_targetILNS1_3genE2ELNS1_11target_archE906ELNS1_3gpuE6ELNS1_3repE0EEENS1_38merge_mergepath_config_static_selectorELNS0_4arch9wavefront6targetE1EEEvSM_.kd
    .uniform_work_group_size: 1
    .uses_dynamic_stack: false
    .vgpr_count:     0
    .vgpr_spill_count: 0
    .wavefront_size: 64
  - .agpr_count:     0
    .args:
      - .offset:         0
        .size:           88
        .value_kind:     by_value
    .group_segment_fixed_size: 0
    .kernarg_segment_align: 8
    .kernarg_segment_size: 88
    .language:       OpenCL C
    .language_version:
      - 2
      - 0
    .max_flat_workgroup_size: 512
    .name:           _ZN7rocprim17ROCPRIM_400000_NS6detail17trampoline_kernelINS0_14default_configENS1_38merge_sort_block_merge_config_selectorIlNS0_10empty_typeEEEZZNS1_27merge_sort_block_merge_implIS3_PlPS5_mZN2at6native12_GLOBAL__N_124unique_dim_cuda_templateImEESt5tupleIJNSA_6TensorESF_SF_EERKSF_lbbbEUlllE_EE10hipError_tT0_T1_T2_jT3_P12ihipStream_tbPNSt15iterator_traitsISL_E10value_typeEPNSR_ISM_E10value_typeEPSN_NS1_7vsmem_tEENKUlT_SL_SM_SN_E_clIS8_S8_S9_S9_EESK_S10_SL_SM_SN_EUlS10_E0_NS1_11comp_targetILNS1_3genE9ELNS1_11target_archE1100ELNS1_3gpuE3ELNS1_3repE0EEENS1_38merge_mergepath_config_static_selectorELNS0_4arch9wavefront6targetE1EEEvSM_
    .private_segment_fixed_size: 0
    .sgpr_count:     6
    .sgpr_spill_count: 0
    .symbol:         _ZN7rocprim17ROCPRIM_400000_NS6detail17trampoline_kernelINS0_14default_configENS1_38merge_sort_block_merge_config_selectorIlNS0_10empty_typeEEEZZNS1_27merge_sort_block_merge_implIS3_PlPS5_mZN2at6native12_GLOBAL__N_124unique_dim_cuda_templateImEESt5tupleIJNSA_6TensorESF_SF_EERKSF_lbbbEUlllE_EE10hipError_tT0_T1_T2_jT3_P12ihipStream_tbPNSt15iterator_traitsISL_E10value_typeEPNSR_ISM_E10value_typeEPSN_NS1_7vsmem_tEENKUlT_SL_SM_SN_E_clIS8_S8_S9_S9_EESK_S10_SL_SM_SN_EUlS10_E0_NS1_11comp_targetILNS1_3genE9ELNS1_11target_archE1100ELNS1_3gpuE3ELNS1_3repE0EEENS1_38merge_mergepath_config_static_selectorELNS0_4arch9wavefront6targetE1EEEvSM_.kd
    .uniform_work_group_size: 1
    .uses_dynamic_stack: false
    .vgpr_count:     0
    .vgpr_spill_count: 0
    .wavefront_size: 64
  - .agpr_count:     0
    .args:
      - .offset:         0
        .size:           88
        .value_kind:     by_value
    .group_segment_fixed_size: 0
    .kernarg_segment_align: 8
    .kernarg_segment_size: 88
    .language:       OpenCL C
    .language_version:
      - 2
      - 0
    .max_flat_workgroup_size: 1024
    .name:           _ZN7rocprim17ROCPRIM_400000_NS6detail17trampoline_kernelINS0_14default_configENS1_38merge_sort_block_merge_config_selectorIlNS0_10empty_typeEEEZZNS1_27merge_sort_block_merge_implIS3_PlPS5_mZN2at6native12_GLOBAL__N_124unique_dim_cuda_templateImEESt5tupleIJNSA_6TensorESF_SF_EERKSF_lbbbEUlllE_EE10hipError_tT0_T1_T2_jT3_P12ihipStream_tbPNSt15iterator_traitsISL_E10value_typeEPNSR_ISM_E10value_typeEPSN_NS1_7vsmem_tEENKUlT_SL_SM_SN_E_clIS8_S8_S9_S9_EESK_S10_SL_SM_SN_EUlS10_E0_NS1_11comp_targetILNS1_3genE8ELNS1_11target_archE1030ELNS1_3gpuE2ELNS1_3repE0EEENS1_38merge_mergepath_config_static_selectorELNS0_4arch9wavefront6targetE1EEEvSM_
    .private_segment_fixed_size: 0
    .sgpr_count:     6
    .sgpr_spill_count: 0
    .symbol:         _ZN7rocprim17ROCPRIM_400000_NS6detail17trampoline_kernelINS0_14default_configENS1_38merge_sort_block_merge_config_selectorIlNS0_10empty_typeEEEZZNS1_27merge_sort_block_merge_implIS3_PlPS5_mZN2at6native12_GLOBAL__N_124unique_dim_cuda_templateImEESt5tupleIJNSA_6TensorESF_SF_EERKSF_lbbbEUlllE_EE10hipError_tT0_T1_T2_jT3_P12ihipStream_tbPNSt15iterator_traitsISL_E10value_typeEPNSR_ISM_E10value_typeEPSN_NS1_7vsmem_tEENKUlT_SL_SM_SN_E_clIS8_S8_S9_S9_EESK_S10_SL_SM_SN_EUlS10_E0_NS1_11comp_targetILNS1_3genE8ELNS1_11target_archE1030ELNS1_3gpuE2ELNS1_3repE0EEENS1_38merge_mergepath_config_static_selectorELNS0_4arch9wavefront6targetE1EEEvSM_.kd
    .uniform_work_group_size: 1
    .uses_dynamic_stack: false
    .vgpr_count:     0
    .vgpr_spill_count: 0
    .wavefront_size: 64
  - .agpr_count:     0
    .args:
      - .offset:         0
        .size:           64
        .value_kind:     by_value
    .group_segment_fixed_size: 0
    .kernarg_segment_align: 8
    .kernarg_segment_size: 64
    .language:       OpenCL C
    .language_version:
      - 2
      - 0
    .max_flat_workgroup_size: 256
    .name:           _ZN7rocprim17ROCPRIM_400000_NS6detail17trampoline_kernelINS0_14default_configENS1_38merge_sort_block_merge_config_selectorIlNS0_10empty_typeEEEZZNS1_27merge_sort_block_merge_implIS3_PlPS5_mZN2at6native12_GLOBAL__N_124unique_dim_cuda_templateImEESt5tupleIJNSA_6TensorESF_SF_EERKSF_lbbbEUlllE_EE10hipError_tT0_T1_T2_jT3_P12ihipStream_tbPNSt15iterator_traitsISL_E10value_typeEPNSR_ISM_E10value_typeEPSN_NS1_7vsmem_tEENKUlT_SL_SM_SN_E_clIS8_S8_S9_S9_EESK_S10_SL_SM_SN_EUlS10_E1_NS1_11comp_targetILNS1_3genE0ELNS1_11target_archE4294967295ELNS1_3gpuE0ELNS1_3repE0EEENS1_36merge_oddeven_config_static_selectorELNS0_4arch9wavefront6targetE1EEEvSM_
    .private_segment_fixed_size: 0
    .sgpr_count:     6
    .sgpr_spill_count: 0
    .symbol:         _ZN7rocprim17ROCPRIM_400000_NS6detail17trampoline_kernelINS0_14default_configENS1_38merge_sort_block_merge_config_selectorIlNS0_10empty_typeEEEZZNS1_27merge_sort_block_merge_implIS3_PlPS5_mZN2at6native12_GLOBAL__N_124unique_dim_cuda_templateImEESt5tupleIJNSA_6TensorESF_SF_EERKSF_lbbbEUlllE_EE10hipError_tT0_T1_T2_jT3_P12ihipStream_tbPNSt15iterator_traitsISL_E10value_typeEPNSR_ISM_E10value_typeEPSN_NS1_7vsmem_tEENKUlT_SL_SM_SN_E_clIS8_S8_S9_S9_EESK_S10_SL_SM_SN_EUlS10_E1_NS1_11comp_targetILNS1_3genE0ELNS1_11target_archE4294967295ELNS1_3gpuE0ELNS1_3repE0EEENS1_36merge_oddeven_config_static_selectorELNS0_4arch9wavefront6targetE1EEEvSM_.kd
    .uniform_work_group_size: 1
    .uses_dynamic_stack: false
    .vgpr_count:     0
    .vgpr_spill_count: 0
    .wavefront_size: 64
  - .agpr_count:     0
    .args:
      - .offset:         0
        .size:           64
        .value_kind:     by_value
    .group_segment_fixed_size: 0
    .kernarg_segment_align: 8
    .kernarg_segment_size: 64
    .language:       OpenCL C
    .language_version:
      - 2
      - 0
    .max_flat_workgroup_size: 256
    .name:           _ZN7rocprim17ROCPRIM_400000_NS6detail17trampoline_kernelINS0_14default_configENS1_38merge_sort_block_merge_config_selectorIlNS0_10empty_typeEEEZZNS1_27merge_sort_block_merge_implIS3_PlPS5_mZN2at6native12_GLOBAL__N_124unique_dim_cuda_templateImEESt5tupleIJNSA_6TensorESF_SF_EERKSF_lbbbEUlllE_EE10hipError_tT0_T1_T2_jT3_P12ihipStream_tbPNSt15iterator_traitsISL_E10value_typeEPNSR_ISM_E10value_typeEPSN_NS1_7vsmem_tEENKUlT_SL_SM_SN_E_clIS8_S8_S9_S9_EESK_S10_SL_SM_SN_EUlS10_E1_NS1_11comp_targetILNS1_3genE10ELNS1_11target_archE1201ELNS1_3gpuE5ELNS1_3repE0EEENS1_36merge_oddeven_config_static_selectorELNS0_4arch9wavefront6targetE1EEEvSM_
    .private_segment_fixed_size: 0
    .sgpr_count:     6
    .sgpr_spill_count: 0
    .symbol:         _ZN7rocprim17ROCPRIM_400000_NS6detail17trampoline_kernelINS0_14default_configENS1_38merge_sort_block_merge_config_selectorIlNS0_10empty_typeEEEZZNS1_27merge_sort_block_merge_implIS3_PlPS5_mZN2at6native12_GLOBAL__N_124unique_dim_cuda_templateImEESt5tupleIJNSA_6TensorESF_SF_EERKSF_lbbbEUlllE_EE10hipError_tT0_T1_T2_jT3_P12ihipStream_tbPNSt15iterator_traitsISL_E10value_typeEPNSR_ISM_E10value_typeEPSN_NS1_7vsmem_tEENKUlT_SL_SM_SN_E_clIS8_S8_S9_S9_EESK_S10_SL_SM_SN_EUlS10_E1_NS1_11comp_targetILNS1_3genE10ELNS1_11target_archE1201ELNS1_3gpuE5ELNS1_3repE0EEENS1_36merge_oddeven_config_static_selectorELNS0_4arch9wavefront6targetE1EEEvSM_.kd
    .uniform_work_group_size: 1
    .uses_dynamic_stack: false
    .vgpr_count:     0
    .vgpr_spill_count: 0
    .wavefront_size: 64
  - .agpr_count:     0
    .args:
      - .offset:         0
        .size:           64
        .value_kind:     by_value
    .group_segment_fixed_size: 0
    .kernarg_segment_align: 8
    .kernarg_segment_size: 64
    .language:       OpenCL C
    .language_version:
      - 2
      - 0
    .max_flat_workgroup_size: 256
    .name:           _ZN7rocprim17ROCPRIM_400000_NS6detail17trampoline_kernelINS0_14default_configENS1_38merge_sort_block_merge_config_selectorIlNS0_10empty_typeEEEZZNS1_27merge_sort_block_merge_implIS3_PlPS5_mZN2at6native12_GLOBAL__N_124unique_dim_cuda_templateImEESt5tupleIJNSA_6TensorESF_SF_EERKSF_lbbbEUlllE_EE10hipError_tT0_T1_T2_jT3_P12ihipStream_tbPNSt15iterator_traitsISL_E10value_typeEPNSR_ISM_E10value_typeEPSN_NS1_7vsmem_tEENKUlT_SL_SM_SN_E_clIS8_S8_S9_S9_EESK_S10_SL_SM_SN_EUlS10_E1_NS1_11comp_targetILNS1_3genE5ELNS1_11target_archE942ELNS1_3gpuE9ELNS1_3repE0EEENS1_36merge_oddeven_config_static_selectorELNS0_4arch9wavefront6targetE1EEEvSM_
    .private_segment_fixed_size: 0
    .sgpr_count:     52
    .sgpr_spill_count: 0
    .symbol:         _ZN7rocprim17ROCPRIM_400000_NS6detail17trampoline_kernelINS0_14default_configENS1_38merge_sort_block_merge_config_selectorIlNS0_10empty_typeEEEZZNS1_27merge_sort_block_merge_implIS3_PlPS5_mZN2at6native12_GLOBAL__N_124unique_dim_cuda_templateImEESt5tupleIJNSA_6TensorESF_SF_EERKSF_lbbbEUlllE_EE10hipError_tT0_T1_T2_jT3_P12ihipStream_tbPNSt15iterator_traitsISL_E10value_typeEPNSR_ISM_E10value_typeEPSN_NS1_7vsmem_tEENKUlT_SL_SM_SN_E_clIS8_S8_S9_S9_EESK_S10_SL_SM_SN_EUlS10_E1_NS1_11comp_targetILNS1_3genE5ELNS1_11target_archE942ELNS1_3gpuE9ELNS1_3repE0EEENS1_36merge_oddeven_config_static_selectorELNS0_4arch9wavefront6targetE1EEEvSM_.kd
    .uniform_work_group_size: 1
    .uses_dynamic_stack: false
    .vgpr_count:     22
    .vgpr_spill_count: 0
    .wavefront_size: 64
  - .agpr_count:     0
    .args:
      - .offset:         0
        .size:           64
        .value_kind:     by_value
    .group_segment_fixed_size: 0
    .kernarg_segment_align: 8
    .kernarg_segment_size: 64
    .language:       OpenCL C
    .language_version:
      - 2
      - 0
    .max_flat_workgroup_size: 256
    .name:           _ZN7rocprim17ROCPRIM_400000_NS6detail17trampoline_kernelINS0_14default_configENS1_38merge_sort_block_merge_config_selectorIlNS0_10empty_typeEEEZZNS1_27merge_sort_block_merge_implIS3_PlPS5_mZN2at6native12_GLOBAL__N_124unique_dim_cuda_templateImEESt5tupleIJNSA_6TensorESF_SF_EERKSF_lbbbEUlllE_EE10hipError_tT0_T1_T2_jT3_P12ihipStream_tbPNSt15iterator_traitsISL_E10value_typeEPNSR_ISM_E10value_typeEPSN_NS1_7vsmem_tEENKUlT_SL_SM_SN_E_clIS8_S8_S9_S9_EESK_S10_SL_SM_SN_EUlS10_E1_NS1_11comp_targetILNS1_3genE4ELNS1_11target_archE910ELNS1_3gpuE8ELNS1_3repE0EEENS1_36merge_oddeven_config_static_selectorELNS0_4arch9wavefront6targetE1EEEvSM_
    .private_segment_fixed_size: 0
    .sgpr_count:     6
    .sgpr_spill_count: 0
    .symbol:         _ZN7rocprim17ROCPRIM_400000_NS6detail17trampoline_kernelINS0_14default_configENS1_38merge_sort_block_merge_config_selectorIlNS0_10empty_typeEEEZZNS1_27merge_sort_block_merge_implIS3_PlPS5_mZN2at6native12_GLOBAL__N_124unique_dim_cuda_templateImEESt5tupleIJNSA_6TensorESF_SF_EERKSF_lbbbEUlllE_EE10hipError_tT0_T1_T2_jT3_P12ihipStream_tbPNSt15iterator_traitsISL_E10value_typeEPNSR_ISM_E10value_typeEPSN_NS1_7vsmem_tEENKUlT_SL_SM_SN_E_clIS8_S8_S9_S9_EESK_S10_SL_SM_SN_EUlS10_E1_NS1_11comp_targetILNS1_3genE4ELNS1_11target_archE910ELNS1_3gpuE8ELNS1_3repE0EEENS1_36merge_oddeven_config_static_selectorELNS0_4arch9wavefront6targetE1EEEvSM_.kd
    .uniform_work_group_size: 1
    .uses_dynamic_stack: false
    .vgpr_count:     0
    .vgpr_spill_count: 0
    .wavefront_size: 64
  - .agpr_count:     0
    .args:
      - .offset:         0
        .size:           64
        .value_kind:     by_value
    .group_segment_fixed_size: 0
    .kernarg_segment_align: 8
    .kernarg_segment_size: 64
    .language:       OpenCL C
    .language_version:
      - 2
      - 0
    .max_flat_workgroup_size: 256
    .name:           _ZN7rocprim17ROCPRIM_400000_NS6detail17trampoline_kernelINS0_14default_configENS1_38merge_sort_block_merge_config_selectorIlNS0_10empty_typeEEEZZNS1_27merge_sort_block_merge_implIS3_PlPS5_mZN2at6native12_GLOBAL__N_124unique_dim_cuda_templateImEESt5tupleIJNSA_6TensorESF_SF_EERKSF_lbbbEUlllE_EE10hipError_tT0_T1_T2_jT3_P12ihipStream_tbPNSt15iterator_traitsISL_E10value_typeEPNSR_ISM_E10value_typeEPSN_NS1_7vsmem_tEENKUlT_SL_SM_SN_E_clIS8_S8_S9_S9_EESK_S10_SL_SM_SN_EUlS10_E1_NS1_11comp_targetILNS1_3genE3ELNS1_11target_archE908ELNS1_3gpuE7ELNS1_3repE0EEENS1_36merge_oddeven_config_static_selectorELNS0_4arch9wavefront6targetE1EEEvSM_
    .private_segment_fixed_size: 0
    .sgpr_count:     6
    .sgpr_spill_count: 0
    .symbol:         _ZN7rocprim17ROCPRIM_400000_NS6detail17trampoline_kernelINS0_14default_configENS1_38merge_sort_block_merge_config_selectorIlNS0_10empty_typeEEEZZNS1_27merge_sort_block_merge_implIS3_PlPS5_mZN2at6native12_GLOBAL__N_124unique_dim_cuda_templateImEESt5tupleIJNSA_6TensorESF_SF_EERKSF_lbbbEUlllE_EE10hipError_tT0_T1_T2_jT3_P12ihipStream_tbPNSt15iterator_traitsISL_E10value_typeEPNSR_ISM_E10value_typeEPSN_NS1_7vsmem_tEENKUlT_SL_SM_SN_E_clIS8_S8_S9_S9_EESK_S10_SL_SM_SN_EUlS10_E1_NS1_11comp_targetILNS1_3genE3ELNS1_11target_archE908ELNS1_3gpuE7ELNS1_3repE0EEENS1_36merge_oddeven_config_static_selectorELNS0_4arch9wavefront6targetE1EEEvSM_.kd
    .uniform_work_group_size: 1
    .uses_dynamic_stack: false
    .vgpr_count:     0
    .vgpr_spill_count: 0
    .wavefront_size: 64
  - .agpr_count:     0
    .args:
      - .offset:         0
        .size:           64
        .value_kind:     by_value
    .group_segment_fixed_size: 0
    .kernarg_segment_align: 8
    .kernarg_segment_size: 64
    .language:       OpenCL C
    .language_version:
      - 2
      - 0
    .max_flat_workgroup_size: 256
    .name:           _ZN7rocprim17ROCPRIM_400000_NS6detail17trampoline_kernelINS0_14default_configENS1_38merge_sort_block_merge_config_selectorIlNS0_10empty_typeEEEZZNS1_27merge_sort_block_merge_implIS3_PlPS5_mZN2at6native12_GLOBAL__N_124unique_dim_cuda_templateImEESt5tupleIJNSA_6TensorESF_SF_EERKSF_lbbbEUlllE_EE10hipError_tT0_T1_T2_jT3_P12ihipStream_tbPNSt15iterator_traitsISL_E10value_typeEPNSR_ISM_E10value_typeEPSN_NS1_7vsmem_tEENKUlT_SL_SM_SN_E_clIS8_S8_S9_S9_EESK_S10_SL_SM_SN_EUlS10_E1_NS1_11comp_targetILNS1_3genE2ELNS1_11target_archE906ELNS1_3gpuE6ELNS1_3repE0EEENS1_36merge_oddeven_config_static_selectorELNS0_4arch9wavefront6targetE1EEEvSM_
    .private_segment_fixed_size: 0
    .sgpr_count:     6
    .sgpr_spill_count: 0
    .symbol:         _ZN7rocprim17ROCPRIM_400000_NS6detail17trampoline_kernelINS0_14default_configENS1_38merge_sort_block_merge_config_selectorIlNS0_10empty_typeEEEZZNS1_27merge_sort_block_merge_implIS3_PlPS5_mZN2at6native12_GLOBAL__N_124unique_dim_cuda_templateImEESt5tupleIJNSA_6TensorESF_SF_EERKSF_lbbbEUlllE_EE10hipError_tT0_T1_T2_jT3_P12ihipStream_tbPNSt15iterator_traitsISL_E10value_typeEPNSR_ISM_E10value_typeEPSN_NS1_7vsmem_tEENKUlT_SL_SM_SN_E_clIS8_S8_S9_S9_EESK_S10_SL_SM_SN_EUlS10_E1_NS1_11comp_targetILNS1_3genE2ELNS1_11target_archE906ELNS1_3gpuE6ELNS1_3repE0EEENS1_36merge_oddeven_config_static_selectorELNS0_4arch9wavefront6targetE1EEEvSM_.kd
    .uniform_work_group_size: 1
    .uses_dynamic_stack: false
    .vgpr_count:     0
    .vgpr_spill_count: 0
    .wavefront_size: 64
  - .agpr_count:     0
    .args:
      - .offset:         0
        .size:           64
        .value_kind:     by_value
    .group_segment_fixed_size: 0
    .kernarg_segment_align: 8
    .kernarg_segment_size: 64
    .language:       OpenCL C
    .language_version:
      - 2
      - 0
    .max_flat_workgroup_size: 256
    .name:           _ZN7rocprim17ROCPRIM_400000_NS6detail17trampoline_kernelINS0_14default_configENS1_38merge_sort_block_merge_config_selectorIlNS0_10empty_typeEEEZZNS1_27merge_sort_block_merge_implIS3_PlPS5_mZN2at6native12_GLOBAL__N_124unique_dim_cuda_templateImEESt5tupleIJNSA_6TensorESF_SF_EERKSF_lbbbEUlllE_EE10hipError_tT0_T1_T2_jT3_P12ihipStream_tbPNSt15iterator_traitsISL_E10value_typeEPNSR_ISM_E10value_typeEPSN_NS1_7vsmem_tEENKUlT_SL_SM_SN_E_clIS8_S8_S9_S9_EESK_S10_SL_SM_SN_EUlS10_E1_NS1_11comp_targetILNS1_3genE9ELNS1_11target_archE1100ELNS1_3gpuE3ELNS1_3repE0EEENS1_36merge_oddeven_config_static_selectorELNS0_4arch9wavefront6targetE1EEEvSM_
    .private_segment_fixed_size: 0
    .sgpr_count:     6
    .sgpr_spill_count: 0
    .symbol:         _ZN7rocprim17ROCPRIM_400000_NS6detail17trampoline_kernelINS0_14default_configENS1_38merge_sort_block_merge_config_selectorIlNS0_10empty_typeEEEZZNS1_27merge_sort_block_merge_implIS3_PlPS5_mZN2at6native12_GLOBAL__N_124unique_dim_cuda_templateImEESt5tupleIJNSA_6TensorESF_SF_EERKSF_lbbbEUlllE_EE10hipError_tT0_T1_T2_jT3_P12ihipStream_tbPNSt15iterator_traitsISL_E10value_typeEPNSR_ISM_E10value_typeEPSN_NS1_7vsmem_tEENKUlT_SL_SM_SN_E_clIS8_S8_S9_S9_EESK_S10_SL_SM_SN_EUlS10_E1_NS1_11comp_targetILNS1_3genE9ELNS1_11target_archE1100ELNS1_3gpuE3ELNS1_3repE0EEENS1_36merge_oddeven_config_static_selectorELNS0_4arch9wavefront6targetE1EEEvSM_.kd
    .uniform_work_group_size: 1
    .uses_dynamic_stack: false
    .vgpr_count:     0
    .vgpr_spill_count: 0
    .wavefront_size: 64
  - .agpr_count:     0
    .args:
      - .offset:         0
        .size:           64
        .value_kind:     by_value
    .group_segment_fixed_size: 0
    .kernarg_segment_align: 8
    .kernarg_segment_size: 64
    .language:       OpenCL C
    .language_version:
      - 2
      - 0
    .max_flat_workgroup_size: 256
    .name:           _ZN7rocprim17ROCPRIM_400000_NS6detail17trampoline_kernelINS0_14default_configENS1_38merge_sort_block_merge_config_selectorIlNS0_10empty_typeEEEZZNS1_27merge_sort_block_merge_implIS3_PlPS5_mZN2at6native12_GLOBAL__N_124unique_dim_cuda_templateImEESt5tupleIJNSA_6TensorESF_SF_EERKSF_lbbbEUlllE_EE10hipError_tT0_T1_T2_jT3_P12ihipStream_tbPNSt15iterator_traitsISL_E10value_typeEPNSR_ISM_E10value_typeEPSN_NS1_7vsmem_tEENKUlT_SL_SM_SN_E_clIS8_S8_S9_S9_EESK_S10_SL_SM_SN_EUlS10_E1_NS1_11comp_targetILNS1_3genE8ELNS1_11target_archE1030ELNS1_3gpuE2ELNS1_3repE0EEENS1_36merge_oddeven_config_static_selectorELNS0_4arch9wavefront6targetE1EEEvSM_
    .private_segment_fixed_size: 0
    .sgpr_count:     6
    .sgpr_spill_count: 0
    .symbol:         _ZN7rocprim17ROCPRIM_400000_NS6detail17trampoline_kernelINS0_14default_configENS1_38merge_sort_block_merge_config_selectorIlNS0_10empty_typeEEEZZNS1_27merge_sort_block_merge_implIS3_PlPS5_mZN2at6native12_GLOBAL__N_124unique_dim_cuda_templateImEESt5tupleIJNSA_6TensorESF_SF_EERKSF_lbbbEUlllE_EE10hipError_tT0_T1_T2_jT3_P12ihipStream_tbPNSt15iterator_traitsISL_E10value_typeEPNSR_ISM_E10value_typeEPSN_NS1_7vsmem_tEENKUlT_SL_SM_SN_E_clIS8_S8_S9_S9_EESK_S10_SL_SM_SN_EUlS10_E1_NS1_11comp_targetILNS1_3genE8ELNS1_11target_archE1030ELNS1_3gpuE2ELNS1_3repE0EEENS1_36merge_oddeven_config_static_selectorELNS0_4arch9wavefront6targetE1EEEvSM_.kd
    .uniform_work_group_size: 1
    .uses_dynamic_stack: false
    .vgpr_count:     0
    .vgpr_spill_count: 0
    .wavefront_size: 64
  - .agpr_count:     0
    .args:
      - .offset:         0
        .size:           64
        .value_kind:     by_value
    .group_segment_fixed_size: 0
    .kernarg_segment_align: 8
    .kernarg_segment_size: 64
    .language:       OpenCL C
    .language_version:
      - 2
      - 0
    .max_flat_workgroup_size: 128
    .name:           _ZN7rocprim17ROCPRIM_400000_NS6detail17trampoline_kernelINS0_14default_configENS1_35adjacent_difference_config_selectorILb0ElEEZNS1_24adjacent_difference_implIS3_Lb0ELb0EPlS7_ZN2at6native12_GLOBAL__N_124unique_dim_cuda_templateImEESt5tupleIJNS8_6TensorESD_SD_EERKSD_lbbbEUlllE1_EE10hipError_tPvRmT2_T3_mT4_P12ihipStream_tbEUlT_E_NS1_11comp_targetILNS1_3genE0ELNS1_11target_archE4294967295ELNS1_3gpuE0ELNS1_3repE0EEENS1_30default_config_static_selectorELNS0_4arch9wavefront6targetE1EEEvT1_
    .private_segment_fixed_size: 0
    .sgpr_count:     6
    .sgpr_spill_count: 0
    .symbol:         _ZN7rocprim17ROCPRIM_400000_NS6detail17trampoline_kernelINS0_14default_configENS1_35adjacent_difference_config_selectorILb0ElEEZNS1_24adjacent_difference_implIS3_Lb0ELb0EPlS7_ZN2at6native12_GLOBAL__N_124unique_dim_cuda_templateImEESt5tupleIJNS8_6TensorESD_SD_EERKSD_lbbbEUlllE1_EE10hipError_tPvRmT2_T3_mT4_P12ihipStream_tbEUlT_E_NS1_11comp_targetILNS1_3genE0ELNS1_11target_archE4294967295ELNS1_3gpuE0ELNS1_3repE0EEENS1_30default_config_static_selectorELNS0_4arch9wavefront6targetE1EEEvT1_.kd
    .uniform_work_group_size: 1
    .uses_dynamic_stack: false
    .vgpr_count:     0
    .vgpr_spill_count: 0
    .wavefront_size: 64
  - .agpr_count:     0
    .args:
      - .offset:         0
        .size:           64
        .value_kind:     by_value
    .group_segment_fixed_size: 0
    .kernarg_segment_align: 8
    .kernarg_segment_size: 64
    .language:       OpenCL C
    .language_version:
      - 2
      - 0
    .max_flat_workgroup_size: 128
    .name:           _ZN7rocprim17ROCPRIM_400000_NS6detail17trampoline_kernelINS0_14default_configENS1_35adjacent_difference_config_selectorILb0ElEEZNS1_24adjacent_difference_implIS3_Lb0ELb0EPlS7_ZN2at6native12_GLOBAL__N_124unique_dim_cuda_templateImEESt5tupleIJNS8_6TensorESD_SD_EERKSD_lbbbEUlllE1_EE10hipError_tPvRmT2_T3_mT4_P12ihipStream_tbEUlT_E_NS1_11comp_targetILNS1_3genE10ELNS1_11target_archE1201ELNS1_3gpuE5ELNS1_3repE0EEENS1_30default_config_static_selectorELNS0_4arch9wavefront6targetE1EEEvT1_
    .private_segment_fixed_size: 0
    .sgpr_count:     6
    .sgpr_spill_count: 0
    .symbol:         _ZN7rocprim17ROCPRIM_400000_NS6detail17trampoline_kernelINS0_14default_configENS1_35adjacent_difference_config_selectorILb0ElEEZNS1_24adjacent_difference_implIS3_Lb0ELb0EPlS7_ZN2at6native12_GLOBAL__N_124unique_dim_cuda_templateImEESt5tupleIJNS8_6TensorESD_SD_EERKSD_lbbbEUlllE1_EE10hipError_tPvRmT2_T3_mT4_P12ihipStream_tbEUlT_E_NS1_11comp_targetILNS1_3genE10ELNS1_11target_archE1201ELNS1_3gpuE5ELNS1_3repE0EEENS1_30default_config_static_selectorELNS0_4arch9wavefront6targetE1EEEvT1_.kd
    .uniform_work_group_size: 1
    .uses_dynamic_stack: false
    .vgpr_count:     0
    .vgpr_spill_count: 0
    .wavefront_size: 64
  - .agpr_count:     0
    .args:
      - .offset:         0
        .size:           64
        .value_kind:     by_value
    .group_segment_fixed_size: 6656
    .kernarg_segment_align: 8
    .kernarg_segment_size: 64
    .language:       OpenCL C
    .language_version:
      - 2
      - 0
    .max_flat_workgroup_size: 64
    .name:           _ZN7rocprim17ROCPRIM_400000_NS6detail17trampoline_kernelINS0_14default_configENS1_35adjacent_difference_config_selectorILb0ElEEZNS1_24adjacent_difference_implIS3_Lb0ELb0EPlS7_ZN2at6native12_GLOBAL__N_124unique_dim_cuda_templateImEESt5tupleIJNS8_6TensorESD_SD_EERKSD_lbbbEUlllE1_EE10hipError_tPvRmT2_T3_mT4_P12ihipStream_tbEUlT_E_NS1_11comp_targetILNS1_3genE5ELNS1_11target_archE942ELNS1_3gpuE9ELNS1_3repE0EEENS1_30default_config_static_selectorELNS0_4arch9wavefront6targetE1EEEvT1_
    .private_segment_fixed_size: 0
    .sgpr_count:     44
    .sgpr_spill_count: 0
    .symbol:         _ZN7rocprim17ROCPRIM_400000_NS6detail17trampoline_kernelINS0_14default_configENS1_35adjacent_difference_config_selectorILb0ElEEZNS1_24adjacent_difference_implIS3_Lb0ELb0EPlS7_ZN2at6native12_GLOBAL__N_124unique_dim_cuda_templateImEESt5tupleIJNS8_6TensorESD_SD_EERKSD_lbbbEUlllE1_EE10hipError_tPvRmT2_T3_mT4_P12ihipStream_tbEUlT_E_NS1_11comp_targetILNS1_3genE5ELNS1_11target_archE942ELNS1_3gpuE9ELNS1_3repE0EEENS1_30default_config_static_selectorELNS0_4arch9wavefront6targetE1EEEvT1_.kd
    .uniform_work_group_size: 1
    .uses_dynamic_stack: false
    .vgpr_count:     84
    .vgpr_spill_count: 0
    .wavefront_size: 64
  - .agpr_count:     0
    .args:
      - .offset:         0
        .size:           64
        .value_kind:     by_value
    .group_segment_fixed_size: 0
    .kernarg_segment_align: 8
    .kernarg_segment_size: 64
    .language:       OpenCL C
    .language_version:
      - 2
      - 0
    .max_flat_workgroup_size: 256
    .name:           _ZN7rocprim17ROCPRIM_400000_NS6detail17trampoline_kernelINS0_14default_configENS1_35adjacent_difference_config_selectorILb0ElEEZNS1_24adjacent_difference_implIS3_Lb0ELb0EPlS7_ZN2at6native12_GLOBAL__N_124unique_dim_cuda_templateImEESt5tupleIJNS8_6TensorESD_SD_EERKSD_lbbbEUlllE1_EE10hipError_tPvRmT2_T3_mT4_P12ihipStream_tbEUlT_E_NS1_11comp_targetILNS1_3genE4ELNS1_11target_archE910ELNS1_3gpuE8ELNS1_3repE0EEENS1_30default_config_static_selectorELNS0_4arch9wavefront6targetE1EEEvT1_
    .private_segment_fixed_size: 0
    .sgpr_count:     6
    .sgpr_spill_count: 0
    .symbol:         _ZN7rocprim17ROCPRIM_400000_NS6detail17trampoline_kernelINS0_14default_configENS1_35adjacent_difference_config_selectorILb0ElEEZNS1_24adjacent_difference_implIS3_Lb0ELb0EPlS7_ZN2at6native12_GLOBAL__N_124unique_dim_cuda_templateImEESt5tupleIJNS8_6TensorESD_SD_EERKSD_lbbbEUlllE1_EE10hipError_tPvRmT2_T3_mT4_P12ihipStream_tbEUlT_E_NS1_11comp_targetILNS1_3genE4ELNS1_11target_archE910ELNS1_3gpuE8ELNS1_3repE0EEENS1_30default_config_static_selectorELNS0_4arch9wavefront6targetE1EEEvT1_.kd
    .uniform_work_group_size: 1
    .uses_dynamic_stack: false
    .vgpr_count:     0
    .vgpr_spill_count: 0
    .wavefront_size: 64
  - .agpr_count:     0
    .args:
      - .offset:         0
        .size:           64
        .value_kind:     by_value
    .group_segment_fixed_size: 0
    .kernarg_segment_align: 8
    .kernarg_segment_size: 64
    .language:       OpenCL C
    .language_version:
      - 2
      - 0
    .max_flat_workgroup_size: 128
    .name:           _ZN7rocprim17ROCPRIM_400000_NS6detail17trampoline_kernelINS0_14default_configENS1_35adjacent_difference_config_selectorILb0ElEEZNS1_24adjacent_difference_implIS3_Lb0ELb0EPlS7_ZN2at6native12_GLOBAL__N_124unique_dim_cuda_templateImEESt5tupleIJNS8_6TensorESD_SD_EERKSD_lbbbEUlllE1_EE10hipError_tPvRmT2_T3_mT4_P12ihipStream_tbEUlT_E_NS1_11comp_targetILNS1_3genE3ELNS1_11target_archE908ELNS1_3gpuE7ELNS1_3repE0EEENS1_30default_config_static_selectorELNS0_4arch9wavefront6targetE1EEEvT1_
    .private_segment_fixed_size: 0
    .sgpr_count:     6
    .sgpr_spill_count: 0
    .symbol:         _ZN7rocprim17ROCPRIM_400000_NS6detail17trampoline_kernelINS0_14default_configENS1_35adjacent_difference_config_selectorILb0ElEEZNS1_24adjacent_difference_implIS3_Lb0ELb0EPlS7_ZN2at6native12_GLOBAL__N_124unique_dim_cuda_templateImEESt5tupleIJNS8_6TensorESD_SD_EERKSD_lbbbEUlllE1_EE10hipError_tPvRmT2_T3_mT4_P12ihipStream_tbEUlT_E_NS1_11comp_targetILNS1_3genE3ELNS1_11target_archE908ELNS1_3gpuE7ELNS1_3repE0EEENS1_30default_config_static_selectorELNS0_4arch9wavefront6targetE1EEEvT1_.kd
    .uniform_work_group_size: 1
    .uses_dynamic_stack: false
    .vgpr_count:     0
    .vgpr_spill_count: 0
    .wavefront_size: 64
  - .agpr_count:     0
    .args:
      - .offset:         0
        .size:           64
        .value_kind:     by_value
    .group_segment_fixed_size: 0
    .kernarg_segment_align: 8
    .kernarg_segment_size: 64
    .language:       OpenCL C
    .language_version:
      - 2
      - 0
    .max_flat_workgroup_size: 128
    .name:           _ZN7rocprim17ROCPRIM_400000_NS6detail17trampoline_kernelINS0_14default_configENS1_35adjacent_difference_config_selectorILb0ElEEZNS1_24adjacent_difference_implIS3_Lb0ELb0EPlS7_ZN2at6native12_GLOBAL__N_124unique_dim_cuda_templateImEESt5tupleIJNS8_6TensorESD_SD_EERKSD_lbbbEUlllE1_EE10hipError_tPvRmT2_T3_mT4_P12ihipStream_tbEUlT_E_NS1_11comp_targetILNS1_3genE2ELNS1_11target_archE906ELNS1_3gpuE6ELNS1_3repE0EEENS1_30default_config_static_selectorELNS0_4arch9wavefront6targetE1EEEvT1_
    .private_segment_fixed_size: 0
    .sgpr_count:     6
    .sgpr_spill_count: 0
    .symbol:         _ZN7rocprim17ROCPRIM_400000_NS6detail17trampoline_kernelINS0_14default_configENS1_35adjacent_difference_config_selectorILb0ElEEZNS1_24adjacent_difference_implIS3_Lb0ELb0EPlS7_ZN2at6native12_GLOBAL__N_124unique_dim_cuda_templateImEESt5tupleIJNS8_6TensorESD_SD_EERKSD_lbbbEUlllE1_EE10hipError_tPvRmT2_T3_mT4_P12ihipStream_tbEUlT_E_NS1_11comp_targetILNS1_3genE2ELNS1_11target_archE906ELNS1_3gpuE6ELNS1_3repE0EEENS1_30default_config_static_selectorELNS0_4arch9wavefront6targetE1EEEvT1_.kd
    .uniform_work_group_size: 1
    .uses_dynamic_stack: false
    .vgpr_count:     0
    .vgpr_spill_count: 0
    .wavefront_size: 64
  - .agpr_count:     0
    .args:
      - .offset:         0
        .size:           64
        .value_kind:     by_value
    .group_segment_fixed_size: 0
    .kernarg_segment_align: 8
    .kernarg_segment_size: 64
    .language:       OpenCL C
    .language_version:
      - 2
      - 0
    .max_flat_workgroup_size: 512
    .name:           _ZN7rocprim17ROCPRIM_400000_NS6detail17trampoline_kernelINS0_14default_configENS1_35adjacent_difference_config_selectorILb0ElEEZNS1_24adjacent_difference_implIS3_Lb0ELb0EPlS7_ZN2at6native12_GLOBAL__N_124unique_dim_cuda_templateImEESt5tupleIJNS8_6TensorESD_SD_EERKSD_lbbbEUlllE1_EE10hipError_tPvRmT2_T3_mT4_P12ihipStream_tbEUlT_E_NS1_11comp_targetILNS1_3genE9ELNS1_11target_archE1100ELNS1_3gpuE3ELNS1_3repE0EEENS1_30default_config_static_selectorELNS0_4arch9wavefront6targetE1EEEvT1_
    .private_segment_fixed_size: 0
    .sgpr_count:     6
    .sgpr_spill_count: 0
    .symbol:         _ZN7rocprim17ROCPRIM_400000_NS6detail17trampoline_kernelINS0_14default_configENS1_35adjacent_difference_config_selectorILb0ElEEZNS1_24adjacent_difference_implIS3_Lb0ELb0EPlS7_ZN2at6native12_GLOBAL__N_124unique_dim_cuda_templateImEESt5tupleIJNS8_6TensorESD_SD_EERKSD_lbbbEUlllE1_EE10hipError_tPvRmT2_T3_mT4_P12ihipStream_tbEUlT_E_NS1_11comp_targetILNS1_3genE9ELNS1_11target_archE1100ELNS1_3gpuE3ELNS1_3repE0EEENS1_30default_config_static_selectorELNS0_4arch9wavefront6targetE1EEEvT1_.kd
    .uniform_work_group_size: 1
    .uses_dynamic_stack: false
    .vgpr_count:     0
    .vgpr_spill_count: 0
    .wavefront_size: 64
  - .agpr_count:     0
    .args:
      - .offset:         0
        .size:           64
        .value_kind:     by_value
    .group_segment_fixed_size: 0
    .kernarg_segment_align: 8
    .kernarg_segment_size: 64
    .language:       OpenCL C
    .language_version:
      - 2
      - 0
    .max_flat_workgroup_size: 1024
    .name:           _ZN7rocprim17ROCPRIM_400000_NS6detail17trampoline_kernelINS0_14default_configENS1_35adjacent_difference_config_selectorILb0ElEEZNS1_24adjacent_difference_implIS3_Lb0ELb0EPlS7_ZN2at6native12_GLOBAL__N_124unique_dim_cuda_templateImEESt5tupleIJNS8_6TensorESD_SD_EERKSD_lbbbEUlllE1_EE10hipError_tPvRmT2_T3_mT4_P12ihipStream_tbEUlT_E_NS1_11comp_targetILNS1_3genE8ELNS1_11target_archE1030ELNS1_3gpuE2ELNS1_3repE0EEENS1_30default_config_static_selectorELNS0_4arch9wavefront6targetE1EEEvT1_
    .private_segment_fixed_size: 0
    .sgpr_count:     6
    .sgpr_spill_count: 0
    .symbol:         _ZN7rocprim17ROCPRIM_400000_NS6detail17trampoline_kernelINS0_14default_configENS1_35adjacent_difference_config_selectorILb0ElEEZNS1_24adjacent_difference_implIS3_Lb0ELb0EPlS7_ZN2at6native12_GLOBAL__N_124unique_dim_cuda_templateImEESt5tupleIJNS8_6TensorESD_SD_EERKSD_lbbbEUlllE1_EE10hipError_tPvRmT2_T3_mT4_P12ihipStream_tbEUlT_E_NS1_11comp_targetILNS1_3genE8ELNS1_11target_archE1030ELNS1_3gpuE2ELNS1_3repE0EEENS1_30default_config_static_selectorELNS0_4arch9wavefront6targetE1EEEvT1_.kd
    .uniform_work_group_size: 1
    .uses_dynamic_stack: false
    .vgpr_count:     0
    .vgpr_spill_count: 0
    .wavefront_size: 64
  - .agpr_count:     0
    .args:
      - .offset:         0
        .size:           56
        .value_kind:     by_value
    .group_segment_fixed_size: 0
    .kernarg_segment_align: 8
    .kernarg_segment_size: 56
    .language:       OpenCL C
    .language_version:
      - 2
      - 0
    .max_flat_workgroup_size: 128
    .name:           _ZN7rocprim17ROCPRIM_400000_NS6detail17trampoline_kernelINS0_14default_configENS1_25transform_config_selectorIlLb0EEEZNS1_14transform_implILb0ES3_S5_NS0_18transform_iteratorINS0_17counting_iteratorImlEEZNS1_24adjacent_difference_implIS3_Lb1ELb0EPlSB_ZN2at6native12_GLOBAL__N_124unique_dim_cuda_templateImEESt5tupleIJNSC_6TensorESH_SH_EERKSH_lbbbEUlllE1_EE10hipError_tPvRmT2_T3_mT4_P12ihipStream_tbEUlmE_lEESB_NS0_8identityIvEEEESM_SP_SQ_mSR_ST_bEUlT_E_NS1_11comp_targetILNS1_3genE0ELNS1_11target_archE4294967295ELNS1_3gpuE0ELNS1_3repE0EEENS1_30default_config_static_selectorELNS0_4arch9wavefront6targetE1EEEvT1_
    .private_segment_fixed_size: 0
    .sgpr_count:     6
    .sgpr_spill_count: 0
    .symbol:         _ZN7rocprim17ROCPRIM_400000_NS6detail17trampoline_kernelINS0_14default_configENS1_25transform_config_selectorIlLb0EEEZNS1_14transform_implILb0ES3_S5_NS0_18transform_iteratorINS0_17counting_iteratorImlEEZNS1_24adjacent_difference_implIS3_Lb1ELb0EPlSB_ZN2at6native12_GLOBAL__N_124unique_dim_cuda_templateImEESt5tupleIJNSC_6TensorESH_SH_EERKSH_lbbbEUlllE1_EE10hipError_tPvRmT2_T3_mT4_P12ihipStream_tbEUlmE_lEESB_NS0_8identityIvEEEESM_SP_SQ_mSR_ST_bEUlT_E_NS1_11comp_targetILNS1_3genE0ELNS1_11target_archE4294967295ELNS1_3gpuE0ELNS1_3repE0EEENS1_30default_config_static_selectorELNS0_4arch9wavefront6targetE1EEEvT1_.kd
    .uniform_work_group_size: 1
    .uses_dynamic_stack: false
    .vgpr_count:     0
    .vgpr_spill_count: 0
    .wavefront_size: 64
  - .agpr_count:     0
    .args:
      - .offset:         0
        .size:           56
        .value_kind:     by_value
      - .offset:         56
        .size:           4
        .value_kind:     hidden_block_count_x
      - .offset:         60
        .size:           4
        .value_kind:     hidden_block_count_y
      - .offset:         64
        .size:           4
        .value_kind:     hidden_block_count_z
      - .offset:         68
        .size:           2
        .value_kind:     hidden_group_size_x
      - .offset:         70
        .size:           2
        .value_kind:     hidden_group_size_y
      - .offset:         72
        .size:           2
        .value_kind:     hidden_group_size_z
      - .offset:         74
        .size:           2
        .value_kind:     hidden_remainder_x
      - .offset:         76
        .size:           2
        .value_kind:     hidden_remainder_y
      - .offset:         78
        .size:           2
        .value_kind:     hidden_remainder_z
      - .offset:         96
        .size:           8
        .value_kind:     hidden_global_offset_x
      - .offset:         104
        .size:           8
        .value_kind:     hidden_global_offset_y
      - .offset:         112
        .size:           8
        .value_kind:     hidden_global_offset_z
      - .offset:         120
        .size:           2
        .value_kind:     hidden_grid_dims
    .group_segment_fixed_size: 0
    .kernarg_segment_align: 8
    .kernarg_segment_size: 312
    .language:       OpenCL C
    .language_version:
      - 2
      - 0
    .max_flat_workgroup_size: 512
    .name:           _ZN7rocprim17ROCPRIM_400000_NS6detail17trampoline_kernelINS0_14default_configENS1_25transform_config_selectorIlLb0EEEZNS1_14transform_implILb0ES3_S5_NS0_18transform_iteratorINS0_17counting_iteratorImlEEZNS1_24adjacent_difference_implIS3_Lb1ELb0EPlSB_ZN2at6native12_GLOBAL__N_124unique_dim_cuda_templateImEESt5tupleIJNSC_6TensorESH_SH_EERKSH_lbbbEUlllE1_EE10hipError_tPvRmT2_T3_mT4_P12ihipStream_tbEUlmE_lEESB_NS0_8identityIvEEEESM_SP_SQ_mSR_ST_bEUlT_E_NS1_11comp_targetILNS1_3genE5ELNS1_11target_archE942ELNS1_3gpuE9ELNS1_3repE0EEENS1_30default_config_static_selectorELNS0_4arch9wavefront6targetE1EEEvT1_
    .private_segment_fixed_size: 0
    .sgpr_count:     26
    .sgpr_spill_count: 0
    .symbol:         _ZN7rocprim17ROCPRIM_400000_NS6detail17trampoline_kernelINS0_14default_configENS1_25transform_config_selectorIlLb0EEEZNS1_14transform_implILb0ES3_S5_NS0_18transform_iteratorINS0_17counting_iteratorImlEEZNS1_24adjacent_difference_implIS3_Lb1ELb0EPlSB_ZN2at6native12_GLOBAL__N_124unique_dim_cuda_templateImEESt5tupleIJNSC_6TensorESH_SH_EERKSH_lbbbEUlllE1_EE10hipError_tPvRmT2_T3_mT4_P12ihipStream_tbEUlmE_lEESB_NS0_8identityIvEEEESM_SP_SQ_mSR_ST_bEUlT_E_NS1_11comp_targetILNS1_3genE5ELNS1_11target_archE942ELNS1_3gpuE9ELNS1_3repE0EEENS1_30default_config_static_selectorELNS0_4arch9wavefront6targetE1EEEvT1_.kd
    .uniform_work_group_size: 1
    .uses_dynamic_stack: false
    .vgpr_count:     12
    .vgpr_spill_count: 0
    .wavefront_size: 64
  - .agpr_count:     0
    .args:
      - .offset:         0
        .size:           56
        .value_kind:     by_value
    .group_segment_fixed_size: 0
    .kernarg_segment_align: 8
    .kernarg_segment_size: 56
    .language:       OpenCL C
    .language_version:
      - 2
      - 0
    .max_flat_workgroup_size: 256
    .name:           _ZN7rocprim17ROCPRIM_400000_NS6detail17trampoline_kernelINS0_14default_configENS1_25transform_config_selectorIlLb0EEEZNS1_14transform_implILb0ES3_S5_NS0_18transform_iteratorINS0_17counting_iteratorImlEEZNS1_24adjacent_difference_implIS3_Lb1ELb0EPlSB_ZN2at6native12_GLOBAL__N_124unique_dim_cuda_templateImEESt5tupleIJNSC_6TensorESH_SH_EERKSH_lbbbEUlllE1_EE10hipError_tPvRmT2_T3_mT4_P12ihipStream_tbEUlmE_lEESB_NS0_8identityIvEEEESM_SP_SQ_mSR_ST_bEUlT_E_NS1_11comp_targetILNS1_3genE4ELNS1_11target_archE910ELNS1_3gpuE8ELNS1_3repE0EEENS1_30default_config_static_selectorELNS0_4arch9wavefront6targetE1EEEvT1_
    .private_segment_fixed_size: 0
    .sgpr_count:     6
    .sgpr_spill_count: 0
    .symbol:         _ZN7rocprim17ROCPRIM_400000_NS6detail17trampoline_kernelINS0_14default_configENS1_25transform_config_selectorIlLb0EEEZNS1_14transform_implILb0ES3_S5_NS0_18transform_iteratorINS0_17counting_iteratorImlEEZNS1_24adjacent_difference_implIS3_Lb1ELb0EPlSB_ZN2at6native12_GLOBAL__N_124unique_dim_cuda_templateImEESt5tupleIJNSC_6TensorESH_SH_EERKSH_lbbbEUlllE1_EE10hipError_tPvRmT2_T3_mT4_P12ihipStream_tbEUlmE_lEESB_NS0_8identityIvEEEESM_SP_SQ_mSR_ST_bEUlT_E_NS1_11comp_targetILNS1_3genE4ELNS1_11target_archE910ELNS1_3gpuE8ELNS1_3repE0EEENS1_30default_config_static_selectorELNS0_4arch9wavefront6targetE1EEEvT1_.kd
    .uniform_work_group_size: 1
    .uses_dynamic_stack: false
    .vgpr_count:     0
    .vgpr_spill_count: 0
    .wavefront_size: 64
  - .agpr_count:     0
    .args:
      - .offset:         0
        .size:           56
        .value_kind:     by_value
    .group_segment_fixed_size: 0
    .kernarg_segment_align: 8
    .kernarg_segment_size: 56
    .language:       OpenCL C
    .language_version:
      - 2
      - 0
    .max_flat_workgroup_size: 128
    .name:           _ZN7rocprim17ROCPRIM_400000_NS6detail17trampoline_kernelINS0_14default_configENS1_25transform_config_selectorIlLb0EEEZNS1_14transform_implILb0ES3_S5_NS0_18transform_iteratorINS0_17counting_iteratorImlEEZNS1_24adjacent_difference_implIS3_Lb1ELb0EPlSB_ZN2at6native12_GLOBAL__N_124unique_dim_cuda_templateImEESt5tupleIJNSC_6TensorESH_SH_EERKSH_lbbbEUlllE1_EE10hipError_tPvRmT2_T3_mT4_P12ihipStream_tbEUlmE_lEESB_NS0_8identityIvEEEESM_SP_SQ_mSR_ST_bEUlT_E_NS1_11comp_targetILNS1_3genE3ELNS1_11target_archE908ELNS1_3gpuE7ELNS1_3repE0EEENS1_30default_config_static_selectorELNS0_4arch9wavefront6targetE1EEEvT1_
    .private_segment_fixed_size: 0
    .sgpr_count:     6
    .sgpr_spill_count: 0
    .symbol:         _ZN7rocprim17ROCPRIM_400000_NS6detail17trampoline_kernelINS0_14default_configENS1_25transform_config_selectorIlLb0EEEZNS1_14transform_implILb0ES3_S5_NS0_18transform_iteratorINS0_17counting_iteratorImlEEZNS1_24adjacent_difference_implIS3_Lb1ELb0EPlSB_ZN2at6native12_GLOBAL__N_124unique_dim_cuda_templateImEESt5tupleIJNSC_6TensorESH_SH_EERKSH_lbbbEUlllE1_EE10hipError_tPvRmT2_T3_mT4_P12ihipStream_tbEUlmE_lEESB_NS0_8identityIvEEEESM_SP_SQ_mSR_ST_bEUlT_E_NS1_11comp_targetILNS1_3genE3ELNS1_11target_archE908ELNS1_3gpuE7ELNS1_3repE0EEENS1_30default_config_static_selectorELNS0_4arch9wavefront6targetE1EEEvT1_.kd
    .uniform_work_group_size: 1
    .uses_dynamic_stack: false
    .vgpr_count:     0
    .vgpr_spill_count: 0
    .wavefront_size: 64
  - .agpr_count:     0
    .args:
      - .offset:         0
        .size:           56
        .value_kind:     by_value
    .group_segment_fixed_size: 0
    .kernarg_segment_align: 8
    .kernarg_segment_size: 56
    .language:       OpenCL C
    .language_version:
      - 2
      - 0
    .max_flat_workgroup_size: 512
    .name:           _ZN7rocprim17ROCPRIM_400000_NS6detail17trampoline_kernelINS0_14default_configENS1_25transform_config_selectorIlLb0EEEZNS1_14transform_implILb0ES3_S5_NS0_18transform_iteratorINS0_17counting_iteratorImlEEZNS1_24adjacent_difference_implIS3_Lb1ELb0EPlSB_ZN2at6native12_GLOBAL__N_124unique_dim_cuda_templateImEESt5tupleIJNSC_6TensorESH_SH_EERKSH_lbbbEUlllE1_EE10hipError_tPvRmT2_T3_mT4_P12ihipStream_tbEUlmE_lEESB_NS0_8identityIvEEEESM_SP_SQ_mSR_ST_bEUlT_E_NS1_11comp_targetILNS1_3genE2ELNS1_11target_archE906ELNS1_3gpuE6ELNS1_3repE0EEENS1_30default_config_static_selectorELNS0_4arch9wavefront6targetE1EEEvT1_
    .private_segment_fixed_size: 0
    .sgpr_count:     6
    .sgpr_spill_count: 0
    .symbol:         _ZN7rocprim17ROCPRIM_400000_NS6detail17trampoline_kernelINS0_14default_configENS1_25transform_config_selectorIlLb0EEEZNS1_14transform_implILb0ES3_S5_NS0_18transform_iteratorINS0_17counting_iteratorImlEEZNS1_24adjacent_difference_implIS3_Lb1ELb0EPlSB_ZN2at6native12_GLOBAL__N_124unique_dim_cuda_templateImEESt5tupleIJNSC_6TensorESH_SH_EERKSH_lbbbEUlllE1_EE10hipError_tPvRmT2_T3_mT4_P12ihipStream_tbEUlmE_lEESB_NS0_8identityIvEEEESM_SP_SQ_mSR_ST_bEUlT_E_NS1_11comp_targetILNS1_3genE2ELNS1_11target_archE906ELNS1_3gpuE6ELNS1_3repE0EEENS1_30default_config_static_selectorELNS0_4arch9wavefront6targetE1EEEvT1_.kd
    .uniform_work_group_size: 1
    .uses_dynamic_stack: false
    .vgpr_count:     0
    .vgpr_spill_count: 0
    .wavefront_size: 64
  - .agpr_count:     0
    .args:
      - .offset:         0
        .size:           56
        .value_kind:     by_value
    .group_segment_fixed_size: 0
    .kernarg_segment_align: 8
    .kernarg_segment_size: 56
    .language:       OpenCL C
    .language_version:
      - 2
      - 0
    .max_flat_workgroup_size: 1024
    .name:           _ZN7rocprim17ROCPRIM_400000_NS6detail17trampoline_kernelINS0_14default_configENS1_25transform_config_selectorIlLb0EEEZNS1_14transform_implILb0ES3_S5_NS0_18transform_iteratorINS0_17counting_iteratorImlEEZNS1_24adjacent_difference_implIS3_Lb1ELb0EPlSB_ZN2at6native12_GLOBAL__N_124unique_dim_cuda_templateImEESt5tupleIJNSC_6TensorESH_SH_EERKSH_lbbbEUlllE1_EE10hipError_tPvRmT2_T3_mT4_P12ihipStream_tbEUlmE_lEESB_NS0_8identityIvEEEESM_SP_SQ_mSR_ST_bEUlT_E_NS1_11comp_targetILNS1_3genE10ELNS1_11target_archE1201ELNS1_3gpuE5ELNS1_3repE0EEENS1_30default_config_static_selectorELNS0_4arch9wavefront6targetE1EEEvT1_
    .private_segment_fixed_size: 0
    .sgpr_count:     6
    .sgpr_spill_count: 0
    .symbol:         _ZN7rocprim17ROCPRIM_400000_NS6detail17trampoline_kernelINS0_14default_configENS1_25transform_config_selectorIlLb0EEEZNS1_14transform_implILb0ES3_S5_NS0_18transform_iteratorINS0_17counting_iteratorImlEEZNS1_24adjacent_difference_implIS3_Lb1ELb0EPlSB_ZN2at6native12_GLOBAL__N_124unique_dim_cuda_templateImEESt5tupleIJNSC_6TensorESH_SH_EERKSH_lbbbEUlllE1_EE10hipError_tPvRmT2_T3_mT4_P12ihipStream_tbEUlmE_lEESB_NS0_8identityIvEEEESM_SP_SQ_mSR_ST_bEUlT_E_NS1_11comp_targetILNS1_3genE10ELNS1_11target_archE1201ELNS1_3gpuE5ELNS1_3repE0EEENS1_30default_config_static_selectorELNS0_4arch9wavefront6targetE1EEEvT1_.kd
    .uniform_work_group_size: 1
    .uses_dynamic_stack: false
    .vgpr_count:     0
    .vgpr_spill_count: 0
    .wavefront_size: 64
  - .agpr_count:     0
    .args:
      - .offset:         0
        .size:           56
        .value_kind:     by_value
    .group_segment_fixed_size: 0
    .kernarg_segment_align: 8
    .kernarg_segment_size: 56
    .language:       OpenCL C
    .language_version:
      - 2
      - 0
    .max_flat_workgroup_size: 512
    .name:           _ZN7rocprim17ROCPRIM_400000_NS6detail17trampoline_kernelINS0_14default_configENS1_25transform_config_selectorIlLb0EEEZNS1_14transform_implILb0ES3_S5_NS0_18transform_iteratorINS0_17counting_iteratorImlEEZNS1_24adjacent_difference_implIS3_Lb1ELb0EPlSB_ZN2at6native12_GLOBAL__N_124unique_dim_cuda_templateImEESt5tupleIJNSC_6TensorESH_SH_EERKSH_lbbbEUlllE1_EE10hipError_tPvRmT2_T3_mT4_P12ihipStream_tbEUlmE_lEESB_NS0_8identityIvEEEESM_SP_SQ_mSR_ST_bEUlT_E_NS1_11comp_targetILNS1_3genE10ELNS1_11target_archE1200ELNS1_3gpuE4ELNS1_3repE0EEENS1_30default_config_static_selectorELNS0_4arch9wavefront6targetE1EEEvT1_
    .private_segment_fixed_size: 0
    .sgpr_count:     6
    .sgpr_spill_count: 0
    .symbol:         _ZN7rocprim17ROCPRIM_400000_NS6detail17trampoline_kernelINS0_14default_configENS1_25transform_config_selectorIlLb0EEEZNS1_14transform_implILb0ES3_S5_NS0_18transform_iteratorINS0_17counting_iteratorImlEEZNS1_24adjacent_difference_implIS3_Lb1ELb0EPlSB_ZN2at6native12_GLOBAL__N_124unique_dim_cuda_templateImEESt5tupleIJNSC_6TensorESH_SH_EERKSH_lbbbEUlllE1_EE10hipError_tPvRmT2_T3_mT4_P12ihipStream_tbEUlmE_lEESB_NS0_8identityIvEEEESM_SP_SQ_mSR_ST_bEUlT_E_NS1_11comp_targetILNS1_3genE10ELNS1_11target_archE1200ELNS1_3gpuE4ELNS1_3repE0EEENS1_30default_config_static_selectorELNS0_4arch9wavefront6targetE1EEEvT1_.kd
    .uniform_work_group_size: 1
    .uses_dynamic_stack: false
    .vgpr_count:     0
    .vgpr_spill_count: 0
    .wavefront_size: 64
  - .agpr_count:     0
    .args:
      - .offset:         0
        .size:           56
        .value_kind:     by_value
    .group_segment_fixed_size: 0
    .kernarg_segment_align: 8
    .kernarg_segment_size: 56
    .language:       OpenCL C
    .language_version:
      - 2
      - 0
    .max_flat_workgroup_size: 512
    .name:           _ZN7rocprim17ROCPRIM_400000_NS6detail17trampoline_kernelINS0_14default_configENS1_25transform_config_selectorIlLb0EEEZNS1_14transform_implILb0ES3_S5_NS0_18transform_iteratorINS0_17counting_iteratorImlEEZNS1_24adjacent_difference_implIS3_Lb1ELb0EPlSB_ZN2at6native12_GLOBAL__N_124unique_dim_cuda_templateImEESt5tupleIJNSC_6TensorESH_SH_EERKSH_lbbbEUlllE1_EE10hipError_tPvRmT2_T3_mT4_P12ihipStream_tbEUlmE_lEESB_NS0_8identityIvEEEESM_SP_SQ_mSR_ST_bEUlT_E_NS1_11comp_targetILNS1_3genE9ELNS1_11target_archE1100ELNS1_3gpuE3ELNS1_3repE0EEENS1_30default_config_static_selectorELNS0_4arch9wavefront6targetE1EEEvT1_
    .private_segment_fixed_size: 0
    .sgpr_count:     6
    .sgpr_spill_count: 0
    .symbol:         _ZN7rocprim17ROCPRIM_400000_NS6detail17trampoline_kernelINS0_14default_configENS1_25transform_config_selectorIlLb0EEEZNS1_14transform_implILb0ES3_S5_NS0_18transform_iteratorINS0_17counting_iteratorImlEEZNS1_24adjacent_difference_implIS3_Lb1ELb0EPlSB_ZN2at6native12_GLOBAL__N_124unique_dim_cuda_templateImEESt5tupleIJNSC_6TensorESH_SH_EERKSH_lbbbEUlllE1_EE10hipError_tPvRmT2_T3_mT4_P12ihipStream_tbEUlmE_lEESB_NS0_8identityIvEEEESM_SP_SQ_mSR_ST_bEUlT_E_NS1_11comp_targetILNS1_3genE9ELNS1_11target_archE1100ELNS1_3gpuE3ELNS1_3repE0EEENS1_30default_config_static_selectorELNS0_4arch9wavefront6targetE1EEEvT1_.kd
    .uniform_work_group_size: 1
    .uses_dynamic_stack: false
    .vgpr_count:     0
    .vgpr_spill_count: 0
    .wavefront_size: 64
  - .agpr_count:     0
    .args:
      - .offset:         0
        .size:           56
        .value_kind:     by_value
    .group_segment_fixed_size: 0
    .kernarg_segment_align: 8
    .kernarg_segment_size: 56
    .language:       OpenCL C
    .language_version:
      - 2
      - 0
    .max_flat_workgroup_size: 512
    .name:           _ZN7rocprim17ROCPRIM_400000_NS6detail17trampoline_kernelINS0_14default_configENS1_25transform_config_selectorIlLb0EEEZNS1_14transform_implILb0ES3_S5_NS0_18transform_iteratorINS0_17counting_iteratorImlEEZNS1_24adjacent_difference_implIS3_Lb1ELb0EPlSB_ZN2at6native12_GLOBAL__N_124unique_dim_cuda_templateImEESt5tupleIJNSC_6TensorESH_SH_EERKSH_lbbbEUlllE1_EE10hipError_tPvRmT2_T3_mT4_P12ihipStream_tbEUlmE_lEESB_NS0_8identityIvEEEESM_SP_SQ_mSR_ST_bEUlT_E_NS1_11comp_targetILNS1_3genE8ELNS1_11target_archE1030ELNS1_3gpuE2ELNS1_3repE0EEENS1_30default_config_static_selectorELNS0_4arch9wavefront6targetE1EEEvT1_
    .private_segment_fixed_size: 0
    .sgpr_count:     6
    .sgpr_spill_count: 0
    .symbol:         _ZN7rocprim17ROCPRIM_400000_NS6detail17trampoline_kernelINS0_14default_configENS1_25transform_config_selectorIlLb0EEEZNS1_14transform_implILb0ES3_S5_NS0_18transform_iteratorINS0_17counting_iteratorImlEEZNS1_24adjacent_difference_implIS3_Lb1ELb0EPlSB_ZN2at6native12_GLOBAL__N_124unique_dim_cuda_templateImEESt5tupleIJNSC_6TensorESH_SH_EERKSH_lbbbEUlllE1_EE10hipError_tPvRmT2_T3_mT4_P12ihipStream_tbEUlmE_lEESB_NS0_8identityIvEEEESM_SP_SQ_mSR_ST_bEUlT_E_NS1_11comp_targetILNS1_3genE8ELNS1_11target_archE1030ELNS1_3gpuE2ELNS1_3repE0EEENS1_30default_config_static_selectorELNS0_4arch9wavefront6targetE1EEEvT1_.kd
    .uniform_work_group_size: 1
    .uses_dynamic_stack: false
    .vgpr_count:     0
    .vgpr_spill_count: 0
    .wavefront_size: 64
  - .agpr_count:     0
    .args:
      - .offset:         0
        .size:           64
        .value_kind:     by_value
    .group_segment_fixed_size: 0
    .kernarg_segment_align: 8
    .kernarg_segment_size: 64
    .language:       OpenCL C
    .language_version:
      - 2
      - 0
    .max_flat_workgroup_size: 512
    .name:           _ZN7rocprim17ROCPRIM_400000_NS6detail17trampoline_kernelINS0_14default_configENS1_35adjacent_difference_config_selectorILb1ElEEZNS1_24adjacent_difference_implIS3_Lb1ELb0EPlS7_ZN2at6native12_GLOBAL__N_124unique_dim_cuda_templateImEESt5tupleIJNS8_6TensorESD_SD_EERKSD_lbbbEUlllE1_EE10hipError_tPvRmT2_T3_mT4_P12ihipStream_tbEUlT_E_NS1_11comp_targetILNS1_3genE0ELNS1_11target_archE4294967295ELNS1_3gpuE0ELNS1_3repE0EEENS1_30default_config_static_selectorELNS0_4arch9wavefront6targetE1EEEvT1_
    .private_segment_fixed_size: 0
    .sgpr_count:     6
    .sgpr_spill_count: 0
    .symbol:         _ZN7rocprim17ROCPRIM_400000_NS6detail17trampoline_kernelINS0_14default_configENS1_35adjacent_difference_config_selectorILb1ElEEZNS1_24adjacent_difference_implIS3_Lb1ELb0EPlS7_ZN2at6native12_GLOBAL__N_124unique_dim_cuda_templateImEESt5tupleIJNS8_6TensorESD_SD_EERKSD_lbbbEUlllE1_EE10hipError_tPvRmT2_T3_mT4_P12ihipStream_tbEUlT_E_NS1_11comp_targetILNS1_3genE0ELNS1_11target_archE4294967295ELNS1_3gpuE0ELNS1_3repE0EEENS1_30default_config_static_selectorELNS0_4arch9wavefront6targetE1EEEvT1_.kd
    .uniform_work_group_size: 1
    .uses_dynamic_stack: false
    .vgpr_count:     0
    .vgpr_spill_count: 0
    .wavefront_size: 64
  - .agpr_count:     0
    .args:
      - .offset:         0
        .size:           64
        .value_kind:     by_value
    .group_segment_fixed_size: 0
    .kernarg_segment_align: 8
    .kernarg_segment_size: 64
    .language:       OpenCL C
    .language_version:
      - 2
      - 0
    .max_flat_workgroup_size: 32
    .name:           _ZN7rocprim17ROCPRIM_400000_NS6detail17trampoline_kernelINS0_14default_configENS1_35adjacent_difference_config_selectorILb1ElEEZNS1_24adjacent_difference_implIS3_Lb1ELb0EPlS7_ZN2at6native12_GLOBAL__N_124unique_dim_cuda_templateImEESt5tupleIJNS8_6TensorESD_SD_EERKSD_lbbbEUlllE1_EE10hipError_tPvRmT2_T3_mT4_P12ihipStream_tbEUlT_E_NS1_11comp_targetILNS1_3genE10ELNS1_11target_archE1201ELNS1_3gpuE5ELNS1_3repE0EEENS1_30default_config_static_selectorELNS0_4arch9wavefront6targetE1EEEvT1_
    .private_segment_fixed_size: 0
    .sgpr_count:     6
    .sgpr_spill_count: 0
    .symbol:         _ZN7rocprim17ROCPRIM_400000_NS6detail17trampoline_kernelINS0_14default_configENS1_35adjacent_difference_config_selectorILb1ElEEZNS1_24adjacent_difference_implIS3_Lb1ELb0EPlS7_ZN2at6native12_GLOBAL__N_124unique_dim_cuda_templateImEESt5tupleIJNS8_6TensorESD_SD_EERKSD_lbbbEUlllE1_EE10hipError_tPvRmT2_T3_mT4_P12ihipStream_tbEUlT_E_NS1_11comp_targetILNS1_3genE10ELNS1_11target_archE1201ELNS1_3gpuE5ELNS1_3repE0EEENS1_30default_config_static_selectorELNS0_4arch9wavefront6targetE1EEEvT1_.kd
    .uniform_work_group_size: 1
    .uses_dynamic_stack: false
    .vgpr_count:     0
    .vgpr_spill_count: 0
    .wavefront_size: 64
  - .agpr_count:     0
    .args:
      - .offset:         0
        .size:           64
        .value_kind:     by_value
    .group_segment_fixed_size: 22528
    .kernarg_segment_align: 8
    .kernarg_segment_size: 64
    .language:       OpenCL C
    .language_version:
      - 2
      - 0
    .max_flat_workgroup_size: 256
    .name:           _ZN7rocprim17ROCPRIM_400000_NS6detail17trampoline_kernelINS0_14default_configENS1_35adjacent_difference_config_selectorILb1ElEEZNS1_24adjacent_difference_implIS3_Lb1ELb0EPlS7_ZN2at6native12_GLOBAL__N_124unique_dim_cuda_templateImEESt5tupleIJNS8_6TensorESD_SD_EERKSD_lbbbEUlllE1_EE10hipError_tPvRmT2_T3_mT4_P12ihipStream_tbEUlT_E_NS1_11comp_targetILNS1_3genE5ELNS1_11target_archE942ELNS1_3gpuE9ELNS1_3repE0EEENS1_30default_config_static_selectorELNS0_4arch9wavefront6targetE1EEEvT1_
    .private_segment_fixed_size: 0
    .sgpr_count:     44
    .sgpr_spill_count: 0
    .symbol:         _ZN7rocprim17ROCPRIM_400000_NS6detail17trampoline_kernelINS0_14default_configENS1_35adjacent_difference_config_selectorILb1ElEEZNS1_24adjacent_difference_implIS3_Lb1ELb0EPlS7_ZN2at6native12_GLOBAL__N_124unique_dim_cuda_templateImEESt5tupleIJNS8_6TensorESD_SD_EERKSD_lbbbEUlllE1_EE10hipError_tPvRmT2_T3_mT4_P12ihipStream_tbEUlT_E_NS1_11comp_targetILNS1_3genE5ELNS1_11target_archE942ELNS1_3gpuE9ELNS1_3repE0EEENS1_30default_config_static_selectorELNS0_4arch9wavefront6targetE1EEEvT1_.kd
    .uniform_work_group_size: 1
    .uses_dynamic_stack: false
    .vgpr_count:     70
    .vgpr_spill_count: 0
    .wavefront_size: 64
  - .agpr_count:     0
    .args:
      - .offset:         0
        .size:           64
        .value_kind:     by_value
    .group_segment_fixed_size: 0
    .kernarg_segment_align: 8
    .kernarg_segment_size: 64
    .language:       OpenCL C
    .language_version:
      - 2
      - 0
    .max_flat_workgroup_size: 512
    .name:           _ZN7rocprim17ROCPRIM_400000_NS6detail17trampoline_kernelINS0_14default_configENS1_35adjacent_difference_config_selectorILb1ElEEZNS1_24adjacent_difference_implIS3_Lb1ELb0EPlS7_ZN2at6native12_GLOBAL__N_124unique_dim_cuda_templateImEESt5tupleIJNS8_6TensorESD_SD_EERKSD_lbbbEUlllE1_EE10hipError_tPvRmT2_T3_mT4_P12ihipStream_tbEUlT_E_NS1_11comp_targetILNS1_3genE4ELNS1_11target_archE910ELNS1_3gpuE8ELNS1_3repE0EEENS1_30default_config_static_selectorELNS0_4arch9wavefront6targetE1EEEvT1_
    .private_segment_fixed_size: 0
    .sgpr_count:     6
    .sgpr_spill_count: 0
    .symbol:         _ZN7rocprim17ROCPRIM_400000_NS6detail17trampoline_kernelINS0_14default_configENS1_35adjacent_difference_config_selectorILb1ElEEZNS1_24adjacent_difference_implIS3_Lb1ELb0EPlS7_ZN2at6native12_GLOBAL__N_124unique_dim_cuda_templateImEESt5tupleIJNS8_6TensorESD_SD_EERKSD_lbbbEUlllE1_EE10hipError_tPvRmT2_T3_mT4_P12ihipStream_tbEUlT_E_NS1_11comp_targetILNS1_3genE4ELNS1_11target_archE910ELNS1_3gpuE8ELNS1_3repE0EEENS1_30default_config_static_selectorELNS0_4arch9wavefront6targetE1EEEvT1_.kd
    .uniform_work_group_size: 1
    .uses_dynamic_stack: false
    .vgpr_count:     0
    .vgpr_spill_count: 0
    .wavefront_size: 64
  - .agpr_count:     0
    .args:
      - .offset:         0
        .size:           64
        .value_kind:     by_value
    .group_segment_fixed_size: 0
    .kernarg_segment_align: 8
    .kernarg_segment_size: 64
    .language:       OpenCL C
    .language_version:
      - 2
      - 0
    .max_flat_workgroup_size: 512
    .name:           _ZN7rocprim17ROCPRIM_400000_NS6detail17trampoline_kernelINS0_14default_configENS1_35adjacent_difference_config_selectorILb1ElEEZNS1_24adjacent_difference_implIS3_Lb1ELb0EPlS7_ZN2at6native12_GLOBAL__N_124unique_dim_cuda_templateImEESt5tupleIJNS8_6TensorESD_SD_EERKSD_lbbbEUlllE1_EE10hipError_tPvRmT2_T3_mT4_P12ihipStream_tbEUlT_E_NS1_11comp_targetILNS1_3genE3ELNS1_11target_archE908ELNS1_3gpuE7ELNS1_3repE0EEENS1_30default_config_static_selectorELNS0_4arch9wavefront6targetE1EEEvT1_
    .private_segment_fixed_size: 0
    .sgpr_count:     6
    .sgpr_spill_count: 0
    .symbol:         _ZN7rocprim17ROCPRIM_400000_NS6detail17trampoline_kernelINS0_14default_configENS1_35adjacent_difference_config_selectorILb1ElEEZNS1_24adjacent_difference_implIS3_Lb1ELb0EPlS7_ZN2at6native12_GLOBAL__N_124unique_dim_cuda_templateImEESt5tupleIJNS8_6TensorESD_SD_EERKSD_lbbbEUlllE1_EE10hipError_tPvRmT2_T3_mT4_P12ihipStream_tbEUlT_E_NS1_11comp_targetILNS1_3genE3ELNS1_11target_archE908ELNS1_3gpuE7ELNS1_3repE0EEENS1_30default_config_static_selectorELNS0_4arch9wavefront6targetE1EEEvT1_.kd
    .uniform_work_group_size: 1
    .uses_dynamic_stack: false
    .vgpr_count:     0
    .vgpr_spill_count: 0
    .wavefront_size: 64
  - .agpr_count:     0
    .args:
      - .offset:         0
        .size:           64
        .value_kind:     by_value
    .group_segment_fixed_size: 0
    .kernarg_segment_align: 8
    .kernarg_segment_size: 64
    .language:       OpenCL C
    .language_version:
      - 2
      - 0
    .max_flat_workgroup_size: 128
    .name:           _ZN7rocprim17ROCPRIM_400000_NS6detail17trampoline_kernelINS0_14default_configENS1_35adjacent_difference_config_selectorILb1ElEEZNS1_24adjacent_difference_implIS3_Lb1ELb0EPlS7_ZN2at6native12_GLOBAL__N_124unique_dim_cuda_templateImEESt5tupleIJNS8_6TensorESD_SD_EERKSD_lbbbEUlllE1_EE10hipError_tPvRmT2_T3_mT4_P12ihipStream_tbEUlT_E_NS1_11comp_targetILNS1_3genE2ELNS1_11target_archE906ELNS1_3gpuE6ELNS1_3repE0EEENS1_30default_config_static_selectorELNS0_4arch9wavefront6targetE1EEEvT1_
    .private_segment_fixed_size: 0
    .sgpr_count:     6
    .sgpr_spill_count: 0
    .symbol:         _ZN7rocprim17ROCPRIM_400000_NS6detail17trampoline_kernelINS0_14default_configENS1_35adjacent_difference_config_selectorILb1ElEEZNS1_24adjacent_difference_implIS3_Lb1ELb0EPlS7_ZN2at6native12_GLOBAL__N_124unique_dim_cuda_templateImEESt5tupleIJNS8_6TensorESD_SD_EERKSD_lbbbEUlllE1_EE10hipError_tPvRmT2_T3_mT4_P12ihipStream_tbEUlT_E_NS1_11comp_targetILNS1_3genE2ELNS1_11target_archE906ELNS1_3gpuE6ELNS1_3repE0EEENS1_30default_config_static_selectorELNS0_4arch9wavefront6targetE1EEEvT1_.kd
    .uniform_work_group_size: 1
    .uses_dynamic_stack: false
    .vgpr_count:     0
    .vgpr_spill_count: 0
    .wavefront_size: 64
  - .agpr_count:     0
    .args:
      - .offset:         0
        .size:           64
        .value_kind:     by_value
    .group_segment_fixed_size: 0
    .kernarg_segment_align: 8
    .kernarg_segment_size: 64
    .language:       OpenCL C
    .language_version:
      - 2
      - 0
    .max_flat_workgroup_size: 128
    .name:           _ZN7rocprim17ROCPRIM_400000_NS6detail17trampoline_kernelINS0_14default_configENS1_35adjacent_difference_config_selectorILb1ElEEZNS1_24adjacent_difference_implIS3_Lb1ELb0EPlS7_ZN2at6native12_GLOBAL__N_124unique_dim_cuda_templateImEESt5tupleIJNS8_6TensorESD_SD_EERKSD_lbbbEUlllE1_EE10hipError_tPvRmT2_T3_mT4_P12ihipStream_tbEUlT_E_NS1_11comp_targetILNS1_3genE9ELNS1_11target_archE1100ELNS1_3gpuE3ELNS1_3repE0EEENS1_30default_config_static_selectorELNS0_4arch9wavefront6targetE1EEEvT1_
    .private_segment_fixed_size: 0
    .sgpr_count:     6
    .sgpr_spill_count: 0
    .symbol:         _ZN7rocprim17ROCPRIM_400000_NS6detail17trampoline_kernelINS0_14default_configENS1_35adjacent_difference_config_selectorILb1ElEEZNS1_24adjacent_difference_implIS3_Lb1ELb0EPlS7_ZN2at6native12_GLOBAL__N_124unique_dim_cuda_templateImEESt5tupleIJNS8_6TensorESD_SD_EERKSD_lbbbEUlllE1_EE10hipError_tPvRmT2_T3_mT4_P12ihipStream_tbEUlT_E_NS1_11comp_targetILNS1_3genE9ELNS1_11target_archE1100ELNS1_3gpuE3ELNS1_3repE0EEENS1_30default_config_static_selectorELNS0_4arch9wavefront6targetE1EEEvT1_.kd
    .uniform_work_group_size: 1
    .uses_dynamic_stack: false
    .vgpr_count:     0
    .vgpr_spill_count: 0
    .wavefront_size: 64
  - .agpr_count:     0
    .args:
      - .offset:         0
        .size:           64
        .value_kind:     by_value
    .group_segment_fixed_size: 0
    .kernarg_segment_align: 8
    .kernarg_segment_size: 64
    .language:       OpenCL C
    .language_version:
      - 2
      - 0
    .max_flat_workgroup_size: 32
    .name:           _ZN7rocprim17ROCPRIM_400000_NS6detail17trampoline_kernelINS0_14default_configENS1_35adjacent_difference_config_selectorILb1ElEEZNS1_24adjacent_difference_implIS3_Lb1ELb0EPlS7_ZN2at6native12_GLOBAL__N_124unique_dim_cuda_templateImEESt5tupleIJNS8_6TensorESD_SD_EERKSD_lbbbEUlllE1_EE10hipError_tPvRmT2_T3_mT4_P12ihipStream_tbEUlT_E_NS1_11comp_targetILNS1_3genE8ELNS1_11target_archE1030ELNS1_3gpuE2ELNS1_3repE0EEENS1_30default_config_static_selectorELNS0_4arch9wavefront6targetE1EEEvT1_
    .private_segment_fixed_size: 0
    .sgpr_count:     6
    .sgpr_spill_count: 0
    .symbol:         _ZN7rocprim17ROCPRIM_400000_NS6detail17trampoline_kernelINS0_14default_configENS1_35adjacent_difference_config_selectorILb1ElEEZNS1_24adjacent_difference_implIS3_Lb1ELb0EPlS7_ZN2at6native12_GLOBAL__N_124unique_dim_cuda_templateImEESt5tupleIJNS8_6TensorESD_SD_EERKSD_lbbbEUlllE1_EE10hipError_tPvRmT2_T3_mT4_P12ihipStream_tbEUlT_E_NS1_11comp_targetILNS1_3genE8ELNS1_11target_archE1030ELNS1_3gpuE2ELNS1_3repE0EEENS1_30default_config_static_selectorELNS0_4arch9wavefront6targetE1EEEvT1_.kd
    .uniform_work_group_size: 1
    .uses_dynamic_stack: false
    .vgpr_count:     0
    .vgpr_spill_count: 0
    .wavefront_size: 64
  - .agpr_count:     0
    .args:
      - .offset:         0
        .size:           120
        .value_kind:     by_value
    .group_segment_fixed_size: 0
    .kernarg_segment_align: 8
    .kernarg_segment_size: 120
    .language:       OpenCL C
    .language_version:
      - 2
      - 0
    .max_flat_workgroup_size: 512
    .name:           _ZN7rocprim17ROCPRIM_400000_NS6detail17trampoline_kernelINS0_14default_configENS1_25partition_config_selectorILNS1_17partition_subalgoE8ElNS0_10empty_typeEbEEZZNS1_14partition_implILS5_8ELb0ES3_jPlPS6_PKS6_NS0_5tupleIJS9_S6_EEENSD_IJSA_SA_EEENS0_18inequality_wrapperIZN2at6native12_GLOBAL__N_124unique_dim_cuda_templateImEESt5tupleIJNSH_6TensorESM_SM_EERKSM_lbbbEUlllE0_EEPmJS6_EEE10hipError_tPvRmT3_T4_T5_T6_T7_T9_mT8_P12ihipStream_tbDpT10_ENKUlT_T0_E_clISt17integral_constantIbLb0EES1C_EEDaS17_S18_EUlS17_E_NS1_11comp_targetILNS1_3genE0ELNS1_11target_archE4294967295ELNS1_3gpuE0ELNS1_3repE0EEENS1_30default_config_static_selectorELNS0_4arch9wavefront6targetE1EEEvT1_
    .private_segment_fixed_size: 0
    .sgpr_count:     6
    .sgpr_spill_count: 0
    .symbol:         _ZN7rocprim17ROCPRIM_400000_NS6detail17trampoline_kernelINS0_14default_configENS1_25partition_config_selectorILNS1_17partition_subalgoE8ElNS0_10empty_typeEbEEZZNS1_14partition_implILS5_8ELb0ES3_jPlPS6_PKS6_NS0_5tupleIJS9_S6_EEENSD_IJSA_SA_EEENS0_18inequality_wrapperIZN2at6native12_GLOBAL__N_124unique_dim_cuda_templateImEESt5tupleIJNSH_6TensorESM_SM_EERKSM_lbbbEUlllE0_EEPmJS6_EEE10hipError_tPvRmT3_T4_T5_T6_T7_T9_mT8_P12ihipStream_tbDpT10_ENKUlT_T0_E_clISt17integral_constantIbLb0EES1C_EEDaS17_S18_EUlS17_E_NS1_11comp_targetILNS1_3genE0ELNS1_11target_archE4294967295ELNS1_3gpuE0ELNS1_3repE0EEENS1_30default_config_static_selectorELNS0_4arch9wavefront6targetE1EEEvT1_.kd
    .uniform_work_group_size: 1
    .uses_dynamic_stack: false
    .vgpr_count:     0
    .vgpr_spill_count: 0
    .wavefront_size: 64
  - .agpr_count:     0
    .args:
      - .offset:         0
        .size:           120
        .value_kind:     by_value
    .group_segment_fixed_size: 28684
    .kernarg_segment_align: 8
    .kernarg_segment_size: 120
    .language:       OpenCL C
    .language_version:
      - 2
      - 0
    .max_flat_workgroup_size: 512
    .name:           _ZN7rocprim17ROCPRIM_400000_NS6detail17trampoline_kernelINS0_14default_configENS1_25partition_config_selectorILNS1_17partition_subalgoE8ElNS0_10empty_typeEbEEZZNS1_14partition_implILS5_8ELb0ES3_jPlPS6_PKS6_NS0_5tupleIJS9_S6_EEENSD_IJSA_SA_EEENS0_18inequality_wrapperIZN2at6native12_GLOBAL__N_124unique_dim_cuda_templateImEESt5tupleIJNSH_6TensorESM_SM_EERKSM_lbbbEUlllE0_EEPmJS6_EEE10hipError_tPvRmT3_T4_T5_T6_T7_T9_mT8_P12ihipStream_tbDpT10_ENKUlT_T0_E_clISt17integral_constantIbLb0EES1C_EEDaS17_S18_EUlS17_E_NS1_11comp_targetILNS1_3genE5ELNS1_11target_archE942ELNS1_3gpuE9ELNS1_3repE0EEENS1_30default_config_static_selectorELNS0_4arch9wavefront6targetE1EEEvT1_
    .private_segment_fixed_size: 0
    .sgpr_count:     58
    .sgpr_spill_count: 0
    .symbol:         _ZN7rocprim17ROCPRIM_400000_NS6detail17trampoline_kernelINS0_14default_configENS1_25partition_config_selectorILNS1_17partition_subalgoE8ElNS0_10empty_typeEbEEZZNS1_14partition_implILS5_8ELb0ES3_jPlPS6_PKS6_NS0_5tupleIJS9_S6_EEENSD_IJSA_SA_EEENS0_18inequality_wrapperIZN2at6native12_GLOBAL__N_124unique_dim_cuda_templateImEESt5tupleIJNSH_6TensorESM_SM_EERKSM_lbbbEUlllE0_EEPmJS6_EEE10hipError_tPvRmT3_T4_T5_T6_T7_T9_mT8_P12ihipStream_tbDpT10_ENKUlT_T0_E_clISt17integral_constantIbLb0EES1C_EEDaS17_S18_EUlS17_E_NS1_11comp_targetILNS1_3genE5ELNS1_11target_archE942ELNS1_3gpuE9ELNS1_3repE0EEENS1_30default_config_static_selectorELNS0_4arch9wavefront6targetE1EEEvT1_.kd
    .uniform_work_group_size: 1
    .uses_dynamic_stack: false
    .vgpr_count:     52
    .vgpr_spill_count: 0
    .wavefront_size: 64
  - .agpr_count:     0
    .args:
      - .offset:         0
        .size:           120
        .value_kind:     by_value
    .group_segment_fixed_size: 0
    .kernarg_segment_align: 8
    .kernarg_segment_size: 120
    .language:       OpenCL C
    .language_version:
      - 2
      - 0
    .max_flat_workgroup_size: 256
    .name:           _ZN7rocprim17ROCPRIM_400000_NS6detail17trampoline_kernelINS0_14default_configENS1_25partition_config_selectorILNS1_17partition_subalgoE8ElNS0_10empty_typeEbEEZZNS1_14partition_implILS5_8ELb0ES3_jPlPS6_PKS6_NS0_5tupleIJS9_S6_EEENSD_IJSA_SA_EEENS0_18inequality_wrapperIZN2at6native12_GLOBAL__N_124unique_dim_cuda_templateImEESt5tupleIJNSH_6TensorESM_SM_EERKSM_lbbbEUlllE0_EEPmJS6_EEE10hipError_tPvRmT3_T4_T5_T6_T7_T9_mT8_P12ihipStream_tbDpT10_ENKUlT_T0_E_clISt17integral_constantIbLb0EES1C_EEDaS17_S18_EUlS17_E_NS1_11comp_targetILNS1_3genE4ELNS1_11target_archE910ELNS1_3gpuE8ELNS1_3repE0EEENS1_30default_config_static_selectorELNS0_4arch9wavefront6targetE1EEEvT1_
    .private_segment_fixed_size: 0
    .sgpr_count:     6
    .sgpr_spill_count: 0
    .symbol:         _ZN7rocprim17ROCPRIM_400000_NS6detail17trampoline_kernelINS0_14default_configENS1_25partition_config_selectorILNS1_17partition_subalgoE8ElNS0_10empty_typeEbEEZZNS1_14partition_implILS5_8ELb0ES3_jPlPS6_PKS6_NS0_5tupleIJS9_S6_EEENSD_IJSA_SA_EEENS0_18inequality_wrapperIZN2at6native12_GLOBAL__N_124unique_dim_cuda_templateImEESt5tupleIJNSH_6TensorESM_SM_EERKSM_lbbbEUlllE0_EEPmJS6_EEE10hipError_tPvRmT3_T4_T5_T6_T7_T9_mT8_P12ihipStream_tbDpT10_ENKUlT_T0_E_clISt17integral_constantIbLb0EES1C_EEDaS17_S18_EUlS17_E_NS1_11comp_targetILNS1_3genE4ELNS1_11target_archE910ELNS1_3gpuE8ELNS1_3repE0EEENS1_30default_config_static_selectorELNS0_4arch9wavefront6targetE1EEEvT1_.kd
    .uniform_work_group_size: 1
    .uses_dynamic_stack: false
    .vgpr_count:     0
    .vgpr_spill_count: 0
    .wavefront_size: 64
  - .agpr_count:     0
    .args:
      - .offset:         0
        .size:           120
        .value_kind:     by_value
    .group_segment_fixed_size: 0
    .kernarg_segment_align: 8
    .kernarg_segment_size: 120
    .language:       OpenCL C
    .language_version:
      - 2
      - 0
    .max_flat_workgroup_size: 512
    .name:           _ZN7rocprim17ROCPRIM_400000_NS6detail17trampoline_kernelINS0_14default_configENS1_25partition_config_selectorILNS1_17partition_subalgoE8ElNS0_10empty_typeEbEEZZNS1_14partition_implILS5_8ELb0ES3_jPlPS6_PKS6_NS0_5tupleIJS9_S6_EEENSD_IJSA_SA_EEENS0_18inequality_wrapperIZN2at6native12_GLOBAL__N_124unique_dim_cuda_templateImEESt5tupleIJNSH_6TensorESM_SM_EERKSM_lbbbEUlllE0_EEPmJS6_EEE10hipError_tPvRmT3_T4_T5_T6_T7_T9_mT8_P12ihipStream_tbDpT10_ENKUlT_T0_E_clISt17integral_constantIbLb0EES1C_EEDaS17_S18_EUlS17_E_NS1_11comp_targetILNS1_3genE3ELNS1_11target_archE908ELNS1_3gpuE7ELNS1_3repE0EEENS1_30default_config_static_selectorELNS0_4arch9wavefront6targetE1EEEvT1_
    .private_segment_fixed_size: 0
    .sgpr_count:     6
    .sgpr_spill_count: 0
    .symbol:         _ZN7rocprim17ROCPRIM_400000_NS6detail17trampoline_kernelINS0_14default_configENS1_25partition_config_selectorILNS1_17partition_subalgoE8ElNS0_10empty_typeEbEEZZNS1_14partition_implILS5_8ELb0ES3_jPlPS6_PKS6_NS0_5tupleIJS9_S6_EEENSD_IJSA_SA_EEENS0_18inequality_wrapperIZN2at6native12_GLOBAL__N_124unique_dim_cuda_templateImEESt5tupleIJNSH_6TensorESM_SM_EERKSM_lbbbEUlllE0_EEPmJS6_EEE10hipError_tPvRmT3_T4_T5_T6_T7_T9_mT8_P12ihipStream_tbDpT10_ENKUlT_T0_E_clISt17integral_constantIbLb0EES1C_EEDaS17_S18_EUlS17_E_NS1_11comp_targetILNS1_3genE3ELNS1_11target_archE908ELNS1_3gpuE7ELNS1_3repE0EEENS1_30default_config_static_selectorELNS0_4arch9wavefront6targetE1EEEvT1_.kd
    .uniform_work_group_size: 1
    .uses_dynamic_stack: false
    .vgpr_count:     0
    .vgpr_spill_count: 0
    .wavefront_size: 64
  - .agpr_count:     0
    .args:
      - .offset:         0
        .size:           120
        .value_kind:     by_value
    .group_segment_fixed_size: 0
    .kernarg_segment_align: 8
    .kernarg_segment_size: 120
    .language:       OpenCL C
    .language_version:
      - 2
      - 0
    .max_flat_workgroup_size: 256
    .name:           _ZN7rocprim17ROCPRIM_400000_NS6detail17trampoline_kernelINS0_14default_configENS1_25partition_config_selectorILNS1_17partition_subalgoE8ElNS0_10empty_typeEbEEZZNS1_14partition_implILS5_8ELb0ES3_jPlPS6_PKS6_NS0_5tupleIJS9_S6_EEENSD_IJSA_SA_EEENS0_18inequality_wrapperIZN2at6native12_GLOBAL__N_124unique_dim_cuda_templateImEESt5tupleIJNSH_6TensorESM_SM_EERKSM_lbbbEUlllE0_EEPmJS6_EEE10hipError_tPvRmT3_T4_T5_T6_T7_T9_mT8_P12ihipStream_tbDpT10_ENKUlT_T0_E_clISt17integral_constantIbLb0EES1C_EEDaS17_S18_EUlS17_E_NS1_11comp_targetILNS1_3genE2ELNS1_11target_archE906ELNS1_3gpuE6ELNS1_3repE0EEENS1_30default_config_static_selectorELNS0_4arch9wavefront6targetE1EEEvT1_
    .private_segment_fixed_size: 0
    .sgpr_count:     6
    .sgpr_spill_count: 0
    .symbol:         _ZN7rocprim17ROCPRIM_400000_NS6detail17trampoline_kernelINS0_14default_configENS1_25partition_config_selectorILNS1_17partition_subalgoE8ElNS0_10empty_typeEbEEZZNS1_14partition_implILS5_8ELb0ES3_jPlPS6_PKS6_NS0_5tupleIJS9_S6_EEENSD_IJSA_SA_EEENS0_18inequality_wrapperIZN2at6native12_GLOBAL__N_124unique_dim_cuda_templateImEESt5tupleIJNSH_6TensorESM_SM_EERKSM_lbbbEUlllE0_EEPmJS6_EEE10hipError_tPvRmT3_T4_T5_T6_T7_T9_mT8_P12ihipStream_tbDpT10_ENKUlT_T0_E_clISt17integral_constantIbLb0EES1C_EEDaS17_S18_EUlS17_E_NS1_11comp_targetILNS1_3genE2ELNS1_11target_archE906ELNS1_3gpuE6ELNS1_3repE0EEENS1_30default_config_static_selectorELNS0_4arch9wavefront6targetE1EEEvT1_.kd
    .uniform_work_group_size: 1
    .uses_dynamic_stack: false
    .vgpr_count:     0
    .vgpr_spill_count: 0
    .wavefront_size: 64
  - .agpr_count:     0
    .args:
      - .offset:         0
        .size:           120
        .value_kind:     by_value
    .group_segment_fixed_size: 0
    .kernarg_segment_align: 8
    .kernarg_segment_size: 120
    .language:       OpenCL C
    .language_version:
      - 2
      - 0
    .max_flat_workgroup_size: 384
    .name:           _ZN7rocprim17ROCPRIM_400000_NS6detail17trampoline_kernelINS0_14default_configENS1_25partition_config_selectorILNS1_17partition_subalgoE8ElNS0_10empty_typeEbEEZZNS1_14partition_implILS5_8ELb0ES3_jPlPS6_PKS6_NS0_5tupleIJS9_S6_EEENSD_IJSA_SA_EEENS0_18inequality_wrapperIZN2at6native12_GLOBAL__N_124unique_dim_cuda_templateImEESt5tupleIJNSH_6TensorESM_SM_EERKSM_lbbbEUlllE0_EEPmJS6_EEE10hipError_tPvRmT3_T4_T5_T6_T7_T9_mT8_P12ihipStream_tbDpT10_ENKUlT_T0_E_clISt17integral_constantIbLb0EES1C_EEDaS17_S18_EUlS17_E_NS1_11comp_targetILNS1_3genE10ELNS1_11target_archE1200ELNS1_3gpuE4ELNS1_3repE0EEENS1_30default_config_static_selectorELNS0_4arch9wavefront6targetE1EEEvT1_
    .private_segment_fixed_size: 0
    .sgpr_count:     6
    .sgpr_spill_count: 0
    .symbol:         _ZN7rocprim17ROCPRIM_400000_NS6detail17trampoline_kernelINS0_14default_configENS1_25partition_config_selectorILNS1_17partition_subalgoE8ElNS0_10empty_typeEbEEZZNS1_14partition_implILS5_8ELb0ES3_jPlPS6_PKS6_NS0_5tupleIJS9_S6_EEENSD_IJSA_SA_EEENS0_18inequality_wrapperIZN2at6native12_GLOBAL__N_124unique_dim_cuda_templateImEESt5tupleIJNSH_6TensorESM_SM_EERKSM_lbbbEUlllE0_EEPmJS6_EEE10hipError_tPvRmT3_T4_T5_T6_T7_T9_mT8_P12ihipStream_tbDpT10_ENKUlT_T0_E_clISt17integral_constantIbLb0EES1C_EEDaS17_S18_EUlS17_E_NS1_11comp_targetILNS1_3genE10ELNS1_11target_archE1200ELNS1_3gpuE4ELNS1_3repE0EEENS1_30default_config_static_selectorELNS0_4arch9wavefront6targetE1EEEvT1_.kd
    .uniform_work_group_size: 1
    .uses_dynamic_stack: false
    .vgpr_count:     0
    .vgpr_spill_count: 0
    .wavefront_size: 64
  - .agpr_count:     0
    .args:
      - .offset:         0
        .size:           120
        .value_kind:     by_value
    .group_segment_fixed_size: 0
    .kernarg_segment_align: 8
    .kernarg_segment_size: 120
    .language:       OpenCL C
    .language_version:
      - 2
      - 0
    .max_flat_workgroup_size: 512
    .name:           _ZN7rocprim17ROCPRIM_400000_NS6detail17trampoline_kernelINS0_14default_configENS1_25partition_config_selectorILNS1_17partition_subalgoE8ElNS0_10empty_typeEbEEZZNS1_14partition_implILS5_8ELb0ES3_jPlPS6_PKS6_NS0_5tupleIJS9_S6_EEENSD_IJSA_SA_EEENS0_18inequality_wrapperIZN2at6native12_GLOBAL__N_124unique_dim_cuda_templateImEESt5tupleIJNSH_6TensorESM_SM_EERKSM_lbbbEUlllE0_EEPmJS6_EEE10hipError_tPvRmT3_T4_T5_T6_T7_T9_mT8_P12ihipStream_tbDpT10_ENKUlT_T0_E_clISt17integral_constantIbLb0EES1C_EEDaS17_S18_EUlS17_E_NS1_11comp_targetILNS1_3genE9ELNS1_11target_archE1100ELNS1_3gpuE3ELNS1_3repE0EEENS1_30default_config_static_selectorELNS0_4arch9wavefront6targetE1EEEvT1_
    .private_segment_fixed_size: 0
    .sgpr_count:     6
    .sgpr_spill_count: 0
    .symbol:         _ZN7rocprim17ROCPRIM_400000_NS6detail17trampoline_kernelINS0_14default_configENS1_25partition_config_selectorILNS1_17partition_subalgoE8ElNS0_10empty_typeEbEEZZNS1_14partition_implILS5_8ELb0ES3_jPlPS6_PKS6_NS0_5tupleIJS9_S6_EEENSD_IJSA_SA_EEENS0_18inequality_wrapperIZN2at6native12_GLOBAL__N_124unique_dim_cuda_templateImEESt5tupleIJNSH_6TensorESM_SM_EERKSM_lbbbEUlllE0_EEPmJS6_EEE10hipError_tPvRmT3_T4_T5_T6_T7_T9_mT8_P12ihipStream_tbDpT10_ENKUlT_T0_E_clISt17integral_constantIbLb0EES1C_EEDaS17_S18_EUlS17_E_NS1_11comp_targetILNS1_3genE9ELNS1_11target_archE1100ELNS1_3gpuE3ELNS1_3repE0EEENS1_30default_config_static_selectorELNS0_4arch9wavefront6targetE1EEEvT1_.kd
    .uniform_work_group_size: 1
    .uses_dynamic_stack: false
    .vgpr_count:     0
    .vgpr_spill_count: 0
    .wavefront_size: 64
  - .agpr_count:     0
    .args:
      - .offset:         0
        .size:           120
        .value_kind:     by_value
    .group_segment_fixed_size: 0
    .kernarg_segment_align: 8
    .kernarg_segment_size: 120
    .language:       OpenCL C
    .language_version:
      - 2
      - 0
    .max_flat_workgroup_size: 512
    .name:           _ZN7rocprim17ROCPRIM_400000_NS6detail17trampoline_kernelINS0_14default_configENS1_25partition_config_selectorILNS1_17partition_subalgoE8ElNS0_10empty_typeEbEEZZNS1_14partition_implILS5_8ELb0ES3_jPlPS6_PKS6_NS0_5tupleIJS9_S6_EEENSD_IJSA_SA_EEENS0_18inequality_wrapperIZN2at6native12_GLOBAL__N_124unique_dim_cuda_templateImEESt5tupleIJNSH_6TensorESM_SM_EERKSM_lbbbEUlllE0_EEPmJS6_EEE10hipError_tPvRmT3_T4_T5_T6_T7_T9_mT8_P12ihipStream_tbDpT10_ENKUlT_T0_E_clISt17integral_constantIbLb0EES1C_EEDaS17_S18_EUlS17_E_NS1_11comp_targetILNS1_3genE8ELNS1_11target_archE1030ELNS1_3gpuE2ELNS1_3repE0EEENS1_30default_config_static_selectorELNS0_4arch9wavefront6targetE1EEEvT1_
    .private_segment_fixed_size: 0
    .sgpr_count:     6
    .sgpr_spill_count: 0
    .symbol:         _ZN7rocprim17ROCPRIM_400000_NS6detail17trampoline_kernelINS0_14default_configENS1_25partition_config_selectorILNS1_17partition_subalgoE8ElNS0_10empty_typeEbEEZZNS1_14partition_implILS5_8ELb0ES3_jPlPS6_PKS6_NS0_5tupleIJS9_S6_EEENSD_IJSA_SA_EEENS0_18inequality_wrapperIZN2at6native12_GLOBAL__N_124unique_dim_cuda_templateImEESt5tupleIJNSH_6TensorESM_SM_EERKSM_lbbbEUlllE0_EEPmJS6_EEE10hipError_tPvRmT3_T4_T5_T6_T7_T9_mT8_P12ihipStream_tbDpT10_ENKUlT_T0_E_clISt17integral_constantIbLb0EES1C_EEDaS17_S18_EUlS17_E_NS1_11comp_targetILNS1_3genE8ELNS1_11target_archE1030ELNS1_3gpuE2ELNS1_3repE0EEENS1_30default_config_static_selectorELNS0_4arch9wavefront6targetE1EEEvT1_.kd
    .uniform_work_group_size: 1
    .uses_dynamic_stack: false
    .vgpr_count:     0
    .vgpr_spill_count: 0
    .wavefront_size: 64
  - .agpr_count:     0
    .args:
      - .offset:         0
        .size:           136
        .value_kind:     by_value
    .group_segment_fixed_size: 0
    .kernarg_segment_align: 8
    .kernarg_segment_size: 136
    .language:       OpenCL C
    .language_version:
      - 2
      - 0
    .max_flat_workgroup_size: 512
    .name:           _ZN7rocprim17ROCPRIM_400000_NS6detail17trampoline_kernelINS0_14default_configENS1_25partition_config_selectorILNS1_17partition_subalgoE8ElNS0_10empty_typeEbEEZZNS1_14partition_implILS5_8ELb0ES3_jPlPS6_PKS6_NS0_5tupleIJS9_S6_EEENSD_IJSA_SA_EEENS0_18inequality_wrapperIZN2at6native12_GLOBAL__N_124unique_dim_cuda_templateImEESt5tupleIJNSH_6TensorESM_SM_EERKSM_lbbbEUlllE0_EEPmJS6_EEE10hipError_tPvRmT3_T4_T5_T6_T7_T9_mT8_P12ihipStream_tbDpT10_ENKUlT_T0_E_clISt17integral_constantIbLb1EES1C_EEDaS17_S18_EUlS17_E_NS1_11comp_targetILNS1_3genE0ELNS1_11target_archE4294967295ELNS1_3gpuE0ELNS1_3repE0EEENS1_30default_config_static_selectorELNS0_4arch9wavefront6targetE1EEEvT1_
    .private_segment_fixed_size: 0
    .sgpr_count:     6
    .sgpr_spill_count: 0
    .symbol:         _ZN7rocprim17ROCPRIM_400000_NS6detail17trampoline_kernelINS0_14default_configENS1_25partition_config_selectorILNS1_17partition_subalgoE8ElNS0_10empty_typeEbEEZZNS1_14partition_implILS5_8ELb0ES3_jPlPS6_PKS6_NS0_5tupleIJS9_S6_EEENSD_IJSA_SA_EEENS0_18inequality_wrapperIZN2at6native12_GLOBAL__N_124unique_dim_cuda_templateImEESt5tupleIJNSH_6TensorESM_SM_EERKSM_lbbbEUlllE0_EEPmJS6_EEE10hipError_tPvRmT3_T4_T5_T6_T7_T9_mT8_P12ihipStream_tbDpT10_ENKUlT_T0_E_clISt17integral_constantIbLb1EES1C_EEDaS17_S18_EUlS17_E_NS1_11comp_targetILNS1_3genE0ELNS1_11target_archE4294967295ELNS1_3gpuE0ELNS1_3repE0EEENS1_30default_config_static_selectorELNS0_4arch9wavefront6targetE1EEEvT1_.kd
    .uniform_work_group_size: 1
    .uses_dynamic_stack: false
    .vgpr_count:     0
    .vgpr_spill_count: 0
    .wavefront_size: 64
  - .agpr_count:     0
    .args:
      - .offset:         0
        .size:           136
        .value_kind:     by_value
    .group_segment_fixed_size: 28684
    .kernarg_segment_align: 8
    .kernarg_segment_size: 136
    .language:       OpenCL C
    .language_version:
      - 2
      - 0
    .max_flat_workgroup_size: 512
    .name:           _ZN7rocprim17ROCPRIM_400000_NS6detail17trampoline_kernelINS0_14default_configENS1_25partition_config_selectorILNS1_17partition_subalgoE8ElNS0_10empty_typeEbEEZZNS1_14partition_implILS5_8ELb0ES3_jPlPS6_PKS6_NS0_5tupleIJS9_S6_EEENSD_IJSA_SA_EEENS0_18inequality_wrapperIZN2at6native12_GLOBAL__N_124unique_dim_cuda_templateImEESt5tupleIJNSH_6TensorESM_SM_EERKSM_lbbbEUlllE0_EEPmJS6_EEE10hipError_tPvRmT3_T4_T5_T6_T7_T9_mT8_P12ihipStream_tbDpT10_ENKUlT_T0_E_clISt17integral_constantIbLb1EES1C_EEDaS17_S18_EUlS17_E_NS1_11comp_targetILNS1_3genE5ELNS1_11target_archE942ELNS1_3gpuE9ELNS1_3repE0EEENS1_30default_config_static_selectorELNS0_4arch9wavefront6targetE1EEEvT1_
    .private_segment_fixed_size: 0
    .sgpr_count:     62
    .sgpr_spill_count: 0
    .symbol:         _ZN7rocprim17ROCPRIM_400000_NS6detail17trampoline_kernelINS0_14default_configENS1_25partition_config_selectorILNS1_17partition_subalgoE8ElNS0_10empty_typeEbEEZZNS1_14partition_implILS5_8ELb0ES3_jPlPS6_PKS6_NS0_5tupleIJS9_S6_EEENSD_IJSA_SA_EEENS0_18inequality_wrapperIZN2at6native12_GLOBAL__N_124unique_dim_cuda_templateImEESt5tupleIJNSH_6TensorESM_SM_EERKSM_lbbbEUlllE0_EEPmJS6_EEE10hipError_tPvRmT3_T4_T5_T6_T7_T9_mT8_P12ihipStream_tbDpT10_ENKUlT_T0_E_clISt17integral_constantIbLb1EES1C_EEDaS17_S18_EUlS17_E_NS1_11comp_targetILNS1_3genE5ELNS1_11target_archE942ELNS1_3gpuE9ELNS1_3repE0EEENS1_30default_config_static_selectorELNS0_4arch9wavefront6targetE1EEEvT1_.kd
    .uniform_work_group_size: 1
    .uses_dynamic_stack: false
    .vgpr_count:     52
    .vgpr_spill_count: 0
    .wavefront_size: 64
  - .agpr_count:     0
    .args:
      - .offset:         0
        .size:           136
        .value_kind:     by_value
    .group_segment_fixed_size: 0
    .kernarg_segment_align: 8
    .kernarg_segment_size: 136
    .language:       OpenCL C
    .language_version:
      - 2
      - 0
    .max_flat_workgroup_size: 256
    .name:           _ZN7rocprim17ROCPRIM_400000_NS6detail17trampoline_kernelINS0_14default_configENS1_25partition_config_selectorILNS1_17partition_subalgoE8ElNS0_10empty_typeEbEEZZNS1_14partition_implILS5_8ELb0ES3_jPlPS6_PKS6_NS0_5tupleIJS9_S6_EEENSD_IJSA_SA_EEENS0_18inequality_wrapperIZN2at6native12_GLOBAL__N_124unique_dim_cuda_templateImEESt5tupleIJNSH_6TensorESM_SM_EERKSM_lbbbEUlllE0_EEPmJS6_EEE10hipError_tPvRmT3_T4_T5_T6_T7_T9_mT8_P12ihipStream_tbDpT10_ENKUlT_T0_E_clISt17integral_constantIbLb1EES1C_EEDaS17_S18_EUlS17_E_NS1_11comp_targetILNS1_3genE4ELNS1_11target_archE910ELNS1_3gpuE8ELNS1_3repE0EEENS1_30default_config_static_selectorELNS0_4arch9wavefront6targetE1EEEvT1_
    .private_segment_fixed_size: 0
    .sgpr_count:     6
    .sgpr_spill_count: 0
    .symbol:         _ZN7rocprim17ROCPRIM_400000_NS6detail17trampoline_kernelINS0_14default_configENS1_25partition_config_selectorILNS1_17partition_subalgoE8ElNS0_10empty_typeEbEEZZNS1_14partition_implILS5_8ELb0ES3_jPlPS6_PKS6_NS0_5tupleIJS9_S6_EEENSD_IJSA_SA_EEENS0_18inequality_wrapperIZN2at6native12_GLOBAL__N_124unique_dim_cuda_templateImEESt5tupleIJNSH_6TensorESM_SM_EERKSM_lbbbEUlllE0_EEPmJS6_EEE10hipError_tPvRmT3_T4_T5_T6_T7_T9_mT8_P12ihipStream_tbDpT10_ENKUlT_T0_E_clISt17integral_constantIbLb1EES1C_EEDaS17_S18_EUlS17_E_NS1_11comp_targetILNS1_3genE4ELNS1_11target_archE910ELNS1_3gpuE8ELNS1_3repE0EEENS1_30default_config_static_selectorELNS0_4arch9wavefront6targetE1EEEvT1_.kd
    .uniform_work_group_size: 1
    .uses_dynamic_stack: false
    .vgpr_count:     0
    .vgpr_spill_count: 0
    .wavefront_size: 64
  - .agpr_count:     0
    .args:
      - .offset:         0
        .size:           136
        .value_kind:     by_value
    .group_segment_fixed_size: 0
    .kernarg_segment_align: 8
    .kernarg_segment_size: 136
    .language:       OpenCL C
    .language_version:
      - 2
      - 0
    .max_flat_workgroup_size: 512
    .name:           _ZN7rocprim17ROCPRIM_400000_NS6detail17trampoline_kernelINS0_14default_configENS1_25partition_config_selectorILNS1_17partition_subalgoE8ElNS0_10empty_typeEbEEZZNS1_14partition_implILS5_8ELb0ES3_jPlPS6_PKS6_NS0_5tupleIJS9_S6_EEENSD_IJSA_SA_EEENS0_18inequality_wrapperIZN2at6native12_GLOBAL__N_124unique_dim_cuda_templateImEESt5tupleIJNSH_6TensorESM_SM_EERKSM_lbbbEUlllE0_EEPmJS6_EEE10hipError_tPvRmT3_T4_T5_T6_T7_T9_mT8_P12ihipStream_tbDpT10_ENKUlT_T0_E_clISt17integral_constantIbLb1EES1C_EEDaS17_S18_EUlS17_E_NS1_11comp_targetILNS1_3genE3ELNS1_11target_archE908ELNS1_3gpuE7ELNS1_3repE0EEENS1_30default_config_static_selectorELNS0_4arch9wavefront6targetE1EEEvT1_
    .private_segment_fixed_size: 0
    .sgpr_count:     6
    .sgpr_spill_count: 0
    .symbol:         _ZN7rocprim17ROCPRIM_400000_NS6detail17trampoline_kernelINS0_14default_configENS1_25partition_config_selectorILNS1_17partition_subalgoE8ElNS0_10empty_typeEbEEZZNS1_14partition_implILS5_8ELb0ES3_jPlPS6_PKS6_NS0_5tupleIJS9_S6_EEENSD_IJSA_SA_EEENS0_18inequality_wrapperIZN2at6native12_GLOBAL__N_124unique_dim_cuda_templateImEESt5tupleIJNSH_6TensorESM_SM_EERKSM_lbbbEUlllE0_EEPmJS6_EEE10hipError_tPvRmT3_T4_T5_T6_T7_T9_mT8_P12ihipStream_tbDpT10_ENKUlT_T0_E_clISt17integral_constantIbLb1EES1C_EEDaS17_S18_EUlS17_E_NS1_11comp_targetILNS1_3genE3ELNS1_11target_archE908ELNS1_3gpuE7ELNS1_3repE0EEENS1_30default_config_static_selectorELNS0_4arch9wavefront6targetE1EEEvT1_.kd
    .uniform_work_group_size: 1
    .uses_dynamic_stack: false
    .vgpr_count:     0
    .vgpr_spill_count: 0
    .wavefront_size: 64
  - .agpr_count:     0
    .args:
      - .offset:         0
        .size:           136
        .value_kind:     by_value
    .group_segment_fixed_size: 0
    .kernarg_segment_align: 8
    .kernarg_segment_size: 136
    .language:       OpenCL C
    .language_version:
      - 2
      - 0
    .max_flat_workgroup_size: 256
    .name:           _ZN7rocprim17ROCPRIM_400000_NS6detail17trampoline_kernelINS0_14default_configENS1_25partition_config_selectorILNS1_17partition_subalgoE8ElNS0_10empty_typeEbEEZZNS1_14partition_implILS5_8ELb0ES3_jPlPS6_PKS6_NS0_5tupleIJS9_S6_EEENSD_IJSA_SA_EEENS0_18inequality_wrapperIZN2at6native12_GLOBAL__N_124unique_dim_cuda_templateImEESt5tupleIJNSH_6TensorESM_SM_EERKSM_lbbbEUlllE0_EEPmJS6_EEE10hipError_tPvRmT3_T4_T5_T6_T7_T9_mT8_P12ihipStream_tbDpT10_ENKUlT_T0_E_clISt17integral_constantIbLb1EES1C_EEDaS17_S18_EUlS17_E_NS1_11comp_targetILNS1_3genE2ELNS1_11target_archE906ELNS1_3gpuE6ELNS1_3repE0EEENS1_30default_config_static_selectorELNS0_4arch9wavefront6targetE1EEEvT1_
    .private_segment_fixed_size: 0
    .sgpr_count:     6
    .sgpr_spill_count: 0
    .symbol:         _ZN7rocprim17ROCPRIM_400000_NS6detail17trampoline_kernelINS0_14default_configENS1_25partition_config_selectorILNS1_17partition_subalgoE8ElNS0_10empty_typeEbEEZZNS1_14partition_implILS5_8ELb0ES3_jPlPS6_PKS6_NS0_5tupleIJS9_S6_EEENSD_IJSA_SA_EEENS0_18inequality_wrapperIZN2at6native12_GLOBAL__N_124unique_dim_cuda_templateImEESt5tupleIJNSH_6TensorESM_SM_EERKSM_lbbbEUlllE0_EEPmJS6_EEE10hipError_tPvRmT3_T4_T5_T6_T7_T9_mT8_P12ihipStream_tbDpT10_ENKUlT_T0_E_clISt17integral_constantIbLb1EES1C_EEDaS17_S18_EUlS17_E_NS1_11comp_targetILNS1_3genE2ELNS1_11target_archE906ELNS1_3gpuE6ELNS1_3repE0EEENS1_30default_config_static_selectorELNS0_4arch9wavefront6targetE1EEEvT1_.kd
    .uniform_work_group_size: 1
    .uses_dynamic_stack: false
    .vgpr_count:     0
    .vgpr_spill_count: 0
    .wavefront_size: 64
  - .agpr_count:     0
    .args:
      - .offset:         0
        .size:           136
        .value_kind:     by_value
    .group_segment_fixed_size: 0
    .kernarg_segment_align: 8
    .kernarg_segment_size: 136
    .language:       OpenCL C
    .language_version:
      - 2
      - 0
    .max_flat_workgroup_size: 384
    .name:           _ZN7rocprim17ROCPRIM_400000_NS6detail17trampoline_kernelINS0_14default_configENS1_25partition_config_selectorILNS1_17partition_subalgoE8ElNS0_10empty_typeEbEEZZNS1_14partition_implILS5_8ELb0ES3_jPlPS6_PKS6_NS0_5tupleIJS9_S6_EEENSD_IJSA_SA_EEENS0_18inequality_wrapperIZN2at6native12_GLOBAL__N_124unique_dim_cuda_templateImEESt5tupleIJNSH_6TensorESM_SM_EERKSM_lbbbEUlllE0_EEPmJS6_EEE10hipError_tPvRmT3_T4_T5_T6_T7_T9_mT8_P12ihipStream_tbDpT10_ENKUlT_T0_E_clISt17integral_constantIbLb1EES1C_EEDaS17_S18_EUlS17_E_NS1_11comp_targetILNS1_3genE10ELNS1_11target_archE1200ELNS1_3gpuE4ELNS1_3repE0EEENS1_30default_config_static_selectorELNS0_4arch9wavefront6targetE1EEEvT1_
    .private_segment_fixed_size: 0
    .sgpr_count:     6
    .sgpr_spill_count: 0
    .symbol:         _ZN7rocprim17ROCPRIM_400000_NS6detail17trampoline_kernelINS0_14default_configENS1_25partition_config_selectorILNS1_17partition_subalgoE8ElNS0_10empty_typeEbEEZZNS1_14partition_implILS5_8ELb0ES3_jPlPS6_PKS6_NS0_5tupleIJS9_S6_EEENSD_IJSA_SA_EEENS0_18inequality_wrapperIZN2at6native12_GLOBAL__N_124unique_dim_cuda_templateImEESt5tupleIJNSH_6TensorESM_SM_EERKSM_lbbbEUlllE0_EEPmJS6_EEE10hipError_tPvRmT3_T4_T5_T6_T7_T9_mT8_P12ihipStream_tbDpT10_ENKUlT_T0_E_clISt17integral_constantIbLb1EES1C_EEDaS17_S18_EUlS17_E_NS1_11comp_targetILNS1_3genE10ELNS1_11target_archE1200ELNS1_3gpuE4ELNS1_3repE0EEENS1_30default_config_static_selectorELNS0_4arch9wavefront6targetE1EEEvT1_.kd
    .uniform_work_group_size: 1
    .uses_dynamic_stack: false
    .vgpr_count:     0
    .vgpr_spill_count: 0
    .wavefront_size: 64
  - .agpr_count:     0
    .args:
      - .offset:         0
        .size:           136
        .value_kind:     by_value
    .group_segment_fixed_size: 0
    .kernarg_segment_align: 8
    .kernarg_segment_size: 136
    .language:       OpenCL C
    .language_version:
      - 2
      - 0
    .max_flat_workgroup_size: 512
    .name:           _ZN7rocprim17ROCPRIM_400000_NS6detail17trampoline_kernelINS0_14default_configENS1_25partition_config_selectorILNS1_17partition_subalgoE8ElNS0_10empty_typeEbEEZZNS1_14partition_implILS5_8ELb0ES3_jPlPS6_PKS6_NS0_5tupleIJS9_S6_EEENSD_IJSA_SA_EEENS0_18inequality_wrapperIZN2at6native12_GLOBAL__N_124unique_dim_cuda_templateImEESt5tupleIJNSH_6TensorESM_SM_EERKSM_lbbbEUlllE0_EEPmJS6_EEE10hipError_tPvRmT3_T4_T5_T6_T7_T9_mT8_P12ihipStream_tbDpT10_ENKUlT_T0_E_clISt17integral_constantIbLb1EES1C_EEDaS17_S18_EUlS17_E_NS1_11comp_targetILNS1_3genE9ELNS1_11target_archE1100ELNS1_3gpuE3ELNS1_3repE0EEENS1_30default_config_static_selectorELNS0_4arch9wavefront6targetE1EEEvT1_
    .private_segment_fixed_size: 0
    .sgpr_count:     6
    .sgpr_spill_count: 0
    .symbol:         _ZN7rocprim17ROCPRIM_400000_NS6detail17trampoline_kernelINS0_14default_configENS1_25partition_config_selectorILNS1_17partition_subalgoE8ElNS0_10empty_typeEbEEZZNS1_14partition_implILS5_8ELb0ES3_jPlPS6_PKS6_NS0_5tupleIJS9_S6_EEENSD_IJSA_SA_EEENS0_18inequality_wrapperIZN2at6native12_GLOBAL__N_124unique_dim_cuda_templateImEESt5tupleIJNSH_6TensorESM_SM_EERKSM_lbbbEUlllE0_EEPmJS6_EEE10hipError_tPvRmT3_T4_T5_T6_T7_T9_mT8_P12ihipStream_tbDpT10_ENKUlT_T0_E_clISt17integral_constantIbLb1EES1C_EEDaS17_S18_EUlS17_E_NS1_11comp_targetILNS1_3genE9ELNS1_11target_archE1100ELNS1_3gpuE3ELNS1_3repE0EEENS1_30default_config_static_selectorELNS0_4arch9wavefront6targetE1EEEvT1_.kd
    .uniform_work_group_size: 1
    .uses_dynamic_stack: false
    .vgpr_count:     0
    .vgpr_spill_count: 0
    .wavefront_size: 64
  - .agpr_count:     0
    .args:
      - .offset:         0
        .size:           136
        .value_kind:     by_value
    .group_segment_fixed_size: 0
    .kernarg_segment_align: 8
    .kernarg_segment_size: 136
    .language:       OpenCL C
    .language_version:
      - 2
      - 0
    .max_flat_workgroup_size: 512
    .name:           _ZN7rocprim17ROCPRIM_400000_NS6detail17trampoline_kernelINS0_14default_configENS1_25partition_config_selectorILNS1_17partition_subalgoE8ElNS0_10empty_typeEbEEZZNS1_14partition_implILS5_8ELb0ES3_jPlPS6_PKS6_NS0_5tupleIJS9_S6_EEENSD_IJSA_SA_EEENS0_18inequality_wrapperIZN2at6native12_GLOBAL__N_124unique_dim_cuda_templateImEESt5tupleIJNSH_6TensorESM_SM_EERKSM_lbbbEUlllE0_EEPmJS6_EEE10hipError_tPvRmT3_T4_T5_T6_T7_T9_mT8_P12ihipStream_tbDpT10_ENKUlT_T0_E_clISt17integral_constantIbLb1EES1C_EEDaS17_S18_EUlS17_E_NS1_11comp_targetILNS1_3genE8ELNS1_11target_archE1030ELNS1_3gpuE2ELNS1_3repE0EEENS1_30default_config_static_selectorELNS0_4arch9wavefront6targetE1EEEvT1_
    .private_segment_fixed_size: 0
    .sgpr_count:     6
    .sgpr_spill_count: 0
    .symbol:         _ZN7rocprim17ROCPRIM_400000_NS6detail17trampoline_kernelINS0_14default_configENS1_25partition_config_selectorILNS1_17partition_subalgoE8ElNS0_10empty_typeEbEEZZNS1_14partition_implILS5_8ELb0ES3_jPlPS6_PKS6_NS0_5tupleIJS9_S6_EEENSD_IJSA_SA_EEENS0_18inequality_wrapperIZN2at6native12_GLOBAL__N_124unique_dim_cuda_templateImEESt5tupleIJNSH_6TensorESM_SM_EERKSM_lbbbEUlllE0_EEPmJS6_EEE10hipError_tPvRmT3_T4_T5_T6_T7_T9_mT8_P12ihipStream_tbDpT10_ENKUlT_T0_E_clISt17integral_constantIbLb1EES1C_EEDaS17_S18_EUlS17_E_NS1_11comp_targetILNS1_3genE8ELNS1_11target_archE1030ELNS1_3gpuE2ELNS1_3repE0EEENS1_30default_config_static_selectorELNS0_4arch9wavefront6targetE1EEEvT1_.kd
    .uniform_work_group_size: 1
    .uses_dynamic_stack: false
    .vgpr_count:     0
    .vgpr_spill_count: 0
    .wavefront_size: 64
  - .agpr_count:     0
    .args:
      - .offset:         0
        .size:           120
        .value_kind:     by_value
    .group_segment_fixed_size: 0
    .kernarg_segment_align: 8
    .kernarg_segment_size: 120
    .language:       OpenCL C
    .language_version:
      - 2
      - 0
    .max_flat_workgroup_size: 512
    .name:           _ZN7rocprim17ROCPRIM_400000_NS6detail17trampoline_kernelINS0_14default_configENS1_25partition_config_selectorILNS1_17partition_subalgoE8ElNS0_10empty_typeEbEEZZNS1_14partition_implILS5_8ELb0ES3_jPlPS6_PKS6_NS0_5tupleIJS9_S6_EEENSD_IJSA_SA_EEENS0_18inequality_wrapperIZN2at6native12_GLOBAL__N_124unique_dim_cuda_templateImEESt5tupleIJNSH_6TensorESM_SM_EERKSM_lbbbEUlllE0_EEPmJS6_EEE10hipError_tPvRmT3_T4_T5_T6_T7_T9_mT8_P12ihipStream_tbDpT10_ENKUlT_T0_E_clISt17integral_constantIbLb1EES1B_IbLb0EEEEDaS17_S18_EUlS17_E_NS1_11comp_targetILNS1_3genE0ELNS1_11target_archE4294967295ELNS1_3gpuE0ELNS1_3repE0EEENS1_30default_config_static_selectorELNS0_4arch9wavefront6targetE1EEEvT1_
    .private_segment_fixed_size: 0
    .sgpr_count:     6
    .sgpr_spill_count: 0
    .symbol:         _ZN7rocprim17ROCPRIM_400000_NS6detail17trampoline_kernelINS0_14default_configENS1_25partition_config_selectorILNS1_17partition_subalgoE8ElNS0_10empty_typeEbEEZZNS1_14partition_implILS5_8ELb0ES3_jPlPS6_PKS6_NS0_5tupleIJS9_S6_EEENSD_IJSA_SA_EEENS0_18inequality_wrapperIZN2at6native12_GLOBAL__N_124unique_dim_cuda_templateImEESt5tupleIJNSH_6TensorESM_SM_EERKSM_lbbbEUlllE0_EEPmJS6_EEE10hipError_tPvRmT3_T4_T5_T6_T7_T9_mT8_P12ihipStream_tbDpT10_ENKUlT_T0_E_clISt17integral_constantIbLb1EES1B_IbLb0EEEEDaS17_S18_EUlS17_E_NS1_11comp_targetILNS1_3genE0ELNS1_11target_archE4294967295ELNS1_3gpuE0ELNS1_3repE0EEENS1_30default_config_static_selectorELNS0_4arch9wavefront6targetE1EEEvT1_.kd
    .uniform_work_group_size: 1
    .uses_dynamic_stack: false
    .vgpr_count:     0
    .vgpr_spill_count: 0
    .wavefront_size: 64
  - .agpr_count:     0
    .args:
      - .offset:         0
        .size:           120
        .value_kind:     by_value
    .group_segment_fixed_size: 28684
    .kernarg_segment_align: 8
    .kernarg_segment_size: 120
    .language:       OpenCL C
    .language_version:
      - 2
      - 0
    .max_flat_workgroup_size: 512
    .name:           _ZN7rocprim17ROCPRIM_400000_NS6detail17trampoline_kernelINS0_14default_configENS1_25partition_config_selectorILNS1_17partition_subalgoE8ElNS0_10empty_typeEbEEZZNS1_14partition_implILS5_8ELb0ES3_jPlPS6_PKS6_NS0_5tupleIJS9_S6_EEENSD_IJSA_SA_EEENS0_18inequality_wrapperIZN2at6native12_GLOBAL__N_124unique_dim_cuda_templateImEESt5tupleIJNSH_6TensorESM_SM_EERKSM_lbbbEUlllE0_EEPmJS6_EEE10hipError_tPvRmT3_T4_T5_T6_T7_T9_mT8_P12ihipStream_tbDpT10_ENKUlT_T0_E_clISt17integral_constantIbLb1EES1B_IbLb0EEEEDaS17_S18_EUlS17_E_NS1_11comp_targetILNS1_3genE5ELNS1_11target_archE942ELNS1_3gpuE9ELNS1_3repE0EEENS1_30default_config_static_selectorELNS0_4arch9wavefront6targetE1EEEvT1_
    .private_segment_fixed_size: 0
    .sgpr_count:     58
    .sgpr_spill_count: 0
    .symbol:         _ZN7rocprim17ROCPRIM_400000_NS6detail17trampoline_kernelINS0_14default_configENS1_25partition_config_selectorILNS1_17partition_subalgoE8ElNS0_10empty_typeEbEEZZNS1_14partition_implILS5_8ELb0ES3_jPlPS6_PKS6_NS0_5tupleIJS9_S6_EEENSD_IJSA_SA_EEENS0_18inequality_wrapperIZN2at6native12_GLOBAL__N_124unique_dim_cuda_templateImEESt5tupleIJNSH_6TensorESM_SM_EERKSM_lbbbEUlllE0_EEPmJS6_EEE10hipError_tPvRmT3_T4_T5_T6_T7_T9_mT8_P12ihipStream_tbDpT10_ENKUlT_T0_E_clISt17integral_constantIbLb1EES1B_IbLb0EEEEDaS17_S18_EUlS17_E_NS1_11comp_targetILNS1_3genE5ELNS1_11target_archE942ELNS1_3gpuE9ELNS1_3repE0EEENS1_30default_config_static_selectorELNS0_4arch9wavefront6targetE1EEEvT1_.kd
    .uniform_work_group_size: 1
    .uses_dynamic_stack: false
    .vgpr_count:     52
    .vgpr_spill_count: 0
    .wavefront_size: 64
  - .agpr_count:     0
    .args:
      - .offset:         0
        .size:           120
        .value_kind:     by_value
    .group_segment_fixed_size: 0
    .kernarg_segment_align: 8
    .kernarg_segment_size: 120
    .language:       OpenCL C
    .language_version:
      - 2
      - 0
    .max_flat_workgroup_size: 256
    .name:           _ZN7rocprim17ROCPRIM_400000_NS6detail17trampoline_kernelINS0_14default_configENS1_25partition_config_selectorILNS1_17partition_subalgoE8ElNS0_10empty_typeEbEEZZNS1_14partition_implILS5_8ELb0ES3_jPlPS6_PKS6_NS0_5tupleIJS9_S6_EEENSD_IJSA_SA_EEENS0_18inequality_wrapperIZN2at6native12_GLOBAL__N_124unique_dim_cuda_templateImEESt5tupleIJNSH_6TensorESM_SM_EERKSM_lbbbEUlllE0_EEPmJS6_EEE10hipError_tPvRmT3_T4_T5_T6_T7_T9_mT8_P12ihipStream_tbDpT10_ENKUlT_T0_E_clISt17integral_constantIbLb1EES1B_IbLb0EEEEDaS17_S18_EUlS17_E_NS1_11comp_targetILNS1_3genE4ELNS1_11target_archE910ELNS1_3gpuE8ELNS1_3repE0EEENS1_30default_config_static_selectorELNS0_4arch9wavefront6targetE1EEEvT1_
    .private_segment_fixed_size: 0
    .sgpr_count:     6
    .sgpr_spill_count: 0
    .symbol:         _ZN7rocprim17ROCPRIM_400000_NS6detail17trampoline_kernelINS0_14default_configENS1_25partition_config_selectorILNS1_17partition_subalgoE8ElNS0_10empty_typeEbEEZZNS1_14partition_implILS5_8ELb0ES3_jPlPS6_PKS6_NS0_5tupleIJS9_S6_EEENSD_IJSA_SA_EEENS0_18inequality_wrapperIZN2at6native12_GLOBAL__N_124unique_dim_cuda_templateImEESt5tupleIJNSH_6TensorESM_SM_EERKSM_lbbbEUlllE0_EEPmJS6_EEE10hipError_tPvRmT3_T4_T5_T6_T7_T9_mT8_P12ihipStream_tbDpT10_ENKUlT_T0_E_clISt17integral_constantIbLb1EES1B_IbLb0EEEEDaS17_S18_EUlS17_E_NS1_11comp_targetILNS1_3genE4ELNS1_11target_archE910ELNS1_3gpuE8ELNS1_3repE0EEENS1_30default_config_static_selectorELNS0_4arch9wavefront6targetE1EEEvT1_.kd
    .uniform_work_group_size: 1
    .uses_dynamic_stack: false
    .vgpr_count:     0
    .vgpr_spill_count: 0
    .wavefront_size: 64
  - .agpr_count:     0
    .args:
      - .offset:         0
        .size:           120
        .value_kind:     by_value
    .group_segment_fixed_size: 0
    .kernarg_segment_align: 8
    .kernarg_segment_size: 120
    .language:       OpenCL C
    .language_version:
      - 2
      - 0
    .max_flat_workgroup_size: 512
    .name:           _ZN7rocprim17ROCPRIM_400000_NS6detail17trampoline_kernelINS0_14default_configENS1_25partition_config_selectorILNS1_17partition_subalgoE8ElNS0_10empty_typeEbEEZZNS1_14partition_implILS5_8ELb0ES3_jPlPS6_PKS6_NS0_5tupleIJS9_S6_EEENSD_IJSA_SA_EEENS0_18inequality_wrapperIZN2at6native12_GLOBAL__N_124unique_dim_cuda_templateImEESt5tupleIJNSH_6TensorESM_SM_EERKSM_lbbbEUlllE0_EEPmJS6_EEE10hipError_tPvRmT3_T4_T5_T6_T7_T9_mT8_P12ihipStream_tbDpT10_ENKUlT_T0_E_clISt17integral_constantIbLb1EES1B_IbLb0EEEEDaS17_S18_EUlS17_E_NS1_11comp_targetILNS1_3genE3ELNS1_11target_archE908ELNS1_3gpuE7ELNS1_3repE0EEENS1_30default_config_static_selectorELNS0_4arch9wavefront6targetE1EEEvT1_
    .private_segment_fixed_size: 0
    .sgpr_count:     6
    .sgpr_spill_count: 0
    .symbol:         _ZN7rocprim17ROCPRIM_400000_NS6detail17trampoline_kernelINS0_14default_configENS1_25partition_config_selectorILNS1_17partition_subalgoE8ElNS0_10empty_typeEbEEZZNS1_14partition_implILS5_8ELb0ES3_jPlPS6_PKS6_NS0_5tupleIJS9_S6_EEENSD_IJSA_SA_EEENS0_18inequality_wrapperIZN2at6native12_GLOBAL__N_124unique_dim_cuda_templateImEESt5tupleIJNSH_6TensorESM_SM_EERKSM_lbbbEUlllE0_EEPmJS6_EEE10hipError_tPvRmT3_T4_T5_T6_T7_T9_mT8_P12ihipStream_tbDpT10_ENKUlT_T0_E_clISt17integral_constantIbLb1EES1B_IbLb0EEEEDaS17_S18_EUlS17_E_NS1_11comp_targetILNS1_3genE3ELNS1_11target_archE908ELNS1_3gpuE7ELNS1_3repE0EEENS1_30default_config_static_selectorELNS0_4arch9wavefront6targetE1EEEvT1_.kd
    .uniform_work_group_size: 1
    .uses_dynamic_stack: false
    .vgpr_count:     0
    .vgpr_spill_count: 0
    .wavefront_size: 64
  - .agpr_count:     0
    .args:
      - .offset:         0
        .size:           120
        .value_kind:     by_value
    .group_segment_fixed_size: 0
    .kernarg_segment_align: 8
    .kernarg_segment_size: 120
    .language:       OpenCL C
    .language_version:
      - 2
      - 0
    .max_flat_workgroup_size: 256
    .name:           _ZN7rocprim17ROCPRIM_400000_NS6detail17trampoline_kernelINS0_14default_configENS1_25partition_config_selectorILNS1_17partition_subalgoE8ElNS0_10empty_typeEbEEZZNS1_14partition_implILS5_8ELb0ES3_jPlPS6_PKS6_NS0_5tupleIJS9_S6_EEENSD_IJSA_SA_EEENS0_18inequality_wrapperIZN2at6native12_GLOBAL__N_124unique_dim_cuda_templateImEESt5tupleIJNSH_6TensorESM_SM_EERKSM_lbbbEUlllE0_EEPmJS6_EEE10hipError_tPvRmT3_T4_T5_T6_T7_T9_mT8_P12ihipStream_tbDpT10_ENKUlT_T0_E_clISt17integral_constantIbLb1EES1B_IbLb0EEEEDaS17_S18_EUlS17_E_NS1_11comp_targetILNS1_3genE2ELNS1_11target_archE906ELNS1_3gpuE6ELNS1_3repE0EEENS1_30default_config_static_selectorELNS0_4arch9wavefront6targetE1EEEvT1_
    .private_segment_fixed_size: 0
    .sgpr_count:     6
    .sgpr_spill_count: 0
    .symbol:         _ZN7rocprim17ROCPRIM_400000_NS6detail17trampoline_kernelINS0_14default_configENS1_25partition_config_selectorILNS1_17partition_subalgoE8ElNS0_10empty_typeEbEEZZNS1_14partition_implILS5_8ELb0ES3_jPlPS6_PKS6_NS0_5tupleIJS9_S6_EEENSD_IJSA_SA_EEENS0_18inequality_wrapperIZN2at6native12_GLOBAL__N_124unique_dim_cuda_templateImEESt5tupleIJNSH_6TensorESM_SM_EERKSM_lbbbEUlllE0_EEPmJS6_EEE10hipError_tPvRmT3_T4_T5_T6_T7_T9_mT8_P12ihipStream_tbDpT10_ENKUlT_T0_E_clISt17integral_constantIbLb1EES1B_IbLb0EEEEDaS17_S18_EUlS17_E_NS1_11comp_targetILNS1_3genE2ELNS1_11target_archE906ELNS1_3gpuE6ELNS1_3repE0EEENS1_30default_config_static_selectorELNS0_4arch9wavefront6targetE1EEEvT1_.kd
    .uniform_work_group_size: 1
    .uses_dynamic_stack: false
    .vgpr_count:     0
    .vgpr_spill_count: 0
    .wavefront_size: 64
  - .agpr_count:     0
    .args:
      - .offset:         0
        .size:           120
        .value_kind:     by_value
    .group_segment_fixed_size: 0
    .kernarg_segment_align: 8
    .kernarg_segment_size: 120
    .language:       OpenCL C
    .language_version:
      - 2
      - 0
    .max_flat_workgroup_size: 384
    .name:           _ZN7rocprim17ROCPRIM_400000_NS6detail17trampoline_kernelINS0_14default_configENS1_25partition_config_selectorILNS1_17partition_subalgoE8ElNS0_10empty_typeEbEEZZNS1_14partition_implILS5_8ELb0ES3_jPlPS6_PKS6_NS0_5tupleIJS9_S6_EEENSD_IJSA_SA_EEENS0_18inequality_wrapperIZN2at6native12_GLOBAL__N_124unique_dim_cuda_templateImEESt5tupleIJNSH_6TensorESM_SM_EERKSM_lbbbEUlllE0_EEPmJS6_EEE10hipError_tPvRmT3_T4_T5_T6_T7_T9_mT8_P12ihipStream_tbDpT10_ENKUlT_T0_E_clISt17integral_constantIbLb1EES1B_IbLb0EEEEDaS17_S18_EUlS17_E_NS1_11comp_targetILNS1_3genE10ELNS1_11target_archE1200ELNS1_3gpuE4ELNS1_3repE0EEENS1_30default_config_static_selectorELNS0_4arch9wavefront6targetE1EEEvT1_
    .private_segment_fixed_size: 0
    .sgpr_count:     6
    .sgpr_spill_count: 0
    .symbol:         _ZN7rocprim17ROCPRIM_400000_NS6detail17trampoline_kernelINS0_14default_configENS1_25partition_config_selectorILNS1_17partition_subalgoE8ElNS0_10empty_typeEbEEZZNS1_14partition_implILS5_8ELb0ES3_jPlPS6_PKS6_NS0_5tupleIJS9_S6_EEENSD_IJSA_SA_EEENS0_18inequality_wrapperIZN2at6native12_GLOBAL__N_124unique_dim_cuda_templateImEESt5tupleIJNSH_6TensorESM_SM_EERKSM_lbbbEUlllE0_EEPmJS6_EEE10hipError_tPvRmT3_T4_T5_T6_T7_T9_mT8_P12ihipStream_tbDpT10_ENKUlT_T0_E_clISt17integral_constantIbLb1EES1B_IbLb0EEEEDaS17_S18_EUlS17_E_NS1_11comp_targetILNS1_3genE10ELNS1_11target_archE1200ELNS1_3gpuE4ELNS1_3repE0EEENS1_30default_config_static_selectorELNS0_4arch9wavefront6targetE1EEEvT1_.kd
    .uniform_work_group_size: 1
    .uses_dynamic_stack: false
    .vgpr_count:     0
    .vgpr_spill_count: 0
    .wavefront_size: 64
  - .agpr_count:     0
    .args:
      - .offset:         0
        .size:           120
        .value_kind:     by_value
    .group_segment_fixed_size: 0
    .kernarg_segment_align: 8
    .kernarg_segment_size: 120
    .language:       OpenCL C
    .language_version:
      - 2
      - 0
    .max_flat_workgroup_size: 512
    .name:           _ZN7rocprim17ROCPRIM_400000_NS6detail17trampoline_kernelINS0_14default_configENS1_25partition_config_selectorILNS1_17partition_subalgoE8ElNS0_10empty_typeEbEEZZNS1_14partition_implILS5_8ELb0ES3_jPlPS6_PKS6_NS0_5tupleIJS9_S6_EEENSD_IJSA_SA_EEENS0_18inequality_wrapperIZN2at6native12_GLOBAL__N_124unique_dim_cuda_templateImEESt5tupleIJNSH_6TensorESM_SM_EERKSM_lbbbEUlllE0_EEPmJS6_EEE10hipError_tPvRmT3_T4_T5_T6_T7_T9_mT8_P12ihipStream_tbDpT10_ENKUlT_T0_E_clISt17integral_constantIbLb1EES1B_IbLb0EEEEDaS17_S18_EUlS17_E_NS1_11comp_targetILNS1_3genE9ELNS1_11target_archE1100ELNS1_3gpuE3ELNS1_3repE0EEENS1_30default_config_static_selectorELNS0_4arch9wavefront6targetE1EEEvT1_
    .private_segment_fixed_size: 0
    .sgpr_count:     6
    .sgpr_spill_count: 0
    .symbol:         _ZN7rocprim17ROCPRIM_400000_NS6detail17trampoline_kernelINS0_14default_configENS1_25partition_config_selectorILNS1_17partition_subalgoE8ElNS0_10empty_typeEbEEZZNS1_14partition_implILS5_8ELb0ES3_jPlPS6_PKS6_NS0_5tupleIJS9_S6_EEENSD_IJSA_SA_EEENS0_18inequality_wrapperIZN2at6native12_GLOBAL__N_124unique_dim_cuda_templateImEESt5tupleIJNSH_6TensorESM_SM_EERKSM_lbbbEUlllE0_EEPmJS6_EEE10hipError_tPvRmT3_T4_T5_T6_T7_T9_mT8_P12ihipStream_tbDpT10_ENKUlT_T0_E_clISt17integral_constantIbLb1EES1B_IbLb0EEEEDaS17_S18_EUlS17_E_NS1_11comp_targetILNS1_3genE9ELNS1_11target_archE1100ELNS1_3gpuE3ELNS1_3repE0EEENS1_30default_config_static_selectorELNS0_4arch9wavefront6targetE1EEEvT1_.kd
    .uniform_work_group_size: 1
    .uses_dynamic_stack: false
    .vgpr_count:     0
    .vgpr_spill_count: 0
    .wavefront_size: 64
  - .agpr_count:     0
    .args:
      - .offset:         0
        .size:           120
        .value_kind:     by_value
    .group_segment_fixed_size: 0
    .kernarg_segment_align: 8
    .kernarg_segment_size: 120
    .language:       OpenCL C
    .language_version:
      - 2
      - 0
    .max_flat_workgroup_size: 512
    .name:           _ZN7rocprim17ROCPRIM_400000_NS6detail17trampoline_kernelINS0_14default_configENS1_25partition_config_selectorILNS1_17partition_subalgoE8ElNS0_10empty_typeEbEEZZNS1_14partition_implILS5_8ELb0ES3_jPlPS6_PKS6_NS0_5tupleIJS9_S6_EEENSD_IJSA_SA_EEENS0_18inequality_wrapperIZN2at6native12_GLOBAL__N_124unique_dim_cuda_templateImEESt5tupleIJNSH_6TensorESM_SM_EERKSM_lbbbEUlllE0_EEPmJS6_EEE10hipError_tPvRmT3_T4_T5_T6_T7_T9_mT8_P12ihipStream_tbDpT10_ENKUlT_T0_E_clISt17integral_constantIbLb1EES1B_IbLb0EEEEDaS17_S18_EUlS17_E_NS1_11comp_targetILNS1_3genE8ELNS1_11target_archE1030ELNS1_3gpuE2ELNS1_3repE0EEENS1_30default_config_static_selectorELNS0_4arch9wavefront6targetE1EEEvT1_
    .private_segment_fixed_size: 0
    .sgpr_count:     6
    .sgpr_spill_count: 0
    .symbol:         _ZN7rocprim17ROCPRIM_400000_NS6detail17trampoline_kernelINS0_14default_configENS1_25partition_config_selectorILNS1_17partition_subalgoE8ElNS0_10empty_typeEbEEZZNS1_14partition_implILS5_8ELb0ES3_jPlPS6_PKS6_NS0_5tupleIJS9_S6_EEENSD_IJSA_SA_EEENS0_18inequality_wrapperIZN2at6native12_GLOBAL__N_124unique_dim_cuda_templateImEESt5tupleIJNSH_6TensorESM_SM_EERKSM_lbbbEUlllE0_EEPmJS6_EEE10hipError_tPvRmT3_T4_T5_T6_T7_T9_mT8_P12ihipStream_tbDpT10_ENKUlT_T0_E_clISt17integral_constantIbLb1EES1B_IbLb0EEEEDaS17_S18_EUlS17_E_NS1_11comp_targetILNS1_3genE8ELNS1_11target_archE1030ELNS1_3gpuE2ELNS1_3repE0EEENS1_30default_config_static_selectorELNS0_4arch9wavefront6targetE1EEEvT1_.kd
    .uniform_work_group_size: 1
    .uses_dynamic_stack: false
    .vgpr_count:     0
    .vgpr_spill_count: 0
    .wavefront_size: 64
  - .agpr_count:     0
    .args:
      - .offset:         0
        .size:           136
        .value_kind:     by_value
    .group_segment_fixed_size: 0
    .kernarg_segment_align: 8
    .kernarg_segment_size: 136
    .language:       OpenCL C
    .language_version:
      - 2
      - 0
    .max_flat_workgroup_size: 512
    .name:           _ZN7rocprim17ROCPRIM_400000_NS6detail17trampoline_kernelINS0_14default_configENS1_25partition_config_selectorILNS1_17partition_subalgoE8ElNS0_10empty_typeEbEEZZNS1_14partition_implILS5_8ELb0ES3_jPlPS6_PKS6_NS0_5tupleIJS9_S6_EEENSD_IJSA_SA_EEENS0_18inequality_wrapperIZN2at6native12_GLOBAL__N_124unique_dim_cuda_templateImEESt5tupleIJNSH_6TensorESM_SM_EERKSM_lbbbEUlllE0_EEPmJS6_EEE10hipError_tPvRmT3_T4_T5_T6_T7_T9_mT8_P12ihipStream_tbDpT10_ENKUlT_T0_E_clISt17integral_constantIbLb0EES1B_IbLb1EEEEDaS17_S18_EUlS17_E_NS1_11comp_targetILNS1_3genE0ELNS1_11target_archE4294967295ELNS1_3gpuE0ELNS1_3repE0EEENS1_30default_config_static_selectorELNS0_4arch9wavefront6targetE1EEEvT1_
    .private_segment_fixed_size: 0
    .sgpr_count:     6
    .sgpr_spill_count: 0
    .symbol:         _ZN7rocprim17ROCPRIM_400000_NS6detail17trampoline_kernelINS0_14default_configENS1_25partition_config_selectorILNS1_17partition_subalgoE8ElNS0_10empty_typeEbEEZZNS1_14partition_implILS5_8ELb0ES3_jPlPS6_PKS6_NS0_5tupleIJS9_S6_EEENSD_IJSA_SA_EEENS0_18inequality_wrapperIZN2at6native12_GLOBAL__N_124unique_dim_cuda_templateImEESt5tupleIJNSH_6TensorESM_SM_EERKSM_lbbbEUlllE0_EEPmJS6_EEE10hipError_tPvRmT3_T4_T5_T6_T7_T9_mT8_P12ihipStream_tbDpT10_ENKUlT_T0_E_clISt17integral_constantIbLb0EES1B_IbLb1EEEEDaS17_S18_EUlS17_E_NS1_11comp_targetILNS1_3genE0ELNS1_11target_archE4294967295ELNS1_3gpuE0ELNS1_3repE0EEENS1_30default_config_static_selectorELNS0_4arch9wavefront6targetE1EEEvT1_.kd
    .uniform_work_group_size: 1
    .uses_dynamic_stack: false
    .vgpr_count:     0
    .vgpr_spill_count: 0
    .wavefront_size: 64
  - .agpr_count:     0
    .args:
      - .offset:         0
        .size:           136
        .value_kind:     by_value
    .group_segment_fixed_size: 28684
    .kernarg_segment_align: 8
    .kernarg_segment_size: 136
    .language:       OpenCL C
    .language_version:
      - 2
      - 0
    .max_flat_workgroup_size: 512
    .name:           _ZN7rocprim17ROCPRIM_400000_NS6detail17trampoline_kernelINS0_14default_configENS1_25partition_config_selectorILNS1_17partition_subalgoE8ElNS0_10empty_typeEbEEZZNS1_14partition_implILS5_8ELb0ES3_jPlPS6_PKS6_NS0_5tupleIJS9_S6_EEENSD_IJSA_SA_EEENS0_18inequality_wrapperIZN2at6native12_GLOBAL__N_124unique_dim_cuda_templateImEESt5tupleIJNSH_6TensorESM_SM_EERKSM_lbbbEUlllE0_EEPmJS6_EEE10hipError_tPvRmT3_T4_T5_T6_T7_T9_mT8_P12ihipStream_tbDpT10_ENKUlT_T0_E_clISt17integral_constantIbLb0EES1B_IbLb1EEEEDaS17_S18_EUlS17_E_NS1_11comp_targetILNS1_3genE5ELNS1_11target_archE942ELNS1_3gpuE9ELNS1_3repE0EEENS1_30default_config_static_selectorELNS0_4arch9wavefront6targetE1EEEvT1_
    .private_segment_fixed_size: 0
    .sgpr_count:     62
    .sgpr_spill_count: 0
    .symbol:         _ZN7rocprim17ROCPRIM_400000_NS6detail17trampoline_kernelINS0_14default_configENS1_25partition_config_selectorILNS1_17partition_subalgoE8ElNS0_10empty_typeEbEEZZNS1_14partition_implILS5_8ELb0ES3_jPlPS6_PKS6_NS0_5tupleIJS9_S6_EEENSD_IJSA_SA_EEENS0_18inequality_wrapperIZN2at6native12_GLOBAL__N_124unique_dim_cuda_templateImEESt5tupleIJNSH_6TensorESM_SM_EERKSM_lbbbEUlllE0_EEPmJS6_EEE10hipError_tPvRmT3_T4_T5_T6_T7_T9_mT8_P12ihipStream_tbDpT10_ENKUlT_T0_E_clISt17integral_constantIbLb0EES1B_IbLb1EEEEDaS17_S18_EUlS17_E_NS1_11comp_targetILNS1_3genE5ELNS1_11target_archE942ELNS1_3gpuE9ELNS1_3repE0EEENS1_30default_config_static_selectorELNS0_4arch9wavefront6targetE1EEEvT1_.kd
    .uniform_work_group_size: 1
    .uses_dynamic_stack: false
    .vgpr_count:     52
    .vgpr_spill_count: 0
    .wavefront_size: 64
  - .agpr_count:     0
    .args:
      - .offset:         0
        .size:           136
        .value_kind:     by_value
    .group_segment_fixed_size: 0
    .kernarg_segment_align: 8
    .kernarg_segment_size: 136
    .language:       OpenCL C
    .language_version:
      - 2
      - 0
    .max_flat_workgroup_size: 256
    .name:           _ZN7rocprim17ROCPRIM_400000_NS6detail17trampoline_kernelINS0_14default_configENS1_25partition_config_selectorILNS1_17partition_subalgoE8ElNS0_10empty_typeEbEEZZNS1_14partition_implILS5_8ELb0ES3_jPlPS6_PKS6_NS0_5tupleIJS9_S6_EEENSD_IJSA_SA_EEENS0_18inequality_wrapperIZN2at6native12_GLOBAL__N_124unique_dim_cuda_templateImEESt5tupleIJNSH_6TensorESM_SM_EERKSM_lbbbEUlllE0_EEPmJS6_EEE10hipError_tPvRmT3_T4_T5_T6_T7_T9_mT8_P12ihipStream_tbDpT10_ENKUlT_T0_E_clISt17integral_constantIbLb0EES1B_IbLb1EEEEDaS17_S18_EUlS17_E_NS1_11comp_targetILNS1_3genE4ELNS1_11target_archE910ELNS1_3gpuE8ELNS1_3repE0EEENS1_30default_config_static_selectorELNS0_4arch9wavefront6targetE1EEEvT1_
    .private_segment_fixed_size: 0
    .sgpr_count:     6
    .sgpr_spill_count: 0
    .symbol:         _ZN7rocprim17ROCPRIM_400000_NS6detail17trampoline_kernelINS0_14default_configENS1_25partition_config_selectorILNS1_17partition_subalgoE8ElNS0_10empty_typeEbEEZZNS1_14partition_implILS5_8ELb0ES3_jPlPS6_PKS6_NS0_5tupleIJS9_S6_EEENSD_IJSA_SA_EEENS0_18inequality_wrapperIZN2at6native12_GLOBAL__N_124unique_dim_cuda_templateImEESt5tupleIJNSH_6TensorESM_SM_EERKSM_lbbbEUlllE0_EEPmJS6_EEE10hipError_tPvRmT3_T4_T5_T6_T7_T9_mT8_P12ihipStream_tbDpT10_ENKUlT_T0_E_clISt17integral_constantIbLb0EES1B_IbLb1EEEEDaS17_S18_EUlS17_E_NS1_11comp_targetILNS1_3genE4ELNS1_11target_archE910ELNS1_3gpuE8ELNS1_3repE0EEENS1_30default_config_static_selectorELNS0_4arch9wavefront6targetE1EEEvT1_.kd
    .uniform_work_group_size: 1
    .uses_dynamic_stack: false
    .vgpr_count:     0
    .vgpr_spill_count: 0
    .wavefront_size: 64
  - .agpr_count:     0
    .args:
      - .offset:         0
        .size:           136
        .value_kind:     by_value
    .group_segment_fixed_size: 0
    .kernarg_segment_align: 8
    .kernarg_segment_size: 136
    .language:       OpenCL C
    .language_version:
      - 2
      - 0
    .max_flat_workgroup_size: 512
    .name:           _ZN7rocprim17ROCPRIM_400000_NS6detail17trampoline_kernelINS0_14default_configENS1_25partition_config_selectorILNS1_17partition_subalgoE8ElNS0_10empty_typeEbEEZZNS1_14partition_implILS5_8ELb0ES3_jPlPS6_PKS6_NS0_5tupleIJS9_S6_EEENSD_IJSA_SA_EEENS0_18inequality_wrapperIZN2at6native12_GLOBAL__N_124unique_dim_cuda_templateImEESt5tupleIJNSH_6TensorESM_SM_EERKSM_lbbbEUlllE0_EEPmJS6_EEE10hipError_tPvRmT3_T4_T5_T6_T7_T9_mT8_P12ihipStream_tbDpT10_ENKUlT_T0_E_clISt17integral_constantIbLb0EES1B_IbLb1EEEEDaS17_S18_EUlS17_E_NS1_11comp_targetILNS1_3genE3ELNS1_11target_archE908ELNS1_3gpuE7ELNS1_3repE0EEENS1_30default_config_static_selectorELNS0_4arch9wavefront6targetE1EEEvT1_
    .private_segment_fixed_size: 0
    .sgpr_count:     6
    .sgpr_spill_count: 0
    .symbol:         _ZN7rocprim17ROCPRIM_400000_NS6detail17trampoline_kernelINS0_14default_configENS1_25partition_config_selectorILNS1_17partition_subalgoE8ElNS0_10empty_typeEbEEZZNS1_14partition_implILS5_8ELb0ES3_jPlPS6_PKS6_NS0_5tupleIJS9_S6_EEENSD_IJSA_SA_EEENS0_18inequality_wrapperIZN2at6native12_GLOBAL__N_124unique_dim_cuda_templateImEESt5tupleIJNSH_6TensorESM_SM_EERKSM_lbbbEUlllE0_EEPmJS6_EEE10hipError_tPvRmT3_T4_T5_T6_T7_T9_mT8_P12ihipStream_tbDpT10_ENKUlT_T0_E_clISt17integral_constantIbLb0EES1B_IbLb1EEEEDaS17_S18_EUlS17_E_NS1_11comp_targetILNS1_3genE3ELNS1_11target_archE908ELNS1_3gpuE7ELNS1_3repE0EEENS1_30default_config_static_selectorELNS0_4arch9wavefront6targetE1EEEvT1_.kd
    .uniform_work_group_size: 1
    .uses_dynamic_stack: false
    .vgpr_count:     0
    .vgpr_spill_count: 0
    .wavefront_size: 64
  - .agpr_count:     0
    .args:
      - .offset:         0
        .size:           136
        .value_kind:     by_value
    .group_segment_fixed_size: 0
    .kernarg_segment_align: 8
    .kernarg_segment_size: 136
    .language:       OpenCL C
    .language_version:
      - 2
      - 0
    .max_flat_workgroup_size: 256
    .name:           _ZN7rocprim17ROCPRIM_400000_NS6detail17trampoline_kernelINS0_14default_configENS1_25partition_config_selectorILNS1_17partition_subalgoE8ElNS0_10empty_typeEbEEZZNS1_14partition_implILS5_8ELb0ES3_jPlPS6_PKS6_NS0_5tupleIJS9_S6_EEENSD_IJSA_SA_EEENS0_18inequality_wrapperIZN2at6native12_GLOBAL__N_124unique_dim_cuda_templateImEESt5tupleIJNSH_6TensorESM_SM_EERKSM_lbbbEUlllE0_EEPmJS6_EEE10hipError_tPvRmT3_T4_T5_T6_T7_T9_mT8_P12ihipStream_tbDpT10_ENKUlT_T0_E_clISt17integral_constantIbLb0EES1B_IbLb1EEEEDaS17_S18_EUlS17_E_NS1_11comp_targetILNS1_3genE2ELNS1_11target_archE906ELNS1_3gpuE6ELNS1_3repE0EEENS1_30default_config_static_selectorELNS0_4arch9wavefront6targetE1EEEvT1_
    .private_segment_fixed_size: 0
    .sgpr_count:     6
    .sgpr_spill_count: 0
    .symbol:         _ZN7rocprim17ROCPRIM_400000_NS6detail17trampoline_kernelINS0_14default_configENS1_25partition_config_selectorILNS1_17partition_subalgoE8ElNS0_10empty_typeEbEEZZNS1_14partition_implILS5_8ELb0ES3_jPlPS6_PKS6_NS0_5tupleIJS9_S6_EEENSD_IJSA_SA_EEENS0_18inequality_wrapperIZN2at6native12_GLOBAL__N_124unique_dim_cuda_templateImEESt5tupleIJNSH_6TensorESM_SM_EERKSM_lbbbEUlllE0_EEPmJS6_EEE10hipError_tPvRmT3_T4_T5_T6_T7_T9_mT8_P12ihipStream_tbDpT10_ENKUlT_T0_E_clISt17integral_constantIbLb0EES1B_IbLb1EEEEDaS17_S18_EUlS17_E_NS1_11comp_targetILNS1_3genE2ELNS1_11target_archE906ELNS1_3gpuE6ELNS1_3repE0EEENS1_30default_config_static_selectorELNS0_4arch9wavefront6targetE1EEEvT1_.kd
    .uniform_work_group_size: 1
    .uses_dynamic_stack: false
    .vgpr_count:     0
    .vgpr_spill_count: 0
    .wavefront_size: 64
  - .agpr_count:     0
    .args:
      - .offset:         0
        .size:           136
        .value_kind:     by_value
    .group_segment_fixed_size: 0
    .kernarg_segment_align: 8
    .kernarg_segment_size: 136
    .language:       OpenCL C
    .language_version:
      - 2
      - 0
    .max_flat_workgroup_size: 384
    .name:           _ZN7rocprim17ROCPRIM_400000_NS6detail17trampoline_kernelINS0_14default_configENS1_25partition_config_selectorILNS1_17partition_subalgoE8ElNS0_10empty_typeEbEEZZNS1_14partition_implILS5_8ELb0ES3_jPlPS6_PKS6_NS0_5tupleIJS9_S6_EEENSD_IJSA_SA_EEENS0_18inequality_wrapperIZN2at6native12_GLOBAL__N_124unique_dim_cuda_templateImEESt5tupleIJNSH_6TensorESM_SM_EERKSM_lbbbEUlllE0_EEPmJS6_EEE10hipError_tPvRmT3_T4_T5_T6_T7_T9_mT8_P12ihipStream_tbDpT10_ENKUlT_T0_E_clISt17integral_constantIbLb0EES1B_IbLb1EEEEDaS17_S18_EUlS17_E_NS1_11comp_targetILNS1_3genE10ELNS1_11target_archE1200ELNS1_3gpuE4ELNS1_3repE0EEENS1_30default_config_static_selectorELNS0_4arch9wavefront6targetE1EEEvT1_
    .private_segment_fixed_size: 0
    .sgpr_count:     6
    .sgpr_spill_count: 0
    .symbol:         _ZN7rocprim17ROCPRIM_400000_NS6detail17trampoline_kernelINS0_14default_configENS1_25partition_config_selectorILNS1_17partition_subalgoE8ElNS0_10empty_typeEbEEZZNS1_14partition_implILS5_8ELb0ES3_jPlPS6_PKS6_NS0_5tupleIJS9_S6_EEENSD_IJSA_SA_EEENS0_18inequality_wrapperIZN2at6native12_GLOBAL__N_124unique_dim_cuda_templateImEESt5tupleIJNSH_6TensorESM_SM_EERKSM_lbbbEUlllE0_EEPmJS6_EEE10hipError_tPvRmT3_T4_T5_T6_T7_T9_mT8_P12ihipStream_tbDpT10_ENKUlT_T0_E_clISt17integral_constantIbLb0EES1B_IbLb1EEEEDaS17_S18_EUlS17_E_NS1_11comp_targetILNS1_3genE10ELNS1_11target_archE1200ELNS1_3gpuE4ELNS1_3repE0EEENS1_30default_config_static_selectorELNS0_4arch9wavefront6targetE1EEEvT1_.kd
    .uniform_work_group_size: 1
    .uses_dynamic_stack: false
    .vgpr_count:     0
    .vgpr_spill_count: 0
    .wavefront_size: 64
  - .agpr_count:     0
    .args:
      - .offset:         0
        .size:           136
        .value_kind:     by_value
    .group_segment_fixed_size: 0
    .kernarg_segment_align: 8
    .kernarg_segment_size: 136
    .language:       OpenCL C
    .language_version:
      - 2
      - 0
    .max_flat_workgroup_size: 512
    .name:           _ZN7rocprim17ROCPRIM_400000_NS6detail17trampoline_kernelINS0_14default_configENS1_25partition_config_selectorILNS1_17partition_subalgoE8ElNS0_10empty_typeEbEEZZNS1_14partition_implILS5_8ELb0ES3_jPlPS6_PKS6_NS0_5tupleIJS9_S6_EEENSD_IJSA_SA_EEENS0_18inequality_wrapperIZN2at6native12_GLOBAL__N_124unique_dim_cuda_templateImEESt5tupleIJNSH_6TensorESM_SM_EERKSM_lbbbEUlllE0_EEPmJS6_EEE10hipError_tPvRmT3_T4_T5_T6_T7_T9_mT8_P12ihipStream_tbDpT10_ENKUlT_T0_E_clISt17integral_constantIbLb0EES1B_IbLb1EEEEDaS17_S18_EUlS17_E_NS1_11comp_targetILNS1_3genE9ELNS1_11target_archE1100ELNS1_3gpuE3ELNS1_3repE0EEENS1_30default_config_static_selectorELNS0_4arch9wavefront6targetE1EEEvT1_
    .private_segment_fixed_size: 0
    .sgpr_count:     6
    .sgpr_spill_count: 0
    .symbol:         _ZN7rocprim17ROCPRIM_400000_NS6detail17trampoline_kernelINS0_14default_configENS1_25partition_config_selectorILNS1_17partition_subalgoE8ElNS0_10empty_typeEbEEZZNS1_14partition_implILS5_8ELb0ES3_jPlPS6_PKS6_NS0_5tupleIJS9_S6_EEENSD_IJSA_SA_EEENS0_18inequality_wrapperIZN2at6native12_GLOBAL__N_124unique_dim_cuda_templateImEESt5tupleIJNSH_6TensorESM_SM_EERKSM_lbbbEUlllE0_EEPmJS6_EEE10hipError_tPvRmT3_T4_T5_T6_T7_T9_mT8_P12ihipStream_tbDpT10_ENKUlT_T0_E_clISt17integral_constantIbLb0EES1B_IbLb1EEEEDaS17_S18_EUlS17_E_NS1_11comp_targetILNS1_3genE9ELNS1_11target_archE1100ELNS1_3gpuE3ELNS1_3repE0EEENS1_30default_config_static_selectorELNS0_4arch9wavefront6targetE1EEEvT1_.kd
    .uniform_work_group_size: 1
    .uses_dynamic_stack: false
    .vgpr_count:     0
    .vgpr_spill_count: 0
    .wavefront_size: 64
  - .agpr_count:     0
    .args:
      - .offset:         0
        .size:           136
        .value_kind:     by_value
    .group_segment_fixed_size: 0
    .kernarg_segment_align: 8
    .kernarg_segment_size: 136
    .language:       OpenCL C
    .language_version:
      - 2
      - 0
    .max_flat_workgroup_size: 512
    .name:           _ZN7rocprim17ROCPRIM_400000_NS6detail17trampoline_kernelINS0_14default_configENS1_25partition_config_selectorILNS1_17partition_subalgoE8ElNS0_10empty_typeEbEEZZNS1_14partition_implILS5_8ELb0ES3_jPlPS6_PKS6_NS0_5tupleIJS9_S6_EEENSD_IJSA_SA_EEENS0_18inequality_wrapperIZN2at6native12_GLOBAL__N_124unique_dim_cuda_templateImEESt5tupleIJNSH_6TensorESM_SM_EERKSM_lbbbEUlllE0_EEPmJS6_EEE10hipError_tPvRmT3_T4_T5_T6_T7_T9_mT8_P12ihipStream_tbDpT10_ENKUlT_T0_E_clISt17integral_constantIbLb0EES1B_IbLb1EEEEDaS17_S18_EUlS17_E_NS1_11comp_targetILNS1_3genE8ELNS1_11target_archE1030ELNS1_3gpuE2ELNS1_3repE0EEENS1_30default_config_static_selectorELNS0_4arch9wavefront6targetE1EEEvT1_
    .private_segment_fixed_size: 0
    .sgpr_count:     6
    .sgpr_spill_count: 0
    .symbol:         _ZN7rocprim17ROCPRIM_400000_NS6detail17trampoline_kernelINS0_14default_configENS1_25partition_config_selectorILNS1_17partition_subalgoE8ElNS0_10empty_typeEbEEZZNS1_14partition_implILS5_8ELb0ES3_jPlPS6_PKS6_NS0_5tupleIJS9_S6_EEENSD_IJSA_SA_EEENS0_18inequality_wrapperIZN2at6native12_GLOBAL__N_124unique_dim_cuda_templateImEESt5tupleIJNSH_6TensorESM_SM_EERKSM_lbbbEUlllE0_EEPmJS6_EEE10hipError_tPvRmT3_T4_T5_T6_T7_T9_mT8_P12ihipStream_tbDpT10_ENKUlT_T0_E_clISt17integral_constantIbLb0EES1B_IbLb1EEEEDaS17_S18_EUlS17_E_NS1_11comp_targetILNS1_3genE8ELNS1_11target_archE1030ELNS1_3gpuE2ELNS1_3repE0EEENS1_30default_config_static_selectorELNS0_4arch9wavefront6targetE1EEEvT1_.kd
    .uniform_work_group_size: 1
    .uses_dynamic_stack: false
    .vgpr_count:     0
    .vgpr_spill_count: 0
    .wavefront_size: 64
  - .agpr_count:     0
    .args:
      - .offset:         0
        .size:           120
        .value_kind:     by_value
    .group_segment_fixed_size: 0
    .kernarg_segment_align: 8
    .kernarg_segment_size: 120
    .language:       OpenCL C
    .language_version:
      - 2
      - 0
    .max_flat_workgroup_size: 128
    .name:           _ZN7rocprim17ROCPRIM_400000_NS6detail17trampoline_kernelINS0_14default_configENS1_25partition_config_selectorILNS1_17partition_subalgoE9EllbEEZZNS1_14partition_implILS5_9ELb0ES3_jPlS8_PNS0_10empty_typeENS0_5tupleIJS8_S9_EEENSB_IJS8_SA_EEENS0_18inequality_wrapperIZN2at6native12_GLOBAL__N_124unique_dim_cuda_templateImEESt5tupleIJNSF_6TensorESK_SK_EERKSK_lbbbEUlllE0_EEPmJS9_EEE10hipError_tPvRmT3_T4_T5_T6_T7_T9_mT8_P12ihipStream_tbDpT10_ENKUlT_T0_E_clISt17integral_constantIbLb0EES1A_EEDaS15_S16_EUlS15_E_NS1_11comp_targetILNS1_3genE0ELNS1_11target_archE4294967295ELNS1_3gpuE0ELNS1_3repE0EEENS1_30default_config_static_selectorELNS0_4arch9wavefront6targetE1EEEvT1_
    .private_segment_fixed_size: 0
    .sgpr_count:     6
    .sgpr_spill_count: 0
    .symbol:         _ZN7rocprim17ROCPRIM_400000_NS6detail17trampoline_kernelINS0_14default_configENS1_25partition_config_selectorILNS1_17partition_subalgoE9EllbEEZZNS1_14partition_implILS5_9ELb0ES3_jPlS8_PNS0_10empty_typeENS0_5tupleIJS8_S9_EEENSB_IJS8_SA_EEENS0_18inequality_wrapperIZN2at6native12_GLOBAL__N_124unique_dim_cuda_templateImEESt5tupleIJNSF_6TensorESK_SK_EERKSK_lbbbEUlllE0_EEPmJS9_EEE10hipError_tPvRmT3_T4_T5_T6_T7_T9_mT8_P12ihipStream_tbDpT10_ENKUlT_T0_E_clISt17integral_constantIbLb0EES1A_EEDaS15_S16_EUlS15_E_NS1_11comp_targetILNS1_3genE0ELNS1_11target_archE4294967295ELNS1_3gpuE0ELNS1_3repE0EEENS1_30default_config_static_selectorELNS0_4arch9wavefront6targetE1EEEvT1_.kd
    .uniform_work_group_size: 1
    .uses_dynamic_stack: false
    .vgpr_count:     0
    .vgpr_spill_count: 0
    .wavefront_size: 64
  - .agpr_count:     0
    .args:
      - .offset:         0
        .size:           120
        .value_kind:     by_value
    .group_segment_fixed_size: 28684
    .kernarg_segment_align: 8
    .kernarg_segment_size: 120
    .language:       OpenCL C
    .language_version:
      - 2
      - 0
    .max_flat_workgroup_size: 512
    .name:           _ZN7rocprim17ROCPRIM_400000_NS6detail17trampoline_kernelINS0_14default_configENS1_25partition_config_selectorILNS1_17partition_subalgoE9EllbEEZZNS1_14partition_implILS5_9ELb0ES3_jPlS8_PNS0_10empty_typeENS0_5tupleIJS8_S9_EEENSB_IJS8_SA_EEENS0_18inequality_wrapperIZN2at6native12_GLOBAL__N_124unique_dim_cuda_templateImEESt5tupleIJNSF_6TensorESK_SK_EERKSK_lbbbEUlllE0_EEPmJS9_EEE10hipError_tPvRmT3_T4_T5_T6_T7_T9_mT8_P12ihipStream_tbDpT10_ENKUlT_T0_E_clISt17integral_constantIbLb0EES1A_EEDaS15_S16_EUlS15_E_NS1_11comp_targetILNS1_3genE5ELNS1_11target_archE942ELNS1_3gpuE9ELNS1_3repE0EEENS1_30default_config_static_selectorELNS0_4arch9wavefront6targetE1EEEvT1_
    .private_segment_fixed_size: 0
    .sgpr_count:     58
    .sgpr_spill_count: 0
    .symbol:         _ZN7rocprim17ROCPRIM_400000_NS6detail17trampoline_kernelINS0_14default_configENS1_25partition_config_selectorILNS1_17partition_subalgoE9EllbEEZZNS1_14partition_implILS5_9ELb0ES3_jPlS8_PNS0_10empty_typeENS0_5tupleIJS8_S9_EEENSB_IJS8_SA_EEENS0_18inequality_wrapperIZN2at6native12_GLOBAL__N_124unique_dim_cuda_templateImEESt5tupleIJNSF_6TensorESK_SK_EERKSK_lbbbEUlllE0_EEPmJS9_EEE10hipError_tPvRmT3_T4_T5_T6_T7_T9_mT8_P12ihipStream_tbDpT10_ENKUlT_T0_E_clISt17integral_constantIbLb0EES1A_EEDaS15_S16_EUlS15_E_NS1_11comp_targetILNS1_3genE5ELNS1_11target_archE942ELNS1_3gpuE9ELNS1_3repE0EEENS1_30default_config_static_selectorELNS0_4arch9wavefront6targetE1EEEvT1_.kd
    .uniform_work_group_size: 1
    .uses_dynamic_stack: false
    .vgpr_count:     66
    .vgpr_spill_count: 0
    .wavefront_size: 64
  - .agpr_count:     0
    .args:
      - .offset:         0
        .size:           120
        .value_kind:     by_value
    .group_segment_fixed_size: 0
    .kernarg_segment_align: 8
    .kernarg_segment_size: 120
    .language:       OpenCL C
    .language_version:
      - 2
      - 0
    .max_flat_workgroup_size: 128
    .name:           _ZN7rocprim17ROCPRIM_400000_NS6detail17trampoline_kernelINS0_14default_configENS1_25partition_config_selectorILNS1_17partition_subalgoE9EllbEEZZNS1_14partition_implILS5_9ELb0ES3_jPlS8_PNS0_10empty_typeENS0_5tupleIJS8_S9_EEENSB_IJS8_SA_EEENS0_18inequality_wrapperIZN2at6native12_GLOBAL__N_124unique_dim_cuda_templateImEESt5tupleIJNSF_6TensorESK_SK_EERKSK_lbbbEUlllE0_EEPmJS9_EEE10hipError_tPvRmT3_T4_T5_T6_T7_T9_mT8_P12ihipStream_tbDpT10_ENKUlT_T0_E_clISt17integral_constantIbLb0EES1A_EEDaS15_S16_EUlS15_E_NS1_11comp_targetILNS1_3genE4ELNS1_11target_archE910ELNS1_3gpuE8ELNS1_3repE0EEENS1_30default_config_static_selectorELNS0_4arch9wavefront6targetE1EEEvT1_
    .private_segment_fixed_size: 0
    .sgpr_count:     6
    .sgpr_spill_count: 0
    .symbol:         _ZN7rocprim17ROCPRIM_400000_NS6detail17trampoline_kernelINS0_14default_configENS1_25partition_config_selectorILNS1_17partition_subalgoE9EllbEEZZNS1_14partition_implILS5_9ELb0ES3_jPlS8_PNS0_10empty_typeENS0_5tupleIJS8_S9_EEENSB_IJS8_SA_EEENS0_18inequality_wrapperIZN2at6native12_GLOBAL__N_124unique_dim_cuda_templateImEESt5tupleIJNSF_6TensorESK_SK_EERKSK_lbbbEUlllE0_EEPmJS9_EEE10hipError_tPvRmT3_T4_T5_T6_T7_T9_mT8_P12ihipStream_tbDpT10_ENKUlT_T0_E_clISt17integral_constantIbLb0EES1A_EEDaS15_S16_EUlS15_E_NS1_11comp_targetILNS1_3genE4ELNS1_11target_archE910ELNS1_3gpuE8ELNS1_3repE0EEENS1_30default_config_static_selectorELNS0_4arch9wavefront6targetE1EEEvT1_.kd
    .uniform_work_group_size: 1
    .uses_dynamic_stack: false
    .vgpr_count:     0
    .vgpr_spill_count: 0
    .wavefront_size: 64
  - .agpr_count:     0
    .args:
      - .offset:         0
        .size:           120
        .value_kind:     by_value
    .group_segment_fixed_size: 0
    .kernarg_segment_align: 8
    .kernarg_segment_size: 120
    .language:       OpenCL C
    .language_version:
      - 2
      - 0
    .max_flat_workgroup_size: 128
    .name:           _ZN7rocprim17ROCPRIM_400000_NS6detail17trampoline_kernelINS0_14default_configENS1_25partition_config_selectorILNS1_17partition_subalgoE9EllbEEZZNS1_14partition_implILS5_9ELb0ES3_jPlS8_PNS0_10empty_typeENS0_5tupleIJS8_S9_EEENSB_IJS8_SA_EEENS0_18inequality_wrapperIZN2at6native12_GLOBAL__N_124unique_dim_cuda_templateImEESt5tupleIJNSF_6TensorESK_SK_EERKSK_lbbbEUlllE0_EEPmJS9_EEE10hipError_tPvRmT3_T4_T5_T6_T7_T9_mT8_P12ihipStream_tbDpT10_ENKUlT_T0_E_clISt17integral_constantIbLb0EES1A_EEDaS15_S16_EUlS15_E_NS1_11comp_targetILNS1_3genE3ELNS1_11target_archE908ELNS1_3gpuE7ELNS1_3repE0EEENS1_30default_config_static_selectorELNS0_4arch9wavefront6targetE1EEEvT1_
    .private_segment_fixed_size: 0
    .sgpr_count:     6
    .sgpr_spill_count: 0
    .symbol:         _ZN7rocprim17ROCPRIM_400000_NS6detail17trampoline_kernelINS0_14default_configENS1_25partition_config_selectorILNS1_17partition_subalgoE9EllbEEZZNS1_14partition_implILS5_9ELb0ES3_jPlS8_PNS0_10empty_typeENS0_5tupleIJS8_S9_EEENSB_IJS8_SA_EEENS0_18inequality_wrapperIZN2at6native12_GLOBAL__N_124unique_dim_cuda_templateImEESt5tupleIJNSF_6TensorESK_SK_EERKSK_lbbbEUlllE0_EEPmJS9_EEE10hipError_tPvRmT3_T4_T5_T6_T7_T9_mT8_P12ihipStream_tbDpT10_ENKUlT_T0_E_clISt17integral_constantIbLb0EES1A_EEDaS15_S16_EUlS15_E_NS1_11comp_targetILNS1_3genE3ELNS1_11target_archE908ELNS1_3gpuE7ELNS1_3repE0EEENS1_30default_config_static_selectorELNS0_4arch9wavefront6targetE1EEEvT1_.kd
    .uniform_work_group_size: 1
    .uses_dynamic_stack: false
    .vgpr_count:     0
    .vgpr_spill_count: 0
    .wavefront_size: 64
  - .agpr_count:     0
    .args:
      - .offset:         0
        .size:           120
        .value_kind:     by_value
    .group_segment_fixed_size: 0
    .kernarg_segment_align: 8
    .kernarg_segment_size: 120
    .language:       OpenCL C
    .language_version:
      - 2
      - 0
    .max_flat_workgroup_size: 192
    .name:           _ZN7rocprim17ROCPRIM_400000_NS6detail17trampoline_kernelINS0_14default_configENS1_25partition_config_selectorILNS1_17partition_subalgoE9EllbEEZZNS1_14partition_implILS5_9ELb0ES3_jPlS8_PNS0_10empty_typeENS0_5tupleIJS8_S9_EEENSB_IJS8_SA_EEENS0_18inequality_wrapperIZN2at6native12_GLOBAL__N_124unique_dim_cuda_templateImEESt5tupleIJNSF_6TensorESK_SK_EERKSK_lbbbEUlllE0_EEPmJS9_EEE10hipError_tPvRmT3_T4_T5_T6_T7_T9_mT8_P12ihipStream_tbDpT10_ENKUlT_T0_E_clISt17integral_constantIbLb0EES1A_EEDaS15_S16_EUlS15_E_NS1_11comp_targetILNS1_3genE2ELNS1_11target_archE906ELNS1_3gpuE6ELNS1_3repE0EEENS1_30default_config_static_selectorELNS0_4arch9wavefront6targetE1EEEvT1_
    .private_segment_fixed_size: 0
    .sgpr_count:     6
    .sgpr_spill_count: 0
    .symbol:         _ZN7rocprim17ROCPRIM_400000_NS6detail17trampoline_kernelINS0_14default_configENS1_25partition_config_selectorILNS1_17partition_subalgoE9EllbEEZZNS1_14partition_implILS5_9ELb0ES3_jPlS8_PNS0_10empty_typeENS0_5tupleIJS8_S9_EEENSB_IJS8_SA_EEENS0_18inequality_wrapperIZN2at6native12_GLOBAL__N_124unique_dim_cuda_templateImEESt5tupleIJNSF_6TensorESK_SK_EERKSK_lbbbEUlllE0_EEPmJS9_EEE10hipError_tPvRmT3_T4_T5_T6_T7_T9_mT8_P12ihipStream_tbDpT10_ENKUlT_T0_E_clISt17integral_constantIbLb0EES1A_EEDaS15_S16_EUlS15_E_NS1_11comp_targetILNS1_3genE2ELNS1_11target_archE906ELNS1_3gpuE6ELNS1_3repE0EEENS1_30default_config_static_selectorELNS0_4arch9wavefront6targetE1EEEvT1_.kd
    .uniform_work_group_size: 1
    .uses_dynamic_stack: false
    .vgpr_count:     0
    .vgpr_spill_count: 0
    .wavefront_size: 64
  - .agpr_count:     0
    .args:
      - .offset:         0
        .size:           120
        .value_kind:     by_value
    .group_segment_fixed_size: 0
    .kernarg_segment_align: 8
    .kernarg_segment_size: 120
    .language:       OpenCL C
    .language_version:
      - 2
      - 0
    .max_flat_workgroup_size: 384
    .name:           _ZN7rocprim17ROCPRIM_400000_NS6detail17trampoline_kernelINS0_14default_configENS1_25partition_config_selectorILNS1_17partition_subalgoE9EllbEEZZNS1_14partition_implILS5_9ELb0ES3_jPlS8_PNS0_10empty_typeENS0_5tupleIJS8_S9_EEENSB_IJS8_SA_EEENS0_18inequality_wrapperIZN2at6native12_GLOBAL__N_124unique_dim_cuda_templateImEESt5tupleIJNSF_6TensorESK_SK_EERKSK_lbbbEUlllE0_EEPmJS9_EEE10hipError_tPvRmT3_T4_T5_T6_T7_T9_mT8_P12ihipStream_tbDpT10_ENKUlT_T0_E_clISt17integral_constantIbLb0EES1A_EEDaS15_S16_EUlS15_E_NS1_11comp_targetILNS1_3genE10ELNS1_11target_archE1200ELNS1_3gpuE4ELNS1_3repE0EEENS1_30default_config_static_selectorELNS0_4arch9wavefront6targetE1EEEvT1_
    .private_segment_fixed_size: 0
    .sgpr_count:     6
    .sgpr_spill_count: 0
    .symbol:         _ZN7rocprim17ROCPRIM_400000_NS6detail17trampoline_kernelINS0_14default_configENS1_25partition_config_selectorILNS1_17partition_subalgoE9EllbEEZZNS1_14partition_implILS5_9ELb0ES3_jPlS8_PNS0_10empty_typeENS0_5tupleIJS8_S9_EEENSB_IJS8_SA_EEENS0_18inequality_wrapperIZN2at6native12_GLOBAL__N_124unique_dim_cuda_templateImEESt5tupleIJNSF_6TensorESK_SK_EERKSK_lbbbEUlllE0_EEPmJS9_EEE10hipError_tPvRmT3_T4_T5_T6_T7_T9_mT8_P12ihipStream_tbDpT10_ENKUlT_T0_E_clISt17integral_constantIbLb0EES1A_EEDaS15_S16_EUlS15_E_NS1_11comp_targetILNS1_3genE10ELNS1_11target_archE1200ELNS1_3gpuE4ELNS1_3repE0EEENS1_30default_config_static_selectorELNS0_4arch9wavefront6targetE1EEEvT1_.kd
    .uniform_work_group_size: 1
    .uses_dynamic_stack: false
    .vgpr_count:     0
    .vgpr_spill_count: 0
    .wavefront_size: 64
  - .agpr_count:     0
    .args:
      - .offset:         0
        .size:           120
        .value_kind:     by_value
    .group_segment_fixed_size: 0
    .kernarg_segment_align: 8
    .kernarg_segment_size: 120
    .language:       OpenCL C
    .language_version:
      - 2
      - 0
    .max_flat_workgroup_size: 512
    .name:           _ZN7rocprim17ROCPRIM_400000_NS6detail17trampoline_kernelINS0_14default_configENS1_25partition_config_selectorILNS1_17partition_subalgoE9EllbEEZZNS1_14partition_implILS5_9ELb0ES3_jPlS8_PNS0_10empty_typeENS0_5tupleIJS8_S9_EEENSB_IJS8_SA_EEENS0_18inequality_wrapperIZN2at6native12_GLOBAL__N_124unique_dim_cuda_templateImEESt5tupleIJNSF_6TensorESK_SK_EERKSK_lbbbEUlllE0_EEPmJS9_EEE10hipError_tPvRmT3_T4_T5_T6_T7_T9_mT8_P12ihipStream_tbDpT10_ENKUlT_T0_E_clISt17integral_constantIbLb0EES1A_EEDaS15_S16_EUlS15_E_NS1_11comp_targetILNS1_3genE9ELNS1_11target_archE1100ELNS1_3gpuE3ELNS1_3repE0EEENS1_30default_config_static_selectorELNS0_4arch9wavefront6targetE1EEEvT1_
    .private_segment_fixed_size: 0
    .sgpr_count:     6
    .sgpr_spill_count: 0
    .symbol:         _ZN7rocprim17ROCPRIM_400000_NS6detail17trampoline_kernelINS0_14default_configENS1_25partition_config_selectorILNS1_17partition_subalgoE9EllbEEZZNS1_14partition_implILS5_9ELb0ES3_jPlS8_PNS0_10empty_typeENS0_5tupleIJS8_S9_EEENSB_IJS8_SA_EEENS0_18inequality_wrapperIZN2at6native12_GLOBAL__N_124unique_dim_cuda_templateImEESt5tupleIJNSF_6TensorESK_SK_EERKSK_lbbbEUlllE0_EEPmJS9_EEE10hipError_tPvRmT3_T4_T5_T6_T7_T9_mT8_P12ihipStream_tbDpT10_ENKUlT_T0_E_clISt17integral_constantIbLb0EES1A_EEDaS15_S16_EUlS15_E_NS1_11comp_targetILNS1_3genE9ELNS1_11target_archE1100ELNS1_3gpuE3ELNS1_3repE0EEENS1_30default_config_static_selectorELNS0_4arch9wavefront6targetE1EEEvT1_.kd
    .uniform_work_group_size: 1
    .uses_dynamic_stack: false
    .vgpr_count:     0
    .vgpr_spill_count: 0
    .wavefront_size: 64
  - .agpr_count:     0
    .args:
      - .offset:         0
        .size:           120
        .value_kind:     by_value
    .group_segment_fixed_size: 0
    .kernarg_segment_align: 8
    .kernarg_segment_size: 120
    .language:       OpenCL C
    .language_version:
      - 2
      - 0
    .max_flat_workgroup_size: 512
    .name:           _ZN7rocprim17ROCPRIM_400000_NS6detail17trampoline_kernelINS0_14default_configENS1_25partition_config_selectorILNS1_17partition_subalgoE9EllbEEZZNS1_14partition_implILS5_9ELb0ES3_jPlS8_PNS0_10empty_typeENS0_5tupleIJS8_S9_EEENSB_IJS8_SA_EEENS0_18inequality_wrapperIZN2at6native12_GLOBAL__N_124unique_dim_cuda_templateImEESt5tupleIJNSF_6TensorESK_SK_EERKSK_lbbbEUlllE0_EEPmJS9_EEE10hipError_tPvRmT3_T4_T5_T6_T7_T9_mT8_P12ihipStream_tbDpT10_ENKUlT_T0_E_clISt17integral_constantIbLb0EES1A_EEDaS15_S16_EUlS15_E_NS1_11comp_targetILNS1_3genE8ELNS1_11target_archE1030ELNS1_3gpuE2ELNS1_3repE0EEENS1_30default_config_static_selectorELNS0_4arch9wavefront6targetE1EEEvT1_
    .private_segment_fixed_size: 0
    .sgpr_count:     6
    .sgpr_spill_count: 0
    .symbol:         _ZN7rocprim17ROCPRIM_400000_NS6detail17trampoline_kernelINS0_14default_configENS1_25partition_config_selectorILNS1_17partition_subalgoE9EllbEEZZNS1_14partition_implILS5_9ELb0ES3_jPlS8_PNS0_10empty_typeENS0_5tupleIJS8_S9_EEENSB_IJS8_SA_EEENS0_18inequality_wrapperIZN2at6native12_GLOBAL__N_124unique_dim_cuda_templateImEESt5tupleIJNSF_6TensorESK_SK_EERKSK_lbbbEUlllE0_EEPmJS9_EEE10hipError_tPvRmT3_T4_T5_T6_T7_T9_mT8_P12ihipStream_tbDpT10_ENKUlT_T0_E_clISt17integral_constantIbLb0EES1A_EEDaS15_S16_EUlS15_E_NS1_11comp_targetILNS1_3genE8ELNS1_11target_archE1030ELNS1_3gpuE2ELNS1_3repE0EEENS1_30default_config_static_selectorELNS0_4arch9wavefront6targetE1EEEvT1_.kd
    .uniform_work_group_size: 1
    .uses_dynamic_stack: false
    .vgpr_count:     0
    .vgpr_spill_count: 0
    .wavefront_size: 64
  - .agpr_count:     0
    .args:
      - .offset:         0
        .size:           136
        .value_kind:     by_value
    .group_segment_fixed_size: 0
    .kernarg_segment_align: 8
    .kernarg_segment_size: 136
    .language:       OpenCL C
    .language_version:
      - 2
      - 0
    .max_flat_workgroup_size: 128
    .name:           _ZN7rocprim17ROCPRIM_400000_NS6detail17trampoline_kernelINS0_14default_configENS1_25partition_config_selectorILNS1_17partition_subalgoE9EllbEEZZNS1_14partition_implILS5_9ELb0ES3_jPlS8_PNS0_10empty_typeENS0_5tupleIJS8_S9_EEENSB_IJS8_SA_EEENS0_18inequality_wrapperIZN2at6native12_GLOBAL__N_124unique_dim_cuda_templateImEESt5tupleIJNSF_6TensorESK_SK_EERKSK_lbbbEUlllE0_EEPmJS9_EEE10hipError_tPvRmT3_T4_T5_T6_T7_T9_mT8_P12ihipStream_tbDpT10_ENKUlT_T0_E_clISt17integral_constantIbLb1EES1A_EEDaS15_S16_EUlS15_E_NS1_11comp_targetILNS1_3genE0ELNS1_11target_archE4294967295ELNS1_3gpuE0ELNS1_3repE0EEENS1_30default_config_static_selectorELNS0_4arch9wavefront6targetE1EEEvT1_
    .private_segment_fixed_size: 0
    .sgpr_count:     6
    .sgpr_spill_count: 0
    .symbol:         _ZN7rocprim17ROCPRIM_400000_NS6detail17trampoline_kernelINS0_14default_configENS1_25partition_config_selectorILNS1_17partition_subalgoE9EllbEEZZNS1_14partition_implILS5_9ELb0ES3_jPlS8_PNS0_10empty_typeENS0_5tupleIJS8_S9_EEENSB_IJS8_SA_EEENS0_18inequality_wrapperIZN2at6native12_GLOBAL__N_124unique_dim_cuda_templateImEESt5tupleIJNSF_6TensorESK_SK_EERKSK_lbbbEUlllE0_EEPmJS9_EEE10hipError_tPvRmT3_T4_T5_T6_T7_T9_mT8_P12ihipStream_tbDpT10_ENKUlT_T0_E_clISt17integral_constantIbLb1EES1A_EEDaS15_S16_EUlS15_E_NS1_11comp_targetILNS1_3genE0ELNS1_11target_archE4294967295ELNS1_3gpuE0ELNS1_3repE0EEENS1_30default_config_static_selectorELNS0_4arch9wavefront6targetE1EEEvT1_.kd
    .uniform_work_group_size: 1
    .uses_dynamic_stack: false
    .vgpr_count:     0
    .vgpr_spill_count: 0
    .wavefront_size: 64
  - .agpr_count:     0
    .args:
      - .offset:         0
        .size:           136
        .value_kind:     by_value
    .group_segment_fixed_size: 28684
    .kernarg_segment_align: 8
    .kernarg_segment_size: 136
    .language:       OpenCL C
    .language_version:
      - 2
      - 0
    .max_flat_workgroup_size: 512
    .name:           _ZN7rocprim17ROCPRIM_400000_NS6detail17trampoline_kernelINS0_14default_configENS1_25partition_config_selectorILNS1_17partition_subalgoE9EllbEEZZNS1_14partition_implILS5_9ELb0ES3_jPlS8_PNS0_10empty_typeENS0_5tupleIJS8_S9_EEENSB_IJS8_SA_EEENS0_18inequality_wrapperIZN2at6native12_GLOBAL__N_124unique_dim_cuda_templateImEESt5tupleIJNSF_6TensorESK_SK_EERKSK_lbbbEUlllE0_EEPmJS9_EEE10hipError_tPvRmT3_T4_T5_T6_T7_T9_mT8_P12ihipStream_tbDpT10_ENKUlT_T0_E_clISt17integral_constantIbLb1EES1A_EEDaS15_S16_EUlS15_E_NS1_11comp_targetILNS1_3genE5ELNS1_11target_archE942ELNS1_3gpuE9ELNS1_3repE0EEENS1_30default_config_static_selectorELNS0_4arch9wavefront6targetE1EEEvT1_
    .private_segment_fixed_size: 0
    .sgpr_count:     64
    .sgpr_spill_count: 0
    .symbol:         _ZN7rocprim17ROCPRIM_400000_NS6detail17trampoline_kernelINS0_14default_configENS1_25partition_config_selectorILNS1_17partition_subalgoE9EllbEEZZNS1_14partition_implILS5_9ELb0ES3_jPlS8_PNS0_10empty_typeENS0_5tupleIJS8_S9_EEENSB_IJS8_SA_EEENS0_18inequality_wrapperIZN2at6native12_GLOBAL__N_124unique_dim_cuda_templateImEESt5tupleIJNSF_6TensorESK_SK_EERKSK_lbbbEUlllE0_EEPmJS9_EEE10hipError_tPvRmT3_T4_T5_T6_T7_T9_mT8_P12ihipStream_tbDpT10_ENKUlT_T0_E_clISt17integral_constantIbLb1EES1A_EEDaS15_S16_EUlS15_E_NS1_11comp_targetILNS1_3genE5ELNS1_11target_archE942ELNS1_3gpuE9ELNS1_3repE0EEENS1_30default_config_static_selectorELNS0_4arch9wavefront6targetE1EEEvT1_.kd
    .uniform_work_group_size: 1
    .uses_dynamic_stack: false
    .vgpr_count:     66
    .vgpr_spill_count: 0
    .wavefront_size: 64
  - .agpr_count:     0
    .args:
      - .offset:         0
        .size:           136
        .value_kind:     by_value
    .group_segment_fixed_size: 0
    .kernarg_segment_align: 8
    .kernarg_segment_size: 136
    .language:       OpenCL C
    .language_version:
      - 2
      - 0
    .max_flat_workgroup_size: 128
    .name:           _ZN7rocprim17ROCPRIM_400000_NS6detail17trampoline_kernelINS0_14default_configENS1_25partition_config_selectorILNS1_17partition_subalgoE9EllbEEZZNS1_14partition_implILS5_9ELb0ES3_jPlS8_PNS0_10empty_typeENS0_5tupleIJS8_S9_EEENSB_IJS8_SA_EEENS0_18inequality_wrapperIZN2at6native12_GLOBAL__N_124unique_dim_cuda_templateImEESt5tupleIJNSF_6TensorESK_SK_EERKSK_lbbbEUlllE0_EEPmJS9_EEE10hipError_tPvRmT3_T4_T5_T6_T7_T9_mT8_P12ihipStream_tbDpT10_ENKUlT_T0_E_clISt17integral_constantIbLb1EES1A_EEDaS15_S16_EUlS15_E_NS1_11comp_targetILNS1_3genE4ELNS1_11target_archE910ELNS1_3gpuE8ELNS1_3repE0EEENS1_30default_config_static_selectorELNS0_4arch9wavefront6targetE1EEEvT1_
    .private_segment_fixed_size: 0
    .sgpr_count:     6
    .sgpr_spill_count: 0
    .symbol:         _ZN7rocprim17ROCPRIM_400000_NS6detail17trampoline_kernelINS0_14default_configENS1_25partition_config_selectorILNS1_17partition_subalgoE9EllbEEZZNS1_14partition_implILS5_9ELb0ES3_jPlS8_PNS0_10empty_typeENS0_5tupleIJS8_S9_EEENSB_IJS8_SA_EEENS0_18inequality_wrapperIZN2at6native12_GLOBAL__N_124unique_dim_cuda_templateImEESt5tupleIJNSF_6TensorESK_SK_EERKSK_lbbbEUlllE0_EEPmJS9_EEE10hipError_tPvRmT3_T4_T5_T6_T7_T9_mT8_P12ihipStream_tbDpT10_ENKUlT_T0_E_clISt17integral_constantIbLb1EES1A_EEDaS15_S16_EUlS15_E_NS1_11comp_targetILNS1_3genE4ELNS1_11target_archE910ELNS1_3gpuE8ELNS1_3repE0EEENS1_30default_config_static_selectorELNS0_4arch9wavefront6targetE1EEEvT1_.kd
    .uniform_work_group_size: 1
    .uses_dynamic_stack: false
    .vgpr_count:     0
    .vgpr_spill_count: 0
    .wavefront_size: 64
  - .agpr_count:     0
    .args:
      - .offset:         0
        .size:           136
        .value_kind:     by_value
    .group_segment_fixed_size: 0
    .kernarg_segment_align: 8
    .kernarg_segment_size: 136
    .language:       OpenCL C
    .language_version:
      - 2
      - 0
    .max_flat_workgroup_size: 128
    .name:           _ZN7rocprim17ROCPRIM_400000_NS6detail17trampoline_kernelINS0_14default_configENS1_25partition_config_selectorILNS1_17partition_subalgoE9EllbEEZZNS1_14partition_implILS5_9ELb0ES3_jPlS8_PNS0_10empty_typeENS0_5tupleIJS8_S9_EEENSB_IJS8_SA_EEENS0_18inequality_wrapperIZN2at6native12_GLOBAL__N_124unique_dim_cuda_templateImEESt5tupleIJNSF_6TensorESK_SK_EERKSK_lbbbEUlllE0_EEPmJS9_EEE10hipError_tPvRmT3_T4_T5_T6_T7_T9_mT8_P12ihipStream_tbDpT10_ENKUlT_T0_E_clISt17integral_constantIbLb1EES1A_EEDaS15_S16_EUlS15_E_NS1_11comp_targetILNS1_3genE3ELNS1_11target_archE908ELNS1_3gpuE7ELNS1_3repE0EEENS1_30default_config_static_selectorELNS0_4arch9wavefront6targetE1EEEvT1_
    .private_segment_fixed_size: 0
    .sgpr_count:     6
    .sgpr_spill_count: 0
    .symbol:         _ZN7rocprim17ROCPRIM_400000_NS6detail17trampoline_kernelINS0_14default_configENS1_25partition_config_selectorILNS1_17partition_subalgoE9EllbEEZZNS1_14partition_implILS5_9ELb0ES3_jPlS8_PNS0_10empty_typeENS0_5tupleIJS8_S9_EEENSB_IJS8_SA_EEENS0_18inequality_wrapperIZN2at6native12_GLOBAL__N_124unique_dim_cuda_templateImEESt5tupleIJNSF_6TensorESK_SK_EERKSK_lbbbEUlllE0_EEPmJS9_EEE10hipError_tPvRmT3_T4_T5_T6_T7_T9_mT8_P12ihipStream_tbDpT10_ENKUlT_T0_E_clISt17integral_constantIbLb1EES1A_EEDaS15_S16_EUlS15_E_NS1_11comp_targetILNS1_3genE3ELNS1_11target_archE908ELNS1_3gpuE7ELNS1_3repE0EEENS1_30default_config_static_selectorELNS0_4arch9wavefront6targetE1EEEvT1_.kd
    .uniform_work_group_size: 1
    .uses_dynamic_stack: false
    .vgpr_count:     0
    .vgpr_spill_count: 0
    .wavefront_size: 64
  - .agpr_count:     0
    .args:
      - .offset:         0
        .size:           136
        .value_kind:     by_value
    .group_segment_fixed_size: 0
    .kernarg_segment_align: 8
    .kernarg_segment_size: 136
    .language:       OpenCL C
    .language_version:
      - 2
      - 0
    .max_flat_workgroup_size: 192
    .name:           _ZN7rocprim17ROCPRIM_400000_NS6detail17trampoline_kernelINS0_14default_configENS1_25partition_config_selectorILNS1_17partition_subalgoE9EllbEEZZNS1_14partition_implILS5_9ELb0ES3_jPlS8_PNS0_10empty_typeENS0_5tupleIJS8_S9_EEENSB_IJS8_SA_EEENS0_18inequality_wrapperIZN2at6native12_GLOBAL__N_124unique_dim_cuda_templateImEESt5tupleIJNSF_6TensorESK_SK_EERKSK_lbbbEUlllE0_EEPmJS9_EEE10hipError_tPvRmT3_T4_T5_T6_T7_T9_mT8_P12ihipStream_tbDpT10_ENKUlT_T0_E_clISt17integral_constantIbLb1EES1A_EEDaS15_S16_EUlS15_E_NS1_11comp_targetILNS1_3genE2ELNS1_11target_archE906ELNS1_3gpuE6ELNS1_3repE0EEENS1_30default_config_static_selectorELNS0_4arch9wavefront6targetE1EEEvT1_
    .private_segment_fixed_size: 0
    .sgpr_count:     6
    .sgpr_spill_count: 0
    .symbol:         _ZN7rocprim17ROCPRIM_400000_NS6detail17trampoline_kernelINS0_14default_configENS1_25partition_config_selectorILNS1_17partition_subalgoE9EllbEEZZNS1_14partition_implILS5_9ELb0ES3_jPlS8_PNS0_10empty_typeENS0_5tupleIJS8_S9_EEENSB_IJS8_SA_EEENS0_18inequality_wrapperIZN2at6native12_GLOBAL__N_124unique_dim_cuda_templateImEESt5tupleIJNSF_6TensorESK_SK_EERKSK_lbbbEUlllE0_EEPmJS9_EEE10hipError_tPvRmT3_T4_T5_T6_T7_T9_mT8_P12ihipStream_tbDpT10_ENKUlT_T0_E_clISt17integral_constantIbLb1EES1A_EEDaS15_S16_EUlS15_E_NS1_11comp_targetILNS1_3genE2ELNS1_11target_archE906ELNS1_3gpuE6ELNS1_3repE0EEENS1_30default_config_static_selectorELNS0_4arch9wavefront6targetE1EEEvT1_.kd
    .uniform_work_group_size: 1
    .uses_dynamic_stack: false
    .vgpr_count:     0
    .vgpr_spill_count: 0
    .wavefront_size: 64
  - .agpr_count:     0
    .args:
      - .offset:         0
        .size:           136
        .value_kind:     by_value
    .group_segment_fixed_size: 0
    .kernarg_segment_align: 8
    .kernarg_segment_size: 136
    .language:       OpenCL C
    .language_version:
      - 2
      - 0
    .max_flat_workgroup_size: 384
    .name:           _ZN7rocprim17ROCPRIM_400000_NS6detail17trampoline_kernelINS0_14default_configENS1_25partition_config_selectorILNS1_17partition_subalgoE9EllbEEZZNS1_14partition_implILS5_9ELb0ES3_jPlS8_PNS0_10empty_typeENS0_5tupleIJS8_S9_EEENSB_IJS8_SA_EEENS0_18inequality_wrapperIZN2at6native12_GLOBAL__N_124unique_dim_cuda_templateImEESt5tupleIJNSF_6TensorESK_SK_EERKSK_lbbbEUlllE0_EEPmJS9_EEE10hipError_tPvRmT3_T4_T5_T6_T7_T9_mT8_P12ihipStream_tbDpT10_ENKUlT_T0_E_clISt17integral_constantIbLb1EES1A_EEDaS15_S16_EUlS15_E_NS1_11comp_targetILNS1_3genE10ELNS1_11target_archE1200ELNS1_3gpuE4ELNS1_3repE0EEENS1_30default_config_static_selectorELNS0_4arch9wavefront6targetE1EEEvT1_
    .private_segment_fixed_size: 0
    .sgpr_count:     6
    .sgpr_spill_count: 0
    .symbol:         _ZN7rocprim17ROCPRIM_400000_NS6detail17trampoline_kernelINS0_14default_configENS1_25partition_config_selectorILNS1_17partition_subalgoE9EllbEEZZNS1_14partition_implILS5_9ELb0ES3_jPlS8_PNS0_10empty_typeENS0_5tupleIJS8_S9_EEENSB_IJS8_SA_EEENS0_18inequality_wrapperIZN2at6native12_GLOBAL__N_124unique_dim_cuda_templateImEESt5tupleIJNSF_6TensorESK_SK_EERKSK_lbbbEUlllE0_EEPmJS9_EEE10hipError_tPvRmT3_T4_T5_T6_T7_T9_mT8_P12ihipStream_tbDpT10_ENKUlT_T0_E_clISt17integral_constantIbLb1EES1A_EEDaS15_S16_EUlS15_E_NS1_11comp_targetILNS1_3genE10ELNS1_11target_archE1200ELNS1_3gpuE4ELNS1_3repE0EEENS1_30default_config_static_selectorELNS0_4arch9wavefront6targetE1EEEvT1_.kd
    .uniform_work_group_size: 1
    .uses_dynamic_stack: false
    .vgpr_count:     0
    .vgpr_spill_count: 0
    .wavefront_size: 64
  - .agpr_count:     0
    .args:
      - .offset:         0
        .size:           136
        .value_kind:     by_value
    .group_segment_fixed_size: 0
    .kernarg_segment_align: 8
    .kernarg_segment_size: 136
    .language:       OpenCL C
    .language_version:
      - 2
      - 0
    .max_flat_workgroup_size: 512
    .name:           _ZN7rocprim17ROCPRIM_400000_NS6detail17trampoline_kernelINS0_14default_configENS1_25partition_config_selectorILNS1_17partition_subalgoE9EllbEEZZNS1_14partition_implILS5_9ELb0ES3_jPlS8_PNS0_10empty_typeENS0_5tupleIJS8_S9_EEENSB_IJS8_SA_EEENS0_18inequality_wrapperIZN2at6native12_GLOBAL__N_124unique_dim_cuda_templateImEESt5tupleIJNSF_6TensorESK_SK_EERKSK_lbbbEUlllE0_EEPmJS9_EEE10hipError_tPvRmT3_T4_T5_T6_T7_T9_mT8_P12ihipStream_tbDpT10_ENKUlT_T0_E_clISt17integral_constantIbLb1EES1A_EEDaS15_S16_EUlS15_E_NS1_11comp_targetILNS1_3genE9ELNS1_11target_archE1100ELNS1_3gpuE3ELNS1_3repE0EEENS1_30default_config_static_selectorELNS0_4arch9wavefront6targetE1EEEvT1_
    .private_segment_fixed_size: 0
    .sgpr_count:     6
    .sgpr_spill_count: 0
    .symbol:         _ZN7rocprim17ROCPRIM_400000_NS6detail17trampoline_kernelINS0_14default_configENS1_25partition_config_selectorILNS1_17partition_subalgoE9EllbEEZZNS1_14partition_implILS5_9ELb0ES3_jPlS8_PNS0_10empty_typeENS0_5tupleIJS8_S9_EEENSB_IJS8_SA_EEENS0_18inequality_wrapperIZN2at6native12_GLOBAL__N_124unique_dim_cuda_templateImEESt5tupleIJNSF_6TensorESK_SK_EERKSK_lbbbEUlllE0_EEPmJS9_EEE10hipError_tPvRmT3_T4_T5_T6_T7_T9_mT8_P12ihipStream_tbDpT10_ENKUlT_T0_E_clISt17integral_constantIbLb1EES1A_EEDaS15_S16_EUlS15_E_NS1_11comp_targetILNS1_3genE9ELNS1_11target_archE1100ELNS1_3gpuE3ELNS1_3repE0EEENS1_30default_config_static_selectorELNS0_4arch9wavefront6targetE1EEEvT1_.kd
    .uniform_work_group_size: 1
    .uses_dynamic_stack: false
    .vgpr_count:     0
    .vgpr_spill_count: 0
    .wavefront_size: 64
  - .agpr_count:     0
    .args:
      - .offset:         0
        .size:           136
        .value_kind:     by_value
    .group_segment_fixed_size: 0
    .kernarg_segment_align: 8
    .kernarg_segment_size: 136
    .language:       OpenCL C
    .language_version:
      - 2
      - 0
    .max_flat_workgroup_size: 512
    .name:           _ZN7rocprim17ROCPRIM_400000_NS6detail17trampoline_kernelINS0_14default_configENS1_25partition_config_selectorILNS1_17partition_subalgoE9EllbEEZZNS1_14partition_implILS5_9ELb0ES3_jPlS8_PNS0_10empty_typeENS0_5tupleIJS8_S9_EEENSB_IJS8_SA_EEENS0_18inequality_wrapperIZN2at6native12_GLOBAL__N_124unique_dim_cuda_templateImEESt5tupleIJNSF_6TensorESK_SK_EERKSK_lbbbEUlllE0_EEPmJS9_EEE10hipError_tPvRmT3_T4_T5_T6_T7_T9_mT8_P12ihipStream_tbDpT10_ENKUlT_T0_E_clISt17integral_constantIbLb1EES1A_EEDaS15_S16_EUlS15_E_NS1_11comp_targetILNS1_3genE8ELNS1_11target_archE1030ELNS1_3gpuE2ELNS1_3repE0EEENS1_30default_config_static_selectorELNS0_4arch9wavefront6targetE1EEEvT1_
    .private_segment_fixed_size: 0
    .sgpr_count:     6
    .sgpr_spill_count: 0
    .symbol:         _ZN7rocprim17ROCPRIM_400000_NS6detail17trampoline_kernelINS0_14default_configENS1_25partition_config_selectorILNS1_17partition_subalgoE9EllbEEZZNS1_14partition_implILS5_9ELb0ES3_jPlS8_PNS0_10empty_typeENS0_5tupleIJS8_S9_EEENSB_IJS8_SA_EEENS0_18inequality_wrapperIZN2at6native12_GLOBAL__N_124unique_dim_cuda_templateImEESt5tupleIJNSF_6TensorESK_SK_EERKSK_lbbbEUlllE0_EEPmJS9_EEE10hipError_tPvRmT3_T4_T5_T6_T7_T9_mT8_P12ihipStream_tbDpT10_ENKUlT_T0_E_clISt17integral_constantIbLb1EES1A_EEDaS15_S16_EUlS15_E_NS1_11comp_targetILNS1_3genE8ELNS1_11target_archE1030ELNS1_3gpuE2ELNS1_3repE0EEENS1_30default_config_static_selectorELNS0_4arch9wavefront6targetE1EEEvT1_.kd
    .uniform_work_group_size: 1
    .uses_dynamic_stack: false
    .vgpr_count:     0
    .vgpr_spill_count: 0
    .wavefront_size: 64
  - .agpr_count:     0
    .args:
      - .offset:         0
        .size:           120
        .value_kind:     by_value
    .group_segment_fixed_size: 0
    .kernarg_segment_align: 8
    .kernarg_segment_size: 120
    .language:       OpenCL C
    .language_version:
      - 2
      - 0
    .max_flat_workgroup_size: 128
    .name:           _ZN7rocprim17ROCPRIM_400000_NS6detail17trampoline_kernelINS0_14default_configENS1_25partition_config_selectorILNS1_17partition_subalgoE9EllbEEZZNS1_14partition_implILS5_9ELb0ES3_jPlS8_PNS0_10empty_typeENS0_5tupleIJS8_S9_EEENSB_IJS8_SA_EEENS0_18inequality_wrapperIZN2at6native12_GLOBAL__N_124unique_dim_cuda_templateImEESt5tupleIJNSF_6TensorESK_SK_EERKSK_lbbbEUlllE0_EEPmJS9_EEE10hipError_tPvRmT3_T4_T5_T6_T7_T9_mT8_P12ihipStream_tbDpT10_ENKUlT_T0_E_clISt17integral_constantIbLb1EES19_IbLb0EEEEDaS15_S16_EUlS15_E_NS1_11comp_targetILNS1_3genE0ELNS1_11target_archE4294967295ELNS1_3gpuE0ELNS1_3repE0EEENS1_30default_config_static_selectorELNS0_4arch9wavefront6targetE1EEEvT1_
    .private_segment_fixed_size: 0
    .sgpr_count:     6
    .sgpr_spill_count: 0
    .symbol:         _ZN7rocprim17ROCPRIM_400000_NS6detail17trampoline_kernelINS0_14default_configENS1_25partition_config_selectorILNS1_17partition_subalgoE9EllbEEZZNS1_14partition_implILS5_9ELb0ES3_jPlS8_PNS0_10empty_typeENS0_5tupleIJS8_S9_EEENSB_IJS8_SA_EEENS0_18inequality_wrapperIZN2at6native12_GLOBAL__N_124unique_dim_cuda_templateImEESt5tupleIJNSF_6TensorESK_SK_EERKSK_lbbbEUlllE0_EEPmJS9_EEE10hipError_tPvRmT3_T4_T5_T6_T7_T9_mT8_P12ihipStream_tbDpT10_ENKUlT_T0_E_clISt17integral_constantIbLb1EES19_IbLb0EEEEDaS15_S16_EUlS15_E_NS1_11comp_targetILNS1_3genE0ELNS1_11target_archE4294967295ELNS1_3gpuE0ELNS1_3repE0EEENS1_30default_config_static_selectorELNS0_4arch9wavefront6targetE1EEEvT1_.kd
    .uniform_work_group_size: 1
    .uses_dynamic_stack: false
    .vgpr_count:     0
    .vgpr_spill_count: 0
    .wavefront_size: 64
  - .agpr_count:     0
    .args:
      - .offset:         0
        .size:           120
        .value_kind:     by_value
    .group_segment_fixed_size: 28684
    .kernarg_segment_align: 8
    .kernarg_segment_size: 120
    .language:       OpenCL C
    .language_version:
      - 2
      - 0
    .max_flat_workgroup_size: 512
    .name:           _ZN7rocprim17ROCPRIM_400000_NS6detail17trampoline_kernelINS0_14default_configENS1_25partition_config_selectorILNS1_17partition_subalgoE9EllbEEZZNS1_14partition_implILS5_9ELb0ES3_jPlS8_PNS0_10empty_typeENS0_5tupleIJS8_S9_EEENSB_IJS8_SA_EEENS0_18inequality_wrapperIZN2at6native12_GLOBAL__N_124unique_dim_cuda_templateImEESt5tupleIJNSF_6TensorESK_SK_EERKSK_lbbbEUlllE0_EEPmJS9_EEE10hipError_tPvRmT3_T4_T5_T6_T7_T9_mT8_P12ihipStream_tbDpT10_ENKUlT_T0_E_clISt17integral_constantIbLb1EES19_IbLb0EEEEDaS15_S16_EUlS15_E_NS1_11comp_targetILNS1_3genE5ELNS1_11target_archE942ELNS1_3gpuE9ELNS1_3repE0EEENS1_30default_config_static_selectorELNS0_4arch9wavefront6targetE1EEEvT1_
    .private_segment_fixed_size: 0
    .sgpr_count:     58
    .sgpr_spill_count: 0
    .symbol:         _ZN7rocprim17ROCPRIM_400000_NS6detail17trampoline_kernelINS0_14default_configENS1_25partition_config_selectorILNS1_17partition_subalgoE9EllbEEZZNS1_14partition_implILS5_9ELb0ES3_jPlS8_PNS0_10empty_typeENS0_5tupleIJS8_S9_EEENSB_IJS8_SA_EEENS0_18inequality_wrapperIZN2at6native12_GLOBAL__N_124unique_dim_cuda_templateImEESt5tupleIJNSF_6TensorESK_SK_EERKSK_lbbbEUlllE0_EEPmJS9_EEE10hipError_tPvRmT3_T4_T5_T6_T7_T9_mT8_P12ihipStream_tbDpT10_ENKUlT_T0_E_clISt17integral_constantIbLb1EES19_IbLb0EEEEDaS15_S16_EUlS15_E_NS1_11comp_targetILNS1_3genE5ELNS1_11target_archE942ELNS1_3gpuE9ELNS1_3repE0EEENS1_30default_config_static_selectorELNS0_4arch9wavefront6targetE1EEEvT1_.kd
    .uniform_work_group_size: 1
    .uses_dynamic_stack: false
    .vgpr_count:     66
    .vgpr_spill_count: 0
    .wavefront_size: 64
  - .agpr_count:     0
    .args:
      - .offset:         0
        .size:           120
        .value_kind:     by_value
    .group_segment_fixed_size: 0
    .kernarg_segment_align: 8
    .kernarg_segment_size: 120
    .language:       OpenCL C
    .language_version:
      - 2
      - 0
    .max_flat_workgroup_size: 128
    .name:           _ZN7rocprim17ROCPRIM_400000_NS6detail17trampoline_kernelINS0_14default_configENS1_25partition_config_selectorILNS1_17partition_subalgoE9EllbEEZZNS1_14partition_implILS5_9ELb0ES3_jPlS8_PNS0_10empty_typeENS0_5tupleIJS8_S9_EEENSB_IJS8_SA_EEENS0_18inequality_wrapperIZN2at6native12_GLOBAL__N_124unique_dim_cuda_templateImEESt5tupleIJNSF_6TensorESK_SK_EERKSK_lbbbEUlllE0_EEPmJS9_EEE10hipError_tPvRmT3_T4_T5_T6_T7_T9_mT8_P12ihipStream_tbDpT10_ENKUlT_T0_E_clISt17integral_constantIbLb1EES19_IbLb0EEEEDaS15_S16_EUlS15_E_NS1_11comp_targetILNS1_3genE4ELNS1_11target_archE910ELNS1_3gpuE8ELNS1_3repE0EEENS1_30default_config_static_selectorELNS0_4arch9wavefront6targetE1EEEvT1_
    .private_segment_fixed_size: 0
    .sgpr_count:     6
    .sgpr_spill_count: 0
    .symbol:         _ZN7rocprim17ROCPRIM_400000_NS6detail17trampoline_kernelINS0_14default_configENS1_25partition_config_selectorILNS1_17partition_subalgoE9EllbEEZZNS1_14partition_implILS5_9ELb0ES3_jPlS8_PNS0_10empty_typeENS0_5tupleIJS8_S9_EEENSB_IJS8_SA_EEENS0_18inequality_wrapperIZN2at6native12_GLOBAL__N_124unique_dim_cuda_templateImEESt5tupleIJNSF_6TensorESK_SK_EERKSK_lbbbEUlllE0_EEPmJS9_EEE10hipError_tPvRmT3_T4_T5_T6_T7_T9_mT8_P12ihipStream_tbDpT10_ENKUlT_T0_E_clISt17integral_constantIbLb1EES19_IbLb0EEEEDaS15_S16_EUlS15_E_NS1_11comp_targetILNS1_3genE4ELNS1_11target_archE910ELNS1_3gpuE8ELNS1_3repE0EEENS1_30default_config_static_selectorELNS0_4arch9wavefront6targetE1EEEvT1_.kd
    .uniform_work_group_size: 1
    .uses_dynamic_stack: false
    .vgpr_count:     0
    .vgpr_spill_count: 0
    .wavefront_size: 64
  - .agpr_count:     0
    .args:
      - .offset:         0
        .size:           120
        .value_kind:     by_value
    .group_segment_fixed_size: 0
    .kernarg_segment_align: 8
    .kernarg_segment_size: 120
    .language:       OpenCL C
    .language_version:
      - 2
      - 0
    .max_flat_workgroup_size: 128
    .name:           _ZN7rocprim17ROCPRIM_400000_NS6detail17trampoline_kernelINS0_14default_configENS1_25partition_config_selectorILNS1_17partition_subalgoE9EllbEEZZNS1_14partition_implILS5_9ELb0ES3_jPlS8_PNS0_10empty_typeENS0_5tupleIJS8_S9_EEENSB_IJS8_SA_EEENS0_18inequality_wrapperIZN2at6native12_GLOBAL__N_124unique_dim_cuda_templateImEESt5tupleIJNSF_6TensorESK_SK_EERKSK_lbbbEUlllE0_EEPmJS9_EEE10hipError_tPvRmT3_T4_T5_T6_T7_T9_mT8_P12ihipStream_tbDpT10_ENKUlT_T0_E_clISt17integral_constantIbLb1EES19_IbLb0EEEEDaS15_S16_EUlS15_E_NS1_11comp_targetILNS1_3genE3ELNS1_11target_archE908ELNS1_3gpuE7ELNS1_3repE0EEENS1_30default_config_static_selectorELNS0_4arch9wavefront6targetE1EEEvT1_
    .private_segment_fixed_size: 0
    .sgpr_count:     6
    .sgpr_spill_count: 0
    .symbol:         _ZN7rocprim17ROCPRIM_400000_NS6detail17trampoline_kernelINS0_14default_configENS1_25partition_config_selectorILNS1_17partition_subalgoE9EllbEEZZNS1_14partition_implILS5_9ELb0ES3_jPlS8_PNS0_10empty_typeENS0_5tupleIJS8_S9_EEENSB_IJS8_SA_EEENS0_18inequality_wrapperIZN2at6native12_GLOBAL__N_124unique_dim_cuda_templateImEESt5tupleIJNSF_6TensorESK_SK_EERKSK_lbbbEUlllE0_EEPmJS9_EEE10hipError_tPvRmT3_T4_T5_T6_T7_T9_mT8_P12ihipStream_tbDpT10_ENKUlT_T0_E_clISt17integral_constantIbLb1EES19_IbLb0EEEEDaS15_S16_EUlS15_E_NS1_11comp_targetILNS1_3genE3ELNS1_11target_archE908ELNS1_3gpuE7ELNS1_3repE0EEENS1_30default_config_static_selectorELNS0_4arch9wavefront6targetE1EEEvT1_.kd
    .uniform_work_group_size: 1
    .uses_dynamic_stack: false
    .vgpr_count:     0
    .vgpr_spill_count: 0
    .wavefront_size: 64
  - .agpr_count:     0
    .args:
      - .offset:         0
        .size:           120
        .value_kind:     by_value
    .group_segment_fixed_size: 0
    .kernarg_segment_align: 8
    .kernarg_segment_size: 120
    .language:       OpenCL C
    .language_version:
      - 2
      - 0
    .max_flat_workgroup_size: 192
    .name:           _ZN7rocprim17ROCPRIM_400000_NS6detail17trampoline_kernelINS0_14default_configENS1_25partition_config_selectorILNS1_17partition_subalgoE9EllbEEZZNS1_14partition_implILS5_9ELb0ES3_jPlS8_PNS0_10empty_typeENS0_5tupleIJS8_S9_EEENSB_IJS8_SA_EEENS0_18inequality_wrapperIZN2at6native12_GLOBAL__N_124unique_dim_cuda_templateImEESt5tupleIJNSF_6TensorESK_SK_EERKSK_lbbbEUlllE0_EEPmJS9_EEE10hipError_tPvRmT3_T4_T5_T6_T7_T9_mT8_P12ihipStream_tbDpT10_ENKUlT_T0_E_clISt17integral_constantIbLb1EES19_IbLb0EEEEDaS15_S16_EUlS15_E_NS1_11comp_targetILNS1_3genE2ELNS1_11target_archE906ELNS1_3gpuE6ELNS1_3repE0EEENS1_30default_config_static_selectorELNS0_4arch9wavefront6targetE1EEEvT1_
    .private_segment_fixed_size: 0
    .sgpr_count:     6
    .sgpr_spill_count: 0
    .symbol:         _ZN7rocprim17ROCPRIM_400000_NS6detail17trampoline_kernelINS0_14default_configENS1_25partition_config_selectorILNS1_17partition_subalgoE9EllbEEZZNS1_14partition_implILS5_9ELb0ES3_jPlS8_PNS0_10empty_typeENS0_5tupleIJS8_S9_EEENSB_IJS8_SA_EEENS0_18inequality_wrapperIZN2at6native12_GLOBAL__N_124unique_dim_cuda_templateImEESt5tupleIJNSF_6TensorESK_SK_EERKSK_lbbbEUlllE0_EEPmJS9_EEE10hipError_tPvRmT3_T4_T5_T6_T7_T9_mT8_P12ihipStream_tbDpT10_ENKUlT_T0_E_clISt17integral_constantIbLb1EES19_IbLb0EEEEDaS15_S16_EUlS15_E_NS1_11comp_targetILNS1_3genE2ELNS1_11target_archE906ELNS1_3gpuE6ELNS1_3repE0EEENS1_30default_config_static_selectorELNS0_4arch9wavefront6targetE1EEEvT1_.kd
    .uniform_work_group_size: 1
    .uses_dynamic_stack: false
    .vgpr_count:     0
    .vgpr_spill_count: 0
    .wavefront_size: 64
  - .agpr_count:     0
    .args:
      - .offset:         0
        .size:           120
        .value_kind:     by_value
    .group_segment_fixed_size: 0
    .kernarg_segment_align: 8
    .kernarg_segment_size: 120
    .language:       OpenCL C
    .language_version:
      - 2
      - 0
    .max_flat_workgroup_size: 384
    .name:           _ZN7rocprim17ROCPRIM_400000_NS6detail17trampoline_kernelINS0_14default_configENS1_25partition_config_selectorILNS1_17partition_subalgoE9EllbEEZZNS1_14partition_implILS5_9ELb0ES3_jPlS8_PNS0_10empty_typeENS0_5tupleIJS8_S9_EEENSB_IJS8_SA_EEENS0_18inequality_wrapperIZN2at6native12_GLOBAL__N_124unique_dim_cuda_templateImEESt5tupleIJNSF_6TensorESK_SK_EERKSK_lbbbEUlllE0_EEPmJS9_EEE10hipError_tPvRmT3_T4_T5_T6_T7_T9_mT8_P12ihipStream_tbDpT10_ENKUlT_T0_E_clISt17integral_constantIbLb1EES19_IbLb0EEEEDaS15_S16_EUlS15_E_NS1_11comp_targetILNS1_3genE10ELNS1_11target_archE1200ELNS1_3gpuE4ELNS1_3repE0EEENS1_30default_config_static_selectorELNS0_4arch9wavefront6targetE1EEEvT1_
    .private_segment_fixed_size: 0
    .sgpr_count:     6
    .sgpr_spill_count: 0
    .symbol:         _ZN7rocprim17ROCPRIM_400000_NS6detail17trampoline_kernelINS0_14default_configENS1_25partition_config_selectorILNS1_17partition_subalgoE9EllbEEZZNS1_14partition_implILS5_9ELb0ES3_jPlS8_PNS0_10empty_typeENS0_5tupleIJS8_S9_EEENSB_IJS8_SA_EEENS0_18inequality_wrapperIZN2at6native12_GLOBAL__N_124unique_dim_cuda_templateImEESt5tupleIJNSF_6TensorESK_SK_EERKSK_lbbbEUlllE0_EEPmJS9_EEE10hipError_tPvRmT3_T4_T5_T6_T7_T9_mT8_P12ihipStream_tbDpT10_ENKUlT_T0_E_clISt17integral_constantIbLb1EES19_IbLb0EEEEDaS15_S16_EUlS15_E_NS1_11comp_targetILNS1_3genE10ELNS1_11target_archE1200ELNS1_3gpuE4ELNS1_3repE0EEENS1_30default_config_static_selectorELNS0_4arch9wavefront6targetE1EEEvT1_.kd
    .uniform_work_group_size: 1
    .uses_dynamic_stack: false
    .vgpr_count:     0
    .vgpr_spill_count: 0
    .wavefront_size: 64
  - .agpr_count:     0
    .args:
      - .offset:         0
        .size:           120
        .value_kind:     by_value
    .group_segment_fixed_size: 0
    .kernarg_segment_align: 8
    .kernarg_segment_size: 120
    .language:       OpenCL C
    .language_version:
      - 2
      - 0
    .max_flat_workgroup_size: 512
    .name:           _ZN7rocprim17ROCPRIM_400000_NS6detail17trampoline_kernelINS0_14default_configENS1_25partition_config_selectorILNS1_17partition_subalgoE9EllbEEZZNS1_14partition_implILS5_9ELb0ES3_jPlS8_PNS0_10empty_typeENS0_5tupleIJS8_S9_EEENSB_IJS8_SA_EEENS0_18inequality_wrapperIZN2at6native12_GLOBAL__N_124unique_dim_cuda_templateImEESt5tupleIJNSF_6TensorESK_SK_EERKSK_lbbbEUlllE0_EEPmJS9_EEE10hipError_tPvRmT3_T4_T5_T6_T7_T9_mT8_P12ihipStream_tbDpT10_ENKUlT_T0_E_clISt17integral_constantIbLb1EES19_IbLb0EEEEDaS15_S16_EUlS15_E_NS1_11comp_targetILNS1_3genE9ELNS1_11target_archE1100ELNS1_3gpuE3ELNS1_3repE0EEENS1_30default_config_static_selectorELNS0_4arch9wavefront6targetE1EEEvT1_
    .private_segment_fixed_size: 0
    .sgpr_count:     6
    .sgpr_spill_count: 0
    .symbol:         _ZN7rocprim17ROCPRIM_400000_NS6detail17trampoline_kernelINS0_14default_configENS1_25partition_config_selectorILNS1_17partition_subalgoE9EllbEEZZNS1_14partition_implILS5_9ELb0ES3_jPlS8_PNS0_10empty_typeENS0_5tupleIJS8_S9_EEENSB_IJS8_SA_EEENS0_18inequality_wrapperIZN2at6native12_GLOBAL__N_124unique_dim_cuda_templateImEESt5tupleIJNSF_6TensorESK_SK_EERKSK_lbbbEUlllE0_EEPmJS9_EEE10hipError_tPvRmT3_T4_T5_T6_T7_T9_mT8_P12ihipStream_tbDpT10_ENKUlT_T0_E_clISt17integral_constantIbLb1EES19_IbLb0EEEEDaS15_S16_EUlS15_E_NS1_11comp_targetILNS1_3genE9ELNS1_11target_archE1100ELNS1_3gpuE3ELNS1_3repE0EEENS1_30default_config_static_selectorELNS0_4arch9wavefront6targetE1EEEvT1_.kd
    .uniform_work_group_size: 1
    .uses_dynamic_stack: false
    .vgpr_count:     0
    .vgpr_spill_count: 0
    .wavefront_size: 64
  - .agpr_count:     0
    .args:
      - .offset:         0
        .size:           120
        .value_kind:     by_value
    .group_segment_fixed_size: 0
    .kernarg_segment_align: 8
    .kernarg_segment_size: 120
    .language:       OpenCL C
    .language_version:
      - 2
      - 0
    .max_flat_workgroup_size: 512
    .name:           _ZN7rocprim17ROCPRIM_400000_NS6detail17trampoline_kernelINS0_14default_configENS1_25partition_config_selectorILNS1_17partition_subalgoE9EllbEEZZNS1_14partition_implILS5_9ELb0ES3_jPlS8_PNS0_10empty_typeENS0_5tupleIJS8_S9_EEENSB_IJS8_SA_EEENS0_18inequality_wrapperIZN2at6native12_GLOBAL__N_124unique_dim_cuda_templateImEESt5tupleIJNSF_6TensorESK_SK_EERKSK_lbbbEUlllE0_EEPmJS9_EEE10hipError_tPvRmT3_T4_T5_T6_T7_T9_mT8_P12ihipStream_tbDpT10_ENKUlT_T0_E_clISt17integral_constantIbLb1EES19_IbLb0EEEEDaS15_S16_EUlS15_E_NS1_11comp_targetILNS1_3genE8ELNS1_11target_archE1030ELNS1_3gpuE2ELNS1_3repE0EEENS1_30default_config_static_selectorELNS0_4arch9wavefront6targetE1EEEvT1_
    .private_segment_fixed_size: 0
    .sgpr_count:     6
    .sgpr_spill_count: 0
    .symbol:         _ZN7rocprim17ROCPRIM_400000_NS6detail17trampoline_kernelINS0_14default_configENS1_25partition_config_selectorILNS1_17partition_subalgoE9EllbEEZZNS1_14partition_implILS5_9ELb0ES3_jPlS8_PNS0_10empty_typeENS0_5tupleIJS8_S9_EEENSB_IJS8_SA_EEENS0_18inequality_wrapperIZN2at6native12_GLOBAL__N_124unique_dim_cuda_templateImEESt5tupleIJNSF_6TensorESK_SK_EERKSK_lbbbEUlllE0_EEPmJS9_EEE10hipError_tPvRmT3_T4_T5_T6_T7_T9_mT8_P12ihipStream_tbDpT10_ENKUlT_T0_E_clISt17integral_constantIbLb1EES19_IbLb0EEEEDaS15_S16_EUlS15_E_NS1_11comp_targetILNS1_3genE8ELNS1_11target_archE1030ELNS1_3gpuE2ELNS1_3repE0EEENS1_30default_config_static_selectorELNS0_4arch9wavefront6targetE1EEEvT1_.kd
    .uniform_work_group_size: 1
    .uses_dynamic_stack: false
    .vgpr_count:     0
    .vgpr_spill_count: 0
    .wavefront_size: 64
  - .agpr_count:     0
    .args:
      - .offset:         0
        .size:           136
        .value_kind:     by_value
    .group_segment_fixed_size: 0
    .kernarg_segment_align: 8
    .kernarg_segment_size: 136
    .language:       OpenCL C
    .language_version:
      - 2
      - 0
    .max_flat_workgroup_size: 128
    .name:           _ZN7rocprim17ROCPRIM_400000_NS6detail17trampoline_kernelINS0_14default_configENS1_25partition_config_selectorILNS1_17partition_subalgoE9EllbEEZZNS1_14partition_implILS5_9ELb0ES3_jPlS8_PNS0_10empty_typeENS0_5tupleIJS8_S9_EEENSB_IJS8_SA_EEENS0_18inequality_wrapperIZN2at6native12_GLOBAL__N_124unique_dim_cuda_templateImEESt5tupleIJNSF_6TensorESK_SK_EERKSK_lbbbEUlllE0_EEPmJS9_EEE10hipError_tPvRmT3_T4_T5_T6_T7_T9_mT8_P12ihipStream_tbDpT10_ENKUlT_T0_E_clISt17integral_constantIbLb0EES19_IbLb1EEEEDaS15_S16_EUlS15_E_NS1_11comp_targetILNS1_3genE0ELNS1_11target_archE4294967295ELNS1_3gpuE0ELNS1_3repE0EEENS1_30default_config_static_selectorELNS0_4arch9wavefront6targetE1EEEvT1_
    .private_segment_fixed_size: 0
    .sgpr_count:     6
    .sgpr_spill_count: 0
    .symbol:         _ZN7rocprim17ROCPRIM_400000_NS6detail17trampoline_kernelINS0_14default_configENS1_25partition_config_selectorILNS1_17partition_subalgoE9EllbEEZZNS1_14partition_implILS5_9ELb0ES3_jPlS8_PNS0_10empty_typeENS0_5tupleIJS8_S9_EEENSB_IJS8_SA_EEENS0_18inequality_wrapperIZN2at6native12_GLOBAL__N_124unique_dim_cuda_templateImEESt5tupleIJNSF_6TensorESK_SK_EERKSK_lbbbEUlllE0_EEPmJS9_EEE10hipError_tPvRmT3_T4_T5_T6_T7_T9_mT8_P12ihipStream_tbDpT10_ENKUlT_T0_E_clISt17integral_constantIbLb0EES19_IbLb1EEEEDaS15_S16_EUlS15_E_NS1_11comp_targetILNS1_3genE0ELNS1_11target_archE4294967295ELNS1_3gpuE0ELNS1_3repE0EEENS1_30default_config_static_selectorELNS0_4arch9wavefront6targetE1EEEvT1_.kd
    .uniform_work_group_size: 1
    .uses_dynamic_stack: false
    .vgpr_count:     0
    .vgpr_spill_count: 0
    .wavefront_size: 64
  - .agpr_count:     0
    .args:
      - .offset:         0
        .size:           136
        .value_kind:     by_value
    .group_segment_fixed_size: 28684
    .kernarg_segment_align: 8
    .kernarg_segment_size: 136
    .language:       OpenCL C
    .language_version:
      - 2
      - 0
    .max_flat_workgroup_size: 512
    .name:           _ZN7rocprim17ROCPRIM_400000_NS6detail17trampoline_kernelINS0_14default_configENS1_25partition_config_selectorILNS1_17partition_subalgoE9EllbEEZZNS1_14partition_implILS5_9ELb0ES3_jPlS8_PNS0_10empty_typeENS0_5tupleIJS8_S9_EEENSB_IJS8_SA_EEENS0_18inequality_wrapperIZN2at6native12_GLOBAL__N_124unique_dim_cuda_templateImEESt5tupleIJNSF_6TensorESK_SK_EERKSK_lbbbEUlllE0_EEPmJS9_EEE10hipError_tPvRmT3_T4_T5_T6_T7_T9_mT8_P12ihipStream_tbDpT10_ENKUlT_T0_E_clISt17integral_constantIbLb0EES19_IbLb1EEEEDaS15_S16_EUlS15_E_NS1_11comp_targetILNS1_3genE5ELNS1_11target_archE942ELNS1_3gpuE9ELNS1_3repE0EEENS1_30default_config_static_selectorELNS0_4arch9wavefront6targetE1EEEvT1_
    .private_segment_fixed_size: 0
    .sgpr_count:     64
    .sgpr_spill_count: 0
    .symbol:         _ZN7rocprim17ROCPRIM_400000_NS6detail17trampoline_kernelINS0_14default_configENS1_25partition_config_selectorILNS1_17partition_subalgoE9EllbEEZZNS1_14partition_implILS5_9ELb0ES3_jPlS8_PNS0_10empty_typeENS0_5tupleIJS8_S9_EEENSB_IJS8_SA_EEENS0_18inequality_wrapperIZN2at6native12_GLOBAL__N_124unique_dim_cuda_templateImEESt5tupleIJNSF_6TensorESK_SK_EERKSK_lbbbEUlllE0_EEPmJS9_EEE10hipError_tPvRmT3_T4_T5_T6_T7_T9_mT8_P12ihipStream_tbDpT10_ENKUlT_T0_E_clISt17integral_constantIbLb0EES19_IbLb1EEEEDaS15_S16_EUlS15_E_NS1_11comp_targetILNS1_3genE5ELNS1_11target_archE942ELNS1_3gpuE9ELNS1_3repE0EEENS1_30default_config_static_selectorELNS0_4arch9wavefront6targetE1EEEvT1_.kd
    .uniform_work_group_size: 1
    .uses_dynamic_stack: false
    .vgpr_count:     66
    .vgpr_spill_count: 0
    .wavefront_size: 64
  - .agpr_count:     0
    .args:
      - .offset:         0
        .size:           136
        .value_kind:     by_value
    .group_segment_fixed_size: 0
    .kernarg_segment_align: 8
    .kernarg_segment_size: 136
    .language:       OpenCL C
    .language_version:
      - 2
      - 0
    .max_flat_workgroup_size: 128
    .name:           _ZN7rocprim17ROCPRIM_400000_NS6detail17trampoline_kernelINS0_14default_configENS1_25partition_config_selectorILNS1_17partition_subalgoE9EllbEEZZNS1_14partition_implILS5_9ELb0ES3_jPlS8_PNS0_10empty_typeENS0_5tupleIJS8_S9_EEENSB_IJS8_SA_EEENS0_18inequality_wrapperIZN2at6native12_GLOBAL__N_124unique_dim_cuda_templateImEESt5tupleIJNSF_6TensorESK_SK_EERKSK_lbbbEUlllE0_EEPmJS9_EEE10hipError_tPvRmT3_T4_T5_T6_T7_T9_mT8_P12ihipStream_tbDpT10_ENKUlT_T0_E_clISt17integral_constantIbLb0EES19_IbLb1EEEEDaS15_S16_EUlS15_E_NS1_11comp_targetILNS1_3genE4ELNS1_11target_archE910ELNS1_3gpuE8ELNS1_3repE0EEENS1_30default_config_static_selectorELNS0_4arch9wavefront6targetE1EEEvT1_
    .private_segment_fixed_size: 0
    .sgpr_count:     6
    .sgpr_spill_count: 0
    .symbol:         _ZN7rocprim17ROCPRIM_400000_NS6detail17trampoline_kernelINS0_14default_configENS1_25partition_config_selectorILNS1_17partition_subalgoE9EllbEEZZNS1_14partition_implILS5_9ELb0ES3_jPlS8_PNS0_10empty_typeENS0_5tupleIJS8_S9_EEENSB_IJS8_SA_EEENS0_18inequality_wrapperIZN2at6native12_GLOBAL__N_124unique_dim_cuda_templateImEESt5tupleIJNSF_6TensorESK_SK_EERKSK_lbbbEUlllE0_EEPmJS9_EEE10hipError_tPvRmT3_T4_T5_T6_T7_T9_mT8_P12ihipStream_tbDpT10_ENKUlT_T0_E_clISt17integral_constantIbLb0EES19_IbLb1EEEEDaS15_S16_EUlS15_E_NS1_11comp_targetILNS1_3genE4ELNS1_11target_archE910ELNS1_3gpuE8ELNS1_3repE0EEENS1_30default_config_static_selectorELNS0_4arch9wavefront6targetE1EEEvT1_.kd
    .uniform_work_group_size: 1
    .uses_dynamic_stack: false
    .vgpr_count:     0
    .vgpr_spill_count: 0
    .wavefront_size: 64
  - .agpr_count:     0
    .args:
      - .offset:         0
        .size:           136
        .value_kind:     by_value
    .group_segment_fixed_size: 0
    .kernarg_segment_align: 8
    .kernarg_segment_size: 136
    .language:       OpenCL C
    .language_version:
      - 2
      - 0
    .max_flat_workgroup_size: 128
    .name:           _ZN7rocprim17ROCPRIM_400000_NS6detail17trampoline_kernelINS0_14default_configENS1_25partition_config_selectorILNS1_17partition_subalgoE9EllbEEZZNS1_14partition_implILS5_9ELb0ES3_jPlS8_PNS0_10empty_typeENS0_5tupleIJS8_S9_EEENSB_IJS8_SA_EEENS0_18inequality_wrapperIZN2at6native12_GLOBAL__N_124unique_dim_cuda_templateImEESt5tupleIJNSF_6TensorESK_SK_EERKSK_lbbbEUlllE0_EEPmJS9_EEE10hipError_tPvRmT3_T4_T5_T6_T7_T9_mT8_P12ihipStream_tbDpT10_ENKUlT_T0_E_clISt17integral_constantIbLb0EES19_IbLb1EEEEDaS15_S16_EUlS15_E_NS1_11comp_targetILNS1_3genE3ELNS1_11target_archE908ELNS1_3gpuE7ELNS1_3repE0EEENS1_30default_config_static_selectorELNS0_4arch9wavefront6targetE1EEEvT1_
    .private_segment_fixed_size: 0
    .sgpr_count:     6
    .sgpr_spill_count: 0
    .symbol:         _ZN7rocprim17ROCPRIM_400000_NS6detail17trampoline_kernelINS0_14default_configENS1_25partition_config_selectorILNS1_17partition_subalgoE9EllbEEZZNS1_14partition_implILS5_9ELb0ES3_jPlS8_PNS0_10empty_typeENS0_5tupleIJS8_S9_EEENSB_IJS8_SA_EEENS0_18inequality_wrapperIZN2at6native12_GLOBAL__N_124unique_dim_cuda_templateImEESt5tupleIJNSF_6TensorESK_SK_EERKSK_lbbbEUlllE0_EEPmJS9_EEE10hipError_tPvRmT3_T4_T5_T6_T7_T9_mT8_P12ihipStream_tbDpT10_ENKUlT_T0_E_clISt17integral_constantIbLb0EES19_IbLb1EEEEDaS15_S16_EUlS15_E_NS1_11comp_targetILNS1_3genE3ELNS1_11target_archE908ELNS1_3gpuE7ELNS1_3repE0EEENS1_30default_config_static_selectorELNS0_4arch9wavefront6targetE1EEEvT1_.kd
    .uniform_work_group_size: 1
    .uses_dynamic_stack: false
    .vgpr_count:     0
    .vgpr_spill_count: 0
    .wavefront_size: 64
  - .agpr_count:     0
    .args:
      - .offset:         0
        .size:           136
        .value_kind:     by_value
    .group_segment_fixed_size: 0
    .kernarg_segment_align: 8
    .kernarg_segment_size: 136
    .language:       OpenCL C
    .language_version:
      - 2
      - 0
    .max_flat_workgroup_size: 192
    .name:           _ZN7rocprim17ROCPRIM_400000_NS6detail17trampoline_kernelINS0_14default_configENS1_25partition_config_selectorILNS1_17partition_subalgoE9EllbEEZZNS1_14partition_implILS5_9ELb0ES3_jPlS8_PNS0_10empty_typeENS0_5tupleIJS8_S9_EEENSB_IJS8_SA_EEENS0_18inequality_wrapperIZN2at6native12_GLOBAL__N_124unique_dim_cuda_templateImEESt5tupleIJNSF_6TensorESK_SK_EERKSK_lbbbEUlllE0_EEPmJS9_EEE10hipError_tPvRmT3_T4_T5_T6_T7_T9_mT8_P12ihipStream_tbDpT10_ENKUlT_T0_E_clISt17integral_constantIbLb0EES19_IbLb1EEEEDaS15_S16_EUlS15_E_NS1_11comp_targetILNS1_3genE2ELNS1_11target_archE906ELNS1_3gpuE6ELNS1_3repE0EEENS1_30default_config_static_selectorELNS0_4arch9wavefront6targetE1EEEvT1_
    .private_segment_fixed_size: 0
    .sgpr_count:     6
    .sgpr_spill_count: 0
    .symbol:         _ZN7rocprim17ROCPRIM_400000_NS6detail17trampoline_kernelINS0_14default_configENS1_25partition_config_selectorILNS1_17partition_subalgoE9EllbEEZZNS1_14partition_implILS5_9ELb0ES3_jPlS8_PNS0_10empty_typeENS0_5tupleIJS8_S9_EEENSB_IJS8_SA_EEENS0_18inequality_wrapperIZN2at6native12_GLOBAL__N_124unique_dim_cuda_templateImEESt5tupleIJNSF_6TensorESK_SK_EERKSK_lbbbEUlllE0_EEPmJS9_EEE10hipError_tPvRmT3_T4_T5_T6_T7_T9_mT8_P12ihipStream_tbDpT10_ENKUlT_T0_E_clISt17integral_constantIbLb0EES19_IbLb1EEEEDaS15_S16_EUlS15_E_NS1_11comp_targetILNS1_3genE2ELNS1_11target_archE906ELNS1_3gpuE6ELNS1_3repE0EEENS1_30default_config_static_selectorELNS0_4arch9wavefront6targetE1EEEvT1_.kd
    .uniform_work_group_size: 1
    .uses_dynamic_stack: false
    .vgpr_count:     0
    .vgpr_spill_count: 0
    .wavefront_size: 64
  - .agpr_count:     0
    .args:
      - .offset:         0
        .size:           136
        .value_kind:     by_value
    .group_segment_fixed_size: 0
    .kernarg_segment_align: 8
    .kernarg_segment_size: 136
    .language:       OpenCL C
    .language_version:
      - 2
      - 0
    .max_flat_workgroup_size: 384
    .name:           _ZN7rocprim17ROCPRIM_400000_NS6detail17trampoline_kernelINS0_14default_configENS1_25partition_config_selectorILNS1_17partition_subalgoE9EllbEEZZNS1_14partition_implILS5_9ELb0ES3_jPlS8_PNS0_10empty_typeENS0_5tupleIJS8_S9_EEENSB_IJS8_SA_EEENS0_18inequality_wrapperIZN2at6native12_GLOBAL__N_124unique_dim_cuda_templateImEESt5tupleIJNSF_6TensorESK_SK_EERKSK_lbbbEUlllE0_EEPmJS9_EEE10hipError_tPvRmT3_T4_T5_T6_T7_T9_mT8_P12ihipStream_tbDpT10_ENKUlT_T0_E_clISt17integral_constantIbLb0EES19_IbLb1EEEEDaS15_S16_EUlS15_E_NS1_11comp_targetILNS1_3genE10ELNS1_11target_archE1200ELNS1_3gpuE4ELNS1_3repE0EEENS1_30default_config_static_selectorELNS0_4arch9wavefront6targetE1EEEvT1_
    .private_segment_fixed_size: 0
    .sgpr_count:     6
    .sgpr_spill_count: 0
    .symbol:         _ZN7rocprim17ROCPRIM_400000_NS6detail17trampoline_kernelINS0_14default_configENS1_25partition_config_selectorILNS1_17partition_subalgoE9EllbEEZZNS1_14partition_implILS5_9ELb0ES3_jPlS8_PNS0_10empty_typeENS0_5tupleIJS8_S9_EEENSB_IJS8_SA_EEENS0_18inequality_wrapperIZN2at6native12_GLOBAL__N_124unique_dim_cuda_templateImEESt5tupleIJNSF_6TensorESK_SK_EERKSK_lbbbEUlllE0_EEPmJS9_EEE10hipError_tPvRmT3_T4_T5_T6_T7_T9_mT8_P12ihipStream_tbDpT10_ENKUlT_T0_E_clISt17integral_constantIbLb0EES19_IbLb1EEEEDaS15_S16_EUlS15_E_NS1_11comp_targetILNS1_3genE10ELNS1_11target_archE1200ELNS1_3gpuE4ELNS1_3repE0EEENS1_30default_config_static_selectorELNS0_4arch9wavefront6targetE1EEEvT1_.kd
    .uniform_work_group_size: 1
    .uses_dynamic_stack: false
    .vgpr_count:     0
    .vgpr_spill_count: 0
    .wavefront_size: 64
  - .agpr_count:     0
    .args:
      - .offset:         0
        .size:           136
        .value_kind:     by_value
    .group_segment_fixed_size: 0
    .kernarg_segment_align: 8
    .kernarg_segment_size: 136
    .language:       OpenCL C
    .language_version:
      - 2
      - 0
    .max_flat_workgroup_size: 512
    .name:           _ZN7rocprim17ROCPRIM_400000_NS6detail17trampoline_kernelINS0_14default_configENS1_25partition_config_selectorILNS1_17partition_subalgoE9EllbEEZZNS1_14partition_implILS5_9ELb0ES3_jPlS8_PNS0_10empty_typeENS0_5tupleIJS8_S9_EEENSB_IJS8_SA_EEENS0_18inequality_wrapperIZN2at6native12_GLOBAL__N_124unique_dim_cuda_templateImEESt5tupleIJNSF_6TensorESK_SK_EERKSK_lbbbEUlllE0_EEPmJS9_EEE10hipError_tPvRmT3_T4_T5_T6_T7_T9_mT8_P12ihipStream_tbDpT10_ENKUlT_T0_E_clISt17integral_constantIbLb0EES19_IbLb1EEEEDaS15_S16_EUlS15_E_NS1_11comp_targetILNS1_3genE9ELNS1_11target_archE1100ELNS1_3gpuE3ELNS1_3repE0EEENS1_30default_config_static_selectorELNS0_4arch9wavefront6targetE1EEEvT1_
    .private_segment_fixed_size: 0
    .sgpr_count:     6
    .sgpr_spill_count: 0
    .symbol:         _ZN7rocprim17ROCPRIM_400000_NS6detail17trampoline_kernelINS0_14default_configENS1_25partition_config_selectorILNS1_17partition_subalgoE9EllbEEZZNS1_14partition_implILS5_9ELb0ES3_jPlS8_PNS0_10empty_typeENS0_5tupleIJS8_S9_EEENSB_IJS8_SA_EEENS0_18inequality_wrapperIZN2at6native12_GLOBAL__N_124unique_dim_cuda_templateImEESt5tupleIJNSF_6TensorESK_SK_EERKSK_lbbbEUlllE0_EEPmJS9_EEE10hipError_tPvRmT3_T4_T5_T6_T7_T9_mT8_P12ihipStream_tbDpT10_ENKUlT_T0_E_clISt17integral_constantIbLb0EES19_IbLb1EEEEDaS15_S16_EUlS15_E_NS1_11comp_targetILNS1_3genE9ELNS1_11target_archE1100ELNS1_3gpuE3ELNS1_3repE0EEENS1_30default_config_static_selectorELNS0_4arch9wavefront6targetE1EEEvT1_.kd
    .uniform_work_group_size: 1
    .uses_dynamic_stack: false
    .vgpr_count:     0
    .vgpr_spill_count: 0
    .wavefront_size: 64
  - .agpr_count:     0
    .args:
      - .offset:         0
        .size:           136
        .value_kind:     by_value
    .group_segment_fixed_size: 0
    .kernarg_segment_align: 8
    .kernarg_segment_size: 136
    .language:       OpenCL C
    .language_version:
      - 2
      - 0
    .max_flat_workgroup_size: 512
    .name:           _ZN7rocprim17ROCPRIM_400000_NS6detail17trampoline_kernelINS0_14default_configENS1_25partition_config_selectorILNS1_17partition_subalgoE9EllbEEZZNS1_14partition_implILS5_9ELb0ES3_jPlS8_PNS0_10empty_typeENS0_5tupleIJS8_S9_EEENSB_IJS8_SA_EEENS0_18inequality_wrapperIZN2at6native12_GLOBAL__N_124unique_dim_cuda_templateImEESt5tupleIJNSF_6TensorESK_SK_EERKSK_lbbbEUlllE0_EEPmJS9_EEE10hipError_tPvRmT3_T4_T5_T6_T7_T9_mT8_P12ihipStream_tbDpT10_ENKUlT_T0_E_clISt17integral_constantIbLb0EES19_IbLb1EEEEDaS15_S16_EUlS15_E_NS1_11comp_targetILNS1_3genE8ELNS1_11target_archE1030ELNS1_3gpuE2ELNS1_3repE0EEENS1_30default_config_static_selectorELNS0_4arch9wavefront6targetE1EEEvT1_
    .private_segment_fixed_size: 0
    .sgpr_count:     6
    .sgpr_spill_count: 0
    .symbol:         _ZN7rocprim17ROCPRIM_400000_NS6detail17trampoline_kernelINS0_14default_configENS1_25partition_config_selectorILNS1_17partition_subalgoE9EllbEEZZNS1_14partition_implILS5_9ELb0ES3_jPlS8_PNS0_10empty_typeENS0_5tupleIJS8_S9_EEENSB_IJS8_SA_EEENS0_18inequality_wrapperIZN2at6native12_GLOBAL__N_124unique_dim_cuda_templateImEESt5tupleIJNSF_6TensorESK_SK_EERKSK_lbbbEUlllE0_EEPmJS9_EEE10hipError_tPvRmT3_T4_T5_T6_T7_T9_mT8_P12ihipStream_tbDpT10_ENKUlT_T0_E_clISt17integral_constantIbLb0EES19_IbLb1EEEEDaS15_S16_EUlS15_E_NS1_11comp_targetILNS1_3genE8ELNS1_11target_archE1030ELNS1_3gpuE2ELNS1_3repE0EEENS1_30default_config_static_selectorELNS0_4arch9wavefront6targetE1EEEvT1_.kd
    .uniform_work_group_size: 1
    .uses_dynamic_stack: false
    .vgpr_count:     0
    .vgpr_spill_count: 0
    .wavefront_size: 64
amdhsa.target:   amdgcn-amd-amdhsa--gfx942
amdhsa.version:
  - 1
  - 2
...

	.end_amdgpu_metadata
